;; amdgpu-corpus repo=pytorch/pytorch kind=compiled arch=gfx1100 opt=O3
	.text
	.amdgcn_target "amdgcn-amd-amdhsa--gfx1100"
	.amdhsa_code_object_version 6
	.section	.text._ZN7rocprim17ROCPRIM_400000_NS6detail31init_lookback_scan_state_kernelINS1_19lookback_scan_stateIdLb0ELb1EEENS1_16block_id_wrapperIjLb0EEEEEvT_jT0_jPNS7_10value_typeE,"axG",@progbits,_ZN7rocprim17ROCPRIM_400000_NS6detail31init_lookback_scan_state_kernelINS1_19lookback_scan_stateIdLb0ELb1EEENS1_16block_id_wrapperIjLb0EEEEEvT_jT0_jPNS7_10value_typeE,comdat
	.protected	_ZN7rocprim17ROCPRIM_400000_NS6detail31init_lookback_scan_state_kernelINS1_19lookback_scan_stateIdLb0ELb1EEENS1_16block_id_wrapperIjLb0EEEEEvT_jT0_jPNS7_10value_typeE ; -- Begin function _ZN7rocprim17ROCPRIM_400000_NS6detail31init_lookback_scan_state_kernelINS1_19lookback_scan_stateIdLb0ELb1EEENS1_16block_id_wrapperIjLb0EEEEEvT_jT0_jPNS7_10value_typeE
	.globl	_ZN7rocprim17ROCPRIM_400000_NS6detail31init_lookback_scan_state_kernelINS1_19lookback_scan_stateIdLb0ELb1EEENS1_16block_id_wrapperIjLb0EEEEEvT_jT0_jPNS7_10value_typeE
	.p2align	8
	.type	_ZN7rocprim17ROCPRIM_400000_NS6detail31init_lookback_scan_state_kernelINS1_19lookback_scan_stateIdLb0ELb1EEENS1_16block_id_wrapperIjLb0EEEEEvT_jT0_jPNS7_10value_typeE,@function
_ZN7rocprim17ROCPRIM_400000_NS6detail31init_lookback_scan_state_kernelINS1_19lookback_scan_stateIdLb0ELb1EEENS1_16block_id_wrapperIjLb0EEEEEvT_jT0_jPNS7_10value_typeE: ; @_ZN7rocprim17ROCPRIM_400000_NS6detail31init_lookback_scan_state_kernelINS1_19lookback_scan_stateIdLb0ELb1EEENS1_16block_id_wrapperIjLb0EEEEEvT_jT0_jPNS7_10value_typeE
; %bb.0:
	s_clause 0x3
	s_load_b32 s7, s[0:1], 0x2c
	s_load_b64 s[4:5], s[0:1], 0x18
	s_load_b64 s[2:3], s[0:1], 0x0
	s_load_b32 s6, s[0:1], 0x8
	s_waitcnt lgkmcnt(0)
	s_and_b32 s7, s7, 0xffff
	s_cmp_eq_u64 s[4:5], 0
	v_mad_u64_u32 v[1:2], null, s15, s7, v[0:1]
	s_cbranch_scc1 .LBB0_8
; %bb.1:
	s_load_b32 s0, s[0:1], 0x10
	s_waitcnt lgkmcnt(0)
	s_cmp_lt_u32 s0, s6
	s_cselect_b32 s1, s0, 0
	s_delay_alu instid0(VALU_DEP_1) | instid1(SALU_CYCLE_1)
	v_cmp_eq_u32_e32 vcc_lo, s1, v1
	s_mov_b32 s1, 0
	s_and_saveexec_b32 s7, vcc_lo
	s_cbranch_execz .LBB0_7
; %bb.2:
	s_add_i32 s0, s0, 32
	s_mov_b32 s8, exec_lo
	s_lshl_b64 s[0:1], s[0:1], 4
	v_mov_b32_e32 v6, 0
	s_add_u32 s0, s2, s0
	s_addc_u32 s1, s3, s1
	s_delay_alu instid0(SALU_CYCLE_1) | instskip(SKIP_2) | instid1(VALU_DEP_1)
	v_dual_mov_b32 v3, s1 :: v_dual_mov_b32 v2, s0
	;;#ASMSTART
	global_load_dwordx4 v[2:5], v[2:3] off glc	
s_waitcnt vmcnt(0)
	;;#ASMEND
	v_and_b32_e32 v5, 0xff, v4
	v_cmpx_eq_u64_e32 0, v[5:6]
	s_cbranch_execz .LBB0_6
; %bb.3:
	v_dual_mov_b32 v8, s1 :: v_dual_mov_b32 v7, s0
	s_mov_b32 s0, 0
.LBB0_4:                                ; =>This Inner Loop Header: Depth=1
	;;#ASMSTART
	global_load_dwordx4 v[2:5], v[7:8] off glc	
s_waitcnt vmcnt(0)
	;;#ASMEND
	v_and_b32_e32 v5, 0xff, v4
	s_delay_alu instid0(VALU_DEP_1) | instskip(SKIP_1) | instid1(SALU_CYCLE_1)
	v_cmp_ne_u64_e32 vcc_lo, 0, v[5:6]
	s_or_b32 s0, vcc_lo, s0
	s_and_not1_b32 exec_lo, exec_lo, s0
	s_cbranch_execnz .LBB0_4
; %bb.5:
	s_or_b32 exec_lo, exec_lo, s0
.LBB0_6:
	s_delay_alu instid0(SALU_CYCLE_1)
	s_or_b32 exec_lo, exec_lo, s8
	v_mov_b32_e32 v0, 0
	global_store_b64 v0, v[2:3], s[4:5]
.LBB0_7:
	s_or_b32 exec_lo, exec_lo, s7
.LBB0_8:
	s_delay_alu instid0(SALU_CYCLE_1) | instskip(NEXT) | instid1(VALU_DEP_1)
	s_mov_b32 s0, exec_lo
	v_cmpx_gt_u32_e64 s6, v1
	s_cbranch_execz .LBB0_10
; %bb.9:
	v_dual_mov_b32 v3, 0 :: v_dual_add_nc_u32 v2, 32, v1
	s_delay_alu instid0(VALU_DEP_1) | instskip(SKIP_2) | instid1(VALU_DEP_3)
	v_lshlrev_b64 v[5:6], 4, v[2:3]
	v_mov_b32_e32 v2, v3
	v_mov_b32_e32 v4, v3
	v_add_co_u32 v7, vcc_lo, s2, v5
	s_delay_alu instid0(VALU_DEP_4)
	v_add_co_ci_u32_e32 v8, vcc_lo, s3, v6, vcc_lo
	v_mov_b32_e32 v5, v3
	global_store_b128 v[7:8], v[2:5], off
.LBB0_10:
	s_or_b32 exec_lo, exec_lo, s0
	s_delay_alu instid0(SALU_CYCLE_1)
	s_mov_b32 s0, exec_lo
	v_cmpx_gt_u32_e32 32, v1
	s_cbranch_execz .LBB0_12
; %bb.11:
	v_dual_mov_b32 v2, 0 :: v_dual_mov_b32 v3, 0xff
	s_delay_alu instid0(VALU_DEP_1) | instskip(SKIP_1) | instid1(VALU_DEP_2)
	v_lshlrev_b64 v[4:5], 4, v[1:2]
	v_mov_b32_e32 v1, v2
	v_add_co_u32 v6, vcc_lo, s2, v4
	s_delay_alu instid0(VALU_DEP_3)
	v_add_co_ci_u32_e32 v7, vcc_lo, s3, v5, vcc_lo
	v_mov_b32_e32 v4, v2
	global_store_b128 v[6:7], v[1:4], off
.LBB0_12:
	s_nop 0
	s_sendmsg sendmsg(MSG_DEALLOC_VGPRS)
	s_endpgm
	.section	.rodata,"a",@progbits
	.p2align	6, 0x0
	.amdhsa_kernel _ZN7rocprim17ROCPRIM_400000_NS6detail31init_lookback_scan_state_kernelINS1_19lookback_scan_stateIdLb0ELb1EEENS1_16block_id_wrapperIjLb0EEEEEvT_jT0_jPNS7_10value_typeE
		.amdhsa_group_segment_fixed_size 0
		.amdhsa_private_segment_fixed_size 0
		.amdhsa_kernarg_size 288
		.amdhsa_user_sgpr_count 15
		.amdhsa_user_sgpr_dispatch_ptr 0
		.amdhsa_user_sgpr_queue_ptr 0
		.amdhsa_user_sgpr_kernarg_segment_ptr 1
		.amdhsa_user_sgpr_dispatch_id 0
		.amdhsa_user_sgpr_private_segment_size 0
		.amdhsa_wavefront_size32 1
		.amdhsa_uses_dynamic_stack 0
		.amdhsa_enable_private_segment 0
		.amdhsa_system_sgpr_workgroup_id_x 1
		.amdhsa_system_sgpr_workgroup_id_y 0
		.amdhsa_system_sgpr_workgroup_id_z 0
		.amdhsa_system_sgpr_workgroup_info 0
		.amdhsa_system_vgpr_workitem_id 0
		.amdhsa_next_free_vgpr 9
		.amdhsa_next_free_sgpr 16
		.amdhsa_reserve_vcc 1
		.amdhsa_float_round_mode_32 0
		.amdhsa_float_round_mode_16_64 0
		.amdhsa_float_denorm_mode_32 3
		.amdhsa_float_denorm_mode_16_64 3
		.amdhsa_dx10_clamp 1
		.amdhsa_ieee_mode 1
		.amdhsa_fp16_overflow 0
		.amdhsa_workgroup_processor_mode 1
		.amdhsa_memory_ordered 1
		.amdhsa_forward_progress 0
		.amdhsa_shared_vgpr_count 0
		.amdhsa_exception_fp_ieee_invalid_op 0
		.amdhsa_exception_fp_denorm_src 0
		.amdhsa_exception_fp_ieee_div_zero 0
		.amdhsa_exception_fp_ieee_overflow 0
		.amdhsa_exception_fp_ieee_underflow 0
		.amdhsa_exception_fp_ieee_inexact 0
		.amdhsa_exception_int_div_zero 0
	.end_amdhsa_kernel
	.section	.text._ZN7rocprim17ROCPRIM_400000_NS6detail31init_lookback_scan_state_kernelINS1_19lookback_scan_stateIdLb0ELb1EEENS1_16block_id_wrapperIjLb0EEEEEvT_jT0_jPNS7_10value_typeE,"axG",@progbits,_ZN7rocprim17ROCPRIM_400000_NS6detail31init_lookback_scan_state_kernelINS1_19lookback_scan_stateIdLb0ELb1EEENS1_16block_id_wrapperIjLb0EEEEEvT_jT0_jPNS7_10value_typeE,comdat
.Lfunc_end0:
	.size	_ZN7rocprim17ROCPRIM_400000_NS6detail31init_lookback_scan_state_kernelINS1_19lookback_scan_stateIdLb0ELb1EEENS1_16block_id_wrapperIjLb0EEEEEvT_jT0_jPNS7_10value_typeE, .Lfunc_end0-_ZN7rocprim17ROCPRIM_400000_NS6detail31init_lookback_scan_state_kernelINS1_19lookback_scan_stateIdLb0ELb1EEENS1_16block_id_wrapperIjLb0EEEEEvT_jT0_jPNS7_10value_typeE
                                        ; -- End function
	.section	.AMDGPU.csdata,"",@progbits
; Kernel info:
; codeLenInByte = 468
; NumSgprs: 18
; NumVgprs: 9
; ScratchSize: 0
; MemoryBound: 0
; FloatMode: 240
; IeeeMode: 1
; LDSByteSize: 0 bytes/workgroup (compile time only)
; SGPRBlocks: 2
; VGPRBlocks: 1
; NumSGPRsForWavesPerEU: 18
; NumVGPRsForWavesPerEU: 9
; Occupancy: 16
; WaveLimiterHint : 0
; COMPUTE_PGM_RSRC2:SCRATCH_EN: 0
; COMPUTE_PGM_RSRC2:USER_SGPR: 15
; COMPUTE_PGM_RSRC2:TRAP_HANDLER: 0
; COMPUTE_PGM_RSRC2:TGID_X_EN: 1
; COMPUTE_PGM_RSRC2:TGID_Y_EN: 0
; COMPUTE_PGM_RSRC2:TGID_Z_EN: 0
; COMPUTE_PGM_RSRC2:TIDIG_COMP_CNT: 0
	.section	.text._ZN7rocprim17ROCPRIM_400000_NS6detail17trampoline_kernelINS0_14default_configENS1_20scan_config_selectorIdEEZZNS1_9scan_implILNS1_25lookback_scan_determinismE0ELb0ELb0ES3_PKdPddZZZN2at6native31launch_logcumsumexp_cuda_kernelERKNSB_10TensorBaseESF_lENKUlvE_clEvENKUlvE_clEvEUlddE_dEEDaPvRmT3_T4_T5_mT6_P12ihipStream_tbENKUlT_T0_E_clISt17integral_constantIbLb0EESW_EEDaSR_SS_EUlSR_E_NS1_11comp_targetILNS1_3genE0ELNS1_11target_archE4294967295ELNS1_3gpuE0ELNS1_3repE0EEENS1_30default_config_static_selectorELNS0_4arch9wavefront6targetE0EEEvT1_,"axG",@progbits,_ZN7rocprim17ROCPRIM_400000_NS6detail17trampoline_kernelINS0_14default_configENS1_20scan_config_selectorIdEEZZNS1_9scan_implILNS1_25lookback_scan_determinismE0ELb0ELb0ES3_PKdPddZZZN2at6native31launch_logcumsumexp_cuda_kernelERKNSB_10TensorBaseESF_lENKUlvE_clEvENKUlvE_clEvEUlddE_dEEDaPvRmT3_T4_T5_mT6_P12ihipStream_tbENKUlT_T0_E_clISt17integral_constantIbLb0EESW_EEDaSR_SS_EUlSR_E_NS1_11comp_targetILNS1_3genE0ELNS1_11target_archE4294967295ELNS1_3gpuE0ELNS1_3repE0EEENS1_30default_config_static_selectorELNS0_4arch9wavefront6targetE0EEEvT1_,comdat
	.globl	_ZN7rocprim17ROCPRIM_400000_NS6detail17trampoline_kernelINS0_14default_configENS1_20scan_config_selectorIdEEZZNS1_9scan_implILNS1_25lookback_scan_determinismE0ELb0ELb0ES3_PKdPddZZZN2at6native31launch_logcumsumexp_cuda_kernelERKNSB_10TensorBaseESF_lENKUlvE_clEvENKUlvE_clEvEUlddE_dEEDaPvRmT3_T4_T5_mT6_P12ihipStream_tbENKUlT_T0_E_clISt17integral_constantIbLb0EESW_EEDaSR_SS_EUlSR_E_NS1_11comp_targetILNS1_3genE0ELNS1_11target_archE4294967295ELNS1_3gpuE0ELNS1_3repE0EEENS1_30default_config_static_selectorELNS0_4arch9wavefront6targetE0EEEvT1_ ; -- Begin function _ZN7rocprim17ROCPRIM_400000_NS6detail17trampoline_kernelINS0_14default_configENS1_20scan_config_selectorIdEEZZNS1_9scan_implILNS1_25lookback_scan_determinismE0ELb0ELb0ES3_PKdPddZZZN2at6native31launch_logcumsumexp_cuda_kernelERKNSB_10TensorBaseESF_lENKUlvE_clEvENKUlvE_clEvEUlddE_dEEDaPvRmT3_T4_T5_mT6_P12ihipStream_tbENKUlT_T0_E_clISt17integral_constantIbLb0EESW_EEDaSR_SS_EUlSR_E_NS1_11comp_targetILNS1_3genE0ELNS1_11target_archE4294967295ELNS1_3gpuE0ELNS1_3repE0EEENS1_30default_config_static_selectorELNS0_4arch9wavefront6targetE0EEEvT1_
	.p2align	8
	.type	_ZN7rocprim17ROCPRIM_400000_NS6detail17trampoline_kernelINS0_14default_configENS1_20scan_config_selectorIdEEZZNS1_9scan_implILNS1_25lookback_scan_determinismE0ELb0ELb0ES3_PKdPddZZZN2at6native31launch_logcumsumexp_cuda_kernelERKNSB_10TensorBaseESF_lENKUlvE_clEvENKUlvE_clEvEUlddE_dEEDaPvRmT3_T4_T5_mT6_P12ihipStream_tbENKUlT_T0_E_clISt17integral_constantIbLb0EESW_EEDaSR_SS_EUlSR_E_NS1_11comp_targetILNS1_3genE0ELNS1_11target_archE4294967295ELNS1_3gpuE0ELNS1_3repE0EEENS1_30default_config_static_selectorELNS0_4arch9wavefront6targetE0EEEvT1_,@function
_ZN7rocprim17ROCPRIM_400000_NS6detail17trampoline_kernelINS0_14default_configENS1_20scan_config_selectorIdEEZZNS1_9scan_implILNS1_25lookback_scan_determinismE0ELb0ELb0ES3_PKdPddZZZN2at6native31launch_logcumsumexp_cuda_kernelERKNSB_10TensorBaseESF_lENKUlvE_clEvENKUlvE_clEvEUlddE_dEEDaPvRmT3_T4_T5_mT6_P12ihipStream_tbENKUlT_T0_E_clISt17integral_constantIbLb0EESW_EEDaSR_SS_EUlSR_E_NS1_11comp_targetILNS1_3genE0ELNS1_11target_archE4294967295ELNS1_3gpuE0ELNS1_3repE0EEENS1_30default_config_static_selectorELNS0_4arch9wavefront6targetE0EEEvT1_: ; @_ZN7rocprim17ROCPRIM_400000_NS6detail17trampoline_kernelINS0_14default_configENS1_20scan_config_selectorIdEEZZNS1_9scan_implILNS1_25lookback_scan_determinismE0ELb0ELb0ES3_PKdPddZZZN2at6native31launch_logcumsumexp_cuda_kernelERKNSB_10TensorBaseESF_lENKUlvE_clEvENKUlvE_clEvEUlddE_dEEDaPvRmT3_T4_T5_mT6_P12ihipStream_tbENKUlT_T0_E_clISt17integral_constantIbLb0EESW_EEDaSR_SS_EUlSR_E_NS1_11comp_targetILNS1_3genE0ELNS1_11target_archE4294967295ELNS1_3gpuE0ELNS1_3repE0EEENS1_30default_config_static_selectorELNS0_4arch9wavefront6targetE0EEEvT1_
; %bb.0:
	.section	.rodata,"a",@progbits
	.p2align	6, 0x0
	.amdhsa_kernel _ZN7rocprim17ROCPRIM_400000_NS6detail17trampoline_kernelINS0_14default_configENS1_20scan_config_selectorIdEEZZNS1_9scan_implILNS1_25lookback_scan_determinismE0ELb0ELb0ES3_PKdPddZZZN2at6native31launch_logcumsumexp_cuda_kernelERKNSB_10TensorBaseESF_lENKUlvE_clEvENKUlvE_clEvEUlddE_dEEDaPvRmT3_T4_T5_mT6_P12ihipStream_tbENKUlT_T0_E_clISt17integral_constantIbLb0EESW_EEDaSR_SS_EUlSR_E_NS1_11comp_targetILNS1_3genE0ELNS1_11target_archE4294967295ELNS1_3gpuE0ELNS1_3repE0EEENS1_30default_config_static_selectorELNS0_4arch9wavefront6targetE0EEEvT1_
		.amdhsa_group_segment_fixed_size 0
		.amdhsa_private_segment_fixed_size 0
		.amdhsa_kernarg_size 104
		.amdhsa_user_sgpr_count 15
		.amdhsa_user_sgpr_dispatch_ptr 0
		.amdhsa_user_sgpr_queue_ptr 0
		.amdhsa_user_sgpr_kernarg_segment_ptr 1
		.amdhsa_user_sgpr_dispatch_id 0
		.amdhsa_user_sgpr_private_segment_size 0
		.amdhsa_wavefront_size32 1
		.amdhsa_uses_dynamic_stack 0
		.amdhsa_enable_private_segment 0
		.amdhsa_system_sgpr_workgroup_id_x 1
		.amdhsa_system_sgpr_workgroup_id_y 0
		.amdhsa_system_sgpr_workgroup_id_z 0
		.amdhsa_system_sgpr_workgroup_info 0
		.amdhsa_system_vgpr_workitem_id 0
		.amdhsa_next_free_vgpr 1
		.amdhsa_next_free_sgpr 1
		.amdhsa_reserve_vcc 0
		.amdhsa_float_round_mode_32 0
		.amdhsa_float_round_mode_16_64 0
		.amdhsa_float_denorm_mode_32 3
		.amdhsa_float_denorm_mode_16_64 3
		.amdhsa_dx10_clamp 1
		.amdhsa_ieee_mode 1
		.amdhsa_fp16_overflow 0
		.amdhsa_workgroup_processor_mode 1
		.amdhsa_memory_ordered 1
		.amdhsa_forward_progress 0
		.amdhsa_shared_vgpr_count 0
		.amdhsa_exception_fp_ieee_invalid_op 0
		.amdhsa_exception_fp_denorm_src 0
		.amdhsa_exception_fp_ieee_div_zero 0
		.amdhsa_exception_fp_ieee_overflow 0
		.amdhsa_exception_fp_ieee_underflow 0
		.amdhsa_exception_fp_ieee_inexact 0
		.amdhsa_exception_int_div_zero 0
	.end_amdhsa_kernel
	.section	.text._ZN7rocprim17ROCPRIM_400000_NS6detail17trampoline_kernelINS0_14default_configENS1_20scan_config_selectorIdEEZZNS1_9scan_implILNS1_25lookback_scan_determinismE0ELb0ELb0ES3_PKdPddZZZN2at6native31launch_logcumsumexp_cuda_kernelERKNSB_10TensorBaseESF_lENKUlvE_clEvENKUlvE_clEvEUlddE_dEEDaPvRmT3_T4_T5_mT6_P12ihipStream_tbENKUlT_T0_E_clISt17integral_constantIbLb0EESW_EEDaSR_SS_EUlSR_E_NS1_11comp_targetILNS1_3genE0ELNS1_11target_archE4294967295ELNS1_3gpuE0ELNS1_3repE0EEENS1_30default_config_static_selectorELNS0_4arch9wavefront6targetE0EEEvT1_,"axG",@progbits,_ZN7rocprim17ROCPRIM_400000_NS6detail17trampoline_kernelINS0_14default_configENS1_20scan_config_selectorIdEEZZNS1_9scan_implILNS1_25lookback_scan_determinismE0ELb0ELb0ES3_PKdPddZZZN2at6native31launch_logcumsumexp_cuda_kernelERKNSB_10TensorBaseESF_lENKUlvE_clEvENKUlvE_clEvEUlddE_dEEDaPvRmT3_T4_T5_mT6_P12ihipStream_tbENKUlT_T0_E_clISt17integral_constantIbLb0EESW_EEDaSR_SS_EUlSR_E_NS1_11comp_targetILNS1_3genE0ELNS1_11target_archE4294967295ELNS1_3gpuE0ELNS1_3repE0EEENS1_30default_config_static_selectorELNS0_4arch9wavefront6targetE0EEEvT1_,comdat
.Lfunc_end1:
	.size	_ZN7rocprim17ROCPRIM_400000_NS6detail17trampoline_kernelINS0_14default_configENS1_20scan_config_selectorIdEEZZNS1_9scan_implILNS1_25lookback_scan_determinismE0ELb0ELb0ES3_PKdPddZZZN2at6native31launch_logcumsumexp_cuda_kernelERKNSB_10TensorBaseESF_lENKUlvE_clEvENKUlvE_clEvEUlddE_dEEDaPvRmT3_T4_T5_mT6_P12ihipStream_tbENKUlT_T0_E_clISt17integral_constantIbLb0EESW_EEDaSR_SS_EUlSR_E_NS1_11comp_targetILNS1_3genE0ELNS1_11target_archE4294967295ELNS1_3gpuE0ELNS1_3repE0EEENS1_30default_config_static_selectorELNS0_4arch9wavefront6targetE0EEEvT1_, .Lfunc_end1-_ZN7rocprim17ROCPRIM_400000_NS6detail17trampoline_kernelINS0_14default_configENS1_20scan_config_selectorIdEEZZNS1_9scan_implILNS1_25lookback_scan_determinismE0ELb0ELb0ES3_PKdPddZZZN2at6native31launch_logcumsumexp_cuda_kernelERKNSB_10TensorBaseESF_lENKUlvE_clEvENKUlvE_clEvEUlddE_dEEDaPvRmT3_T4_T5_mT6_P12ihipStream_tbENKUlT_T0_E_clISt17integral_constantIbLb0EESW_EEDaSR_SS_EUlSR_E_NS1_11comp_targetILNS1_3genE0ELNS1_11target_archE4294967295ELNS1_3gpuE0ELNS1_3repE0EEENS1_30default_config_static_selectorELNS0_4arch9wavefront6targetE0EEEvT1_
                                        ; -- End function
	.section	.AMDGPU.csdata,"",@progbits
; Kernel info:
; codeLenInByte = 0
; NumSgprs: 0
; NumVgprs: 0
; ScratchSize: 0
; MemoryBound: 0
; FloatMode: 240
; IeeeMode: 1
; LDSByteSize: 0 bytes/workgroup (compile time only)
; SGPRBlocks: 0
; VGPRBlocks: 0
; NumSGPRsForWavesPerEU: 1
; NumVGPRsForWavesPerEU: 1
; Occupancy: 16
; WaveLimiterHint : 0
; COMPUTE_PGM_RSRC2:SCRATCH_EN: 0
; COMPUTE_PGM_RSRC2:USER_SGPR: 15
; COMPUTE_PGM_RSRC2:TRAP_HANDLER: 0
; COMPUTE_PGM_RSRC2:TGID_X_EN: 1
; COMPUTE_PGM_RSRC2:TGID_Y_EN: 0
; COMPUTE_PGM_RSRC2:TGID_Z_EN: 0
; COMPUTE_PGM_RSRC2:TIDIG_COMP_CNT: 0
	.section	.text._ZN7rocprim17ROCPRIM_400000_NS6detail17trampoline_kernelINS0_14default_configENS1_20scan_config_selectorIdEEZZNS1_9scan_implILNS1_25lookback_scan_determinismE0ELb0ELb0ES3_PKdPddZZZN2at6native31launch_logcumsumexp_cuda_kernelERKNSB_10TensorBaseESF_lENKUlvE_clEvENKUlvE_clEvEUlddE_dEEDaPvRmT3_T4_T5_mT6_P12ihipStream_tbENKUlT_T0_E_clISt17integral_constantIbLb0EESW_EEDaSR_SS_EUlSR_E_NS1_11comp_targetILNS1_3genE5ELNS1_11target_archE942ELNS1_3gpuE9ELNS1_3repE0EEENS1_30default_config_static_selectorELNS0_4arch9wavefront6targetE0EEEvT1_,"axG",@progbits,_ZN7rocprim17ROCPRIM_400000_NS6detail17trampoline_kernelINS0_14default_configENS1_20scan_config_selectorIdEEZZNS1_9scan_implILNS1_25lookback_scan_determinismE0ELb0ELb0ES3_PKdPddZZZN2at6native31launch_logcumsumexp_cuda_kernelERKNSB_10TensorBaseESF_lENKUlvE_clEvENKUlvE_clEvEUlddE_dEEDaPvRmT3_T4_T5_mT6_P12ihipStream_tbENKUlT_T0_E_clISt17integral_constantIbLb0EESW_EEDaSR_SS_EUlSR_E_NS1_11comp_targetILNS1_3genE5ELNS1_11target_archE942ELNS1_3gpuE9ELNS1_3repE0EEENS1_30default_config_static_selectorELNS0_4arch9wavefront6targetE0EEEvT1_,comdat
	.globl	_ZN7rocprim17ROCPRIM_400000_NS6detail17trampoline_kernelINS0_14default_configENS1_20scan_config_selectorIdEEZZNS1_9scan_implILNS1_25lookback_scan_determinismE0ELb0ELb0ES3_PKdPddZZZN2at6native31launch_logcumsumexp_cuda_kernelERKNSB_10TensorBaseESF_lENKUlvE_clEvENKUlvE_clEvEUlddE_dEEDaPvRmT3_T4_T5_mT6_P12ihipStream_tbENKUlT_T0_E_clISt17integral_constantIbLb0EESW_EEDaSR_SS_EUlSR_E_NS1_11comp_targetILNS1_3genE5ELNS1_11target_archE942ELNS1_3gpuE9ELNS1_3repE0EEENS1_30default_config_static_selectorELNS0_4arch9wavefront6targetE0EEEvT1_ ; -- Begin function _ZN7rocprim17ROCPRIM_400000_NS6detail17trampoline_kernelINS0_14default_configENS1_20scan_config_selectorIdEEZZNS1_9scan_implILNS1_25lookback_scan_determinismE0ELb0ELb0ES3_PKdPddZZZN2at6native31launch_logcumsumexp_cuda_kernelERKNSB_10TensorBaseESF_lENKUlvE_clEvENKUlvE_clEvEUlddE_dEEDaPvRmT3_T4_T5_mT6_P12ihipStream_tbENKUlT_T0_E_clISt17integral_constantIbLb0EESW_EEDaSR_SS_EUlSR_E_NS1_11comp_targetILNS1_3genE5ELNS1_11target_archE942ELNS1_3gpuE9ELNS1_3repE0EEENS1_30default_config_static_selectorELNS0_4arch9wavefront6targetE0EEEvT1_
	.p2align	8
	.type	_ZN7rocprim17ROCPRIM_400000_NS6detail17trampoline_kernelINS0_14default_configENS1_20scan_config_selectorIdEEZZNS1_9scan_implILNS1_25lookback_scan_determinismE0ELb0ELb0ES3_PKdPddZZZN2at6native31launch_logcumsumexp_cuda_kernelERKNSB_10TensorBaseESF_lENKUlvE_clEvENKUlvE_clEvEUlddE_dEEDaPvRmT3_T4_T5_mT6_P12ihipStream_tbENKUlT_T0_E_clISt17integral_constantIbLb0EESW_EEDaSR_SS_EUlSR_E_NS1_11comp_targetILNS1_3genE5ELNS1_11target_archE942ELNS1_3gpuE9ELNS1_3repE0EEENS1_30default_config_static_selectorELNS0_4arch9wavefront6targetE0EEEvT1_,@function
_ZN7rocprim17ROCPRIM_400000_NS6detail17trampoline_kernelINS0_14default_configENS1_20scan_config_selectorIdEEZZNS1_9scan_implILNS1_25lookback_scan_determinismE0ELb0ELb0ES3_PKdPddZZZN2at6native31launch_logcumsumexp_cuda_kernelERKNSB_10TensorBaseESF_lENKUlvE_clEvENKUlvE_clEvEUlddE_dEEDaPvRmT3_T4_T5_mT6_P12ihipStream_tbENKUlT_T0_E_clISt17integral_constantIbLb0EESW_EEDaSR_SS_EUlSR_E_NS1_11comp_targetILNS1_3genE5ELNS1_11target_archE942ELNS1_3gpuE9ELNS1_3repE0EEENS1_30default_config_static_selectorELNS0_4arch9wavefront6targetE0EEEvT1_: ; @_ZN7rocprim17ROCPRIM_400000_NS6detail17trampoline_kernelINS0_14default_configENS1_20scan_config_selectorIdEEZZNS1_9scan_implILNS1_25lookback_scan_determinismE0ELb0ELb0ES3_PKdPddZZZN2at6native31launch_logcumsumexp_cuda_kernelERKNSB_10TensorBaseESF_lENKUlvE_clEvENKUlvE_clEvEUlddE_dEEDaPvRmT3_T4_T5_mT6_P12ihipStream_tbENKUlT_T0_E_clISt17integral_constantIbLb0EESW_EEDaSR_SS_EUlSR_E_NS1_11comp_targetILNS1_3genE5ELNS1_11target_archE942ELNS1_3gpuE9ELNS1_3repE0EEENS1_30default_config_static_selectorELNS0_4arch9wavefront6targetE0EEEvT1_
; %bb.0:
	.section	.rodata,"a",@progbits
	.p2align	6, 0x0
	.amdhsa_kernel _ZN7rocprim17ROCPRIM_400000_NS6detail17trampoline_kernelINS0_14default_configENS1_20scan_config_selectorIdEEZZNS1_9scan_implILNS1_25lookback_scan_determinismE0ELb0ELb0ES3_PKdPddZZZN2at6native31launch_logcumsumexp_cuda_kernelERKNSB_10TensorBaseESF_lENKUlvE_clEvENKUlvE_clEvEUlddE_dEEDaPvRmT3_T4_T5_mT6_P12ihipStream_tbENKUlT_T0_E_clISt17integral_constantIbLb0EESW_EEDaSR_SS_EUlSR_E_NS1_11comp_targetILNS1_3genE5ELNS1_11target_archE942ELNS1_3gpuE9ELNS1_3repE0EEENS1_30default_config_static_selectorELNS0_4arch9wavefront6targetE0EEEvT1_
		.amdhsa_group_segment_fixed_size 0
		.amdhsa_private_segment_fixed_size 0
		.amdhsa_kernarg_size 104
		.amdhsa_user_sgpr_count 15
		.amdhsa_user_sgpr_dispatch_ptr 0
		.amdhsa_user_sgpr_queue_ptr 0
		.amdhsa_user_sgpr_kernarg_segment_ptr 1
		.amdhsa_user_sgpr_dispatch_id 0
		.amdhsa_user_sgpr_private_segment_size 0
		.amdhsa_wavefront_size32 1
		.amdhsa_uses_dynamic_stack 0
		.amdhsa_enable_private_segment 0
		.amdhsa_system_sgpr_workgroup_id_x 1
		.amdhsa_system_sgpr_workgroup_id_y 0
		.amdhsa_system_sgpr_workgroup_id_z 0
		.amdhsa_system_sgpr_workgroup_info 0
		.amdhsa_system_vgpr_workitem_id 0
		.amdhsa_next_free_vgpr 1
		.amdhsa_next_free_sgpr 1
		.amdhsa_reserve_vcc 0
		.amdhsa_float_round_mode_32 0
		.amdhsa_float_round_mode_16_64 0
		.amdhsa_float_denorm_mode_32 3
		.amdhsa_float_denorm_mode_16_64 3
		.amdhsa_dx10_clamp 1
		.amdhsa_ieee_mode 1
		.amdhsa_fp16_overflow 0
		.amdhsa_workgroup_processor_mode 1
		.amdhsa_memory_ordered 1
		.amdhsa_forward_progress 0
		.amdhsa_shared_vgpr_count 0
		.amdhsa_exception_fp_ieee_invalid_op 0
		.amdhsa_exception_fp_denorm_src 0
		.amdhsa_exception_fp_ieee_div_zero 0
		.amdhsa_exception_fp_ieee_overflow 0
		.amdhsa_exception_fp_ieee_underflow 0
		.amdhsa_exception_fp_ieee_inexact 0
		.amdhsa_exception_int_div_zero 0
	.end_amdhsa_kernel
	.section	.text._ZN7rocprim17ROCPRIM_400000_NS6detail17trampoline_kernelINS0_14default_configENS1_20scan_config_selectorIdEEZZNS1_9scan_implILNS1_25lookback_scan_determinismE0ELb0ELb0ES3_PKdPddZZZN2at6native31launch_logcumsumexp_cuda_kernelERKNSB_10TensorBaseESF_lENKUlvE_clEvENKUlvE_clEvEUlddE_dEEDaPvRmT3_T4_T5_mT6_P12ihipStream_tbENKUlT_T0_E_clISt17integral_constantIbLb0EESW_EEDaSR_SS_EUlSR_E_NS1_11comp_targetILNS1_3genE5ELNS1_11target_archE942ELNS1_3gpuE9ELNS1_3repE0EEENS1_30default_config_static_selectorELNS0_4arch9wavefront6targetE0EEEvT1_,"axG",@progbits,_ZN7rocprim17ROCPRIM_400000_NS6detail17trampoline_kernelINS0_14default_configENS1_20scan_config_selectorIdEEZZNS1_9scan_implILNS1_25lookback_scan_determinismE0ELb0ELb0ES3_PKdPddZZZN2at6native31launch_logcumsumexp_cuda_kernelERKNSB_10TensorBaseESF_lENKUlvE_clEvENKUlvE_clEvEUlddE_dEEDaPvRmT3_T4_T5_mT6_P12ihipStream_tbENKUlT_T0_E_clISt17integral_constantIbLb0EESW_EEDaSR_SS_EUlSR_E_NS1_11comp_targetILNS1_3genE5ELNS1_11target_archE942ELNS1_3gpuE9ELNS1_3repE0EEENS1_30default_config_static_selectorELNS0_4arch9wavefront6targetE0EEEvT1_,comdat
.Lfunc_end2:
	.size	_ZN7rocprim17ROCPRIM_400000_NS6detail17trampoline_kernelINS0_14default_configENS1_20scan_config_selectorIdEEZZNS1_9scan_implILNS1_25lookback_scan_determinismE0ELb0ELb0ES3_PKdPddZZZN2at6native31launch_logcumsumexp_cuda_kernelERKNSB_10TensorBaseESF_lENKUlvE_clEvENKUlvE_clEvEUlddE_dEEDaPvRmT3_T4_T5_mT6_P12ihipStream_tbENKUlT_T0_E_clISt17integral_constantIbLb0EESW_EEDaSR_SS_EUlSR_E_NS1_11comp_targetILNS1_3genE5ELNS1_11target_archE942ELNS1_3gpuE9ELNS1_3repE0EEENS1_30default_config_static_selectorELNS0_4arch9wavefront6targetE0EEEvT1_, .Lfunc_end2-_ZN7rocprim17ROCPRIM_400000_NS6detail17trampoline_kernelINS0_14default_configENS1_20scan_config_selectorIdEEZZNS1_9scan_implILNS1_25lookback_scan_determinismE0ELb0ELb0ES3_PKdPddZZZN2at6native31launch_logcumsumexp_cuda_kernelERKNSB_10TensorBaseESF_lENKUlvE_clEvENKUlvE_clEvEUlddE_dEEDaPvRmT3_T4_T5_mT6_P12ihipStream_tbENKUlT_T0_E_clISt17integral_constantIbLb0EESW_EEDaSR_SS_EUlSR_E_NS1_11comp_targetILNS1_3genE5ELNS1_11target_archE942ELNS1_3gpuE9ELNS1_3repE0EEENS1_30default_config_static_selectorELNS0_4arch9wavefront6targetE0EEEvT1_
                                        ; -- End function
	.section	.AMDGPU.csdata,"",@progbits
; Kernel info:
; codeLenInByte = 0
; NumSgprs: 0
; NumVgprs: 0
; ScratchSize: 0
; MemoryBound: 0
; FloatMode: 240
; IeeeMode: 1
; LDSByteSize: 0 bytes/workgroup (compile time only)
; SGPRBlocks: 0
; VGPRBlocks: 0
; NumSGPRsForWavesPerEU: 1
; NumVGPRsForWavesPerEU: 1
; Occupancy: 16
; WaveLimiterHint : 0
; COMPUTE_PGM_RSRC2:SCRATCH_EN: 0
; COMPUTE_PGM_RSRC2:USER_SGPR: 15
; COMPUTE_PGM_RSRC2:TRAP_HANDLER: 0
; COMPUTE_PGM_RSRC2:TGID_X_EN: 1
; COMPUTE_PGM_RSRC2:TGID_Y_EN: 0
; COMPUTE_PGM_RSRC2:TGID_Z_EN: 0
; COMPUTE_PGM_RSRC2:TIDIG_COMP_CNT: 0
	.section	.text._ZN7rocprim17ROCPRIM_400000_NS6detail17trampoline_kernelINS0_14default_configENS1_20scan_config_selectorIdEEZZNS1_9scan_implILNS1_25lookback_scan_determinismE0ELb0ELb0ES3_PKdPddZZZN2at6native31launch_logcumsumexp_cuda_kernelERKNSB_10TensorBaseESF_lENKUlvE_clEvENKUlvE_clEvEUlddE_dEEDaPvRmT3_T4_T5_mT6_P12ihipStream_tbENKUlT_T0_E_clISt17integral_constantIbLb0EESW_EEDaSR_SS_EUlSR_E_NS1_11comp_targetILNS1_3genE4ELNS1_11target_archE910ELNS1_3gpuE8ELNS1_3repE0EEENS1_30default_config_static_selectorELNS0_4arch9wavefront6targetE0EEEvT1_,"axG",@progbits,_ZN7rocprim17ROCPRIM_400000_NS6detail17trampoline_kernelINS0_14default_configENS1_20scan_config_selectorIdEEZZNS1_9scan_implILNS1_25lookback_scan_determinismE0ELb0ELb0ES3_PKdPddZZZN2at6native31launch_logcumsumexp_cuda_kernelERKNSB_10TensorBaseESF_lENKUlvE_clEvENKUlvE_clEvEUlddE_dEEDaPvRmT3_T4_T5_mT6_P12ihipStream_tbENKUlT_T0_E_clISt17integral_constantIbLb0EESW_EEDaSR_SS_EUlSR_E_NS1_11comp_targetILNS1_3genE4ELNS1_11target_archE910ELNS1_3gpuE8ELNS1_3repE0EEENS1_30default_config_static_selectorELNS0_4arch9wavefront6targetE0EEEvT1_,comdat
	.globl	_ZN7rocprim17ROCPRIM_400000_NS6detail17trampoline_kernelINS0_14default_configENS1_20scan_config_selectorIdEEZZNS1_9scan_implILNS1_25lookback_scan_determinismE0ELb0ELb0ES3_PKdPddZZZN2at6native31launch_logcumsumexp_cuda_kernelERKNSB_10TensorBaseESF_lENKUlvE_clEvENKUlvE_clEvEUlddE_dEEDaPvRmT3_T4_T5_mT6_P12ihipStream_tbENKUlT_T0_E_clISt17integral_constantIbLb0EESW_EEDaSR_SS_EUlSR_E_NS1_11comp_targetILNS1_3genE4ELNS1_11target_archE910ELNS1_3gpuE8ELNS1_3repE0EEENS1_30default_config_static_selectorELNS0_4arch9wavefront6targetE0EEEvT1_ ; -- Begin function _ZN7rocprim17ROCPRIM_400000_NS6detail17trampoline_kernelINS0_14default_configENS1_20scan_config_selectorIdEEZZNS1_9scan_implILNS1_25lookback_scan_determinismE0ELb0ELb0ES3_PKdPddZZZN2at6native31launch_logcumsumexp_cuda_kernelERKNSB_10TensorBaseESF_lENKUlvE_clEvENKUlvE_clEvEUlddE_dEEDaPvRmT3_T4_T5_mT6_P12ihipStream_tbENKUlT_T0_E_clISt17integral_constantIbLb0EESW_EEDaSR_SS_EUlSR_E_NS1_11comp_targetILNS1_3genE4ELNS1_11target_archE910ELNS1_3gpuE8ELNS1_3repE0EEENS1_30default_config_static_selectorELNS0_4arch9wavefront6targetE0EEEvT1_
	.p2align	8
	.type	_ZN7rocprim17ROCPRIM_400000_NS6detail17trampoline_kernelINS0_14default_configENS1_20scan_config_selectorIdEEZZNS1_9scan_implILNS1_25lookback_scan_determinismE0ELb0ELb0ES3_PKdPddZZZN2at6native31launch_logcumsumexp_cuda_kernelERKNSB_10TensorBaseESF_lENKUlvE_clEvENKUlvE_clEvEUlddE_dEEDaPvRmT3_T4_T5_mT6_P12ihipStream_tbENKUlT_T0_E_clISt17integral_constantIbLb0EESW_EEDaSR_SS_EUlSR_E_NS1_11comp_targetILNS1_3genE4ELNS1_11target_archE910ELNS1_3gpuE8ELNS1_3repE0EEENS1_30default_config_static_selectorELNS0_4arch9wavefront6targetE0EEEvT1_,@function
_ZN7rocprim17ROCPRIM_400000_NS6detail17trampoline_kernelINS0_14default_configENS1_20scan_config_selectorIdEEZZNS1_9scan_implILNS1_25lookback_scan_determinismE0ELb0ELb0ES3_PKdPddZZZN2at6native31launch_logcumsumexp_cuda_kernelERKNSB_10TensorBaseESF_lENKUlvE_clEvENKUlvE_clEvEUlddE_dEEDaPvRmT3_T4_T5_mT6_P12ihipStream_tbENKUlT_T0_E_clISt17integral_constantIbLb0EESW_EEDaSR_SS_EUlSR_E_NS1_11comp_targetILNS1_3genE4ELNS1_11target_archE910ELNS1_3gpuE8ELNS1_3repE0EEENS1_30default_config_static_selectorELNS0_4arch9wavefront6targetE0EEEvT1_: ; @_ZN7rocprim17ROCPRIM_400000_NS6detail17trampoline_kernelINS0_14default_configENS1_20scan_config_selectorIdEEZZNS1_9scan_implILNS1_25lookback_scan_determinismE0ELb0ELb0ES3_PKdPddZZZN2at6native31launch_logcumsumexp_cuda_kernelERKNSB_10TensorBaseESF_lENKUlvE_clEvENKUlvE_clEvEUlddE_dEEDaPvRmT3_T4_T5_mT6_P12ihipStream_tbENKUlT_T0_E_clISt17integral_constantIbLb0EESW_EEDaSR_SS_EUlSR_E_NS1_11comp_targetILNS1_3genE4ELNS1_11target_archE910ELNS1_3gpuE8ELNS1_3repE0EEENS1_30default_config_static_selectorELNS0_4arch9wavefront6targetE0EEEvT1_
; %bb.0:
	.section	.rodata,"a",@progbits
	.p2align	6, 0x0
	.amdhsa_kernel _ZN7rocprim17ROCPRIM_400000_NS6detail17trampoline_kernelINS0_14default_configENS1_20scan_config_selectorIdEEZZNS1_9scan_implILNS1_25lookback_scan_determinismE0ELb0ELb0ES3_PKdPddZZZN2at6native31launch_logcumsumexp_cuda_kernelERKNSB_10TensorBaseESF_lENKUlvE_clEvENKUlvE_clEvEUlddE_dEEDaPvRmT3_T4_T5_mT6_P12ihipStream_tbENKUlT_T0_E_clISt17integral_constantIbLb0EESW_EEDaSR_SS_EUlSR_E_NS1_11comp_targetILNS1_3genE4ELNS1_11target_archE910ELNS1_3gpuE8ELNS1_3repE0EEENS1_30default_config_static_selectorELNS0_4arch9wavefront6targetE0EEEvT1_
		.amdhsa_group_segment_fixed_size 0
		.amdhsa_private_segment_fixed_size 0
		.amdhsa_kernarg_size 104
		.amdhsa_user_sgpr_count 15
		.amdhsa_user_sgpr_dispatch_ptr 0
		.amdhsa_user_sgpr_queue_ptr 0
		.amdhsa_user_sgpr_kernarg_segment_ptr 1
		.amdhsa_user_sgpr_dispatch_id 0
		.amdhsa_user_sgpr_private_segment_size 0
		.amdhsa_wavefront_size32 1
		.amdhsa_uses_dynamic_stack 0
		.amdhsa_enable_private_segment 0
		.amdhsa_system_sgpr_workgroup_id_x 1
		.amdhsa_system_sgpr_workgroup_id_y 0
		.amdhsa_system_sgpr_workgroup_id_z 0
		.amdhsa_system_sgpr_workgroup_info 0
		.amdhsa_system_vgpr_workitem_id 0
		.amdhsa_next_free_vgpr 1
		.amdhsa_next_free_sgpr 1
		.amdhsa_reserve_vcc 0
		.amdhsa_float_round_mode_32 0
		.amdhsa_float_round_mode_16_64 0
		.amdhsa_float_denorm_mode_32 3
		.amdhsa_float_denorm_mode_16_64 3
		.amdhsa_dx10_clamp 1
		.amdhsa_ieee_mode 1
		.amdhsa_fp16_overflow 0
		.amdhsa_workgroup_processor_mode 1
		.amdhsa_memory_ordered 1
		.amdhsa_forward_progress 0
		.amdhsa_shared_vgpr_count 0
		.amdhsa_exception_fp_ieee_invalid_op 0
		.amdhsa_exception_fp_denorm_src 0
		.amdhsa_exception_fp_ieee_div_zero 0
		.amdhsa_exception_fp_ieee_overflow 0
		.amdhsa_exception_fp_ieee_underflow 0
		.amdhsa_exception_fp_ieee_inexact 0
		.amdhsa_exception_int_div_zero 0
	.end_amdhsa_kernel
	.section	.text._ZN7rocprim17ROCPRIM_400000_NS6detail17trampoline_kernelINS0_14default_configENS1_20scan_config_selectorIdEEZZNS1_9scan_implILNS1_25lookback_scan_determinismE0ELb0ELb0ES3_PKdPddZZZN2at6native31launch_logcumsumexp_cuda_kernelERKNSB_10TensorBaseESF_lENKUlvE_clEvENKUlvE_clEvEUlddE_dEEDaPvRmT3_T4_T5_mT6_P12ihipStream_tbENKUlT_T0_E_clISt17integral_constantIbLb0EESW_EEDaSR_SS_EUlSR_E_NS1_11comp_targetILNS1_3genE4ELNS1_11target_archE910ELNS1_3gpuE8ELNS1_3repE0EEENS1_30default_config_static_selectorELNS0_4arch9wavefront6targetE0EEEvT1_,"axG",@progbits,_ZN7rocprim17ROCPRIM_400000_NS6detail17trampoline_kernelINS0_14default_configENS1_20scan_config_selectorIdEEZZNS1_9scan_implILNS1_25lookback_scan_determinismE0ELb0ELb0ES3_PKdPddZZZN2at6native31launch_logcumsumexp_cuda_kernelERKNSB_10TensorBaseESF_lENKUlvE_clEvENKUlvE_clEvEUlddE_dEEDaPvRmT3_T4_T5_mT6_P12ihipStream_tbENKUlT_T0_E_clISt17integral_constantIbLb0EESW_EEDaSR_SS_EUlSR_E_NS1_11comp_targetILNS1_3genE4ELNS1_11target_archE910ELNS1_3gpuE8ELNS1_3repE0EEENS1_30default_config_static_selectorELNS0_4arch9wavefront6targetE0EEEvT1_,comdat
.Lfunc_end3:
	.size	_ZN7rocprim17ROCPRIM_400000_NS6detail17trampoline_kernelINS0_14default_configENS1_20scan_config_selectorIdEEZZNS1_9scan_implILNS1_25lookback_scan_determinismE0ELb0ELb0ES3_PKdPddZZZN2at6native31launch_logcumsumexp_cuda_kernelERKNSB_10TensorBaseESF_lENKUlvE_clEvENKUlvE_clEvEUlddE_dEEDaPvRmT3_T4_T5_mT6_P12ihipStream_tbENKUlT_T0_E_clISt17integral_constantIbLb0EESW_EEDaSR_SS_EUlSR_E_NS1_11comp_targetILNS1_3genE4ELNS1_11target_archE910ELNS1_3gpuE8ELNS1_3repE0EEENS1_30default_config_static_selectorELNS0_4arch9wavefront6targetE0EEEvT1_, .Lfunc_end3-_ZN7rocprim17ROCPRIM_400000_NS6detail17trampoline_kernelINS0_14default_configENS1_20scan_config_selectorIdEEZZNS1_9scan_implILNS1_25lookback_scan_determinismE0ELb0ELb0ES3_PKdPddZZZN2at6native31launch_logcumsumexp_cuda_kernelERKNSB_10TensorBaseESF_lENKUlvE_clEvENKUlvE_clEvEUlddE_dEEDaPvRmT3_T4_T5_mT6_P12ihipStream_tbENKUlT_T0_E_clISt17integral_constantIbLb0EESW_EEDaSR_SS_EUlSR_E_NS1_11comp_targetILNS1_3genE4ELNS1_11target_archE910ELNS1_3gpuE8ELNS1_3repE0EEENS1_30default_config_static_selectorELNS0_4arch9wavefront6targetE0EEEvT1_
                                        ; -- End function
	.section	.AMDGPU.csdata,"",@progbits
; Kernel info:
; codeLenInByte = 0
; NumSgprs: 0
; NumVgprs: 0
; ScratchSize: 0
; MemoryBound: 0
; FloatMode: 240
; IeeeMode: 1
; LDSByteSize: 0 bytes/workgroup (compile time only)
; SGPRBlocks: 0
; VGPRBlocks: 0
; NumSGPRsForWavesPerEU: 1
; NumVGPRsForWavesPerEU: 1
; Occupancy: 16
; WaveLimiterHint : 0
; COMPUTE_PGM_RSRC2:SCRATCH_EN: 0
; COMPUTE_PGM_RSRC2:USER_SGPR: 15
; COMPUTE_PGM_RSRC2:TRAP_HANDLER: 0
; COMPUTE_PGM_RSRC2:TGID_X_EN: 1
; COMPUTE_PGM_RSRC2:TGID_Y_EN: 0
; COMPUTE_PGM_RSRC2:TGID_Z_EN: 0
; COMPUTE_PGM_RSRC2:TIDIG_COMP_CNT: 0
	.section	.text._ZN7rocprim17ROCPRIM_400000_NS6detail17trampoline_kernelINS0_14default_configENS1_20scan_config_selectorIdEEZZNS1_9scan_implILNS1_25lookback_scan_determinismE0ELb0ELb0ES3_PKdPddZZZN2at6native31launch_logcumsumexp_cuda_kernelERKNSB_10TensorBaseESF_lENKUlvE_clEvENKUlvE_clEvEUlddE_dEEDaPvRmT3_T4_T5_mT6_P12ihipStream_tbENKUlT_T0_E_clISt17integral_constantIbLb0EESW_EEDaSR_SS_EUlSR_E_NS1_11comp_targetILNS1_3genE3ELNS1_11target_archE908ELNS1_3gpuE7ELNS1_3repE0EEENS1_30default_config_static_selectorELNS0_4arch9wavefront6targetE0EEEvT1_,"axG",@progbits,_ZN7rocprim17ROCPRIM_400000_NS6detail17trampoline_kernelINS0_14default_configENS1_20scan_config_selectorIdEEZZNS1_9scan_implILNS1_25lookback_scan_determinismE0ELb0ELb0ES3_PKdPddZZZN2at6native31launch_logcumsumexp_cuda_kernelERKNSB_10TensorBaseESF_lENKUlvE_clEvENKUlvE_clEvEUlddE_dEEDaPvRmT3_T4_T5_mT6_P12ihipStream_tbENKUlT_T0_E_clISt17integral_constantIbLb0EESW_EEDaSR_SS_EUlSR_E_NS1_11comp_targetILNS1_3genE3ELNS1_11target_archE908ELNS1_3gpuE7ELNS1_3repE0EEENS1_30default_config_static_selectorELNS0_4arch9wavefront6targetE0EEEvT1_,comdat
	.globl	_ZN7rocprim17ROCPRIM_400000_NS6detail17trampoline_kernelINS0_14default_configENS1_20scan_config_selectorIdEEZZNS1_9scan_implILNS1_25lookback_scan_determinismE0ELb0ELb0ES3_PKdPddZZZN2at6native31launch_logcumsumexp_cuda_kernelERKNSB_10TensorBaseESF_lENKUlvE_clEvENKUlvE_clEvEUlddE_dEEDaPvRmT3_T4_T5_mT6_P12ihipStream_tbENKUlT_T0_E_clISt17integral_constantIbLb0EESW_EEDaSR_SS_EUlSR_E_NS1_11comp_targetILNS1_3genE3ELNS1_11target_archE908ELNS1_3gpuE7ELNS1_3repE0EEENS1_30default_config_static_selectorELNS0_4arch9wavefront6targetE0EEEvT1_ ; -- Begin function _ZN7rocprim17ROCPRIM_400000_NS6detail17trampoline_kernelINS0_14default_configENS1_20scan_config_selectorIdEEZZNS1_9scan_implILNS1_25lookback_scan_determinismE0ELb0ELb0ES3_PKdPddZZZN2at6native31launch_logcumsumexp_cuda_kernelERKNSB_10TensorBaseESF_lENKUlvE_clEvENKUlvE_clEvEUlddE_dEEDaPvRmT3_T4_T5_mT6_P12ihipStream_tbENKUlT_T0_E_clISt17integral_constantIbLb0EESW_EEDaSR_SS_EUlSR_E_NS1_11comp_targetILNS1_3genE3ELNS1_11target_archE908ELNS1_3gpuE7ELNS1_3repE0EEENS1_30default_config_static_selectorELNS0_4arch9wavefront6targetE0EEEvT1_
	.p2align	8
	.type	_ZN7rocprim17ROCPRIM_400000_NS6detail17trampoline_kernelINS0_14default_configENS1_20scan_config_selectorIdEEZZNS1_9scan_implILNS1_25lookback_scan_determinismE0ELb0ELb0ES3_PKdPddZZZN2at6native31launch_logcumsumexp_cuda_kernelERKNSB_10TensorBaseESF_lENKUlvE_clEvENKUlvE_clEvEUlddE_dEEDaPvRmT3_T4_T5_mT6_P12ihipStream_tbENKUlT_T0_E_clISt17integral_constantIbLb0EESW_EEDaSR_SS_EUlSR_E_NS1_11comp_targetILNS1_3genE3ELNS1_11target_archE908ELNS1_3gpuE7ELNS1_3repE0EEENS1_30default_config_static_selectorELNS0_4arch9wavefront6targetE0EEEvT1_,@function
_ZN7rocprim17ROCPRIM_400000_NS6detail17trampoline_kernelINS0_14default_configENS1_20scan_config_selectorIdEEZZNS1_9scan_implILNS1_25lookback_scan_determinismE0ELb0ELb0ES3_PKdPddZZZN2at6native31launch_logcumsumexp_cuda_kernelERKNSB_10TensorBaseESF_lENKUlvE_clEvENKUlvE_clEvEUlddE_dEEDaPvRmT3_T4_T5_mT6_P12ihipStream_tbENKUlT_T0_E_clISt17integral_constantIbLb0EESW_EEDaSR_SS_EUlSR_E_NS1_11comp_targetILNS1_3genE3ELNS1_11target_archE908ELNS1_3gpuE7ELNS1_3repE0EEENS1_30default_config_static_selectorELNS0_4arch9wavefront6targetE0EEEvT1_: ; @_ZN7rocprim17ROCPRIM_400000_NS6detail17trampoline_kernelINS0_14default_configENS1_20scan_config_selectorIdEEZZNS1_9scan_implILNS1_25lookback_scan_determinismE0ELb0ELb0ES3_PKdPddZZZN2at6native31launch_logcumsumexp_cuda_kernelERKNSB_10TensorBaseESF_lENKUlvE_clEvENKUlvE_clEvEUlddE_dEEDaPvRmT3_T4_T5_mT6_P12ihipStream_tbENKUlT_T0_E_clISt17integral_constantIbLb0EESW_EEDaSR_SS_EUlSR_E_NS1_11comp_targetILNS1_3genE3ELNS1_11target_archE908ELNS1_3gpuE7ELNS1_3repE0EEENS1_30default_config_static_selectorELNS0_4arch9wavefront6targetE0EEEvT1_
; %bb.0:
	.section	.rodata,"a",@progbits
	.p2align	6, 0x0
	.amdhsa_kernel _ZN7rocprim17ROCPRIM_400000_NS6detail17trampoline_kernelINS0_14default_configENS1_20scan_config_selectorIdEEZZNS1_9scan_implILNS1_25lookback_scan_determinismE0ELb0ELb0ES3_PKdPddZZZN2at6native31launch_logcumsumexp_cuda_kernelERKNSB_10TensorBaseESF_lENKUlvE_clEvENKUlvE_clEvEUlddE_dEEDaPvRmT3_T4_T5_mT6_P12ihipStream_tbENKUlT_T0_E_clISt17integral_constantIbLb0EESW_EEDaSR_SS_EUlSR_E_NS1_11comp_targetILNS1_3genE3ELNS1_11target_archE908ELNS1_3gpuE7ELNS1_3repE0EEENS1_30default_config_static_selectorELNS0_4arch9wavefront6targetE0EEEvT1_
		.amdhsa_group_segment_fixed_size 0
		.amdhsa_private_segment_fixed_size 0
		.amdhsa_kernarg_size 104
		.amdhsa_user_sgpr_count 15
		.amdhsa_user_sgpr_dispatch_ptr 0
		.amdhsa_user_sgpr_queue_ptr 0
		.amdhsa_user_sgpr_kernarg_segment_ptr 1
		.amdhsa_user_sgpr_dispatch_id 0
		.amdhsa_user_sgpr_private_segment_size 0
		.amdhsa_wavefront_size32 1
		.amdhsa_uses_dynamic_stack 0
		.amdhsa_enable_private_segment 0
		.amdhsa_system_sgpr_workgroup_id_x 1
		.amdhsa_system_sgpr_workgroup_id_y 0
		.amdhsa_system_sgpr_workgroup_id_z 0
		.amdhsa_system_sgpr_workgroup_info 0
		.amdhsa_system_vgpr_workitem_id 0
		.amdhsa_next_free_vgpr 1
		.amdhsa_next_free_sgpr 1
		.amdhsa_reserve_vcc 0
		.amdhsa_float_round_mode_32 0
		.amdhsa_float_round_mode_16_64 0
		.amdhsa_float_denorm_mode_32 3
		.amdhsa_float_denorm_mode_16_64 3
		.amdhsa_dx10_clamp 1
		.amdhsa_ieee_mode 1
		.amdhsa_fp16_overflow 0
		.amdhsa_workgroup_processor_mode 1
		.amdhsa_memory_ordered 1
		.amdhsa_forward_progress 0
		.amdhsa_shared_vgpr_count 0
		.amdhsa_exception_fp_ieee_invalid_op 0
		.amdhsa_exception_fp_denorm_src 0
		.amdhsa_exception_fp_ieee_div_zero 0
		.amdhsa_exception_fp_ieee_overflow 0
		.amdhsa_exception_fp_ieee_underflow 0
		.amdhsa_exception_fp_ieee_inexact 0
		.amdhsa_exception_int_div_zero 0
	.end_amdhsa_kernel
	.section	.text._ZN7rocprim17ROCPRIM_400000_NS6detail17trampoline_kernelINS0_14default_configENS1_20scan_config_selectorIdEEZZNS1_9scan_implILNS1_25lookback_scan_determinismE0ELb0ELb0ES3_PKdPddZZZN2at6native31launch_logcumsumexp_cuda_kernelERKNSB_10TensorBaseESF_lENKUlvE_clEvENKUlvE_clEvEUlddE_dEEDaPvRmT3_T4_T5_mT6_P12ihipStream_tbENKUlT_T0_E_clISt17integral_constantIbLb0EESW_EEDaSR_SS_EUlSR_E_NS1_11comp_targetILNS1_3genE3ELNS1_11target_archE908ELNS1_3gpuE7ELNS1_3repE0EEENS1_30default_config_static_selectorELNS0_4arch9wavefront6targetE0EEEvT1_,"axG",@progbits,_ZN7rocprim17ROCPRIM_400000_NS6detail17trampoline_kernelINS0_14default_configENS1_20scan_config_selectorIdEEZZNS1_9scan_implILNS1_25lookback_scan_determinismE0ELb0ELb0ES3_PKdPddZZZN2at6native31launch_logcumsumexp_cuda_kernelERKNSB_10TensorBaseESF_lENKUlvE_clEvENKUlvE_clEvEUlddE_dEEDaPvRmT3_T4_T5_mT6_P12ihipStream_tbENKUlT_T0_E_clISt17integral_constantIbLb0EESW_EEDaSR_SS_EUlSR_E_NS1_11comp_targetILNS1_3genE3ELNS1_11target_archE908ELNS1_3gpuE7ELNS1_3repE0EEENS1_30default_config_static_selectorELNS0_4arch9wavefront6targetE0EEEvT1_,comdat
.Lfunc_end4:
	.size	_ZN7rocprim17ROCPRIM_400000_NS6detail17trampoline_kernelINS0_14default_configENS1_20scan_config_selectorIdEEZZNS1_9scan_implILNS1_25lookback_scan_determinismE0ELb0ELb0ES3_PKdPddZZZN2at6native31launch_logcumsumexp_cuda_kernelERKNSB_10TensorBaseESF_lENKUlvE_clEvENKUlvE_clEvEUlddE_dEEDaPvRmT3_T4_T5_mT6_P12ihipStream_tbENKUlT_T0_E_clISt17integral_constantIbLb0EESW_EEDaSR_SS_EUlSR_E_NS1_11comp_targetILNS1_3genE3ELNS1_11target_archE908ELNS1_3gpuE7ELNS1_3repE0EEENS1_30default_config_static_selectorELNS0_4arch9wavefront6targetE0EEEvT1_, .Lfunc_end4-_ZN7rocprim17ROCPRIM_400000_NS6detail17trampoline_kernelINS0_14default_configENS1_20scan_config_selectorIdEEZZNS1_9scan_implILNS1_25lookback_scan_determinismE0ELb0ELb0ES3_PKdPddZZZN2at6native31launch_logcumsumexp_cuda_kernelERKNSB_10TensorBaseESF_lENKUlvE_clEvENKUlvE_clEvEUlddE_dEEDaPvRmT3_T4_T5_mT6_P12ihipStream_tbENKUlT_T0_E_clISt17integral_constantIbLb0EESW_EEDaSR_SS_EUlSR_E_NS1_11comp_targetILNS1_3genE3ELNS1_11target_archE908ELNS1_3gpuE7ELNS1_3repE0EEENS1_30default_config_static_selectorELNS0_4arch9wavefront6targetE0EEEvT1_
                                        ; -- End function
	.section	.AMDGPU.csdata,"",@progbits
; Kernel info:
; codeLenInByte = 0
; NumSgprs: 0
; NumVgprs: 0
; ScratchSize: 0
; MemoryBound: 0
; FloatMode: 240
; IeeeMode: 1
; LDSByteSize: 0 bytes/workgroup (compile time only)
; SGPRBlocks: 0
; VGPRBlocks: 0
; NumSGPRsForWavesPerEU: 1
; NumVGPRsForWavesPerEU: 1
; Occupancy: 16
; WaveLimiterHint : 0
; COMPUTE_PGM_RSRC2:SCRATCH_EN: 0
; COMPUTE_PGM_RSRC2:USER_SGPR: 15
; COMPUTE_PGM_RSRC2:TRAP_HANDLER: 0
; COMPUTE_PGM_RSRC2:TGID_X_EN: 1
; COMPUTE_PGM_RSRC2:TGID_Y_EN: 0
; COMPUTE_PGM_RSRC2:TGID_Z_EN: 0
; COMPUTE_PGM_RSRC2:TIDIG_COMP_CNT: 0
	.section	.text._ZN7rocprim17ROCPRIM_400000_NS6detail17trampoline_kernelINS0_14default_configENS1_20scan_config_selectorIdEEZZNS1_9scan_implILNS1_25lookback_scan_determinismE0ELb0ELb0ES3_PKdPddZZZN2at6native31launch_logcumsumexp_cuda_kernelERKNSB_10TensorBaseESF_lENKUlvE_clEvENKUlvE_clEvEUlddE_dEEDaPvRmT3_T4_T5_mT6_P12ihipStream_tbENKUlT_T0_E_clISt17integral_constantIbLb0EESW_EEDaSR_SS_EUlSR_E_NS1_11comp_targetILNS1_3genE2ELNS1_11target_archE906ELNS1_3gpuE6ELNS1_3repE0EEENS1_30default_config_static_selectorELNS0_4arch9wavefront6targetE0EEEvT1_,"axG",@progbits,_ZN7rocprim17ROCPRIM_400000_NS6detail17trampoline_kernelINS0_14default_configENS1_20scan_config_selectorIdEEZZNS1_9scan_implILNS1_25lookback_scan_determinismE0ELb0ELb0ES3_PKdPddZZZN2at6native31launch_logcumsumexp_cuda_kernelERKNSB_10TensorBaseESF_lENKUlvE_clEvENKUlvE_clEvEUlddE_dEEDaPvRmT3_T4_T5_mT6_P12ihipStream_tbENKUlT_T0_E_clISt17integral_constantIbLb0EESW_EEDaSR_SS_EUlSR_E_NS1_11comp_targetILNS1_3genE2ELNS1_11target_archE906ELNS1_3gpuE6ELNS1_3repE0EEENS1_30default_config_static_selectorELNS0_4arch9wavefront6targetE0EEEvT1_,comdat
	.globl	_ZN7rocprim17ROCPRIM_400000_NS6detail17trampoline_kernelINS0_14default_configENS1_20scan_config_selectorIdEEZZNS1_9scan_implILNS1_25lookback_scan_determinismE0ELb0ELb0ES3_PKdPddZZZN2at6native31launch_logcumsumexp_cuda_kernelERKNSB_10TensorBaseESF_lENKUlvE_clEvENKUlvE_clEvEUlddE_dEEDaPvRmT3_T4_T5_mT6_P12ihipStream_tbENKUlT_T0_E_clISt17integral_constantIbLb0EESW_EEDaSR_SS_EUlSR_E_NS1_11comp_targetILNS1_3genE2ELNS1_11target_archE906ELNS1_3gpuE6ELNS1_3repE0EEENS1_30default_config_static_selectorELNS0_4arch9wavefront6targetE0EEEvT1_ ; -- Begin function _ZN7rocprim17ROCPRIM_400000_NS6detail17trampoline_kernelINS0_14default_configENS1_20scan_config_selectorIdEEZZNS1_9scan_implILNS1_25lookback_scan_determinismE0ELb0ELb0ES3_PKdPddZZZN2at6native31launch_logcumsumexp_cuda_kernelERKNSB_10TensorBaseESF_lENKUlvE_clEvENKUlvE_clEvEUlddE_dEEDaPvRmT3_T4_T5_mT6_P12ihipStream_tbENKUlT_T0_E_clISt17integral_constantIbLb0EESW_EEDaSR_SS_EUlSR_E_NS1_11comp_targetILNS1_3genE2ELNS1_11target_archE906ELNS1_3gpuE6ELNS1_3repE0EEENS1_30default_config_static_selectorELNS0_4arch9wavefront6targetE0EEEvT1_
	.p2align	8
	.type	_ZN7rocprim17ROCPRIM_400000_NS6detail17trampoline_kernelINS0_14default_configENS1_20scan_config_selectorIdEEZZNS1_9scan_implILNS1_25lookback_scan_determinismE0ELb0ELb0ES3_PKdPddZZZN2at6native31launch_logcumsumexp_cuda_kernelERKNSB_10TensorBaseESF_lENKUlvE_clEvENKUlvE_clEvEUlddE_dEEDaPvRmT3_T4_T5_mT6_P12ihipStream_tbENKUlT_T0_E_clISt17integral_constantIbLb0EESW_EEDaSR_SS_EUlSR_E_NS1_11comp_targetILNS1_3genE2ELNS1_11target_archE906ELNS1_3gpuE6ELNS1_3repE0EEENS1_30default_config_static_selectorELNS0_4arch9wavefront6targetE0EEEvT1_,@function
_ZN7rocprim17ROCPRIM_400000_NS6detail17trampoline_kernelINS0_14default_configENS1_20scan_config_selectorIdEEZZNS1_9scan_implILNS1_25lookback_scan_determinismE0ELb0ELb0ES3_PKdPddZZZN2at6native31launch_logcumsumexp_cuda_kernelERKNSB_10TensorBaseESF_lENKUlvE_clEvENKUlvE_clEvEUlddE_dEEDaPvRmT3_T4_T5_mT6_P12ihipStream_tbENKUlT_T0_E_clISt17integral_constantIbLb0EESW_EEDaSR_SS_EUlSR_E_NS1_11comp_targetILNS1_3genE2ELNS1_11target_archE906ELNS1_3gpuE6ELNS1_3repE0EEENS1_30default_config_static_selectorELNS0_4arch9wavefront6targetE0EEEvT1_: ; @_ZN7rocprim17ROCPRIM_400000_NS6detail17trampoline_kernelINS0_14default_configENS1_20scan_config_selectorIdEEZZNS1_9scan_implILNS1_25lookback_scan_determinismE0ELb0ELb0ES3_PKdPddZZZN2at6native31launch_logcumsumexp_cuda_kernelERKNSB_10TensorBaseESF_lENKUlvE_clEvENKUlvE_clEvEUlddE_dEEDaPvRmT3_T4_T5_mT6_P12ihipStream_tbENKUlT_T0_E_clISt17integral_constantIbLb0EESW_EEDaSR_SS_EUlSR_E_NS1_11comp_targetILNS1_3genE2ELNS1_11target_archE906ELNS1_3gpuE6ELNS1_3repE0EEENS1_30default_config_static_selectorELNS0_4arch9wavefront6targetE0EEEvT1_
; %bb.0:
	.section	.rodata,"a",@progbits
	.p2align	6, 0x0
	.amdhsa_kernel _ZN7rocprim17ROCPRIM_400000_NS6detail17trampoline_kernelINS0_14default_configENS1_20scan_config_selectorIdEEZZNS1_9scan_implILNS1_25lookback_scan_determinismE0ELb0ELb0ES3_PKdPddZZZN2at6native31launch_logcumsumexp_cuda_kernelERKNSB_10TensorBaseESF_lENKUlvE_clEvENKUlvE_clEvEUlddE_dEEDaPvRmT3_T4_T5_mT6_P12ihipStream_tbENKUlT_T0_E_clISt17integral_constantIbLb0EESW_EEDaSR_SS_EUlSR_E_NS1_11comp_targetILNS1_3genE2ELNS1_11target_archE906ELNS1_3gpuE6ELNS1_3repE0EEENS1_30default_config_static_selectorELNS0_4arch9wavefront6targetE0EEEvT1_
		.amdhsa_group_segment_fixed_size 0
		.amdhsa_private_segment_fixed_size 0
		.amdhsa_kernarg_size 104
		.amdhsa_user_sgpr_count 15
		.amdhsa_user_sgpr_dispatch_ptr 0
		.amdhsa_user_sgpr_queue_ptr 0
		.amdhsa_user_sgpr_kernarg_segment_ptr 1
		.amdhsa_user_sgpr_dispatch_id 0
		.amdhsa_user_sgpr_private_segment_size 0
		.amdhsa_wavefront_size32 1
		.amdhsa_uses_dynamic_stack 0
		.amdhsa_enable_private_segment 0
		.amdhsa_system_sgpr_workgroup_id_x 1
		.amdhsa_system_sgpr_workgroup_id_y 0
		.amdhsa_system_sgpr_workgroup_id_z 0
		.amdhsa_system_sgpr_workgroup_info 0
		.amdhsa_system_vgpr_workitem_id 0
		.amdhsa_next_free_vgpr 1
		.amdhsa_next_free_sgpr 1
		.amdhsa_reserve_vcc 0
		.amdhsa_float_round_mode_32 0
		.amdhsa_float_round_mode_16_64 0
		.amdhsa_float_denorm_mode_32 3
		.amdhsa_float_denorm_mode_16_64 3
		.amdhsa_dx10_clamp 1
		.amdhsa_ieee_mode 1
		.amdhsa_fp16_overflow 0
		.amdhsa_workgroup_processor_mode 1
		.amdhsa_memory_ordered 1
		.amdhsa_forward_progress 0
		.amdhsa_shared_vgpr_count 0
		.amdhsa_exception_fp_ieee_invalid_op 0
		.amdhsa_exception_fp_denorm_src 0
		.amdhsa_exception_fp_ieee_div_zero 0
		.amdhsa_exception_fp_ieee_overflow 0
		.amdhsa_exception_fp_ieee_underflow 0
		.amdhsa_exception_fp_ieee_inexact 0
		.amdhsa_exception_int_div_zero 0
	.end_amdhsa_kernel
	.section	.text._ZN7rocprim17ROCPRIM_400000_NS6detail17trampoline_kernelINS0_14default_configENS1_20scan_config_selectorIdEEZZNS1_9scan_implILNS1_25lookback_scan_determinismE0ELb0ELb0ES3_PKdPddZZZN2at6native31launch_logcumsumexp_cuda_kernelERKNSB_10TensorBaseESF_lENKUlvE_clEvENKUlvE_clEvEUlddE_dEEDaPvRmT3_T4_T5_mT6_P12ihipStream_tbENKUlT_T0_E_clISt17integral_constantIbLb0EESW_EEDaSR_SS_EUlSR_E_NS1_11comp_targetILNS1_3genE2ELNS1_11target_archE906ELNS1_3gpuE6ELNS1_3repE0EEENS1_30default_config_static_selectorELNS0_4arch9wavefront6targetE0EEEvT1_,"axG",@progbits,_ZN7rocprim17ROCPRIM_400000_NS6detail17trampoline_kernelINS0_14default_configENS1_20scan_config_selectorIdEEZZNS1_9scan_implILNS1_25lookback_scan_determinismE0ELb0ELb0ES3_PKdPddZZZN2at6native31launch_logcumsumexp_cuda_kernelERKNSB_10TensorBaseESF_lENKUlvE_clEvENKUlvE_clEvEUlddE_dEEDaPvRmT3_T4_T5_mT6_P12ihipStream_tbENKUlT_T0_E_clISt17integral_constantIbLb0EESW_EEDaSR_SS_EUlSR_E_NS1_11comp_targetILNS1_3genE2ELNS1_11target_archE906ELNS1_3gpuE6ELNS1_3repE0EEENS1_30default_config_static_selectorELNS0_4arch9wavefront6targetE0EEEvT1_,comdat
.Lfunc_end5:
	.size	_ZN7rocprim17ROCPRIM_400000_NS6detail17trampoline_kernelINS0_14default_configENS1_20scan_config_selectorIdEEZZNS1_9scan_implILNS1_25lookback_scan_determinismE0ELb0ELb0ES3_PKdPddZZZN2at6native31launch_logcumsumexp_cuda_kernelERKNSB_10TensorBaseESF_lENKUlvE_clEvENKUlvE_clEvEUlddE_dEEDaPvRmT3_T4_T5_mT6_P12ihipStream_tbENKUlT_T0_E_clISt17integral_constantIbLb0EESW_EEDaSR_SS_EUlSR_E_NS1_11comp_targetILNS1_3genE2ELNS1_11target_archE906ELNS1_3gpuE6ELNS1_3repE0EEENS1_30default_config_static_selectorELNS0_4arch9wavefront6targetE0EEEvT1_, .Lfunc_end5-_ZN7rocprim17ROCPRIM_400000_NS6detail17trampoline_kernelINS0_14default_configENS1_20scan_config_selectorIdEEZZNS1_9scan_implILNS1_25lookback_scan_determinismE0ELb0ELb0ES3_PKdPddZZZN2at6native31launch_logcumsumexp_cuda_kernelERKNSB_10TensorBaseESF_lENKUlvE_clEvENKUlvE_clEvEUlddE_dEEDaPvRmT3_T4_T5_mT6_P12ihipStream_tbENKUlT_T0_E_clISt17integral_constantIbLb0EESW_EEDaSR_SS_EUlSR_E_NS1_11comp_targetILNS1_3genE2ELNS1_11target_archE906ELNS1_3gpuE6ELNS1_3repE0EEENS1_30default_config_static_selectorELNS0_4arch9wavefront6targetE0EEEvT1_
                                        ; -- End function
	.section	.AMDGPU.csdata,"",@progbits
; Kernel info:
; codeLenInByte = 0
; NumSgprs: 0
; NumVgprs: 0
; ScratchSize: 0
; MemoryBound: 0
; FloatMode: 240
; IeeeMode: 1
; LDSByteSize: 0 bytes/workgroup (compile time only)
; SGPRBlocks: 0
; VGPRBlocks: 0
; NumSGPRsForWavesPerEU: 1
; NumVGPRsForWavesPerEU: 1
; Occupancy: 16
; WaveLimiterHint : 0
; COMPUTE_PGM_RSRC2:SCRATCH_EN: 0
; COMPUTE_PGM_RSRC2:USER_SGPR: 15
; COMPUTE_PGM_RSRC2:TRAP_HANDLER: 0
; COMPUTE_PGM_RSRC2:TGID_X_EN: 1
; COMPUTE_PGM_RSRC2:TGID_Y_EN: 0
; COMPUTE_PGM_RSRC2:TGID_Z_EN: 0
; COMPUTE_PGM_RSRC2:TIDIG_COMP_CNT: 0
	.section	.text._ZN7rocprim17ROCPRIM_400000_NS6detail17trampoline_kernelINS0_14default_configENS1_20scan_config_selectorIdEEZZNS1_9scan_implILNS1_25lookback_scan_determinismE0ELb0ELb0ES3_PKdPddZZZN2at6native31launch_logcumsumexp_cuda_kernelERKNSB_10TensorBaseESF_lENKUlvE_clEvENKUlvE_clEvEUlddE_dEEDaPvRmT3_T4_T5_mT6_P12ihipStream_tbENKUlT_T0_E_clISt17integral_constantIbLb0EESW_EEDaSR_SS_EUlSR_E_NS1_11comp_targetILNS1_3genE10ELNS1_11target_archE1201ELNS1_3gpuE5ELNS1_3repE0EEENS1_30default_config_static_selectorELNS0_4arch9wavefront6targetE0EEEvT1_,"axG",@progbits,_ZN7rocprim17ROCPRIM_400000_NS6detail17trampoline_kernelINS0_14default_configENS1_20scan_config_selectorIdEEZZNS1_9scan_implILNS1_25lookback_scan_determinismE0ELb0ELb0ES3_PKdPddZZZN2at6native31launch_logcumsumexp_cuda_kernelERKNSB_10TensorBaseESF_lENKUlvE_clEvENKUlvE_clEvEUlddE_dEEDaPvRmT3_T4_T5_mT6_P12ihipStream_tbENKUlT_T0_E_clISt17integral_constantIbLb0EESW_EEDaSR_SS_EUlSR_E_NS1_11comp_targetILNS1_3genE10ELNS1_11target_archE1201ELNS1_3gpuE5ELNS1_3repE0EEENS1_30default_config_static_selectorELNS0_4arch9wavefront6targetE0EEEvT1_,comdat
	.globl	_ZN7rocprim17ROCPRIM_400000_NS6detail17trampoline_kernelINS0_14default_configENS1_20scan_config_selectorIdEEZZNS1_9scan_implILNS1_25lookback_scan_determinismE0ELb0ELb0ES3_PKdPddZZZN2at6native31launch_logcumsumexp_cuda_kernelERKNSB_10TensorBaseESF_lENKUlvE_clEvENKUlvE_clEvEUlddE_dEEDaPvRmT3_T4_T5_mT6_P12ihipStream_tbENKUlT_T0_E_clISt17integral_constantIbLb0EESW_EEDaSR_SS_EUlSR_E_NS1_11comp_targetILNS1_3genE10ELNS1_11target_archE1201ELNS1_3gpuE5ELNS1_3repE0EEENS1_30default_config_static_selectorELNS0_4arch9wavefront6targetE0EEEvT1_ ; -- Begin function _ZN7rocprim17ROCPRIM_400000_NS6detail17trampoline_kernelINS0_14default_configENS1_20scan_config_selectorIdEEZZNS1_9scan_implILNS1_25lookback_scan_determinismE0ELb0ELb0ES3_PKdPddZZZN2at6native31launch_logcumsumexp_cuda_kernelERKNSB_10TensorBaseESF_lENKUlvE_clEvENKUlvE_clEvEUlddE_dEEDaPvRmT3_T4_T5_mT6_P12ihipStream_tbENKUlT_T0_E_clISt17integral_constantIbLb0EESW_EEDaSR_SS_EUlSR_E_NS1_11comp_targetILNS1_3genE10ELNS1_11target_archE1201ELNS1_3gpuE5ELNS1_3repE0EEENS1_30default_config_static_selectorELNS0_4arch9wavefront6targetE0EEEvT1_
	.p2align	8
	.type	_ZN7rocprim17ROCPRIM_400000_NS6detail17trampoline_kernelINS0_14default_configENS1_20scan_config_selectorIdEEZZNS1_9scan_implILNS1_25lookback_scan_determinismE0ELb0ELb0ES3_PKdPddZZZN2at6native31launch_logcumsumexp_cuda_kernelERKNSB_10TensorBaseESF_lENKUlvE_clEvENKUlvE_clEvEUlddE_dEEDaPvRmT3_T4_T5_mT6_P12ihipStream_tbENKUlT_T0_E_clISt17integral_constantIbLb0EESW_EEDaSR_SS_EUlSR_E_NS1_11comp_targetILNS1_3genE10ELNS1_11target_archE1201ELNS1_3gpuE5ELNS1_3repE0EEENS1_30default_config_static_selectorELNS0_4arch9wavefront6targetE0EEEvT1_,@function
_ZN7rocprim17ROCPRIM_400000_NS6detail17trampoline_kernelINS0_14default_configENS1_20scan_config_selectorIdEEZZNS1_9scan_implILNS1_25lookback_scan_determinismE0ELb0ELb0ES3_PKdPddZZZN2at6native31launch_logcumsumexp_cuda_kernelERKNSB_10TensorBaseESF_lENKUlvE_clEvENKUlvE_clEvEUlddE_dEEDaPvRmT3_T4_T5_mT6_P12ihipStream_tbENKUlT_T0_E_clISt17integral_constantIbLb0EESW_EEDaSR_SS_EUlSR_E_NS1_11comp_targetILNS1_3genE10ELNS1_11target_archE1201ELNS1_3gpuE5ELNS1_3repE0EEENS1_30default_config_static_selectorELNS0_4arch9wavefront6targetE0EEEvT1_: ; @_ZN7rocprim17ROCPRIM_400000_NS6detail17trampoline_kernelINS0_14default_configENS1_20scan_config_selectorIdEEZZNS1_9scan_implILNS1_25lookback_scan_determinismE0ELb0ELb0ES3_PKdPddZZZN2at6native31launch_logcumsumexp_cuda_kernelERKNSB_10TensorBaseESF_lENKUlvE_clEvENKUlvE_clEvEUlddE_dEEDaPvRmT3_T4_T5_mT6_P12ihipStream_tbENKUlT_T0_E_clISt17integral_constantIbLb0EESW_EEDaSR_SS_EUlSR_E_NS1_11comp_targetILNS1_3genE10ELNS1_11target_archE1201ELNS1_3gpuE5ELNS1_3repE0EEENS1_30default_config_static_selectorELNS0_4arch9wavefront6targetE0EEEvT1_
; %bb.0:
	.section	.rodata,"a",@progbits
	.p2align	6, 0x0
	.amdhsa_kernel _ZN7rocprim17ROCPRIM_400000_NS6detail17trampoline_kernelINS0_14default_configENS1_20scan_config_selectorIdEEZZNS1_9scan_implILNS1_25lookback_scan_determinismE0ELb0ELb0ES3_PKdPddZZZN2at6native31launch_logcumsumexp_cuda_kernelERKNSB_10TensorBaseESF_lENKUlvE_clEvENKUlvE_clEvEUlddE_dEEDaPvRmT3_T4_T5_mT6_P12ihipStream_tbENKUlT_T0_E_clISt17integral_constantIbLb0EESW_EEDaSR_SS_EUlSR_E_NS1_11comp_targetILNS1_3genE10ELNS1_11target_archE1201ELNS1_3gpuE5ELNS1_3repE0EEENS1_30default_config_static_selectorELNS0_4arch9wavefront6targetE0EEEvT1_
		.amdhsa_group_segment_fixed_size 0
		.amdhsa_private_segment_fixed_size 0
		.amdhsa_kernarg_size 104
		.amdhsa_user_sgpr_count 15
		.amdhsa_user_sgpr_dispatch_ptr 0
		.amdhsa_user_sgpr_queue_ptr 0
		.amdhsa_user_sgpr_kernarg_segment_ptr 1
		.amdhsa_user_sgpr_dispatch_id 0
		.amdhsa_user_sgpr_private_segment_size 0
		.amdhsa_wavefront_size32 1
		.amdhsa_uses_dynamic_stack 0
		.amdhsa_enable_private_segment 0
		.amdhsa_system_sgpr_workgroup_id_x 1
		.amdhsa_system_sgpr_workgroup_id_y 0
		.amdhsa_system_sgpr_workgroup_id_z 0
		.amdhsa_system_sgpr_workgroup_info 0
		.amdhsa_system_vgpr_workitem_id 0
		.amdhsa_next_free_vgpr 1
		.amdhsa_next_free_sgpr 1
		.amdhsa_reserve_vcc 0
		.amdhsa_float_round_mode_32 0
		.amdhsa_float_round_mode_16_64 0
		.amdhsa_float_denorm_mode_32 3
		.amdhsa_float_denorm_mode_16_64 3
		.amdhsa_dx10_clamp 1
		.amdhsa_ieee_mode 1
		.amdhsa_fp16_overflow 0
		.amdhsa_workgroup_processor_mode 1
		.amdhsa_memory_ordered 1
		.amdhsa_forward_progress 0
		.amdhsa_shared_vgpr_count 0
		.amdhsa_exception_fp_ieee_invalid_op 0
		.amdhsa_exception_fp_denorm_src 0
		.amdhsa_exception_fp_ieee_div_zero 0
		.amdhsa_exception_fp_ieee_overflow 0
		.amdhsa_exception_fp_ieee_underflow 0
		.amdhsa_exception_fp_ieee_inexact 0
		.amdhsa_exception_int_div_zero 0
	.end_amdhsa_kernel
	.section	.text._ZN7rocprim17ROCPRIM_400000_NS6detail17trampoline_kernelINS0_14default_configENS1_20scan_config_selectorIdEEZZNS1_9scan_implILNS1_25lookback_scan_determinismE0ELb0ELb0ES3_PKdPddZZZN2at6native31launch_logcumsumexp_cuda_kernelERKNSB_10TensorBaseESF_lENKUlvE_clEvENKUlvE_clEvEUlddE_dEEDaPvRmT3_T4_T5_mT6_P12ihipStream_tbENKUlT_T0_E_clISt17integral_constantIbLb0EESW_EEDaSR_SS_EUlSR_E_NS1_11comp_targetILNS1_3genE10ELNS1_11target_archE1201ELNS1_3gpuE5ELNS1_3repE0EEENS1_30default_config_static_selectorELNS0_4arch9wavefront6targetE0EEEvT1_,"axG",@progbits,_ZN7rocprim17ROCPRIM_400000_NS6detail17trampoline_kernelINS0_14default_configENS1_20scan_config_selectorIdEEZZNS1_9scan_implILNS1_25lookback_scan_determinismE0ELb0ELb0ES3_PKdPddZZZN2at6native31launch_logcumsumexp_cuda_kernelERKNSB_10TensorBaseESF_lENKUlvE_clEvENKUlvE_clEvEUlddE_dEEDaPvRmT3_T4_T5_mT6_P12ihipStream_tbENKUlT_T0_E_clISt17integral_constantIbLb0EESW_EEDaSR_SS_EUlSR_E_NS1_11comp_targetILNS1_3genE10ELNS1_11target_archE1201ELNS1_3gpuE5ELNS1_3repE0EEENS1_30default_config_static_selectorELNS0_4arch9wavefront6targetE0EEEvT1_,comdat
.Lfunc_end6:
	.size	_ZN7rocprim17ROCPRIM_400000_NS6detail17trampoline_kernelINS0_14default_configENS1_20scan_config_selectorIdEEZZNS1_9scan_implILNS1_25lookback_scan_determinismE0ELb0ELb0ES3_PKdPddZZZN2at6native31launch_logcumsumexp_cuda_kernelERKNSB_10TensorBaseESF_lENKUlvE_clEvENKUlvE_clEvEUlddE_dEEDaPvRmT3_T4_T5_mT6_P12ihipStream_tbENKUlT_T0_E_clISt17integral_constantIbLb0EESW_EEDaSR_SS_EUlSR_E_NS1_11comp_targetILNS1_3genE10ELNS1_11target_archE1201ELNS1_3gpuE5ELNS1_3repE0EEENS1_30default_config_static_selectorELNS0_4arch9wavefront6targetE0EEEvT1_, .Lfunc_end6-_ZN7rocprim17ROCPRIM_400000_NS6detail17trampoline_kernelINS0_14default_configENS1_20scan_config_selectorIdEEZZNS1_9scan_implILNS1_25lookback_scan_determinismE0ELb0ELb0ES3_PKdPddZZZN2at6native31launch_logcumsumexp_cuda_kernelERKNSB_10TensorBaseESF_lENKUlvE_clEvENKUlvE_clEvEUlddE_dEEDaPvRmT3_T4_T5_mT6_P12ihipStream_tbENKUlT_T0_E_clISt17integral_constantIbLb0EESW_EEDaSR_SS_EUlSR_E_NS1_11comp_targetILNS1_3genE10ELNS1_11target_archE1201ELNS1_3gpuE5ELNS1_3repE0EEENS1_30default_config_static_selectorELNS0_4arch9wavefront6targetE0EEEvT1_
                                        ; -- End function
	.section	.AMDGPU.csdata,"",@progbits
; Kernel info:
; codeLenInByte = 0
; NumSgprs: 0
; NumVgprs: 0
; ScratchSize: 0
; MemoryBound: 0
; FloatMode: 240
; IeeeMode: 1
; LDSByteSize: 0 bytes/workgroup (compile time only)
; SGPRBlocks: 0
; VGPRBlocks: 0
; NumSGPRsForWavesPerEU: 1
; NumVGPRsForWavesPerEU: 1
; Occupancy: 16
; WaveLimiterHint : 0
; COMPUTE_PGM_RSRC2:SCRATCH_EN: 0
; COMPUTE_PGM_RSRC2:USER_SGPR: 15
; COMPUTE_PGM_RSRC2:TRAP_HANDLER: 0
; COMPUTE_PGM_RSRC2:TGID_X_EN: 1
; COMPUTE_PGM_RSRC2:TGID_Y_EN: 0
; COMPUTE_PGM_RSRC2:TGID_Z_EN: 0
; COMPUTE_PGM_RSRC2:TIDIG_COMP_CNT: 0
	.section	.text._ZN7rocprim17ROCPRIM_400000_NS6detail17trampoline_kernelINS0_14default_configENS1_20scan_config_selectorIdEEZZNS1_9scan_implILNS1_25lookback_scan_determinismE0ELb0ELb0ES3_PKdPddZZZN2at6native31launch_logcumsumexp_cuda_kernelERKNSB_10TensorBaseESF_lENKUlvE_clEvENKUlvE_clEvEUlddE_dEEDaPvRmT3_T4_T5_mT6_P12ihipStream_tbENKUlT_T0_E_clISt17integral_constantIbLb0EESW_EEDaSR_SS_EUlSR_E_NS1_11comp_targetILNS1_3genE10ELNS1_11target_archE1200ELNS1_3gpuE4ELNS1_3repE0EEENS1_30default_config_static_selectorELNS0_4arch9wavefront6targetE0EEEvT1_,"axG",@progbits,_ZN7rocprim17ROCPRIM_400000_NS6detail17trampoline_kernelINS0_14default_configENS1_20scan_config_selectorIdEEZZNS1_9scan_implILNS1_25lookback_scan_determinismE0ELb0ELb0ES3_PKdPddZZZN2at6native31launch_logcumsumexp_cuda_kernelERKNSB_10TensorBaseESF_lENKUlvE_clEvENKUlvE_clEvEUlddE_dEEDaPvRmT3_T4_T5_mT6_P12ihipStream_tbENKUlT_T0_E_clISt17integral_constantIbLb0EESW_EEDaSR_SS_EUlSR_E_NS1_11comp_targetILNS1_3genE10ELNS1_11target_archE1200ELNS1_3gpuE4ELNS1_3repE0EEENS1_30default_config_static_selectorELNS0_4arch9wavefront6targetE0EEEvT1_,comdat
	.globl	_ZN7rocprim17ROCPRIM_400000_NS6detail17trampoline_kernelINS0_14default_configENS1_20scan_config_selectorIdEEZZNS1_9scan_implILNS1_25lookback_scan_determinismE0ELb0ELb0ES3_PKdPddZZZN2at6native31launch_logcumsumexp_cuda_kernelERKNSB_10TensorBaseESF_lENKUlvE_clEvENKUlvE_clEvEUlddE_dEEDaPvRmT3_T4_T5_mT6_P12ihipStream_tbENKUlT_T0_E_clISt17integral_constantIbLb0EESW_EEDaSR_SS_EUlSR_E_NS1_11comp_targetILNS1_3genE10ELNS1_11target_archE1200ELNS1_3gpuE4ELNS1_3repE0EEENS1_30default_config_static_selectorELNS0_4arch9wavefront6targetE0EEEvT1_ ; -- Begin function _ZN7rocprim17ROCPRIM_400000_NS6detail17trampoline_kernelINS0_14default_configENS1_20scan_config_selectorIdEEZZNS1_9scan_implILNS1_25lookback_scan_determinismE0ELb0ELb0ES3_PKdPddZZZN2at6native31launch_logcumsumexp_cuda_kernelERKNSB_10TensorBaseESF_lENKUlvE_clEvENKUlvE_clEvEUlddE_dEEDaPvRmT3_T4_T5_mT6_P12ihipStream_tbENKUlT_T0_E_clISt17integral_constantIbLb0EESW_EEDaSR_SS_EUlSR_E_NS1_11comp_targetILNS1_3genE10ELNS1_11target_archE1200ELNS1_3gpuE4ELNS1_3repE0EEENS1_30default_config_static_selectorELNS0_4arch9wavefront6targetE0EEEvT1_
	.p2align	8
	.type	_ZN7rocprim17ROCPRIM_400000_NS6detail17trampoline_kernelINS0_14default_configENS1_20scan_config_selectorIdEEZZNS1_9scan_implILNS1_25lookback_scan_determinismE0ELb0ELb0ES3_PKdPddZZZN2at6native31launch_logcumsumexp_cuda_kernelERKNSB_10TensorBaseESF_lENKUlvE_clEvENKUlvE_clEvEUlddE_dEEDaPvRmT3_T4_T5_mT6_P12ihipStream_tbENKUlT_T0_E_clISt17integral_constantIbLb0EESW_EEDaSR_SS_EUlSR_E_NS1_11comp_targetILNS1_3genE10ELNS1_11target_archE1200ELNS1_3gpuE4ELNS1_3repE0EEENS1_30default_config_static_selectorELNS0_4arch9wavefront6targetE0EEEvT1_,@function
_ZN7rocprim17ROCPRIM_400000_NS6detail17trampoline_kernelINS0_14default_configENS1_20scan_config_selectorIdEEZZNS1_9scan_implILNS1_25lookback_scan_determinismE0ELb0ELb0ES3_PKdPddZZZN2at6native31launch_logcumsumexp_cuda_kernelERKNSB_10TensorBaseESF_lENKUlvE_clEvENKUlvE_clEvEUlddE_dEEDaPvRmT3_T4_T5_mT6_P12ihipStream_tbENKUlT_T0_E_clISt17integral_constantIbLb0EESW_EEDaSR_SS_EUlSR_E_NS1_11comp_targetILNS1_3genE10ELNS1_11target_archE1200ELNS1_3gpuE4ELNS1_3repE0EEENS1_30default_config_static_selectorELNS0_4arch9wavefront6targetE0EEEvT1_: ; @_ZN7rocprim17ROCPRIM_400000_NS6detail17trampoline_kernelINS0_14default_configENS1_20scan_config_selectorIdEEZZNS1_9scan_implILNS1_25lookback_scan_determinismE0ELb0ELb0ES3_PKdPddZZZN2at6native31launch_logcumsumexp_cuda_kernelERKNSB_10TensorBaseESF_lENKUlvE_clEvENKUlvE_clEvEUlddE_dEEDaPvRmT3_T4_T5_mT6_P12ihipStream_tbENKUlT_T0_E_clISt17integral_constantIbLb0EESW_EEDaSR_SS_EUlSR_E_NS1_11comp_targetILNS1_3genE10ELNS1_11target_archE1200ELNS1_3gpuE4ELNS1_3repE0EEENS1_30default_config_static_selectorELNS0_4arch9wavefront6targetE0EEEvT1_
; %bb.0:
	.section	.rodata,"a",@progbits
	.p2align	6, 0x0
	.amdhsa_kernel _ZN7rocprim17ROCPRIM_400000_NS6detail17trampoline_kernelINS0_14default_configENS1_20scan_config_selectorIdEEZZNS1_9scan_implILNS1_25lookback_scan_determinismE0ELb0ELb0ES3_PKdPddZZZN2at6native31launch_logcumsumexp_cuda_kernelERKNSB_10TensorBaseESF_lENKUlvE_clEvENKUlvE_clEvEUlddE_dEEDaPvRmT3_T4_T5_mT6_P12ihipStream_tbENKUlT_T0_E_clISt17integral_constantIbLb0EESW_EEDaSR_SS_EUlSR_E_NS1_11comp_targetILNS1_3genE10ELNS1_11target_archE1200ELNS1_3gpuE4ELNS1_3repE0EEENS1_30default_config_static_selectorELNS0_4arch9wavefront6targetE0EEEvT1_
		.amdhsa_group_segment_fixed_size 0
		.amdhsa_private_segment_fixed_size 0
		.amdhsa_kernarg_size 104
		.amdhsa_user_sgpr_count 15
		.amdhsa_user_sgpr_dispatch_ptr 0
		.amdhsa_user_sgpr_queue_ptr 0
		.amdhsa_user_sgpr_kernarg_segment_ptr 1
		.amdhsa_user_sgpr_dispatch_id 0
		.amdhsa_user_sgpr_private_segment_size 0
		.amdhsa_wavefront_size32 1
		.amdhsa_uses_dynamic_stack 0
		.amdhsa_enable_private_segment 0
		.amdhsa_system_sgpr_workgroup_id_x 1
		.amdhsa_system_sgpr_workgroup_id_y 0
		.amdhsa_system_sgpr_workgroup_id_z 0
		.amdhsa_system_sgpr_workgroup_info 0
		.amdhsa_system_vgpr_workitem_id 0
		.amdhsa_next_free_vgpr 1
		.amdhsa_next_free_sgpr 1
		.amdhsa_reserve_vcc 0
		.amdhsa_float_round_mode_32 0
		.amdhsa_float_round_mode_16_64 0
		.amdhsa_float_denorm_mode_32 3
		.amdhsa_float_denorm_mode_16_64 3
		.amdhsa_dx10_clamp 1
		.amdhsa_ieee_mode 1
		.amdhsa_fp16_overflow 0
		.amdhsa_workgroup_processor_mode 1
		.amdhsa_memory_ordered 1
		.amdhsa_forward_progress 0
		.amdhsa_shared_vgpr_count 0
		.amdhsa_exception_fp_ieee_invalid_op 0
		.amdhsa_exception_fp_denorm_src 0
		.amdhsa_exception_fp_ieee_div_zero 0
		.amdhsa_exception_fp_ieee_overflow 0
		.amdhsa_exception_fp_ieee_underflow 0
		.amdhsa_exception_fp_ieee_inexact 0
		.amdhsa_exception_int_div_zero 0
	.end_amdhsa_kernel
	.section	.text._ZN7rocprim17ROCPRIM_400000_NS6detail17trampoline_kernelINS0_14default_configENS1_20scan_config_selectorIdEEZZNS1_9scan_implILNS1_25lookback_scan_determinismE0ELb0ELb0ES3_PKdPddZZZN2at6native31launch_logcumsumexp_cuda_kernelERKNSB_10TensorBaseESF_lENKUlvE_clEvENKUlvE_clEvEUlddE_dEEDaPvRmT3_T4_T5_mT6_P12ihipStream_tbENKUlT_T0_E_clISt17integral_constantIbLb0EESW_EEDaSR_SS_EUlSR_E_NS1_11comp_targetILNS1_3genE10ELNS1_11target_archE1200ELNS1_3gpuE4ELNS1_3repE0EEENS1_30default_config_static_selectorELNS0_4arch9wavefront6targetE0EEEvT1_,"axG",@progbits,_ZN7rocprim17ROCPRIM_400000_NS6detail17trampoline_kernelINS0_14default_configENS1_20scan_config_selectorIdEEZZNS1_9scan_implILNS1_25lookback_scan_determinismE0ELb0ELb0ES3_PKdPddZZZN2at6native31launch_logcumsumexp_cuda_kernelERKNSB_10TensorBaseESF_lENKUlvE_clEvENKUlvE_clEvEUlddE_dEEDaPvRmT3_T4_T5_mT6_P12ihipStream_tbENKUlT_T0_E_clISt17integral_constantIbLb0EESW_EEDaSR_SS_EUlSR_E_NS1_11comp_targetILNS1_3genE10ELNS1_11target_archE1200ELNS1_3gpuE4ELNS1_3repE0EEENS1_30default_config_static_selectorELNS0_4arch9wavefront6targetE0EEEvT1_,comdat
.Lfunc_end7:
	.size	_ZN7rocprim17ROCPRIM_400000_NS6detail17trampoline_kernelINS0_14default_configENS1_20scan_config_selectorIdEEZZNS1_9scan_implILNS1_25lookback_scan_determinismE0ELb0ELb0ES3_PKdPddZZZN2at6native31launch_logcumsumexp_cuda_kernelERKNSB_10TensorBaseESF_lENKUlvE_clEvENKUlvE_clEvEUlddE_dEEDaPvRmT3_T4_T5_mT6_P12ihipStream_tbENKUlT_T0_E_clISt17integral_constantIbLb0EESW_EEDaSR_SS_EUlSR_E_NS1_11comp_targetILNS1_3genE10ELNS1_11target_archE1200ELNS1_3gpuE4ELNS1_3repE0EEENS1_30default_config_static_selectorELNS0_4arch9wavefront6targetE0EEEvT1_, .Lfunc_end7-_ZN7rocprim17ROCPRIM_400000_NS6detail17trampoline_kernelINS0_14default_configENS1_20scan_config_selectorIdEEZZNS1_9scan_implILNS1_25lookback_scan_determinismE0ELb0ELb0ES3_PKdPddZZZN2at6native31launch_logcumsumexp_cuda_kernelERKNSB_10TensorBaseESF_lENKUlvE_clEvENKUlvE_clEvEUlddE_dEEDaPvRmT3_T4_T5_mT6_P12ihipStream_tbENKUlT_T0_E_clISt17integral_constantIbLb0EESW_EEDaSR_SS_EUlSR_E_NS1_11comp_targetILNS1_3genE10ELNS1_11target_archE1200ELNS1_3gpuE4ELNS1_3repE0EEENS1_30default_config_static_selectorELNS0_4arch9wavefront6targetE0EEEvT1_
                                        ; -- End function
	.section	.AMDGPU.csdata,"",@progbits
; Kernel info:
; codeLenInByte = 0
; NumSgprs: 0
; NumVgprs: 0
; ScratchSize: 0
; MemoryBound: 0
; FloatMode: 240
; IeeeMode: 1
; LDSByteSize: 0 bytes/workgroup (compile time only)
; SGPRBlocks: 0
; VGPRBlocks: 0
; NumSGPRsForWavesPerEU: 1
; NumVGPRsForWavesPerEU: 1
; Occupancy: 16
; WaveLimiterHint : 0
; COMPUTE_PGM_RSRC2:SCRATCH_EN: 0
; COMPUTE_PGM_RSRC2:USER_SGPR: 15
; COMPUTE_PGM_RSRC2:TRAP_HANDLER: 0
; COMPUTE_PGM_RSRC2:TGID_X_EN: 1
; COMPUTE_PGM_RSRC2:TGID_Y_EN: 0
; COMPUTE_PGM_RSRC2:TGID_Z_EN: 0
; COMPUTE_PGM_RSRC2:TIDIG_COMP_CNT: 0
	.text
	.p2align	2                               ; -- Begin function _ZZZN7rocprim17ROCPRIM_400000_NS6detail9scan_implILNS1_25lookback_scan_determinismE0ELb0ELb0ENS0_14default_configEPKdPddZZZN2at6native31launch_logcumsumexp_cuda_kernelERKNS8_10TensorBaseESC_lENKUlvE_clEvENKUlvE_clEvEUlddE_dEEDaPvRmT3_T4_T5_mT6_P12ihipStream_tbENKUlT_T0_E_clISt17integral_constantIbLb0EEST_EEDaSO_SP_ENKUlSO_E_clINS1_13target_configIS4_NS1_20scan_config_selectorIdEENS1_11comp_targetILNS1_3genE9ELNS1_11target_archE1100ELNS1_3gpuE3ELNS1_3repE0EEELNS0_4arch9wavefront6targetE0EEEEEDaSO_
	.type	_ZZZN7rocprim17ROCPRIM_400000_NS6detail9scan_implILNS1_25lookback_scan_determinismE0ELb0ELb0ENS0_14default_configEPKdPddZZZN2at6native31launch_logcumsumexp_cuda_kernelERKNS8_10TensorBaseESC_lENKUlvE_clEvENKUlvE_clEvEUlddE_dEEDaPvRmT3_T4_T5_mT6_P12ihipStream_tbENKUlT_T0_E_clISt17integral_constantIbLb0EEST_EEDaSO_SP_ENKUlSO_E_clINS1_13target_configIS4_NS1_20scan_config_selectorIdEENS1_11comp_targetILNS1_3genE9ELNS1_11target_archE1100ELNS1_3gpuE3ELNS1_3repE0EEELNS0_4arch9wavefront6targetE0EEEEEDaSO_,@function
_ZZZN7rocprim17ROCPRIM_400000_NS6detail9scan_implILNS1_25lookback_scan_determinismE0ELb0ELb0ENS0_14default_configEPKdPddZZZN2at6native31launch_logcumsumexp_cuda_kernelERKNS8_10TensorBaseESC_lENKUlvE_clEvENKUlvE_clEvEUlddE_dEEDaPvRmT3_T4_T5_mT6_P12ihipStream_tbENKUlT_T0_E_clISt17integral_constantIbLb0EEST_EEDaSO_SP_ENKUlSO_E_clINS1_13target_configIS4_NS1_20scan_config_selectorIdEENS1_11comp_targetILNS1_3genE9ELNS1_11target_archE1100ELNS1_3gpuE3ELNS1_3repE0EEELNS0_4arch9wavefront6targetE0EEEEEDaSO_: ; @_ZZZN7rocprim17ROCPRIM_400000_NS6detail9scan_implILNS1_25lookback_scan_determinismE0ELb0ELb0ENS0_14default_configEPKdPddZZZN2at6native31launch_logcumsumexp_cuda_kernelERKNS8_10TensorBaseESC_lENKUlvE_clEvENKUlvE_clEvEUlddE_dEEDaPvRmT3_T4_T5_mT6_P12ihipStream_tbENKUlT_T0_E_clISt17integral_constantIbLb0EEST_EEDaSO_SP_ENKUlSO_E_clINS1_13target_configIS4_NS1_20scan_config_selectorIdEENS1_11comp_targetILNS1_3genE9ELNS1_11target_archE1100ELNS1_3gpuE3ELNS1_3repE0EEELNS0_4arch9wavefront6targetE0EEEEEDaSO_
; %bb.0:
	s_waitcnt vmcnt(0) expcnt(0) lgkmcnt(0)
	s_or_saveexec_b32 s0, -1
	scratch_store_b32 off, v44, s32         ; 4-byte Folded Spill
	s_mov_b32 exec_lo, s0
	v_writelane_b32 v44, s30, 0
	v_writelane_b32 v44, s31, 1
	s_clause 0x4
	flat_load_b96 v[116:118], v[0:1] offset:48
	flat_load_b128 v[2:5], v[0:1]
	flat_load_b128 v[52:55], v[0:1] offset:16
	flat_load_b128 v[36:39], v[0:1] offset:64
	;; [unrolled: 1-line block ×3, first 2 shown]
	s_mov_b32 s1, 0
	s_lshl_b32 s0, s12, 12
	v_and_b32_e32 v128, 0x3ff, v31
	s_lshl_b64 s[22:23], s[0:1], 3
	s_delay_alu instid0(VALU_DEP_1)
	v_lshlrev_b32_e32 v195, 3, v128
	v_lshrrev_b32_e32 v34, 2, v128
	v_add_nc_u32_e32 v199, 0x100, v128
	v_add_nc_u32_e32 v198, 0x200, v128
	v_add_nc_u32_e32 v197, 0x300, v128
	v_or_b32_e32 v196, 0x400, v128
	v_add_nc_u32_e32 v194, 0x500, v128
	v_add_nc_u32_e32 v193, 0x600, v128
	v_add_nc_u32_e32 v192, 0x700, v128
	v_or_b32_e32 v183, 0x800, v128
	;; [unrolled: 4-line block ×3, first 2 shown]
	v_add_nc_u32_e32 v176, 0xd00, v128
	v_add_nc_u32_e32 v167, 0xe00, v128
	;; [unrolled: 1-line block ×3, first 2 shown]
	s_waitcnt vmcnt(4) lgkmcnt(4)
	v_add_nc_u32_e32 v0, -1, v118
	s_waitcnt vmcnt(3) lgkmcnt(3)
	v_lshlrev_b64 v[118:119], 3, v[4:5]
	s_delay_alu instid0(VALU_DEP_2) | instskip(SKIP_1) | instid1(VALU_DEP_3)
	v_lshlrev_b32_e32 v1, 12, v0
	v_cmp_ne_u32_e64 s0, s12, v0
	v_add_co_u32 v0, vcc_lo, v2, v118
	s_delay_alu instid0(VALU_DEP_4)
	v_add_co_ci_u32_e32 v2, vcc_lo, v3, v119, vcc_lo
	s_waitcnt vmcnt(2) lgkmcnt(2)
	v_sub_co_u32 v181, vcc_lo, v54, v1
	v_subrev_co_ci_u32_e32 v182, vcc_lo, 0, v55, vcc_lo
	v_add_co_u32 v30, vcc_lo, v0, s22
	v_add_co_ci_u32_e32 v31, vcc_lo, s23, v2, vcc_lo
	s_and_saveexec_b32 s1, s0
	s_delay_alu instid0(SALU_CYCLE_1)
	s_xor_b32 s1, exec_lo, s1
	s_cbranch_execz .LBB8_2
; %bb.1:
	v_add_co_u32 v0, vcc_lo, v30, v195
	v_add_co_ci_u32_e32 v1, vcc_lo, 0, v31, vcc_lo
	v_lshrrev_b32_e32 v33, 2, v199
	s_delay_alu instid0(VALU_DEP_3) | instskip(NEXT) | instid1(VALU_DEP_3)
	v_add_co_u32 v2, vcc_lo, 0x1000, v0
	v_add_co_ci_u32_e32 v3, vcc_lo, 0, v1, vcc_lo
	v_add_co_u32 v4, vcc_lo, 0x2000, v0
	v_add_co_ci_u32_e32 v5, vcc_lo, 0, v1, vcc_lo
	;; [unrolled: 2-line block ×6, first 2 shown]
	s_clause 0x7
	flat_load_b64 v[8:9], v[0:1]
	flat_load_b64 v[10:11], v[0:1] offset:2048
	flat_load_b64 v[12:13], v[2:3]
	flat_load_b64 v[2:3], v[2:3] offset:2048
	;; [unrolled: 2-line block ×4, first 2 shown]
	v_add_co_u32 v0, vcc_lo, 0x7000, v0
	v_add_co_ci_u32_e32 v1, vcc_lo, 0, v1, vcc_lo
	s_clause 0x7
	flat_load_b64 v[24:25], v[18:19]
	flat_load_b64 v[18:19], v[18:19] offset:2048
	flat_load_b64 v[26:27], v[20:21]
	flat_load_b64 v[20:21], v[20:21] offset:2048
	;; [unrolled: 2-line block ×4, first 2 shown]
	v_and_b32_e32 v32, 0xf8, v34
	v_lshrrev_b32_e32 v34, 2, v198
	v_lshrrev_b32_e32 v35, 2, v197
	;; [unrolled: 1-line block ×14, first 2 shown]
	v_and_b32_e32 v33, 0x1f8, v33
	v_and_b32_e32 v34, 0x1f8, v34
	v_and_b32_e32 v35, 0x1f8, v35
	v_and_b32_e32 v54, 0x1f8, v54
	v_add_nc_u32_e32 v32, v32, v195
	v_and_b32_e32 v55, 0x3f8, v55
	v_and_b32_e32 v64, 0x3f8, v64
	;; [unrolled: 1-line block ×11, first 2 shown]
	v_add_nc_u32_e32 v33, v33, v195
	v_add_nc_u32_e32 v34, v34, v195
	v_add_nc_u32_e32 v35, v35, v195
	v_add_nc_u32_e32 v54, v54, v195
	v_add_nc_u32_e32 v55, v55, v195
	v_add_nc_u32_e32 v64, v64, v195
	v_add_nc_u32_e32 v65, v65, v195
	v_add_nc_u32_e32 v66, v66, v195
	v_add_nc_u32_e32 v67, v67, v195
	v_add_nc_u32_e32 v68, v68, v195
	v_add_nc_u32_e32 v69, v69, v195
	v_add_nc_u32_e32 v70, v70, v195
	v_add_nc_u32_e32 v71, v71, v195
	v_add_nc_u32_e32 v80, v80, v195
	v_add_nc_u32_e32 v81, v81, v195
	s_waitcnt vmcnt(15) lgkmcnt(15)
	ds_store_b64 v32, v[8:9]
	s_waitcnt vmcnt(14) lgkmcnt(15)
	ds_store_b64 v33, v[10:11] offset:2048
	s_waitcnt vmcnt(13) lgkmcnt(15)
	ds_store_b64 v34, v[12:13] offset:4096
	;; [unrolled: 2-line block ×15, first 2 shown]
	s_waitcnt lgkmcnt(0)
	s_waitcnt_vscnt null, 0x0
	s_barrier
                                        ; implicit-def: $vgpr34
                                        ; implicit-def: $vgpr30
.LBB8_2:
	s_and_not1_saveexec_b32 s1, s1
	s_cbranch_execz .LBB8_21
; %bb.3:
	flat_load_b64 v[16:17], v[30:31]
	v_cmp_lt_u32_e32 vcc_lo, v128, v181
	s_waitcnt vmcnt(0) lgkmcnt(0)
	v_dual_mov_b32 v26, v16 :: v_dual_mov_b32 v27, v17
	v_dual_mov_b32 v28, v16 :: v_dual_mov_b32 v29, v17
	;; [unrolled: 1-line block ×15, first 2 shown]
	s_and_saveexec_b32 s2, vcc_lo
	s_cbranch_execnz .LBB8_122
; %bb.4:
	s_or_b32 exec_lo, exec_lo, s2
	s_delay_alu instid0(SALU_CYCLE_1)
	s_mov_b32 s2, exec_lo
	v_cmpx_lt_u32_e64 v199, v181
	s_cbranch_execnz .LBB8_123
.LBB8_5:
	s_or_b32 exec_lo, exec_lo, s2
	s_delay_alu instid0(SALU_CYCLE_1)
	s_mov_b32 s2, exec_lo
	v_cmpx_lt_u32_e64 v198, v181
	s_cbranch_execnz .LBB8_124
.LBB8_6:
	s_or_b32 exec_lo, exec_lo, s2
	s_delay_alu instid0(SALU_CYCLE_1)
	s_mov_b32 s2, exec_lo
	v_cmpx_lt_u32_e64 v197, v181
	s_cbranch_execnz .LBB8_125
.LBB8_7:
	s_or_b32 exec_lo, exec_lo, s2
	s_delay_alu instid0(SALU_CYCLE_1)
	s_mov_b32 s2, exec_lo
	v_cmpx_lt_u32_e64 v196, v181
	s_cbranch_execnz .LBB8_126
.LBB8_8:
	s_or_b32 exec_lo, exec_lo, s2
	s_delay_alu instid0(SALU_CYCLE_1)
	s_mov_b32 s2, exec_lo
	v_cmpx_lt_u32_e64 v194, v181
	s_cbranch_execnz .LBB8_127
.LBB8_9:
	s_or_b32 exec_lo, exec_lo, s2
	s_delay_alu instid0(SALU_CYCLE_1)
	s_mov_b32 s2, exec_lo
	v_cmpx_lt_u32_e64 v193, v181
	s_cbranch_execnz .LBB8_128
.LBB8_10:
	s_or_b32 exec_lo, exec_lo, s2
	s_delay_alu instid0(SALU_CYCLE_1)
	s_mov_b32 s2, exec_lo
	v_cmpx_lt_u32_e64 v192, v181
	s_cbranch_execnz .LBB8_129
.LBB8_11:
	s_or_b32 exec_lo, exec_lo, s2
	s_delay_alu instid0(SALU_CYCLE_1)
	s_mov_b32 s2, exec_lo
	v_cmpx_lt_u32_e64 v183, v181
	s_cbranch_execnz .LBB8_130
.LBB8_12:
	s_or_b32 exec_lo, exec_lo, s2
	s_delay_alu instid0(SALU_CYCLE_1)
	s_mov_b32 s2, exec_lo
	v_cmpx_lt_u32_e64 v180, v181
	s_cbranch_execnz .LBB8_131
.LBB8_13:
	s_or_b32 exec_lo, exec_lo, s2
	s_delay_alu instid0(SALU_CYCLE_1)
	s_mov_b32 s2, exec_lo
	v_cmpx_lt_u32_e64 v179, v181
	s_cbranch_execnz .LBB8_132
.LBB8_14:
	s_or_b32 exec_lo, exec_lo, s2
	s_delay_alu instid0(SALU_CYCLE_1)
	s_mov_b32 s2, exec_lo
	v_cmpx_lt_u32_e64 v178, v181
	s_cbranch_execnz .LBB8_133
.LBB8_15:
	s_or_b32 exec_lo, exec_lo, s2
	s_delay_alu instid0(SALU_CYCLE_1)
	s_mov_b32 s2, exec_lo
	v_cmpx_lt_u32_e64 v177, v181
	s_cbranch_execnz .LBB8_134
.LBB8_16:
	s_or_b32 exec_lo, exec_lo, s2
	s_delay_alu instid0(SALU_CYCLE_1)
	s_mov_b32 s2, exec_lo
	v_cmpx_lt_u32_e64 v176, v181
	s_cbranch_execnz .LBB8_135
.LBB8_17:
	s_or_b32 exec_lo, exec_lo, s2
	s_delay_alu instid0(SALU_CYCLE_1)
	s_mov_b32 s2, exec_lo
	v_cmpx_lt_u32_e64 v167, v181
	s_cbranch_execnz .LBB8_136
.LBB8_18:
	s_or_b32 exec_lo, exec_lo, s2
	s_delay_alu instid0(SALU_CYCLE_1)
	s_mov_b32 s2, exec_lo
	v_cmpx_lt_u32_e64 v135, v181
	s_cbranch_execz .LBB8_20
.LBB8_19:
	v_lshlrev_b32_e32 v14, 3, v135
	s_delay_alu instid0(VALU_DEP_1)
	v_add_co_u32 v14, vcc_lo, v30, v14
	v_add_co_ci_u32_e32 v15, vcc_lo, 0, v31, vcc_lo
	flat_load_b64 v[14:15], v[14:15]
.LBB8_20:
	s_or_b32 exec_lo, exec_lo, s2
	v_lshrrev_b32_e32 v30, 2, v199
	v_lshrrev_b32_e32 v31, 2, v198
	;; [unrolled: 1-line block ×3, first 2 shown]
	v_and_b32_e32 v34, 0xf8, v34
	v_lshrrev_b32_e32 v54, 2, v196
	v_and_b32_e32 v30, 0x1f8, v30
	v_and_b32_e32 v31, 0x1f8, v31
	;; [unrolled: 1-line block ×3, first 2 shown]
	v_lshrrev_b32_e32 v55, 2, v194
	v_add_nc_u32_e32 v34, v34, v195
	v_lshrrev_b32_e32 v64, 2, v193
	v_add_nc_u32_e32 v30, v30, v195
	;; [unrolled: 2-line block ×3, first 2 shown]
	v_add_nc_u32_e32 v35, v35, v195
	v_and_b32_e32 v54, 0x1f8, v54
	v_and_b32_e32 v55, 0x3f8, v55
	s_waitcnt vmcnt(0) lgkmcnt(0)
	ds_store_b64 v34, v[32:33]
	ds_store_b64 v30, v[16:17] offset:2048
	ds_store_b64 v31, v[26:27] offset:4096
	;; [unrolled: 1-line block ×3, first 2 shown]
	v_and_b32_e32 v26, 0x3f8, v64
	v_and_b32_e32 v27, 0x3f8, v65
	v_add_nc_u32_e32 v16, v54, v195
	v_add_nc_u32_e32 v17, v55, v195
	v_lshrrev_b32_e32 v28, 2, v183
	v_add_nc_u32_e32 v26, v26, v195
	v_lshrrev_b32_e32 v29, 2, v180
	;; [unrolled: 2-line block ×3, first 2 shown]
	ds_store_b64 v16, v[18:19] offset:8192
	ds_store_b64 v17, v[20:21] offset:10240
	;; [unrolled: 1-line block ×4, first 2 shown]
	v_lshrrev_b32_e32 v19, 2, v178
	v_lshrrev_b32_e32 v20, 2, v177
	v_and_b32_e32 v28, 0x3f8, v28
	v_lshrrev_b32_e32 v21, 2, v176
	v_lshrrev_b32_e32 v22, 2, v167
	;; [unrolled: 1-line block ×3, first 2 shown]
	v_and_b32_e32 v29, 0x3f8, v29
	v_and_b32_e32 v30, 0x3f8, v30
	;; [unrolled: 1-line block ×4, first 2 shown]
	v_add_nc_u32_e32 v16, v28, v195
	v_and_b32_e32 v21, 0x7f8, v21
	v_and_b32_e32 v22, 0x7f8, v22
	;; [unrolled: 1-line block ×3, first 2 shown]
	v_add_nc_u32_e32 v17, v29, v195
	v_add_nc_u32_e32 v18, v30, v195
	;; [unrolled: 1-line block ×7, first 2 shown]
	ds_store_b64 v16, v[0:1] offset:16384
	ds_store_b64 v17, v[2:3] offset:18432
	;; [unrolled: 1-line block ×8, first 2 shown]
	s_waitcnt lgkmcnt(0)
	s_waitcnt_vscnt null, 0x0
	s_barrier
.LBB8_21:
	s_or_b32 exec_lo, exec_lo, s1
	v_lshlrev_b32_e32 v0, 4, v128
	v_lshrrev_b32_e32 v208, 1, v128
	s_waitcnt vmcnt(0) lgkmcnt(0)
	s_waitcnt_vscnt null, 0x0
	buffer_gl0_inv
	s_cmp_lg_u32 s12, 0
	v_add_lshl_u32 v4, v208, v0, 3
	ds_load_2addr_b64 v[0:3], v4 offset1:1
	ds_load_2addr_b64 v[112:115], v4 offset0:2 offset1:3
	ds_load_2addr_b64 v[100:103], v4 offset0:4 offset1:5
	;; [unrolled: 1-line block ×7, first 2 shown]
	s_waitcnt lgkmcnt(0)
	s_barrier
	buffer_gl0_inv
	v_cmp_u_f64_e64 s1, v[2:3], v[2:3]
	v_max_f64 v[54:55], v[2:3], v[2:3]
	s_cbranch_scc0 .LBB8_121
; %bb.22:
	v_max_f64 v[131:132], v[0:1], v[0:1]
	v_cmp_u_f64_e64 s17, v[0:1], v[0:1]
	s_delay_alu instid0(VALU_DEP_2) | instskip(SKIP_1) | instid1(VALU_DEP_2)
	v_min_f64 v[4:5], v[131:132], v[54:55]
	v_max_f64 v[6:7], v[131:132], v[54:55]
	v_cndmask_b32_e64 v4, v4, v0, s17
	s_delay_alu instid0(VALU_DEP_3) | instskip(NEXT) | instid1(VALU_DEP_3)
	v_cndmask_b32_e64 v5, v5, v1, s17
	v_cndmask_b32_e64 v7, v7, v1, s17
	s_delay_alu instid0(VALU_DEP_4) | instskip(NEXT) | instid1(VALU_DEP_4)
	v_cndmask_b32_e64 v6, v6, v0, s17
	v_cndmask_b32_e64 v8, v4, v2, s1
	s_delay_alu instid0(VALU_DEP_4) | instskip(NEXT) | instid1(VALU_DEP_4)
	v_cndmask_b32_e64 v9, v5, v3, s1
	v_cndmask_b32_e64 v7, v7, v3, s1
	s_delay_alu instid0(VALU_DEP_4) | instskip(SKIP_1) | instid1(VALU_DEP_4)
	v_cndmask_b32_e64 v6, v6, v2, s1
	v_dual_mov_b32 v5, v1 :: v_dual_mov_b32 v4, v0
	v_cmp_class_f64_e64 s2, v[8:9], 0x1f8
	s_delay_alu instid0(VALU_DEP_3) | instskip(NEXT) | instid1(VALU_DEP_2)
	v_cmp_neq_f64_e32 vcc_lo, v[8:9], v[6:7]
	s_or_b32 s2, vcc_lo, s2
	s_delay_alu instid0(SALU_CYCLE_1)
	s_and_saveexec_b32 s8, s2
	s_cbranch_execz .LBB8_24
; %bb.23:
	v_add_f64 v[4:5], v[8:9], -v[6:7]
	s_mov_b32 s2, 0x652b82fe
	s_mov_b32 s3, 0x3ff71547
	;; [unrolled: 1-line block ×10, first 2 shown]
	s_delay_alu instid0(VALU_DEP_1) | instskip(SKIP_3) | instid1(VALU_DEP_2)
	v_mul_f64 v[8:9], v[4:5], s[2:3]
	s_mov_b32 s2, 0xfca7ab0c
	s_mov_b32 s3, 0x3e928af3
	v_cmp_nlt_f64_e32 vcc_lo, 0x40900000, v[4:5]
	v_rndne_f64_e32 v[8:9], v[8:9]
	s_delay_alu instid0(VALU_DEP_1) | instskip(SKIP_2) | instid1(VALU_DEP_2)
	v_fma_f64 v[10:11], v[8:9], s[4:5], v[4:5]
	v_cvt_i32_f64_e32 v14, v[8:9]
	s_mov_b32 s5, 0x3fe62e42
	v_fma_f64 v[10:11], v[8:9], s[6:7], v[10:11]
	s_mov_b32 s7, 0x3c7abc9e
	s_delay_alu instid0(VALU_DEP_1) | instskip(SKIP_4) | instid1(VALU_DEP_1)
	v_fma_f64 v[12:13], v[10:11], s[10:11], s[2:3]
	s_mov_b32 s2, 0x623fde64
	s_mov_b32 s3, 0x3ec71dee
	;; [unrolled: 1-line block ×4, first 2 shown]
	v_fma_f64 v[12:13], v[10:11], v[12:13], s[2:3]
	s_mov_b32 s2, 0x7c89e6b0
	s_mov_b32 s3, 0x3efa0199
	s_delay_alu instid0(VALU_DEP_1) | instid1(SALU_CYCLE_1)
	v_fma_f64 v[12:13], v[10:11], v[12:13], s[2:3]
	s_mov_b32 s2, 0x14761f6e
	s_mov_b32 s3, 0x3f2a01a0
	s_delay_alu instid0(VALU_DEP_1) | instid1(SALU_CYCLE_1)
	;; [unrolled: 4-line block ×7, first 2 shown]
	v_fma_f64 v[12:13], v[10:11], v[12:13], s[2:3]
	v_cmp_ngt_f64_e64 s2, 0xc090cc00, v[4:5]
	s_mov_b32 s3, 0x3fe55555
	s_delay_alu instid0(VALU_DEP_2) | instskip(NEXT) | instid1(VALU_DEP_1)
	v_fma_f64 v[12:13], v[10:11], v[12:13], 1.0
	v_fma_f64 v[8:9], v[10:11], v[12:13], 1.0
	s_delay_alu instid0(VALU_DEP_1) | instskip(NEXT) | instid1(VALU_DEP_1)
	v_ldexp_f64 v[8:9], v[8:9], v14
	v_cndmask_b32_e32 v9, 0x7ff00000, v9, vcc_lo
	s_and_b32 vcc_lo, s2, vcc_lo
	s_delay_alu instid0(VALU_DEP_1) | instskip(NEXT) | instid1(VALU_DEP_3)
	v_cndmask_b32_e64 v5, 0, v9, s2
	v_cndmask_b32_e32 v4, 0, v8, vcc_lo
	s_mov_b32 s2, 0x55555555
	s_delay_alu instid0(VALU_DEP_1) | instskip(NEXT) | instid1(VALU_DEP_1)
	v_add_f64 v[8:9], v[4:5], 1.0
	v_frexp_mant_f64_e32 v[10:11], v[8:9]
	v_frexp_exp_i32_f64_e32 v14, v[8:9]
	v_add_f64 v[12:13], v[8:9], -1.0
	s_delay_alu instid0(VALU_DEP_3) | instskip(SKIP_1) | instid1(VALU_DEP_2)
	v_cmp_gt_f64_e32 vcc_lo, s[2:3], v[10:11]
	s_mov_b32 s2, 0x55555780
	v_add_f64 v[10:11], v[12:13], -v[8:9]
	v_add_f64 v[12:13], v[4:5], -v[12:13]
	v_subrev_co_ci_u32_e32 v30, vcc_lo, 0, v14, vcc_lo
	s_delay_alu instid0(VALU_DEP_3) | instskip(SKIP_1) | instid1(VALU_DEP_3)
	v_add_f64 v[10:11], v[10:11], 1.0
	v_cmp_eq_f64_e32 vcc_lo, 0x7ff00000, v[4:5]
	v_sub_nc_u32_e32 v16, 0, v30
	s_delay_alu instid0(VALU_DEP_1) | instskip(NEXT) | instid1(VALU_DEP_4)
	v_ldexp_f64 v[8:9], v[8:9], v16
	v_add_f64 v[10:11], v[12:13], v[10:11]
	s_delay_alu instid0(VALU_DEP_2) | instskip(SKIP_1) | instid1(VALU_DEP_3)
	v_add_f64 v[14:15], v[8:9], 1.0
	v_add_f64 v[20:21], v[8:9], -1.0
	v_ldexp_f64 v[10:11], v[10:11], v16
	s_delay_alu instid0(VALU_DEP_3) | instskip(NEXT) | instid1(VALU_DEP_3)
	v_add_f64 v[12:13], v[14:15], -1.0
	v_add_f64 v[22:23], v[20:21], 1.0
	s_delay_alu instid0(VALU_DEP_2) | instskip(NEXT) | instid1(VALU_DEP_2)
	v_add_f64 v[12:13], v[8:9], -v[12:13]
	v_add_f64 v[8:9], v[8:9], -v[22:23]
	s_delay_alu instid0(VALU_DEP_2) | instskip(NEXT) | instid1(VALU_DEP_2)
	v_add_f64 v[12:13], v[10:11], v[12:13]
	v_add_f64 v[8:9], v[10:11], v[8:9]
	s_delay_alu instid0(VALU_DEP_2) | instskip(NEXT) | instid1(VALU_DEP_2)
	v_add_f64 v[16:17], v[14:15], v[12:13]
	v_add_f64 v[22:23], v[20:21], v[8:9]
	s_delay_alu instid0(VALU_DEP_2) | instskip(SKIP_1) | instid1(VALU_DEP_2)
	v_rcp_f64_e32 v[18:19], v[16:17]
	v_add_f64 v[14:15], v[16:17], -v[14:15]
	v_add_f64 v[20:21], v[22:23], -v[20:21]
	s_delay_alu instid0(VALU_DEP_2) | instskip(SKIP_3) | instid1(VALU_DEP_2)
	v_add_f64 v[12:13], v[12:13], -v[14:15]
	s_waitcnt_depctr 0xfff
	v_fma_f64 v[24:25], -v[16:17], v[18:19], 1.0
	v_add_f64 v[8:9], v[8:9], -v[20:21]
	v_fma_f64 v[18:19], v[24:25], v[18:19], v[18:19]
	s_delay_alu instid0(VALU_DEP_1) | instskip(NEXT) | instid1(VALU_DEP_1)
	v_fma_f64 v[10:11], -v[16:17], v[18:19], 1.0
	v_fma_f64 v[10:11], v[10:11], v[18:19], v[18:19]
	s_delay_alu instid0(VALU_DEP_1) | instskip(NEXT) | instid1(VALU_DEP_1)
	v_mul_f64 v[18:19], v[22:23], v[10:11]
	v_mul_f64 v[24:25], v[16:17], v[18:19]
	s_delay_alu instid0(VALU_DEP_1) | instskip(NEXT) | instid1(VALU_DEP_1)
	v_fma_f64 v[14:15], v[18:19], v[16:17], -v[24:25]
	v_fma_f64 v[14:15], v[18:19], v[12:13], v[14:15]
	s_delay_alu instid0(VALU_DEP_1) | instskip(NEXT) | instid1(VALU_DEP_1)
	v_add_f64 v[26:27], v[24:25], v[14:15]
	v_add_f64 v[28:29], v[22:23], -v[26:27]
	v_add_f64 v[20:21], v[26:27], -v[24:25]
	s_delay_alu instid0(VALU_DEP_2) | instskip(NEXT) | instid1(VALU_DEP_2)
	v_add_f64 v[22:23], v[22:23], -v[28:29]
	v_add_f64 v[14:15], v[20:21], -v[14:15]
	s_delay_alu instid0(VALU_DEP_2) | instskip(NEXT) | instid1(VALU_DEP_1)
	v_add_f64 v[22:23], v[22:23], -v[26:27]
	v_add_f64 v[8:9], v[8:9], v[22:23]
	s_delay_alu instid0(VALU_DEP_1) | instskip(NEXT) | instid1(VALU_DEP_1)
	v_add_f64 v[8:9], v[14:15], v[8:9]
	v_add_f64 v[14:15], v[28:29], v[8:9]
	s_delay_alu instid0(VALU_DEP_1) | instskip(SKIP_1) | instid1(VALU_DEP_2)
	v_mul_f64 v[20:21], v[10:11], v[14:15]
	v_add_f64 v[26:27], v[28:29], -v[14:15]
	v_mul_f64 v[22:23], v[16:17], v[20:21]
	s_delay_alu instid0(VALU_DEP_2) | instskip(NEXT) | instid1(VALU_DEP_2)
	v_add_f64 v[8:9], v[8:9], v[26:27]
	v_fma_f64 v[16:17], v[20:21], v[16:17], -v[22:23]
	s_delay_alu instid0(VALU_DEP_1) | instskip(NEXT) | instid1(VALU_DEP_1)
	v_fma_f64 v[12:13], v[20:21], v[12:13], v[16:17]
	v_add_f64 v[16:17], v[22:23], v[12:13]
	s_delay_alu instid0(VALU_DEP_1) | instskip(SKIP_1) | instid1(VALU_DEP_2)
	v_add_f64 v[24:25], v[14:15], -v[16:17]
	v_add_f64 v[22:23], v[16:17], -v[22:23]
	;; [unrolled: 1-line block ×3, first 2 shown]
	s_delay_alu instid0(VALU_DEP_2) | instskip(NEXT) | instid1(VALU_DEP_2)
	v_add_f64 v[12:13], v[22:23], -v[12:13]
	v_add_f64 v[14:15], v[14:15], -v[16:17]
	s_delay_alu instid0(VALU_DEP_1) | instskip(SKIP_1) | instid1(VALU_DEP_2)
	v_add_f64 v[8:9], v[8:9], v[14:15]
	v_add_f64 v[14:15], v[18:19], v[20:21]
	;; [unrolled: 1-line block ×3, first 2 shown]
	s_delay_alu instid0(VALU_DEP_2) | instskip(NEXT) | instid1(VALU_DEP_2)
	v_add_f64 v[12:13], v[14:15], -v[18:19]
	v_add_f64 v[8:9], v[24:25], v[8:9]
	s_delay_alu instid0(VALU_DEP_2) | instskip(NEXT) | instid1(VALU_DEP_2)
	v_add_f64 v[12:13], v[20:21], -v[12:13]
	v_mul_f64 v[8:9], v[10:11], v[8:9]
	s_delay_alu instid0(VALU_DEP_1) | instskip(NEXT) | instid1(VALU_DEP_1)
	v_add_f64 v[8:9], v[12:13], v[8:9]
	v_add_f64 v[10:11], v[14:15], v[8:9]
	s_delay_alu instid0(VALU_DEP_1) | instskip(NEXT) | instid1(VALU_DEP_1)
	v_mul_f64 v[12:13], v[10:11], v[10:11]
	v_fma_f64 v[16:17], v[12:13], s[14:15], s[10:11]
	s_mov_b32 s10, 0xd7f4df2e
	s_mov_b32 s11, 0x3fc7474d
	v_mul_f64 v[18:19], v[10:11], v[12:13]
	s_delay_alu instid0(VALU_DEP_2)
	v_fma_f64 v[16:17], v[12:13], v[16:17], s[10:11]
	s_mov_b32 s10, 0x16291751
	s_mov_b32 s11, 0x3fcc71c0
	s_delay_alu instid0(VALU_DEP_1) | instid1(SALU_CYCLE_1)
	v_fma_f64 v[16:17], v[12:13], v[16:17], s[10:11]
	s_mov_b32 s10, 0x9b27acf1
	s_mov_b32 s11, 0x3fd24924
	s_delay_alu instid0(VALU_DEP_1) | instid1(SALU_CYCLE_1)
	;; [unrolled: 4-line block ×3, first 2 shown]
	v_fma_f64 v[16:17], v[12:13], v[16:17], s[10:11]
	s_delay_alu instid0(VALU_DEP_1) | instskip(SKIP_2) | instid1(VALU_DEP_3)
	v_fma_f64 v[12:13], v[12:13], v[16:17], s[2:3]
	v_ldexp_f64 v[16:17], v[10:11], 1
	v_add_f64 v[10:11], v[10:11], -v[14:15]
	v_mul_f64 v[12:13], v[18:19], v[12:13]
	v_cvt_f64_i32_e32 v[18:19], v30
	s_delay_alu instid0(VALU_DEP_3) | instskip(NEXT) | instid1(VALU_DEP_3)
	v_add_f64 v[8:9], v[8:9], -v[10:11]
	v_add_f64 v[14:15], v[16:17], v[12:13]
	s_delay_alu instid0(VALU_DEP_3) | instskip(NEXT) | instid1(VALU_DEP_3)
	v_mul_f64 v[20:21], v[18:19], s[4:5]
	v_ldexp_f64 v[8:9], v[8:9], 1
	s_delay_alu instid0(VALU_DEP_3) | instskip(NEXT) | instid1(VALU_DEP_3)
	v_add_f64 v[10:11], v[14:15], -v[16:17]
	v_fma_f64 v[16:17], v[18:19], s[4:5], -v[20:21]
	s_delay_alu instid0(VALU_DEP_2) | instskip(NEXT) | instid1(VALU_DEP_2)
	v_add_f64 v[10:11], v[12:13], -v[10:11]
	v_fma_f64 v[12:13], v[18:19], s[6:7], v[16:17]
	s_delay_alu instid0(VALU_DEP_2) | instskip(NEXT) | instid1(VALU_DEP_2)
	v_add_f64 v[8:9], v[8:9], v[10:11]
	v_add_f64 v[10:11], v[20:21], v[12:13]
	s_delay_alu instid0(VALU_DEP_2) | instskip(NEXT) | instid1(VALU_DEP_2)
	v_add_f64 v[16:17], v[14:15], v[8:9]
	v_add_f64 v[20:21], v[10:11], -v[20:21]
	s_delay_alu instid0(VALU_DEP_2) | instskip(SKIP_1) | instid1(VALU_DEP_3)
	v_add_f64 v[18:19], v[10:11], v[16:17]
	v_add_f64 v[14:15], v[16:17], -v[14:15]
	v_add_f64 v[12:13], v[12:13], -v[20:21]
	s_delay_alu instid0(VALU_DEP_3) | instskip(NEXT) | instid1(VALU_DEP_3)
	v_add_f64 v[22:23], v[18:19], -v[10:11]
	v_add_f64 v[8:9], v[8:9], -v[14:15]
	s_delay_alu instid0(VALU_DEP_2) | instskip(SKIP_1) | instid1(VALU_DEP_3)
	v_add_f64 v[24:25], v[18:19], -v[22:23]
	v_add_f64 v[14:15], v[16:17], -v[22:23]
	v_add_f64 v[16:17], v[12:13], v[8:9]
	s_delay_alu instid0(VALU_DEP_3) | instskip(NEXT) | instid1(VALU_DEP_1)
	v_add_f64 v[10:11], v[10:11], -v[24:25]
	v_add_f64 v[10:11], v[14:15], v[10:11]
	s_delay_alu instid0(VALU_DEP_3) | instskip(NEXT) | instid1(VALU_DEP_2)
	v_add_f64 v[14:15], v[16:17], -v[12:13]
	v_add_f64 v[10:11], v[16:17], v[10:11]
	s_delay_alu instid0(VALU_DEP_2) | instskip(SKIP_1) | instid1(VALU_DEP_3)
	v_add_f64 v[16:17], v[16:17], -v[14:15]
	v_add_f64 v[8:9], v[8:9], -v[14:15]
	v_add_f64 v[20:21], v[18:19], v[10:11]
	s_delay_alu instid0(VALU_DEP_3) | instskip(NEXT) | instid1(VALU_DEP_2)
	v_add_f64 v[12:13], v[12:13], -v[16:17]
	v_add_f64 v[14:15], v[20:21], -v[18:19]
	s_delay_alu instid0(VALU_DEP_2) | instskip(NEXT) | instid1(VALU_DEP_2)
	v_add_f64 v[8:9], v[8:9], v[12:13]
	v_add_f64 v[10:11], v[10:11], -v[14:15]
	s_delay_alu instid0(VALU_DEP_1) | instskip(NEXT) | instid1(VALU_DEP_1)
	v_add_f64 v[8:9], v[8:9], v[10:11]
	v_add_f64 v[8:9], v[20:21], v[8:9]
	s_delay_alu instid0(VALU_DEP_1) | instskip(SKIP_1) | instid1(VALU_DEP_2)
	v_dual_cndmask_b32 v9, v9, v5 :: v_dual_cndmask_b32 v8, v8, v4
	v_cmp_ngt_f64_e32 vcc_lo, -1.0, v[4:5]
	v_cndmask_b32_e32 v9, 0x7ff80000, v9, vcc_lo
	v_cmp_nge_f64_e32 vcc_lo, -1.0, v[4:5]
	s_delay_alu instid0(VALU_DEP_4) | instskip(SKIP_1) | instid1(VALU_DEP_4)
	v_cndmask_b32_e32 v8, 0, v8, vcc_lo
	v_cmp_neq_f64_e32 vcc_lo, -1.0, v[4:5]
	v_cndmask_b32_e32 v9, 0xfff00000, v9, vcc_lo
	s_delay_alu instid0(VALU_DEP_1)
	v_add_f64 v[4:5], v[6:7], v[8:9]
.LBB8_24:
	s_or_b32 exec_lo, exec_lo, s8
	v_max_f64 v[10:11], v[112:113], v[112:113]
	s_delay_alu instid0(VALU_DEP_2) | instskip(SKIP_2) | instid1(VALU_DEP_3)
	v_max_f64 v[6:7], v[4:5], v[4:5]
	v_cmp_u_f64_e32 vcc_lo, v[4:5], v[4:5]
	v_cmp_u_f64_e64 s2, v[112:113], v[112:113]
	v_min_f64 v[8:9], v[6:7], v[10:11]
	v_max_f64 v[6:7], v[6:7], v[10:11]
	s_delay_alu instid0(VALU_DEP_2) | instskip(NEXT) | instid1(VALU_DEP_2)
	v_dual_cndmask_b32 v8, v8, v4 :: v_dual_cndmask_b32 v9, v9, v5
	v_dual_cndmask_b32 v7, v7, v5 :: v_dual_cndmask_b32 v6, v6, v4
	s_delay_alu instid0(VALU_DEP_2) | instskip(NEXT) | instid1(VALU_DEP_3)
	v_cndmask_b32_e64 v8, v8, v112, s2
	v_cndmask_b32_e64 v9, v9, v113, s2
	s_delay_alu instid0(VALU_DEP_3) | instskip(NEXT) | instid1(VALU_DEP_4)
	v_cndmask_b32_e64 v7, v7, v113, s2
	v_cndmask_b32_e64 v6, v6, v112, s2
	s_delay_alu instid0(VALU_DEP_3) | instskip(NEXT) | instid1(VALU_DEP_2)
	v_cmp_class_f64_e64 s3, v[8:9], 0x1f8
	v_cmp_neq_f64_e32 vcc_lo, v[8:9], v[6:7]
	s_delay_alu instid0(VALU_DEP_2) | instskip(NEXT) | instid1(SALU_CYCLE_1)
	s_or_b32 s3, vcc_lo, s3
	s_and_saveexec_b32 s10, s3
	s_cbranch_execz .LBB8_26
; %bb.25:
	v_add_f64 v[4:5], v[8:9], -v[6:7]
	s_mov_b32 s4, 0x652b82fe
	s_mov_b32 s5, 0x3ff71547
	;; [unrolled: 1-line block ×10, first 2 shown]
	s_delay_alu instid0(VALU_DEP_1) | instskip(SKIP_4) | instid1(VALU_DEP_3)
	v_mul_f64 v[8:9], v[4:5], s[4:5]
	s_mov_b32 s5, 0xbfe62e42
	s_mov_b32 s4, 0xfefa39ef
	v_cmp_nlt_f64_e32 vcc_lo, 0x40900000, v[4:5]
	v_cmp_ngt_f64_e64 s3, 0xc090cc00, v[4:5]
	v_rndne_f64_e32 v[8:9], v[8:9]
	s_delay_alu instid0(VALU_DEP_1) | instskip(SKIP_2) | instid1(VALU_DEP_2)
	v_fma_f64 v[12:13], v[8:9], s[4:5], v[4:5]
	v_cvt_i32_f64_e32 v16, v[8:9]
	s_mov_b32 s5, 0x3fe62e42
	v_fma_f64 v[12:13], v[8:9], s[6:7], v[12:13]
	s_mov_b32 s7, 0x3c7abc9e
	s_delay_alu instid0(VALU_DEP_1) | instskip(SKIP_4) | instid1(VALU_DEP_1)
	v_fma_f64 v[14:15], v[12:13], s[14:15], s[8:9]
	s_mov_b32 s8, 0x623fde64
	s_mov_b32 s9, 0x3ec71dee
	;; [unrolled: 1-line block ×4, first 2 shown]
	v_fma_f64 v[14:15], v[12:13], v[14:15], s[8:9]
	s_mov_b32 s8, 0x7c89e6b0
	s_mov_b32 s9, 0x3efa0199
	s_delay_alu instid0(VALU_DEP_1) | instid1(SALU_CYCLE_1)
	v_fma_f64 v[14:15], v[12:13], v[14:15], s[8:9]
	s_mov_b32 s8, 0x14761f6e
	s_mov_b32 s9, 0x3f2a01a0
	s_delay_alu instid0(VALU_DEP_1) | instid1(SALU_CYCLE_1)
	;; [unrolled: 4-line block ×7, first 2 shown]
	v_fma_f64 v[14:15], v[12:13], v[14:15], s[8:9]
	s_mov_b32 s9, 0x3fe55555
	s_mov_b32 s8, 0x55555555
	s_delay_alu instid0(VALU_DEP_1) | instskip(NEXT) | instid1(VALU_DEP_1)
	v_fma_f64 v[14:15], v[12:13], v[14:15], 1.0
	v_fma_f64 v[8:9], v[12:13], v[14:15], 1.0
	s_delay_alu instid0(VALU_DEP_1) | instskip(NEXT) | instid1(VALU_DEP_1)
	v_ldexp_f64 v[8:9], v[8:9], v16
	v_cndmask_b32_e32 v9, 0x7ff00000, v9, vcc_lo
	s_and_b32 vcc_lo, s3, vcc_lo
	s_delay_alu instid0(VALU_DEP_1) | instskip(NEXT) | instid1(VALU_DEP_3)
	v_cndmask_b32_e64 v5, 0, v9, s3
	v_cndmask_b32_e32 v4, 0, v8, vcc_lo
	s_delay_alu instid0(VALU_DEP_1) | instskip(NEXT) | instid1(VALU_DEP_1)
	v_add_f64 v[8:9], v[4:5], 1.0
	v_frexp_mant_f64_e32 v[12:13], v[8:9]
	v_frexp_exp_i32_f64_e32 v16, v[8:9]
	v_add_f64 v[14:15], v[8:9], -1.0
	s_delay_alu instid0(VALU_DEP_3) | instskip(SKIP_1) | instid1(VALU_DEP_2)
	v_cmp_gt_f64_e32 vcc_lo, s[8:9], v[12:13]
	s_mov_b32 s8, 0x55555780
	v_add_f64 v[12:13], v[14:15], -v[8:9]
	v_add_f64 v[14:15], v[4:5], -v[14:15]
	v_subrev_co_ci_u32_e32 v32, vcc_lo, 0, v16, vcc_lo
	s_delay_alu instid0(VALU_DEP_3) | instskip(SKIP_1) | instid1(VALU_DEP_3)
	v_add_f64 v[12:13], v[12:13], 1.0
	v_cmp_eq_f64_e32 vcc_lo, 0x7ff00000, v[4:5]
	v_sub_nc_u32_e32 v18, 0, v32
	s_delay_alu instid0(VALU_DEP_1) | instskip(NEXT) | instid1(VALU_DEP_4)
	v_ldexp_f64 v[8:9], v[8:9], v18
	v_add_f64 v[12:13], v[14:15], v[12:13]
	s_delay_alu instid0(VALU_DEP_2) | instskip(SKIP_1) | instid1(VALU_DEP_3)
	v_add_f64 v[16:17], v[8:9], 1.0
	v_add_f64 v[22:23], v[8:9], -1.0
	v_ldexp_f64 v[12:13], v[12:13], v18
	s_delay_alu instid0(VALU_DEP_3) | instskip(NEXT) | instid1(VALU_DEP_3)
	v_add_f64 v[14:15], v[16:17], -1.0
	v_add_f64 v[24:25], v[22:23], 1.0
	s_delay_alu instid0(VALU_DEP_2) | instskip(NEXT) | instid1(VALU_DEP_2)
	v_add_f64 v[14:15], v[8:9], -v[14:15]
	v_add_f64 v[8:9], v[8:9], -v[24:25]
	s_delay_alu instid0(VALU_DEP_2) | instskip(NEXT) | instid1(VALU_DEP_2)
	v_add_f64 v[14:15], v[12:13], v[14:15]
	v_add_f64 v[8:9], v[12:13], v[8:9]
	s_delay_alu instid0(VALU_DEP_2) | instskip(NEXT) | instid1(VALU_DEP_2)
	v_add_f64 v[18:19], v[16:17], v[14:15]
	v_add_f64 v[24:25], v[22:23], v[8:9]
	s_delay_alu instid0(VALU_DEP_2) | instskip(SKIP_1) | instid1(VALU_DEP_2)
	v_rcp_f64_e32 v[20:21], v[18:19]
	v_add_f64 v[16:17], v[18:19], -v[16:17]
	v_add_f64 v[22:23], v[24:25], -v[22:23]
	s_delay_alu instid0(VALU_DEP_2) | instskip(SKIP_3) | instid1(VALU_DEP_2)
	v_add_f64 v[14:15], v[14:15], -v[16:17]
	s_waitcnt_depctr 0xfff
	v_fma_f64 v[26:27], -v[18:19], v[20:21], 1.0
	v_add_f64 v[8:9], v[8:9], -v[22:23]
	v_fma_f64 v[20:21], v[26:27], v[20:21], v[20:21]
	s_delay_alu instid0(VALU_DEP_1) | instskip(NEXT) | instid1(VALU_DEP_1)
	v_fma_f64 v[12:13], -v[18:19], v[20:21], 1.0
	v_fma_f64 v[12:13], v[12:13], v[20:21], v[20:21]
	s_delay_alu instid0(VALU_DEP_1) | instskip(NEXT) | instid1(VALU_DEP_1)
	v_mul_f64 v[20:21], v[24:25], v[12:13]
	v_mul_f64 v[26:27], v[18:19], v[20:21]
	s_delay_alu instid0(VALU_DEP_1) | instskip(NEXT) | instid1(VALU_DEP_1)
	v_fma_f64 v[16:17], v[20:21], v[18:19], -v[26:27]
	v_fma_f64 v[16:17], v[20:21], v[14:15], v[16:17]
	s_delay_alu instid0(VALU_DEP_1) | instskip(NEXT) | instid1(VALU_DEP_1)
	v_add_f64 v[28:29], v[26:27], v[16:17]
	v_add_f64 v[30:31], v[24:25], -v[28:29]
	v_add_f64 v[22:23], v[28:29], -v[26:27]
	s_delay_alu instid0(VALU_DEP_2) | instskip(NEXT) | instid1(VALU_DEP_2)
	v_add_f64 v[24:25], v[24:25], -v[30:31]
	v_add_f64 v[16:17], v[22:23], -v[16:17]
	s_delay_alu instid0(VALU_DEP_2) | instskip(NEXT) | instid1(VALU_DEP_1)
	v_add_f64 v[24:25], v[24:25], -v[28:29]
	v_add_f64 v[8:9], v[8:9], v[24:25]
	s_delay_alu instid0(VALU_DEP_1) | instskip(NEXT) | instid1(VALU_DEP_1)
	v_add_f64 v[8:9], v[16:17], v[8:9]
	v_add_f64 v[16:17], v[30:31], v[8:9]
	s_delay_alu instid0(VALU_DEP_1) | instskip(SKIP_1) | instid1(VALU_DEP_2)
	v_mul_f64 v[22:23], v[12:13], v[16:17]
	v_add_f64 v[28:29], v[30:31], -v[16:17]
	v_mul_f64 v[24:25], v[18:19], v[22:23]
	s_delay_alu instid0(VALU_DEP_2) | instskip(NEXT) | instid1(VALU_DEP_2)
	v_add_f64 v[8:9], v[8:9], v[28:29]
	v_fma_f64 v[18:19], v[22:23], v[18:19], -v[24:25]
	s_delay_alu instid0(VALU_DEP_1) | instskip(NEXT) | instid1(VALU_DEP_1)
	v_fma_f64 v[14:15], v[22:23], v[14:15], v[18:19]
	v_add_f64 v[18:19], v[24:25], v[14:15]
	s_delay_alu instid0(VALU_DEP_1) | instskip(SKIP_1) | instid1(VALU_DEP_2)
	v_add_f64 v[26:27], v[16:17], -v[18:19]
	v_add_f64 v[24:25], v[18:19], -v[24:25]
	v_add_f64 v[16:17], v[16:17], -v[26:27]
	s_delay_alu instid0(VALU_DEP_2) | instskip(NEXT) | instid1(VALU_DEP_2)
	v_add_f64 v[14:15], v[24:25], -v[14:15]
	v_add_f64 v[16:17], v[16:17], -v[18:19]
	s_delay_alu instid0(VALU_DEP_1) | instskip(SKIP_1) | instid1(VALU_DEP_2)
	v_add_f64 v[8:9], v[8:9], v[16:17]
	v_add_f64 v[16:17], v[20:21], v[22:23]
	;; [unrolled: 1-line block ×3, first 2 shown]
	s_delay_alu instid0(VALU_DEP_2) | instskip(NEXT) | instid1(VALU_DEP_2)
	v_add_f64 v[14:15], v[16:17], -v[20:21]
	v_add_f64 v[8:9], v[26:27], v[8:9]
	s_delay_alu instid0(VALU_DEP_2) | instskip(NEXT) | instid1(VALU_DEP_2)
	v_add_f64 v[14:15], v[22:23], -v[14:15]
	v_mul_f64 v[8:9], v[12:13], v[8:9]
	s_delay_alu instid0(VALU_DEP_1) | instskip(NEXT) | instid1(VALU_DEP_1)
	v_add_f64 v[8:9], v[14:15], v[8:9]
	v_add_f64 v[12:13], v[16:17], v[8:9]
	s_delay_alu instid0(VALU_DEP_1) | instskip(NEXT) | instid1(VALU_DEP_1)
	v_mul_f64 v[14:15], v[12:13], v[12:13]
	v_fma_f64 v[18:19], v[14:15], s[18:19], s[14:15]
	s_mov_b32 s14, 0xd7f4df2e
	s_mov_b32 s15, 0x3fc7474d
	v_mul_f64 v[20:21], v[12:13], v[14:15]
	s_delay_alu instid0(VALU_DEP_2)
	v_fma_f64 v[18:19], v[14:15], v[18:19], s[14:15]
	s_mov_b32 s14, 0x16291751
	s_mov_b32 s15, 0x3fcc71c0
	s_delay_alu instid0(VALU_DEP_1) | instid1(SALU_CYCLE_1)
	v_fma_f64 v[18:19], v[14:15], v[18:19], s[14:15]
	s_mov_b32 s14, 0x9b27acf1
	s_mov_b32 s15, 0x3fd24924
	s_delay_alu instid0(VALU_DEP_1) | instid1(SALU_CYCLE_1)
	;; [unrolled: 4-line block ×3, first 2 shown]
	v_fma_f64 v[18:19], v[14:15], v[18:19], s[14:15]
	s_delay_alu instid0(VALU_DEP_1) | instskip(SKIP_2) | instid1(VALU_DEP_3)
	v_fma_f64 v[14:15], v[14:15], v[18:19], s[8:9]
	v_ldexp_f64 v[18:19], v[12:13], 1
	v_add_f64 v[12:13], v[12:13], -v[16:17]
	v_mul_f64 v[14:15], v[20:21], v[14:15]
	v_cvt_f64_i32_e32 v[20:21], v32
	s_delay_alu instid0(VALU_DEP_3) | instskip(NEXT) | instid1(VALU_DEP_3)
	v_add_f64 v[8:9], v[8:9], -v[12:13]
	v_add_f64 v[16:17], v[18:19], v[14:15]
	s_delay_alu instid0(VALU_DEP_3) | instskip(NEXT) | instid1(VALU_DEP_3)
	v_mul_f64 v[22:23], v[20:21], s[4:5]
	v_ldexp_f64 v[8:9], v[8:9], 1
	s_delay_alu instid0(VALU_DEP_3) | instskip(NEXT) | instid1(VALU_DEP_3)
	v_add_f64 v[12:13], v[16:17], -v[18:19]
	v_fma_f64 v[18:19], v[20:21], s[4:5], -v[22:23]
	s_delay_alu instid0(VALU_DEP_2) | instskip(NEXT) | instid1(VALU_DEP_2)
	v_add_f64 v[12:13], v[14:15], -v[12:13]
	v_fma_f64 v[14:15], v[20:21], s[6:7], v[18:19]
	s_delay_alu instid0(VALU_DEP_2) | instskip(NEXT) | instid1(VALU_DEP_2)
	v_add_f64 v[8:9], v[8:9], v[12:13]
	v_add_f64 v[12:13], v[22:23], v[14:15]
	s_delay_alu instid0(VALU_DEP_2) | instskip(NEXT) | instid1(VALU_DEP_2)
	v_add_f64 v[18:19], v[16:17], v[8:9]
	v_add_f64 v[22:23], v[12:13], -v[22:23]
	s_delay_alu instid0(VALU_DEP_2) | instskip(SKIP_1) | instid1(VALU_DEP_3)
	v_add_f64 v[20:21], v[12:13], v[18:19]
	v_add_f64 v[16:17], v[18:19], -v[16:17]
	v_add_f64 v[14:15], v[14:15], -v[22:23]
	s_delay_alu instid0(VALU_DEP_3) | instskip(NEXT) | instid1(VALU_DEP_3)
	v_add_f64 v[24:25], v[20:21], -v[12:13]
	v_add_f64 v[8:9], v[8:9], -v[16:17]
	s_delay_alu instid0(VALU_DEP_2) | instskip(SKIP_1) | instid1(VALU_DEP_3)
	v_add_f64 v[26:27], v[20:21], -v[24:25]
	v_add_f64 v[16:17], v[18:19], -v[24:25]
	v_add_f64 v[18:19], v[14:15], v[8:9]
	s_delay_alu instid0(VALU_DEP_3) | instskip(NEXT) | instid1(VALU_DEP_1)
	v_add_f64 v[12:13], v[12:13], -v[26:27]
	v_add_f64 v[12:13], v[16:17], v[12:13]
	s_delay_alu instid0(VALU_DEP_3) | instskip(NEXT) | instid1(VALU_DEP_2)
	v_add_f64 v[16:17], v[18:19], -v[14:15]
	v_add_f64 v[12:13], v[18:19], v[12:13]
	s_delay_alu instid0(VALU_DEP_2) | instskip(SKIP_1) | instid1(VALU_DEP_3)
	v_add_f64 v[18:19], v[18:19], -v[16:17]
	v_add_f64 v[8:9], v[8:9], -v[16:17]
	v_add_f64 v[22:23], v[20:21], v[12:13]
	s_delay_alu instid0(VALU_DEP_3) | instskip(NEXT) | instid1(VALU_DEP_2)
	v_add_f64 v[14:15], v[14:15], -v[18:19]
	v_add_f64 v[16:17], v[22:23], -v[20:21]
	s_delay_alu instid0(VALU_DEP_2) | instskip(NEXT) | instid1(VALU_DEP_2)
	v_add_f64 v[8:9], v[8:9], v[14:15]
	v_add_f64 v[12:13], v[12:13], -v[16:17]
	s_delay_alu instid0(VALU_DEP_1) | instskip(NEXT) | instid1(VALU_DEP_1)
	v_add_f64 v[8:9], v[8:9], v[12:13]
	v_add_f64 v[8:9], v[22:23], v[8:9]
	s_delay_alu instid0(VALU_DEP_1) | instskip(SKIP_1) | instid1(VALU_DEP_2)
	v_dual_cndmask_b32 v9, v9, v5 :: v_dual_cndmask_b32 v8, v8, v4
	v_cmp_ngt_f64_e32 vcc_lo, -1.0, v[4:5]
	v_cndmask_b32_e32 v9, 0x7ff80000, v9, vcc_lo
	v_cmp_nge_f64_e32 vcc_lo, -1.0, v[4:5]
	s_delay_alu instid0(VALU_DEP_4) | instskip(SKIP_1) | instid1(VALU_DEP_4)
	v_cndmask_b32_e32 v8, 0, v8, vcc_lo
	v_cmp_neq_f64_e32 vcc_lo, -1.0, v[4:5]
	v_cndmask_b32_e32 v9, 0xfff00000, v9, vcc_lo
	s_delay_alu instid0(VALU_DEP_1)
	v_add_f64 v[4:5], v[6:7], v[8:9]
.LBB8_26:
	s_or_b32 exec_lo, exec_lo, s10
	v_max_f64 v[12:13], v[114:115], v[114:115]
	s_delay_alu instid0(VALU_DEP_2) | instskip(SKIP_2) | instid1(VALU_DEP_3)
	v_max_f64 v[6:7], v[4:5], v[4:5]
	v_cmp_u_f64_e32 vcc_lo, v[4:5], v[4:5]
	v_cmp_u_f64_e64 s3, v[114:115], v[114:115]
	v_min_f64 v[8:9], v[6:7], v[12:13]
	v_max_f64 v[6:7], v[6:7], v[12:13]
	s_delay_alu instid0(VALU_DEP_2) | instskip(NEXT) | instid1(VALU_DEP_2)
	v_dual_cndmask_b32 v8, v8, v4 :: v_dual_cndmask_b32 v9, v9, v5
	v_dual_cndmask_b32 v7, v7, v5 :: v_dual_cndmask_b32 v6, v6, v4
	s_delay_alu instid0(VALU_DEP_2) | instskip(NEXT) | instid1(VALU_DEP_3)
	v_cndmask_b32_e64 v8, v8, v114, s3
	v_cndmask_b32_e64 v9, v9, v115, s3
	s_delay_alu instid0(VALU_DEP_3) | instskip(NEXT) | instid1(VALU_DEP_4)
	v_cndmask_b32_e64 v7, v7, v115, s3
	v_cndmask_b32_e64 v6, v6, v114, s3
	s_delay_alu instid0(VALU_DEP_3) | instskip(NEXT) | instid1(VALU_DEP_2)
	v_cmp_class_f64_e64 s4, v[8:9], 0x1f8
	v_cmp_neq_f64_e32 vcc_lo, v[8:9], v[6:7]
	s_delay_alu instid0(VALU_DEP_2) | instskip(NEXT) | instid1(SALU_CYCLE_1)
	s_or_b32 s4, vcc_lo, s4
	s_and_saveexec_b32 s10, s4
	s_cbranch_execz .LBB8_28
; %bb.27:
	v_add_f64 v[4:5], v[8:9], -v[6:7]
	s_mov_b32 s4, 0x652b82fe
	s_mov_b32 s5, 0x3ff71547
	;; [unrolled: 1-line block ×10, first 2 shown]
	s_delay_alu instid0(VALU_DEP_1) | instskip(SKIP_3) | instid1(VALU_DEP_2)
	v_mul_f64 v[8:9], v[4:5], s[4:5]
	s_mov_b32 s4, 0xfca7ab0c
	s_mov_b32 s5, 0x3e928af3
	v_cmp_nlt_f64_e32 vcc_lo, 0x40900000, v[4:5]
	v_rndne_f64_e32 v[8:9], v[8:9]
	s_delay_alu instid0(VALU_DEP_1) | instskip(SKIP_2) | instid1(VALU_DEP_2)
	v_fma_f64 v[14:15], v[8:9], s[6:7], v[4:5]
	v_cvt_i32_f64_e32 v18, v[8:9]
	s_mov_b32 s7, 0x3fe62e42
	v_fma_f64 v[14:15], v[8:9], s[8:9], v[14:15]
	s_mov_b32 s9, 0x3c7abc9e
	s_delay_alu instid0(VALU_DEP_1) | instskip(SKIP_4) | instid1(VALU_DEP_1)
	v_fma_f64 v[16:17], v[14:15], s[14:15], s[4:5]
	s_mov_b32 s4, 0x623fde64
	s_mov_b32 s5, 0x3ec71dee
	;; [unrolled: 1-line block ×4, first 2 shown]
	v_fma_f64 v[16:17], v[14:15], v[16:17], s[4:5]
	s_mov_b32 s4, 0x7c89e6b0
	s_mov_b32 s5, 0x3efa0199
	s_delay_alu instid0(VALU_DEP_1) | instid1(SALU_CYCLE_1)
	v_fma_f64 v[16:17], v[14:15], v[16:17], s[4:5]
	s_mov_b32 s4, 0x14761f6e
	s_mov_b32 s5, 0x3f2a01a0
	s_delay_alu instid0(VALU_DEP_1) | instid1(SALU_CYCLE_1)
	;; [unrolled: 4-line block ×7, first 2 shown]
	v_fma_f64 v[16:17], v[14:15], v[16:17], s[4:5]
	v_cmp_ngt_f64_e64 s4, 0xc090cc00, v[4:5]
	s_mov_b32 s5, 0x3fe55555
	s_delay_alu instid0(VALU_DEP_2) | instskip(NEXT) | instid1(VALU_DEP_1)
	v_fma_f64 v[16:17], v[14:15], v[16:17], 1.0
	v_fma_f64 v[8:9], v[14:15], v[16:17], 1.0
	s_delay_alu instid0(VALU_DEP_1) | instskip(NEXT) | instid1(VALU_DEP_1)
	v_ldexp_f64 v[8:9], v[8:9], v18
	v_cndmask_b32_e32 v9, 0x7ff00000, v9, vcc_lo
	s_and_b32 vcc_lo, s4, vcc_lo
	s_delay_alu instid0(VALU_DEP_1) | instskip(NEXT) | instid1(VALU_DEP_3)
	v_cndmask_b32_e64 v5, 0, v9, s4
	v_cndmask_b32_e32 v4, 0, v8, vcc_lo
	s_mov_b32 s4, 0x55555555
	s_delay_alu instid0(VALU_DEP_1) | instskip(NEXT) | instid1(VALU_DEP_1)
	v_add_f64 v[8:9], v[4:5], 1.0
	v_frexp_mant_f64_e32 v[14:15], v[8:9]
	v_frexp_exp_i32_f64_e32 v18, v[8:9]
	v_add_f64 v[16:17], v[8:9], -1.0
	s_delay_alu instid0(VALU_DEP_3) | instskip(SKIP_1) | instid1(VALU_DEP_2)
	v_cmp_gt_f64_e32 vcc_lo, s[4:5], v[14:15]
	s_mov_b32 s4, 0x55555780
	v_add_f64 v[14:15], v[16:17], -v[8:9]
	v_add_f64 v[16:17], v[4:5], -v[16:17]
	v_subrev_co_ci_u32_e32 v34, vcc_lo, 0, v18, vcc_lo
	s_delay_alu instid0(VALU_DEP_3) | instskip(SKIP_1) | instid1(VALU_DEP_3)
	v_add_f64 v[14:15], v[14:15], 1.0
	v_cmp_eq_f64_e32 vcc_lo, 0x7ff00000, v[4:5]
	v_sub_nc_u32_e32 v20, 0, v34
	s_delay_alu instid0(VALU_DEP_1) | instskip(NEXT) | instid1(VALU_DEP_4)
	v_ldexp_f64 v[8:9], v[8:9], v20
	v_add_f64 v[14:15], v[16:17], v[14:15]
	s_delay_alu instid0(VALU_DEP_2) | instskip(SKIP_1) | instid1(VALU_DEP_3)
	v_add_f64 v[18:19], v[8:9], 1.0
	v_add_f64 v[24:25], v[8:9], -1.0
	v_ldexp_f64 v[14:15], v[14:15], v20
	s_delay_alu instid0(VALU_DEP_3) | instskip(NEXT) | instid1(VALU_DEP_3)
	v_add_f64 v[16:17], v[18:19], -1.0
	v_add_f64 v[26:27], v[24:25], 1.0
	s_delay_alu instid0(VALU_DEP_2) | instskip(NEXT) | instid1(VALU_DEP_2)
	v_add_f64 v[16:17], v[8:9], -v[16:17]
	v_add_f64 v[8:9], v[8:9], -v[26:27]
	s_delay_alu instid0(VALU_DEP_2) | instskip(NEXT) | instid1(VALU_DEP_2)
	v_add_f64 v[16:17], v[14:15], v[16:17]
	v_add_f64 v[8:9], v[14:15], v[8:9]
	s_delay_alu instid0(VALU_DEP_2) | instskip(NEXT) | instid1(VALU_DEP_2)
	v_add_f64 v[20:21], v[18:19], v[16:17]
	v_add_f64 v[26:27], v[24:25], v[8:9]
	s_delay_alu instid0(VALU_DEP_2) | instskip(SKIP_1) | instid1(VALU_DEP_2)
	v_rcp_f64_e32 v[22:23], v[20:21]
	v_add_f64 v[18:19], v[20:21], -v[18:19]
	v_add_f64 v[24:25], v[26:27], -v[24:25]
	s_delay_alu instid0(VALU_DEP_2) | instskip(SKIP_3) | instid1(VALU_DEP_2)
	v_add_f64 v[16:17], v[16:17], -v[18:19]
	s_waitcnt_depctr 0xfff
	v_fma_f64 v[28:29], -v[20:21], v[22:23], 1.0
	v_add_f64 v[8:9], v[8:9], -v[24:25]
	v_fma_f64 v[22:23], v[28:29], v[22:23], v[22:23]
	s_delay_alu instid0(VALU_DEP_1) | instskip(NEXT) | instid1(VALU_DEP_1)
	v_fma_f64 v[14:15], -v[20:21], v[22:23], 1.0
	v_fma_f64 v[14:15], v[14:15], v[22:23], v[22:23]
	s_delay_alu instid0(VALU_DEP_1) | instskip(NEXT) | instid1(VALU_DEP_1)
	v_mul_f64 v[22:23], v[26:27], v[14:15]
	v_mul_f64 v[28:29], v[20:21], v[22:23]
	s_delay_alu instid0(VALU_DEP_1) | instskip(NEXT) | instid1(VALU_DEP_1)
	v_fma_f64 v[18:19], v[22:23], v[20:21], -v[28:29]
	v_fma_f64 v[18:19], v[22:23], v[16:17], v[18:19]
	s_delay_alu instid0(VALU_DEP_1) | instskip(NEXT) | instid1(VALU_DEP_1)
	v_add_f64 v[30:31], v[28:29], v[18:19]
	v_add_f64 v[32:33], v[26:27], -v[30:31]
	v_add_f64 v[24:25], v[30:31], -v[28:29]
	s_delay_alu instid0(VALU_DEP_2) | instskip(NEXT) | instid1(VALU_DEP_2)
	v_add_f64 v[26:27], v[26:27], -v[32:33]
	v_add_f64 v[18:19], v[24:25], -v[18:19]
	s_delay_alu instid0(VALU_DEP_2) | instskip(NEXT) | instid1(VALU_DEP_1)
	v_add_f64 v[26:27], v[26:27], -v[30:31]
	v_add_f64 v[8:9], v[8:9], v[26:27]
	s_delay_alu instid0(VALU_DEP_1) | instskip(NEXT) | instid1(VALU_DEP_1)
	v_add_f64 v[8:9], v[18:19], v[8:9]
	v_add_f64 v[18:19], v[32:33], v[8:9]
	s_delay_alu instid0(VALU_DEP_1) | instskip(SKIP_1) | instid1(VALU_DEP_2)
	v_mul_f64 v[24:25], v[14:15], v[18:19]
	v_add_f64 v[30:31], v[32:33], -v[18:19]
	v_mul_f64 v[26:27], v[20:21], v[24:25]
	s_delay_alu instid0(VALU_DEP_2) | instskip(NEXT) | instid1(VALU_DEP_2)
	v_add_f64 v[8:9], v[8:9], v[30:31]
	v_fma_f64 v[20:21], v[24:25], v[20:21], -v[26:27]
	s_delay_alu instid0(VALU_DEP_1) | instskip(NEXT) | instid1(VALU_DEP_1)
	v_fma_f64 v[16:17], v[24:25], v[16:17], v[20:21]
	v_add_f64 v[20:21], v[26:27], v[16:17]
	s_delay_alu instid0(VALU_DEP_1) | instskip(SKIP_1) | instid1(VALU_DEP_2)
	v_add_f64 v[28:29], v[18:19], -v[20:21]
	v_add_f64 v[26:27], v[20:21], -v[26:27]
	;; [unrolled: 1-line block ×3, first 2 shown]
	s_delay_alu instid0(VALU_DEP_2) | instskip(NEXT) | instid1(VALU_DEP_2)
	v_add_f64 v[16:17], v[26:27], -v[16:17]
	v_add_f64 v[18:19], v[18:19], -v[20:21]
	s_delay_alu instid0(VALU_DEP_1) | instskip(SKIP_1) | instid1(VALU_DEP_2)
	v_add_f64 v[8:9], v[8:9], v[18:19]
	v_add_f64 v[18:19], v[22:23], v[24:25]
	;; [unrolled: 1-line block ×3, first 2 shown]
	s_delay_alu instid0(VALU_DEP_2) | instskip(NEXT) | instid1(VALU_DEP_2)
	v_add_f64 v[16:17], v[18:19], -v[22:23]
	v_add_f64 v[8:9], v[28:29], v[8:9]
	s_delay_alu instid0(VALU_DEP_2) | instskip(NEXT) | instid1(VALU_DEP_2)
	v_add_f64 v[16:17], v[24:25], -v[16:17]
	v_mul_f64 v[8:9], v[14:15], v[8:9]
	s_delay_alu instid0(VALU_DEP_1) | instskip(NEXT) | instid1(VALU_DEP_1)
	v_add_f64 v[8:9], v[16:17], v[8:9]
	v_add_f64 v[14:15], v[18:19], v[8:9]
	s_delay_alu instid0(VALU_DEP_1) | instskip(NEXT) | instid1(VALU_DEP_1)
	v_mul_f64 v[16:17], v[14:15], v[14:15]
	v_fma_f64 v[20:21], v[16:17], s[18:19], s[14:15]
	s_mov_b32 s14, 0xd7f4df2e
	s_mov_b32 s15, 0x3fc7474d
	v_mul_f64 v[22:23], v[14:15], v[16:17]
	s_delay_alu instid0(VALU_DEP_2)
	v_fma_f64 v[20:21], v[16:17], v[20:21], s[14:15]
	s_mov_b32 s14, 0x16291751
	s_mov_b32 s15, 0x3fcc71c0
	s_delay_alu instid0(VALU_DEP_1) | instid1(SALU_CYCLE_1)
	v_fma_f64 v[20:21], v[16:17], v[20:21], s[14:15]
	s_mov_b32 s14, 0x9b27acf1
	s_mov_b32 s15, 0x3fd24924
	s_delay_alu instid0(VALU_DEP_1) | instid1(SALU_CYCLE_1)
	;; [unrolled: 4-line block ×3, first 2 shown]
	v_fma_f64 v[20:21], v[16:17], v[20:21], s[14:15]
	s_delay_alu instid0(VALU_DEP_1) | instskip(SKIP_2) | instid1(VALU_DEP_3)
	v_fma_f64 v[16:17], v[16:17], v[20:21], s[4:5]
	v_ldexp_f64 v[20:21], v[14:15], 1
	v_add_f64 v[14:15], v[14:15], -v[18:19]
	v_mul_f64 v[16:17], v[22:23], v[16:17]
	v_cvt_f64_i32_e32 v[22:23], v34
	s_delay_alu instid0(VALU_DEP_3) | instskip(NEXT) | instid1(VALU_DEP_3)
	v_add_f64 v[8:9], v[8:9], -v[14:15]
	v_add_f64 v[18:19], v[20:21], v[16:17]
	s_delay_alu instid0(VALU_DEP_3) | instskip(NEXT) | instid1(VALU_DEP_3)
	v_mul_f64 v[24:25], v[22:23], s[6:7]
	v_ldexp_f64 v[8:9], v[8:9], 1
	s_delay_alu instid0(VALU_DEP_3) | instskip(NEXT) | instid1(VALU_DEP_3)
	v_add_f64 v[14:15], v[18:19], -v[20:21]
	v_fma_f64 v[20:21], v[22:23], s[6:7], -v[24:25]
	s_delay_alu instid0(VALU_DEP_2) | instskip(NEXT) | instid1(VALU_DEP_2)
	v_add_f64 v[14:15], v[16:17], -v[14:15]
	v_fma_f64 v[16:17], v[22:23], s[8:9], v[20:21]
	s_delay_alu instid0(VALU_DEP_2) | instskip(NEXT) | instid1(VALU_DEP_2)
	v_add_f64 v[8:9], v[8:9], v[14:15]
	v_add_f64 v[14:15], v[24:25], v[16:17]
	s_delay_alu instid0(VALU_DEP_2) | instskip(NEXT) | instid1(VALU_DEP_2)
	v_add_f64 v[20:21], v[18:19], v[8:9]
	v_add_f64 v[24:25], v[14:15], -v[24:25]
	s_delay_alu instid0(VALU_DEP_2) | instskip(SKIP_1) | instid1(VALU_DEP_3)
	v_add_f64 v[22:23], v[14:15], v[20:21]
	v_add_f64 v[18:19], v[20:21], -v[18:19]
	v_add_f64 v[16:17], v[16:17], -v[24:25]
	s_delay_alu instid0(VALU_DEP_3) | instskip(NEXT) | instid1(VALU_DEP_3)
	v_add_f64 v[26:27], v[22:23], -v[14:15]
	v_add_f64 v[8:9], v[8:9], -v[18:19]
	s_delay_alu instid0(VALU_DEP_2) | instskip(SKIP_1) | instid1(VALU_DEP_3)
	v_add_f64 v[28:29], v[22:23], -v[26:27]
	v_add_f64 v[18:19], v[20:21], -v[26:27]
	v_add_f64 v[20:21], v[16:17], v[8:9]
	s_delay_alu instid0(VALU_DEP_3) | instskip(NEXT) | instid1(VALU_DEP_1)
	v_add_f64 v[14:15], v[14:15], -v[28:29]
	v_add_f64 v[14:15], v[18:19], v[14:15]
	s_delay_alu instid0(VALU_DEP_3) | instskip(NEXT) | instid1(VALU_DEP_2)
	v_add_f64 v[18:19], v[20:21], -v[16:17]
	v_add_f64 v[14:15], v[20:21], v[14:15]
	s_delay_alu instid0(VALU_DEP_2) | instskip(SKIP_1) | instid1(VALU_DEP_3)
	v_add_f64 v[20:21], v[20:21], -v[18:19]
	v_add_f64 v[8:9], v[8:9], -v[18:19]
	v_add_f64 v[24:25], v[22:23], v[14:15]
	s_delay_alu instid0(VALU_DEP_3) | instskip(NEXT) | instid1(VALU_DEP_2)
	v_add_f64 v[16:17], v[16:17], -v[20:21]
	v_add_f64 v[18:19], v[24:25], -v[22:23]
	s_delay_alu instid0(VALU_DEP_2) | instskip(NEXT) | instid1(VALU_DEP_2)
	v_add_f64 v[8:9], v[8:9], v[16:17]
	v_add_f64 v[14:15], v[14:15], -v[18:19]
	s_delay_alu instid0(VALU_DEP_1) | instskip(NEXT) | instid1(VALU_DEP_1)
	v_add_f64 v[8:9], v[8:9], v[14:15]
	v_add_f64 v[8:9], v[24:25], v[8:9]
	s_delay_alu instid0(VALU_DEP_1) | instskip(SKIP_1) | instid1(VALU_DEP_2)
	v_dual_cndmask_b32 v9, v9, v5 :: v_dual_cndmask_b32 v8, v8, v4
	v_cmp_ngt_f64_e32 vcc_lo, -1.0, v[4:5]
	v_cndmask_b32_e32 v9, 0x7ff80000, v9, vcc_lo
	v_cmp_nge_f64_e32 vcc_lo, -1.0, v[4:5]
	s_delay_alu instid0(VALU_DEP_4) | instskip(SKIP_1) | instid1(VALU_DEP_4)
	v_cndmask_b32_e32 v8, 0, v8, vcc_lo
	v_cmp_neq_f64_e32 vcc_lo, -1.0, v[4:5]
	v_cndmask_b32_e32 v9, 0xfff00000, v9, vcc_lo
	s_delay_alu instid0(VALU_DEP_1)
	v_add_f64 v[4:5], v[6:7], v[8:9]
.LBB8_28:
	s_or_b32 exec_lo, exec_lo, s10
	v_max_f64 v[14:15], v[100:101], v[100:101]
	s_delay_alu instid0(VALU_DEP_2) | instskip(SKIP_2) | instid1(VALU_DEP_3)
	v_max_f64 v[6:7], v[4:5], v[4:5]
	v_cmp_u_f64_e32 vcc_lo, v[4:5], v[4:5]
	v_cmp_u_f64_e64 s4, v[100:101], v[100:101]
	v_min_f64 v[8:9], v[6:7], v[14:15]
	v_max_f64 v[6:7], v[6:7], v[14:15]
	s_delay_alu instid0(VALU_DEP_2) | instskip(NEXT) | instid1(VALU_DEP_2)
	v_dual_cndmask_b32 v8, v8, v4 :: v_dual_cndmask_b32 v9, v9, v5
	v_dual_cndmask_b32 v7, v7, v5 :: v_dual_cndmask_b32 v6, v6, v4
	s_delay_alu instid0(VALU_DEP_2) | instskip(NEXT) | instid1(VALU_DEP_3)
	v_cndmask_b32_e64 v8, v8, v100, s4
	v_cndmask_b32_e64 v9, v9, v101, s4
	s_delay_alu instid0(VALU_DEP_3) | instskip(NEXT) | instid1(VALU_DEP_4)
	v_cndmask_b32_e64 v7, v7, v101, s4
	v_cndmask_b32_e64 v6, v6, v100, s4
	s_delay_alu instid0(VALU_DEP_3) | instskip(NEXT) | instid1(VALU_DEP_2)
	v_cmp_class_f64_e64 s5, v[8:9], 0x1f8
	v_cmp_neq_f64_e32 vcc_lo, v[8:9], v[6:7]
	s_delay_alu instid0(VALU_DEP_2) | instskip(NEXT) | instid1(SALU_CYCLE_1)
	s_or_b32 s5, vcc_lo, s5
	s_and_saveexec_b32 s13, s5
	s_cbranch_execz .LBB8_30
; %bb.29:
	v_add_f64 v[4:5], v[8:9], -v[6:7]
	s_mov_b32 s6, 0x652b82fe
	s_mov_b32 s7, 0x3ff71547
	s_mov_b32 s9, 0xbc7abc9e
	s_mov_b32 s8, 0x3b39803f
	s_mov_b32 s10, 0xfca7ab0c
	s_mov_b32 s14, 0x6a5dcb37
	s_mov_b32 s11, 0x3e928af3
	s_mov_b32 s15, 0x3e5ade15
	s_mov_b32 s18, 0xbf559e2b
	s_mov_b32 s19, 0x3fc3ab76
	s_delay_alu instid0(VALU_DEP_1) | instskip(SKIP_4) | instid1(VALU_DEP_3)
	v_mul_f64 v[8:9], v[4:5], s[6:7]
	s_mov_b32 s7, 0xbfe62e42
	s_mov_b32 s6, 0xfefa39ef
	v_cmp_nlt_f64_e32 vcc_lo, 0x40900000, v[4:5]
	v_cmp_ngt_f64_e64 s5, 0xc090cc00, v[4:5]
	v_rndne_f64_e32 v[8:9], v[8:9]
	s_delay_alu instid0(VALU_DEP_1) | instskip(SKIP_2) | instid1(VALU_DEP_2)
	v_fma_f64 v[16:17], v[8:9], s[6:7], v[4:5]
	v_cvt_i32_f64_e32 v20, v[8:9]
	s_mov_b32 s7, 0x3fe62e42
	v_fma_f64 v[16:17], v[8:9], s[8:9], v[16:17]
	s_mov_b32 s9, 0x3c7abc9e
	s_delay_alu instid0(VALU_DEP_1) | instskip(SKIP_4) | instid1(VALU_DEP_1)
	v_fma_f64 v[18:19], v[16:17], s[14:15], s[10:11]
	s_mov_b32 s10, 0x623fde64
	s_mov_b32 s11, 0x3ec71dee
	;; [unrolled: 1-line block ×4, first 2 shown]
	v_fma_f64 v[18:19], v[16:17], v[18:19], s[10:11]
	s_mov_b32 s10, 0x7c89e6b0
	s_mov_b32 s11, 0x3efa0199
	s_delay_alu instid0(VALU_DEP_1) | instid1(SALU_CYCLE_1)
	v_fma_f64 v[18:19], v[16:17], v[18:19], s[10:11]
	s_mov_b32 s10, 0x14761f6e
	s_mov_b32 s11, 0x3f2a01a0
	s_delay_alu instid0(VALU_DEP_1) | instid1(SALU_CYCLE_1)
	;; [unrolled: 4-line block ×7, first 2 shown]
	v_fma_f64 v[18:19], v[16:17], v[18:19], s[10:11]
	s_mov_b32 s11, 0x3fe55555
	s_mov_b32 s10, 0x55555555
	s_delay_alu instid0(VALU_DEP_1) | instskip(NEXT) | instid1(VALU_DEP_1)
	v_fma_f64 v[18:19], v[16:17], v[18:19], 1.0
	v_fma_f64 v[8:9], v[16:17], v[18:19], 1.0
	s_delay_alu instid0(VALU_DEP_1) | instskip(NEXT) | instid1(VALU_DEP_1)
	v_ldexp_f64 v[8:9], v[8:9], v20
	v_cndmask_b32_e32 v9, 0x7ff00000, v9, vcc_lo
	s_and_b32 vcc_lo, s5, vcc_lo
	s_delay_alu instid0(VALU_DEP_1) | instskip(NEXT) | instid1(VALU_DEP_3)
	v_cndmask_b32_e64 v5, 0, v9, s5
	v_cndmask_b32_e32 v4, 0, v8, vcc_lo
	s_delay_alu instid0(VALU_DEP_1) | instskip(NEXT) | instid1(VALU_DEP_1)
	v_add_f64 v[8:9], v[4:5], 1.0
	v_frexp_mant_f64_e32 v[16:17], v[8:9]
	v_frexp_exp_i32_f64_e32 v20, v[8:9]
	v_add_f64 v[18:19], v[8:9], -1.0
	s_delay_alu instid0(VALU_DEP_3) | instskip(SKIP_1) | instid1(VALU_DEP_2)
	v_cmp_gt_f64_e32 vcc_lo, s[10:11], v[16:17]
	s_mov_b32 s10, 0x55555780
	v_add_f64 v[16:17], v[18:19], -v[8:9]
	v_add_f64 v[18:19], v[4:5], -v[18:19]
	v_subrev_co_ci_u32_e32 v129, vcc_lo, 0, v20, vcc_lo
	s_delay_alu instid0(VALU_DEP_3) | instskip(SKIP_1) | instid1(VALU_DEP_3)
	v_add_f64 v[16:17], v[16:17], 1.0
	v_cmp_eq_f64_e32 vcc_lo, 0x7ff00000, v[4:5]
	v_sub_nc_u32_e32 v22, 0, v129
	s_delay_alu instid0(VALU_DEP_1) | instskip(NEXT) | instid1(VALU_DEP_4)
	v_ldexp_f64 v[8:9], v[8:9], v22
	v_add_f64 v[16:17], v[18:19], v[16:17]
	s_delay_alu instid0(VALU_DEP_2) | instskip(SKIP_1) | instid1(VALU_DEP_3)
	v_add_f64 v[20:21], v[8:9], 1.0
	v_add_f64 v[26:27], v[8:9], -1.0
	v_ldexp_f64 v[16:17], v[16:17], v22
	s_delay_alu instid0(VALU_DEP_3) | instskip(NEXT) | instid1(VALU_DEP_3)
	v_add_f64 v[18:19], v[20:21], -1.0
	v_add_f64 v[28:29], v[26:27], 1.0
	s_delay_alu instid0(VALU_DEP_2) | instskip(NEXT) | instid1(VALU_DEP_2)
	v_add_f64 v[18:19], v[8:9], -v[18:19]
	v_add_f64 v[8:9], v[8:9], -v[28:29]
	s_delay_alu instid0(VALU_DEP_2) | instskip(NEXT) | instid1(VALU_DEP_2)
	v_add_f64 v[18:19], v[16:17], v[18:19]
	v_add_f64 v[8:9], v[16:17], v[8:9]
	s_delay_alu instid0(VALU_DEP_2) | instskip(NEXT) | instid1(VALU_DEP_2)
	v_add_f64 v[22:23], v[20:21], v[18:19]
	v_add_f64 v[28:29], v[26:27], v[8:9]
	s_delay_alu instid0(VALU_DEP_2) | instskip(SKIP_1) | instid1(VALU_DEP_2)
	v_rcp_f64_e32 v[24:25], v[22:23]
	v_add_f64 v[20:21], v[22:23], -v[20:21]
	v_add_f64 v[26:27], v[28:29], -v[26:27]
	s_delay_alu instid0(VALU_DEP_2) | instskip(SKIP_3) | instid1(VALU_DEP_2)
	v_add_f64 v[18:19], v[18:19], -v[20:21]
	s_waitcnt_depctr 0xfff
	v_fma_f64 v[30:31], -v[22:23], v[24:25], 1.0
	v_add_f64 v[8:9], v[8:9], -v[26:27]
	v_fma_f64 v[24:25], v[30:31], v[24:25], v[24:25]
	s_delay_alu instid0(VALU_DEP_1) | instskip(NEXT) | instid1(VALU_DEP_1)
	v_fma_f64 v[16:17], -v[22:23], v[24:25], 1.0
	v_fma_f64 v[16:17], v[16:17], v[24:25], v[24:25]
	s_delay_alu instid0(VALU_DEP_1) | instskip(NEXT) | instid1(VALU_DEP_1)
	v_mul_f64 v[24:25], v[28:29], v[16:17]
	v_mul_f64 v[30:31], v[22:23], v[24:25]
	s_delay_alu instid0(VALU_DEP_1) | instskip(NEXT) | instid1(VALU_DEP_1)
	v_fma_f64 v[20:21], v[24:25], v[22:23], -v[30:31]
	v_fma_f64 v[20:21], v[24:25], v[18:19], v[20:21]
	s_delay_alu instid0(VALU_DEP_1) | instskip(NEXT) | instid1(VALU_DEP_1)
	v_add_f64 v[32:33], v[30:31], v[20:21]
	v_add_f64 v[34:35], v[28:29], -v[32:33]
	v_add_f64 v[26:27], v[32:33], -v[30:31]
	s_delay_alu instid0(VALU_DEP_2) | instskip(NEXT) | instid1(VALU_DEP_2)
	v_add_f64 v[28:29], v[28:29], -v[34:35]
	v_add_f64 v[20:21], v[26:27], -v[20:21]
	s_delay_alu instid0(VALU_DEP_2) | instskip(NEXT) | instid1(VALU_DEP_1)
	v_add_f64 v[28:29], v[28:29], -v[32:33]
	v_add_f64 v[8:9], v[8:9], v[28:29]
	s_delay_alu instid0(VALU_DEP_1) | instskip(NEXT) | instid1(VALU_DEP_1)
	v_add_f64 v[8:9], v[20:21], v[8:9]
	v_add_f64 v[20:21], v[34:35], v[8:9]
	s_delay_alu instid0(VALU_DEP_1) | instskip(SKIP_1) | instid1(VALU_DEP_2)
	v_mul_f64 v[26:27], v[16:17], v[20:21]
	v_add_f64 v[32:33], v[34:35], -v[20:21]
	v_mul_f64 v[28:29], v[22:23], v[26:27]
	s_delay_alu instid0(VALU_DEP_2) | instskip(NEXT) | instid1(VALU_DEP_2)
	v_add_f64 v[8:9], v[8:9], v[32:33]
	v_fma_f64 v[22:23], v[26:27], v[22:23], -v[28:29]
	s_delay_alu instid0(VALU_DEP_1) | instskip(NEXT) | instid1(VALU_DEP_1)
	v_fma_f64 v[18:19], v[26:27], v[18:19], v[22:23]
	v_add_f64 v[22:23], v[28:29], v[18:19]
	s_delay_alu instid0(VALU_DEP_1) | instskip(SKIP_1) | instid1(VALU_DEP_2)
	v_add_f64 v[30:31], v[20:21], -v[22:23]
	v_add_f64 v[28:29], v[22:23], -v[28:29]
	;; [unrolled: 1-line block ×3, first 2 shown]
	s_delay_alu instid0(VALU_DEP_2) | instskip(NEXT) | instid1(VALU_DEP_2)
	v_add_f64 v[18:19], v[28:29], -v[18:19]
	v_add_f64 v[20:21], v[20:21], -v[22:23]
	s_delay_alu instid0(VALU_DEP_1) | instskip(SKIP_1) | instid1(VALU_DEP_2)
	v_add_f64 v[8:9], v[8:9], v[20:21]
	v_add_f64 v[20:21], v[24:25], v[26:27]
	;; [unrolled: 1-line block ×3, first 2 shown]
	s_delay_alu instid0(VALU_DEP_2) | instskip(NEXT) | instid1(VALU_DEP_2)
	v_add_f64 v[18:19], v[20:21], -v[24:25]
	v_add_f64 v[8:9], v[30:31], v[8:9]
	s_delay_alu instid0(VALU_DEP_2) | instskip(NEXT) | instid1(VALU_DEP_2)
	v_add_f64 v[18:19], v[26:27], -v[18:19]
	v_mul_f64 v[8:9], v[16:17], v[8:9]
	s_delay_alu instid0(VALU_DEP_1) | instskip(NEXT) | instid1(VALU_DEP_1)
	v_add_f64 v[8:9], v[18:19], v[8:9]
	v_add_f64 v[16:17], v[20:21], v[8:9]
	s_delay_alu instid0(VALU_DEP_1) | instskip(NEXT) | instid1(VALU_DEP_1)
	v_mul_f64 v[18:19], v[16:17], v[16:17]
	v_fma_f64 v[22:23], v[18:19], s[18:19], s[14:15]
	s_mov_b32 s14, 0xd7f4df2e
	s_mov_b32 s15, 0x3fc7474d
	v_mul_f64 v[24:25], v[16:17], v[18:19]
	s_delay_alu instid0(VALU_DEP_2)
	v_fma_f64 v[22:23], v[18:19], v[22:23], s[14:15]
	s_mov_b32 s14, 0x16291751
	s_mov_b32 s15, 0x3fcc71c0
	s_delay_alu instid0(VALU_DEP_1) | instid1(SALU_CYCLE_1)
	v_fma_f64 v[22:23], v[18:19], v[22:23], s[14:15]
	s_mov_b32 s14, 0x9b27acf1
	s_mov_b32 s15, 0x3fd24924
	s_delay_alu instid0(VALU_DEP_1) | instid1(SALU_CYCLE_1)
	;; [unrolled: 4-line block ×3, first 2 shown]
	v_fma_f64 v[22:23], v[18:19], v[22:23], s[14:15]
	s_delay_alu instid0(VALU_DEP_1) | instskip(SKIP_2) | instid1(VALU_DEP_3)
	v_fma_f64 v[18:19], v[18:19], v[22:23], s[10:11]
	v_ldexp_f64 v[22:23], v[16:17], 1
	v_add_f64 v[16:17], v[16:17], -v[20:21]
	v_mul_f64 v[18:19], v[24:25], v[18:19]
	v_cvt_f64_i32_e32 v[24:25], v129
	s_delay_alu instid0(VALU_DEP_3) | instskip(NEXT) | instid1(VALU_DEP_3)
	v_add_f64 v[8:9], v[8:9], -v[16:17]
	v_add_f64 v[20:21], v[22:23], v[18:19]
	s_delay_alu instid0(VALU_DEP_3) | instskip(NEXT) | instid1(VALU_DEP_3)
	v_mul_f64 v[26:27], v[24:25], s[6:7]
	v_ldexp_f64 v[8:9], v[8:9], 1
	s_delay_alu instid0(VALU_DEP_3) | instskip(NEXT) | instid1(VALU_DEP_3)
	v_add_f64 v[16:17], v[20:21], -v[22:23]
	v_fma_f64 v[22:23], v[24:25], s[6:7], -v[26:27]
	s_delay_alu instid0(VALU_DEP_2) | instskip(NEXT) | instid1(VALU_DEP_2)
	v_add_f64 v[16:17], v[18:19], -v[16:17]
	v_fma_f64 v[18:19], v[24:25], s[8:9], v[22:23]
	s_delay_alu instid0(VALU_DEP_2) | instskip(NEXT) | instid1(VALU_DEP_2)
	v_add_f64 v[8:9], v[8:9], v[16:17]
	v_add_f64 v[16:17], v[26:27], v[18:19]
	s_delay_alu instid0(VALU_DEP_2) | instskip(NEXT) | instid1(VALU_DEP_2)
	v_add_f64 v[22:23], v[20:21], v[8:9]
	v_add_f64 v[26:27], v[16:17], -v[26:27]
	s_delay_alu instid0(VALU_DEP_2) | instskip(SKIP_1) | instid1(VALU_DEP_3)
	v_add_f64 v[24:25], v[16:17], v[22:23]
	v_add_f64 v[20:21], v[22:23], -v[20:21]
	v_add_f64 v[18:19], v[18:19], -v[26:27]
	s_delay_alu instid0(VALU_DEP_3) | instskip(NEXT) | instid1(VALU_DEP_3)
	v_add_f64 v[28:29], v[24:25], -v[16:17]
	v_add_f64 v[8:9], v[8:9], -v[20:21]
	s_delay_alu instid0(VALU_DEP_2) | instskip(SKIP_1) | instid1(VALU_DEP_3)
	v_add_f64 v[30:31], v[24:25], -v[28:29]
	v_add_f64 v[20:21], v[22:23], -v[28:29]
	v_add_f64 v[22:23], v[18:19], v[8:9]
	s_delay_alu instid0(VALU_DEP_3) | instskip(NEXT) | instid1(VALU_DEP_1)
	v_add_f64 v[16:17], v[16:17], -v[30:31]
	v_add_f64 v[16:17], v[20:21], v[16:17]
	s_delay_alu instid0(VALU_DEP_3) | instskip(NEXT) | instid1(VALU_DEP_2)
	v_add_f64 v[20:21], v[22:23], -v[18:19]
	v_add_f64 v[16:17], v[22:23], v[16:17]
	s_delay_alu instid0(VALU_DEP_2) | instskip(SKIP_1) | instid1(VALU_DEP_3)
	v_add_f64 v[22:23], v[22:23], -v[20:21]
	v_add_f64 v[8:9], v[8:9], -v[20:21]
	v_add_f64 v[26:27], v[24:25], v[16:17]
	s_delay_alu instid0(VALU_DEP_3) | instskip(NEXT) | instid1(VALU_DEP_2)
	v_add_f64 v[18:19], v[18:19], -v[22:23]
	v_add_f64 v[20:21], v[26:27], -v[24:25]
	s_delay_alu instid0(VALU_DEP_2) | instskip(NEXT) | instid1(VALU_DEP_2)
	v_add_f64 v[8:9], v[8:9], v[18:19]
	v_add_f64 v[16:17], v[16:17], -v[20:21]
	s_delay_alu instid0(VALU_DEP_1) | instskip(NEXT) | instid1(VALU_DEP_1)
	v_add_f64 v[8:9], v[8:9], v[16:17]
	v_add_f64 v[8:9], v[26:27], v[8:9]
	s_delay_alu instid0(VALU_DEP_1) | instskip(SKIP_1) | instid1(VALU_DEP_2)
	v_dual_cndmask_b32 v9, v9, v5 :: v_dual_cndmask_b32 v8, v8, v4
	v_cmp_ngt_f64_e32 vcc_lo, -1.0, v[4:5]
	v_cndmask_b32_e32 v9, 0x7ff80000, v9, vcc_lo
	v_cmp_nge_f64_e32 vcc_lo, -1.0, v[4:5]
	s_delay_alu instid0(VALU_DEP_4) | instskip(SKIP_1) | instid1(VALU_DEP_4)
	v_cndmask_b32_e32 v8, 0, v8, vcc_lo
	v_cmp_neq_f64_e32 vcc_lo, -1.0, v[4:5]
	v_cndmask_b32_e32 v9, 0xfff00000, v9, vcc_lo
	s_delay_alu instid0(VALU_DEP_1)
	v_add_f64 v[4:5], v[6:7], v[8:9]
.LBB8_30:
	s_or_b32 exec_lo, exec_lo, s13
	v_max_f64 v[16:17], v[102:103], v[102:103]
	s_delay_alu instid0(VALU_DEP_2) | instskip(SKIP_2) | instid1(VALU_DEP_3)
	v_max_f64 v[6:7], v[4:5], v[4:5]
	v_cmp_u_f64_e32 vcc_lo, v[4:5], v[4:5]
	v_cmp_u_f64_e64 s5, v[102:103], v[102:103]
	v_min_f64 v[8:9], v[6:7], v[16:17]
	v_max_f64 v[6:7], v[6:7], v[16:17]
	s_delay_alu instid0(VALU_DEP_2) | instskip(NEXT) | instid1(VALU_DEP_2)
	v_dual_cndmask_b32 v8, v8, v4 :: v_dual_cndmask_b32 v9, v9, v5
	v_dual_cndmask_b32 v7, v7, v5 :: v_dual_cndmask_b32 v6, v6, v4
	s_delay_alu instid0(VALU_DEP_2) | instskip(NEXT) | instid1(VALU_DEP_3)
	v_cndmask_b32_e64 v8, v8, v102, s5
	v_cndmask_b32_e64 v9, v9, v103, s5
	s_delay_alu instid0(VALU_DEP_3) | instskip(NEXT) | instid1(VALU_DEP_4)
	v_cndmask_b32_e64 v7, v7, v103, s5
	v_cndmask_b32_e64 v6, v6, v102, s5
	s_delay_alu instid0(VALU_DEP_3) | instskip(NEXT) | instid1(VALU_DEP_2)
	v_cmp_class_f64_e64 s6, v[8:9], 0x1f8
	v_cmp_neq_f64_e32 vcc_lo, v[8:9], v[6:7]
	s_delay_alu instid0(VALU_DEP_2) | instskip(NEXT) | instid1(SALU_CYCLE_1)
	s_or_b32 s6, vcc_lo, s6
	s_and_saveexec_b32 s13, s6
	s_cbranch_execz .LBB8_32
; %bb.31:
	v_add_f64 v[4:5], v[8:9], -v[6:7]
	s_mov_b32 s6, 0x652b82fe
	s_mov_b32 s7, 0x3ff71547
	;; [unrolled: 1-line block ×10, first 2 shown]
	s_delay_alu instid0(VALU_DEP_1) | instskip(SKIP_3) | instid1(VALU_DEP_2)
	v_mul_f64 v[8:9], v[4:5], s[6:7]
	s_mov_b32 s6, 0xfca7ab0c
	s_mov_b32 s7, 0x3e928af3
	v_cmp_nlt_f64_e32 vcc_lo, 0x40900000, v[4:5]
	v_rndne_f64_e32 v[8:9], v[8:9]
	s_delay_alu instid0(VALU_DEP_1) | instskip(SKIP_2) | instid1(VALU_DEP_2)
	v_fma_f64 v[18:19], v[8:9], s[8:9], v[4:5]
	v_cvt_i32_f64_e32 v22, v[8:9]
	s_mov_b32 s9, 0x3fe62e42
	v_fma_f64 v[18:19], v[8:9], s[10:11], v[18:19]
	s_mov_b32 s11, 0x3c7abc9e
	s_delay_alu instid0(VALU_DEP_1) | instskip(SKIP_4) | instid1(VALU_DEP_1)
	v_fma_f64 v[20:21], v[18:19], s[14:15], s[6:7]
	s_mov_b32 s6, 0x623fde64
	s_mov_b32 s7, 0x3ec71dee
	;; [unrolled: 1-line block ×4, first 2 shown]
	v_fma_f64 v[20:21], v[18:19], v[20:21], s[6:7]
	s_mov_b32 s6, 0x7c89e6b0
	s_mov_b32 s7, 0x3efa0199
	s_delay_alu instid0(VALU_DEP_1) | instid1(SALU_CYCLE_1)
	v_fma_f64 v[20:21], v[18:19], v[20:21], s[6:7]
	s_mov_b32 s6, 0x14761f6e
	s_mov_b32 s7, 0x3f2a01a0
	s_delay_alu instid0(VALU_DEP_1) | instid1(SALU_CYCLE_1)
	;; [unrolled: 4-line block ×7, first 2 shown]
	v_fma_f64 v[20:21], v[18:19], v[20:21], s[6:7]
	v_cmp_ngt_f64_e64 s6, 0xc090cc00, v[4:5]
	s_mov_b32 s7, 0x3fe55555
	s_delay_alu instid0(VALU_DEP_2) | instskip(NEXT) | instid1(VALU_DEP_1)
	v_fma_f64 v[20:21], v[18:19], v[20:21], 1.0
	v_fma_f64 v[8:9], v[18:19], v[20:21], 1.0
	s_delay_alu instid0(VALU_DEP_1) | instskip(NEXT) | instid1(VALU_DEP_1)
	v_ldexp_f64 v[8:9], v[8:9], v22
	v_cndmask_b32_e32 v9, 0x7ff00000, v9, vcc_lo
	s_and_b32 vcc_lo, s6, vcc_lo
	s_delay_alu instid0(VALU_DEP_1) | instskip(NEXT) | instid1(VALU_DEP_3)
	v_cndmask_b32_e64 v5, 0, v9, s6
	v_cndmask_b32_e32 v4, 0, v8, vcc_lo
	s_mov_b32 s6, 0x55555555
	s_delay_alu instid0(VALU_DEP_1) | instskip(NEXT) | instid1(VALU_DEP_1)
	v_add_f64 v[8:9], v[4:5], 1.0
	v_frexp_mant_f64_e32 v[18:19], v[8:9]
	v_frexp_exp_i32_f64_e32 v22, v[8:9]
	v_add_f64 v[20:21], v[8:9], -1.0
	s_delay_alu instid0(VALU_DEP_3) | instskip(SKIP_1) | instid1(VALU_DEP_2)
	v_cmp_gt_f64_e32 vcc_lo, s[6:7], v[18:19]
	s_mov_b32 s6, 0x55555780
	v_add_f64 v[18:19], v[20:21], -v[8:9]
	v_add_f64 v[20:21], v[4:5], -v[20:21]
	v_subrev_co_ci_u32_e32 v133, vcc_lo, 0, v22, vcc_lo
	s_delay_alu instid0(VALU_DEP_3) | instskip(SKIP_1) | instid1(VALU_DEP_3)
	v_add_f64 v[18:19], v[18:19], 1.0
	v_cmp_eq_f64_e32 vcc_lo, 0x7ff00000, v[4:5]
	v_sub_nc_u32_e32 v24, 0, v133
	s_delay_alu instid0(VALU_DEP_1) | instskip(NEXT) | instid1(VALU_DEP_4)
	v_ldexp_f64 v[8:9], v[8:9], v24
	v_add_f64 v[18:19], v[20:21], v[18:19]
	s_delay_alu instid0(VALU_DEP_2) | instskip(SKIP_1) | instid1(VALU_DEP_3)
	v_add_f64 v[22:23], v[8:9], 1.0
	v_add_f64 v[28:29], v[8:9], -1.0
	v_ldexp_f64 v[18:19], v[18:19], v24
	s_delay_alu instid0(VALU_DEP_3) | instskip(NEXT) | instid1(VALU_DEP_3)
	v_add_f64 v[20:21], v[22:23], -1.0
	v_add_f64 v[30:31], v[28:29], 1.0
	s_delay_alu instid0(VALU_DEP_2) | instskip(NEXT) | instid1(VALU_DEP_2)
	v_add_f64 v[20:21], v[8:9], -v[20:21]
	v_add_f64 v[8:9], v[8:9], -v[30:31]
	s_delay_alu instid0(VALU_DEP_2) | instskip(NEXT) | instid1(VALU_DEP_2)
	v_add_f64 v[20:21], v[18:19], v[20:21]
	v_add_f64 v[8:9], v[18:19], v[8:9]
	s_delay_alu instid0(VALU_DEP_2) | instskip(NEXT) | instid1(VALU_DEP_2)
	v_add_f64 v[24:25], v[22:23], v[20:21]
	v_add_f64 v[30:31], v[28:29], v[8:9]
	s_delay_alu instid0(VALU_DEP_2) | instskip(SKIP_1) | instid1(VALU_DEP_2)
	v_rcp_f64_e32 v[26:27], v[24:25]
	v_add_f64 v[22:23], v[24:25], -v[22:23]
	v_add_f64 v[28:29], v[30:31], -v[28:29]
	s_delay_alu instid0(VALU_DEP_2) | instskip(SKIP_3) | instid1(VALU_DEP_2)
	v_add_f64 v[20:21], v[20:21], -v[22:23]
	s_waitcnt_depctr 0xfff
	v_fma_f64 v[32:33], -v[24:25], v[26:27], 1.0
	v_add_f64 v[8:9], v[8:9], -v[28:29]
	v_fma_f64 v[26:27], v[32:33], v[26:27], v[26:27]
	s_delay_alu instid0(VALU_DEP_1) | instskip(NEXT) | instid1(VALU_DEP_1)
	v_fma_f64 v[18:19], -v[24:25], v[26:27], 1.0
	v_fma_f64 v[18:19], v[18:19], v[26:27], v[26:27]
	s_delay_alu instid0(VALU_DEP_1) | instskip(NEXT) | instid1(VALU_DEP_1)
	v_mul_f64 v[26:27], v[30:31], v[18:19]
	v_mul_f64 v[32:33], v[24:25], v[26:27]
	s_delay_alu instid0(VALU_DEP_1) | instskip(NEXT) | instid1(VALU_DEP_1)
	v_fma_f64 v[22:23], v[26:27], v[24:25], -v[32:33]
	v_fma_f64 v[22:23], v[26:27], v[20:21], v[22:23]
	s_delay_alu instid0(VALU_DEP_1) | instskip(NEXT) | instid1(VALU_DEP_1)
	v_add_f64 v[34:35], v[32:33], v[22:23]
	v_add_f64 v[129:130], v[30:31], -v[34:35]
	v_add_f64 v[28:29], v[34:35], -v[32:33]
	s_delay_alu instid0(VALU_DEP_2) | instskip(NEXT) | instid1(VALU_DEP_2)
	v_add_f64 v[30:31], v[30:31], -v[129:130]
	v_add_f64 v[22:23], v[28:29], -v[22:23]
	s_delay_alu instid0(VALU_DEP_2) | instskip(NEXT) | instid1(VALU_DEP_1)
	v_add_f64 v[30:31], v[30:31], -v[34:35]
	v_add_f64 v[8:9], v[8:9], v[30:31]
	s_delay_alu instid0(VALU_DEP_1) | instskip(NEXT) | instid1(VALU_DEP_1)
	v_add_f64 v[8:9], v[22:23], v[8:9]
	v_add_f64 v[22:23], v[129:130], v[8:9]
	s_delay_alu instid0(VALU_DEP_1) | instskip(SKIP_1) | instid1(VALU_DEP_2)
	v_mul_f64 v[28:29], v[18:19], v[22:23]
	v_add_f64 v[34:35], v[129:130], -v[22:23]
	v_mul_f64 v[30:31], v[24:25], v[28:29]
	s_delay_alu instid0(VALU_DEP_2) | instskip(NEXT) | instid1(VALU_DEP_2)
	v_add_f64 v[8:9], v[8:9], v[34:35]
	v_fma_f64 v[24:25], v[28:29], v[24:25], -v[30:31]
	s_delay_alu instid0(VALU_DEP_1) | instskip(NEXT) | instid1(VALU_DEP_1)
	v_fma_f64 v[20:21], v[28:29], v[20:21], v[24:25]
	v_add_f64 v[24:25], v[30:31], v[20:21]
	s_delay_alu instid0(VALU_DEP_1) | instskip(SKIP_1) | instid1(VALU_DEP_2)
	v_add_f64 v[32:33], v[22:23], -v[24:25]
	v_add_f64 v[30:31], v[24:25], -v[30:31]
	;; [unrolled: 1-line block ×3, first 2 shown]
	s_delay_alu instid0(VALU_DEP_2) | instskip(NEXT) | instid1(VALU_DEP_2)
	v_add_f64 v[20:21], v[30:31], -v[20:21]
	v_add_f64 v[22:23], v[22:23], -v[24:25]
	s_delay_alu instid0(VALU_DEP_1) | instskip(SKIP_1) | instid1(VALU_DEP_2)
	v_add_f64 v[8:9], v[8:9], v[22:23]
	v_add_f64 v[22:23], v[26:27], v[28:29]
	v_add_f64 v[8:9], v[20:21], v[8:9]
	s_delay_alu instid0(VALU_DEP_2) | instskip(NEXT) | instid1(VALU_DEP_2)
	v_add_f64 v[20:21], v[22:23], -v[26:27]
	v_add_f64 v[8:9], v[32:33], v[8:9]
	s_delay_alu instid0(VALU_DEP_2) | instskip(NEXT) | instid1(VALU_DEP_2)
	v_add_f64 v[20:21], v[28:29], -v[20:21]
	v_mul_f64 v[8:9], v[18:19], v[8:9]
	s_delay_alu instid0(VALU_DEP_1) | instskip(NEXT) | instid1(VALU_DEP_1)
	v_add_f64 v[8:9], v[20:21], v[8:9]
	v_add_f64 v[18:19], v[22:23], v[8:9]
	s_delay_alu instid0(VALU_DEP_1) | instskip(NEXT) | instid1(VALU_DEP_1)
	v_mul_f64 v[20:21], v[18:19], v[18:19]
	v_fma_f64 v[24:25], v[20:21], s[18:19], s[14:15]
	s_mov_b32 s14, 0xd7f4df2e
	s_mov_b32 s15, 0x3fc7474d
	v_mul_f64 v[26:27], v[18:19], v[20:21]
	s_delay_alu instid0(VALU_DEP_2)
	v_fma_f64 v[24:25], v[20:21], v[24:25], s[14:15]
	s_mov_b32 s14, 0x16291751
	s_mov_b32 s15, 0x3fcc71c0
	s_delay_alu instid0(VALU_DEP_1) | instid1(SALU_CYCLE_1)
	v_fma_f64 v[24:25], v[20:21], v[24:25], s[14:15]
	s_mov_b32 s14, 0x9b27acf1
	s_mov_b32 s15, 0x3fd24924
	s_delay_alu instid0(VALU_DEP_1) | instid1(SALU_CYCLE_1)
	;; [unrolled: 4-line block ×3, first 2 shown]
	v_fma_f64 v[24:25], v[20:21], v[24:25], s[14:15]
	s_delay_alu instid0(VALU_DEP_1) | instskip(SKIP_2) | instid1(VALU_DEP_3)
	v_fma_f64 v[20:21], v[20:21], v[24:25], s[6:7]
	v_ldexp_f64 v[24:25], v[18:19], 1
	v_add_f64 v[18:19], v[18:19], -v[22:23]
	v_mul_f64 v[20:21], v[26:27], v[20:21]
	v_cvt_f64_i32_e32 v[26:27], v133
	s_delay_alu instid0(VALU_DEP_3) | instskip(NEXT) | instid1(VALU_DEP_3)
	v_add_f64 v[8:9], v[8:9], -v[18:19]
	v_add_f64 v[22:23], v[24:25], v[20:21]
	s_delay_alu instid0(VALU_DEP_3) | instskip(NEXT) | instid1(VALU_DEP_3)
	v_mul_f64 v[28:29], v[26:27], s[8:9]
	v_ldexp_f64 v[8:9], v[8:9], 1
	s_delay_alu instid0(VALU_DEP_3) | instskip(NEXT) | instid1(VALU_DEP_3)
	v_add_f64 v[18:19], v[22:23], -v[24:25]
	v_fma_f64 v[24:25], v[26:27], s[8:9], -v[28:29]
	s_delay_alu instid0(VALU_DEP_2) | instskip(NEXT) | instid1(VALU_DEP_2)
	v_add_f64 v[18:19], v[20:21], -v[18:19]
	v_fma_f64 v[20:21], v[26:27], s[10:11], v[24:25]
	s_delay_alu instid0(VALU_DEP_2) | instskip(NEXT) | instid1(VALU_DEP_2)
	v_add_f64 v[8:9], v[8:9], v[18:19]
	v_add_f64 v[18:19], v[28:29], v[20:21]
	s_delay_alu instid0(VALU_DEP_2) | instskip(NEXT) | instid1(VALU_DEP_2)
	v_add_f64 v[24:25], v[22:23], v[8:9]
	v_add_f64 v[28:29], v[18:19], -v[28:29]
	s_delay_alu instid0(VALU_DEP_2) | instskip(SKIP_1) | instid1(VALU_DEP_3)
	v_add_f64 v[26:27], v[18:19], v[24:25]
	v_add_f64 v[22:23], v[24:25], -v[22:23]
	v_add_f64 v[20:21], v[20:21], -v[28:29]
	s_delay_alu instid0(VALU_DEP_3) | instskip(NEXT) | instid1(VALU_DEP_3)
	v_add_f64 v[30:31], v[26:27], -v[18:19]
	v_add_f64 v[8:9], v[8:9], -v[22:23]
	s_delay_alu instid0(VALU_DEP_2) | instskip(SKIP_1) | instid1(VALU_DEP_3)
	v_add_f64 v[32:33], v[26:27], -v[30:31]
	v_add_f64 v[22:23], v[24:25], -v[30:31]
	v_add_f64 v[24:25], v[20:21], v[8:9]
	s_delay_alu instid0(VALU_DEP_3) | instskip(NEXT) | instid1(VALU_DEP_1)
	v_add_f64 v[18:19], v[18:19], -v[32:33]
	v_add_f64 v[18:19], v[22:23], v[18:19]
	s_delay_alu instid0(VALU_DEP_3) | instskip(NEXT) | instid1(VALU_DEP_2)
	v_add_f64 v[22:23], v[24:25], -v[20:21]
	v_add_f64 v[18:19], v[24:25], v[18:19]
	s_delay_alu instid0(VALU_DEP_2) | instskip(SKIP_1) | instid1(VALU_DEP_3)
	v_add_f64 v[24:25], v[24:25], -v[22:23]
	v_add_f64 v[8:9], v[8:9], -v[22:23]
	v_add_f64 v[28:29], v[26:27], v[18:19]
	s_delay_alu instid0(VALU_DEP_3) | instskip(NEXT) | instid1(VALU_DEP_2)
	v_add_f64 v[20:21], v[20:21], -v[24:25]
	v_add_f64 v[22:23], v[28:29], -v[26:27]
	s_delay_alu instid0(VALU_DEP_2) | instskip(NEXT) | instid1(VALU_DEP_2)
	v_add_f64 v[8:9], v[8:9], v[20:21]
	v_add_f64 v[18:19], v[18:19], -v[22:23]
	s_delay_alu instid0(VALU_DEP_1) | instskip(NEXT) | instid1(VALU_DEP_1)
	v_add_f64 v[8:9], v[8:9], v[18:19]
	v_add_f64 v[8:9], v[28:29], v[8:9]
	s_delay_alu instid0(VALU_DEP_1) | instskip(SKIP_1) | instid1(VALU_DEP_2)
	v_dual_cndmask_b32 v9, v9, v5 :: v_dual_cndmask_b32 v8, v8, v4
	v_cmp_ngt_f64_e32 vcc_lo, -1.0, v[4:5]
	v_cndmask_b32_e32 v9, 0x7ff80000, v9, vcc_lo
	v_cmp_nge_f64_e32 vcc_lo, -1.0, v[4:5]
	s_delay_alu instid0(VALU_DEP_4) | instskip(SKIP_1) | instid1(VALU_DEP_4)
	v_cndmask_b32_e32 v8, 0, v8, vcc_lo
	v_cmp_neq_f64_e32 vcc_lo, -1.0, v[4:5]
	v_cndmask_b32_e32 v9, 0xfff00000, v9, vcc_lo
	s_delay_alu instid0(VALU_DEP_1)
	v_add_f64 v[4:5], v[6:7], v[8:9]
.LBB8_32:
	s_or_b32 exec_lo, exec_lo, s13
	v_max_f64 v[18:19], v[96:97], v[96:97]
	s_delay_alu instid0(VALU_DEP_2) | instskip(SKIP_2) | instid1(VALU_DEP_3)
	v_max_f64 v[6:7], v[4:5], v[4:5]
	v_cmp_u_f64_e32 vcc_lo, v[4:5], v[4:5]
	v_cmp_u_f64_e64 s6, v[96:97], v[96:97]
	v_min_f64 v[8:9], v[6:7], v[18:19]
	v_max_f64 v[6:7], v[6:7], v[18:19]
	s_delay_alu instid0(VALU_DEP_2) | instskip(NEXT) | instid1(VALU_DEP_2)
	v_dual_cndmask_b32 v8, v8, v4 :: v_dual_cndmask_b32 v9, v9, v5
	v_dual_cndmask_b32 v7, v7, v5 :: v_dual_cndmask_b32 v6, v6, v4
	s_delay_alu instid0(VALU_DEP_2) | instskip(NEXT) | instid1(VALU_DEP_3)
	v_cndmask_b32_e64 v8, v8, v96, s6
	v_cndmask_b32_e64 v9, v9, v97, s6
	s_delay_alu instid0(VALU_DEP_3) | instskip(NEXT) | instid1(VALU_DEP_4)
	v_cndmask_b32_e64 v7, v7, v97, s6
	v_cndmask_b32_e64 v6, v6, v96, s6
	s_delay_alu instid0(VALU_DEP_3) | instskip(NEXT) | instid1(VALU_DEP_2)
	v_cmp_class_f64_e64 s7, v[8:9], 0x1f8
	v_cmp_neq_f64_e32 vcc_lo, v[8:9], v[6:7]
	s_delay_alu instid0(VALU_DEP_2) | instskip(NEXT) | instid1(SALU_CYCLE_1)
	s_or_b32 s7, vcc_lo, s7
	s_and_saveexec_b32 s13, s7
	s_cbranch_execz .LBB8_34
; %bb.33:
	v_add_f64 v[4:5], v[8:9], -v[6:7]
	s_mov_b32 s8, 0x652b82fe
	s_mov_b32 s9, 0x3ff71547
	;; [unrolled: 1-line block ×10, first 2 shown]
	s_delay_alu instid0(VALU_DEP_1) | instskip(SKIP_4) | instid1(VALU_DEP_3)
	v_mul_f64 v[8:9], v[4:5], s[8:9]
	s_mov_b32 s9, 0xbfe62e42
	s_mov_b32 s8, 0xfefa39ef
	v_cmp_nlt_f64_e32 vcc_lo, 0x40900000, v[4:5]
	v_cmp_ngt_f64_e64 s7, 0xc090cc00, v[4:5]
	v_rndne_f64_e32 v[8:9], v[8:9]
	s_delay_alu instid0(VALU_DEP_1) | instskip(SKIP_2) | instid1(VALU_DEP_2)
	v_fma_f64 v[20:21], v[8:9], s[8:9], v[4:5]
	v_cvt_i32_f64_e32 v24, v[8:9]
	s_mov_b32 s9, 0x3fe62e42
	v_fma_f64 v[20:21], v[8:9], s[10:11], v[20:21]
	s_mov_b32 s11, 0x3c7abc9e
	s_delay_alu instid0(VALU_DEP_1) | instskip(SKIP_4) | instid1(VALU_DEP_1)
	v_fma_f64 v[22:23], v[20:21], s[18:19], s[14:15]
	s_mov_b32 s14, 0x623fde64
	s_mov_b32 s15, 0x3ec71dee
	;; [unrolled: 1-line block ×4, first 2 shown]
	v_fma_f64 v[22:23], v[20:21], v[22:23], s[14:15]
	s_mov_b32 s14, 0x7c89e6b0
	s_mov_b32 s15, 0x3efa0199
	s_delay_alu instid0(VALU_DEP_1) | instid1(SALU_CYCLE_1)
	v_fma_f64 v[22:23], v[20:21], v[22:23], s[14:15]
	s_mov_b32 s14, 0x14761f6e
	s_mov_b32 s15, 0x3f2a01a0
	s_delay_alu instid0(VALU_DEP_1) | instid1(SALU_CYCLE_1)
	;; [unrolled: 4-line block ×7, first 2 shown]
	v_fma_f64 v[22:23], v[20:21], v[22:23], s[14:15]
	s_mov_b32 s15, 0x3fe55555
	s_mov_b32 s14, 0x55555555
	s_delay_alu instid0(VALU_DEP_1) | instskip(NEXT) | instid1(VALU_DEP_1)
	v_fma_f64 v[22:23], v[20:21], v[22:23], 1.0
	v_fma_f64 v[8:9], v[20:21], v[22:23], 1.0
	s_delay_alu instid0(VALU_DEP_1) | instskip(NEXT) | instid1(VALU_DEP_1)
	v_ldexp_f64 v[8:9], v[8:9], v24
	v_cndmask_b32_e32 v9, 0x7ff00000, v9, vcc_lo
	s_and_b32 vcc_lo, s7, vcc_lo
	s_delay_alu instid0(VALU_DEP_1) | instskip(NEXT) | instid1(VALU_DEP_3)
	v_cndmask_b32_e64 v5, 0, v9, s7
	v_cndmask_b32_e32 v4, 0, v8, vcc_lo
	s_delay_alu instid0(VALU_DEP_1) | instskip(NEXT) | instid1(VALU_DEP_1)
	v_add_f64 v[8:9], v[4:5], 1.0
	v_frexp_mant_f64_e32 v[20:21], v[8:9]
	v_frexp_exp_i32_f64_e32 v24, v[8:9]
	v_add_f64 v[22:23], v[8:9], -1.0
	s_delay_alu instid0(VALU_DEP_3) | instskip(SKIP_1) | instid1(VALU_DEP_2)
	v_cmp_gt_f64_e32 vcc_lo, s[14:15], v[20:21]
	s_mov_b32 s14, 0x55555780
	v_add_f64 v[20:21], v[22:23], -v[8:9]
	v_add_f64 v[22:23], v[4:5], -v[22:23]
	v_subrev_co_ci_u32_e32 v144, vcc_lo, 0, v24, vcc_lo
	s_delay_alu instid0(VALU_DEP_3) | instskip(SKIP_1) | instid1(VALU_DEP_3)
	v_add_f64 v[20:21], v[20:21], 1.0
	v_cmp_eq_f64_e32 vcc_lo, 0x7ff00000, v[4:5]
	v_sub_nc_u32_e32 v26, 0, v144
	s_delay_alu instid0(VALU_DEP_1) | instskip(NEXT) | instid1(VALU_DEP_4)
	v_ldexp_f64 v[8:9], v[8:9], v26
	v_add_f64 v[20:21], v[22:23], v[20:21]
	s_delay_alu instid0(VALU_DEP_2) | instskip(SKIP_1) | instid1(VALU_DEP_3)
	v_add_f64 v[24:25], v[8:9], 1.0
	v_add_f64 v[30:31], v[8:9], -1.0
	v_ldexp_f64 v[20:21], v[20:21], v26
	s_delay_alu instid0(VALU_DEP_3) | instskip(NEXT) | instid1(VALU_DEP_3)
	v_add_f64 v[22:23], v[24:25], -1.0
	v_add_f64 v[32:33], v[30:31], 1.0
	s_delay_alu instid0(VALU_DEP_2) | instskip(NEXT) | instid1(VALU_DEP_2)
	v_add_f64 v[22:23], v[8:9], -v[22:23]
	v_add_f64 v[8:9], v[8:9], -v[32:33]
	s_delay_alu instid0(VALU_DEP_2) | instskip(NEXT) | instid1(VALU_DEP_2)
	v_add_f64 v[22:23], v[20:21], v[22:23]
	v_add_f64 v[8:9], v[20:21], v[8:9]
	s_delay_alu instid0(VALU_DEP_2) | instskip(NEXT) | instid1(VALU_DEP_2)
	v_add_f64 v[26:27], v[24:25], v[22:23]
	v_add_f64 v[32:33], v[30:31], v[8:9]
	s_delay_alu instid0(VALU_DEP_2) | instskip(SKIP_1) | instid1(VALU_DEP_2)
	v_rcp_f64_e32 v[28:29], v[26:27]
	v_add_f64 v[24:25], v[26:27], -v[24:25]
	v_add_f64 v[30:31], v[32:33], -v[30:31]
	s_delay_alu instid0(VALU_DEP_2) | instskip(SKIP_3) | instid1(VALU_DEP_2)
	v_add_f64 v[22:23], v[22:23], -v[24:25]
	s_waitcnt_depctr 0xfff
	v_fma_f64 v[34:35], -v[26:27], v[28:29], 1.0
	v_add_f64 v[8:9], v[8:9], -v[30:31]
	v_fma_f64 v[28:29], v[34:35], v[28:29], v[28:29]
	s_delay_alu instid0(VALU_DEP_1) | instskip(NEXT) | instid1(VALU_DEP_1)
	v_fma_f64 v[20:21], -v[26:27], v[28:29], 1.0
	v_fma_f64 v[20:21], v[20:21], v[28:29], v[28:29]
	s_delay_alu instid0(VALU_DEP_1) | instskip(NEXT) | instid1(VALU_DEP_1)
	v_mul_f64 v[28:29], v[32:33], v[20:21]
	v_mul_f64 v[34:35], v[26:27], v[28:29]
	s_delay_alu instid0(VALU_DEP_1) | instskip(NEXT) | instid1(VALU_DEP_1)
	v_fma_f64 v[24:25], v[28:29], v[26:27], -v[34:35]
	v_fma_f64 v[24:25], v[28:29], v[22:23], v[24:25]
	s_delay_alu instid0(VALU_DEP_1) | instskip(NEXT) | instid1(VALU_DEP_1)
	v_add_f64 v[129:130], v[34:35], v[24:25]
	v_add_f64 v[133:134], v[32:33], -v[129:130]
	v_add_f64 v[30:31], v[129:130], -v[34:35]
	s_delay_alu instid0(VALU_DEP_2) | instskip(NEXT) | instid1(VALU_DEP_2)
	v_add_f64 v[32:33], v[32:33], -v[133:134]
	v_add_f64 v[24:25], v[30:31], -v[24:25]
	s_delay_alu instid0(VALU_DEP_2) | instskip(NEXT) | instid1(VALU_DEP_1)
	v_add_f64 v[32:33], v[32:33], -v[129:130]
	v_add_f64 v[8:9], v[8:9], v[32:33]
	s_delay_alu instid0(VALU_DEP_1) | instskip(NEXT) | instid1(VALU_DEP_1)
	v_add_f64 v[8:9], v[24:25], v[8:9]
	v_add_f64 v[24:25], v[133:134], v[8:9]
	s_delay_alu instid0(VALU_DEP_1) | instskip(SKIP_1) | instid1(VALU_DEP_2)
	v_mul_f64 v[30:31], v[20:21], v[24:25]
	v_add_f64 v[129:130], v[133:134], -v[24:25]
	v_mul_f64 v[32:33], v[26:27], v[30:31]
	s_delay_alu instid0(VALU_DEP_2) | instskip(NEXT) | instid1(VALU_DEP_2)
	v_add_f64 v[8:9], v[8:9], v[129:130]
	v_fma_f64 v[26:27], v[30:31], v[26:27], -v[32:33]
	s_delay_alu instid0(VALU_DEP_1) | instskip(NEXT) | instid1(VALU_DEP_1)
	v_fma_f64 v[22:23], v[30:31], v[22:23], v[26:27]
	v_add_f64 v[26:27], v[32:33], v[22:23]
	s_delay_alu instid0(VALU_DEP_1) | instskip(SKIP_1) | instid1(VALU_DEP_2)
	v_add_f64 v[34:35], v[24:25], -v[26:27]
	v_add_f64 v[32:33], v[26:27], -v[32:33]
	;; [unrolled: 1-line block ×3, first 2 shown]
	s_delay_alu instid0(VALU_DEP_2) | instskip(NEXT) | instid1(VALU_DEP_2)
	v_add_f64 v[22:23], v[32:33], -v[22:23]
	v_add_f64 v[24:25], v[24:25], -v[26:27]
	s_delay_alu instid0(VALU_DEP_1) | instskip(SKIP_1) | instid1(VALU_DEP_2)
	v_add_f64 v[8:9], v[8:9], v[24:25]
	v_add_f64 v[24:25], v[28:29], v[30:31]
	;; [unrolled: 1-line block ×3, first 2 shown]
	s_delay_alu instid0(VALU_DEP_2) | instskip(NEXT) | instid1(VALU_DEP_2)
	v_add_f64 v[22:23], v[24:25], -v[28:29]
	v_add_f64 v[8:9], v[34:35], v[8:9]
	s_delay_alu instid0(VALU_DEP_2) | instskip(NEXT) | instid1(VALU_DEP_2)
	v_add_f64 v[22:23], v[30:31], -v[22:23]
	v_mul_f64 v[8:9], v[20:21], v[8:9]
	s_delay_alu instid0(VALU_DEP_1) | instskip(NEXT) | instid1(VALU_DEP_1)
	v_add_f64 v[8:9], v[22:23], v[8:9]
	v_add_f64 v[20:21], v[24:25], v[8:9]
	s_delay_alu instid0(VALU_DEP_1) | instskip(NEXT) | instid1(VALU_DEP_1)
	v_mul_f64 v[22:23], v[20:21], v[20:21]
	v_fma_f64 v[26:27], v[22:23], s[20:21], s[18:19]
	s_mov_b32 s18, 0xd7f4df2e
	s_mov_b32 s19, 0x3fc7474d
	v_mul_f64 v[28:29], v[20:21], v[22:23]
	s_delay_alu instid0(VALU_DEP_2)
	v_fma_f64 v[26:27], v[22:23], v[26:27], s[18:19]
	s_mov_b32 s18, 0x16291751
	s_mov_b32 s19, 0x3fcc71c0
	s_delay_alu instid0(VALU_DEP_1) | instid1(SALU_CYCLE_1)
	v_fma_f64 v[26:27], v[22:23], v[26:27], s[18:19]
	s_mov_b32 s18, 0x9b27acf1
	s_mov_b32 s19, 0x3fd24924
	s_delay_alu instid0(VALU_DEP_1) | instid1(SALU_CYCLE_1)
	;; [unrolled: 4-line block ×3, first 2 shown]
	v_fma_f64 v[26:27], v[22:23], v[26:27], s[18:19]
	s_delay_alu instid0(VALU_DEP_1) | instskip(SKIP_2) | instid1(VALU_DEP_3)
	v_fma_f64 v[22:23], v[22:23], v[26:27], s[14:15]
	v_ldexp_f64 v[26:27], v[20:21], 1
	v_add_f64 v[20:21], v[20:21], -v[24:25]
	v_mul_f64 v[22:23], v[28:29], v[22:23]
	v_cvt_f64_i32_e32 v[28:29], v144
	s_delay_alu instid0(VALU_DEP_3) | instskip(NEXT) | instid1(VALU_DEP_3)
	v_add_f64 v[8:9], v[8:9], -v[20:21]
	v_add_f64 v[24:25], v[26:27], v[22:23]
	s_delay_alu instid0(VALU_DEP_3) | instskip(NEXT) | instid1(VALU_DEP_3)
	v_mul_f64 v[30:31], v[28:29], s[8:9]
	v_ldexp_f64 v[8:9], v[8:9], 1
	s_delay_alu instid0(VALU_DEP_3) | instskip(NEXT) | instid1(VALU_DEP_3)
	v_add_f64 v[20:21], v[24:25], -v[26:27]
	v_fma_f64 v[26:27], v[28:29], s[8:9], -v[30:31]
	s_delay_alu instid0(VALU_DEP_2) | instskip(NEXT) | instid1(VALU_DEP_2)
	v_add_f64 v[20:21], v[22:23], -v[20:21]
	v_fma_f64 v[22:23], v[28:29], s[10:11], v[26:27]
	s_delay_alu instid0(VALU_DEP_2) | instskip(NEXT) | instid1(VALU_DEP_2)
	v_add_f64 v[8:9], v[8:9], v[20:21]
	v_add_f64 v[20:21], v[30:31], v[22:23]
	s_delay_alu instid0(VALU_DEP_2) | instskip(NEXT) | instid1(VALU_DEP_2)
	v_add_f64 v[26:27], v[24:25], v[8:9]
	v_add_f64 v[30:31], v[20:21], -v[30:31]
	s_delay_alu instid0(VALU_DEP_2) | instskip(SKIP_1) | instid1(VALU_DEP_3)
	v_add_f64 v[28:29], v[20:21], v[26:27]
	v_add_f64 v[24:25], v[26:27], -v[24:25]
	v_add_f64 v[22:23], v[22:23], -v[30:31]
	s_delay_alu instid0(VALU_DEP_3) | instskip(NEXT) | instid1(VALU_DEP_3)
	v_add_f64 v[32:33], v[28:29], -v[20:21]
	v_add_f64 v[8:9], v[8:9], -v[24:25]
	s_delay_alu instid0(VALU_DEP_2) | instskip(SKIP_1) | instid1(VALU_DEP_3)
	v_add_f64 v[34:35], v[28:29], -v[32:33]
	v_add_f64 v[24:25], v[26:27], -v[32:33]
	v_add_f64 v[26:27], v[22:23], v[8:9]
	s_delay_alu instid0(VALU_DEP_3) | instskip(NEXT) | instid1(VALU_DEP_1)
	v_add_f64 v[20:21], v[20:21], -v[34:35]
	v_add_f64 v[20:21], v[24:25], v[20:21]
	s_delay_alu instid0(VALU_DEP_3) | instskip(NEXT) | instid1(VALU_DEP_2)
	v_add_f64 v[24:25], v[26:27], -v[22:23]
	v_add_f64 v[20:21], v[26:27], v[20:21]
	s_delay_alu instid0(VALU_DEP_2) | instskip(SKIP_1) | instid1(VALU_DEP_3)
	v_add_f64 v[26:27], v[26:27], -v[24:25]
	v_add_f64 v[8:9], v[8:9], -v[24:25]
	v_add_f64 v[30:31], v[28:29], v[20:21]
	s_delay_alu instid0(VALU_DEP_3) | instskip(NEXT) | instid1(VALU_DEP_2)
	v_add_f64 v[22:23], v[22:23], -v[26:27]
	v_add_f64 v[24:25], v[30:31], -v[28:29]
	s_delay_alu instid0(VALU_DEP_2) | instskip(NEXT) | instid1(VALU_DEP_2)
	v_add_f64 v[8:9], v[8:9], v[22:23]
	v_add_f64 v[20:21], v[20:21], -v[24:25]
	s_delay_alu instid0(VALU_DEP_1) | instskip(NEXT) | instid1(VALU_DEP_1)
	v_add_f64 v[8:9], v[8:9], v[20:21]
	v_add_f64 v[8:9], v[30:31], v[8:9]
	s_delay_alu instid0(VALU_DEP_1) | instskip(SKIP_1) | instid1(VALU_DEP_2)
	v_dual_cndmask_b32 v9, v9, v5 :: v_dual_cndmask_b32 v8, v8, v4
	v_cmp_ngt_f64_e32 vcc_lo, -1.0, v[4:5]
	v_cndmask_b32_e32 v9, 0x7ff80000, v9, vcc_lo
	v_cmp_nge_f64_e32 vcc_lo, -1.0, v[4:5]
	s_delay_alu instid0(VALU_DEP_4) | instskip(SKIP_1) | instid1(VALU_DEP_4)
	v_cndmask_b32_e32 v8, 0, v8, vcc_lo
	v_cmp_neq_f64_e32 vcc_lo, -1.0, v[4:5]
	v_cndmask_b32_e32 v9, 0xfff00000, v9, vcc_lo
	s_delay_alu instid0(VALU_DEP_1)
	v_add_f64 v[4:5], v[6:7], v[8:9]
.LBB8_34:
	s_or_b32 exec_lo, exec_lo, s13
	v_max_f64 v[20:21], v[98:99], v[98:99]
	s_delay_alu instid0(VALU_DEP_2) | instskip(SKIP_2) | instid1(VALU_DEP_3)
	v_max_f64 v[6:7], v[4:5], v[4:5]
	v_cmp_u_f64_e32 vcc_lo, v[4:5], v[4:5]
	v_cmp_u_f64_e64 s7, v[98:99], v[98:99]
	v_min_f64 v[8:9], v[6:7], v[20:21]
	v_max_f64 v[6:7], v[6:7], v[20:21]
	s_delay_alu instid0(VALU_DEP_2) | instskip(NEXT) | instid1(VALU_DEP_2)
	v_dual_cndmask_b32 v8, v8, v4 :: v_dual_cndmask_b32 v9, v9, v5
	v_dual_cndmask_b32 v7, v7, v5 :: v_dual_cndmask_b32 v6, v6, v4
	s_delay_alu instid0(VALU_DEP_2) | instskip(NEXT) | instid1(VALU_DEP_3)
	v_cndmask_b32_e64 v8, v8, v98, s7
	v_cndmask_b32_e64 v9, v9, v99, s7
	s_delay_alu instid0(VALU_DEP_3) | instskip(NEXT) | instid1(VALU_DEP_4)
	v_cndmask_b32_e64 v7, v7, v99, s7
	v_cndmask_b32_e64 v6, v6, v98, s7
	s_delay_alu instid0(VALU_DEP_3) | instskip(NEXT) | instid1(VALU_DEP_2)
	v_cmp_class_f64_e64 s8, v[8:9], 0x1f8
	v_cmp_neq_f64_e32 vcc_lo, v[8:9], v[6:7]
	s_delay_alu instid0(VALU_DEP_2) | instskip(NEXT) | instid1(SALU_CYCLE_1)
	s_or_b32 s8, vcc_lo, s8
	s_and_saveexec_b32 s13, s8
	s_cbranch_execz .LBB8_36
; %bb.35:
	v_add_f64 v[4:5], v[8:9], -v[6:7]
	s_mov_b32 s8, 0x652b82fe
	s_mov_b32 s9, 0x3ff71547
	s_mov_b32 s11, 0xbfe62e42
	s_mov_b32 s10, 0xfefa39ef
	s_mov_b32 s15, 0xbc7abc9e
	s_mov_b32 s14, 0x3b39803f
	s_mov_b32 s18, 0x6a5dcb37
	s_mov_b32 s19, 0x3e5ade15
	s_mov_b32 s20, 0xbf559e2b
	s_mov_b32 s21, 0x3fc3ab76
	s_delay_alu instid0(VALU_DEP_1) | instskip(SKIP_3) | instid1(VALU_DEP_2)
	v_mul_f64 v[8:9], v[4:5], s[8:9]
	s_mov_b32 s8, 0xfca7ab0c
	s_mov_b32 s9, 0x3e928af3
	v_cmp_nlt_f64_e32 vcc_lo, 0x40900000, v[4:5]
	v_rndne_f64_e32 v[8:9], v[8:9]
	s_delay_alu instid0(VALU_DEP_1) | instskip(SKIP_2) | instid1(VALU_DEP_2)
	v_fma_f64 v[22:23], v[8:9], s[10:11], v[4:5]
	v_cvt_i32_f64_e32 v26, v[8:9]
	s_mov_b32 s11, 0x3fe62e42
	v_fma_f64 v[22:23], v[8:9], s[14:15], v[22:23]
	s_mov_b32 s15, 0x3c7abc9e
	s_delay_alu instid0(VALU_DEP_1) | instskip(SKIP_4) | instid1(VALU_DEP_1)
	v_fma_f64 v[24:25], v[22:23], s[18:19], s[8:9]
	s_mov_b32 s8, 0x623fde64
	s_mov_b32 s9, 0x3ec71dee
	;; [unrolled: 1-line block ×4, first 2 shown]
	v_fma_f64 v[24:25], v[22:23], v[24:25], s[8:9]
	s_mov_b32 s8, 0x7c89e6b0
	s_mov_b32 s9, 0x3efa0199
	s_delay_alu instid0(VALU_DEP_1) | instid1(SALU_CYCLE_1)
	v_fma_f64 v[24:25], v[22:23], v[24:25], s[8:9]
	s_mov_b32 s8, 0x14761f6e
	s_mov_b32 s9, 0x3f2a01a0
	s_delay_alu instid0(VALU_DEP_1) | instid1(SALU_CYCLE_1)
	;; [unrolled: 4-line block ×7, first 2 shown]
	v_fma_f64 v[24:25], v[22:23], v[24:25], s[8:9]
	v_cmp_ngt_f64_e64 s8, 0xc090cc00, v[4:5]
	s_mov_b32 s9, 0x3fe55555
	s_delay_alu instid0(VALU_DEP_2) | instskip(NEXT) | instid1(VALU_DEP_1)
	v_fma_f64 v[24:25], v[22:23], v[24:25], 1.0
	v_fma_f64 v[8:9], v[22:23], v[24:25], 1.0
	s_delay_alu instid0(VALU_DEP_1) | instskip(NEXT) | instid1(VALU_DEP_1)
	v_ldexp_f64 v[8:9], v[8:9], v26
	v_cndmask_b32_e32 v9, 0x7ff00000, v9, vcc_lo
	s_and_b32 vcc_lo, s8, vcc_lo
	s_delay_alu instid0(VALU_DEP_1) | instskip(NEXT) | instid1(VALU_DEP_3)
	v_cndmask_b32_e64 v5, 0, v9, s8
	v_cndmask_b32_e32 v4, 0, v8, vcc_lo
	s_mov_b32 s8, 0x55555555
	s_delay_alu instid0(VALU_DEP_1) | instskip(NEXT) | instid1(VALU_DEP_1)
	v_add_f64 v[8:9], v[4:5], 1.0
	v_frexp_mant_f64_e32 v[22:23], v[8:9]
	v_frexp_exp_i32_f64_e32 v26, v[8:9]
	v_add_f64 v[24:25], v[8:9], -1.0
	s_delay_alu instid0(VALU_DEP_3) | instskip(SKIP_1) | instid1(VALU_DEP_2)
	v_cmp_gt_f64_e32 vcc_lo, s[8:9], v[22:23]
	s_mov_b32 s8, 0x55555780
	v_add_f64 v[22:23], v[24:25], -v[8:9]
	v_add_f64 v[24:25], v[4:5], -v[24:25]
	v_subrev_co_ci_u32_e32 v146, vcc_lo, 0, v26, vcc_lo
	s_delay_alu instid0(VALU_DEP_3) | instskip(SKIP_1) | instid1(VALU_DEP_3)
	v_add_f64 v[22:23], v[22:23], 1.0
	v_cmp_eq_f64_e32 vcc_lo, 0x7ff00000, v[4:5]
	v_sub_nc_u32_e32 v28, 0, v146
	s_delay_alu instid0(VALU_DEP_1) | instskip(NEXT) | instid1(VALU_DEP_4)
	v_ldexp_f64 v[8:9], v[8:9], v28
	v_add_f64 v[22:23], v[24:25], v[22:23]
	s_delay_alu instid0(VALU_DEP_2) | instskip(SKIP_1) | instid1(VALU_DEP_3)
	v_add_f64 v[26:27], v[8:9], 1.0
	v_add_f64 v[32:33], v[8:9], -1.0
	v_ldexp_f64 v[22:23], v[22:23], v28
	s_delay_alu instid0(VALU_DEP_3) | instskip(NEXT) | instid1(VALU_DEP_3)
	v_add_f64 v[24:25], v[26:27], -1.0
	v_add_f64 v[34:35], v[32:33], 1.0
	s_delay_alu instid0(VALU_DEP_2) | instskip(NEXT) | instid1(VALU_DEP_2)
	v_add_f64 v[24:25], v[8:9], -v[24:25]
	v_add_f64 v[8:9], v[8:9], -v[34:35]
	s_delay_alu instid0(VALU_DEP_2) | instskip(NEXT) | instid1(VALU_DEP_2)
	v_add_f64 v[24:25], v[22:23], v[24:25]
	v_add_f64 v[8:9], v[22:23], v[8:9]
	s_delay_alu instid0(VALU_DEP_2) | instskip(NEXT) | instid1(VALU_DEP_2)
	v_add_f64 v[28:29], v[26:27], v[24:25]
	v_add_f64 v[34:35], v[32:33], v[8:9]
	s_delay_alu instid0(VALU_DEP_2) | instskip(SKIP_1) | instid1(VALU_DEP_2)
	v_rcp_f64_e32 v[30:31], v[28:29]
	v_add_f64 v[26:27], v[28:29], -v[26:27]
	v_add_f64 v[32:33], v[34:35], -v[32:33]
	s_delay_alu instid0(VALU_DEP_2) | instskip(SKIP_3) | instid1(VALU_DEP_2)
	v_add_f64 v[24:25], v[24:25], -v[26:27]
	s_waitcnt_depctr 0xfff
	v_fma_f64 v[129:130], -v[28:29], v[30:31], 1.0
	v_add_f64 v[8:9], v[8:9], -v[32:33]
	v_fma_f64 v[30:31], v[129:130], v[30:31], v[30:31]
	s_delay_alu instid0(VALU_DEP_1) | instskip(NEXT) | instid1(VALU_DEP_1)
	v_fma_f64 v[22:23], -v[28:29], v[30:31], 1.0
	v_fma_f64 v[22:23], v[22:23], v[30:31], v[30:31]
	s_delay_alu instid0(VALU_DEP_1) | instskip(NEXT) | instid1(VALU_DEP_1)
	v_mul_f64 v[30:31], v[34:35], v[22:23]
	v_mul_f64 v[129:130], v[28:29], v[30:31]
	s_delay_alu instid0(VALU_DEP_1) | instskip(NEXT) | instid1(VALU_DEP_1)
	v_fma_f64 v[26:27], v[30:31], v[28:29], -v[129:130]
	v_fma_f64 v[26:27], v[30:31], v[24:25], v[26:27]
	s_delay_alu instid0(VALU_DEP_1) | instskip(NEXT) | instid1(VALU_DEP_1)
	v_add_f64 v[133:134], v[129:130], v[26:27]
	v_add_f64 v[144:145], v[34:35], -v[133:134]
	v_add_f64 v[32:33], v[133:134], -v[129:130]
	s_delay_alu instid0(VALU_DEP_2) | instskip(NEXT) | instid1(VALU_DEP_2)
	v_add_f64 v[34:35], v[34:35], -v[144:145]
	v_add_f64 v[26:27], v[32:33], -v[26:27]
	s_delay_alu instid0(VALU_DEP_2) | instskip(NEXT) | instid1(VALU_DEP_1)
	v_add_f64 v[34:35], v[34:35], -v[133:134]
	v_add_f64 v[8:9], v[8:9], v[34:35]
	s_delay_alu instid0(VALU_DEP_1) | instskip(NEXT) | instid1(VALU_DEP_1)
	v_add_f64 v[8:9], v[26:27], v[8:9]
	v_add_f64 v[26:27], v[144:145], v[8:9]
	s_delay_alu instid0(VALU_DEP_1) | instskip(SKIP_1) | instid1(VALU_DEP_2)
	v_mul_f64 v[32:33], v[22:23], v[26:27]
	v_add_f64 v[133:134], v[144:145], -v[26:27]
	v_mul_f64 v[34:35], v[28:29], v[32:33]
	s_delay_alu instid0(VALU_DEP_2) | instskip(NEXT) | instid1(VALU_DEP_2)
	v_add_f64 v[8:9], v[8:9], v[133:134]
	v_fma_f64 v[28:29], v[32:33], v[28:29], -v[34:35]
	s_delay_alu instid0(VALU_DEP_1) | instskip(NEXT) | instid1(VALU_DEP_1)
	v_fma_f64 v[24:25], v[32:33], v[24:25], v[28:29]
	v_add_f64 v[28:29], v[34:35], v[24:25]
	s_delay_alu instid0(VALU_DEP_1) | instskip(SKIP_1) | instid1(VALU_DEP_2)
	v_add_f64 v[129:130], v[26:27], -v[28:29]
	v_add_f64 v[34:35], v[28:29], -v[34:35]
	;; [unrolled: 1-line block ×3, first 2 shown]
	s_delay_alu instid0(VALU_DEP_2) | instskip(NEXT) | instid1(VALU_DEP_2)
	v_add_f64 v[24:25], v[34:35], -v[24:25]
	v_add_f64 v[26:27], v[26:27], -v[28:29]
	s_delay_alu instid0(VALU_DEP_1) | instskip(SKIP_1) | instid1(VALU_DEP_2)
	v_add_f64 v[8:9], v[8:9], v[26:27]
	v_add_f64 v[26:27], v[30:31], v[32:33]
	;; [unrolled: 1-line block ×3, first 2 shown]
	s_delay_alu instid0(VALU_DEP_2) | instskip(NEXT) | instid1(VALU_DEP_2)
	v_add_f64 v[24:25], v[26:27], -v[30:31]
	v_add_f64 v[8:9], v[129:130], v[8:9]
	s_delay_alu instid0(VALU_DEP_2) | instskip(NEXT) | instid1(VALU_DEP_2)
	v_add_f64 v[24:25], v[32:33], -v[24:25]
	v_mul_f64 v[8:9], v[22:23], v[8:9]
	s_delay_alu instid0(VALU_DEP_1) | instskip(NEXT) | instid1(VALU_DEP_1)
	v_add_f64 v[8:9], v[24:25], v[8:9]
	v_add_f64 v[22:23], v[26:27], v[8:9]
	s_delay_alu instid0(VALU_DEP_1) | instskip(NEXT) | instid1(VALU_DEP_1)
	v_mul_f64 v[24:25], v[22:23], v[22:23]
	v_fma_f64 v[28:29], v[24:25], s[20:21], s[18:19]
	s_mov_b32 s18, 0xd7f4df2e
	s_mov_b32 s19, 0x3fc7474d
	v_mul_f64 v[30:31], v[22:23], v[24:25]
	s_delay_alu instid0(VALU_DEP_2)
	v_fma_f64 v[28:29], v[24:25], v[28:29], s[18:19]
	s_mov_b32 s18, 0x16291751
	s_mov_b32 s19, 0x3fcc71c0
	s_delay_alu instid0(VALU_DEP_1) | instid1(SALU_CYCLE_1)
	v_fma_f64 v[28:29], v[24:25], v[28:29], s[18:19]
	s_mov_b32 s18, 0x9b27acf1
	s_mov_b32 s19, 0x3fd24924
	s_delay_alu instid0(VALU_DEP_1) | instid1(SALU_CYCLE_1)
	;; [unrolled: 4-line block ×3, first 2 shown]
	v_fma_f64 v[28:29], v[24:25], v[28:29], s[18:19]
	s_delay_alu instid0(VALU_DEP_1) | instskip(SKIP_2) | instid1(VALU_DEP_3)
	v_fma_f64 v[24:25], v[24:25], v[28:29], s[8:9]
	v_ldexp_f64 v[28:29], v[22:23], 1
	v_add_f64 v[22:23], v[22:23], -v[26:27]
	v_mul_f64 v[24:25], v[30:31], v[24:25]
	v_cvt_f64_i32_e32 v[30:31], v146
	s_delay_alu instid0(VALU_DEP_3) | instskip(NEXT) | instid1(VALU_DEP_3)
	v_add_f64 v[8:9], v[8:9], -v[22:23]
	v_add_f64 v[26:27], v[28:29], v[24:25]
	s_delay_alu instid0(VALU_DEP_3) | instskip(NEXT) | instid1(VALU_DEP_3)
	v_mul_f64 v[32:33], v[30:31], s[10:11]
	v_ldexp_f64 v[8:9], v[8:9], 1
	s_delay_alu instid0(VALU_DEP_3) | instskip(NEXT) | instid1(VALU_DEP_3)
	v_add_f64 v[22:23], v[26:27], -v[28:29]
	v_fma_f64 v[28:29], v[30:31], s[10:11], -v[32:33]
	s_delay_alu instid0(VALU_DEP_2) | instskip(NEXT) | instid1(VALU_DEP_2)
	v_add_f64 v[22:23], v[24:25], -v[22:23]
	v_fma_f64 v[24:25], v[30:31], s[14:15], v[28:29]
	s_delay_alu instid0(VALU_DEP_2) | instskip(NEXT) | instid1(VALU_DEP_2)
	v_add_f64 v[8:9], v[8:9], v[22:23]
	v_add_f64 v[22:23], v[32:33], v[24:25]
	s_delay_alu instid0(VALU_DEP_2) | instskip(NEXT) | instid1(VALU_DEP_2)
	v_add_f64 v[28:29], v[26:27], v[8:9]
	v_add_f64 v[32:33], v[22:23], -v[32:33]
	s_delay_alu instid0(VALU_DEP_2) | instskip(SKIP_1) | instid1(VALU_DEP_3)
	v_add_f64 v[30:31], v[22:23], v[28:29]
	v_add_f64 v[26:27], v[28:29], -v[26:27]
	v_add_f64 v[24:25], v[24:25], -v[32:33]
	s_delay_alu instid0(VALU_DEP_3) | instskip(NEXT) | instid1(VALU_DEP_3)
	v_add_f64 v[34:35], v[30:31], -v[22:23]
	v_add_f64 v[8:9], v[8:9], -v[26:27]
	s_delay_alu instid0(VALU_DEP_2) | instskip(SKIP_1) | instid1(VALU_DEP_3)
	v_add_f64 v[129:130], v[30:31], -v[34:35]
	v_add_f64 v[26:27], v[28:29], -v[34:35]
	v_add_f64 v[28:29], v[24:25], v[8:9]
	s_delay_alu instid0(VALU_DEP_3) | instskip(NEXT) | instid1(VALU_DEP_1)
	v_add_f64 v[22:23], v[22:23], -v[129:130]
	v_add_f64 v[22:23], v[26:27], v[22:23]
	s_delay_alu instid0(VALU_DEP_3) | instskip(NEXT) | instid1(VALU_DEP_2)
	v_add_f64 v[26:27], v[28:29], -v[24:25]
	v_add_f64 v[22:23], v[28:29], v[22:23]
	s_delay_alu instid0(VALU_DEP_2) | instskip(SKIP_1) | instid1(VALU_DEP_3)
	v_add_f64 v[28:29], v[28:29], -v[26:27]
	v_add_f64 v[8:9], v[8:9], -v[26:27]
	v_add_f64 v[32:33], v[30:31], v[22:23]
	s_delay_alu instid0(VALU_DEP_3) | instskip(NEXT) | instid1(VALU_DEP_2)
	v_add_f64 v[24:25], v[24:25], -v[28:29]
	v_add_f64 v[26:27], v[32:33], -v[30:31]
	s_delay_alu instid0(VALU_DEP_2) | instskip(NEXT) | instid1(VALU_DEP_2)
	v_add_f64 v[8:9], v[8:9], v[24:25]
	v_add_f64 v[22:23], v[22:23], -v[26:27]
	s_delay_alu instid0(VALU_DEP_1) | instskip(NEXT) | instid1(VALU_DEP_1)
	v_add_f64 v[8:9], v[8:9], v[22:23]
	v_add_f64 v[8:9], v[32:33], v[8:9]
	s_delay_alu instid0(VALU_DEP_1) | instskip(SKIP_1) | instid1(VALU_DEP_2)
	v_dual_cndmask_b32 v9, v9, v5 :: v_dual_cndmask_b32 v8, v8, v4
	v_cmp_ngt_f64_e32 vcc_lo, -1.0, v[4:5]
	v_cndmask_b32_e32 v9, 0x7ff80000, v9, vcc_lo
	v_cmp_nge_f64_e32 vcc_lo, -1.0, v[4:5]
	s_delay_alu instid0(VALU_DEP_4) | instskip(SKIP_1) | instid1(VALU_DEP_4)
	v_cndmask_b32_e32 v8, 0, v8, vcc_lo
	v_cmp_neq_f64_e32 vcc_lo, -1.0, v[4:5]
	v_cndmask_b32_e32 v9, 0xfff00000, v9, vcc_lo
	s_delay_alu instid0(VALU_DEP_1)
	v_add_f64 v[4:5], v[6:7], v[8:9]
.LBB8_36:
	s_or_b32 exec_lo, exec_lo, s13
	v_max_f64 v[22:23], v[84:85], v[84:85]
	s_delay_alu instid0(VALU_DEP_2) | instskip(SKIP_2) | instid1(VALU_DEP_3)
	v_max_f64 v[6:7], v[4:5], v[4:5]
	v_cmp_u_f64_e32 vcc_lo, v[4:5], v[4:5]
	v_cmp_u_f64_e64 s8, v[84:85], v[84:85]
	v_min_f64 v[8:9], v[6:7], v[22:23]
	v_max_f64 v[6:7], v[6:7], v[22:23]
	s_delay_alu instid0(VALU_DEP_2) | instskip(NEXT) | instid1(VALU_DEP_2)
	v_dual_cndmask_b32 v8, v8, v4 :: v_dual_cndmask_b32 v9, v9, v5
	v_dual_cndmask_b32 v7, v7, v5 :: v_dual_cndmask_b32 v6, v6, v4
	s_delay_alu instid0(VALU_DEP_2) | instskip(NEXT) | instid1(VALU_DEP_3)
	v_cndmask_b32_e64 v8, v8, v84, s8
	v_cndmask_b32_e64 v9, v9, v85, s8
	s_delay_alu instid0(VALU_DEP_3) | instskip(NEXT) | instid1(VALU_DEP_4)
	v_cndmask_b32_e64 v7, v7, v85, s8
	v_cndmask_b32_e64 v6, v6, v84, s8
	s_delay_alu instid0(VALU_DEP_3) | instskip(NEXT) | instid1(VALU_DEP_2)
	v_cmp_class_f64_e64 s9, v[8:9], 0x1f8
	v_cmp_neq_f64_e32 vcc_lo, v[8:9], v[6:7]
	s_delay_alu instid0(VALU_DEP_2) | instskip(NEXT) | instid1(SALU_CYCLE_1)
	s_or_b32 s9, vcc_lo, s9
	s_and_saveexec_b32 s13, s9
	s_cbranch_execz .LBB8_38
; %bb.37:
	v_add_f64 v[4:5], v[8:9], -v[6:7]
	s_mov_b32 s10, 0x652b82fe
	s_mov_b32 s11, 0x3ff71547
	;; [unrolled: 1-line block ×10, first 2 shown]
	s_delay_alu instid0(VALU_DEP_1) | instskip(SKIP_4) | instid1(VALU_DEP_3)
	v_mul_f64 v[8:9], v[4:5], s[10:11]
	s_mov_b32 s11, 0xbfe62e42
	s_mov_b32 s10, 0xfefa39ef
	v_cmp_nlt_f64_e32 vcc_lo, 0x40900000, v[4:5]
	v_cmp_ngt_f64_e64 s9, 0xc090cc00, v[4:5]
	v_rndne_f64_e32 v[8:9], v[8:9]
	s_delay_alu instid0(VALU_DEP_1) | instskip(SKIP_2) | instid1(VALU_DEP_2)
	v_fma_f64 v[24:25], v[8:9], s[10:11], v[4:5]
	v_cvt_i32_f64_e32 v28, v[8:9]
	s_mov_b32 s11, 0x3fe62e42
	v_fma_f64 v[24:25], v[8:9], s[14:15], v[24:25]
	s_mov_b32 s15, 0x3c7abc9e
	s_delay_alu instid0(VALU_DEP_1) | instskip(SKIP_4) | instid1(VALU_DEP_1)
	v_fma_f64 v[26:27], v[24:25], s[20:21], s[18:19]
	s_mov_b32 s18, 0x623fde64
	s_mov_b32 s19, 0x3ec71dee
	;; [unrolled: 1-line block ×4, first 2 shown]
	v_fma_f64 v[26:27], v[24:25], v[26:27], s[18:19]
	s_mov_b32 s18, 0x7c89e6b0
	s_mov_b32 s19, 0x3efa0199
	s_delay_alu instid0(VALU_DEP_1) | instid1(SALU_CYCLE_1)
	v_fma_f64 v[26:27], v[24:25], v[26:27], s[18:19]
	s_mov_b32 s18, 0x14761f6e
	s_mov_b32 s19, 0x3f2a01a0
	s_delay_alu instid0(VALU_DEP_1) | instid1(SALU_CYCLE_1)
	;; [unrolled: 4-line block ×7, first 2 shown]
	v_fma_f64 v[26:27], v[24:25], v[26:27], s[18:19]
	s_mov_b32 s19, 0x3fe55555
	s_mov_b32 s18, 0x55555555
	s_delay_alu instid0(VALU_DEP_1) | instskip(NEXT) | instid1(VALU_DEP_1)
	v_fma_f64 v[26:27], v[24:25], v[26:27], 1.0
	v_fma_f64 v[8:9], v[24:25], v[26:27], 1.0
	s_delay_alu instid0(VALU_DEP_1) | instskip(NEXT) | instid1(VALU_DEP_1)
	v_ldexp_f64 v[8:9], v[8:9], v28
	v_cndmask_b32_e32 v9, 0x7ff00000, v9, vcc_lo
	s_and_b32 vcc_lo, s9, vcc_lo
	s_delay_alu instid0(VALU_DEP_1) | instskip(NEXT) | instid1(VALU_DEP_3)
	v_cndmask_b32_e64 v5, 0, v9, s9
	v_cndmask_b32_e32 v4, 0, v8, vcc_lo
	s_delay_alu instid0(VALU_DEP_1) | instskip(NEXT) | instid1(VALU_DEP_1)
	v_add_f64 v[8:9], v[4:5], 1.0
	v_frexp_mant_f64_e32 v[24:25], v[8:9]
	v_frexp_exp_i32_f64_e32 v28, v[8:9]
	v_add_f64 v[26:27], v[8:9], -1.0
	s_delay_alu instid0(VALU_DEP_3) | instskip(SKIP_1) | instid1(VALU_DEP_2)
	v_cmp_gt_f64_e32 vcc_lo, s[18:19], v[24:25]
	s_mov_b32 s18, 0x55555780
	v_add_f64 v[24:25], v[26:27], -v[8:9]
	v_add_f64 v[26:27], v[4:5], -v[26:27]
	v_subrev_co_ci_u32_e32 v148, vcc_lo, 0, v28, vcc_lo
	s_delay_alu instid0(VALU_DEP_3) | instskip(SKIP_1) | instid1(VALU_DEP_3)
	v_add_f64 v[24:25], v[24:25], 1.0
	v_cmp_eq_f64_e32 vcc_lo, 0x7ff00000, v[4:5]
	v_sub_nc_u32_e32 v30, 0, v148
	s_delay_alu instid0(VALU_DEP_1) | instskip(NEXT) | instid1(VALU_DEP_4)
	v_ldexp_f64 v[8:9], v[8:9], v30
	v_add_f64 v[24:25], v[26:27], v[24:25]
	s_delay_alu instid0(VALU_DEP_2) | instskip(SKIP_1) | instid1(VALU_DEP_3)
	v_add_f64 v[28:29], v[8:9], 1.0
	v_add_f64 v[34:35], v[8:9], -1.0
	v_ldexp_f64 v[24:25], v[24:25], v30
	s_delay_alu instid0(VALU_DEP_3) | instskip(NEXT) | instid1(VALU_DEP_3)
	v_add_f64 v[26:27], v[28:29], -1.0
	v_add_f64 v[129:130], v[34:35], 1.0
	s_delay_alu instid0(VALU_DEP_2) | instskip(NEXT) | instid1(VALU_DEP_2)
	v_add_f64 v[26:27], v[8:9], -v[26:27]
	v_add_f64 v[8:9], v[8:9], -v[129:130]
	s_delay_alu instid0(VALU_DEP_2) | instskip(NEXT) | instid1(VALU_DEP_2)
	v_add_f64 v[26:27], v[24:25], v[26:27]
	v_add_f64 v[8:9], v[24:25], v[8:9]
	s_delay_alu instid0(VALU_DEP_2) | instskip(NEXT) | instid1(VALU_DEP_2)
	v_add_f64 v[30:31], v[28:29], v[26:27]
	v_add_f64 v[129:130], v[34:35], v[8:9]
	s_delay_alu instid0(VALU_DEP_2) | instskip(SKIP_1) | instid1(VALU_DEP_2)
	v_rcp_f64_e32 v[32:33], v[30:31]
	v_add_f64 v[28:29], v[30:31], -v[28:29]
	v_add_f64 v[34:35], v[129:130], -v[34:35]
	s_delay_alu instid0(VALU_DEP_2) | instskip(SKIP_3) | instid1(VALU_DEP_2)
	v_add_f64 v[26:27], v[26:27], -v[28:29]
	s_waitcnt_depctr 0xfff
	v_fma_f64 v[133:134], -v[30:31], v[32:33], 1.0
	v_add_f64 v[8:9], v[8:9], -v[34:35]
	v_fma_f64 v[32:33], v[133:134], v[32:33], v[32:33]
	s_delay_alu instid0(VALU_DEP_1) | instskip(NEXT) | instid1(VALU_DEP_1)
	v_fma_f64 v[24:25], -v[30:31], v[32:33], 1.0
	v_fma_f64 v[24:25], v[24:25], v[32:33], v[32:33]
	s_delay_alu instid0(VALU_DEP_1) | instskip(NEXT) | instid1(VALU_DEP_1)
	v_mul_f64 v[32:33], v[129:130], v[24:25]
	v_mul_f64 v[133:134], v[30:31], v[32:33]
	s_delay_alu instid0(VALU_DEP_1) | instskip(NEXT) | instid1(VALU_DEP_1)
	v_fma_f64 v[28:29], v[32:33], v[30:31], -v[133:134]
	v_fma_f64 v[28:29], v[32:33], v[26:27], v[28:29]
	s_delay_alu instid0(VALU_DEP_1) | instskip(NEXT) | instid1(VALU_DEP_1)
	v_add_f64 v[144:145], v[133:134], v[28:29]
	v_add_f64 v[146:147], v[129:130], -v[144:145]
	v_add_f64 v[34:35], v[144:145], -v[133:134]
	s_delay_alu instid0(VALU_DEP_2) | instskip(NEXT) | instid1(VALU_DEP_2)
	v_add_f64 v[129:130], v[129:130], -v[146:147]
	v_add_f64 v[28:29], v[34:35], -v[28:29]
	s_delay_alu instid0(VALU_DEP_2) | instskip(NEXT) | instid1(VALU_DEP_1)
	v_add_f64 v[129:130], v[129:130], -v[144:145]
	v_add_f64 v[8:9], v[8:9], v[129:130]
	s_delay_alu instid0(VALU_DEP_1) | instskip(NEXT) | instid1(VALU_DEP_1)
	v_add_f64 v[8:9], v[28:29], v[8:9]
	v_add_f64 v[28:29], v[146:147], v[8:9]
	s_delay_alu instid0(VALU_DEP_1) | instskip(SKIP_1) | instid1(VALU_DEP_2)
	v_mul_f64 v[34:35], v[24:25], v[28:29]
	v_add_f64 v[144:145], v[146:147], -v[28:29]
	v_mul_f64 v[129:130], v[30:31], v[34:35]
	s_delay_alu instid0(VALU_DEP_2) | instskip(NEXT) | instid1(VALU_DEP_2)
	v_add_f64 v[8:9], v[8:9], v[144:145]
	v_fma_f64 v[30:31], v[34:35], v[30:31], -v[129:130]
	s_delay_alu instid0(VALU_DEP_1) | instskip(NEXT) | instid1(VALU_DEP_1)
	v_fma_f64 v[26:27], v[34:35], v[26:27], v[30:31]
	v_add_f64 v[30:31], v[129:130], v[26:27]
	s_delay_alu instid0(VALU_DEP_1) | instskip(SKIP_1) | instid1(VALU_DEP_2)
	v_add_f64 v[133:134], v[28:29], -v[30:31]
	v_add_f64 v[129:130], v[30:31], -v[129:130]
	;; [unrolled: 1-line block ×3, first 2 shown]
	s_delay_alu instid0(VALU_DEP_2) | instskip(NEXT) | instid1(VALU_DEP_2)
	v_add_f64 v[26:27], v[129:130], -v[26:27]
	v_add_f64 v[28:29], v[28:29], -v[30:31]
	s_delay_alu instid0(VALU_DEP_1) | instskip(SKIP_1) | instid1(VALU_DEP_2)
	v_add_f64 v[8:9], v[8:9], v[28:29]
	v_add_f64 v[28:29], v[32:33], v[34:35]
	;; [unrolled: 1-line block ×3, first 2 shown]
	s_delay_alu instid0(VALU_DEP_2) | instskip(NEXT) | instid1(VALU_DEP_2)
	v_add_f64 v[26:27], v[28:29], -v[32:33]
	v_add_f64 v[8:9], v[133:134], v[8:9]
	s_delay_alu instid0(VALU_DEP_2) | instskip(NEXT) | instid1(VALU_DEP_2)
	v_add_f64 v[26:27], v[34:35], -v[26:27]
	v_mul_f64 v[8:9], v[24:25], v[8:9]
	s_delay_alu instid0(VALU_DEP_1) | instskip(NEXT) | instid1(VALU_DEP_1)
	v_add_f64 v[8:9], v[26:27], v[8:9]
	v_add_f64 v[24:25], v[28:29], v[8:9]
	s_delay_alu instid0(VALU_DEP_1) | instskip(NEXT) | instid1(VALU_DEP_1)
	v_mul_f64 v[26:27], v[24:25], v[24:25]
	v_fma_f64 v[30:31], v[26:27], s[24:25], s[20:21]
	s_mov_b32 s20, 0xd7f4df2e
	s_mov_b32 s21, 0x3fc7474d
	v_mul_f64 v[32:33], v[24:25], v[26:27]
	s_delay_alu instid0(VALU_DEP_2)
	v_fma_f64 v[30:31], v[26:27], v[30:31], s[20:21]
	s_mov_b32 s20, 0x16291751
	s_mov_b32 s21, 0x3fcc71c0
	s_delay_alu instid0(VALU_DEP_1) | instid1(SALU_CYCLE_1)
	v_fma_f64 v[30:31], v[26:27], v[30:31], s[20:21]
	s_mov_b32 s20, 0x9b27acf1
	s_mov_b32 s21, 0x3fd24924
	s_delay_alu instid0(VALU_DEP_1) | instid1(SALU_CYCLE_1)
	;; [unrolled: 4-line block ×3, first 2 shown]
	v_fma_f64 v[30:31], v[26:27], v[30:31], s[20:21]
	s_delay_alu instid0(VALU_DEP_1) | instskip(SKIP_2) | instid1(VALU_DEP_3)
	v_fma_f64 v[26:27], v[26:27], v[30:31], s[18:19]
	v_ldexp_f64 v[30:31], v[24:25], 1
	v_add_f64 v[24:25], v[24:25], -v[28:29]
	v_mul_f64 v[26:27], v[32:33], v[26:27]
	v_cvt_f64_i32_e32 v[32:33], v148
	s_delay_alu instid0(VALU_DEP_3) | instskip(NEXT) | instid1(VALU_DEP_3)
	v_add_f64 v[8:9], v[8:9], -v[24:25]
	v_add_f64 v[28:29], v[30:31], v[26:27]
	s_delay_alu instid0(VALU_DEP_3) | instskip(NEXT) | instid1(VALU_DEP_3)
	v_mul_f64 v[34:35], v[32:33], s[10:11]
	v_ldexp_f64 v[8:9], v[8:9], 1
	s_delay_alu instid0(VALU_DEP_3) | instskip(NEXT) | instid1(VALU_DEP_3)
	v_add_f64 v[24:25], v[28:29], -v[30:31]
	v_fma_f64 v[30:31], v[32:33], s[10:11], -v[34:35]
	s_delay_alu instid0(VALU_DEP_2) | instskip(NEXT) | instid1(VALU_DEP_2)
	v_add_f64 v[24:25], v[26:27], -v[24:25]
	v_fma_f64 v[26:27], v[32:33], s[14:15], v[30:31]
	s_delay_alu instid0(VALU_DEP_2) | instskip(NEXT) | instid1(VALU_DEP_2)
	v_add_f64 v[8:9], v[8:9], v[24:25]
	v_add_f64 v[24:25], v[34:35], v[26:27]
	s_delay_alu instid0(VALU_DEP_2) | instskip(NEXT) | instid1(VALU_DEP_2)
	v_add_f64 v[30:31], v[28:29], v[8:9]
	v_add_f64 v[34:35], v[24:25], -v[34:35]
	s_delay_alu instid0(VALU_DEP_2) | instskip(SKIP_1) | instid1(VALU_DEP_3)
	v_add_f64 v[32:33], v[24:25], v[30:31]
	v_add_f64 v[28:29], v[30:31], -v[28:29]
	v_add_f64 v[26:27], v[26:27], -v[34:35]
	s_delay_alu instid0(VALU_DEP_3) | instskip(NEXT) | instid1(VALU_DEP_3)
	v_add_f64 v[129:130], v[32:33], -v[24:25]
	v_add_f64 v[8:9], v[8:9], -v[28:29]
	s_delay_alu instid0(VALU_DEP_2) | instskip(SKIP_1) | instid1(VALU_DEP_3)
	v_add_f64 v[133:134], v[32:33], -v[129:130]
	v_add_f64 v[28:29], v[30:31], -v[129:130]
	v_add_f64 v[30:31], v[26:27], v[8:9]
	s_delay_alu instid0(VALU_DEP_3) | instskip(NEXT) | instid1(VALU_DEP_1)
	v_add_f64 v[24:25], v[24:25], -v[133:134]
	v_add_f64 v[24:25], v[28:29], v[24:25]
	s_delay_alu instid0(VALU_DEP_3) | instskip(NEXT) | instid1(VALU_DEP_2)
	v_add_f64 v[28:29], v[30:31], -v[26:27]
	v_add_f64 v[24:25], v[30:31], v[24:25]
	s_delay_alu instid0(VALU_DEP_2) | instskip(SKIP_1) | instid1(VALU_DEP_3)
	v_add_f64 v[30:31], v[30:31], -v[28:29]
	v_add_f64 v[8:9], v[8:9], -v[28:29]
	v_add_f64 v[34:35], v[32:33], v[24:25]
	s_delay_alu instid0(VALU_DEP_3) | instskip(NEXT) | instid1(VALU_DEP_2)
	v_add_f64 v[26:27], v[26:27], -v[30:31]
	v_add_f64 v[28:29], v[34:35], -v[32:33]
	s_delay_alu instid0(VALU_DEP_2) | instskip(NEXT) | instid1(VALU_DEP_2)
	v_add_f64 v[8:9], v[8:9], v[26:27]
	v_add_f64 v[24:25], v[24:25], -v[28:29]
	s_delay_alu instid0(VALU_DEP_1) | instskip(NEXT) | instid1(VALU_DEP_1)
	v_add_f64 v[8:9], v[8:9], v[24:25]
	v_add_f64 v[8:9], v[34:35], v[8:9]
	s_delay_alu instid0(VALU_DEP_1) | instskip(SKIP_1) | instid1(VALU_DEP_2)
	v_dual_cndmask_b32 v9, v9, v5 :: v_dual_cndmask_b32 v8, v8, v4
	v_cmp_ngt_f64_e32 vcc_lo, -1.0, v[4:5]
	v_cndmask_b32_e32 v9, 0x7ff80000, v9, vcc_lo
	v_cmp_nge_f64_e32 vcc_lo, -1.0, v[4:5]
	s_delay_alu instid0(VALU_DEP_4) | instskip(SKIP_1) | instid1(VALU_DEP_4)
	v_cndmask_b32_e32 v8, 0, v8, vcc_lo
	v_cmp_neq_f64_e32 vcc_lo, -1.0, v[4:5]
	v_cndmask_b32_e32 v9, 0xfff00000, v9, vcc_lo
	s_delay_alu instid0(VALU_DEP_1)
	v_add_f64 v[4:5], v[6:7], v[8:9]
.LBB8_38:
	s_or_b32 exec_lo, exec_lo, s13
	v_max_f64 v[24:25], v[86:87], v[86:87]
	s_delay_alu instid0(VALU_DEP_2) | instskip(SKIP_2) | instid1(VALU_DEP_3)
	v_max_f64 v[6:7], v[4:5], v[4:5]
	v_cmp_u_f64_e32 vcc_lo, v[4:5], v[4:5]
	v_cmp_u_f64_e64 s9, v[86:87], v[86:87]
	v_min_f64 v[8:9], v[6:7], v[24:25]
	v_max_f64 v[6:7], v[6:7], v[24:25]
	s_delay_alu instid0(VALU_DEP_2) | instskip(NEXT) | instid1(VALU_DEP_2)
	v_dual_cndmask_b32 v8, v8, v4 :: v_dual_cndmask_b32 v9, v9, v5
	v_dual_cndmask_b32 v7, v7, v5 :: v_dual_cndmask_b32 v6, v6, v4
	s_delay_alu instid0(VALU_DEP_2) | instskip(NEXT) | instid1(VALU_DEP_3)
	v_cndmask_b32_e64 v8, v8, v86, s9
	v_cndmask_b32_e64 v9, v9, v87, s9
	s_delay_alu instid0(VALU_DEP_3) | instskip(NEXT) | instid1(VALU_DEP_4)
	v_cndmask_b32_e64 v7, v7, v87, s9
	v_cndmask_b32_e64 v6, v6, v86, s9
	s_delay_alu instid0(VALU_DEP_3) | instskip(NEXT) | instid1(VALU_DEP_2)
	v_cmp_class_f64_e64 s10, v[8:9], 0x1f8
	v_cmp_neq_f64_e32 vcc_lo, v[8:9], v[6:7]
	s_delay_alu instid0(VALU_DEP_2) | instskip(NEXT) | instid1(SALU_CYCLE_1)
	s_or_b32 s10, vcc_lo, s10
	s_and_saveexec_b32 s13, s10
	s_cbranch_execz .LBB8_40
; %bb.39:
	v_add_f64 v[4:5], v[8:9], -v[6:7]
	s_mov_b32 s10, 0x652b82fe
	s_mov_b32 s11, 0x3ff71547
	;; [unrolled: 1-line block ×10, first 2 shown]
	s_delay_alu instid0(VALU_DEP_1) | instskip(SKIP_3) | instid1(VALU_DEP_2)
	v_mul_f64 v[8:9], v[4:5], s[10:11]
	s_mov_b32 s10, 0xfca7ab0c
	s_mov_b32 s11, 0x3e928af3
	v_cmp_nlt_f64_e32 vcc_lo, 0x40900000, v[4:5]
	v_rndne_f64_e32 v[8:9], v[8:9]
	s_delay_alu instid0(VALU_DEP_1) | instskip(SKIP_2) | instid1(VALU_DEP_2)
	v_fma_f64 v[26:27], v[8:9], s[14:15], v[4:5]
	v_cvt_i32_f64_e32 v30, v[8:9]
	s_mov_b32 s15, 0x3fe62e42
	v_fma_f64 v[26:27], v[8:9], s[18:19], v[26:27]
	s_mov_b32 s19, 0x3c7abc9e
	s_delay_alu instid0(VALU_DEP_1) | instskip(SKIP_4) | instid1(VALU_DEP_1)
	v_fma_f64 v[28:29], v[26:27], s[20:21], s[10:11]
	s_mov_b32 s10, 0x623fde64
	s_mov_b32 s11, 0x3ec71dee
	;; [unrolled: 1-line block ×4, first 2 shown]
	v_fma_f64 v[28:29], v[26:27], v[28:29], s[10:11]
	s_mov_b32 s10, 0x7c89e6b0
	s_mov_b32 s11, 0x3efa0199
	s_delay_alu instid0(VALU_DEP_1) | instid1(SALU_CYCLE_1)
	v_fma_f64 v[28:29], v[26:27], v[28:29], s[10:11]
	s_mov_b32 s10, 0x14761f6e
	s_mov_b32 s11, 0x3f2a01a0
	s_delay_alu instid0(VALU_DEP_1) | instid1(SALU_CYCLE_1)
	;; [unrolled: 4-line block ×7, first 2 shown]
	v_fma_f64 v[28:29], v[26:27], v[28:29], s[10:11]
	v_cmp_ngt_f64_e64 s10, 0xc090cc00, v[4:5]
	s_mov_b32 s11, 0x3fe55555
	s_delay_alu instid0(VALU_DEP_2) | instskip(NEXT) | instid1(VALU_DEP_1)
	v_fma_f64 v[28:29], v[26:27], v[28:29], 1.0
	v_fma_f64 v[8:9], v[26:27], v[28:29], 1.0
	s_delay_alu instid0(VALU_DEP_1) | instskip(NEXT) | instid1(VALU_DEP_1)
	v_ldexp_f64 v[8:9], v[8:9], v30
	v_cndmask_b32_e32 v9, 0x7ff00000, v9, vcc_lo
	s_and_b32 vcc_lo, s10, vcc_lo
	s_delay_alu instid0(VALU_DEP_1) | instskip(NEXT) | instid1(VALU_DEP_3)
	v_cndmask_b32_e64 v5, 0, v9, s10
	v_cndmask_b32_e32 v4, 0, v8, vcc_lo
	s_mov_b32 s10, 0x55555555
	s_delay_alu instid0(VALU_DEP_1) | instskip(NEXT) | instid1(VALU_DEP_1)
	v_add_f64 v[8:9], v[4:5], 1.0
	v_frexp_mant_f64_e32 v[26:27], v[8:9]
	v_frexp_exp_i32_f64_e32 v30, v[8:9]
	v_add_f64 v[28:29], v[8:9], -1.0
	s_delay_alu instid0(VALU_DEP_3) | instskip(SKIP_1) | instid1(VALU_DEP_2)
	v_cmp_gt_f64_e32 vcc_lo, s[10:11], v[26:27]
	s_mov_b32 s10, 0x55555780
	v_add_f64 v[26:27], v[28:29], -v[8:9]
	v_add_f64 v[28:29], v[4:5], -v[28:29]
	v_subrev_co_ci_u32_e32 v150, vcc_lo, 0, v30, vcc_lo
	s_delay_alu instid0(VALU_DEP_3) | instskip(SKIP_1) | instid1(VALU_DEP_3)
	v_add_f64 v[26:27], v[26:27], 1.0
	v_cmp_eq_f64_e32 vcc_lo, 0x7ff00000, v[4:5]
	v_sub_nc_u32_e32 v32, 0, v150
	s_delay_alu instid0(VALU_DEP_1) | instskip(NEXT) | instid1(VALU_DEP_4)
	v_ldexp_f64 v[8:9], v[8:9], v32
	v_add_f64 v[26:27], v[28:29], v[26:27]
	s_delay_alu instid0(VALU_DEP_2) | instskip(SKIP_1) | instid1(VALU_DEP_3)
	v_add_f64 v[30:31], v[8:9], 1.0
	v_add_f64 v[129:130], v[8:9], -1.0
	v_ldexp_f64 v[26:27], v[26:27], v32
	s_delay_alu instid0(VALU_DEP_3) | instskip(NEXT) | instid1(VALU_DEP_3)
	v_add_f64 v[28:29], v[30:31], -1.0
	v_add_f64 v[133:134], v[129:130], 1.0
	s_delay_alu instid0(VALU_DEP_2) | instskip(NEXT) | instid1(VALU_DEP_2)
	v_add_f64 v[28:29], v[8:9], -v[28:29]
	v_add_f64 v[8:9], v[8:9], -v[133:134]
	s_delay_alu instid0(VALU_DEP_2) | instskip(NEXT) | instid1(VALU_DEP_2)
	v_add_f64 v[28:29], v[26:27], v[28:29]
	v_add_f64 v[8:9], v[26:27], v[8:9]
	s_delay_alu instid0(VALU_DEP_2) | instskip(NEXT) | instid1(VALU_DEP_2)
	v_add_f64 v[32:33], v[30:31], v[28:29]
	v_add_f64 v[133:134], v[129:130], v[8:9]
	s_delay_alu instid0(VALU_DEP_2) | instskip(SKIP_1) | instid1(VALU_DEP_2)
	v_rcp_f64_e32 v[34:35], v[32:33]
	v_add_f64 v[30:31], v[32:33], -v[30:31]
	v_add_f64 v[129:130], v[133:134], -v[129:130]
	s_delay_alu instid0(VALU_DEP_2) | instskip(SKIP_3) | instid1(VALU_DEP_2)
	v_add_f64 v[28:29], v[28:29], -v[30:31]
	s_waitcnt_depctr 0xfff
	v_fma_f64 v[144:145], -v[32:33], v[34:35], 1.0
	v_add_f64 v[8:9], v[8:9], -v[129:130]
	v_fma_f64 v[34:35], v[144:145], v[34:35], v[34:35]
	s_delay_alu instid0(VALU_DEP_1) | instskip(NEXT) | instid1(VALU_DEP_1)
	v_fma_f64 v[26:27], -v[32:33], v[34:35], 1.0
	v_fma_f64 v[26:27], v[26:27], v[34:35], v[34:35]
	s_delay_alu instid0(VALU_DEP_1) | instskip(NEXT) | instid1(VALU_DEP_1)
	v_mul_f64 v[34:35], v[133:134], v[26:27]
	v_mul_f64 v[144:145], v[32:33], v[34:35]
	s_delay_alu instid0(VALU_DEP_1) | instskip(NEXT) | instid1(VALU_DEP_1)
	v_fma_f64 v[30:31], v[34:35], v[32:33], -v[144:145]
	v_fma_f64 v[30:31], v[34:35], v[28:29], v[30:31]
	s_delay_alu instid0(VALU_DEP_1) | instskip(NEXT) | instid1(VALU_DEP_1)
	v_add_f64 v[146:147], v[144:145], v[30:31]
	v_add_f64 v[148:149], v[133:134], -v[146:147]
	v_add_f64 v[129:130], v[146:147], -v[144:145]
	s_delay_alu instid0(VALU_DEP_2) | instskip(NEXT) | instid1(VALU_DEP_2)
	v_add_f64 v[133:134], v[133:134], -v[148:149]
	v_add_f64 v[30:31], v[129:130], -v[30:31]
	s_delay_alu instid0(VALU_DEP_2) | instskip(NEXT) | instid1(VALU_DEP_1)
	v_add_f64 v[133:134], v[133:134], -v[146:147]
	v_add_f64 v[8:9], v[8:9], v[133:134]
	s_delay_alu instid0(VALU_DEP_1) | instskip(NEXT) | instid1(VALU_DEP_1)
	v_add_f64 v[8:9], v[30:31], v[8:9]
	v_add_f64 v[30:31], v[148:149], v[8:9]
	s_delay_alu instid0(VALU_DEP_1) | instskip(SKIP_1) | instid1(VALU_DEP_2)
	v_mul_f64 v[129:130], v[26:27], v[30:31]
	v_add_f64 v[146:147], v[148:149], -v[30:31]
	v_mul_f64 v[133:134], v[32:33], v[129:130]
	s_delay_alu instid0(VALU_DEP_2) | instskip(NEXT) | instid1(VALU_DEP_2)
	v_add_f64 v[8:9], v[8:9], v[146:147]
	v_fma_f64 v[32:33], v[129:130], v[32:33], -v[133:134]
	s_delay_alu instid0(VALU_DEP_1) | instskip(NEXT) | instid1(VALU_DEP_1)
	v_fma_f64 v[28:29], v[129:130], v[28:29], v[32:33]
	v_add_f64 v[32:33], v[133:134], v[28:29]
	s_delay_alu instid0(VALU_DEP_1) | instskip(SKIP_1) | instid1(VALU_DEP_2)
	v_add_f64 v[144:145], v[30:31], -v[32:33]
	v_add_f64 v[133:134], v[32:33], -v[133:134]
	;; [unrolled: 1-line block ×3, first 2 shown]
	s_delay_alu instid0(VALU_DEP_2) | instskip(NEXT) | instid1(VALU_DEP_2)
	v_add_f64 v[28:29], v[133:134], -v[28:29]
	v_add_f64 v[30:31], v[30:31], -v[32:33]
	s_delay_alu instid0(VALU_DEP_1) | instskip(SKIP_1) | instid1(VALU_DEP_2)
	v_add_f64 v[8:9], v[8:9], v[30:31]
	v_add_f64 v[30:31], v[34:35], v[129:130]
	;; [unrolled: 1-line block ×3, first 2 shown]
	s_delay_alu instid0(VALU_DEP_2) | instskip(NEXT) | instid1(VALU_DEP_2)
	v_add_f64 v[28:29], v[30:31], -v[34:35]
	v_add_f64 v[8:9], v[144:145], v[8:9]
	s_delay_alu instid0(VALU_DEP_2) | instskip(NEXT) | instid1(VALU_DEP_2)
	v_add_f64 v[28:29], v[129:130], -v[28:29]
	v_mul_f64 v[8:9], v[26:27], v[8:9]
	s_delay_alu instid0(VALU_DEP_1) | instskip(NEXT) | instid1(VALU_DEP_1)
	v_add_f64 v[8:9], v[28:29], v[8:9]
	v_add_f64 v[26:27], v[30:31], v[8:9]
	s_delay_alu instid0(VALU_DEP_1) | instskip(NEXT) | instid1(VALU_DEP_1)
	v_mul_f64 v[28:29], v[26:27], v[26:27]
	v_fma_f64 v[32:33], v[28:29], s[24:25], s[20:21]
	s_mov_b32 s20, 0xd7f4df2e
	s_mov_b32 s21, 0x3fc7474d
	v_mul_f64 v[34:35], v[26:27], v[28:29]
	s_delay_alu instid0(VALU_DEP_2)
	v_fma_f64 v[32:33], v[28:29], v[32:33], s[20:21]
	s_mov_b32 s20, 0x16291751
	s_mov_b32 s21, 0x3fcc71c0
	s_delay_alu instid0(VALU_DEP_1) | instid1(SALU_CYCLE_1)
	v_fma_f64 v[32:33], v[28:29], v[32:33], s[20:21]
	s_mov_b32 s20, 0x9b27acf1
	s_mov_b32 s21, 0x3fd24924
	s_delay_alu instid0(VALU_DEP_1) | instid1(SALU_CYCLE_1)
	;; [unrolled: 4-line block ×3, first 2 shown]
	v_fma_f64 v[32:33], v[28:29], v[32:33], s[20:21]
	s_delay_alu instid0(VALU_DEP_1) | instskip(SKIP_2) | instid1(VALU_DEP_3)
	v_fma_f64 v[28:29], v[28:29], v[32:33], s[10:11]
	v_ldexp_f64 v[32:33], v[26:27], 1
	v_add_f64 v[26:27], v[26:27], -v[30:31]
	v_mul_f64 v[28:29], v[34:35], v[28:29]
	v_cvt_f64_i32_e32 v[34:35], v150
	s_delay_alu instid0(VALU_DEP_3) | instskip(NEXT) | instid1(VALU_DEP_3)
	v_add_f64 v[8:9], v[8:9], -v[26:27]
	v_add_f64 v[30:31], v[32:33], v[28:29]
	s_delay_alu instid0(VALU_DEP_3) | instskip(NEXT) | instid1(VALU_DEP_3)
	v_mul_f64 v[129:130], v[34:35], s[14:15]
	v_ldexp_f64 v[8:9], v[8:9], 1
	s_delay_alu instid0(VALU_DEP_3) | instskip(NEXT) | instid1(VALU_DEP_3)
	v_add_f64 v[26:27], v[30:31], -v[32:33]
	v_fma_f64 v[32:33], v[34:35], s[14:15], -v[129:130]
	s_delay_alu instid0(VALU_DEP_2) | instskip(NEXT) | instid1(VALU_DEP_2)
	v_add_f64 v[26:27], v[28:29], -v[26:27]
	v_fma_f64 v[28:29], v[34:35], s[18:19], v[32:33]
	s_delay_alu instid0(VALU_DEP_2) | instskip(NEXT) | instid1(VALU_DEP_2)
	v_add_f64 v[8:9], v[8:9], v[26:27]
	v_add_f64 v[26:27], v[129:130], v[28:29]
	s_delay_alu instid0(VALU_DEP_2) | instskip(NEXT) | instid1(VALU_DEP_2)
	v_add_f64 v[32:33], v[30:31], v[8:9]
	v_add_f64 v[129:130], v[26:27], -v[129:130]
	s_delay_alu instid0(VALU_DEP_2) | instskip(SKIP_1) | instid1(VALU_DEP_3)
	v_add_f64 v[34:35], v[26:27], v[32:33]
	v_add_f64 v[30:31], v[32:33], -v[30:31]
	v_add_f64 v[28:29], v[28:29], -v[129:130]
	s_delay_alu instid0(VALU_DEP_3) | instskip(NEXT) | instid1(VALU_DEP_3)
	v_add_f64 v[133:134], v[34:35], -v[26:27]
	v_add_f64 v[8:9], v[8:9], -v[30:31]
	s_delay_alu instid0(VALU_DEP_2) | instskip(SKIP_1) | instid1(VALU_DEP_3)
	v_add_f64 v[144:145], v[34:35], -v[133:134]
	v_add_f64 v[30:31], v[32:33], -v[133:134]
	v_add_f64 v[32:33], v[28:29], v[8:9]
	s_delay_alu instid0(VALU_DEP_3) | instskip(NEXT) | instid1(VALU_DEP_1)
	v_add_f64 v[26:27], v[26:27], -v[144:145]
	v_add_f64 v[26:27], v[30:31], v[26:27]
	s_delay_alu instid0(VALU_DEP_3) | instskip(NEXT) | instid1(VALU_DEP_2)
	v_add_f64 v[30:31], v[32:33], -v[28:29]
	v_add_f64 v[26:27], v[32:33], v[26:27]
	s_delay_alu instid0(VALU_DEP_2) | instskip(SKIP_1) | instid1(VALU_DEP_3)
	v_add_f64 v[32:33], v[32:33], -v[30:31]
	v_add_f64 v[8:9], v[8:9], -v[30:31]
	v_add_f64 v[129:130], v[34:35], v[26:27]
	s_delay_alu instid0(VALU_DEP_3) | instskip(NEXT) | instid1(VALU_DEP_2)
	v_add_f64 v[28:29], v[28:29], -v[32:33]
	v_add_f64 v[30:31], v[129:130], -v[34:35]
	s_delay_alu instid0(VALU_DEP_2) | instskip(NEXT) | instid1(VALU_DEP_2)
	v_add_f64 v[8:9], v[8:9], v[28:29]
	v_add_f64 v[26:27], v[26:27], -v[30:31]
	s_delay_alu instid0(VALU_DEP_1) | instskip(NEXT) | instid1(VALU_DEP_1)
	v_add_f64 v[8:9], v[8:9], v[26:27]
	v_add_f64 v[8:9], v[129:130], v[8:9]
	s_delay_alu instid0(VALU_DEP_1) | instskip(SKIP_1) | instid1(VALU_DEP_2)
	v_dual_cndmask_b32 v9, v9, v5 :: v_dual_cndmask_b32 v8, v8, v4
	v_cmp_ngt_f64_e32 vcc_lo, -1.0, v[4:5]
	v_cndmask_b32_e32 v9, 0x7ff80000, v9, vcc_lo
	v_cmp_nge_f64_e32 vcc_lo, -1.0, v[4:5]
	s_delay_alu instid0(VALU_DEP_4) | instskip(SKIP_1) | instid1(VALU_DEP_4)
	v_cndmask_b32_e32 v8, 0, v8, vcc_lo
	v_cmp_neq_f64_e32 vcc_lo, -1.0, v[4:5]
	v_cndmask_b32_e32 v9, 0xfff00000, v9, vcc_lo
	s_delay_alu instid0(VALU_DEP_1)
	v_add_f64 v[4:5], v[6:7], v[8:9]
.LBB8_40:
	s_or_b32 exec_lo, exec_lo, s13
	v_max_f64 v[26:27], v[80:81], v[80:81]
	s_delay_alu instid0(VALU_DEP_2) | instskip(SKIP_2) | instid1(VALU_DEP_3)
	v_max_f64 v[6:7], v[4:5], v[4:5]
	v_cmp_u_f64_e32 vcc_lo, v[4:5], v[4:5]
	v_cmp_u_f64_e64 s10, v[80:81], v[80:81]
	v_min_f64 v[8:9], v[6:7], v[26:27]
	v_max_f64 v[6:7], v[6:7], v[26:27]
	s_delay_alu instid0(VALU_DEP_2) | instskip(NEXT) | instid1(VALU_DEP_2)
	v_dual_cndmask_b32 v8, v8, v4 :: v_dual_cndmask_b32 v9, v9, v5
	v_dual_cndmask_b32 v7, v7, v5 :: v_dual_cndmask_b32 v6, v6, v4
	s_delay_alu instid0(VALU_DEP_2) | instskip(NEXT) | instid1(VALU_DEP_3)
	v_cndmask_b32_e64 v8, v8, v80, s10
	v_cndmask_b32_e64 v9, v9, v81, s10
	s_delay_alu instid0(VALU_DEP_3) | instskip(NEXT) | instid1(VALU_DEP_4)
	v_cndmask_b32_e64 v7, v7, v81, s10
	v_cndmask_b32_e64 v6, v6, v80, s10
	s_delay_alu instid0(VALU_DEP_3) | instskip(NEXT) | instid1(VALU_DEP_2)
	v_cmp_class_f64_e64 s11, v[8:9], 0x1f8
	v_cmp_neq_f64_e32 vcc_lo, v[8:9], v[6:7]
	s_delay_alu instid0(VALU_DEP_2) | instskip(NEXT) | instid1(SALU_CYCLE_1)
	s_or_b32 s11, vcc_lo, s11
	s_and_saveexec_b32 s13, s11
	s_cbranch_execz .LBB8_42
; %bb.41:
	v_add_f64 v[4:5], v[8:9], -v[6:7]
	s_mov_b32 s14, 0x652b82fe
	s_mov_b32 s15, 0x3ff71547
	;; [unrolled: 1-line block ×10, first 2 shown]
	s_delay_alu instid0(VALU_DEP_1) | instskip(SKIP_4) | instid1(VALU_DEP_3)
	v_mul_f64 v[8:9], v[4:5], s[14:15]
	s_mov_b32 s15, 0xbfe62e42
	s_mov_b32 s14, 0xfefa39ef
	v_cmp_nlt_f64_e32 vcc_lo, 0x40900000, v[4:5]
	v_cmp_ngt_f64_e64 s11, 0xc090cc00, v[4:5]
	v_rndne_f64_e32 v[8:9], v[8:9]
	s_delay_alu instid0(VALU_DEP_1) | instskip(SKIP_2) | instid1(VALU_DEP_2)
	v_fma_f64 v[28:29], v[8:9], s[14:15], v[4:5]
	v_cvt_i32_f64_e32 v32, v[8:9]
	s_mov_b32 s15, 0x3fe62e42
	v_fma_f64 v[28:29], v[8:9], s[18:19], v[28:29]
	s_mov_b32 s19, 0x3c7abc9e
	s_delay_alu instid0(VALU_DEP_1) | instskip(SKIP_4) | instid1(VALU_DEP_1)
	v_fma_f64 v[30:31], v[28:29], s[24:25], s[20:21]
	s_mov_b32 s20, 0x623fde64
	s_mov_b32 s21, 0x3ec71dee
	;; [unrolled: 1-line block ×4, first 2 shown]
	v_fma_f64 v[30:31], v[28:29], v[30:31], s[20:21]
	s_mov_b32 s20, 0x7c89e6b0
	s_mov_b32 s21, 0x3efa0199
	s_delay_alu instid0(VALU_DEP_1) | instid1(SALU_CYCLE_1)
	v_fma_f64 v[30:31], v[28:29], v[30:31], s[20:21]
	s_mov_b32 s20, 0x14761f6e
	s_mov_b32 s21, 0x3f2a01a0
	s_delay_alu instid0(VALU_DEP_1) | instid1(SALU_CYCLE_1)
	;; [unrolled: 4-line block ×7, first 2 shown]
	v_fma_f64 v[30:31], v[28:29], v[30:31], s[20:21]
	s_mov_b32 s21, 0x3fe55555
	s_mov_b32 s20, 0x55555555
	s_delay_alu instid0(VALU_DEP_1) | instskip(NEXT) | instid1(VALU_DEP_1)
	v_fma_f64 v[30:31], v[28:29], v[30:31], 1.0
	v_fma_f64 v[8:9], v[28:29], v[30:31], 1.0
	s_delay_alu instid0(VALU_DEP_1) | instskip(NEXT) | instid1(VALU_DEP_1)
	v_ldexp_f64 v[8:9], v[8:9], v32
	v_cndmask_b32_e32 v9, 0x7ff00000, v9, vcc_lo
	s_and_b32 vcc_lo, s11, vcc_lo
	s_delay_alu instid0(VALU_DEP_1) | instskip(NEXT) | instid1(VALU_DEP_3)
	v_cndmask_b32_e64 v5, 0, v9, s11
	v_cndmask_b32_e32 v4, 0, v8, vcc_lo
	s_delay_alu instid0(VALU_DEP_1) | instskip(NEXT) | instid1(VALU_DEP_1)
	v_add_f64 v[8:9], v[4:5], 1.0
	v_frexp_mant_f64_e32 v[28:29], v[8:9]
	v_frexp_exp_i32_f64_e32 v32, v[8:9]
	v_add_f64 v[30:31], v[8:9], -1.0
	s_delay_alu instid0(VALU_DEP_3) | instskip(SKIP_1) | instid1(VALU_DEP_2)
	v_cmp_gt_f64_e32 vcc_lo, s[20:21], v[28:29]
	s_mov_b32 s20, 0x55555780
	v_add_f64 v[28:29], v[30:31], -v[8:9]
	v_add_f64 v[30:31], v[4:5], -v[30:31]
	v_subrev_co_ci_u32_e32 v160, vcc_lo, 0, v32, vcc_lo
	s_delay_alu instid0(VALU_DEP_3) | instskip(SKIP_1) | instid1(VALU_DEP_3)
	v_add_f64 v[28:29], v[28:29], 1.0
	v_cmp_eq_f64_e32 vcc_lo, 0x7ff00000, v[4:5]
	v_sub_nc_u32_e32 v34, 0, v160
	s_delay_alu instid0(VALU_DEP_1) | instskip(NEXT) | instid1(VALU_DEP_4)
	v_ldexp_f64 v[8:9], v[8:9], v34
	v_add_f64 v[28:29], v[30:31], v[28:29]
	s_delay_alu instid0(VALU_DEP_2) | instskip(SKIP_1) | instid1(VALU_DEP_3)
	v_add_f64 v[32:33], v[8:9], 1.0
	v_add_f64 v[133:134], v[8:9], -1.0
	v_ldexp_f64 v[28:29], v[28:29], v34
	s_delay_alu instid0(VALU_DEP_3) | instskip(NEXT) | instid1(VALU_DEP_3)
	v_add_f64 v[30:31], v[32:33], -1.0
	v_add_f64 v[144:145], v[133:134], 1.0
	s_delay_alu instid0(VALU_DEP_2) | instskip(NEXT) | instid1(VALU_DEP_2)
	v_add_f64 v[30:31], v[8:9], -v[30:31]
	v_add_f64 v[8:9], v[8:9], -v[144:145]
	s_delay_alu instid0(VALU_DEP_2) | instskip(NEXT) | instid1(VALU_DEP_2)
	v_add_f64 v[30:31], v[28:29], v[30:31]
	v_add_f64 v[8:9], v[28:29], v[8:9]
	s_delay_alu instid0(VALU_DEP_2) | instskip(NEXT) | instid1(VALU_DEP_2)
	v_add_f64 v[34:35], v[32:33], v[30:31]
	v_add_f64 v[144:145], v[133:134], v[8:9]
	s_delay_alu instid0(VALU_DEP_2) | instskip(SKIP_1) | instid1(VALU_DEP_2)
	v_rcp_f64_e32 v[129:130], v[34:35]
	v_add_f64 v[32:33], v[34:35], -v[32:33]
	v_add_f64 v[133:134], v[144:145], -v[133:134]
	s_delay_alu instid0(VALU_DEP_2) | instskip(SKIP_3) | instid1(VALU_DEP_2)
	v_add_f64 v[30:31], v[30:31], -v[32:33]
	s_waitcnt_depctr 0xfff
	v_fma_f64 v[146:147], -v[34:35], v[129:130], 1.0
	v_add_f64 v[8:9], v[8:9], -v[133:134]
	v_fma_f64 v[129:130], v[146:147], v[129:130], v[129:130]
	s_delay_alu instid0(VALU_DEP_1) | instskip(NEXT) | instid1(VALU_DEP_1)
	v_fma_f64 v[28:29], -v[34:35], v[129:130], 1.0
	v_fma_f64 v[28:29], v[28:29], v[129:130], v[129:130]
	s_delay_alu instid0(VALU_DEP_1) | instskip(NEXT) | instid1(VALU_DEP_1)
	v_mul_f64 v[129:130], v[144:145], v[28:29]
	v_mul_f64 v[146:147], v[34:35], v[129:130]
	s_delay_alu instid0(VALU_DEP_1) | instskip(NEXT) | instid1(VALU_DEP_1)
	v_fma_f64 v[32:33], v[129:130], v[34:35], -v[146:147]
	v_fma_f64 v[32:33], v[129:130], v[30:31], v[32:33]
	s_delay_alu instid0(VALU_DEP_1) | instskip(NEXT) | instid1(VALU_DEP_1)
	v_add_f64 v[148:149], v[146:147], v[32:33]
	v_add_f64 v[150:151], v[144:145], -v[148:149]
	v_add_f64 v[133:134], v[148:149], -v[146:147]
	s_delay_alu instid0(VALU_DEP_2) | instskip(NEXT) | instid1(VALU_DEP_2)
	v_add_f64 v[144:145], v[144:145], -v[150:151]
	v_add_f64 v[32:33], v[133:134], -v[32:33]
	s_delay_alu instid0(VALU_DEP_2) | instskip(NEXT) | instid1(VALU_DEP_1)
	v_add_f64 v[144:145], v[144:145], -v[148:149]
	v_add_f64 v[8:9], v[8:9], v[144:145]
	s_delay_alu instid0(VALU_DEP_1) | instskip(NEXT) | instid1(VALU_DEP_1)
	v_add_f64 v[8:9], v[32:33], v[8:9]
	v_add_f64 v[32:33], v[150:151], v[8:9]
	s_delay_alu instid0(VALU_DEP_1) | instskip(SKIP_1) | instid1(VALU_DEP_2)
	v_mul_f64 v[133:134], v[28:29], v[32:33]
	v_add_f64 v[148:149], v[150:151], -v[32:33]
	v_mul_f64 v[144:145], v[34:35], v[133:134]
	s_delay_alu instid0(VALU_DEP_2) | instskip(NEXT) | instid1(VALU_DEP_2)
	v_add_f64 v[8:9], v[8:9], v[148:149]
	v_fma_f64 v[34:35], v[133:134], v[34:35], -v[144:145]
	s_delay_alu instid0(VALU_DEP_1) | instskip(NEXT) | instid1(VALU_DEP_1)
	v_fma_f64 v[30:31], v[133:134], v[30:31], v[34:35]
	v_add_f64 v[34:35], v[144:145], v[30:31]
	s_delay_alu instid0(VALU_DEP_1) | instskip(SKIP_1) | instid1(VALU_DEP_2)
	v_add_f64 v[146:147], v[32:33], -v[34:35]
	v_add_f64 v[144:145], v[34:35], -v[144:145]
	;; [unrolled: 1-line block ×3, first 2 shown]
	s_delay_alu instid0(VALU_DEP_2) | instskip(NEXT) | instid1(VALU_DEP_2)
	v_add_f64 v[30:31], v[144:145], -v[30:31]
	v_add_f64 v[32:33], v[32:33], -v[34:35]
	s_delay_alu instid0(VALU_DEP_1) | instskip(SKIP_1) | instid1(VALU_DEP_2)
	v_add_f64 v[8:9], v[8:9], v[32:33]
	v_add_f64 v[32:33], v[129:130], v[133:134]
	;; [unrolled: 1-line block ×3, first 2 shown]
	s_delay_alu instid0(VALU_DEP_2) | instskip(NEXT) | instid1(VALU_DEP_2)
	v_add_f64 v[30:31], v[32:33], -v[129:130]
	v_add_f64 v[8:9], v[146:147], v[8:9]
	s_delay_alu instid0(VALU_DEP_2) | instskip(NEXT) | instid1(VALU_DEP_2)
	v_add_f64 v[30:31], v[133:134], -v[30:31]
	v_mul_f64 v[8:9], v[28:29], v[8:9]
	s_delay_alu instid0(VALU_DEP_1) | instskip(NEXT) | instid1(VALU_DEP_1)
	v_add_f64 v[8:9], v[30:31], v[8:9]
	v_add_f64 v[28:29], v[32:33], v[8:9]
	s_delay_alu instid0(VALU_DEP_1) | instskip(NEXT) | instid1(VALU_DEP_1)
	v_mul_f64 v[30:31], v[28:29], v[28:29]
	v_fma_f64 v[34:35], v[30:31], s[26:27], s[24:25]
	s_mov_b32 s24, 0xd7f4df2e
	s_mov_b32 s25, 0x3fc7474d
	v_mul_f64 v[129:130], v[28:29], v[30:31]
	s_delay_alu instid0(VALU_DEP_2)
	v_fma_f64 v[34:35], v[30:31], v[34:35], s[24:25]
	s_mov_b32 s24, 0x16291751
	s_mov_b32 s25, 0x3fcc71c0
	s_delay_alu instid0(VALU_DEP_1) | instid1(SALU_CYCLE_1)
	v_fma_f64 v[34:35], v[30:31], v[34:35], s[24:25]
	s_mov_b32 s24, 0x9b27acf1
	s_mov_b32 s25, 0x3fd24924
	s_delay_alu instid0(VALU_DEP_1) | instid1(SALU_CYCLE_1)
	v_fma_f64 v[34:35], v[30:31], v[34:35], s[24:25]
	s_mov_b32 s24, 0x998ef7b6
	s_mov_b32 s25, 0x3fd99999
	s_delay_alu instid0(VALU_DEP_1) | instid1(SALU_CYCLE_1)
	v_fma_f64 v[34:35], v[30:31], v[34:35], s[24:25]
	s_delay_alu instid0(VALU_DEP_1) | instskip(SKIP_2) | instid1(VALU_DEP_3)
	v_fma_f64 v[30:31], v[30:31], v[34:35], s[20:21]
	v_ldexp_f64 v[34:35], v[28:29], 1
	v_add_f64 v[28:29], v[28:29], -v[32:33]
	v_mul_f64 v[30:31], v[129:130], v[30:31]
	v_cvt_f64_i32_e32 v[129:130], v160
	s_delay_alu instid0(VALU_DEP_3) | instskip(NEXT) | instid1(VALU_DEP_3)
	v_add_f64 v[8:9], v[8:9], -v[28:29]
	v_add_f64 v[32:33], v[34:35], v[30:31]
	s_delay_alu instid0(VALU_DEP_3) | instskip(NEXT) | instid1(VALU_DEP_3)
	v_mul_f64 v[133:134], v[129:130], s[14:15]
	v_ldexp_f64 v[8:9], v[8:9], 1
	s_delay_alu instid0(VALU_DEP_3) | instskip(NEXT) | instid1(VALU_DEP_3)
	v_add_f64 v[28:29], v[32:33], -v[34:35]
	v_fma_f64 v[34:35], v[129:130], s[14:15], -v[133:134]
	s_delay_alu instid0(VALU_DEP_2) | instskip(NEXT) | instid1(VALU_DEP_2)
	v_add_f64 v[28:29], v[30:31], -v[28:29]
	v_fma_f64 v[30:31], v[129:130], s[18:19], v[34:35]
	s_delay_alu instid0(VALU_DEP_2) | instskip(NEXT) | instid1(VALU_DEP_2)
	v_add_f64 v[8:9], v[8:9], v[28:29]
	v_add_f64 v[28:29], v[133:134], v[30:31]
	s_delay_alu instid0(VALU_DEP_2) | instskip(NEXT) | instid1(VALU_DEP_2)
	v_add_f64 v[34:35], v[32:33], v[8:9]
	v_add_f64 v[133:134], v[28:29], -v[133:134]
	s_delay_alu instid0(VALU_DEP_2) | instskip(SKIP_1) | instid1(VALU_DEP_3)
	v_add_f64 v[129:130], v[28:29], v[34:35]
	v_add_f64 v[32:33], v[34:35], -v[32:33]
	v_add_f64 v[30:31], v[30:31], -v[133:134]
	s_delay_alu instid0(VALU_DEP_3) | instskip(NEXT) | instid1(VALU_DEP_3)
	v_add_f64 v[144:145], v[129:130], -v[28:29]
	v_add_f64 v[8:9], v[8:9], -v[32:33]
	s_delay_alu instid0(VALU_DEP_2) | instskip(SKIP_1) | instid1(VALU_DEP_3)
	v_add_f64 v[146:147], v[129:130], -v[144:145]
	v_add_f64 v[32:33], v[34:35], -v[144:145]
	v_add_f64 v[34:35], v[30:31], v[8:9]
	s_delay_alu instid0(VALU_DEP_3) | instskip(NEXT) | instid1(VALU_DEP_1)
	v_add_f64 v[28:29], v[28:29], -v[146:147]
	v_add_f64 v[28:29], v[32:33], v[28:29]
	s_delay_alu instid0(VALU_DEP_3) | instskip(NEXT) | instid1(VALU_DEP_2)
	v_add_f64 v[32:33], v[34:35], -v[30:31]
	v_add_f64 v[28:29], v[34:35], v[28:29]
	s_delay_alu instid0(VALU_DEP_2) | instskip(SKIP_1) | instid1(VALU_DEP_3)
	v_add_f64 v[34:35], v[34:35], -v[32:33]
	v_add_f64 v[8:9], v[8:9], -v[32:33]
	v_add_f64 v[133:134], v[129:130], v[28:29]
	s_delay_alu instid0(VALU_DEP_3) | instskip(NEXT) | instid1(VALU_DEP_2)
	v_add_f64 v[30:31], v[30:31], -v[34:35]
	v_add_f64 v[32:33], v[133:134], -v[129:130]
	s_delay_alu instid0(VALU_DEP_2) | instskip(NEXT) | instid1(VALU_DEP_2)
	v_add_f64 v[8:9], v[8:9], v[30:31]
	v_add_f64 v[28:29], v[28:29], -v[32:33]
	s_delay_alu instid0(VALU_DEP_1) | instskip(NEXT) | instid1(VALU_DEP_1)
	v_add_f64 v[8:9], v[8:9], v[28:29]
	v_add_f64 v[8:9], v[133:134], v[8:9]
	s_delay_alu instid0(VALU_DEP_1) | instskip(SKIP_1) | instid1(VALU_DEP_2)
	v_dual_cndmask_b32 v9, v9, v5 :: v_dual_cndmask_b32 v8, v8, v4
	v_cmp_ngt_f64_e32 vcc_lo, -1.0, v[4:5]
	v_cndmask_b32_e32 v9, 0x7ff80000, v9, vcc_lo
	v_cmp_nge_f64_e32 vcc_lo, -1.0, v[4:5]
	s_delay_alu instid0(VALU_DEP_4) | instskip(SKIP_1) | instid1(VALU_DEP_4)
	v_cndmask_b32_e32 v8, 0, v8, vcc_lo
	v_cmp_neq_f64_e32 vcc_lo, -1.0, v[4:5]
	v_cndmask_b32_e32 v9, 0xfff00000, v9, vcc_lo
	s_delay_alu instid0(VALU_DEP_1)
	v_add_f64 v[4:5], v[6:7], v[8:9]
.LBB8_42:
	s_or_b32 exec_lo, exec_lo, s13
	v_max_f64 v[28:29], v[82:83], v[82:83]
	s_delay_alu instid0(VALU_DEP_2) | instskip(SKIP_2) | instid1(VALU_DEP_3)
	v_max_f64 v[6:7], v[4:5], v[4:5]
	v_cmp_u_f64_e32 vcc_lo, v[4:5], v[4:5]
	v_cmp_u_f64_e64 s11, v[82:83], v[82:83]
	v_min_f64 v[8:9], v[6:7], v[28:29]
	v_max_f64 v[6:7], v[6:7], v[28:29]
	s_delay_alu instid0(VALU_DEP_2) | instskip(NEXT) | instid1(VALU_DEP_2)
	v_dual_cndmask_b32 v8, v8, v4 :: v_dual_cndmask_b32 v9, v9, v5
	v_dual_cndmask_b32 v7, v7, v5 :: v_dual_cndmask_b32 v6, v6, v4
	s_delay_alu instid0(VALU_DEP_2) | instskip(NEXT) | instid1(VALU_DEP_3)
	v_cndmask_b32_e64 v8, v8, v82, s11
	v_cndmask_b32_e64 v9, v9, v83, s11
	s_delay_alu instid0(VALU_DEP_3) | instskip(NEXT) | instid1(VALU_DEP_4)
	v_cndmask_b32_e64 v7, v7, v83, s11
	v_cndmask_b32_e64 v6, v6, v82, s11
	s_delay_alu instid0(VALU_DEP_3) | instskip(NEXT) | instid1(VALU_DEP_2)
	v_cmp_class_f64_e64 s13, v[8:9], 0x1f8
	v_cmp_neq_f64_e32 vcc_lo, v[8:9], v[6:7]
	s_delay_alu instid0(VALU_DEP_2) | instskip(NEXT) | instid1(SALU_CYCLE_1)
	s_or_b32 s13, vcc_lo, s13
	s_and_saveexec_b32 s16, s13
	s_cbranch_execz .LBB8_44
; %bb.43:
	v_add_f64 v[4:5], v[8:9], -v[6:7]
	s_mov_b32 s14, 0x652b82fe
	s_mov_b32 s15, 0x3ff71547
	s_mov_b32 s19, 0xbc7abc9e
	s_mov_b32 s18, 0x3b39803f
	s_mov_b32 s20, 0xfca7ab0c
	s_mov_b32 s24, 0x6a5dcb37
	s_mov_b32 s21, 0x3e928af3
	s_mov_b32 s25, 0x3e5ade15
	s_mov_b32 s26, 0xbf559e2b
	s_mov_b32 s27, 0x3fc3ab76
	s_delay_alu instid0(VALU_DEP_1) | instskip(SKIP_4) | instid1(VALU_DEP_3)
	v_mul_f64 v[8:9], v[4:5], s[14:15]
	s_mov_b32 s15, 0xbfe62e42
	s_mov_b32 s14, 0xfefa39ef
	v_cmp_nlt_f64_e32 vcc_lo, 0x40900000, v[4:5]
	v_cmp_ngt_f64_e64 s13, 0xc090cc00, v[4:5]
	v_rndne_f64_e32 v[8:9], v[8:9]
	s_delay_alu instid0(VALU_DEP_1) | instskip(SKIP_2) | instid1(VALU_DEP_2)
	v_fma_f64 v[30:31], v[8:9], s[14:15], v[4:5]
	v_cvt_i32_f64_e32 v34, v[8:9]
	s_mov_b32 s15, 0x3fe62e42
	v_fma_f64 v[30:31], v[8:9], s[18:19], v[30:31]
	s_mov_b32 s19, 0x3c7abc9e
	s_delay_alu instid0(VALU_DEP_1) | instskip(SKIP_4) | instid1(VALU_DEP_1)
	v_fma_f64 v[32:33], v[30:31], s[24:25], s[20:21]
	s_mov_b32 s20, 0x623fde64
	s_mov_b32 s21, 0x3ec71dee
	;; [unrolled: 1-line block ×4, first 2 shown]
	v_fma_f64 v[32:33], v[30:31], v[32:33], s[20:21]
	s_mov_b32 s20, 0x7c89e6b0
	s_mov_b32 s21, 0x3efa0199
	s_delay_alu instid0(VALU_DEP_1) | instid1(SALU_CYCLE_1)
	v_fma_f64 v[32:33], v[30:31], v[32:33], s[20:21]
	s_mov_b32 s20, 0x14761f6e
	s_mov_b32 s21, 0x3f2a01a0
	s_delay_alu instid0(VALU_DEP_1) | instid1(SALU_CYCLE_1)
	;; [unrolled: 4-line block ×7, first 2 shown]
	v_fma_f64 v[32:33], v[30:31], v[32:33], s[20:21]
	s_mov_b32 s21, 0x3fe55555
	s_mov_b32 s20, 0x55555555
	s_delay_alu instid0(VALU_DEP_1) | instskip(NEXT) | instid1(VALU_DEP_1)
	v_fma_f64 v[32:33], v[30:31], v[32:33], 1.0
	v_fma_f64 v[8:9], v[30:31], v[32:33], 1.0
	s_delay_alu instid0(VALU_DEP_1) | instskip(NEXT) | instid1(VALU_DEP_1)
	v_ldexp_f64 v[8:9], v[8:9], v34
	v_cndmask_b32_e32 v9, 0x7ff00000, v9, vcc_lo
	s_and_b32 vcc_lo, s13, vcc_lo
	s_delay_alu instid0(VALU_DEP_1) | instskip(NEXT) | instid1(VALU_DEP_3)
	v_cndmask_b32_e64 v5, 0, v9, s13
	v_cndmask_b32_e32 v4, 0, v8, vcc_lo
	s_delay_alu instid0(VALU_DEP_1) | instskip(NEXT) | instid1(VALU_DEP_1)
	v_add_f64 v[8:9], v[4:5], 1.0
	v_frexp_mant_f64_e32 v[30:31], v[8:9]
	v_frexp_exp_i32_f64_e32 v34, v[8:9]
	v_add_f64 v[32:33], v[8:9], -1.0
	s_delay_alu instid0(VALU_DEP_3) | instskip(SKIP_1) | instid1(VALU_DEP_2)
	v_cmp_gt_f64_e32 vcc_lo, s[20:21], v[30:31]
	s_mov_b32 s20, 0x55555780
	v_add_f64 v[30:31], v[32:33], -v[8:9]
	v_add_f64 v[32:33], v[4:5], -v[32:33]
	v_subrev_co_ci_u32_e32 v162, vcc_lo, 0, v34, vcc_lo
	s_delay_alu instid0(VALU_DEP_3) | instskip(SKIP_1) | instid1(VALU_DEP_3)
	v_add_f64 v[30:31], v[30:31], 1.0
	v_cmp_eq_f64_e32 vcc_lo, 0x7ff00000, v[4:5]
	v_sub_nc_u32_e32 v129, 0, v162
	s_delay_alu instid0(VALU_DEP_1) | instskip(NEXT) | instid1(VALU_DEP_4)
	v_ldexp_f64 v[8:9], v[8:9], v129
	v_add_f64 v[30:31], v[32:33], v[30:31]
	s_delay_alu instid0(VALU_DEP_2) | instskip(SKIP_1) | instid1(VALU_DEP_3)
	v_add_f64 v[34:35], v[8:9], 1.0
	v_add_f64 v[144:145], v[8:9], -1.0
	v_ldexp_f64 v[30:31], v[30:31], v129
	s_delay_alu instid0(VALU_DEP_3) | instskip(NEXT) | instid1(VALU_DEP_3)
	v_add_f64 v[32:33], v[34:35], -1.0
	v_add_f64 v[146:147], v[144:145], 1.0
	s_delay_alu instid0(VALU_DEP_2) | instskip(NEXT) | instid1(VALU_DEP_2)
	v_add_f64 v[32:33], v[8:9], -v[32:33]
	v_add_f64 v[8:9], v[8:9], -v[146:147]
	s_delay_alu instid0(VALU_DEP_2) | instskip(NEXT) | instid1(VALU_DEP_2)
	v_add_f64 v[32:33], v[30:31], v[32:33]
	v_add_f64 v[8:9], v[30:31], v[8:9]
	s_delay_alu instid0(VALU_DEP_2) | instskip(NEXT) | instid1(VALU_DEP_2)
	v_add_f64 v[129:130], v[34:35], v[32:33]
	v_add_f64 v[146:147], v[144:145], v[8:9]
	s_delay_alu instid0(VALU_DEP_2) | instskip(SKIP_1) | instid1(VALU_DEP_2)
	v_rcp_f64_e32 v[133:134], v[129:130]
	v_add_f64 v[34:35], v[129:130], -v[34:35]
	v_add_f64 v[144:145], v[146:147], -v[144:145]
	s_delay_alu instid0(VALU_DEP_2) | instskip(SKIP_3) | instid1(VALU_DEP_2)
	v_add_f64 v[32:33], v[32:33], -v[34:35]
	s_waitcnt_depctr 0xfff
	v_fma_f64 v[148:149], -v[129:130], v[133:134], 1.0
	v_add_f64 v[8:9], v[8:9], -v[144:145]
	v_fma_f64 v[133:134], v[148:149], v[133:134], v[133:134]
	s_delay_alu instid0(VALU_DEP_1) | instskip(NEXT) | instid1(VALU_DEP_1)
	v_fma_f64 v[30:31], -v[129:130], v[133:134], 1.0
	v_fma_f64 v[30:31], v[30:31], v[133:134], v[133:134]
	s_delay_alu instid0(VALU_DEP_1) | instskip(NEXT) | instid1(VALU_DEP_1)
	v_mul_f64 v[133:134], v[146:147], v[30:31]
	v_mul_f64 v[148:149], v[129:130], v[133:134]
	s_delay_alu instid0(VALU_DEP_1) | instskip(NEXT) | instid1(VALU_DEP_1)
	v_fma_f64 v[34:35], v[133:134], v[129:130], -v[148:149]
	v_fma_f64 v[34:35], v[133:134], v[32:33], v[34:35]
	s_delay_alu instid0(VALU_DEP_1) | instskip(NEXT) | instid1(VALU_DEP_1)
	v_add_f64 v[150:151], v[148:149], v[34:35]
	v_add_f64 v[160:161], v[146:147], -v[150:151]
	v_add_f64 v[144:145], v[150:151], -v[148:149]
	s_delay_alu instid0(VALU_DEP_2) | instskip(NEXT) | instid1(VALU_DEP_2)
	v_add_f64 v[146:147], v[146:147], -v[160:161]
	v_add_f64 v[34:35], v[144:145], -v[34:35]
	s_delay_alu instid0(VALU_DEP_2) | instskip(NEXT) | instid1(VALU_DEP_1)
	v_add_f64 v[146:147], v[146:147], -v[150:151]
	v_add_f64 v[8:9], v[8:9], v[146:147]
	s_delay_alu instid0(VALU_DEP_1) | instskip(NEXT) | instid1(VALU_DEP_1)
	v_add_f64 v[8:9], v[34:35], v[8:9]
	v_add_f64 v[34:35], v[160:161], v[8:9]
	s_delay_alu instid0(VALU_DEP_1) | instskip(SKIP_1) | instid1(VALU_DEP_2)
	v_mul_f64 v[144:145], v[30:31], v[34:35]
	v_add_f64 v[150:151], v[160:161], -v[34:35]
	v_mul_f64 v[146:147], v[129:130], v[144:145]
	s_delay_alu instid0(VALU_DEP_2) | instskip(NEXT) | instid1(VALU_DEP_2)
	v_add_f64 v[8:9], v[8:9], v[150:151]
	v_fma_f64 v[129:130], v[144:145], v[129:130], -v[146:147]
	s_delay_alu instid0(VALU_DEP_1) | instskip(NEXT) | instid1(VALU_DEP_1)
	v_fma_f64 v[32:33], v[144:145], v[32:33], v[129:130]
	v_add_f64 v[129:130], v[146:147], v[32:33]
	s_delay_alu instid0(VALU_DEP_1) | instskip(SKIP_1) | instid1(VALU_DEP_2)
	v_add_f64 v[148:149], v[34:35], -v[129:130]
	v_add_f64 v[146:147], v[129:130], -v[146:147]
	v_add_f64 v[34:35], v[34:35], -v[148:149]
	s_delay_alu instid0(VALU_DEP_2) | instskip(NEXT) | instid1(VALU_DEP_2)
	v_add_f64 v[32:33], v[146:147], -v[32:33]
	v_add_f64 v[34:35], v[34:35], -v[129:130]
	s_delay_alu instid0(VALU_DEP_1) | instskip(SKIP_1) | instid1(VALU_DEP_2)
	v_add_f64 v[8:9], v[8:9], v[34:35]
	v_add_f64 v[34:35], v[133:134], v[144:145]
	v_add_f64 v[8:9], v[32:33], v[8:9]
	s_delay_alu instid0(VALU_DEP_2) | instskip(NEXT) | instid1(VALU_DEP_2)
	v_add_f64 v[32:33], v[34:35], -v[133:134]
	v_add_f64 v[8:9], v[148:149], v[8:9]
	s_delay_alu instid0(VALU_DEP_2) | instskip(NEXT) | instid1(VALU_DEP_2)
	v_add_f64 v[32:33], v[144:145], -v[32:33]
	v_mul_f64 v[8:9], v[30:31], v[8:9]
	s_delay_alu instid0(VALU_DEP_1) | instskip(NEXT) | instid1(VALU_DEP_1)
	v_add_f64 v[8:9], v[32:33], v[8:9]
	v_add_f64 v[30:31], v[34:35], v[8:9]
	s_delay_alu instid0(VALU_DEP_1) | instskip(NEXT) | instid1(VALU_DEP_1)
	v_mul_f64 v[32:33], v[30:31], v[30:31]
	v_fma_f64 v[129:130], v[32:33], s[26:27], s[24:25]
	s_mov_b32 s24, 0xd7f4df2e
	s_mov_b32 s25, 0x3fc7474d
	v_mul_f64 v[133:134], v[30:31], v[32:33]
	s_delay_alu instid0(VALU_DEP_2)
	v_fma_f64 v[129:130], v[32:33], v[129:130], s[24:25]
	s_mov_b32 s24, 0x16291751
	s_mov_b32 s25, 0x3fcc71c0
	s_delay_alu instid0(VALU_DEP_1) | instid1(SALU_CYCLE_1)
	v_fma_f64 v[129:130], v[32:33], v[129:130], s[24:25]
	s_mov_b32 s24, 0x9b27acf1
	s_mov_b32 s25, 0x3fd24924
	s_delay_alu instid0(VALU_DEP_1) | instid1(SALU_CYCLE_1)
	;; [unrolled: 4-line block ×3, first 2 shown]
	v_fma_f64 v[129:130], v[32:33], v[129:130], s[24:25]
	s_delay_alu instid0(VALU_DEP_1) | instskip(SKIP_2) | instid1(VALU_DEP_3)
	v_fma_f64 v[32:33], v[32:33], v[129:130], s[20:21]
	v_ldexp_f64 v[129:130], v[30:31], 1
	v_add_f64 v[30:31], v[30:31], -v[34:35]
	v_mul_f64 v[32:33], v[133:134], v[32:33]
	v_cvt_f64_i32_e32 v[133:134], v162
	s_delay_alu instid0(VALU_DEP_3) | instskip(NEXT) | instid1(VALU_DEP_3)
	v_add_f64 v[8:9], v[8:9], -v[30:31]
	v_add_f64 v[34:35], v[129:130], v[32:33]
	s_delay_alu instid0(VALU_DEP_3) | instskip(NEXT) | instid1(VALU_DEP_3)
	v_mul_f64 v[144:145], v[133:134], s[14:15]
	v_ldexp_f64 v[8:9], v[8:9], 1
	s_delay_alu instid0(VALU_DEP_3) | instskip(NEXT) | instid1(VALU_DEP_3)
	v_add_f64 v[30:31], v[34:35], -v[129:130]
	v_fma_f64 v[129:130], v[133:134], s[14:15], -v[144:145]
	s_delay_alu instid0(VALU_DEP_2) | instskip(NEXT) | instid1(VALU_DEP_2)
	v_add_f64 v[30:31], v[32:33], -v[30:31]
	v_fma_f64 v[32:33], v[133:134], s[18:19], v[129:130]
	s_delay_alu instid0(VALU_DEP_2) | instskip(NEXT) | instid1(VALU_DEP_2)
	v_add_f64 v[8:9], v[8:9], v[30:31]
	v_add_f64 v[30:31], v[144:145], v[32:33]
	s_delay_alu instid0(VALU_DEP_2) | instskip(NEXT) | instid1(VALU_DEP_2)
	v_add_f64 v[129:130], v[34:35], v[8:9]
	v_add_f64 v[144:145], v[30:31], -v[144:145]
	s_delay_alu instid0(VALU_DEP_2) | instskip(SKIP_1) | instid1(VALU_DEP_3)
	v_add_f64 v[133:134], v[30:31], v[129:130]
	v_add_f64 v[34:35], v[129:130], -v[34:35]
	v_add_f64 v[32:33], v[32:33], -v[144:145]
	s_delay_alu instid0(VALU_DEP_3) | instskip(NEXT) | instid1(VALU_DEP_3)
	v_add_f64 v[146:147], v[133:134], -v[30:31]
	v_add_f64 v[8:9], v[8:9], -v[34:35]
	s_delay_alu instid0(VALU_DEP_2) | instskip(SKIP_1) | instid1(VALU_DEP_3)
	v_add_f64 v[148:149], v[133:134], -v[146:147]
	v_add_f64 v[34:35], v[129:130], -v[146:147]
	v_add_f64 v[129:130], v[32:33], v[8:9]
	s_delay_alu instid0(VALU_DEP_3) | instskip(NEXT) | instid1(VALU_DEP_1)
	v_add_f64 v[30:31], v[30:31], -v[148:149]
	v_add_f64 v[30:31], v[34:35], v[30:31]
	s_delay_alu instid0(VALU_DEP_3) | instskip(NEXT) | instid1(VALU_DEP_2)
	v_add_f64 v[34:35], v[129:130], -v[32:33]
	v_add_f64 v[30:31], v[129:130], v[30:31]
	s_delay_alu instid0(VALU_DEP_2) | instskip(SKIP_1) | instid1(VALU_DEP_3)
	v_add_f64 v[129:130], v[129:130], -v[34:35]
	v_add_f64 v[8:9], v[8:9], -v[34:35]
	v_add_f64 v[144:145], v[133:134], v[30:31]
	s_delay_alu instid0(VALU_DEP_3) | instskip(NEXT) | instid1(VALU_DEP_2)
	v_add_f64 v[32:33], v[32:33], -v[129:130]
	v_add_f64 v[34:35], v[144:145], -v[133:134]
	s_delay_alu instid0(VALU_DEP_2) | instskip(NEXT) | instid1(VALU_DEP_2)
	v_add_f64 v[8:9], v[8:9], v[32:33]
	v_add_f64 v[30:31], v[30:31], -v[34:35]
	s_delay_alu instid0(VALU_DEP_1) | instskip(NEXT) | instid1(VALU_DEP_1)
	v_add_f64 v[8:9], v[8:9], v[30:31]
	v_add_f64 v[8:9], v[144:145], v[8:9]
	s_delay_alu instid0(VALU_DEP_1) | instskip(SKIP_1) | instid1(VALU_DEP_2)
	v_dual_cndmask_b32 v9, v9, v5 :: v_dual_cndmask_b32 v8, v8, v4
	v_cmp_ngt_f64_e32 vcc_lo, -1.0, v[4:5]
	v_cndmask_b32_e32 v9, 0x7ff80000, v9, vcc_lo
	v_cmp_nge_f64_e32 vcc_lo, -1.0, v[4:5]
	s_delay_alu instid0(VALU_DEP_4) | instskip(SKIP_1) | instid1(VALU_DEP_4)
	v_cndmask_b32_e32 v8, 0, v8, vcc_lo
	v_cmp_neq_f64_e32 vcc_lo, -1.0, v[4:5]
	v_cndmask_b32_e32 v9, 0xfff00000, v9, vcc_lo
	s_delay_alu instid0(VALU_DEP_1)
	v_add_f64 v[4:5], v[6:7], v[8:9]
.LBB8_44:
	s_or_b32 exec_lo, exec_lo, s16
	v_max_f64 v[30:31], v[68:69], v[68:69]
	s_delay_alu instid0(VALU_DEP_2) | instskip(SKIP_2) | instid1(VALU_DEP_3)
	v_max_f64 v[6:7], v[4:5], v[4:5]
	v_cmp_u_f64_e32 vcc_lo, v[4:5], v[4:5]
	v_cmp_u_f64_e64 s13, v[68:69], v[68:69]
	v_min_f64 v[8:9], v[6:7], v[30:31]
	v_max_f64 v[6:7], v[6:7], v[30:31]
	s_delay_alu instid0(VALU_DEP_2) | instskip(NEXT) | instid1(VALU_DEP_2)
	v_dual_cndmask_b32 v8, v8, v4 :: v_dual_cndmask_b32 v9, v9, v5
	v_dual_cndmask_b32 v7, v7, v5 :: v_dual_cndmask_b32 v6, v6, v4
	s_delay_alu instid0(VALU_DEP_2) | instskip(NEXT) | instid1(VALU_DEP_3)
	v_cndmask_b32_e64 v8, v8, v68, s13
	v_cndmask_b32_e64 v9, v9, v69, s13
	s_delay_alu instid0(VALU_DEP_3) | instskip(NEXT) | instid1(VALU_DEP_4)
	v_cndmask_b32_e64 v7, v7, v69, s13
	v_cndmask_b32_e64 v6, v6, v68, s13
	s_delay_alu instid0(VALU_DEP_3) | instskip(NEXT) | instid1(VALU_DEP_2)
	v_cmp_class_f64_e64 s14, v[8:9], 0x1f8
	v_cmp_neq_f64_e32 vcc_lo, v[8:9], v[6:7]
	s_delay_alu instid0(VALU_DEP_2) | instskip(NEXT) | instid1(SALU_CYCLE_1)
	s_or_b32 s14, vcc_lo, s14
	s_and_saveexec_b32 s16, s14
	s_cbranch_execz .LBB8_46
; %bb.45:
	v_add_f64 v[4:5], v[8:9], -v[6:7]
	s_mov_b32 s14, 0x652b82fe
	s_mov_b32 s15, 0x3ff71547
	;; [unrolled: 1-line block ×10, first 2 shown]
	s_delay_alu instid0(VALU_DEP_1) | instskip(SKIP_3) | instid1(VALU_DEP_2)
	v_mul_f64 v[8:9], v[4:5], s[14:15]
	s_mov_b32 s14, 0xfca7ab0c
	s_mov_b32 s15, 0x3e928af3
	v_cmp_nlt_f64_e32 vcc_lo, 0x40900000, v[4:5]
	v_rndne_f64_e32 v[8:9], v[8:9]
	s_delay_alu instid0(VALU_DEP_1) | instskip(SKIP_2) | instid1(VALU_DEP_2)
	v_fma_f64 v[32:33], v[8:9], s[18:19], v[4:5]
	v_cvt_i32_f64_e32 v129, v[8:9]
	s_mov_b32 s19, 0x3fe62e42
	v_fma_f64 v[32:33], v[8:9], s[20:21], v[32:33]
	s_mov_b32 s21, 0x3c7abc9e
	s_delay_alu instid0(VALU_DEP_1) | instskip(SKIP_4) | instid1(VALU_DEP_1)
	v_fma_f64 v[34:35], v[32:33], s[24:25], s[14:15]
	s_mov_b32 s14, 0x623fde64
	s_mov_b32 s15, 0x3ec71dee
	;; [unrolled: 1-line block ×4, first 2 shown]
	v_fma_f64 v[34:35], v[32:33], v[34:35], s[14:15]
	s_mov_b32 s14, 0x7c89e6b0
	s_mov_b32 s15, 0x3efa0199
	s_delay_alu instid0(VALU_DEP_1) | instid1(SALU_CYCLE_1)
	v_fma_f64 v[34:35], v[32:33], v[34:35], s[14:15]
	s_mov_b32 s14, 0x14761f6e
	s_mov_b32 s15, 0x3f2a01a0
	s_delay_alu instid0(VALU_DEP_1) | instid1(SALU_CYCLE_1)
	;; [unrolled: 4-line block ×7, first 2 shown]
	v_fma_f64 v[34:35], v[32:33], v[34:35], s[14:15]
	v_cmp_ngt_f64_e64 s14, 0xc090cc00, v[4:5]
	s_mov_b32 s15, 0x3fe55555
	s_delay_alu instid0(VALU_DEP_2) | instskip(NEXT) | instid1(VALU_DEP_1)
	v_fma_f64 v[34:35], v[32:33], v[34:35], 1.0
	v_fma_f64 v[8:9], v[32:33], v[34:35], 1.0
	s_delay_alu instid0(VALU_DEP_1) | instskip(NEXT) | instid1(VALU_DEP_1)
	v_ldexp_f64 v[8:9], v[8:9], v129
	v_cndmask_b32_e32 v9, 0x7ff00000, v9, vcc_lo
	s_and_b32 vcc_lo, s14, vcc_lo
	s_delay_alu instid0(VALU_DEP_1) | instskip(NEXT) | instid1(VALU_DEP_3)
	v_cndmask_b32_e64 v5, 0, v9, s14
	v_cndmask_b32_e32 v4, 0, v8, vcc_lo
	s_mov_b32 s14, 0x55555555
	s_delay_alu instid0(VALU_DEP_1) | instskip(NEXT) | instid1(VALU_DEP_1)
	v_add_f64 v[8:9], v[4:5], 1.0
	v_frexp_mant_f64_e32 v[32:33], v[8:9]
	v_frexp_exp_i32_f64_e32 v129, v[8:9]
	v_add_f64 v[34:35], v[8:9], -1.0
	s_delay_alu instid0(VALU_DEP_3) | instskip(SKIP_1) | instid1(VALU_DEP_2)
	v_cmp_gt_f64_e32 vcc_lo, s[14:15], v[32:33]
	s_mov_b32 s14, 0x55555780
	v_add_f64 v[32:33], v[34:35], -v[8:9]
	v_add_f64 v[34:35], v[4:5], -v[34:35]
	v_subrev_co_ci_u32_e32 v164, vcc_lo, 0, v129, vcc_lo
	s_delay_alu instid0(VALU_DEP_3) | instskip(SKIP_1) | instid1(VALU_DEP_3)
	v_add_f64 v[32:33], v[32:33], 1.0
	v_cmp_eq_f64_e32 vcc_lo, 0x7ff00000, v[4:5]
	v_sub_nc_u32_e32 v133, 0, v164
	s_delay_alu instid0(VALU_DEP_1) | instskip(NEXT) | instid1(VALU_DEP_4)
	v_ldexp_f64 v[8:9], v[8:9], v133
	v_add_f64 v[32:33], v[34:35], v[32:33]
	s_delay_alu instid0(VALU_DEP_2) | instskip(SKIP_1) | instid1(VALU_DEP_3)
	v_add_f64 v[129:130], v[8:9], 1.0
	v_add_f64 v[146:147], v[8:9], -1.0
	v_ldexp_f64 v[32:33], v[32:33], v133
	s_delay_alu instid0(VALU_DEP_3) | instskip(NEXT) | instid1(VALU_DEP_3)
	v_add_f64 v[34:35], v[129:130], -1.0
	v_add_f64 v[148:149], v[146:147], 1.0
	s_delay_alu instid0(VALU_DEP_2) | instskip(NEXT) | instid1(VALU_DEP_2)
	v_add_f64 v[34:35], v[8:9], -v[34:35]
	v_add_f64 v[8:9], v[8:9], -v[148:149]
	s_delay_alu instid0(VALU_DEP_2) | instskip(NEXT) | instid1(VALU_DEP_2)
	v_add_f64 v[34:35], v[32:33], v[34:35]
	v_add_f64 v[8:9], v[32:33], v[8:9]
	s_delay_alu instid0(VALU_DEP_2) | instskip(NEXT) | instid1(VALU_DEP_2)
	v_add_f64 v[133:134], v[129:130], v[34:35]
	v_add_f64 v[148:149], v[146:147], v[8:9]
	s_delay_alu instid0(VALU_DEP_2) | instskip(SKIP_1) | instid1(VALU_DEP_2)
	v_rcp_f64_e32 v[144:145], v[133:134]
	v_add_f64 v[129:130], v[133:134], -v[129:130]
	v_add_f64 v[146:147], v[148:149], -v[146:147]
	s_delay_alu instid0(VALU_DEP_2) | instskip(SKIP_3) | instid1(VALU_DEP_2)
	v_add_f64 v[34:35], v[34:35], -v[129:130]
	s_waitcnt_depctr 0xfff
	v_fma_f64 v[150:151], -v[133:134], v[144:145], 1.0
	v_add_f64 v[8:9], v[8:9], -v[146:147]
	v_fma_f64 v[144:145], v[150:151], v[144:145], v[144:145]
	s_delay_alu instid0(VALU_DEP_1) | instskip(NEXT) | instid1(VALU_DEP_1)
	v_fma_f64 v[32:33], -v[133:134], v[144:145], 1.0
	v_fma_f64 v[32:33], v[32:33], v[144:145], v[144:145]
	s_delay_alu instid0(VALU_DEP_1) | instskip(NEXT) | instid1(VALU_DEP_1)
	v_mul_f64 v[144:145], v[148:149], v[32:33]
	v_mul_f64 v[150:151], v[133:134], v[144:145]
	s_delay_alu instid0(VALU_DEP_1) | instskip(NEXT) | instid1(VALU_DEP_1)
	v_fma_f64 v[129:130], v[144:145], v[133:134], -v[150:151]
	v_fma_f64 v[129:130], v[144:145], v[34:35], v[129:130]
	s_delay_alu instid0(VALU_DEP_1) | instskip(NEXT) | instid1(VALU_DEP_1)
	v_add_f64 v[160:161], v[150:151], v[129:130]
	v_add_f64 v[162:163], v[148:149], -v[160:161]
	v_add_f64 v[146:147], v[160:161], -v[150:151]
	s_delay_alu instid0(VALU_DEP_2) | instskip(NEXT) | instid1(VALU_DEP_2)
	v_add_f64 v[148:149], v[148:149], -v[162:163]
	v_add_f64 v[129:130], v[146:147], -v[129:130]
	s_delay_alu instid0(VALU_DEP_2) | instskip(NEXT) | instid1(VALU_DEP_1)
	v_add_f64 v[148:149], v[148:149], -v[160:161]
	v_add_f64 v[8:9], v[8:9], v[148:149]
	s_delay_alu instid0(VALU_DEP_1) | instskip(NEXT) | instid1(VALU_DEP_1)
	v_add_f64 v[8:9], v[129:130], v[8:9]
	v_add_f64 v[129:130], v[162:163], v[8:9]
	s_delay_alu instid0(VALU_DEP_1) | instskip(SKIP_1) | instid1(VALU_DEP_2)
	v_mul_f64 v[146:147], v[32:33], v[129:130]
	v_add_f64 v[160:161], v[162:163], -v[129:130]
	v_mul_f64 v[148:149], v[133:134], v[146:147]
	s_delay_alu instid0(VALU_DEP_2) | instskip(NEXT) | instid1(VALU_DEP_2)
	v_add_f64 v[8:9], v[8:9], v[160:161]
	v_fma_f64 v[133:134], v[146:147], v[133:134], -v[148:149]
	s_delay_alu instid0(VALU_DEP_1) | instskip(NEXT) | instid1(VALU_DEP_1)
	v_fma_f64 v[34:35], v[146:147], v[34:35], v[133:134]
	v_add_f64 v[133:134], v[148:149], v[34:35]
	s_delay_alu instid0(VALU_DEP_1) | instskip(SKIP_1) | instid1(VALU_DEP_2)
	v_add_f64 v[150:151], v[129:130], -v[133:134]
	v_add_f64 v[148:149], v[133:134], -v[148:149]
	;; [unrolled: 1-line block ×3, first 2 shown]
	s_delay_alu instid0(VALU_DEP_2) | instskip(NEXT) | instid1(VALU_DEP_2)
	v_add_f64 v[34:35], v[148:149], -v[34:35]
	v_add_f64 v[129:130], v[129:130], -v[133:134]
	s_delay_alu instid0(VALU_DEP_1) | instskip(SKIP_1) | instid1(VALU_DEP_2)
	v_add_f64 v[8:9], v[8:9], v[129:130]
	v_add_f64 v[129:130], v[144:145], v[146:147]
	;; [unrolled: 1-line block ×3, first 2 shown]
	s_delay_alu instid0(VALU_DEP_2) | instskip(NEXT) | instid1(VALU_DEP_2)
	v_add_f64 v[34:35], v[129:130], -v[144:145]
	v_add_f64 v[8:9], v[150:151], v[8:9]
	s_delay_alu instid0(VALU_DEP_2) | instskip(NEXT) | instid1(VALU_DEP_2)
	v_add_f64 v[34:35], v[146:147], -v[34:35]
	v_mul_f64 v[8:9], v[32:33], v[8:9]
	s_delay_alu instid0(VALU_DEP_1) | instskip(NEXT) | instid1(VALU_DEP_1)
	v_add_f64 v[8:9], v[34:35], v[8:9]
	v_add_f64 v[32:33], v[129:130], v[8:9]
	s_delay_alu instid0(VALU_DEP_1) | instskip(NEXT) | instid1(VALU_DEP_1)
	v_mul_f64 v[34:35], v[32:33], v[32:33]
	v_fma_f64 v[133:134], v[34:35], s[26:27], s[24:25]
	s_mov_b32 s24, 0xd7f4df2e
	s_mov_b32 s25, 0x3fc7474d
	v_mul_f64 v[144:145], v[32:33], v[34:35]
	s_delay_alu instid0(VALU_DEP_2)
	v_fma_f64 v[133:134], v[34:35], v[133:134], s[24:25]
	s_mov_b32 s24, 0x16291751
	s_mov_b32 s25, 0x3fcc71c0
	s_delay_alu instid0(VALU_DEP_1) | instid1(SALU_CYCLE_1)
	v_fma_f64 v[133:134], v[34:35], v[133:134], s[24:25]
	s_mov_b32 s24, 0x9b27acf1
	s_mov_b32 s25, 0x3fd24924
	s_delay_alu instid0(VALU_DEP_1) | instid1(SALU_CYCLE_1)
	;; [unrolled: 4-line block ×3, first 2 shown]
	v_fma_f64 v[133:134], v[34:35], v[133:134], s[24:25]
	s_delay_alu instid0(VALU_DEP_1) | instskip(SKIP_2) | instid1(VALU_DEP_3)
	v_fma_f64 v[34:35], v[34:35], v[133:134], s[14:15]
	v_ldexp_f64 v[133:134], v[32:33], 1
	v_add_f64 v[32:33], v[32:33], -v[129:130]
	v_mul_f64 v[34:35], v[144:145], v[34:35]
	v_cvt_f64_i32_e32 v[144:145], v164
	s_delay_alu instid0(VALU_DEP_3) | instskip(NEXT) | instid1(VALU_DEP_3)
	v_add_f64 v[8:9], v[8:9], -v[32:33]
	v_add_f64 v[129:130], v[133:134], v[34:35]
	s_delay_alu instid0(VALU_DEP_3) | instskip(NEXT) | instid1(VALU_DEP_3)
	v_mul_f64 v[146:147], v[144:145], s[18:19]
	v_ldexp_f64 v[8:9], v[8:9], 1
	s_delay_alu instid0(VALU_DEP_3) | instskip(NEXT) | instid1(VALU_DEP_3)
	v_add_f64 v[32:33], v[129:130], -v[133:134]
	v_fma_f64 v[133:134], v[144:145], s[18:19], -v[146:147]
	s_delay_alu instid0(VALU_DEP_2) | instskip(NEXT) | instid1(VALU_DEP_2)
	v_add_f64 v[32:33], v[34:35], -v[32:33]
	v_fma_f64 v[34:35], v[144:145], s[20:21], v[133:134]
	s_delay_alu instid0(VALU_DEP_2) | instskip(NEXT) | instid1(VALU_DEP_2)
	v_add_f64 v[8:9], v[8:9], v[32:33]
	v_add_f64 v[32:33], v[146:147], v[34:35]
	s_delay_alu instid0(VALU_DEP_2) | instskip(NEXT) | instid1(VALU_DEP_2)
	v_add_f64 v[133:134], v[129:130], v[8:9]
	v_add_f64 v[146:147], v[32:33], -v[146:147]
	s_delay_alu instid0(VALU_DEP_2) | instskip(SKIP_1) | instid1(VALU_DEP_3)
	v_add_f64 v[144:145], v[32:33], v[133:134]
	v_add_f64 v[129:130], v[133:134], -v[129:130]
	v_add_f64 v[34:35], v[34:35], -v[146:147]
	s_delay_alu instid0(VALU_DEP_3) | instskip(NEXT) | instid1(VALU_DEP_3)
	v_add_f64 v[148:149], v[144:145], -v[32:33]
	v_add_f64 v[8:9], v[8:9], -v[129:130]
	s_delay_alu instid0(VALU_DEP_2) | instskip(SKIP_1) | instid1(VALU_DEP_3)
	v_add_f64 v[150:151], v[144:145], -v[148:149]
	v_add_f64 v[129:130], v[133:134], -v[148:149]
	v_add_f64 v[133:134], v[34:35], v[8:9]
	s_delay_alu instid0(VALU_DEP_3) | instskip(NEXT) | instid1(VALU_DEP_1)
	v_add_f64 v[32:33], v[32:33], -v[150:151]
	v_add_f64 v[32:33], v[129:130], v[32:33]
	s_delay_alu instid0(VALU_DEP_3) | instskip(NEXT) | instid1(VALU_DEP_2)
	v_add_f64 v[129:130], v[133:134], -v[34:35]
	v_add_f64 v[32:33], v[133:134], v[32:33]
	s_delay_alu instid0(VALU_DEP_2) | instskip(SKIP_1) | instid1(VALU_DEP_3)
	v_add_f64 v[133:134], v[133:134], -v[129:130]
	v_add_f64 v[8:9], v[8:9], -v[129:130]
	v_add_f64 v[146:147], v[144:145], v[32:33]
	s_delay_alu instid0(VALU_DEP_3) | instskip(NEXT) | instid1(VALU_DEP_2)
	v_add_f64 v[34:35], v[34:35], -v[133:134]
	v_add_f64 v[129:130], v[146:147], -v[144:145]
	s_delay_alu instid0(VALU_DEP_2) | instskip(NEXT) | instid1(VALU_DEP_2)
	v_add_f64 v[8:9], v[8:9], v[34:35]
	v_add_f64 v[32:33], v[32:33], -v[129:130]
	s_delay_alu instid0(VALU_DEP_1) | instskip(NEXT) | instid1(VALU_DEP_1)
	v_add_f64 v[8:9], v[8:9], v[32:33]
	v_add_f64 v[8:9], v[146:147], v[8:9]
	s_delay_alu instid0(VALU_DEP_1) | instskip(SKIP_1) | instid1(VALU_DEP_2)
	v_dual_cndmask_b32 v9, v9, v5 :: v_dual_cndmask_b32 v8, v8, v4
	v_cmp_ngt_f64_e32 vcc_lo, -1.0, v[4:5]
	v_cndmask_b32_e32 v9, 0x7ff80000, v9, vcc_lo
	v_cmp_nge_f64_e32 vcc_lo, -1.0, v[4:5]
	s_delay_alu instid0(VALU_DEP_4) | instskip(SKIP_1) | instid1(VALU_DEP_4)
	v_cndmask_b32_e32 v8, 0, v8, vcc_lo
	v_cmp_neq_f64_e32 vcc_lo, -1.0, v[4:5]
	v_cndmask_b32_e32 v9, 0xfff00000, v9, vcc_lo
	s_delay_alu instid0(VALU_DEP_1)
	v_add_f64 v[4:5], v[6:7], v[8:9]
.LBB8_46:
	s_or_b32 exec_lo, exec_lo, s16
	v_max_f64 v[32:33], v[70:71], v[70:71]
	s_delay_alu instid0(VALU_DEP_2) | instskip(SKIP_2) | instid1(VALU_DEP_3)
	v_max_f64 v[6:7], v[4:5], v[4:5]
	v_cmp_u_f64_e32 vcc_lo, v[4:5], v[4:5]
	v_cmp_u_f64_e64 s14, v[70:71], v[70:71]
	v_min_f64 v[8:9], v[6:7], v[32:33]
	v_max_f64 v[6:7], v[6:7], v[32:33]
	s_delay_alu instid0(VALU_DEP_2) | instskip(NEXT) | instid1(VALU_DEP_2)
	v_dual_cndmask_b32 v8, v8, v4 :: v_dual_cndmask_b32 v9, v9, v5
	v_dual_cndmask_b32 v7, v7, v5 :: v_dual_cndmask_b32 v6, v6, v4
	s_delay_alu instid0(VALU_DEP_2) | instskip(NEXT) | instid1(VALU_DEP_3)
	v_cndmask_b32_e64 v8, v8, v70, s14
	v_cndmask_b32_e64 v9, v9, v71, s14
	s_delay_alu instid0(VALU_DEP_3) | instskip(NEXT) | instid1(VALU_DEP_4)
	v_cndmask_b32_e64 v7, v7, v71, s14
	v_cndmask_b32_e64 v6, v6, v70, s14
	s_delay_alu instid0(VALU_DEP_3) | instskip(NEXT) | instid1(VALU_DEP_2)
	v_cmp_class_f64_e64 s15, v[8:9], 0x1f8
	v_cmp_neq_f64_e32 vcc_lo, v[8:9], v[6:7]
	s_delay_alu instid0(VALU_DEP_2) | instskip(NEXT) | instid1(SALU_CYCLE_1)
	s_or_b32 s15, vcc_lo, s15
	s_and_saveexec_b32 s16, s15
	s_cbranch_execz .LBB8_48
; %bb.47:
	v_add_f64 v[4:5], v[8:9], -v[6:7]
	s_mov_b32 s18, 0x652b82fe
	s_mov_b32 s19, 0x3ff71547
	;; [unrolled: 1-line block ×10, first 2 shown]
	s_delay_alu instid0(VALU_DEP_1) | instskip(SKIP_4) | instid1(VALU_DEP_3)
	v_mul_f64 v[8:9], v[4:5], s[18:19]
	s_mov_b32 s19, 0xbfe62e42
	s_mov_b32 s18, 0xfefa39ef
	v_cmp_nlt_f64_e32 vcc_lo, 0x40900000, v[4:5]
	v_cmp_ngt_f64_e64 s15, 0xc090cc00, v[4:5]
	v_rndne_f64_e32 v[8:9], v[8:9]
	s_delay_alu instid0(VALU_DEP_1) | instskip(SKIP_2) | instid1(VALU_DEP_2)
	v_fma_f64 v[34:35], v[8:9], s[18:19], v[4:5]
	v_cvt_i32_f64_e32 v133, v[8:9]
	s_mov_b32 s19, 0x3fe62e42
	v_fma_f64 v[34:35], v[8:9], s[20:21], v[34:35]
	s_mov_b32 s21, 0x3c7abc9e
	s_delay_alu instid0(VALU_DEP_1) | instskip(SKIP_4) | instid1(VALU_DEP_1)
	v_fma_f64 v[129:130], v[34:35], s[26:27], s[24:25]
	s_mov_b32 s24, 0x623fde64
	s_mov_b32 s25, 0x3ec71dee
	;; [unrolled: 1-line block ×4, first 2 shown]
	v_fma_f64 v[129:130], v[34:35], v[129:130], s[24:25]
	s_mov_b32 s24, 0x7c89e6b0
	s_mov_b32 s25, 0x3efa0199
	s_delay_alu instid0(VALU_DEP_1) | instid1(SALU_CYCLE_1)
	v_fma_f64 v[129:130], v[34:35], v[129:130], s[24:25]
	s_mov_b32 s24, 0x14761f6e
	s_mov_b32 s25, 0x3f2a01a0
	s_delay_alu instid0(VALU_DEP_1) | instid1(SALU_CYCLE_1)
	v_fma_f64 v[129:130], v[34:35], v[129:130], s[24:25]
	s_mov_b32 s24, 0x1852b7b0
	s_mov_b32 s25, 0x3f56c16c
	s_delay_alu instid0(VALU_DEP_1) | instid1(SALU_CYCLE_1)
	v_fma_f64 v[129:130], v[34:35], v[129:130], s[24:25]
	s_mov_b32 s24, 0x11122322
	s_mov_b32 s25, 0x3f811111
	s_delay_alu instid0(VALU_DEP_1) | instid1(SALU_CYCLE_1)
	v_fma_f64 v[129:130], v[34:35], v[129:130], s[24:25]
	s_mov_b32 s24, 0x555502a1
	s_mov_b32 s25, 0x3fa55555
	s_delay_alu instid0(VALU_DEP_1) | instid1(SALU_CYCLE_1)
	v_fma_f64 v[129:130], v[34:35], v[129:130], s[24:25]
	s_mov_b32 s24, 0x55555511
	s_mov_b32 s25, 0x3fc55555
	s_delay_alu instid0(VALU_DEP_1) | instid1(SALU_CYCLE_1)
	v_fma_f64 v[129:130], v[34:35], v[129:130], s[24:25]
	s_mov_b32 s24, 11
	s_mov_b32 s25, 0x3fe00000
	s_delay_alu instid0(VALU_DEP_1) | instid1(SALU_CYCLE_1)
	v_fma_f64 v[129:130], v[34:35], v[129:130], s[24:25]
	s_mov_b32 s25, 0x3fe55555
	s_mov_b32 s24, 0x55555555
	s_delay_alu instid0(VALU_DEP_1) | instskip(NEXT) | instid1(VALU_DEP_1)
	v_fma_f64 v[129:130], v[34:35], v[129:130], 1.0
	v_fma_f64 v[8:9], v[34:35], v[129:130], 1.0
	s_delay_alu instid0(VALU_DEP_1) | instskip(NEXT) | instid1(VALU_DEP_1)
	v_ldexp_f64 v[8:9], v[8:9], v133
	v_cndmask_b32_e32 v9, 0x7ff00000, v9, vcc_lo
	s_and_b32 vcc_lo, s15, vcc_lo
	s_delay_alu instid0(VALU_DEP_1) | instskip(NEXT) | instid1(VALU_DEP_3)
	v_cndmask_b32_e64 v5, 0, v9, s15
	v_cndmask_b32_e32 v4, 0, v8, vcc_lo
	s_delay_alu instid0(VALU_DEP_1) | instskip(NEXT) | instid1(VALU_DEP_1)
	v_add_f64 v[8:9], v[4:5], 1.0
	v_frexp_mant_f64_e32 v[34:35], v[8:9]
	v_frexp_exp_i32_f64_e32 v133, v[8:9]
	v_add_f64 v[129:130], v[8:9], -1.0
	s_delay_alu instid0(VALU_DEP_3) | instskip(SKIP_1) | instid1(VALU_DEP_2)
	v_cmp_gt_f64_e32 vcc_lo, s[24:25], v[34:35]
	s_mov_b32 s24, 0x55555780
	v_add_f64 v[34:35], v[129:130], -v[8:9]
	v_add_f64 v[129:130], v[4:5], -v[129:130]
	v_subrev_co_ci_u32_e32 v166, vcc_lo, 0, v133, vcc_lo
	s_delay_alu instid0(VALU_DEP_3) | instskip(SKIP_1) | instid1(VALU_DEP_3)
	v_add_f64 v[34:35], v[34:35], 1.0
	v_cmp_eq_f64_e32 vcc_lo, 0x7ff00000, v[4:5]
	v_sub_nc_u32_e32 v144, 0, v166
	s_delay_alu instid0(VALU_DEP_1) | instskip(NEXT) | instid1(VALU_DEP_4)
	v_ldexp_f64 v[8:9], v[8:9], v144
	v_add_f64 v[34:35], v[129:130], v[34:35]
	s_delay_alu instid0(VALU_DEP_2) | instskip(SKIP_1) | instid1(VALU_DEP_3)
	v_add_f64 v[133:134], v[8:9], 1.0
	v_add_f64 v[148:149], v[8:9], -1.0
	v_ldexp_f64 v[34:35], v[34:35], v144
	s_delay_alu instid0(VALU_DEP_3) | instskip(NEXT) | instid1(VALU_DEP_3)
	v_add_f64 v[129:130], v[133:134], -1.0
	v_add_f64 v[150:151], v[148:149], 1.0
	s_delay_alu instid0(VALU_DEP_2) | instskip(NEXT) | instid1(VALU_DEP_2)
	v_add_f64 v[129:130], v[8:9], -v[129:130]
	v_add_f64 v[8:9], v[8:9], -v[150:151]
	s_delay_alu instid0(VALU_DEP_2) | instskip(NEXT) | instid1(VALU_DEP_2)
	v_add_f64 v[129:130], v[34:35], v[129:130]
	v_add_f64 v[8:9], v[34:35], v[8:9]
	s_delay_alu instid0(VALU_DEP_2) | instskip(NEXT) | instid1(VALU_DEP_2)
	v_add_f64 v[144:145], v[133:134], v[129:130]
	v_add_f64 v[150:151], v[148:149], v[8:9]
	s_delay_alu instid0(VALU_DEP_2) | instskip(SKIP_1) | instid1(VALU_DEP_2)
	v_rcp_f64_e32 v[146:147], v[144:145]
	v_add_f64 v[133:134], v[144:145], -v[133:134]
	v_add_f64 v[148:149], v[150:151], -v[148:149]
	s_delay_alu instid0(VALU_DEP_2) | instskip(SKIP_3) | instid1(VALU_DEP_2)
	v_add_f64 v[129:130], v[129:130], -v[133:134]
	s_waitcnt_depctr 0xfff
	v_fma_f64 v[160:161], -v[144:145], v[146:147], 1.0
	v_add_f64 v[8:9], v[8:9], -v[148:149]
	v_fma_f64 v[146:147], v[160:161], v[146:147], v[146:147]
	s_delay_alu instid0(VALU_DEP_1) | instskip(NEXT) | instid1(VALU_DEP_1)
	v_fma_f64 v[34:35], -v[144:145], v[146:147], 1.0
	v_fma_f64 v[34:35], v[34:35], v[146:147], v[146:147]
	s_delay_alu instid0(VALU_DEP_1) | instskip(NEXT) | instid1(VALU_DEP_1)
	v_mul_f64 v[146:147], v[150:151], v[34:35]
	v_mul_f64 v[160:161], v[144:145], v[146:147]
	s_delay_alu instid0(VALU_DEP_1) | instskip(NEXT) | instid1(VALU_DEP_1)
	v_fma_f64 v[133:134], v[146:147], v[144:145], -v[160:161]
	v_fma_f64 v[133:134], v[146:147], v[129:130], v[133:134]
	s_delay_alu instid0(VALU_DEP_1) | instskip(NEXT) | instid1(VALU_DEP_1)
	v_add_f64 v[162:163], v[160:161], v[133:134]
	v_add_f64 v[164:165], v[150:151], -v[162:163]
	v_add_f64 v[148:149], v[162:163], -v[160:161]
	s_delay_alu instid0(VALU_DEP_2) | instskip(NEXT) | instid1(VALU_DEP_2)
	v_add_f64 v[150:151], v[150:151], -v[164:165]
	v_add_f64 v[133:134], v[148:149], -v[133:134]
	s_delay_alu instid0(VALU_DEP_2) | instskip(NEXT) | instid1(VALU_DEP_1)
	v_add_f64 v[150:151], v[150:151], -v[162:163]
	v_add_f64 v[8:9], v[8:9], v[150:151]
	s_delay_alu instid0(VALU_DEP_1) | instskip(NEXT) | instid1(VALU_DEP_1)
	v_add_f64 v[8:9], v[133:134], v[8:9]
	v_add_f64 v[133:134], v[164:165], v[8:9]
	s_delay_alu instid0(VALU_DEP_1) | instskip(SKIP_1) | instid1(VALU_DEP_2)
	v_mul_f64 v[148:149], v[34:35], v[133:134]
	v_add_f64 v[162:163], v[164:165], -v[133:134]
	v_mul_f64 v[150:151], v[144:145], v[148:149]
	s_delay_alu instid0(VALU_DEP_2) | instskip(NEXT) | instid1(VALU_DEP_2)
	v_add_f64 v[8:9], v[8:9], v[162:163]
	v_fma_f64 v[144:145], v[148:149], v[144:145], -v[150:151]
	s_delay_alu instid0(VALU_DEP_1) | instskip(NEXT) | instid1(VALU_DEP_1)
	v_fma_f64 v[129:130], v[148:149], v[129:130], v[144:145]
	v_add_f64 v[144:145], v[150:151], v[129:130]
	s_delay_alu instid0(VALU_DEP_1) | instskip(SKIP_1) | instid1(VALU_DEP_2)
	v_add_f64 v[160:161], v[133:134], -v[144:145]
	v_add_f64 v[150:151], v[144:145], -v[150:151]
	;; [unrolled: 1-line block ×3, first 2 shown]
	s_delay_alu instid0(VALU_DEP_2) | instskip(NEXT) | instid1(VALU_DEP_2)
	v_add_f64 v[129:130], v[150:151], -v[129:130]
	v_add_f64 v[133:134], v[133:134], -v[144:145]
	s_delay_alu instid0(VALU_DEP_1) | instskip(SKIP_1) | instid1(VALU_DEP_2)
	v_add_f64 v[8:9], v[8:9], v[133:134]
	v_add_f64 v[133:134], v[146:147], v[148:149]
	;; [unrolled: 1-line block ×3, first 2 shown]
	s_delay_alu instid0(VALU_DEP_2) | instskip(NEXT) | instid1(VALU_DEP_2)
	v_add_f64 v[129:130], v[133:134], -v[146:147]
	v_add_f64 v[8:9], v[160:161], v[8:9]
	s_delay_alu instid0(VALU_DEP_2) | instskip(NEXT) | instid1(VALU_DEP_2)
	v_add_f64 v[129:130], v[148:149], -v[129:130]
	v_mul_f64 v[8:9], v[34:35], v[8:9]
	s_delay_alu instid0(VALU_DEP_1) | instskip(NEXT) | instid1(VALU_DEP_1)
	v_add_f64 v[8:9], v[129:130], v[8:9]
	v_add_f64 v[34:35], v[133:134], v[8:9]
	s_delay_alu instid0(VALU_DEP_1) | instskip(NEXT) | instid1(VALU_DEP_1)
	v_mul_f64 v[129:130], v[34:35], v[34:35]
	v_fma_f64 v[144:145], v[129:130], s[28:29], s[26:27]
	s_mov_b32 s26, 0xd7f4df2e
	s_mov_b32 s27, 0x3fc7474d
	v_mul_f64 v[146:147], v[34:35], v[129:130]
	s_delay_alu instid0(VALU_DEP_2)
	v_fma_f64 v[144:145], v[129:130], v[144:145], s[26:27]
	s_mov_b32 s26, 0x16291751
	s_mov_b32 s27, 0x3fcc71c0
	s_delay_alu instid0(VALU_DEP_1) | instid1(SALU_CYCLE_1)
	v_fma_f64 v[144:145], v[129:130], v[144:145], s[26:27]
	s_mov_b32 s26, 0x9b27acf1
	s_mov_b32 s27, 0x3fd24924
	s_delay_alu instid0(VALU_DEP_1) | instid1(SALU_CYCLE_1)
	;; [unrolled: 4-line block ×3, first 2 shown]
	v_fma_f64 v[144:145], v[129:130], v[144:145], s[26:27]
	s_delay_alu instid0(VALU_DEP_1) | instskip(SKIP_2) | instid1(VALU_DEP_3)
	v_fma_f64 v[129:130], v[129:130], v[144:145], s[24:25]
	v_ldexp_f64 v[144:145], v[34:35], 1
	v_add_f64 v[34:35], v[34:35], -v[133:134]
	v_mul_f64 v[129:130], v[146:147], v[129:130]
	v_cvt_f64_i32_e32 v[146:147], v166
	s_delay_alu instid0(VALU_DEP_3) | instskip(NEXT) | instid1(VALU_DEP_3)
	v_add_f64 v[8:9], v[8:9], -v[34:35]
	v_add_f64 v[133:134], v[144:145], v[129:130]
	s_delay_alu instid0(VALU_DEP_3) | instskip(NEXT) | instid1(VALU_DEP_3)
	v_mul_f64 v[148:149], v[146:147], s[18:19]
	v_ldexp_f64 v[8:9], v[8:9], 1
	s_delay_alu instid0(VALU_DEP_3) | instskip(NEXT) | instid1(VALU_DEP_3)
	v_add_f64 v[34:35], v[133:134], -v[144:145]
	v_fma_f64 v[144:145], v[146:147], s[18:19], -v[148:149]
	s_delay_alu instid0(VALU_DEP_2) | instskip(NEXT) | instid1(VALU_DEP_2)
	v_add_f64 v[34:35], v[129:130], -v[34:35]
	v_fma_f64 v[129:130], v[146:147], s[20:21], v[144:145]
	s_delay_alu instid0(VALU_DEP_2) | instskip(NEXT) | instid1(VALU_DEP_2)
	v_add_f64 v[8:9], v[8:9], v[34:35]
	v_add_f64 v[34:35], v[148:149], v[129:130]
	s_delay_alu instid0(VALU_DEP_2) | instskip(NEXT) | instid1(VALU_DEP_2)
	v_add_f64 v[144:145], v[133:134], v[8:9]
	v_add_f64 v[148:149], v[34:35], -v[148:149]
	s_delay_alu instid0(VALU_DEP_2) | instskip(SKIP_1) | instid1(VALU_DEP_3)
	v_add_f64 v[146:147], v[34:35], v[144:145]
	v_add_f64 v[133:134], v[144:145], -v[133:134]
	v_add_f64 v[129:130], v[129:130], -v[148:149]
	s_delay_alu instid0(VALU_DEP_3) | instskip(NEXT) | instid1(VALU_DEP_3)
	v_add_f64 v[150:151], v[146:147], -v[34:35]
	v_add_f64 v[8:9], v[8:9], -v[133:134]
	s_delay_alu instid0(VALU_DEP_2) | instskip(SKIP_1) | instid1(VALU_DEP_3)
	v_add_f64 v[160:161], v[146:147], -v[150:151]
	v_add_f64 v[133:134], v[144:145], -v[150:151]
	v_add_f64 v[144:145], v[129:130], v[8:9]
	s_delay_alu instid0(VALU_DEP_3) | instskip(NEXT) | instid1(VALU_DEP_1)
	v_add_f64 v[34:35], v[34:35], -v[160:161]
	v_add_f64 v[34:35], v[133:134], v[34:35]
	s_delay_alu instid0(VALU_DEP_3) | instskip(NEXT) | instid1(VALU_DEP_2)
	v_add_f64 v[133:134], v[144:145], -v[129:130]
	v_add_f64 v[34:35], v[144:145], v[34:35]
	s_delay_alu instid0(VALU_DEP_2) | instskip(SKIP_1) | instid1(VALU_DEP_3)
	v_add_f64 v[144:145], v[144:145], -v[133:134]
	v_add_f64 v[8:9], v[8:9], -v[133:134]
	v_add_f64 v[148:149], v[146:147], v[34:35]
	s_delay_alu instid0(VALU_DEP_3) | instskip(NEXT) | instid1(VALU_DEP_2)
	v_add_f64 v[129:130], v[129:130], -v[144:145]
	v_add_f64 v[133:134], v[148:149], -v[146:147]
	s_delay_alu instid0(VALU_DEP_2) | instskip(NEXT) | instid1(VALU_DEP_2)
	v_add_f64 v[8:9], v[8:9], v[129:130]
	v_add_f64 v[34:35], v[34:35], -v[133:134]
	s_delay_alu instid0(VALU_DEP_1) | instskip(NEXT) | instid1(VALU_DEP_1)
	v_add_f64 v[8:9], v[8:9], v[34:35]
	v_add_f64 v[8:9], v[148:149], v[8:9]
	s_delay_alu instid0(VALU_DEP_1) | instskip(SKIP_1) | instid1(VALU_DEP_2)
	v_dual_cndmask_b32 v9, v9, v5 :: v_dual_cndmask_b32 v8, v8, v4
	v_cmp_ngt_f64_e32 vcc_lo, -1.0, v[4:5]
	v_cndmask_b32_e32 v9, 0x7ff80000, v9, vcc_lo
	v_cmp_nge_f64_e32 vcc_lo, -1.0, v[4:5]
	s_delay_alu instid0(VALU_DEP_4) | instskip(SKIP_1) | instid1(VALU_DEP_4)
	v_cndmask_b32_e32 v8, 0, v8, vcc_lo
	v_cmp_neq_f64_e32 vcc_lo, -1.0, v[4:5]
	v_cndmask_b32_e32 v9, 0xfff00000, v9, vcc_lo
	s_delay_alu instid0(VALU_DEP_1)
	v_add_f64 v[4:5], v[6:7], v[8:9]
.LBB8_48:
	s_or_b32 exec_lo, exec_lo, s16
	v_max_f64 v[34:35], v[64:65], v[64:65]
	s_delay_alu instid0(VALU_DEP_2) | instskip(SKIP_2) | instid1(VALU_DEP_3)
	v_max_f64 v[6:7], v[4:5], v[4:5]
	v_cmp_u_f64_e32 vcc_lo, v[4:5], v[4:5]
	v_cmp_u_f64_e64 s15, v[64:65], v[64:65]
	v_min_f64 v[8:9], v[6:7], v[34:35]
	v_max_f64 v[6:7], v[6:7], v[34:35]
	s_delay_alu instid0(VALU_DEP_2) | instskip(NEXT) | instid1(VALU_DEP_2)
	v_dual_cndmask_b32 v8, v8, v4 :: v_dual_cndmask_b32 v9, v9, v5
	v_dual_cndmask_b32 v7, v7, v5 :: v_dual_cndmask_b32 v6, v6, v4
	s_delay_alu instid0(VALU_DEP_2) | instskip(NEXT) | instid1(VALU_DEP_3)
	v_cndmask_b32_e64 v8, v8, v64, s15
	v_cndmask_b32_e64 v9, v9, v65, s15
	s_delay_alu instid0(VALU_DEP_3) | instskip(NEXT) | instid1(VALU_DEP_4)
	v_cndmask_b32_e64 v7, v7, v65, s15
	v_cndmask_b32_e64 v6, v6, v64, s15
	s_delay_alu instid0(VALU_DEP_3) | instskip(NEXT) | instid1(VALU_DEP_2)
	v_cmp_class_f64_e64 s16, v[8:9], 0x1f8
	v_cmp_neq_f64_e32 vcc_lo, v[8:9], v[6:7]
	s_delay_alu instid0(VALU_DEP_2) | instskip(NEXT) | instid1(SALU_CYCLE_1)
	s_or_b32 s16, vcc_lo, s16
	s_and_saveexec_b32 s26, s16
	s_cbranch_execz .LBB8_50
; %bb.49:
	v_add_f64 v[4:5], v[8:9], -v[6:7]
	s_mov_b32 s18, 0x652b82fe
	s_mov_b32 s19, 0x3ff71547
	;; [unrolled: 1-line block ×8, first 2 shown]
	s_delay_alu instid0(VALU_DEP_1) | instskip(SKIP_4) | instid1(VALU_DEP_3)
	v_mul_f64 v[8:9], v[4:5], s[18:19]
	s_mov_b32 s19, 0xbfe62e42
	s_mov_b32 s18, 0xfefa39ef
	v_cmp_nlt_f64_e32 vcc_lo, 0x40900000, v[4:5]
	v_cmp_ngt_f64_e64 s16, 0xc090cc00, v[4:5]
	v_rndne_f64_e32 v[8:9], v[8:9]
	s_delay_alu instid0(VALU_DEP_1) | instskip(SKIP_2) | instid1(VALU_DEP_2)
	v_fma_f64 v[129:130], v[8:9], s[18:19], v[4:5]
	v_cvt_i32_f64_e32 v144, v[8:9]
	s_mov_b32 s19, 0x3fe62e42
	v_fma_f64 v[129:130], v[8:9], s[20:21], v[129:130]
	s_mov_b32 s21, 0x3c7abc9e
	s_delay_alu instid0(VALU_DEP_1) | instskip(SKIP_4) | instid1(VALU_DEP_1)
	v_fma_f64 v[133:134], v[129:130], s[28:29], s[24:25]
	s_mov_b32 s24, 0x623fde64
	s_mov_b32 s25, 0x3ec71dee
	;; [unrolled: 1-line block ×4, first 2 shown]
	v_fma_f64 v[133:134], v[129:130], v[133:134], s[24:25]
	s_mov_b32 s24, 0x7c89e6b0
	s_mov_b32 s25, 0x3efa0199
	s_delay_alu instid0(VALU_DEP_1) | instid1(SALU_CYCLE_1)
	v_fma_f64 v[133:134], v[129:130], v[133:134], s[24:25]
	s_mov_b32 s24, 0x14761f6e
	s_mov_b32 s25, 0x3f2a01a0
	s_delay_alu instid0(VALU_DEP_1) | instid1(SALU_CYCLE_1)
	;; [unrolled: 4-line block ×7, first 2 shown]
	v_fma_f64 v[133:134], v[129:130], v[133:134], s[24:25]
	s_mov_b32 s25, 0x3fe55555
	s_mov_b32 s24, 0x55555555
	s_delay_alu instid0(VALU_DEP_1) | instskip(NEXT) | instid1(VALU_DEP_1)
	v_fma_f64 v[133:134], v[129:130], v[133:134], 1.0
	v_fma_f64 v[8:9], v[129:130], v[133:134], 1.0
	s_delay_alu instid0(VALU_DEP_1) | instskip(NEXT) | instid1(VALU_DEP_1)
	v_ldexp_f64 v[8:9], v[8:9], v144
	v_cndmask_b32_e32 v9, 0x7ff00000, v9, vcc_lo
	s_and_b32 vcc_lo, s16, vcc_lo
	s_delay_alu instid0(VALU_DEP_1) | instskip(NEXT) | instid1(VALU_DEP_3)
	v_cndmask_b32_e64 v5, 0, v9, s16
	v_cndmask_b32_e32 v4, 0, v8, vcc_lo
	s_delay_alu instid0(VALU_DEP_1) | instskip(NEXT) | instid1(VALU_DEP_1)
	v_add_f64 v[8:9], v[4:5], 1.0
	v_frexp_mant_f64_e32 v[129:130], v[8:9]
	v_frexp_exp_i32_f64_e32 v144, v[8:9]
	v_add_f64 v[133:134], v[8:9], -1.0
	s_delay_alu instid0(VALU_DEP_3) | instskip(SKIP_1) | instid1(VALU_DEP_2)
	v_cmp_gt_f64_e32 vcc_lo, s[24:25], v[129:130]
	s_mov_b32 s24, 0x55555780
	v_add_f64 v[129:130], v[133:134], -v[8:9]
	v_add_f64 v[133:134], v[4:5], -v[133:134]
	v_subrev_co_ci_u32_e32 v166, vcc_lo, 0, v144, vcc_lo
	s_delay_alu instid0(VALU_DEP_3) | instskip(SKIP_2) | instid1(VALU_DEP_2)
	v_add_f64 v[129:130], v[129:130], 1.0
	s_mov_b32 vcc_lo, 0xbf559e2b
	s_mov_b32 vcc_hi, 0x3fc3ab76
	v_sub_nc_u32_e32 v146, 0, v166
	s_delay_alu instid0(VALU_DEP_1) | instskip(NEXT) | instid1(VALU_DEP_3)
	v_ldexp_f64 v[8:9], v[8:9], v146
	v_add_f64 v[129:130], v[133:134], v[129:130]
	s_delay_alu instid0(VALU_DEP_2) | instskip(SKIP_1) | instid1(VALU_DEP_3)
	v_add_f64 v[144:145], v[8:9], 1.0
	v_add_f64 v[150:151], v[8:9], -1.0
	v_ldexp_f64 v[129:130], v[129:130], v146
	s_delay_alu instid0(VALU_DEP_3) | instskip(NEXT) | instid1(VALU_DEP_3)
	v_add_f64 v[133:134], v[144:145], -1.0
	v_add_f64 v[160:161], v[150:151], 1.0
	s_delay_alu instid0(VALU_DEP_2) | instskip(NEXT) | instid1(VALU_DEP_2)
	v_add_f64 v[133:134], v[8:9], -v[133:134]
	v_add_f64 v[8:9], v[8:9], -v[160:161]
	s_delay_alu instid0(VALU_DEP_2) | instskip(NEXT) | instid1(VALU_DEP_2)
	v_add_f64 v[133:134], v[129:130], v[133:134]
	v_add_f64 v[8:9], v[129:130], v[8:9]
	s_delay_alu instid0(VALU_DEP_2) | instskip(NEXT) | instid1(VALU_DEP_2)
	v_add_f64 v[146:147], v[144:145], v[133:134]
	v_add_f64 v[160:161], v[150:151], v[8:9]
	s_delay_alu instid0(VALU_DEP_2) | instskip(SKIP_1) | instid1(VALU_DEP_2)
	v_rcp_f64_e32 v[148:149], v[146:147]
	v_add_f64 v[144:145], v[146:147], -v[144:145]
	v_add_f64 v[150:151], v[160:161], -v[150:151]
	s_delay_alu instid0(VALU_DEP_2) | instskip(SKIP_3) | instid1(VALU_DEP_2)
	v_add_f64 v[133:134], v[133:134], -v[144:145]
	s_waitcnt_depctr 0xfff
	v_fma_f64 v[162:163], -v[146:147], v[148:149], 1.0
	v_add_f64 v[8:9], v[8:9], -v[150:151]
	v_fma_f64 v[148:149], v[162:163], v[148:149], v[148:149]
	s_delay_alu instid0(VALU_DEP_1) | instskip(NEXT) | instid1(VALU_DEP_1)
	v_fma_f64 v[129:130], -v[146:147], v[148:149], 1.0
	v_fma_f64 v[129:130], v[129:130], v[148:149], v[148:149]
	s_delay_alu instid0(VALU_DEP_1) | instskip(NEXT) | instid1(VALU_DEP_1)
	v_mul_f64 v[148:149], v[160:161], v[129:130]
	v_mul_f64 v[162:163], v[146:147], v[148:149]
	s_delay_alu instid0(VALU_DEP_1) | instskip(NEXT) | instid1(VALU_DEP_1)
	v_fma_f64 v[144:145], v[148:149], v[146:147], -v[162:163]
	v_fma_f64 v[144:145], v[148:149], v[133:134], v[144:145]
	s_delay_alu instid0(VALU_DEP_1) | instskip(NEXT) | instid1(VALU_DEP_1)
	v_add_f64 v[164:165], v[162:163], v[144:145]
	v_add_f64 v[209:210], v[160:161], -v[164:165]
	v_add_f64 v[150:151], v[164:165], -v[162:163]
	s_delay_alu instid0(VALU_DEP_2) | instskip(NEXT) | instid1(VALU_DEP_2)
	v_add_f64 v[160:161], v[160:161], -v[209:210]
	v_add_f64 v[144:145], v[150:151], -v[144:145]
	s_delay_alu instid0(VALU_DEP_2) | instskip(NEXT) | instid1(VALU_DEP_1)
	v_add_f64 v[160:161], v[160:161], -v[164:165]
	v_add_f64 v[8:9], v[8:9], v[160:161]
	s_delay_alu instid0(VALU_DEP_1) | instskip(NEXT) | instid1(VALU_DEP_1)
	v_add_f64 v[8:9], v[144:145], v[8:9]
	v_add_f64 v[144:145], v[209:210], v[8:9]
	s_delay_alu instid0(VALU_DEP_1) | instskip(SKIP_1) | instid1(VALU_DEP_2)
	v_mul_f64 v[150:151], v[129:130], v[144:145]
	v_add_f64 v[164:165], v[209:210], -v[144:145]
	v_mul_f64 v[160:161], v[146:147], v[150:151]
	s_delay_alu instid0(VALU_DEP_2) | instskip(NEXT) | instid1(VALU_DEP_2)
	v_add_f64 v[8:9], v[8:9], v[164:165]
	v_fma_f64 v[146:147], v[150:151], v[146:147], -v[160:161]
	s_delay_alu instid0(VALU_DEP_1) | instskip(NEXT) | instid1(VALU_DEP_1)
	v_fma_f64 v[133:134], v[150:151], v[133:134], v[146:147]
	v_add_f64 v[146:147], v[160:161], v[133:134]
	s_delay_alu instid0(VALU_DEP_1) | instskip(SKIP_1) | instid1(VALU_DEP_2)
	v_add_f64 v[162:163], v[144:145], -v[146:147]
	v_add_f64 v[160:161], v[146:147], -v[160:161]
	;; [unrolled: 1-line block ×3, first 2 shown]
	s_delay_alu instid0(VALU_DEP_2) | instskip(NEXT) | instid1(VALU_DEP_2)
	v_add_f64 v[133:134], v[160:161], -v[133:134]
	v_add_f64 v[144:145], v[144:145], -v[146:147]
	s_delay_alu instid0(VALU_DEP_1) | instskip(SKIP_1) | instid1(VALU_DEP_2)
	v_add_f64 v[8:9], v[8:9], v[144:145]
	v_add_f64 v[144:145], v[148:149], v[150:151]
	;; [unrolled: 1-line block ×3, first 2 shown]
	s_delay_alu instid0(VALU_DEP_2) | instskip(NEXT) | instid1(VALU_DEP_2)
	v_add_f64 v[133:134], v[144:145], -v[148:149]
	v_add_f64 v[8:9], v[162:163], v[8:9]
	s_delay_alu instid0(VALU_DEP_2) | instskip(NEXT) | instid1(VALU_DEP_2)
	v_add_f64 v[133:134], v[150:151], -v[133:134]
	v_mul_f64 v[8:9], v[129:130], v[8:9]
	s_delay_alu instid0(VALU_DEP_1) | instskip(NEXT) | instid1(VALU_DEP_1)
	v_add_f64 v[8:9], v[133:134], v[8:9]
	v_add_f64 v[129:130], v[144:145], v[8:9]
	s_delay_alu instid0(VALU_DEP_1) | instskip(NEXT) | instid1(VALU_DEP_1)
	v_mul_f64 v[133:134], v[129:130], v[129:130]
	v_fma_f64 v[146:147], v[133:134], vcc, s[28:29]
	s_mov_b32 s28, 0xd7f4df2e
	s_mov_b32 s29, 0x3fc7474d
	v_mul_f64 v[148:149], v[129:130], v[133:134]
	v_cmp_eq_f64_e32 vcc_lo, 0x7ff00000, v[4:5]
	s_delay_alu instid0(VALU_DEP_3)
	v_fma_f64 v[146:147], v[133:134], v[146:147], s[28:29]
	s_mov_b32 s28, 0x16291751
	s_mov_b32 s29, 0x3fcc71c0
	s_delay_alu instid0(VALU_DEP_1) | instid1(SALU_CYCLE_1)
	v_fma_f64 v[146:147], v[133:134], v[146:147], s[28:29]
	s_mov_b32 s28, 0x9b27acf1
	s_mov_b32 s29, 0x3fd24924
	s_delay_alu instid0(VALU_DEP_1) | instid1(SALU_CYCLE_1)
	;; [unrolled: 4-line block ×3, first 2 shown]
	v_fma_f64 v[146:147], v[133:134], v[146:147], s[28:29]
	s_delay_alu instid0(VALU_DEP_1) | instskip(SKIP_2) | instid1(VALU_DEP_3)
	v_fma_f64 v[133:134], v[133:134], v[146:147], s[24:25]
	v_ldexp_f64 v[146:147], v[129:130], 1
	v_add_f64 v[129:130], v[129:130], -v[144:145]
	v_mul_f64 v[133:134], v[148:149], v[133:134]
	v_cvt_f64_i32_e32 v[148:149], v166
	s_delay_alu instid0(VALU_DEP_3) | instskip(NEXT) | instid1(VALU_DEP_3)
	v_add_f64 v[8:9], v[8:9], -v[129:130]
	v_add_f64 v[144:145], v[146:147], v[133:134]
	s_delay_alu instid0(VALU_DEP_3) | instskip(NEXT) | instid1(VALU_DEP_3)
	v_mul_f64 v[150:151], v[148:149], s[18:19]
	v_ldexp_f64 v[8:9], v[8:9], 1
	s_delay_alu instid0(VALU_DEP_3) | instskip(NEXT) | instid1(VALU_DEP_3)
	v_add_f64 v[129:130], v[144:145], -v[146:147]
	v_fma_f64 v[146:147], v[148:149], s[18:19], -v[150:151]
	s_delay_alu instid0(VALU_DEP_2) | instskip(NEXT) | instid1(VALU_DEP_2)
	v_add_f64 v[129:130], v[133:134], -v[129:130]
	v_fma_f64 v[133:134], v[148:149], s[20:21], v[146:147]
	s_delay_alu instid0(VALU_DEP_2) | instskip(NEXT) | instid1(VALU_DEP_2)
	v_add_f64 v[8:9], v[8:9], v[129:130]
	v_add_f64 v[129:130], v[150:151], v[133:134]
	s_delay_alu instid0(VALU_DEP_2) | instskip(NEXT) | instid1(VALU_DEP_2)
	v_add_f64 v[146:147], v[144:145], v[8:9]
	v_add_f64 v[150:151], v[129:130], -v[150:151]
	s_delay_alu instid0(VALU_DEP_2) | instskip(SKIP_1) | instid1(VALU_DEP_3)
	v_add_f64 v[148:149], v[129:130], v[146:147]
	v_add_f64 v[144:145], v[146:147], -v[144:145]
	v_add_f64 v[133:134], v[133:134], -v[150:151]
	s_delay_alu instid0(VALU_DEP_3) | instskip(NEXT) | instid1(VALU_DEP_3)
	v_add_f64 v[160:161], v[148:149], -v[129:130]
	v_add_f64 v[8:9], v[8:9], -v[144:145]
	s_delay_alu instid0(VALU_DEP_2) | instskip(SKIP_1) | instid1(VALU_DEP_3)
	v_add_f64 v[162:163], v[148:149], -v[160:161]
	v_add_f64 v[144:145], v[146:147], -v[160:161]
	v_add_f64 v[146:147], v[133:134], v[8:9]
	s_delay_alu instid0(VALU_DEP_3) | instskip(NEXT) | instid1(VALU_DEP_1)
	v_add_f64 v[129:130], v[129:130], -v[162:163]
	v_add_f64 v[129:130], v[144:145], v[129:130]
	s_delay_alu instid0(VALU_DEP_3) | instskip(NEXT) | instid1(VALU_DEP_2)
	v_add_f64 v[144:145], v[146:147], -v[133:134]
	v_add_f64 v[129:130], v[146:147], v[129:130]
	s_delay_alu instid0(VALU_DEP_2) | instskip(SKIP_1) | instid1(VALU_DEP_3)
	v_add_f64 v[146:147], v[146:147], -v[144:145]
	v_add_f64 v[8:9], v[8:9], -v[144:145]
	v_add_f64 v[150:151], v[148:149], v[129:130]
	s_delay_alu instid0(VALU_DEP_3) | instskip(NEXT) | instid1(VALU_DEP_2)
	v_add_f64 v[133:134], v[133:134], -v[146:147]
	v_add_f64 v[144:145], v[150:151], -v[148:149]
	s_delay_alu instid0(VALU_DEP_2) | instskip(NEXT) | instid1(VALU_DEP_2)
	v_add_f64 v[8:9], v[8:9], v[133:134]
	v_add_f64 v[129:130], v[129:130], -v[144:145]
	s_delay_alu instid0(VALU_DEP_1) | instskip(NEXT) | instid1(VALU_DEP_1)
	v_add_f64 v[8:9], v[8:9], v[129:130]
	v_add_f64 v[8:9], v[150:151], v[8:9]
	s_delay_alu instid0(VALU_DEP_1) | instskip(SKIP_1) | instid1(VALU_DEP_2)
	v_dual_cndmask_b32 v9, v9, v5 :: v_dual_cndmask_b32 v8, v8, v4
	v_cmp_ngt_f64_e32 vcc_lo, -1.0, v[4:5]
	v_cndmask_b32_e32 v9, 0x7ff80000, v9, vcc_lo
	v_cmp_nge_f64_e32 vcc_lo, -1.0, v[4:5]
	s_delay_alu instid0(VALU_DEP_4) | instskip(SKIP_1) | instid1(VALU_DEP_4)
	v_cndmask_b32_e32 v8, 0, v8, vcc_lo
	v_cmp_neq_f64_e32 vcc_lo, -1.0, v[4:5]
	v_cndmask_b32_e32 v9, 0xfff00000, v9, vcc_lo
	s_delay_alu instid0(VALU_DEP_1)
	v_add_f64 v[4:5], v[6:7], v[8:9]
.LBB8_50:
	s_or_b32 exec_lo, exec_lo, s26
	v_max_f64 v[129:130], v[66:67], v[66:67]
	s_delay_alu instid0(VALU_DEP_2) | instskip(SKIP_2) | instid1(VALU_DEP_3)
	v_max_f64 v[6:7], v[4:5], v[4:5]
	v_cmp_u_f64_e32 vcc_lo, v[4:5], v[4:5]
	v_cmp_u_f64_e64 s16, v[66:67], v[66:67]
	v_min_f64 v[8:9], v[6:7], v[129:130]
	v_max_f64 v[6:7], v[6:7], v[129:130]
	s_delay_alu instid0(VALU_DEP_2) | instskip(NEXT) | instid1(VALU_DEP_2)
	v_dual_cndmask_b32 v8, v8, v4 :: v_dual_cndmask_b32 v9, v9, v5
	v_dual_cndmask_b32 v7, v7, v5 :: v_dual_cndmask_b32 v6, v6, v4
	s_delay_alu instid0(VALU_DEP_2) | instskip(NEXT) | instid1(VALU_DEP_3)
	v_cndmask_b32_e64 v8, v8, v66, s16
	v_cndmask_b32_e64 v9, v9, v67, s16
	s_delay_alu instid0(VALU_DEP_3) | instskip(NEXT) | instid1(VALU_DEP_4)
	v_cndmask_b32_e64 v7, v7, v67, s16
	v_cndmask_b32_e64 v6, v6, v66, s16
	s_delay_alu instid0(VALU_DEP_3) | instskip(NEXT) | instid1(VALU_DEP_2)
	v_cmp_class_f64_e64 s18, v[8:9], 0x1f8
	v_cmp_neq_f64_e32 vcc_lo, v[8:9], v[6:7]
	s_delay_alu instid0(VALU_DEP_2) | instskip(NEXT) | instid1(SALU_CYCLE_1)
	s_or_b32 s18, vcc_lo, s18
	s_and_saveexec_b32 s26, s18
	s_cbranch_execz .LBB8_52
; %bb.51:
	v_add_f64 v[4:5], v[8:9], -v[6:7]
	s_mov_b32 s18, 0x652b82fe
	s_mov_b32 s19, 0x3ff71547
	;; [unrolled: 1-line block ×8, first 2 shown]
	s_delay_alu instid0(VALU_DEP_1) | instskip(SKIP_3) | instid1(VALU_DEP_2)
	v_mul_f64 v[8:9], v[4:5], s[18:19]
	s_mov_b32 s18, 0xfca7ab0c
	s_mov_b32 s19, 0x3e928af3
	v_cmp_nlt_f64_e32 vcc_lo, 0x40900000, v[4:5]
	v_rndne_f64_e32 v[8:9], v[8:9]
	s_delay_alu instid0(VALU_DEP_1) | instskip(SKIP_2) | instid1(VALU_DEP_2)
	v_fma_f64 v[133:134], v[8:9], s[20:21], v[4:5]
	v_cvt_i32_f64_e32 v146, v[8:9]
	s_mov_b32 s21, 0x3fe62e42
	v_fma_f64 v[133:134], v[8:9], s[24:25], v[133:134]
	s_mov_b32 s25, 0x3c7abc9e
	s_delay_alu instid0(VALU_DEP_1) | instskip(SKIP_4) | instid1(VALU_DEP_1)
	v_fma_f64 v[144:145], v[133:134], s[28:29], s[18:19]
	s_mov_b32 s18, 0x623fde64
	s_mov_b32 s19, 0x3ec71dee
	;; [unrolled: 1-line block ×4, first 2 shown]
	v_fma_f64 v[144:145], v[133:134], v[144:145], s[18:19]
	s_mov_b32 s18, 0x7c89e6b0
	s_mov_b32 s19, 0x3efa0199
	s_delay_alu instid0(VALU_DEP_1) | instid1(SALU_CYCLE_1)
	v_fma_f64 v[144:145], v[133:134], v[144:145], s[18:19]
	s_mov_b32 s18, 0x14761f6e
	s_mov_b32 s19, 0x3f2a01a0
	s_delay_alu instid0(VALU_DEP_1) | instid1(SALU_CYCLE_1)
	;; [unrolled: 4-line block ×7, first 2 shown]
	v_fma_f64 v[144:145], v[133:134], v[144:145], s[18:19]
	v_cmp_ngt_f64_e64 s18, 0xc090cc00, v[4:5]
	s_mov_b32 s19, 0x3fe55555
	s_delay_alu instid0(VALU_DEP_2) | instskip(NEXT) | instid1(VALU_DEP_1)
	v_fma_f64 v[144:145], v[133:134], v[144:145], 1.0
	v_fma_f64 v[8:9], v[133:134], v[144:145], 1.0
	s_delay_alu instid0(VALU_DEP_1) | instskip(NEXT) | instid1(VALU_DEP_1)
	v_ldexp_f64 v[8:9], v[8:9], v146
	v_cndmask_b32_e32 v9, 0x7ff00000, v9, vcc_lo
	s_and_b32 vcc_lo, s18, vcc_lo
	s_delay_alu instid0(VALU_DEP_1) | instskip(NEXT) | instid1(VALU_DEP_3)
	v_cndmask_b32_e64 v5, 0, v9, s18
	v_cndmask_b32_e32 v4, 0, v8, vcc_lo
	s_mov_b32 s18, 0x55555555
	s_delay_alu instid0(VALU_DEP_1) | instskip(NEXT) | instid1(VALU_DEP_1)
	v_add_f64 v[8:9], v[4:5], 1.0
	v_frexp_mant_f64_e32 v[133:134], v[8:9]
	v_frexp_exp_i32_f64_e32 v146, v[8:9]
	v_add_f64 v[144:145], v[8:9], -1.0
	s_delay_alu instid0(VALU_DEP_3) | instskip(SKIP_1) | instid1(VALU_DEP_2)
	v_cmp_gt_f64_e32 vcc_lo, s[18:19], v[133:134]
	s_mov_b32 s18, 0x55555780
	v_add_f64 v[133:134], v[144:145], -v[8:9]
	v_add_f64 v[144:145], v[4:5], -v[144:145]
	v_subrev_co_ci_u32_e32 v166, vcc_lo, 0, v146, vcc_lo
	s_delay_alu instid0(VALU_DEP_3) | instskip(SKIP_2) | instid1(VALU_DEP_2)
	v_add_f64 v[133:134], v[133:134], 1.0
	s_mov_b32 vcc_lo, 0xbf559e2b
	s_mov_b32 vcc_hi, 0x3fc3ab76
	v_sub_nc_u32_e32 v148, 0, v166
	s_delay_alu instid0(VALU_DEP_1) | instskip(NEXT) | instid1(VALU_DEP_3)
	v_ldexp_f64 v[8:9], v[8:9], v148
	v_add_f64 v[133:134], v[144:145], v[133:134]
	s_delay_alu instid0(VALU_DEP_2) | instskip(SKIP_1) | instid1(VALU_DEP_3)
	v_add_f64 v[146:147], v[8:9], 1.0
	v_add_f64 v[160:161], v[8:9], -1.0
	v_ldexp_f64 v[133:134], v[133:134], v148
	s_delay_alu instid0(VALU_DEP_3) | instskip(NEXT) | instid1(VALU_DEP_3)
	v_add_f64 v[144:145], v[146:147], -1.0
	v_add_f64 v[162:163], v[160:161], 1.0
	s_delay_alu instid0(VALU_DEP_2) | instskip(NEXT) | instid1(VALU_DEP_2)
	v_add_f64 v[144:145], v[8:9], -v[144:145]
	v_add_f64 v[8:9], v[8:9], -v[162:163]
	s_delay_alu instid0(VALU_DEP_2) | instskip(NEXT) | instid1(VALU_DEP_2)
	v_add_f64 v[144:145], v[133:134], v[144:145]
	v_add_f64 v[8:9], v[133:134], v[8:9]
	s_delay_alu instid0(VALU_DEP_2) | instskip(NEXT) | instid1(VALU_DEP_2)
	v_add_f64 v[148:149], v[146:147], v[144:145]
	v_add_f64 v[162:163], v[160:161], v[8:9]
	s_delay_alu instid0(VALU_DEP_2) | instskip(SKIP_1) | instid1(VALU_DEP_2)
	v_rcp_f64_e32 v[150:151], v[148:149]
	v_add_f64 v[146:147], v[148:149], -v[146:147]
	v_add_f64 v[160:161], v[162:163], -v[160:161]
	s_delay_alu instid0(VALU_DEP_2) | instskip(SKIP_3) | instid1(VALU_DEP_2)
	v_add_f64 v[144:145], v[144:145], -v[146:147]
	s_waitcnt_depctr 0xfff
	v_fma_f64 v[164:165], -v[148:149], v[150:151], 1.0
	v_add_f64 v[8:9], v[8:9], -v[160:161]
	v_fma_f64 v[150:151], v[164:165], v[150:151], v[150:151]
	s_delay_alu instid0(VALU_DEP_1) | instskip(NEXT) | instid1(VALU_DEP_1)
	v_fma_f64 v[133:134], -v[148:149], v[150:151], 1.0
	v_fma_f64 v[133:134], v[133:134], v[150:151], v[150:151]
	s_delay_alu instid0(VALU_DEP_1) | instskip(NEXT) | instid1(VALU_DEP_1)
	v_mul_f64 v[150:151], v[162:163], v[133:134]
	v_mul_f64 v[164:165], v[148:149], v[150:151]
	s_delay_alu instid0(VALU_DEP_1) | instskip(NEXT) | instid1(VALU_DEP_1)
	v_fma_f64 v[146:147], v[150:151], v[148:149], -v[164:165]
	v_fma_f64 v[146:147], v[150:151], v[144:145], v[146:147]
	s_delay_alu instid0(VALU_DEP_1) | instskip(NEXT) | instid1(VALU_DEP_1)
	v_add_f64 v[209:210], v[164:165], v[146:147]
	v_add_f64 v[211:212], v[162:163], -v[209:210]
	v_add_f64 v[160:161], v[209:210], -v[164:165]
	s_delay_alu instid0(VALU_DEP_2) | instskip(NEXT) | instid1(VALU_DEP_2)
	v_add_f64 v[162:163], v[162:163], -v[211:212]
	v_add_f64 v[146:147], v[160:161], -v[146:147]
	s_delay_alu instid0(VALU_DEP_2) | instskip(NEXT) | instid1(VALU_DEP_1)
	v_add_f64 v[162:163], v[162:163], -v[209:210]
	v_add_f64 v[8:9], v[8:9], v[162:163]
	s_delay_alu instid0(VALU_DEP_1) | instskip(NEXT) | instid1(VALU_DEP_1)
	v_add_f64 v[8:9], v[146:147], v[8:9]
	v_add_f64 v[146:147], v[211:212], v[8:9]
	s_delay_alu instid0(VALU_DEP_1) | instskip(SKIP_1) | instid1(VALU_DEP_2)
	v_mul_f64 v[160:161], v[133:134], v[146:147]
	v_add_f64 v[209:210], v[211:212], -v[146:147]
	v_mul_f64 v[162:163], v[148:149], v[160:161]
	s_delay_alu instid0(VALU_DEP_2) | instskip(NEXT) | instid1(VALU_DEP_2)
	v_add_f64 v[8:9], v[8:9], v[209:210]
	v_fma_f64 v[148:149], v[160:161], v[148:149], -v[162:163]
	s_delay_alu instid0(VALU_DEP_1) | instskip(NEXT) | instid1(VALU_DEP_1)
	v_fma_f64 v[144:145], v[160:161], v[144:145], v[148:149]
	v_add_f64 v[148:149], v[162:163], v[144:145]
	s_delay_alu instid0(VALU_DEP_1) | instskip(SKIP_1) | instid1(VALU_DEP_2)
	v_add_f64 v[164:165], v[146:147], -v[148:149]
	v_add_f64 v[162:163], v[148:149], -v[162:163]
	;; [unrolled: 1-line block ×3, first 2 shown]
	s_delay_alu instid0(VALU_DEP_2) | instskip(NEXT) | instid1(VALU_DEP_2)
	v_add_f64 v[144:145], v[162:163], -v[144:145]
	v_add_f64 v[146:147], v[146:147], -v[148:149]
	s_delay_alu instid0(VALU_DEP_1) | instskip(SKIP_1) | instid1(VALU_DEP_2)
	v_add_f64 v[8:9], v[8:9], v[146:147]
	v_add_f64 v[146:147], v[150:151], v[160:161]
	;; [unrolled: 1-line block ×3, first 2 shown]
	s_delay_alu instid0(VALU_DEP_2) | instskip(NEXT) | instid1(VALU_DEP_2)
	v_add_f64 v[144:145], v[146:147], -v[150:151]
	v_add_f64 v[8:9], v[164:165], v[8:9]
	s_delay_alu instid0(VALU_DEP_2) | instskip(NEXT) | instid1(VALU_DEP_2)
	v_add_f64 v[144:145], v[160:161], -v[144:145]
	v_mul_f64 v[8:9], v[133:134], v[8:9]
	s_delay_alu instid0(VALU_DEP_1) | instskip(NEXT) | instid1(VALU_DEP_1)
	v_add_f64 v[8:9], v[144:145], v[8:9]
	v_add_f64 v[133:134], v[146:147], v[8:9]
	s_delay_alu instid0(VALU_DEP_1) | instskip(NEXT) | instid1(VALU_DEP_1)
	v_mul_f64 v[144:145], v[133:134], v[133:134]
	v_fma_f64 v[148:149], v[144:145], vcc, s[28:29]
	s_mov_b32 s28, 0xd7f4df2e
	s_mov_b32 s29, 0x3fc7474d
	v_mul_f64 v[150:151], v[133:134], v[144:145]
	v_cmp_eq_f64_e32 vcc_lo, 0x7ff00000, v[4:5]
	s_delay_alu instid0(VALU_DEP_3)
	v_fma_f64 v[148:149], v[144:145], v[148:149], s[28:29]
	s_mov_b32 s28, 0x16291751
	s_mov_b32 s29, 0x3fcc71c0
	s_delay_alu instid0(VALU_DEP_1) | instid1(SALU_CYCLE_1)
	v_fma_f64 v[148:149], v[144:145], v[148:149], s[28:29]
	s_mov_b32 s28, 0x9b27acf1
	s_mov_b32 s29, 0x3fd24924
	s_delay_alu instid0(VALU_DEP_1) | instid1(SALU_CYCLE_1)
	;; [unrolled: 4-line block ×3, first 2 shown]
	v_fma_f64 v[148:149], v[144:145], v[148:149], s[28:29]
	s_delay_alu instid0(VALU_DEP_1) | instskip(SKIP_2) | instid1(VALU_DEP_3)
	v_fma_f64 v[144:145], v[144:145], v[148:149], s[18:19]
	v_ldexp_f64 v[148:149], v[133:134], 1
	v_add_f64 v[133:134], v[133:134], -v[146:147]
	v_mul_f64 v[144:145], v[150:151], v[144:145]
	v_cvt_f64_i32_e32 v[150:151], v166
	s_delay_alu instid0(VALU_DEP_3) | instskip(NEXT) | instid1(VALU_DEP_3)
	v_add_f64 v[8:9], v[8:9], -v[133:134]
	v_add_f64 v[146:147], v[148:149], v[144:145]
	s_delay_alu instid0(VALU_DEP_3) | instskip(NEXT) | instid1(VALU_DEP_3)
	v_mul_f64 v[160:161], v[150:151], s[20:21]
	v_ldexp_f64 v[8:9], v[8:9], 1
	s_delay_alu instid0(VALU_DEP_3) | instskip(NEXT) | instid1(VALU_DEP_3)
	v_add_f64 v[133:134], v[146:147], -v[148:149]
	v_fma_f64 v[148:149], v[150:151], s[20:21], -v[160:161]
	s_delay_alu instid0(VALU_DEP_2) | instskip(NEXT) | instid1(VALU_DEP_2)
	v_add_f64 v[133:134], v[144:145], -v[133:134]
	v_fma_f64 v[144:145], v[150:151], s[24:25], v[148:149]
	s_delay_alu instid0(VALU_DEP_2) | instskip(NEXT) | instid1(VALU_DEP_2)
	v_add_f64 v[8:9], v[8:9], v[133:134]
	v_add_f64 v[133:134], v[160:161], v[144:145]
	s_delay_alu instid0(VALU_DEP_2) | instskip(NEXT) | instid1(VALU_DEP_2)
	v_add_f64 v[148:149], v[146:147], v[8:9]
	v_add_f64 v[160:161], v[133:134], -v[160:161]
	s_delay_alu instid0(VALU_DEP_2) | instskip(SKIP_1) | instid1(VALU_DEP_3)
	v_add_f64 v[150:151], v[133:134], v[148:149]
	v_add_f64 v[146:147], v[148:149], -v[146:147]
	v_add_f64 v[144:145], v[144:145], -v[160:161]
	s_delay_alu instid0(VALU_DEP_3) | instskip(NEXT) | instid1(VALU_DEP_3)
	v_add_f64 v[162:163], v[150:151], -v[133:134]
	v_add_f64 v[8:9], v[8:9], -v[146:147]
	s_delay_alu instid0(VALU_DEP_2) | instskip(SKIP_1) | instid1(VALU_DEP_3)
	v_add_f64 v[164:165], v[150:151], -v[162:163]
	v_add_f64 v[146:147], v[148:149], -v[162:163]
	v_add_f64 v[148:149], v[144:145], v[8:9]
	s_delay_alu instid0(VALU_DEP_3) | instskip(NEXT) | instid1(VALU_DEP_1)
	v_add_f64 v[133:134], v[133:134], -v[164:165]
	v_add_f64 v[133:134], v[146:147], v[133:134]
	s_delay_alu instid0(VALU_DEP_3) | instskip(NEXT) | instid1(VALU_DEP_2)
	v_add_f64 v[146:147], v[148:149], -v[144:145]
	v_add_f64 v[133:134], v[148:149], v[133:134]
	s_delay_alu instid0(VALU_DEP_2) | instskip(SKIP_1) | instid1(VALU_DEP_3)
	v_add_f64 v[148:149], v[148:149], -v[146:147]
	v_add_f64 v[8:9], v[8:9], -v[146:147]
	v_add_f64 v[160:161], v[150:151], v[133:134]
	s_delay_alu instid0(VALU_DEP_3) | instskip(NEXT) | instid1(VALU_DEP_2)
	v_add_f64 v[144:145], v[144:145], -v[148:149]
	v_add_f64 v[146:147], v[160:161], -v[150:151]
	s_delay_alu instid0(VALU_DEP_2) | instskip(NEXT) | instid1(VALU_DEP_2)
	v_add_f64 v[8:9], v[8:9], v[144:145]
	v_add_f64 v[133:134], v[133:134], -v[146:147]
	s_delay_alu instid0(VALU_DEP_1) | instskip(NEXT) | instid1(VALU_DEP_1)
	v_add_f64 v[8:9], v[8:9], v[133:134]
	v_add_f64 v[8:9], v[160:161], v[8:9]
	s_delay_alu instid0(VALU_DEP_1) | instskip(SKIP_1) | instid1(VALU_DEP_2)
	v_dual_cndmask_b32 v9, v9, v5 :: v_dual_cndmask_b32 v8, v8, v4
	v_cmp_ngt_f64_e32 vcc_lo, -1.0, v[4:5]
	v_cndmask_b32_e32 v9, 0x7ff80000, v9, vcc_lo
	v_cmp_nge_f64_e32 vcc_lo, -1.0, v[4:5]
	s_delay_alu instid0(VALU_DEP_4) | instskip(SKIP_1) | instid1(VALU_DEP_4)
	v_cndmask_b32_e32 v8, 0, v8, vcc_lo
	v_cmp_neq_f64_e32 vcc_lo, -1.0, v[4:5]
	v_cndmask_b32_e32 v9, 0xfff00000, v9, vcc_lo
	s_delay_alu instid0(VALU_DEP_1)
	v_add_f64 v[4:5], v[6:7], v[8:9]
.LBB8_52:
	s_or_b32 exec_lo, exec_lo, s26
	v_mbcnt_lo_u32_b32 v209, -1, 0
	s_delay_alu instid0(VALU_DEP_2) | instskip(NEXT) | instid1(VALU_DEP_3)
	v_mov_b32_dpp v6, v4 row_shr:1 row_mask:0xf bank_mask:0xf
	v_mov_b32_dpp v7, v5 row_shr:1 row_mask:0xf bank_mask:0xf
	v_mov_b32_e32 v9, v5
	s_mov_b32 s26, exec_lo
	v_dual_mov_b32 v8, v4 :: v_dual_and_b32 v133, 15, v209
	s_delay_alu instid0(VALU_DEP_1)
	v_cmpx_ne_u32_e32 0, v133
	s_cbranch_execz .LBB8_56
; %bb.53:
	v_max_f64 v[8:9], v[6:7], v[6:7]
	v_max_f64 v[144:145], v[4:5], v[4:5]
	v_cmp_u_f64_e32 vcc_lo, v[6:7], v[6:7]
	v_cmp_u_f64_e64 s18, v[4:5], v[4:5]
	s_delay_alu instid0(VALU_DEP_3) | instskip(SKIP_1) | instid1(VALU_DEP_1)
	v_min_f64 v[146:147], v[8:9], v[144:145]
	v_max_f64 v[8:9], v[8:9], v[144:145]
	v_dual_cndmask_b32 v134, v146, v6 :: v_dual_cndmask_b32 v145, v9, v7
	s_delay_alu instid0(VALU_DEP_3) | instskip(NEXT) | instid1(VALU_DEP_3)
	v_cndmask_b32_e32 v144, v147, v7, vcc_lo
	v_cndmask_b32_e32 v146, v8, v6, vcc_lo
	s_delay_alu instid0(VALU_DEP_3) | instskip(NEXT) | instid1(VALU_DEP_3)
	v_cndmask_b32_e64 v8, v134, v4, s18
	v_cndmask_b32_e64 v9, v144, v5, s18
	;; [unrolled: 1-line block ×3, first 2 shown]
	s_delay_alu instid0(VALU_DEP_4) | instskip(NEXT) | instid1(VALU_DEP_3)
	v_cndmask_b32_e64 v4, v146, v4, s18
	v_cmp_class_f64_e64 s18, v[8:9], 0x1f8
	s_delay_alu instid0(VALU_DEP_2) | instskip(NEXT) | instid1(VALU_DEP_2)
	v_cmp_neq_f64_e32 vcc_lo, v[8:9], v[4:5]
	s_or_b32 s18, vcc_lo, s18
	s_delay_alu instid0(SALU_CYCLE_1)
	s_and_saveexec_b32 s27, s18
	s_cbranch_execz .LBB8_55
; %bb.54:
	v_add_f64 v[6:7], v[8:9], -v[4:5]
	s_mov_b32 s18, 0x652b82fe
	s_mov_b32 s19, 0x3ff71547
	;; [unrolled: 1-line block ×8, first 2 shown]
	s_delay_alu instid0(VALU_DEP_1) | instskip(SKIP_3) | instid1(VALU_DEP_2)
	v_mul_f64 v[8:9], v[6:7], s[18:19]
	s_mov_b32 s18, 0xfca7ab0c
	s_mov_b32 s19, 0x3e928af3
	v_cmp_nlt_f64_e32 vcc_lo, 0x40900000, v[6:7]
	v_rndne_f64_e32 v[8:9], v[8:9]
	s_delay_alu instid0(VALU_DEP_1) | instskip(SKIP_2) | instid1(VALU_DEP_2)
	v_fma_f64 v[144:145], v[8:9], s[20:21], v[6:7]
	v_cvt_i32_f64_e32 v134, v[8:9]
	s_mov_b32 s21, 0x3fe62e42
	v_fma_f64 v[144:145], v[8:9], s[24:25], v[144:145]
	s_mov_b32 s25, 0x3c7abc9e
	s_delay_alu instid0(VALU_DEP_1) | instskip(SKIP_4) | instid1(VALU_DEP_1)
	v_fma_f64 v[146:147], v[144:145], s[28:29], s[18:19]
	s_mov_b32 s18, 0x623fde64
	s_mov_b32 s19, 0x3ec71dee
	;; [unrolled: 1-line block ×4, first 2 shown]
	v_fma_f64 v[146:147], v[144:145], v[146:147], s[18:19]
	s_mov_b32 s18, 0x7c89e6b0
	s_mov_b32 s19, 0x3efa0199
	s_delay_alu instid0(VALU_DEP_1) | instid1(SALU_CYCLE_1)
	v_fma_f64 v[146:147], v[144:145], v[146:147], s[18:19]
	s_mov_b32 s18, 0x14761f6e
	s_mov_b32 s19, 0x3f2a01a0
	s_delay_alu instid0(VALU_DEP_1) | instid1(SALU_CYCLE_1)
	v_fma_f64 v[146:147], v[144:145], v[146:147], s[18:19]
	s_mov_b32 s18, 0x1852b7b0
	s_mov_b32 s19, 0x3f56c16c
	s_delay_alu instid0(VALU_DEP_1) | instid1(SALU_CYCLE_1)
	v_fma_f64 v[146:147], v[144:145], v[146:147], s[18:19]
	s_mov_b32 s18, 0x11122322
	s_mov_b32 s19, 0x3f811111
	s_delay_alu instid0(VALU_DEP_1) | instid1(SALU_CYCLE_1)
	v_fma_f64 v[146:147], v[144:145], v[146:147], s[18:19]
	s_mov_b32 s18, 0x555502a1
	s_mov_b32 s19, 0x3fa55555
	s_delay_alu instid0(VALU_DEP_1) | instid1(SALU_CYCLE_1)
	v_fma_f64 v[146:147], v[144:145], v[146:147], s[18:19]
	s_mov_b32 s18, 0x55555511
	s_mov_b32 s19, 0x3fc55555
	s_delay_alu instid0(VALU_DEP_1) | instid1(SALU_CYCLE_1)
	v_fma_f64 v[146:147], v[144:145], v[146:147], s[18:19]
	s_mov_b32 s18, 11
	s_mov_b32 s19, 0x3fe00000
	s_delay_alu instid0(VALU_DEP_1) | instid1(SALU_CYCLE_1)
	v_fma_f64 v[146:147], v[144:145], v[146:147], s[18:19]
	v_cmp_ngt_f64_e64 s18, 0xc090cc00, v[6:7]
	s_mov_b32 s19, 0x3fe55555
	s_delay_alu instid0(VALU_DEP_2) | instskip(NEXT) | instid1(VALU_DEP_1)
	v_fma_f64 v[146:147], v[144:145], v[146:147], 1.0
	v_fma_f64 v[8:9], v[144:145], v[146:147], 1.0
	s_delay_alu instid0(VALU_DEP_1) | instskip(NEXT) | instid1(VALU_DEP_1)
	v_ldexp_f64 v[8:9], v[8:9], v134
	v_cndmask_b32_e32 v9, 0x7ff00000, v9, vcc_lo
	s_and_b32 vcc_lo, s18, vcc_lo
	s_delay_alu instid0(VALU_DEP_1) | instskip(NEXT) | instid1(VALU_DEP_3)
	v_cndmask_b32_e64 v7, 0, v9, s18
	v_cndmask_b32_e32 v6, 0, v8, vcc_lo
	s_mov_b32 s18, 0x55555555
	s_delay_alu instid0(VALU_DEP_1) | instskip(NEXT) | instid1(VALU_DEP_1)
	v_add_f64 v[8:9], v[6:7], 1.0
	v_frexp_mant_f64_e32 v[144:145], v[8:9]
	v_frexp_exp_i32_f64_e32 v134, v[8:9]
	v_add_f64 v[146:147], v[8:9], -1.0
	s_delay_alu instid0(VALU_DEP_3) | instskip(SKIP_1) | instid1(VALU_DEP_2)
	v_cmp_gt_f64_e32 vcc_lo, s[18:19], v[144:145]
	s_mov_b32 s18, 0x55555780
	v_add_f64 v[144:145], v[146:147], -v[8:9]
	v_add_f64 v[146:147], v[6:7], -v[146:147]
	v_subrev_co_ci_u32_e32 v134, vcc_lo, 0, v134, vcc_lo
	s_delay_alu instid0(VALU_DEP_3) | instskip(SKIP_2) | instid1(VALU_DEP_2)
	v_add_f64 v[144:145], v[144:145], 1.0
	s_mov_b32 vcc_lo, 0xbf559e2b
	s_mov_b32 vcc_hi, 0x3fc3ab76
	v_sub_nc_u32_e32 v150, 0, v134
	s_delay_alu instid0(VALU_DEP_1) | instskip(NEXT) | instid1(VALU_DEP_3)
	v_ldexp_f64 v[8:9], v[8:9], v150
	v_add_f64 v[144:145], v[146:147], v[144:145]
	s_delay_alu instid0(VALU_DEP_2) | instskip(SKIP_1) | instid1(VALU_DEP_3)
	v_add_f64 v[148:149], v[8:9], 1.0
	v_add_f64 v[162:163], v[8:9], -1.0
	v_ldexp_f64 v[144:145], v[144:145], v150
	s_delay_alu instid0(VALU_DEP_3) | instskip(NEXT) | instid1(VALU_DEP_3)
	v_add_f64 v[146:147], v[148:149], -1.0
	v_add_f64 v[164:165], v[162:163], 1.0
	s_delay_alu instid0(VALU_DEP_2) | instskip(NEXT) | instid1(VALU_DEP_2)
	v_add_f64 v[146:147], v[8:9], -v[146:147]
	v_add_f64 v[8:9], v[8:9], -v[164:165]
	s_delay_alu instid0(VALU_DEP_2) | instskip(NEXT) | instid1(VALU_DEP_2)
	v_add_f64 v[146:147], v[144:145], v[146:147]
	v_add_f64 v[8:9], v[144:145], v[8:9]
	s_delay_alu instid0(VALU_DEP_2) | instskip(NEXT) | instid1(VALU_DEP_2)
	v_add_f64 v[150:151], v[148:149], v[146:147]
	v_add_f64 v[164:165], v[162:163], v[8:9]
	s_delay_alu instid0(VALU_DEP_2) | instskip(SKIP_1) | instid1(VALU_DEP_2)
	v_rcp_f64_e32 v[160:161], v[150:151]
	v_add_f64 v[148:149], v[150:151], -v[148:149]
	v_add_f64 v[162:163], v[164:165], -v[162:163]
	s_delay_alu instid0(VALU_DEP_2) | instskip(SKIP_3) | instid1(VALU_DEP_2)
	v_add_f64 v[146:147], v[146:147], -v[148:149]
	s_waitcnt_depctr 0xfff
	v_fma_f64 v[210:211], -v[150:151], v[160:161], 1.0
	v_add_f64 v[8:9], v[8:9], -v[162:163]
	v_fma_f64 v[160:161], v[210:211], v[160:161], v[160:161]
	s_delay_alu instid0(VALU_DEP_1) | instskip(NEXT) | instid1(VALU_DEP_1)
	v_fma_f64 v[144:145], -v[150:151], v[160:161], 1.0
	v_fma_f64 v[144:145], v[144:145], v[160:161], v[160:161]
	s_delay_alu instid0(VALU_DEP_1) | instskip(NEXT) | instid1(VALU_DEP_1)
	v_mul_f64 v[160:161], v[164:165], v[144:145]
	v_mul_f64 v[210:211], v[150:151], v[160:161]
	s_delay_alu instid0(VALU_DEP_1) | instskip(NEXT) | instid1(VALU_DEP_1)
	v_fma_f64 v[148:149], v[160:161], v[150:151], -v[210:211]
	v_fma_f64 v[148:149], v[160:161], v[146:147], v[148:149]
	s_delay_alu instid0(VALU_DEP_1) | instskip(NEXT) | instid1(VALU_DEP_1)
	v_add_f64 v[212:213], v[210:211], v[148:149]
	v_add_f64 v[214:215], v[164:165], -v[212:213]
	v_add_f64 v[162:163], v[212:213], -v[210:211]
	s_delay_alu instid0(VALU_DEP_2) | instskip(NEXT) | instid1(VALU_DEP_2)
	v_add_f64 v[164:165], v[164:165], -v[214:215]
	v_add_f64 v[148:149], v[162:163], -v[148:149]
	s_delay_alu instid0(VALU_DEP_2) | instskip(NEXT) | instid1(VALU_DEP_1)
	v_add_f64 v[164:165], v[164:165], -v[212:213]
	v_add_f64 v[8:9], v[8:9], v[164:165]
	s_delay_alu instid0(VALU_DEP_1) | instskip(NEXT) | instid1(VALU_DEP_1)
	v_add_f64 v[8:9], v[148:149], v[8:9]
	v_add_f64 v[148:149], v[214:215], v[8:9]
	s_delay_alu instid0(VALU_DEP_1) | instskip(SKIP_1) | instid1(VALU_DEP_2)
	v_mul_f64 v[162:163], v[144:145], v[148:149]
	v_add_f64 v[212:213], v[214:215], -v[148:149]
	v_mul_f64 v[164:165], v[150:151], v[162:163]
	s_delay_alu instid0(VALU_DEP_2) | instskip(NEXT) | instid1(VALU_DEP_2)
	v_add_f64 v[8:9], v[8:9], v[212:213]
	v_fma_f64 v[150:151], v[162:163], v[150:151], -v[164:165]
	s_delay_alu instid0(VALU_DEP_1) | instskip(NEXT) | instid1(VALU_DEP_1)
	v_fma_f64 v[146:147], v[162:163], v[146:147], v[150:151]
	v_add_f64 v[150:151], v[164:165], v[146:147]
	s_delay_alu instid0(VALU_DEP_1) | instskip(SKIP_1) | instid1(VALU_DEP_2)
	v_add_f64 v[210:211], v[148:149], -v[150:151]
	v_add_f64 v[164:165], v[150:151], -v[164:165]
	;; [unrolled: 1-line block ×3, first 2 shown]
	s_delay_alu instid0(VALU_DEP_2) | instskip(NEXT) | instid1(VALU_DEP_2)
	v_add_f64 v[146:147], v[164:165], -v[146:147]
	v_add_f64 v[148:149], v[148:149], -v[150:151]
	s_delay_alu instid0(VALU_DEP_1) | instskip(SKIP_1) | instid1(VALU_DEP_2)
	v_add_f64 v[8:9], v[8:9], v[148:149]
	v_add_f64 v[148:149], v[160:161], v[162:163]
	;; [unrolled: 1-line block ×3, first 2 shown]
	s_delay_alu instid0(VALU_DEP_2) | instskip(NEXT) | instid1(VALU_DEP_2)
	v_add_f64 v[146:147], v[148:149], -v[160:161]
	v_add_f64 v[8:9], v[210:211], v[8:9]
	s_delay_alu instid0(VALU_DEP_2) | instskip(NEXT) | instid1(VALU_DEP_2)
	v_add_f64 v[146:147], v[162:163], -v[146:147]
	v_mul_f64 v[8:9], v[144:145], v[8:9]
	s_delay_alu instid0(VALU_DEP_1) | instskip(NEXT) | instid1(VALU_DEP_1)
	v_add_f64 v[8:9], v[146:147], v[8:9]
	v_add_f64 v[144:145], v[148:149], v[8:9]
	s_delay_alu instid0(VALU_DEP_1) | instskip(NEXT) | instid1(VALU_DEP_1)
	v_mul_f64 v[146:147], v[144:145], v[144:145]
	v_fma_f64 v[150:151], v[146:147], vcc, s[28:29]
	s_mov_b32 s28, 0xd7f4df2e
	s_mov_b32 s29, 0x3fc7474d
	v_mul_f64 v[160:161], v[144:145], v[146:147]
	v_cmp_eq_f64_e32 vcc_lo, 0x7ff00000, v[6:7]
	s_delay_alu instid0(VALU_DEP_3)
	v_fma_f64 v[150:151], v[146:147], v[150:151], s[28:29]
	s_mov_b32 s28, 0x16291751
	s_mov_b32 s29, 0x3fcc71c0
	s_delay_alu instid0(VALU_DEP_1) | instid1(SALU_CYCLE_1)
	v_fma_f64 v[150:151], v[146:147], v[150:151], s[28:29]
	s_mov_b32 s28, 0x9b27acf1
	s_mov_b32 s29, 0x3fd24924
	s_delay_alu instid0(VALU_DEP_1) | instid1(SALU_CYCLE_1)
	;; [unrolled: 4-line block ×3, first 2 shown]
	v_fma_f64 v[150:151], v[146:147], v[150:151], s[28:29]
	s_delay_alu instid0(VALU_DEP_1) | instskip(SKIP_2) | instid1(VALU_DEP_3)
	v_fma_f64 v[146:147], v[146:147], v[150:151], s[18:19]
	v_ldexp_f64 v[150:151], v[144:145], 1
	v_add_f64 v[144:145], v[144:145], -v[148:149]
	v_mul_f64 v[146:147], v[160:161], v[146:147]
	v_cvt_f64_i32_e32 v[160:161], v134
	s_delay_alu instid0(VALU_DEP_3) | instskip(NEXT) | instid1(VALU_DEP_3)
	v_add_f64 v[8:9], v[8:9], -v[144:145]
	v_add_f64 v[148:149], v[150:151], v[146:147]
	s_delay_alu instid0(VALU_DEP_3) | instskip(NEXT) | instid1(VALU_DEP_3)
	v_mul_f64 v[162:163], v[160:161], s[20:21]
	v_ldexp_f64 v[8:9], v[8:9], 1
	s_delay_alu instid0(VALU_DEP_3) | instskip(NEXT) | instid1(VALU_DEP_3)
	v_add_f64 v[144:145], v[148:149], -v[150:151]
	v_fma_f64 v[150:151], v[160:161], s[20:21], -v[162:163]
	s_delay_alu instid0(VALU_DEP_2) | instskip(NEXT) | instid1(VALU_DEP_2)
	v_add_f64 v[144:145], v[146:147], -v[144:145]
	v_fma_f64 v[146:147], v[160:161], s[24:25], v[150:151]
	s_delay_alu instid0(VALU_DEP_2) | instskip(NEXT) | instid1(VALU_DEP_2)
	v_add_f64 v[8:9], v[8:9], v[144:145]
	v_add_f64 v[144:145], v[162:163], v[146:147]
	s_delay_alu instid0(VALU_DEP_2) | instskip(NEXT) | instid1(VALU_DEP_2)
	v_add_f64 v[150:151], v[148:149], v[8:9]
	v_add_f64 v[162:163], v[144:145], -v[162:163]
	s_delay_alu instid0(VALU_DEP_2) | instskip(SKIP_1) | instid1(VALU_DEP_3)
	v_add_f64 v[160:161], v[144:145], v[150:151]
	v_add_f64 v[148:149], v[150:151], -v[148:149]
	v_add_f64 v[146:147], v[146:147], -v[162:163]
	s_delay_alu instid0(VALU_DEP_3) | instskip(NEXT) | instid1(VALU_DEP_3)
	v_add_f64 v[164:165], v[160:161], -v[144:145]
	v_add_f64 v[8:9], v[8:9], -v[148:149]
	s_delay_alu instid0(VALU_DEP_2) | instskip(SKIP_1) | instid1(VALU_DEP_3)
	v_add_f64 v[210:211], v[160:161], -v[164:165]
	v_add_f64 v[148:149], v[150:151], -v[164:165]
	v_add_f64 v[150:151], v[146:147], v[8:9]
	s_delay_alu instid0(VALU_DEP_3) | instskip(NEXT) | instid1(VALU_DEP_1)
	v_add_f64 v[144:145], v[144:145], -v[210:211]
	v_add_f64 v[144:145], v[148:149], v[144:145]
	s_delay_alu instid0(VALU_DEP_3) | instskip(NEXT) | instid1(VALU_DEP_2)
	v_add_f64 v[148:149], v[150:151], -v[146:147]
	v_add_f64 v[144:145], v[150:151], v[144:145]
	s_delay_alu instid0(VALU_DEP_2) | instskip(SKIP_1) | instid1(VALU_DEP_3)
	v_add_f64 v[150:151], v[150:151], -v[148:149]
	v_add_f64 v[8:9], v[8:9], -v[148:149]
	v_add_f64 v[162:163], v[160:161], v[144:145]
	s_delay_alu instid0(VALU_DEP_3) | instskip(NEXT) | instid1(VALU_DEP_2)
	v_add_f64 v[146:147], v[146:147], -v[150:151]
	v_add_f64 v[148:149], v[162:163], -v[160:161]
	s_delay_alu instid0(VALU_DEP_2) | instskip(NEXT) | instid1(VALU_DEP_2)
	v_add_f64 v[8:9], v[8:9], v[146:147]
	v_add_f64 v[144:145], v[144:145], -v[148:149]
	s_delay_alu instid0(VALU_DEP_1) | instskip(NEXT) | instid1(VALU_DEP_1)
	v_add_f64 v[8:9], v[8:9], v[144:145]
	v_add_f64 v[8:9], v[162:163], v[8:9]
	s_delay_alu instid0(VALU_DEP_1) | instskip(SKIP_1) | instid1(VALU_DEP_2)
	v_dual_cndmask_b32 v9, v9, v7 :: v_dual_cndmask_b32 v8, v8, v6
	v_cmp_ngt_f64_e32 vcc_lo, -1.0, v[6:7]
	v_cndmask_b32_e32 v9, 0x7ff80000, v9, vcc_lo
	v_cmp_nge_f64_e32 vcc_lo, -1.0, v[6:7]
	s_delay_alu instid0(VALU_DEP_4) | instskip(SKIP_1) | instid1(VALU_DEP_4)
	v_cndmask_b32_e32 v8, 0, v8, vcc_lo
	v_cmp_neq_f64_e32 vcc_lo, -1.0, v[6:7]
	v_cndmask_b32_e32 v9, 0xfff00000, v9, vcc_lo
	s_delay_alu instid0(VALU_DEP_1)
	v_add_f64 v[6:7], v[4:5], v[8:9]
.LBB8_55:
	s_or_b32 exec_lo, exec_lo, s27
	s_delay_alu instid0(VALU_DEP_1)
	v_dual_mov_b32 v8, v6 :: v_dual_mov_b32 v9, v7
	v_dual_mov_b32 v4, v6 :: v_dual_mov_b32 v5, v7
.LBB8_56:
	s_or_b32 exec_lo, exec_lo, s26
	s_delay_alu instid0(VALU_DEP_2) | instskip(NEXT) | instid1(VALU_DEP_3)
	v_mov_b32_dpp v6, v8 row_shr:2 row_mask:0xf bank_mask:0xf
	v_mov_b32_dpp v7, v9 row_shr:2 row_mask:0xf bank_mask:0xf
	s_mov_b32 s26, exec_lo
	v_cmpx_lt_u32_e32 1, v133
	s_cbranch_execz .LBB8_60
; %bb.57:
	s_delay_alu instid0(VALU_DEP_2) | instskip(SKIP_3) | instid1(VALU_DEP_3)
	v_max_f64 v[8:9], v[6:7], v[6:7]
	v_max_f64 v[144:145], v[4:5], v[4:5]
	v_cmp_u_f64_e32 vcc_lo, v[6:7], v[6:7]
	v_cmp_u_f64_e64 s18, v[4:5], v[4:5]
	v_min_f64 v[146:147], v[8:9], v[144:145]
	v_max_f64 v[8:9], v[8:9], v[144:145]
	s_delay_alu instid0(VALU_DEP_1) | instskip(NEXT) | instid1(VALU_DEP_3)
	v_dual_cndmask_b32 v134, v146, v6 :: v_dual_cndmask_b32 v145, v9, v7
	v_cndmask_b32_e32 v144, v147, v7, vcc_lo
	s_delay_alu instid0(VALU_DEP_3) | instskip(NEXT) | instid1(VALU_DEP_3)
	v_cndmask_b32_e32 v146, v8, v6, vcc_lo
	v_cndmask_b32_e64 v8, v134, v4, s18
	s_delay_alu instid0(VALU_DEP_3) | instskip(SKIP_1) | instid1(VALU_DEP_4)
	v_cndmask_b32_e64 v9, v144, v5, s18
	v_cndmask_b32_e64 v5, v145, v5, s18
	;; [unrolled: 1-line block ×3, first 2 shown]
	s_delay_alu instid0(VALU_DEP_3) | instskip(NEXT) | instid1(VALU_DEP_2)
	v_cmp_class_f64_e64 s18, v[8:9], 0x1f8
	v_cmp_neq_f64_e32 vcc_lo, v[8:9], v[4:5]
	s_delay_alu instid0(VALU_DEP_2) | instskip(NEXT) | instid1(SALU_CYCLE_1)
	s_or_b32 s18, vcc_lo, s18
	s_and_saveexec_b32 s27, s18
	s_cbranch_execz .LBB8_59
; %bb.58:
	v_add_f64 v[6:7], v[8:9], -v[4:5]
	s_mov_b32 s18, 0x652b82fe
	s_mov_b32 s19, 0x3ff71547
	;; [unrolled: 1-line block ×8, first 2 shown]
	s_delay_alu instid0(VALU_DEP_1) | instskip(SKIP_3) | instid1(VALU_DEP_2)
	v_mul_f64 v[8:9], v[6:7], s[18:19]
	s_mov_b32 s18, 0xfca7ab0c
	s_mov_b32 s19, 0x3e928af3
	v_cmp_nlt_f64_e32 vcc_lo, 0x40900000, v[6:7]
	v_rndne_f64_e32 v[8:9], v[8:9]
	s_delay_alu instid0(VALU_DEP_1) | instskip(SKIP_2) | instid1(VALU_DEP_2)
	v_fma_f64 v[144:145], v[8:9], s[20:21], v[6:7]
	v_cvt_i32_f64_e32 v134, v[8:9]
	s_mov_b32 s21, 0x3fe62e42
	v_fma_f64 v[144:145], v[8:9], s[24:25], v[144:145]
	s_mov_b32 s25, 0x3c7abc9e
	s_delay_alu instid0(VALU_DEP_1) | instskip(SKIP_4) | instid1(VALU_DEP_1)
	v_fma_f64 v[146:147], v[144:145], s[28:29], s[18:19]
	s_mov_b32 s18, 0x623fde64
	s_mov_b32 s19, 0x3ec71dee
	;; [unrolled: 1-line block ×4, first 2 shown]
	v_fma_f64 v[146:147], v[144:145], v[146:147], s[18:19]
	s_mov_b32 s18, 0x7c89e6b0
	s_mov_b32 s19, 0x3efa0199
	s_delay_alu instid0(VALU_DEP_1) | instid1(SALU_CYCLE_1)
	v_fma_f64 v[146:147], v[144:145], v[146:147], s[18:19]
	s_mov_b32 s18, 0x14761f6e
	s_mov_b32 s19, 0x3f2a01a0
	s_delay_alu instid0(VALU_DEP_1) | instid1(SALU_CYCLE_1)
	;; [unrolled: 4-line block ×7, first 2 shown]
	v_fma_f64 v[146:147], v[144:145], v[146:147], s[18:19]
	v_cmp_ngt_f64_e64 s18, 0xc090cc00, v[6:7]
	s_mov_b32 s19, 0x3fe55555
	s_delay_alu instid0(VALU_DEP_2) | instskip(NEXT) | instid1(VALU_DEP_1)
	v_fma_f64 v[146:147], v[144:145], v[146:147], 1.0
	v_fma_f64 v[8:9], v[144:145], v[146:147], 1.0
	s_delay_alu instid0(VALU_DEP_1) | instskip(NEXT) | instid1(VALU_DEP_1)
	v_ldexp_f64 v[8:9], v[8:9], v134
	v_cndmask_b32_e32 v9, 0x7ff00000, v9, vcc_lo
	s_and_b32 vcc_lo, s18, vcc_lo
	s_delay_alu instid0(VALU_DEP_1) | instskip(NEXT) | instid1(VALU_DEP_3)
	v_cndmask_b32_e64 v7, 0, v9, s18
	v_cndmask_b32_e32 v6, 0, v8, vcc_lo
	s_mov_b32 s18, 0x55555555
	s_delay_alu instid0(VALU_DEP_1) | instskip(NEXT) | instid1(VALU_DEP_1)
	v_add_f64 v[8:9], v[6:7], 1.0
	v_frexp_mant_f64_e32 v[144:145], v[8:9]
	v_frexp_exp_i32_f64_e32 v134, v[8:9]
	v_add_f64 v[146:147], v[8:9], -1.0
	s_delay_alu instid0(VALU_DEP_3) | instskip(SKIP_1) | instid1(VALU_DEP_2)
	v_cmp_gt_f64_e32 vcc_lo, s[18:19], v[144:145]
	s_mov_b32 s18, 0x55555780
	v_add_f64 v[144:145], v[146:147], -v[8:9]
	v_add_f64 v[146:147], v[6:7], -v[146:147]
	v_subrev_co_ci_u32_e32 v134, vcc_lo, 0, v134, vcc_lo
	s_delay_alu instid0(VALU_DEP_3) | instskip(SKIP_2) | instid1(VALU_DEP_2)
	v_add_f64 v[144:145], v[144:145], 1.0
	s_mov_b32 vcc_lo, 0xbf559e2b
	s_mov_b32 vcc_hi, 0x3fc3ab76
	v_sub_nc_u32_e32 v150, 0, v134
	s_delay_alu instid0(VALU_DEP_1) | instskip(NEXT) | instid1(VALU_DEP_3)
	v_ldexp_f64 v[8:9], v[8:9], v150
	v_add_f64 v[144:145], v[146:147], v[144:145]
	s_delay_alu instid0(VALU_DEP_2) | instskip(SKIP_1) | instid1(VALU_DEP_3)
	v_add_f64 v[148:149], v[8:9], 1.0
	v_add_f64 v[162:163], v[8:9], -1.0
	v_ldexp_f64 v[144:145], v[144:145], v150
	s_delay_alu instid0(VALU_DEP_3) | instskip(NEXT) | instid1(VALU_DEP_3)
	v_add_f64 v[146:147], v[148:149], -1.0
	v_add_f64 v[164:165], v[162:163], 1.0
	s_delay_alu instid0(VALU_DEP_2) | instskip(NEXT) | instid1(VALU_DEP_2)
	v_add_f64 v[146:147], v[8:9], -v[146:147]
	v_add_f64 v[8:9], v[8:9], -v[164:165]
	s_delay_alu instid0(VALU_DEP_2) | instskip(NEXT) | instid1(VALU_DEP_2)
	v_add_f64 v[146:147], v[144:145], v[146:147]
	v_add_f64 v[8:9], v[144:145], v[8:9]
	s_delay_alu instid0(VALU_DEP_2) | instskip(NEXT) | instid1(VALU_DEP_2)
	v_add_f64 v[150:151], v[148:149], v[146:147]
	v_add_f64 v[164:165], v[162:163], v[8:9]
	s_delay_alu instid0(VALU_DEP_2) | instskip(SKIP_1) | instid1(VALU_DEP_2)
	v_rcp_f64_e32 v[160:161], v[150:151]
	v_add_f64 v[148:149], v[150:151], -v[148:149]
	v_add_f64 v[162:163], v[164:165], -v[162:163]
	s_delay_alu instid0(VALU_DEP_2) | instskip(SKIP_3) | instid1(VALU_DEP_2)
	v_add_f64 v[146:147], v[146:147], -v[148:149]
	s_waitcnt_depctr 0xfff
	v_fma_f64 v[210:211], -v[150:151], v[160:161], 1.0
	v_add_f64 v[8:9], v[8:9], -v[162:163]
	v_fma_f64 v[160:161], v[210:211], v[160:161], v[160:161]
	s_delay_alu instid0(VALU_DEP_1) | instskip(NEXT) | instid1(VALU_DEP_1)
	v_fma_f64 v[144:145], -v[150:151], v[160:161], 1.0
	v_fma_f64 v[144:145], v[144:145], v[160:161], v[160:161]
	s_delay_alu instid0(VALU_DEP_1) | instskip(NEXT) | instid1(VALU_DEP_1)
	v_mul_f64 v[160:161], v[164:165], v[144:145]
	v_mul_f64 v[210:211], v[150:151], v[160:161]
	s_delay_alu instid0(VALU_DEP_1) | instskip(NEXT) | instid1(VALU_DEP_1)
	v_fma_f64 v[148:149], v[160:161], v[150:151], -v[210:211]
	v_fma_f64 v[148:149], v[160:161], v[146:147], v[148:149]
	s_delay_alu instid0(VALU_DEP_1) | instskip(NEXT) | instid1(VALU_DEP_1)
	v_add_f64 v[212:213], v[210:211], v[148:149]
	v_add_f64 v[214:215], v[164:165], -v[212:213]
	v_add_f64 v[162:163], v[212:213], -v[210:211]
	s_delay_alu instid0(VALU_DEP_2) | instskip(NEXT) | instid1(VALU_DEP_2)
	v_add_f64 v[164:165], v[164:165], -v[214:215]
	v_add_f64 v[148:149], v[162:163], -v[148:149]
	s_delay_alu instid0(VALU_DEP_2) | instskip(NEXT) | instid1(VALU_DEP_1)
	v_add_f64 v[164:165], v[164:165], -v[212:213]
	v_add_f64 v[8:9], v[8:9], v[164:165]
	s_delay_alu instid0(VALU_DEP_1) | instskip(NEXT) | instid1(VALU_DEP_1)
	v_add_f64 v[8:9], v[148:149], v[8:9]
	v_add_f64 v[148:149], v[214:215], v[8:9]
	s_delay_alu instid0(VALU_DEP_1) | instskip(SKIP_1) | instid1(VALU_DEP_2)
	v_mul_f64 v[162:163], v[144:145], v[148:149]
	v_add_f64 v[212:213], v[214:215], -v[148:149]
	v_mul_f64 v[164:165], v[150:151], v[162:163]
	s_delay_alu instid0(VALU_DEP_2) | instskip(NEXT) | instid1(VALU_DEP_2)
	v_add_f64 v[8:9], v[8:9], v[212:213]
	v_fma_f64 v[150:151], v[162:163], v[150:151], -v[164:165]
	s_delay_alu instid0(VALU_DEP_1) | instskip(NEXT) | instid1(VALU_DEP_1)
	v_fma_f64 v[146:147], v[162:163], v[146:147], v[150:151]
	v_add_f64 v[150:151], v[164:165], v[146:147]
	s_delay_alu instid0(VALU_DEP_1) | instskip(SKIP_1) | instid1(VALU_DEP_2)
	v_add_f64 v[210:211], v[148:149], -v[150:151]
	v_add_f64 v[164:165], v[150:151], -v[164:165]
	;; [unrolled: 1-line block ×3, first 2 shown]
	s_delay_alu instid0(VALU_DEP_2) | instskip(NEXT) | instid1(VALU_DEP_2)
	v_add_f64 v[146:147], v[164:165], -v[146:147]
	v_add_f64 v[148:149], v[148:149], -v[150:151]
	s_delay_alu instid0(VALU_DEP_1) | instskip(SKIP_1) | instid1(VALU_DEP_2)
	v_add_f64 v[8:9], v[8:9], v[148:149]
	v_add_f64 v[148:149], v[160:161], v[162:163]
	;; [unrolled: 1-line block ×3, first 2 shown]
	s_delay_alu instid0(VALU_DEP_2) | instskip(NEXT) | instid1(VALU_DEP_2)
	v_add_f64 v[146:147], v[148:149], -v[160:161]
	v_add_f64 v[8:9], v[210:211], v[8:9]
	s_delay_alu instid0(VALU_DEP_2) | instskip(NEXT) | instid1(VALU_DEP_2)
	v_add_f64 v[146:147], v[162:163], -v[146:147]
	v_mul_f64 v[8:9], v[144:145], v[8:9]
	s_delay_alu instid0(VALU_DEP_1) | instskip(NEXT) | instid1(VALU_DEP_1)
	v_add_f64 v[8:9], v[146:147], v[8:9]
	v_add_f64 v[144:145], v[148:149], v[8:9]
	s_delay_alu instid0(VALU_DEP_1) | instskip(NEXT) | instid1(VALU_DEP_1)
	v_mul_f64 v[146:147], v[144:145], v[144:145]
	v_fma_f64 v[150:151], v[146:147], vcc, s[28:29]
	s_mov_b32 s28, 0xd7f4df2e
	s_mov_b32 s29, 0x3fc7474d
	v_mul_f64 v[160:161], v[144:145], v[146:147]
	v_cmp_eq_f64_e32 vcc_lo, 0x7ff00000, v[6:7]
	s_delay_alu instid0(VALU_DEP_3)
	v_fma_f64 v[150:151], v[146:147], v[150:151], s[28:29]
	s_mov_b32 s28, 0x16291751
	s_mov_b32 s29, 0x3fcc71c0
	s_delay_alu instid0(VALU_DEP_1) | instid1(SALU_CYCLE_1)
	v_fma_f64 v[150:151], v[146:147], v[150:151], s[28:29]
	s_mov_b32 s28, 0x9b27acf1
	s_mov_b32 s29, 0x3fd24924
	s_delay_alu instid0(VALU_DEP_1) | instid1(SALU_CYCLE_1)
	;; [unrolled: 4-line block ×3, first 2 shown]
	v_fma_f64 v[150:151], v[146:147], v[150:151], s[28:29]
	s_delay_alu instid0(VALU_DEP_1) | instskip(SKIP_2) | instid1(VALU_DEP_3)
	v_fma_f64 v[146:147], v[146:147], v[150:151], s[18:19]
	v_ldexp_f64 v[150:151], v[144:145], 1
	v_add_f64 v[144:145], v[144:145], -v[148:149]
	v_mul_f64 v[146:147], v[160:161], v[146:147]
	v_cvt_f64_i32_e32 v[160:161], v134
	s_delay_alu instid0(VALU_DEP_3) | instskip(NEXT) | instid1(VALU_DEP_3)
	v_add_f64 v[8:9], v[8:9], -v[144:145]
	v_add_f64 v[148:149], v[150:151], v[146:147]
	s_delay_alu instid0(VALU_DEP_3) | instskip(NEXT) | instid1(VALU_DEP_3)
	v_mul_f64 v[162:163], v[160:161], s[20:21]
	v_ldexp_f64 v[8:9], v[8:9], 1
	s_delay_alu instid0(VALU_DEP_3) | instskip(NEXT) | instid1(VALU_DEP_3)
	v_add_f64 v[144:145], v[148:149], -v[150:151]
	v_fma_f64 v[150:151], v[160:161], s[20:21], -v[162:163]
	s_delay_alu instid0(VALU_DEP_2) | instskip(NEXT) | instid1(VALU_DEP_2)
	v_add_f64 v[144:145], v[146:147], -v[144:145]
	v_fma_f64 v[146:147], v[160:161], s[24:25], v[150:151]
	s_delay_alu instid0(VALU_DEP_2) | instskip(NEXT) | instid1(VALU_DEP_2)
	v_add_f64 v[8:9], v[8:9], v[144:145]
	v_add_f64 v[144:145], v[162:163], v[146:147]
	s_delay_alu instid0(VALU_DEP_2) | instskip(NEXT) | instid1(VALU_DEP_2)
	v_add_f64 v[150:151], v[148:149], v[8:9]
	v_add_f64 v[162:163], v[144:145], -v[162:163]
	s_delay_alu instid0(VALU_DEP_2) | instskip(SKIP_1) | instid1(VALU_DEP_3)
	v_add_f64 v[160:161], v[144:145], v[150:151]
	v_add_f64 v[148:149], v[150:151], -v[148:149]
	v_add_f64 v[146:147], v[146:147], -v[162:163]
	s_delay_alu instid0(VALU_DEP_3) | instskip(NEXT) | instid1(VALU_DEP_3)
	v_add_f64 v[164:165], v[160:161], -v[144:145]
	v_add_f64 v[8:9], v[8:9], -v[148:149]
	s_delay_alu instid0(VALU_DEP_2) | instskip(SKIP_1) | instid1(VALU_DEP_3)
	v_add_f64 v[210:211], v[160:161], -v[164:165]
	v_add_f64 v[148:149], v[150:151], -v[164:165]
	v_add_f64 v[150:151], v[146:147], v[8:9]
	s_delay_alu instid0(VALU_DEP_3) | instskip(NEXT) | instid1(VALU_DEP_1)
	v_add_f64 v[144:145], v[144:145], -v[210:211]
	v_add_f64 v[144:145], v[148:149], v[144:145]
	s_delay_alu instid0(VALU_DEP_3) | instskip(NEXT) | instid1(VALU_DEP_2)
	v_add_f64 v[148:149], v[150:151], -v[146:147]
	v_add_f64 v[144:145], v[150:151], v[144:145]
	s_delay_alu instid0(VALU_DEP_2) | instskip(SKIP_1) | instid1(VALU_DEP_3)
	v_add_f64 v[150:151], v[150:151], -v[148:149]
	v_add_f64 v[8:9], v[8:9], -v[148:149]
	v_add_f64 v[162:163], v[160:161], v[144:145]
	s_delay_alu instid0(VALU_DEP_3) | instskip(NEXT) | instid1(VALU_DEP_2)
	v_add_f64 v[146:147], v[146:147], -v[150:151]
	v_add_f64 v[148:149], v[162:163], -v[160:161]
	s_delay_alu instid0(VALU_DEP_2) | instskip(NEXT) | instid1(VALU_DEP_2)
	v_add_f64 v[8:9], v[8:9], v[146:147]
	v_add_f64 v[144:145], v[144:145], -v[148:149]
	s_delay_alu instid0(VALU_DEP_1) | instskip(NEXT) | instid1(VALU_DEP_1)
	v_add_f64 v[8:9], v[8:9], v[144:145]
	v_add_f64 v[8:9], v[162:163], v[8:9]
	s_delay_alu instid0(VALU_DEP_1) | instskip(SKIP_1) | instid1(VALU_DEP_2)
	v_dual_cndmask_b32 v9, v9, v7 :: v_dual_cndmask_b32 v8, v8, v6
	v_cmp_ngt_f64_e32 vcc_lo, -1.0, v[6:7]
	v_cndmask_b32_e32 v9, 0x7ff80000, v9, vcc_lo
	v_cmp_nge_f64_e32 vcc_lo, -1.0, v[6:7]
	s_delay_alu instid0(VALU_DEP_4) | instskip(SKIP_1) | instid1(VALU_DEP_4)
	v_cndmask_b32_e32 v8, 0, v8, vcc_lo
	v_cmp_neq_f64_e32 vcc_lo, -1.0, v[6:7]
	v_cndmask_b32_e32 v9, 0xfff00000, v9, vcc_lo
	s_delay_alu instid0(VALU_DEP_1)
	v_add_f64 v[6:7], v[4:5], v[8:9]
.LBB8_59:
	s_or_b32 exec_lo, exec_lo, s27
	s_delay_alu instid0(VALU_DEP_1)
	v_dual_mov_b32 v4, v6 :: v_dual_mov_b32 v5, v7
	v_dual_mov_b32 v8, v6 :: v_dual_mov_b32 v9, v7
.LBB8_60:
	s_or_b32 exec_lo, exec_lo, s26
	s_delay_alu instid0(VALU_DEP_1) | instskip(NEXT) | instid1(VALU_DEP_2)
	v_mov_b32_dpp v6, v8 row_shr:4 row_mask:0xf bank_mask:0xf
	v_mov_b32_dpp v7, v9 row_shr:4 row_mask:0xf bank_mask:0xf
	s_mov_b32 s26, exec_lo
	v_cmpx_lt_u32_e32 3, v133
	s_cbranch_execz .LBB8_64
; %bb.61:
	s_delay_alu instid0(VALU_DEP_2) | instskip(SKIP_3) | instid1(VALU_DEP_3)
	v_max_f64 v[8:9], v[6:7], v[6:7]
	v_max_f64 v[144:145], v[4:5], v[4:5]
	v_cmp_u_f64_e32 vcc_lo, v[6:7], v[6:7]
	v_cmp_u_f64_e64 s18, v[4:5], v[4:5]
	v_min_f64 v[146:147], v[8:9], v[144:145]
	v_max_f64 v[8:9], v[8:9], v[144:145]
	s_delay_alu instid0(VALU_DEP_1) | instskip(NEXT) | instid1(VALU_DEP_3)
	v_dual_cndmask_b32 v134, v146, v6 :: v_dual_cndmask_b32 v145, v9, v7
	v_cndmask_b32_e32 v144, v147, v7, vcc_lo
	s_delay_alu instid0(VALU_DEP_3) | instskip(NEXT) | instid1(VALU_DEP_3)
	v_cndmask_b32_e32 v146, v8, v6, vcc_lo
	v_cndmask_b32_e64 v8, v134, v4, s18
	s_delay_alu instid0(VALU_DEP_3) | instskip(SKIP_1) | instid1(VALU_DEP_4)
	v_cndmask_b32_e64 v9, v144, v5, s18
	v_cndmask_b32_e64 v5, v145, v5, s18
	;; [unrolled: 1-line block ×3, first 2 shown]
	s_delay_alu instid0(VALU_DEP_3) | instskip(NEXT) | instid1(VALU_DEP_2)
	v_cmp_class_f64_e64 s18, v[8:9], 0x1f8
	v_cmp_neq_f64_e32 vcc_lo, v[8:9], v[4:5]
	s_delay_alu instid0(VALU_DEP_2) | instskip(NEXT) | instid1(SALU_CYCLE_1)
	s_or_b32 s18, vcc_lo, s18
	s_and_saveexec_b32 s27, s18
	s_cbranch_execz .LBB8_63
; %bb.62:
	v_add_f64 v[6:7], v[8:9], -v[4:5]
	s_mov_b32 s18, 0x652b82fe
	s_mov_b32 s19, 0x3ff71547
	;; [unrolled: 1-line block ×8, first 2 shown]
	s_delay_alu instid0(VALU_DEP_1) | instskip(SKIP_3) | instid1(VALU_DEP_2)
	v_mul_f64 v[8:9], v[6:7], s[18:19]
	s_mov_b32 s18, 0xfca7ab0c
	s_mov_b32 s19, 0x3e928af3
	v_cmp_nlt_f64_e32 vcc_lo, 0x40900000, v[6:7]
	v_rndne_f64_e32 v[8:9], v[8:9]
	s_delay_alu instid0(VALU_DEP_1) | instskip(SKIP_2) | instid1(VALU_DEP_2)
	v_fma_f64 v[144:145], v[8:9], s[20:21], v[6:7]
	v_cvt_i32_f64_e32 v134, v[8:9]
	s_mov_b32 s21, 0x3fe62e42
	v_fma_f64 v[144:145], v[8:9], s[24:25], v[144:145]
	s_mov_b32 s25, 0x3c7abc9e
	s_delay_alu instid0(VALU_DEP_1) | instskip(SKIP_4) | instid1(VALU_DEP_1)
	v_fma_f64 v[146:147], v[144:145], s[28:29], s[18:19]
	s_mov_b32 s18, 0x623fde64
	s_mov_b32 s19, 0x3ec71dee
	;; [unrolled: 1-line block ×4, first 2 shown]
	v_fma_f64 v[146:147], v[144:145], v[146:147], s[18:19]
	s_mov_b32 s18, 0x7c89e6b0
	s_mov_b32 s19, 0x3efa0199
	s_delay_alu instid0(VALU_DEP_1) | instid1(SALU_CYCLE_1)
	v_fma_f64 v[146:147], v[144:145], v[146:147], s[18:19]
	s_mov_b32 s18, 0x14761f6e
	s_mov_b32 s19, 0x3f2a01a0
	s_delay_alu instid0(VALU_DEP_1) | instid1(SALU_CYCLE_1)
	;; [unrolled: 4-line block ×7, first 2 shown]
	v_fma_f64 v[146:147], v[144:145], v[146:147], s[18:19]
	v_cmp_ngt_f64_e64 s18, 0xc090cc00, v[6:7]
	s_mov_b32 s19, 0x3fe55555
	s_delay_alu instid0(VALU_DEP_2) | instskip(NEXT) | instid1(VALU_DEP_1)
	v_fma_f64 v[146:147], v[144:145], v[146:147], 1.0
	v_fma_f64 v[8:9], v[144:145], v[146:147], 1.0
	s_delay_alu instid0(VALU_DEP_1) | instskip(NEXT) | instid1(VALU_DEP_1)
	v_ldexp_f64 v[8:9], v[8:9], v134
	v_cndmask_b32_e32 v9, 0x7ff00000, v9, vcc_lo
	s_and_b32 vcc_lo, s18, vcc_lo
	s_delay_alu instid0(VALU_DEP_1) | instskip(NEXT) | instid1(VALU_DEP_3)
	v_cndmask_b32_e64 v7, 0, v9, s18
	v_cndmask_b32_e32 v6, 0, v8, vcc_lo
	s_mov_b32 s18, 0x55555555
	s_delay_alu instid0(VALU_DEP_1) | instskip(NEXT) | instid1(VALU_DEP_1)
	v_add_f64 v[8:9], v[6:7], 1.0
	v_frexp_mant_f64_e32 v[144:145], v[8:9]
	v_frexp_exp_i32_f64_e32 v134, v[8:9]
	v_add_f64 v[146:147], v[8:9], -1.0
	s_delay_alu instid0(VALU_DEP_3) | instskip(SKIP_1) | instid1(VALU_DEP_2)
	v_cmp_gt_f64_e32 vcc_lo, s[18:19], v[144:145]
	s_mov_b32 s18, 0x55555780
	v_add_f64 v[144:145], v[146:147], -v[8:9]
	v_add_f64 v[146:147], v[6:7], -v[146:147]
	v_subrev_co_ci_u32_e32 v134, vcc_lo, 0, v134, vcc_lo
	s_delay_alu instid0(VALU_DEP_3) | instskip(SKIP_2) | instid1(VALU_DEP_2)
	v_add_f64 v[144:145], v[144:145], 1.0
	s_mov_b32 vcc_lo, 0xbf559e2b
	s_mov_b32 vcc_hi, 0x3fc3ab76
	v_sub_nc_u32_e32 v150, 0, v134
	s_delay_alu instid0(VALU_DEP_1) | instskip(NEXT) | instid1(VALU_DEP_3)
	v_ldexp_f64 v[8:9], v[8:9], v150
	v_add_f64 v[144:145], v[146:147], v[144:145]
	s_delay_alu instid0(VALU_DEP_2) | instskip(SKIP_1) | instid1(VALU_DEP_3)
	v_add_f64 v[148:149], v[8:9], 1.0
	v_add_f64 v[162:163], v[8:9], -1.0
	v_ldexp_f64 v[144:145], v[144:145], v150
	s_delay_alu instid0(VALU_DEP_3) | instskip(NEXT) | instid1(VALU_DEP_3)
	v_add_f64 v[146:147], v[148:149], -1.0
	v_add_f64 v[164:165], v[162:163], 1.0
	s_delay_alu instid0(VALU_DEP_2) | instskip(NEXT) | instid1(VALU_DEP_2)
	v_add_f64 v[146:147], v[8:9], -v[146:147]
	v_add_f64 v[8:9], v[8:9], -v[164:165]
	s_delay_alu instid0(VALU_DEP_2) | instskip(NEXT) | instid1(VALU_DEP_2)
	v_add_f64 v[146:147], v[144:145], v[146:147]
	v_add_f64 v[8:9], v[144:145], v[8:9]
	s_delay_alu instid0(VALU_DEP_2) | instskip(NEXT) | instid1(VALU_DEP_2)
	v_add_f64 v[150:151], v[148:149], v[146:147]
	v_add_f64 v[164:165], v[162:163], v[8:9]
	s_delay_alu instid0(VALU_DEP_2) | instskip(SKIP_1) | instid1(VALU_DEP_2)
	v_rcp_f64_e32 v[160:161], v[150:151]
	v_add_f64 v[148:149], v[150:151], -v[148:149]
	v_add_f64 v[162:163], v[164:165], -v[162:163]
	s_delay_alu instid0(VALU_DEP_2) | instskip(SKIP_3) | instid1(VALU_DEP_2)
	v_add_f64 v[146:147], v[146:147], -v[148:149]
	s_waitcnt_depctr 0xfff
	v_fma_f64 v[210:211], -v[150:151], v[160:161], 1.0
	v_add_f64 v[8:9], v[8:9], -v[162:163]
	v_fma_f64 v[160:161], v[210:211], v[160:161], v[160:161]
	s_delay_alu instid0(VALU_DEP_1) | instskip(NEXT) | instid1(VALU_DEP_1)
	v_fma_f64 v[144:145], -v[150:151], v[160:161], 1.0
	v_fma_f64 v[144:145], v[144:145], v[160:161], v[160:161]
	s_delay_alu instid0(VALU_DEP_1) | instskip(NEXT) | instid1(VALU_DEP_1)
	v_mul_f64 v[160:161], v[164:165], v[144:145]
	v_mul_f64 v[210:211], v[150:151], v[160:161]
	s_delay_alu instid0(VALU_DEP_1) | instskip(NEXT) | instid1(VALU_DEP_1)
	v_fma_f64 v[148:149], v[160:161], v[150:151], -v[210:211]
	v_fma_f64 v[148:149], v[160:161], v[146:147], v[148:149]
	s_delay_alu instid0(VALU_DEP_1) | instskip(NEXT) | instid1(VALU_DEP_1)
	v_add_f64 v[212:213], v[210:211], v[148:149]
	v_add_f64 v[214:215], v[164:165], -v[212:213]
	v_add_f64 v[162:163], v[212:213], -v[210:211]
	s_delay_alu instid0(VALU_DEP_2) | instskip(NEXT) | instid1(VALU_DEP_2)
	v_add_f64 v[164:165], v[164:165], -v[214:215]
	v_add_f64 v[148:149], v[162:163], -v[148:149]
	s_delay_alu instid0(VALU_DEP_2) | instskip(NEXT) | instid1(VALU_DEP_1)
	v_add_f64 v[164:165], v[164:165], -v[212:213]
	v_add_f64 v[8:9], v[8:9], v[164:165]
	s_delay_alu instid0(VALU_DEP_1) | instskip(NEXT) | instid1(VALU_DEP_1)
	v_add_f64 v[8:9], v[148:149], v[8:9]
	v_add_f64 v[148:149], v[214:215], v[8:9]
	s_delay_alu instid0(VALU_DEP_1) | instskip(SKIP_1) | instid1(VALU_DEP_2)
	v_mul_f64 v[162:163], v[144:145], v[148:149]
	v_add_f64 v[212:213], v[214:215], -v[148:149]
	v_mul_f64 v[164:165], v[150:151], v[162:163]
	s_delay_alu instid0(VALU_DEP_2) | instskip(NEXT) | instid1(VALU_DEP_2)
	v_add_f64 v[8:9], v[8:9], v[212:213]
	v_fma_f64 v[150:151], v[162:163], v[150:151], -v[164:165]
	s_delay_alu instid0(VALU_DEP_1) | instskip(NEXT) | instid1(VALU_DEP_1)
	v_fma_f64 v[146:147], v[162:163], v[146:147], v[150:151]
	v_add_f64 v[150:151], v[164:165], v[146:147]
	s_delay_alu instid0(VALU_DEP_1) | instskip(SKIP_1) | instid1(VALU_DEP_2)
	v_add_f64 v[210:211], v[148:149], -v[150:151]
	v_add_f64 v[164:165], v[150:151], -v[164:165]
	;; [unrolled: 1-line block ×3, first 2 shown]
	s_delay_alu instid0(VALU_DEP_2) | instskip(NEXT) | instid1(VALU_DEP_2)
	v_add_f64 v[146:147], v[164:165], -v[146:147]
	v_add_f64 v[148:149], v[148:149], -v[150:151]
	s_delay_alu instid0(VALU_DEP_1) | instskip(SKIP_1) | instid1(VALU_DEP_2)
	v_add_f64 v[8:9], v[8:9], v[148:149]
	v_add_f64 v[148:149], v[160:161], v[162:163]
	;; [unrolled: 1-line block ×3, first 2 shown]
	s_delay_alu instid0(VALU_DEP_2) | instskip(NEXT) | instid1(VALU_DEP_2)
	v_add_f64 v[146:147], v[148:149], -v[160:161]
	v_add_f64 v[8:9], v[210:211], v[8:9]
	s_delay_alu instid0(VALU_DEP_2) | instskip(NEXT) | instid1(VALU_DEP_2)
	v_add_f64 v[146:147], v[162:163], -v[146:147]
	v_mul_f64 v[8:9], v[144:145], v[8:9]
	s_delay_alu instid0(VALU_DEP_1) | instskip(NEXT) | instid1(VALU_DEP_1)
	v_add_f64 v[8:9], v[146:147], v[8:9]
	v_add_f64 v[144:145], v[148:149], v[8:9]
	s_delay_alu instid0(VALU_DEP_1) | instskip(NEXT) | instid1(VALU_DEP_1)
	v_mul_f64 v[146:147], v[144:145], v[144:145]
	v_fma_f64 v[150:151], v[146:147], vcc, s[28:29]
	s_mov_b32 s28, 0xd7f4df2e
	s_mov_b32 s29, 0x3fc7474d
	v_mul_f64 v[160:161], v[144:145], v[146:147]
	v_cmp_eq_f64_e32 vcc_lo, 0x7ff00000, v[6:7]
	s_delay_alu instid0(VALU_DEP_3)
	v_fma_f64 v[150:151], v[146:147], v[150:151], s[28:29]
	s_mov_b32 s28, 0x16291751
	s_mov_b32 s29, 0x3fcc71c0
	s_delay_alu instid0(VALU_DEP_1) | instid1(SALU_CYCLE_1)
	v_fma_f64 v[150:151], v[146:147], v[150:151], s[28:29]
	s_mov_b32 s28, 0x9b27acf1
	s_mov_b32 s29, 0x3fd24924
	s_delay_alu instid0(VALU_DEP_1) | instid1(SALU_CYCLE_1)
	;; [unrolled: 4-line block ×3, first 2 shown]
	v_fma_f64 v[150:151], v[146:147], v[150:151], s[28:29]
	s_delay_alu instid0(VALU_DEP_1) | instskip(SKIP_2) | instid1(VALU_DEP_3)
	v_fma_f64 v[146:147], v[146:147], v[150:151], s[18:19]
	v_ldexp_f64 v[150:151], v[144:145], 1
	v_add_f64 v[144:145], v[144:145], -v[148:149]
	v_mul_f64 v[146:147], v[160:161], v[146:147]
	v_cvt_f64_i32_e32 v[160:161], v134
	s_delay_alu instid0(VALU_DEP_3) | instskip(NEXT) | instid1(VALU_DEP_3)
	v_add_f64 v[8:9], v[8:9], -v[144:145]
	v_add_f64 v[148:149], v[150:151], v[146:147]
	s_delay_alu instid0(VALU_DEP_3) | instskip(NEXT) | instid1(VALU_DEP_3)
	v_mul_f64 v[162:163], v[160:161], s[20:21]
	v_ldexp_f64 v[8:9], v[8:9], 1
	s_delay_alu instid0(VALU_DEP_3) | instskip(NEXT) | instid1(VALU_DEP_3)
	v_add_f64 v[144:145], v[148:149], -v[150:151]
	v_fma_f64 v[150:151], v[160:161], s[20:21], -v[162:163]
	s_delay_alu instid0(VALU_DEP_2) | instskip(NEXT) | instid1(VALU_DEP_2)
	v_add_f64 v[144:145], v[146:147], -v[144:145]
	v_fma_f64 v[146:147], v[160:161], s[24:25], v[150:151]
	s_delay_alu instid0(VALU_DEP_2) | instskip(NEXT) | instid1(VALU_DEP_2)
	v_add_f64 v[8:9], v[8:9], v[144:145]
	v_add_f64 v[144:145], v[162:163], v[146:147]
	s_delay_alu instid0(VALU_DEP_2) | instskip(NEXT) | instid1(VALU_DEP_2)
	v_add_f64 v[150:151], v[148:149], v[8:9]
	v_add_f64 v[162:163], v[144:145], -v[162:163]
	s_delay_alu instid0(VALU_DEP_2) | instskip(SKIP_1) | instid1(VALU_DEP_3)
	v_add_f64 v[160:161], v[144:145], v[150:151]
	v_add_f64 v[148:149], v[150:151], -v[148:149]
	v_add_f64 v[146:147], v[146:147], -v[162:163]
	s_delay_alu instid0(VALU_DEP_3) | instskip(NEXT) | instid1(VALU_DEP_3)
	v_add_f64 v[164:165], v[160:161], -v[144:145]
	v_add_f64 v[8:9], v[8:9], -v[148:149]
	s_delay_alu instid0(VALU_DEP_2) | instskip(SKIP_1) | instid1(VALU_DEP_3)
	v_add_f64 v[210:211], v[160:161], -v[164:165]
	v_add_f64 v[148:149], v[150:151], -v[164:165]
	v_add_f64 v[150:151], v[146:147], v[8:9]
	s_delay_alu instid0(VALU_DEP_3) | instskip(NEXT) | instid1(VALU_DEP_1)
	v_add_f64 v[144:145], v[144:145], -v[210:211]
	v_add_f64 v[144:145], v[148:149], v[144:145]
	s_delay_alu instid0(VALU_DEP_3) | instskip(NEXT) | instid1(VALU_DEP_2)
	v_add_f64 v[148:149], v[150:151], -v[146:147]
	v_add_f64 v[144:145], v[150:151], v[144:145]
	s_delay_alu instid0(VALU_DEP_2) | instskip(SKIP_1) | instid1(VALU_DEP_3)
	v_add_f64 v[150:151], v[150:151], -v[148:149]
	v_add_f64 v[8:9], v[8:9], -v[148:149]
	v_add_f64 v[162:163], v[160:161], v[144:145]
	s_delay_alu instid0(VALU_DEP_3) | instskip(NEXT) | instid1(VALU_DEP_2)
	v_add_f64 v[146:147], v[146:147], -v[150:151]
	v_add_f64 v[148:149], v[162:163], -v[160:161]
	s_delay_alu instid0(VALU_DEP_2) | instskip(NEXT) | instid1(VALU_DEP_2)
	v_add_f64 v[8:9], v[8:9], v[146:147]
	v_add_f64 v[144:145], v[144:145], -v[148:149]
	s_delay_alu instid0(VALU_DEP_1) | instskip(NEXT) | instid1(VALU_DEP_1)
	v_add_f64 v[8:9], v[8:9], v[144:145]
	v_add_f64 v[8:9], v[162:163], v[8:9]
	s_delay_alu instid0(VALU_DEP_1) | instskip(SKIP_1) | instid1(VALU_DEP_2)
	v_dual_cndmask_b32 v9, v9, v7 :: v_dual_cndmask_b32 v8, v8, v6
	v_cmp_ngt_f64_e32 vcc_lo, -1.0, v[6:7]
	v_cndmask_b32_e32 v9, 0x7ff80000, v9, vcc_lo
	v_cmp_nge_f64_e32 vcc_lo, -1.0, v[6:7]
	s_delay_alu instid0(VALU_DEP_4) | instskip(SKIP_1) | instid1(VALU_DEP_4)
	v_cndmask_b32_e32 v8, 0, v8, vcc_lo
	v_cmp_neq_f64_e32 vcc_lo, -1.0, v[6:7]
	v_cndmask_b32_e32 v9, 0xfff00000, v9, vcc_lo
	s_delay_alu instid0(VALU_DEP_1)
	v_add_f64 v[6:7], v[4:5], v[8:9]
.LBB8_63:
	s_or_b32 exec_lo, exec_lo, s27
	s_delay_alu instid0(VALU_DEP_1)
	v_dual_mov_b32 v4, v6 :: v_dual_mov_b32 v5, v7
	v_dual_mov_b32 v8, v6 :: v_dual_mov_b32 v9, v7
.LBB8_64:
	s_or_b32 exec_lo, exec_lo, s26
	s_delay_alu instid0(VALU_DEP_1) | instskip(NEXT) | instid1(VALU_DEP_2)
	v_mov_b32_dpp v6, v8 row_shr:8 row_mask:0xf bank_mask:0xf
	v_mov_b32_dpp v7, v9 row_shr:8 row_mask:0xf bank_mask:0xf
	s_mov_b32 s26, exec_lo
	v_cmpx_lt_u32_e32 7, v133
	s_cbranch_execz .LBB8_68
; %bb.65:
	s_delay_alu instid0(VALU_DEP_2) | instskip(SKIP_3) | instid1(VALU_DEP_3)
	v_max_f64 v[8:9], v[6:7], v[6:7]
	v_max_f64 v[133:134], v[4:5], v[4:5]
	v_cmp_u_f64_e32 vcc_lo, v[6:7], v[6:7]
	v_cmp_u_f64_e64 s18, v[4:5], v[4:5]
	v_min_f64 v[144:145], v[8:9], v[133:134]
	v_max_f64 v[8:9], v[8:9], v[133:134]
	s_delay_alu instid0(VALU_DEP_2) | instskip(NEXT) | instid1(VALU_DEP_2)
	v_dual_cndmask_b32 v133, v144, v6 :: v_dual_cndmask_b32 v134, v145, v7
	v_dual_cndmask_b32 v144, v9, v7 :: v_dual_cndmask_b32 v145, v8, v6
	s_delay_alu instid0(VALU_DEP_2) | instskip(NEXT) | instid1(VALU_DEP_3)
	v_cndmask_b32_e64 v8, v133, v4, s18
	v_cndmask_b32_e64 v9, v134, v5, s18
	s_delay_alu instid0(VALU_DEP_3) | instskip(NEXT) | instid1(VALU_DEP_4)
	v_cndmask_b32_e64 v5, v144, v5, s18
	v_cndmask_b32_e64 v4, v145, v4, s18
	s_delay_alu instid0(VALU_DEP_3) | instskip(NEXT) | instid1(VALU_DEP_2)
	v_cmp_class_f64_e64 s18, v[8:9], 0x1f8
	v_cmp_neq_f64_e32 vcc_lo, v[8:9], v[4:5]
	s_delay_alu instid0(VALU_DEP_2) | instskip(NEXT) | instid1(SALU_CYCLE_1)
	s_or_b32 s18, vcc_lo, s18
	s_and_saveexec_b32 s27, s18
	s_cbranch_execz .LBB8_67
; %bb.66:
	v_add_f64 v[6:7], v[8:9], -v[4:5]
	s_mov_b32 s18, 0x652b82fe
	s_mov_b32 s19, 0x3ff71547
	;; [unrolled: 1-line block ×8, first 2 shown]
	s_delay_alu instid0(VALU_DEP_1) | instskip(SKIP_3) | instid1(VALU_DEP_2)
	v_mul_f64 v[8:9], v[6:7], s[18:19]
	s_mov_b32 s18, 0xfca7ab0c
	s_mov_b32 s19, 0x3e928af3
	v_cmp_nlt_f64_e32 vcc_lo, 0x40900000, v[6:7]
	v_rndne_f64_e32 v[8:9], v[8:9]
	s_delay_alu instid0(VALU_DEP_1) | instskip(SKIP_2) | instid1(VALU_DEP_2)
	v_fma_f64 v[133:134], v[8:9], s[20:21], v[6:7]
	v_cvt_i32_f64_e32 v146, v[8:9]
	s_mov_b32 s21, 0x3fe62e42
	v_fma_f64 v[133:134], v[8:9], s[24:25], v[133:134]
	s_mov_b32 s25, 0x3c7abc9e
	s_delay_alu instid0(VALU_DEP_1) | instskip(SKIP_4) | instid1(VALU_DEP_1)
	v_fma_f64 v[144:145], v[133:134], s[28:29], s[18:19]
	s_mov_b32 s18, 0x623fde64
	s_mov_b32 s19, 0x3ec71dee
	s_mov_b32 s28, 0x6b47b09a
	s_mov_b32 s29, 0x3fc38538
	v_fma_f64 v[144:145], v[133:134], v[144:145], s[18:19]
	s_mov_b32 s18, 0x7c89e6b0
	s_mov_b32 s19, 0x3efa0199
	s_delay_alu instid0(VALU_DEP_1) | instid1(SALU_CYCLE_1)
	v_fma_f64 v[144:145], v[133:134], v[144:145], s[18:19]
	s_mov_b32 s18, 0x14761f6e
	s_mov_b32 s19, 0x3f2a01a0
	s_delay_alu instid0(VALU_DEP_1) | instid1(SALU_CYCLE_1)
	;; [unrolled: 4-line block ×7, first 2 shown]
	v_fma_f64 v[144:145], v[133:134], v[144:145], s[18:19]
	v_cmp_ngt_f64_e64 s18, 0xc090cc00, v[6:7]
	s_mov_b32 s19, 0x3fe55555
	s_delay_alu instid0(VALU_DEP_2) | instskip(NEXT) | instid1(VALU_DEP_1)
	v_fma_f64 v[144:145], v[133:134], v[144:145], 1.0
	v_fma_f64 v[8:9], v[133:134], v[144:145], 1.0
	s_delay_alu instid0(VALU_DEP_1) | instskip(NEXT) | instid1(VALU_DEP_1)
	v_ldexp_f64 v[8:9], v[8:9], v146
	v_cndmask_b32_e32 v9, 0x7ff00000, v9, vcc_lo
	s_and_b32 vcc_lo, s18, vcc_lo
	s_delay_alu instid0(VALU_DEP_1) | instskip(NEXT) | instid1(VALU_DEP_3)
	v_cndmask_b32_e64 v7, 0, v9, s18
	v_cndmask_b32_e32 v6, 0, v8, vcc_lo
	s_mov_b32 s18, 0x55555555
	s_delay_alu instid0(VALU_DEP_1) | instskip(NEXT) | instid1(VALU_DEP_1)
	v_add_f64 v[8:9], v[6:7], 1.0
	v_frexp_mant_f64_e32 v[133:134], v[8:9]
	v_frexp_exp_i32_f64_e32 v146, v[8:9]
	v_add_f64 v[144:145], v[8:9], -1.0
	s_delay_alu instid0(VALU_DEP_3) | instskip(SKIP_1) | instid1(VALU_DEP_2)
	v_cmp_gt_f64_e32 vcc_lo, s[18:19], v[133:134]
	s_mov_b32 s18, 0x55555780
	v_add_f64 v[133:134], v[144:145], -v[8:9]
	v_add_f64 v[144:145], v[6:7], -v[144:145]
	v_subrev_co_ci_u32_e32 v166, vcc_lo, 0, v146, vcc_lo
	s_delay_alu instid0(VALU_DEP_3) | instskip(SKIP_2) | instid1(VALU_DEP_2)
	v_add_f64 v[133:134], v[133:134], 1.0
	s_mov_b32 vcc_lo, 0xbf559e2b
	s_mov_b32 vcc_hi, 0x3fc3ab76
	v_sub_nc_u32_e32 v148, 0, v166
	s_delay_alu instid0(VALU_DEP_1) | instskip(NEXT) | instid1(VALU_DEP_3)
	v_ldexp_f64 v[8:9], v[8:9], v148
	v_add_f64 v[133:134], v[144:145], v[133:134]
	s_delay_alu instid0(VALU_DEP_2) | instskip(SKIP_1) | instid1(VALU_DEP_3)
	v_add_f64 v[146:147], v[8:9], 1.0
	v_add_f64 v[160:161], v[8:9], -1.0
	v_ldexp_f64 v[133:134], v[133:134], v148
	s_delay_alu instid0(VALU_DEP_3) | instskip(NEXT) | instid1(VALU_DEP_3)
	v_add_f64 v[144:145], v[146:147], -1.0
	v_add_f64 v[162:163], v[160:161], 1.0
	s_delay_alu instid0(VALU_DEP_2) | instskip(NEXT) | instid1(VALU_DEP_2)
	v_add_f64 v[144:145], v[8:9], -v[144:145]
	v_add_f64 v[8:9], v[8:9], -v[162:163]
	s_delay_alu instid0(VALU_DEP_2) | instskip(NEXT) | instid1(VALU_DEP_2)
	v_add_f64 v[144:145], v[133:134], v[144:145]
	v_add_f64 v[8:9], v[133:134], v[8:9]
	s_delay_alu instid0(VALU_DEP_2) | instskip(NEXT) | instid1(VALU_DEP_2)
	v_add_f64 v[148:149], v[146:147], v[144:145]
	v_add_f64 v[162:163], v[160:161], v[8:9]
	s_delay_alu instid0(VALU_DEP_2) | instskip(SKIP_1) | instid1(VALU_DEP_2)
	v_rcp_f64_e32 v[150:151], v[148:149]
	v_add_f64 v[146:147], v[148:149], -v[146:147]
	v_add_f64 v[160:161], v[162:163], -v[160:161]
	s_delay_alu instid0(VALU_DEP_2) | instskip(SKIP_3) | instid1(VALU_DEP_2)
	v_add_f64 v[144:145], v[144:145], -v[146:147]
	s_waitcnt_depctr 0xfff
	v_fma_f64 v[164:165], -v[148:149], v[150:151], 1.0
	v_add_f64 v[8:9], v[8:9], -v[160:161]
	v_fma_f64 v[150:151], v[164:165], v[150:151], v[150:151]
	s_delay_alu instid0(VALU_DEP_1) | instskip(NEXT) | instid1(VALU_DEP_1)
	v_fma_f64 v[133:134], -v[148:149], v[150:151], 1.0
	v_fma_f64 v[133:134], v[133:134], v[150:151], v[150:151]
	s_delay_alu instid0(VALU_DEP_1) | instskip(NEXT) | instid1(VALU_DEP_1)
	v_mul_f64 v[150:151], v[162:163], v[133:134]
	v_mul_f64 v[164:165], v[148:149], v[150:151]
	s_delay_alu instid0(VALU_DEP_1) | instskip(NEXT) | instid1(VALU_DEP_1)
	v_fma_f64 v[146:147], v[150:151], v[148:149], -v[164:165]
	v_fma_f64 v[146:147], v[150:151], v[144:145], v[146:147]
	s_delay_alu instid0(VALU_DEP_1) | instskip(NEXT) | instid1(VALU_DEP_1)
	v_add_f64 v[210:211], v[164:165], v[146:147]
	v_add_f64 v[212:213], v[162:163], -v[210:211]
	v_add_f64 v[160:161], v[210:211], -v[164:165]
	s_delay_alu instid0(VALU_DEP_2) | instskip(NEXT) | instid1(VALU_DEP_2)
	v_add_f64 v[162:163], v[162:163], -v[212:213]
	v_add_f64 v[146:147], v[160:161], -v[146:147]
	s_delay_alu instid0(VALU_DEP_2) | instskip(NEXT) | instid1(VALU_DEP_1)
	v_add_f64 v[162:163], v[162:163], -v[210:211]
	v_add_f64 v[8:9], v[8:9], v[162:163]
	s_delay_alu instid0(VALU_DEP_1) | instskip(NEXT) | instid1(VALU_DEP_1)
	v_add_f64 v[8:9], v[146:147], v[8:9]
	v_add_f64 v[146:147], v[212:213], v[8:9]
	s_delay_alu instid0(VALU_DEP_1) | instskip(SKIP_1) | instid1(VALU_DEP_2)
	v_mul_f64 v[160:161], v[133:134], v[146:147]
	v_add_f64 v[210:211], v[212:213], -v[146:147]
	v_mul_f64 v[162:163], v[148:149], v[160:161]
	s_delay_alu instid0(VALU_DEP_2) | instskip(NEXT) | instid1(VALU_DEP_2)
	v_add_f64 v[8:9], v[8:9], v[210:211]
	v_fma_f64 v[148:149], v[160:161], v[148:149], -v[162:163]
	s_delay_alu instid0(VALU_DEP_1) | instskip(NEXT) | instid1(VALU_DEP_1)
	v_fma_f64 v[144:145], v[160:161], v[144:145], v[148:149]
	v_add_f64 v[148:149], v[162:163], v[144:145]
	s_delay_alu instid0(VALU_DEP_1) | instskip(SKIP_1) | instid1(VALU_DEP_2)
	v_add_f64 v[164:165], v[146:147], -v[148:149]
	v_add_f64 v[162:163], v[148:149], -v[162:163]
	;; [unrolled: 1-line block ×3, first 2 shown]
	s_delay_alu instid0(VALU_DEP_2) | instskip(NEXT) | instid1(VALU_DEP_2)
	v_add_f64 v[144:145], v[162:163], -v[144:145]
	v_add_f64 v[146:147], v[146:147], -v[148:149]
	s_delay_alu instid0(VALU_DEP_1) | instskip(SKIP_1) | instid1(VALU_DEP_2)
	v_add_f64 v[8:9], v[8:9], v[146:147]
	v_add_f64 v[146:147], v[150:151], v[160:161]
	;; [unrolled: 1-line block ×3, first 2 shown]
	s_delay_alu instid0(VALU_DEP_2) | instskip(NEXT) | instid1(VALU_DEP_2)
	v_add_f64 v[144:145], v[146:147], -v[150:151]
	v_add_f64 v[8:9], v[164:165], v[8:9]
	s_delay_alu instid0(VALU_DEP_2) | instskip(NEXT) | instid1(VALU_DEP_2)
	v_add_f64 v[144:145], v[160:161], -v[144:145]
	v_mul_f64 v[8:9], v[133:134], v[8:9]
	s_delay_alu instid0(VALU_DEP_1) | instskip(NEXT) | instid1(VALU_DEP_1)
	v_add_f64 v[8:9], v[144:145], v[8:9]
	v_add_f64 v[133:134], v[146:147], v[8:9]
	s_delay_alu instid0(VALU_DEP_1) | instskip(NEXT) | instid1(VALU_DEP_1)
	v_mul_f64 v[144:145], v[133:134], v[133:134]
	v_fma_f64 v[148:149], v[144:145], vcc, s[28:29]
	s_mov_b32 s28, 0xd7f4df2e
	s_mov_b32 s29, 0x3fc7474d
	v_mul_f64 v[150:151], v[133:134], v[144:145]
	v_cmp_eq_f64_e32 vcc_lo, 0x7ff00000, v[6:7]
	s_delay_alu instid0(VALU_DEP_3)
	v_fma_f64 v[148:149], v[144:145], v[148:149], s[28:29]
	s_mov_b32 s28, 0x16291751
	s_mov_b32 s29, 0x3fcc71c0
	s_delay_alu instid0(VALU_DEP_1) | instid1(SALU_CYCLE_1)
	v_fma_f64 v[148:149], v[144:145], v[148:149], s[28:29]
	s_mov_b32 s28, 0x9b27acf1
	s_mov_b32 s29, 0x3fd24924
	s_delay_alu instid0(VALU_DEP_1) | instid1(SALU_CYCLE_1)
	v_fma_f64 v[148:149], v[144:145], v[148:149], s[28:29]
	s_mov_b32 s28, 0x998ef7b6
	s_mov_b32 s29, 0x3fd99999
	s_delay_alu instid0(VALU_DEP_1) | instid1(SALU_CYCLE_1)
	v_fma_f64 v[148:149], v[144:145], v[148:149], s[28:29]
	s_delay_alu instid0(VALU_DEP_1) | instskip(SKIP_2) | instid1(VALU_DEP_3)
	v_fma_f64 v[144:145], v[144:145], v[148:149], s[18:19]
	v_ldexp_f64 v[148:149], v[133:134], 1
	v_add_f64 v[133:134], v[133:134], -v[146:147]
	v_mul_f64 v[144:145], v[150:151], v[144:145]
	v_cvt_f64_i32_e32 v[150:151], v166
	s_delay_alu instid0(VALU_DEP_3) | instskip(NEXT) | instid1(VALU_DEP_3)
	v_add_f64 v[8:9], v[8:9], -v[133:134]
	v_add_f64 v[146:147], v[148:149], v[144:145]
	s_delay_alu instid0(VALU_DEP_3) | instskip(NEXT) | instid1(VALU_DEP_3)
	v_mul_f64 v[160:161], v[150:151], s[20:21]
	v_ldexp_f64 v[8:9], v[8:9], 1
	s_delay_alu instid0(VALU_DEP_3) | instskip(NEXT) | instid1(VALU_DEP_3)
	v_add_f64 v[133:134], v[146:147], -v[148:149]
	v_fma_f64 v[148:149], v[150:151], s[20:21], -v[160:161]
	s_delay_alu instid0(VALU_DEP_2) | instskip(NEXT) | instid1(VALU_DEP_2)
	v_add_f64 v[133:134], v[144:145], -v[133:134]
	v_fma_f64 v[144:145], v[150:151], s[24:25], v[148:149]
	s_delay_alu instid0(VALU_DEP_2) | instskip(NEXT) | instid1(VALU_DEP_2)
	v_add_f64 v[8:9], v[8:9], v[133:134]
	v_add_f64 v[133:134], v[160:161], v[144:145]
	s_delay_alu instid0(VALU_DEP_2) | instskip(NEXT) | instid1(VALU_DEP_2)
	v_add_f64 v[148:149], v[146:147], v[8:9]
	v_add_f64 v[160:161], v[133:134], -v[160:161]
	s_delay_alu instid0(VALU_DEP_2) | instskip(SKIP_1) | instid1(VALU_DEP_3)
	v_add_f64 v[150:151], v[133:134], v[148:149]
	v_add_f64 v[146:147], v[148:149], -v[146:147]
	v_add_f64 v[144:145], v[144:145], -v[160:161]
	s_delay_alu instid0(VALU_DEP_3) | instskip(NEXT) | instid1(VALU_DEP_3)
	v_add_f64 v[162:163], v[150:151], -v[133:134]
	v_add_f64 v[8:9], v[8:9], -v[146:147]
	s_delay_alu instid0(VALU_DEP_2) | instskip(SKIP_1) | instid1(VALU_DEP_3)
	v_add_f64 v[164:165], v[150:151], -v[162:163]
	v_add_f64 v[146:147], v[148:149], -v[162:163]
	v_add_f64 v[148:149], v[144:145], v[8:9]
	s_delay_alu instid0(VALU_DEP_3) | instskip(NEXT) | instid1(VALU_DEP_1)
	v_add_f64 v[133:134], v[133:134], -v[164:165]
	v_add_f64 v[133:134], v[146:147], v[133:134]
	s_delay_alu instid0(VALU_DEP_3) | instskip(NEXT) | instid1(VALU_DEP_2)
	v_add_f64 v[146:147], v[148:149], -v[144:145]
	v_add_f64 v[133:134], v[148:149], v[133:134]
	s_delay_alu instid0(VALU_DEP_2) | instskip(SKIP_1) | instid1(VALU_DEP_3)
	v_add_f64 v[148:149], v[148:149], -v[146:147]
	v_add_f64 v[8:9], v[8:9], -v[146:147]
	v_add_f64 v[160:161], v[150:151], v[133:134]
	s_delay_alu instid0(VALU_DEP_3) | instskip(NEXT) | instid1(VALU_DEP_2)
	v_add_f64 v[144:145], v[144:145], -v[148:149]
	v_add_f64 v[146:147], v[160:161], -v[150:151]
	s_delay_alu instid0(VALU_DEP_2) | instskip(NEXT) | instid1(VALU_DEP_2)
	v_add_f64 v[8:9], v[8:9], v[144:145]
	v_add_f64 v[133:134], v[133:134], -v[146:147]
	s_delay_alu instid0(VALU_DEP_1) | instskip(NEXT) | instid1(VALU_DEP_1)
	v_add_f64 v[8:9], v[8:9], v[133:134]
	v_add_f64 v[8:9], v[160:161], v[8:9]
	s_delay_alu instid0(VALU_DEP_1) | instskip(SKIP_1) | instid1(VALU_DEP_2)
	v_dual_cndmask_b32 v9, v9, v7 :: v_dual_cndmask_b32 v8, v8, v6
	v_cmp_ngt_f64_e32 vcc_lo, -1.0, v[6:7]
	v_cndmask_b32_e32 v9, 0x7ff80000, v9, vcc_lo
	v_cmp_nge_f64_e32 vcc_lo, -1.0, v[6:7]
	s_delay_alu instid0(VALU_DEP_4) | instskip(SKIP_1) | instid1(VALU_DEP_4)
	v_cndmask_b32_e32 v8, 0, v8, vcc_lo
	v_cmp_neq_f64_e32 vcc_lo, -1.0, v[6:7]
	v_cndmask_b32_e32 v9, 0xfff00000, v9, vcc_lo
	s_delay_alu instid0(VALU_DEP_1)
	v_add_f64 v[6:7], v[4:5], v[8:9]
.LBB8_67:
	s_or_b32 exec_lo, exec_lo, s27
	s_delay_alu instid0(VALU_DEP_1)
	v_dual_mov_b32 v8, v6 :: v_dual_mov_b32 v9, v7
	v_dual_mov_b32 v4, v6 :: v_dual_mov_b32 v5, v7
.LBB8_68:
	s_or_b32 exec_lo, exec_lo, s26
	ds_swizzle_b32 v6, v8 offset:swizzle(BROADCAST,32,15)
	ds_swizzle_b32 v7, v9 offset:swizzle(BROADCAST,32,15)
	v_and_b32_e32 v8, 16, v209
	s_mov_b32 s26, exec_lo
	s_delay_alu instid0(VALU_DEP_1)
	v_cmpx_ne_u32_e32 0, v8
	s_cbranch_execz .LBB8_72
; %bb.69:
	s_waitcnt lgkmcnt(0)
	v_max_f64 v[8:9], v[6:7], v[6:7]
	v_max_f64 v[133:134], v[4:5], v[4:5]
	v_cmp_u_f64_e32 vcc_lo, v[6:7], v[6:7]
	v_cmp_u_f64_e64 s18, v[4:5], v[4:5]
	s_delay_alu instid0(VALU_DEP_3) | instskip(SKIP_1) | instid1(VALU_DEP_2)
	v_min_f64 v[144:145], v[8:9], v[133:134]
	v_max_f64 v[8:9], v[8:9], v[133:134]
	v_dual_cndmask_b32 v133, v144, v6 :: v_dual_cndmask_b32 v134, v145, v7
	s_delay_alu instid0(VALU_DEP_2) | instskip(NEXT) | instid1(VALU_DEP_2)
	v_dual_cndmask_b32 v144, v9, v7 :: v_dual_cndmask_b32 v145, v8, v6
	v_cndmask_b32_e64 v8, v133, v4, s18
	s_delay_alu instid0(VALU_DEP_3) | instskip(NEXT) | instid1(VALU_DEP_3)
	v_cndmask_b32_e64 v9, v134, v5, s18
	v_cndmask_b32_e64 v5, v144, v5, s18
	s_delay_alu instid0(VALU_DEP_4) | instskip(NEXT) | instid1(VALU_DEP_3)
	v_cndmask_b32_e64 v4, v145, v4, s18
	v_cmp_class_f64_e64 s18, v[8:9], 0x1f8
	s_delay_alu instid0(VALU_DEP_2) | instskip(NEXT) | instid1(VALU_DEP_2)
	v_cmp_neq_f64_e32 vcc_lo, v[8:9], v[4:5]
	s_or_b32 s18, vcc_lo, s18
	s_delay_alu instid0(SALU_CYCLE_1)
	s_and_saveexec_b32 s27, s18
	s_cbranch_execz .LBB8_71
; %bb.70:
	v_add_f64 v[6:7], v[8:9], -v[4:5]
	s_mov_b32 s18, 0x652b82fe
	s_mov_b32 s19, 0x3ff71547
	;; [unrolled: 1-line block ×8, first 2 shown]
	s_delay_alu instid0(VALU_DEP_1) | instskip(SKIP_3) | instid1(VALU_DEP_2)
	v_mul_f64 v[8:9], v[6:7], s[18:19]
	s_mov_b32 s18, 0xfca7ab0c
	s_mov_b32 s19, 0x3e928af3
	v_cmp_nlt_f64_e32 vcc_lo, 0x40900000, v[6:7]
	v_rndne_f64_e32 v[8:9], v[8:9]
	s_delay_alu instid0(VALU_DEP_1) | instskip(SKIP_2) | instid1(VALU_DEP_2)
	v_fma_f64 v[133:134], v[8:9], s[20:21], v[6:7]
	v_cvt_i32_f64_e32 v146, v[8:9]
	s_mov_b32 s21, 0x3fe62e42
	v_fma_f64 v[133:134], v[8:9], s[24:25], v[133:134]
	s_mov_b32 s25, 0x3c7abc9e
	s_delay_alu instid0(VALU_DEP_1) | instskip(SKIP_4) | instid1(VALU_DEP_1)
	v_fma_f64 v[144:145], v[133:134], s[28:29], s[18:19]
	s_mov_b32 s18, 0x623fde64
	s_mov_b32 s19, 0x3ec71dee
	;; [unrolled: 1-line block ×4, first 2 shown]
	v_fma_f64 v[144:145], v[133:134], v[144:145], s[18:19]
	s_mov_b32 s18, 0x7c89e6b0
	s_mov_b32 s19, 0x3efa0199
	s_delay_alu instid0(VALU_DEP_1) | instid1(SALU_CYCLE_1)
	v_fma_f64 v[144:145], v[133:134], v[144:145], s[18:19]
	s_mov_b32 s18, 0x14761f6e
	s_mov_b32 s19, 0x3f2a01a0
	s_delay_alu instid0(VALU_DEP_1) | instid1(SALU_CYCLE_1)
	;; [unrolled: 4-line block ×7, first 2 shown]
	v_fma_f64 v[144:145], v[133:134], v[144:145], s[18:19]
	v_cmp_ngt_f64_e64 s18, 0xc090cc00, v[6:7]
	s_mov_b32 s19, 0x3fe55555
	s_delay_alu instid0(VALU_DEP_2) | instskip(NEXT) | instid1(VALU_DEP_1)
	v_fma_f64 v[144:145], v[133:134], v[144:145], 1.0
	v_fma_f64 v[8:9], v[133:134], v[144:145], 1.0
	s_delay_alu instid0(VALU_DEP_1) | instskip(NEXT) | instid1(VALU_DEP_1)
	v_ldexp_f64 v[8:9], v[8:9], v146
	v_cndmask_b32_e32 v9, 0x7ff00000, v9, vcc_lo
	s_and_b32 vcc_lo, s18, vcc_lo
	s_delay_alu instid0(VALU_DEP_1) | instskip(NEXT) | instid1(VALU_DEP_3)
	v_cndmask_b32_e64 v7, 0, v9, s18
	v_cndmask_b32_e32 v6, 0, v8, vcc_lo
	s_mov_b32 s18, 0x55555555
	s_delay_alu instid0(VALU_DEP_1) | instskip(NEXT) | instid1(VALU_DEP_1)
	v_add_f64 v[8:9], v[6:7], 1.0
	v_frexp_mant_f64_e32 v[133:134], v[8:9]
	v_frexp_exp_i32_f64_e32 v146, v[8:9]
	v_add_f64 v[144:145], v[8:9], -1.0
	s_delay_alu instid0(VALU_DEP_3) | instskip(SKIP_1) | instid1(VALU_DEP_2)
	v_cmp_gt_f64_e32 vcc_lo, s[18:19], v[133:134]
	s_mov_b32 s18, 0x55555780
	v_add_f64 v[133:134], v[144:145], -v[8:9]
	v_add_f64 v[144:145], v[6:7], -v[144:145]
	v_subrev_co_ci_u32_e32 v166, vcc_lo, 0, v146, vcc_lo
	s_delay_alu instid0(VALU_DEP_3) | instskip(SKIP_2) | instid1(VALU_DEP_2)
	v_add_f64 v[133:134], v[133:134], 1.0
	s_mov_b32 vcc_lo, 0xbf559e2b
	s_mov_b32 vcc_hi, 0x3fc3ab76
	v_sub_nc_u32_e32 v148, 0, v166
	s_delay_alu instid0(VALU_DEP_1) | instskip(NEXT) | instid1(VALU_DEP_3)
	v_ldexp_f64 v[8:9], v[8:9], v148
	v_add_f64 v[133:134], v[144:145], v[133:134]
	s_delay_alu instid0(VALU_DEP_2) | instskip(SKIP_1) | instid1(VALU_DEP_3)
	v_add_f64 v[146:147], v[8:9], 1.0
	v_add_f64 v[160:161], v[8:9], -1.0
	v_ldexp_f64 v[133:134], v[133:134], v148
	s_delay_alu instid0(VALU_DEP_3) | instskip(NEXT) | instid1(VALU_DEP_3)
	v_add_f64 v[144:145], v[146:147], -1.0
	v_add_f64 v[162:163], v[160:161], 1.0
	s_delay_alu instid0(VALU_DEP_2) | instskip(NEXT) | instid1(VALU_DEP_2)
	v_add_f64 v[144:145], v[8:9], -v[144:145]
	v_add_f64 v[8:9], v[8:9], -v[162:163]
	s_delay_alu instid0(VALU_DEP_2) | instskip(NEXT) | instid1(VALU_DEP_2)
	v_add_f64 v[144:145], v[133:134], v[144:145]
	v_add_f64 v[8:9], v[133:134], v[8:9]
	s_delay_alu instid0(VALU_DEP_2) | instskip(NEXT) | instid1(VALU_DEP_2)
	v_add_f64 v[148:149], v[146:147], v[144:145]
	v_add_f64 v[162:163], v[160:161], v[8:9]
	s_delay_alu instid0(VALU_DEP_2) | instskip(SKIP_1) | instid1(VALU_DEP_2)
	v_rcp_f64_e32 v[150:151], v[148:149]
	v_add_f64 v[146:147], v[148:149], -v[146:147]
	v_add_f64 v[160:161], v[162:163], -v[160:161]
	s_delay_alu instid0(VALU_DEP_2) | instskip(SKIP_3) | instid1(VALU_DEP_2)
	v_add_f64 v[144:145], v[144:145], -v[146:147]
	s_waitcnt_depctr 0xfff
	v_fma_f64 v[164:165], -v[148:149], v[150:151], 1.0
	v_add_f64 v[8:9], v[8:9], -v[160:161]
	v_fma_f64 v[150:151], v[164:165], v[150:151], v[150:151]
	s_delay_alu instid0(VALU_DEP_1) | instskip(NEXT) | instid1(VALU_DEP_1)
	v_fma_f64 v[133:134], -v[148:149], v[150:151], 1.0
	v_fma_f64 v[133:134], v[133:134], v[150:151], v[150:151]
	s_delay_alu instid0(VALU_DEP_1) | instskip(NEXT) | instid1(VALU_DEP_1)
	v_mul_f64 v[150:151], v[162:163], v[133:134]
	v_mul_f64 v[164:165], v[148:149], v[150:151]
	s_delay_alu instid0(VALU_DEP_1) | instskip(NEXT) | instid1(VALU_DEP_1)
	v_fma_f64 v[146:147], v[150:151], v[148:149], -v[164:165]
	v_fma_f64 v[146:147], v[150:151], v[144:145], v[146:147]
	s_delay_alu instid0(VALU_DEP_1) | instskip(NEXT) | instid1(VALU_DEP_1)
	v_add_f64 v[210:211], v[164:165], v[146:147]
	v_add_f64 v[212:213], v[162:163], -v[210:211]
	v_add_f64 v[160:161], v[210:211], -v[164:165]
	s_delay_alu instid0(VALU_DEP_2) | instskip(NEXT) | instid1(VALU_DEP_2)
	v_add_f64 v[162:163], v[162:163], -v[212:213]
	v_add_f64 v[146:147], v[160:161], -v[146:147]
	s_delay_alu instid0(VALU_DEP_2) | instskip(NEXT) | instid1(VALU_DEP_1)
	v_add_f64 v[162:163], v[162:163], -v[210:211]
	v_add_f64 v[8:9], v[8:9], v[162:163]
	s_delay_alu instid0(VALU_DEP_1) | instskip(NEXT) | instid1(VALU_DEP_1)
	v_add_f64 v[8:9], v[146:147], v[8:9]
	v_add_f64 v[146:147], v[212:213], v[8:9]
	s_delay_alu instid0(VALU_DEP_1) | instskip(SKIP_1) | instid1(VALU_DEP_2)
	v_mul_f64 v[160:161], v[133:134], v[146:147]
	v_add_f64 v[210:211], v[212:213], -v[146:147]
	v_mul_f64 v[162:163], v[148:149], v[160:161]
	s_delay_alu instid0(VALU_DEP_2) | instskip(NEXT) | instid1(VALU_DEP_2)
	v_add_f64 v[8:9], v[8:9], v[210:211]
	v_fma_f64 v[148:149], v[160:161], v[148:149], -v[162:163]
	s_delay_alu instid0(VALU_DEP_1) | instskip(NEXT) | instid1(VALU_DEP_1)
	v_fma_f64 v[144:145], v[160:161], v[144:145], v[148:149]
	v_add_f64 v[148:149], v[162:163], v[144:145]
	s_delay_alu instid0(VALU_DEP_1) | instskip(SKIP_1) | instid1(VALU_DEP_2)
	v_add_f64 v[164:165], v[146:147], -v[148:149]
	v_add_f64 v[162:163], v[148:149], -v[162:163]
	v_add_f64 v[146:147], v[146:147], -v[164:165]
	s_delay_alu instid0(VALU_DEP_2) | instskip(NEXT) | instid1(VALU_DEP_2)
	v_add_f64 v[144:145], v[162:163], -v[144:145]
	v_add_f64 v[146:147], v[146:147], -v[148:149]
	s_delay_alu instid0(VALU_DEP_1) | instskip(SKIP_1) | instid1(VALU_DEP_2)
	v_add_f64 v[8:9], v[8:9], v[146:147]
	v_add_f64 v[146:147], v[150:151], v[160:161]
	;; [unrolled: 1-line block ×3, first 2 shown]
	s_delay_alu instid0(VALU_DEP_2) | instskip(NEXT) | instid1(VALU_DEP_2)
	v_add_f64 v[144:145], v[146:147], -v[150:151]
	v_add_f64 v[8:9], v[164:165], v[8:9]
	s_delay_alu instid0(VALU_DEP_2) | instskip(NEXT) | instid1(VALU_DEP_2)
	v_add_f64 v[144:145], v[160:161], -v[144:145]
	v_mul_f64 v[8:9], v[133:134], v[8:9]
	s_delay_alu instid0(VALU_DEP_1) | instskip(NEXT) | instid1(VALU_DEP_1)
	v_add_f64 v[8:9], v[144:145], v[8:9]
	v_add_f64 v[133:134], v[146:147], v[8:9]
	s_delay_alu instid0(VALU_DEP_1) | instskip(NEXT) | instid1(VALU_DEP_1)
	v_mul_f64 v[144:145], v[133:134], v[133:134]
	v_fma_f64 v[148:149], v[144:145], vcc, s[28:29]
	s_mov_b32 s28, 0xd7f4df2e
	s_mov_b32 s29, 0x3fc7474d
	v_mul_f64 v[150:151], v[133:134], v[144:145]
	v_cmp_eq_f64_e32 vcc_lo, 0x7ff00000, v[6:7]
	s_delay_alu instid0(VALU_DEP_3)
	v_fma_f64 v[148:149], v[144:145], v[148:149], s[28:29]
	s_mov_b32 s28, 0x16291751
	s_mov_b32 s29, 0x3fcc71c0
	s_delay_alu instid0(VALU_DEP_1) | instid1(SALU_CYCLE_1)
	v_fma_f64 v[148:149], v[144:145], v[148:149], s[28:29]
	s_mov_b32 s28, 0x9b27acf1
	s_mov_b32 s29, 0x3fd24924
	s_delay_alu instid0(VALU_DEP_1) | instid1(SALU_CYCLE_1)
	;; [unrolled: 4-line block ×3, first 2 shown]
	v_fma_f64 v[148:149], v[144:145], v[148:149], s[28:29]
	s_delay_alu instid0(VALU_DEP_1) | instskip(SKIP_2) | instid1(VALU_DEP_3)
	v_fma_f64 v[144:145], v[144:145], v[148:149], s[18:19]
	v_ldexp_f64 v[148:149], v[133:134], 1
	v_add_f64 v[133:134], v[133:134], -v[146:147]
	v_mul_f64 v[144:145], v[150:151], v[144:145]
	v_cvt_f64_i32_e32 v[150:151], v166
	s_delay_alu instid0(VALU_DEP_3) | instskip(NEXT) | instid1(VALU_DEP_3)
	v_add_f64 v[8:9], v[8:9], -v[133:134]
	v_add_f64 v[146:147], v[148:149], v[144:145]
	s_delay_alu instid0(VALU_DEP_3) | instskip(NEXT) | instid1(VALU_DEP_3)
	v_mul_f64 v[160:161], v[150:151], s[20:21]
	v_ldexp_f64 v[8:9], v[8:9], 1
	s_delay_alu instid0(VALU_DEP_3) | instskip(NEXT) | instid1(VALU_DEP_3)
	v_add_f64 v[133:134], v[146:147], -v[148:149]
	v_fma_f64 v[148:149], v[150:151], s[20:21], -v[160:161]
	s_delay_alu instid0(VALU_DEP_2) | instskip(NEXT) | instid1(VALU_DEP_2)
	v_add_f64 v[133:134], v[144:145], -v[133:134]
	v_fma_f64 v[144:145], v[150:151], s[24:25], v[148:149]
	s_delay_alu instid0(VALU_DEP_2) | instskip(NEXT) | instid1(VALU_DEP_2)
	v_add_f64 v[8:9], v[8:9], v[133:134]
	v_add_f64 v[133:134], v[160:161], v[144:145]
	s_delay_alu instid0(VALU_DEP_2) | instskip(NEXT) | instid1(VALU_DEP_2)
	v_add_f64 v[148:149], v[146:147], v[8:9]
	v_add_f64 v[160:161], v[133:134], -v[160:161]
	s_delay_alu instid0(VALU_DEP_2) | instskip(SKIP_1) | instid1(VALU_DEP_3)
	v_add_f64 v[150:151], v[133:134], v[148:149]
	v_add_f64 v[146:147], v[148:149], -v[146:147]
	v_add_f64 v[144:145], v[144:145], -v[160:161]
	s_delay_alu instid0(VALU_DEP_3) | instskip(NEXT) | instid1(VALU_DEP_3)
	v_add_f64 v[162:163], v[150:151], -v[133:134]
	v_add_f64 v[8:9], v[8:9], -v[146:147]
	s_delay_alu instid0(VALU_DEP_2) | instskip(SKIP_1) | instid1(VALU_DEP_3)
	v_add_f64 v[164:165], v[150:151], -v[162:163]
	v_add_f64 v[146:147], v[148:149], -v[162:163]
	v_add_f64 v[148:149], v[144:145], v[8:9]
	s_delay_alu instid0(VALU_DEP_3) | instskip(NEXT) | instid1(VALU_DEP_1)
	v_add_f64 v[133:134], v[133:134], -v[164:165]
	v_add_f64 v[133:134], v[146:147], v[133:134]
	s_delay_alu instid0(VALU_DEP_3) | instskip(NEXT) | instid1(VALU_DEP_2)
	v_add_f64 v[146:147], v[148:149], -v[144:145]
	v_add_f64 v[133:134], v[148:149], v[133:134]
	s_delay_alu instid0(VALU_DEP_2) | instskip(SKIP_1) | instid1(VALU_DEP_3)
	v_add_f64 v[148:149], v[148:149], -v[146:147]
	v_add_f64 v[8:9], v[8:9], -v[146:147]
	v_add_f64 v[160:161], v[150:151], v[133:134]
	s_delay_alu instid0(VALU_DEP_3) | instskip(NEXT) | instid1(VALU_DEP_2)
	v_add_f64 v[144:145], v[144:145], -v[148:149]
	v_add_f64 v[146:147], v[160:161], -v[150:151]
	s_delay_alu instid0(VALU_DEP_2) | instskip(NEXT) | instid1(VALU_DEP_2)
	v_add_f64 v[8:9], v[8:9], v[144:145]
	v_add_f64 v[133:134], v[133:134], -v[146:147]
	s_delay_alu instid0(VALU_DEP_1) | instskip(NEXT) | instid1(VALU_DEP_1)
	v_add_f64 v[8:9], v[8:9], v[133:134]
	v_add_f64 v[8:9], v[160:161], v[8:9]
	s_delay_alu instid0(VALU_DEP_1) | instskip(SKIP_1) | instid1(VALU_DEP_2)
	v_dual_cndmask_b32 v9, v9, v7 :: v_dual_cndmask_b32 v8, v8, v6
	v_cmp_ngt_f64_e32 vcc_lo, -1.0, v[6:7]
	v_cndmask_b32_e32 v9, 0x7ff80000, v9, vcc_lo
	v_cmp_nge_f64_e32 vcc_lo, -1.0, v[6:7]
	s_delay_alu instid0(VALU_DEP_4) | instskip(SKIP_1) | instid1(VALU_DEP_4)
	v_cndmask_b32_e32 v8, 0, v8, vcc_lo
	v_cmp_neq_f64_e32 vcc_lo, -1.0, v[6:7]
	v_cndmask_b32_e32 v9, 0xfff00000, v9, vcc_lo
	s_delay_alu instid0(VALU_DEP_1)
	v_add_f64 v[6:7], v[4:5], v[8:9]
.LBB8_71:
	s_or_b32 exec_lo, exec_lo, s27
	s_delay_alu instid0(VALU_DEP_1)
	v_dual_mov_b32 v4, v6 :: v_dual_mov_b32 v5, v7
.LBB8_72:
	s_or_b32 exec_lo, exec_lo, s26
	s_waitcnt lgkmcnt(1)
	v_and_b32_e32 v6, 0x3e0, v128
	v_lshrrev_b32_e32 v144, 5, v128
	s_mov_b32 s18, exec_lo
	s_delay_alu instid0(VALU_DEP_2) | instskip(NEXT) | instid1(VALU_DEP_1)
	v_min_u32_e32 v6, 0xe0, v6
	v_or_b32_e32 v6, 31, v6
	s_delay_alu instid0(VALU_DEP_1)
	v_cmpx_eq_u32_e64 v6, v128
	s_cbranch_execz .LBB8_74
; %bb.73:
	v_lshlrev_b32_e32 v6, 3, v144
	ds_store_b64 v6, v[4:5]
.LBB8_74:
	s_or_b32 exec_lo, exec_lo, s18
	s_delay_alu instid0(SALU_CYCLE_1)
	s_mov_b32 s26, exec_lo
	s_waitcnt lgkmcnt(0)
	s_barrier
	buffer_gl0_inv
	v_cmpx_gt_u32_e32 8, v128
	s_cbranch_execz .LBB8_88
; %bb.75:
	ds_load_b64 v[6:7], v195
	v_and_b32_e32 v145, 7, v209
	s_mov_b32 s27, exec_lo
	s_waitcnt lgkmcnt(0)
	v_mov_b32_e32 v134, v7
	v_mov_b32_dpp v8, v6 row_shr:1 row_mask:0xf bank_mask:0xf
	v_mov_b32_dpp v9, v7 row_shr:1 row_mask:0xf bank_mask:0xf
	v_mov_b32_e32 v133, v6
	v_cmpx_ne_u32_e32 0, v145
	s_cbranch_execz .LBB8_79
; %bb.76:
	s_delay_alu instid0(VALU_DEP_3) | instskip(SKIP_3) | instid1(VALU_DEP_3)
	v_max_f64 v[133:134], v[8:9], v[8:9]
	v_max_f64 v[146:147], v[6:7], v[6:7]
	v_cmp_u_f64_e32 vcc_lo, v[8:9], v[8:9]
	v_cmp_u_f64_e64 s18, v[6:7], v[6:7]
	v_min_f64 v[148:149], v[133:134], v[146:147]
	v_max_f64 v[133:134], v[133:134], v[146:147]
	s_delay_alu instid0(VALU_DEP_2) | instskip(NEXT) | instid1(VALU_DEP_2)
	v_dual_cndmask_b32 v146, v148, v8 :: v_dual_cndmask_b32 v147, v149, v9
	v_dual_cndmask_b32 v148, v134, v9 :: v_dual_cndmask_b32 v149, v133, v8
	s_delay_alu instid0(VALU_DEP_2) | instskip(NEXT) | instid1(VALU_DEP_3)
	v_cndmask_b32_e64 v133, v146, v6, s18
	v_cndmask_b32_e64 v134, v147, v7, s18
	s_delay_alu instid0(VALU_DEP_3) | instskip(NEXT) | instid1(VALU_DEP_4)
	v_cndmask_b32_e64 v7, v148, v7, s18
	v_cndmask_b32_e64 v6, v149, v6, s18
	s_delay_alu instid0(VALU_DEP_3) | instskip(NEXT) | instid1(VALU_DEP_2)
	v_cmp_class_f64_e64 s18, v[133:134], 0x1f8
	v_cmp_neq_f64_e32 vcc_lo, v[133:134], v[6:7]
	s_delay_alu instid0(VALU_DEP_2) | instskip(NEXT) | instid1(SALU_CYCLE_1)
	s_or_b32 s18, vcc_lo, s18
	s_and_saveexec_b32 s28, s18
	s_cbranch_execz .LBB8_78
; %bb.77:
	v_add_f64 v[8:9], v[133:134], -v[6:7]
	s_mov_b32 s18, 0x652b82fe
	s_mov_b32 s19, 0x3ff71547
	;; [unrolled: 1-line block ×6, first 2 shown]
	s_mov_b32 vcc_lo, 0x6a5dcb37
	s_mov_b32 vcc_hi, 0x3e5ade15
	s_mov_b32 s30, 0xbf559e2b
	s_mov_b32 s31, 0x3fc3ab76
	s_delay_alu instid0(VALU_DEP_1) | instskip(SKIP_2) | instid1(VALU_DEP_1)
	v_mul_f64 v[133:134], v[8:9], s[18:19]
	s_mov_b32 s18, 0xfca7ab0c
	s_mov_b32 s19, 0x3e928af3
	v_rndne_f64_e32 v[133:134], v[133:134]
	s_delay_alu instid0(VALU_DEP_1) | instskip(SKIP_2) | instid1(VALU_DEP_2)
	v_fma_f64 v[146:147], v[133:134], s[20:21], v[8:9]
	v_cvt_i32_f64_e32 v150, v[133:134]
	s_mov_b32 s21, 0x3fe62e42
	v_fma_f64 v[146:147], v[133:134], s[24:25], v[146:147]
	s_mov_b32 s25, 0x3c7abc9e
	s_delay_alu instid0(VALU_DEP_1) | instskip(SKIP_3) | instid1(VALU_DEP_2)
	v_fma_f64 v[148:149], v[146:147], vcc, s[18:19]
	s_mov_b32 s18, 0x623fde64
	s_mov_b32 s19, 0x3ec71dee
	v_cmp_nlt_f64_e32 vcc_lo, 0x40900000, v[8:9]
	v_fma_f64 v[148:149], v[146:147], v[148:149], s[18:19]
	s_mov_b32 s18, 0x7c89e6b0
	s_mov_b32 s19, 0x3efa0199
	s_delay_alu instid0(VALU_DEP_1) | instid1(SALU_CYCLE_1)
	v_fma_f64 v[148:149], v[146:147], v[148:149], s[18:19]
	s_mov_b32 s18, 0x14761f6e
	s_mov_b32 s19, 0x3f2a01a0
	s_delay_alu instid0(VALU_DEP_1) | instid1(SALU_CYCLE_1)
	;; [unrolled: 4-line block ×7, first 2 shown]
	v_fma_f64 v[148:149], v[146:147], v[148:149], s[18:19]
	v_cmp_ngt_f64_e64 s18, 0xc090cc00, v[8:9]
	s_mov_b32 s19, 0x3fe55555
	s_delay_alu instid0(VALU_DEP_2) | instskip(NEXT) | instid1(VALU_DEP_1)
	v_fma_f64 v[148:149], v[146:147], v[148:149], 1.0
	v_fma_f64 v[133:134], v[146:147], v[148:149], 1.0
	s_delay_alu instid0(VALU_DEP_1) | instskip(NEXT) | instid1(VALU_DEP_1)
	v_ldexp_f64 v[133:134], v[133:134], v150
	v_cndmask_b32_e32 v134, 0x7ff00000, v134, vcc_lo
	s_and_b32 vcc_lo, s18, vcc_lo
	s_delay_alu instid0(VALU_DEP_2) | instskip(NEXT) | instid1(VALU_DEP_2)
	v_cndmask_b32_e32 v8, 0, v133, vcc_lo
	v_cndmask_b32_e64 v9, 0, v134, s18
	s_mov_b32 s18, 0x55555555
	s_delay_alu instid0(VALU_DEP_1) | instskip(NEXT) | instid1(VALU_DEP_1)
	v_add_f64 v[133:134], v[8:9], 1.0
	v_frexp_mant_f64_e32 v[146:147], v[133:134]
	v_frexp_exp_i32_f64_e32 v150, v[133:134]
	v_add_f64 v[148:149], v[133:134], -1.0
	s_delay_alu instid0(VALU_DEP_3) | instskip(SKIP_1) | instid1(VALU_DEP_2)
	v_cmp_gt_f64_e32 vcc_lo, s[18:19], v[146:147]
	s_mov_b32 s18, 0x55555780
	v_add_f64 v[146:147], v[148:149], -v[133:134]
	v_add_f64 v[148:149], v[8:9], -v[148:149]
	v_subrev_co_ci_u32_e32 v166, vcc_lo, 0, v150, vcc_lo
	s_delay_alu instid0(VALU_DEP_3) | instskip(SKIP_2) | instid1(VALU_DEP_2)
	v_add_f64 v[146:147], v[146:147], 1.0
	s_mov_b32 vcc_lo, 0x6b47b09a
	s_mov_b32 vcc_hi, 0x3fc38538
	v_sub_nc_u32_e32 v160, 0, v166
	s_delay_alu instid0(VALU_DEP_1) | instskip(NEXT) | instid1(VALU_DEP_3)
	v_ldexp_f64 v[133:134], v[133:134], v160
	v_add_f64 v[146:147], v[148:149], v[146:147]
	s_delay_alu instid0(VALU_DEP_2) | instskip(SKIP_1) | instid1(VALU_DEP_3)
	v_add_f64 v[150:151], v[133:134], 1.0
	v_add_f64 v[164:165], v[133:134], -1.0
	v_ldexp_f64 v[146:147], v[146:147], v160
	s_delay_alu instid0(VALU_DEP_3) | instskip(NEXT) | instid1(VALU_DEP_3)
	v_add_f64 v[148:149], v[150:151], -1.0
	v_add_f64 v[210:211], v[164:165], 1.0
	s_delay_alu instid0(VALU_DEP_2) | instskip(NEXT) | instid1(VALU_DEP_2)
	v_add_f64 v[148:149], v[133:134], -v[148:149]
	v_add_f64 v[133:134], v[133:134], -v[210:211]
	s_delay_alu instid0(VALU_DEP_2) | instskip(NEXT) | instid1(VALU_DEP_2)
	v_add_f64 v[148:149], v[146:147], v[148:149]
	v_add_f64 v[133:134], v[146:147], v[133:134]
	s_delay_alu instid0(VALU_DEP_2) | instskip(NEXT) | instid1(VALU_DEP_2)
	v_add_f64 v[160:161], v[150:151], v[148:149]
	v_add_f64 v[210:211], v[164:165], v[133:134]
	s_delay_alu instid0(VALU_DEP_2) | instskip(SKIP_1) | instid1(VALU_DEP_2)
	v_rcp_f64_e32 v[162:163], v[160:161]
	v_add_f64 v[150:151], v[160:161], -v[150:151]
	v_add_f64 v[164:165], v[210:211], -v[164:165]
	s_delay_alu instid0(VALU_DEP_2) | instskip(SKIP_3) | instid1(VALU_DEP_2)
	v_add_f64 v[148:149], v[148:149], -v[150:151]
	s_waitcnt_depctr 0xfff
	v_fma_f64 v[212:213], -v[160:161], v[162:163], 1.0
	v_add_f64 v[133:134], v[133:134], -v[164:165]
	v_fma_f64 v[162:163], v[212:213], v[162:163], v[162:163]
	s_delay_alu instid0(VALU_DEP_1) | instskip(NEXT) | instid1(VALU_DEP_1)
	v_fma_f64 v[146:147], -v[160:161], v[162:163], 1.0
	v_fma_f64 v[146:147], v[146:147], v[162:163], v[162:163]
	s_delay_alu instid0(VALU_DEP_1) | instskip(NEXT) | instid1(VALU_DEP_1)
	v_mul_f64 v[162:163], v[210:211], v[146:147]
	v_mul_f64 v[212:213], v[160:161], v[162:163]
	s_delay_alu instid0(VALU_DEP_1) | instskip(NEXT) | instid1(VALU_DEP_1)
	v_fma_f64 v[150:151], v[162:163], v[160:161], -v[212:213]
	v_fma_f64 v[150:151], v[162:163], v[148:149], v[150:151]
	s_delay_alu instid0(VALU_DEP_1) | instskip(NEXT) | instid1(VALU_DEP_1)
	v_add_f64 v[214:215], v[212:213], v[150:151]
	v_add_f64 v[224:225], v[210:211], -v[214:215]
	v_add_f64 v[164:165], v[214:215], -v[212:213]
	s_delay_alu instid0(VALU_DEP_2) | instskip(NEXT) | instid1(VALU_DEP_2)
	v_add_f64 v[210:211], v[210:211], -v[224:225]
	v_add_f64 v[150:151], v[164:165], -v[150:151]
	s_delay_alu instid0(VALU_DEP_2) | instskip(NEXT) | instid1(VALU_DEP_1)
	v_add_f64 v[210:211], v[210:211], -v[214:215]
	v_add_f64 v[133:134], v[133:134], v[210:211]
	s_delay_alu instid0(VALU_DEP_1) | instskip(NEXT) | instid1(VALU_DEP_1)
	v_add_f64 v[133:134], v[150:151], v[133:134]
	v_add_f64 v[150:151], v[224:225], v[133:134]
	s_delay_alu instid0(VALU_DEP_1) | instskip(SKIP_1) | instid1(VALU_DEP_2)
	v_mul_f64 v[164:165], v[146:147], v[150:151]
	v_add_f64 v[214:215], v[224:225], -v[150:151]
	v_mul_f64 v[210:211], v[160:161], v[164:165]
	s_delay_alu instid0(VALU_DEP_2) | instskip(NEXT) | instid1(VALU_DEP_2)
	v_add_f64 v[133:134], v[133:134], v[214:215]
	v_fma_f64 v[160:161], v[164:165], v[160:161], -v[210:211]
	s_delay_alu instid0(VALU_DEP_1) | instskip(NEXT) | instid1(VALU_DEP_1)
	v_fma_f64 v[148:149], v[164:165], v[148:149], v[160:161]
	v_add_f64 v[160:161], v[210:211], v[148:149]
	s_delay_alu instid0(VALU_DEP_1) | instskip(SKIP_1) | instid1(VALU_DEP_2)
	v_add_f64 v[212:213], v[150:151], -v[160:161]
	v_add_f64 v[210:211], v[160:161], -v[210:211]
	;; [unrolled: 1-line block ×3, first 2 shown]
	s_delay_alu instid0(VALU_DEP_2) | instskip(NEXT) | instid1(VALU_DEP_2)
	v_add_f64 v[148:149], v[210:211], -v[148:149]
	v_add_f64 v[150:151], v[150:151], -v[160:161]
	s_delay_alu instid0(VALU_DEP_1) | instskip(SKIP_1) | instid1(VALU_DEP_2)
	v_add_f64 v[133:134], v[133:134], v[150:151]
	v_add_f64 v[150:151], v[162:163], v[164:165]
	;; [unrolled: 1-line block ×3, first 2 shown]
	s_delay_alu instid0(VALU_DEP_2) | instskip(NEXT) | instid1(VALU_DEP_2)
	v_add_f64 v[148:149], v[150:151], -v[162:163]
	v_add_f64 v[133:134], v[212:213], v[133:134]
	s_delay_alu instid0(VALU_DEP_2) | instskip(NEXT) | instid1(VALU_DEP_2)
	v_add_f64 v[148:149], v[164:165], -v[148:149]
	v_mul_f64 v[133:134], v[146:147], v[133:134]
	s_delay_alu instid0(VALU_DEP_1) | instskip(NEXT) | instid1(VALU_DEP_1)
	v_add_f64 v[133:134], v[148:149], v[133:134]
	v_add_f64 v[146:147], v[150:151], v[133:134]
	s_delay_alu instid0(VALU_DEP_1) | instskip(NEXT) | instid1(VALU_DEP_1)
	v_mul_f64 v[148:149], v[146:147], v[146:147]
	v_fma_f64 v[160:161], v[148:149], s[30:31], vcc
	s_mov_b32 vcc_lo, 0xd7f4df2e
	s_mov_b32 vcc_hi, 0x3fc7474d
	v_mul_f64 v[162:163], v[146:147], v[148:149]
	s_delay_alu instid0(VALU_DEP_2)
	v_fma_f64 v[160:161], v[148:149], v[160:161], vcc
	s_mov_b32 vcc_lo, 0x16291751
	s_mov_b32 vcc_hi, 0x3fcc71c0
	s_delay_alu instid0(VALU_DEP_1) | instid1(SALU_CYCLE_1)
	v_fma_f64 v[160:161], v[148:149], v[160:161], vcc
	s_mov_b32 vcc_lo, 0x9b27acf1
	s_mov_b32 vcc_hi, 0x3fd24924
	s_delay_alu instid0(VALU_DEP_1) | instid1(SALU_CYCLE_1)
	;; [unrolled: 4-line block ×3, first 2 shown]
	v_fma_f64 v[160:161], v[148:149], v[160:161], vcc
	v_cmp_eq_f64_e32 vcc_lo, 0x7ff00000, v[8:9]
	s_delay_alu instid0(VALU_DEP_2) | instskip(SKIP_2) | instid1(VALU_DEP_3)
	v_fma_f64 v[148:149], v[148:149], v[160:161], s[18:19]
	v_ldexp_f64 v[160:161], v[146:147], 1
	v_add_f64 v[146:147], v[146:147], -v[150:151]
	v_mul_f64 v[148:149], v[162:163], v[148:149]
	v_cvt_f64_i32_e32 v[162:163], v166
	s_delay_alu instid0(VALU_DEP_3) | instskip(NEXT) | instid1(VALU_DEP_3)
	v_add_f64 v[133:134], v[133:134], -v[146:147]
	v_add_f64 v[150:151], v[160:161], v[148:149]
	s_delay_alu instid0(VALU_DEP_3) | instskip(NEXT) | instid1(VALU_DEP_3)
	v_mul_f64 v[164:165], v[162:163], s[20:21]
	v_ldexp_f64 v[133:134], v[133:134], 1
	s_delay_alu instid0(VALU_DEP_3) | instskip(NEXT) | instid1(VALU_DEP_3)
	v_add_f64 v[146:147], v[150:151], -v[160:161]
	v_fma_f64 v[160:161], v[162:163], s[20:21], -v[164:165]
	s_delay_alu instid0(VALU_DEP_2) | instskip(NEXT) | instid1(VALU_DEP_2)
	v_add_f64 v[146:147], v[148:149], -v[146:147]
	v_fma_f64 v[148:149], v[162:163], s[24:25], v[160:161]
	s_delay_alu instid0(VALU_DEP_2) | instskip(NEXT) | instid1(VALU_DEP_2)
	v_add_f64 v[133:134], v[133:134], v[146:147]
	v_add_f64 v[146:147], v[164:165], v[148:149]
	s_delay_alu instid0(VALU_DEP_2) | instskip(NEXT) | instid1(VALU_DEP_2)
	v_add_f64 v[160:161], v[150:151], v[133:134]
	v_add_f64 v[164:165], v[146:147], -v[164:165]
	s_delay_alu instid0(VALU_DEP_2) | instskip(SKIP_1) | instid1(VALU_DEP_3)
	v_add_f64 v[162:163], v[146:147], v[160:161]
	v_add_f64 v[150:151], v[160:161], -v[150:151]
	v_add_f64 v[148:149], v[148:149], -v[164:165]
	s_delay_alu instid0(VALU_DEP_3) | instskip(NEXT) | instid1(VALU_DEP_3)
	v_add_f64 v[210:211], v[162:163], -v[146:147]
	v_add_f64 v[133:134], v[133:134], -v[150:151]
	s_delay_alu instid0(VALU_DEP_2) | instskip(SKIP_1) | instid1(VALU_DEP_3)
	v_add_f64 v[212:213], v[162:163], -v[210:211]
	v_add_f64 v[150:151], v[160:161], -v[210:211]
	v_add_f64 v[160:161], v[148:149], v[133:134]
	s_delay_alu instid0(VALU_DEP_3) | instskip(NEXT) | instid1(VALU_DEP_1)
	v_add_f64 v[146:147], v[146:147], -v[212:213]
	v_add_f64 v[146:147], v[150:151], v[146:147]
	s_delay_alu instid0(VALU_DEP_3) | instskip(NEXT) | instid1(VALU_DEP_2)
	v_add_f64 v[150:151], v[160:161], -v[148:149]
	v_add_f64 v[146:147], v[160:161], v[146:147]
	s_delay_alu instid0(VALU_DEP_2) | instskip(SKIP_1) | instid1(VALU_DEP_3)
	v_add_f64 v[160:161], v[160:161], -v[150:151]
	v_add_f64 v[133:134], v[133:134], -v[150:151]
	v_add_f64 v[164:165], v[162:163], v[146:147]
	s_delay_alu instid0(VALU_DEP_3) | instskip(NEXT) | instid1(VALU_DEP_2)
	v_add_f64 v[148:149], v[148:149], -v[160:161]
	v_add_f64 v[150:151], v[164:165], -v[162:163]
	s_delay_alu instid0(VALU_DEP_2) | instskip(NEXT) | instid1(VALU_DEP_2)
	v_add_f64 v[133:134], v[133:134], v[148:149]
	v_add_f64 v[146:147], v[146:147], -v[150:151]
	s_delay_alu instid0(VALU_DEP_1) | instskip(NEXT) | instid1(VALU_DEP_1)
	v_add_f64 v[133:134], v[133:134], v[146:147]
	v_add_f64 v[133:134], v[164:165], v[133:134]
	s_delay_alu instid0(VALU_DEP_1) | instskip(SKIP_1) | instid1(VALU_DEP_2)
	v_dual_cndmask_b32 v133, v133, v8 :: v_dual_cndmask_b32 v134, v134, v9
	v_cmp_ngt_f64_e32 vcc_lo, -1.0, v[8:9]
	v_cndmask_b32_e32 v134, 0x7ff80000, v134, vcc_lo
	v_cmp_nge_f64_e32 vcc_lo, -1.0, v[8:9]
	s_delay_alu instid0(VALU_DEP_4) | instskip(SKIP_1) | instid1(VALU_DEP_4)
	v_cndmask_b32_e32 v133, 0, v133, vcc_lo
	v_cmp_neq_f64_e32 vcc_lo, -1.0, v[8:9]
	v_cndmask_b32_e32 v134, 0xfff00000, v134, vcc_lo
	s_delay_alu instid0(VALU_DEP_1)
	v_add_f64 v[8:9], v[6:7], v[133:134]
.LBB8_78:
	s_or_b32 exec_lo, exec_lo, s28
	s_delay_alu instid0(VALU_DEP_1)
	v_dual_mov_b32 v133, v8 :: v_dual_mov_b32 v134, v9
	v_dual_mov_b32 v6, v8 :: v_dual_mov_b32 v7, v9
.LBB8_79:
	s_or_b32 exec_lo, exec_lo, s27
	s_delay_alu instid0(VALU_DEP_2) | instskip(NEXT) | instid1(VALU_DEP_3)
	v_mov_b32_dpp v8, v133 row_shr:2 row_mask:0xf bank_mask:0xf
	v_mov_b32_dpp v9, v134 row_shr:2 row_mask:0xf bank_mask:0xf
	s_mov_b32 s27, exec_lo
	v_cmpx_lt_u32_e32 1, v145
	s_cbranch_execz .LBB8_83
; %bb.80:
	s_delay_alu instid0(VALU_DEP_2) | instskip(SKIP_3) | instid1(VALU_DEP_3)
	v_max_f64 v[133:134], v[8:9], v[8:9]
	v_max_f64 v[146:147], v[6:7], v[6:7]
	v_cmp_u_f64_e32 vcc_lo, v[8:9], v[8:9]
	v_cmp_u_f64_e64 s18, v[6:7], v[6:7]
	v_min_f64 v[148:149], v[133:134], v[146:147]
	v_max_f64 v[133:134], v[133:134], v[146:147]
	s_delay_alu instid0(VALU_DEP_2) | instskip(NEXT) | instid1(VALU_DEP_2)
	v_dual_cndmask_b32 v146, v148, v8 :: v_dual_cndmask_b32 v147, v149, v9
	v_dual_cndmask_b32 v148, v134, v9 :: v_dual_cndmask_b32 v149, v133, v8
	s_delay_alu instid0(VALU_DEP_2) | instskip(NEXT) | instid1(VALU_DEP_3)
	v_cndmask_b32_e64 v133, v146, v6, s18
	v_cndmask_b32_e64 v134, v147, v7, s18
	s_delay_alu instid0(VALU_DEP_3) | instskip(NEXT) | instid1(VALU_DEP_4)
	v_cndmask_b32_e64 v7, v148, v7, s18
	v_cndmask_b32_e64 v6, v149, v6, s18
	s_delay_alu instid0(VALU_DEP_3) | instskip(NEXT) | instid1(VALU_DEP_2)
	v_cmp_class_f64_e64 s18, v[133:134], 0x1f8
	v_cmp_neq_f64_e32 vcc_lo, v[133:134], v[6:7]
	s_delay_alu instid0(VALU_DEP_2) | instskip(NEXT) | instid1(SALU_CYCLE_1)
	s_or_b32 s18, vcc_lo, s18
	s_and_saveexec_b32 s28, s18
	s_cbranch_execz .LBB8_82
; %bb.81:
	v_add_f64 v[8:9], v[133:134], -v[6:7]
	s_mov_b32 s18, 0x652b82fe
	s_mov_b32 s19, 0x3ff71547
	;; [unrolled: 1-line block ×6, first 2 shown]
	s_mov_b32 vcc_lo, 0x6a5dcb37
	s_mov_b32 vcc_hi, 0x3e5ade15
	s_mov_b32 s30, 0xbf559e2b
	s_mov_b32 s31, 0x3fc3ab76
	s_delay_alu instid0(VALU_DEP_1) | instskip(SKIP_2) | instid1(VALU_DEP_1)
	v_mul_f64 v[133:134], v[8:9], s[18:19]
	s_mov_b32 s18, 0xfca7ab0c
	s_mov_b32 s19, 0x3e928af3
	v_rndne_f64_e32 v[133:134], v[133:134]
	s_delay_alu instid0(VALU_DEP_1) | instskip(SKIP_2) | instid1(VALU_DEP_2)
	v_fma_f64 v[146:147], v[133:134], s[20:21], v[8:9]
	v_cvt_i32_f64_e32 v150, v[133:134]
	s_mov_b32 s21, 0x3fe62e42
	v_fma_f64 v[146:147], v[133:134], s[24:25], v[146:147]
	s_mov_b32 s25, 0x3c7abc9e
	s_delay_alu instid0(VALU_DEP_1) | instskip(SKIP_3) | instid1(VALU_DEP_2)
	v_fma_f64 v[148:149], v[146:147], vcc, s[18:19]
	s_mov_b32 s18, 0x623fde64
	s_mov_b32 s19, 0x3ec71dee
	v_cmp_nlt_f64_e32 vcc_lo, 0x40900000, v[8:9]
	v_fma_f64 v[148:149], v[146:147], v[148:149], s[18:19]
	s_mov_b32 s18, 0x7c89e6b0
	s_mov_b32 s19, 0x3efa0199
	s_delay_alu instid0(VALU_DEP_1) | instid1(SALU_CYCLE_1)
	v_fma_f64 v[148:149], v[146:147], v[148:149], s[18:19]
	s_mov_b32 s18, 0x14761f6e
	s_mov_b32 s19, 0x3f2a01a0
	s_delay_alu instid0(VALU_DEP_1) | instid1(SALU_CYCLE_1)
	;; [unrolled: 4-line block ×7, first 2 shown]
	v_fma_f64 v[148:149], v[146:147], v[148:149], s[18:19]
	v_cmp_ngt_f64_e64 s18, 0xc090cc00, v[8:9]
	s_mov_b32 s19, 0x3fe55555
	s_delay_alu instid0(VALU_DEP_2) | instskip(NEXT) | instid1(VALU_DEP_1)
	v_fma_f64 v[148:149], v[146:147], v[148:149], 1.0
	v_fma_f64 v[133:134], v[146:147], v[148:149], 1.0
	s_delay_alu instid0(VALU_DEP_1) | instskip(NEXT) | instid1(VALU_DEP_1)
	v_ldexp_f64 v[133:134], v[133:134], v150
	v_cndmask_b32_e32 v134, 0x7ff00000, v134, vcc_lo
	s_and_b32 vcc_lo, s18, vcc_lo
	s_delay_alu instid0(VALU_DEP_2) | instskip(NEXT) | instid1(VALU_DEP_2)
	v_cndmask_b32_e32 v8, 0, v133, vcc_lo
	v_cndmask_b32_e64 v9, 0, v134, s18
	s_mov_b32 s18, 0x55555555
	s_delay_alu instid0(VALU_DEP_1) | instskip(NEXT) | instid1(VALU_DEP_1)
	v_add_f64 v[133:134], v[8:9], 1.0
	v_frexp_mant_f64_e32 v[146:147], v[133:134]
	v_frexp_exp_i32_f64_e32 v150, v[133:134]
	v_add_f64 v[148:149], v[133:134], -1.0
	s_delay_alu instid0(VALU_DEP_3) | instskip(SKIP_1) | instid1(VALU_DEP_2)
	v_cmp_gt_f64_e32 vcc_lo, s[18:19], v[146:147]
	s_mov_b32 s18, 0x55555780
	v_add_f64 v[146:147], v[148:149], -v[133:134]
	v_add_f64 v[148:149], v[8:9], -v[148:149]
	v_subrev_co_ci_u32_e32 v166, vcc_lo, 0, v150, vcc_lo
	s_delay_alu instid0(VALU_DEP_3) | instskip(SKIP_2) | instid1(VALU_DEP_2)
	v_add_f64 v[146:147], v[146:147], 1.0
	s_mov_b32 vcc_lo, 0x6b47b09a
	s_mov_b32 vcc_hi, 0x3fc38538
	v_sub_nc_u32_e32 v160, 0, v166
	s_delay_alu instid0(VALU_DEP_1) | instskip(NEXT) | instid1(VALU_DEP_3)
	v_ldexp_f64 v[133:134], v[133:134], v160
	v_add_f64 v[146:147], v[148:149], v[146:147]
	s_delay_alu instid0(VALU_DEP_2) | instskip(SKIP_1) | instid1(VALU_DEP_3)
	v_add_f64 v[150:151], v[133:134], 1.0
	v_add_f64 v[164:165], v[133:134], -1.0
	v_ldexp_f64 v[146:147], v[146:147], v160
	s_delay_alu instid0(VALU_DEP_3) | instskip(NEXT) | instid1(VALU_DEP_3)
	v_add_f64 v[148:149], v[150:151], -1.0
	v_add_f64 v[210:211], v[164:165], 1.0
	s_delay_alu instid0(VALU_DEP_2) | instskip(NEXT) | instid1(VALU_DEP_2)
	v_add_f64 v[148:149], v[133:134], -v[148:149]
	v_add_f64 v[133:134], v[133:134], -v[210:211]
	s_delay_alu instid0(VALU_DEP_2) | instskip(NEXT) | instid1(VALU_DEP_2)
	v_add_f64 v[148:149], v[146:147], v[148:149]
	v_add_f64 v[133:134], v[146:147], v[133:134]
	s_delay_alu instid0(VALU_DEP_2) | instskip(NEXT) | instid1(VALU_DEP_2)
	v_add_f64 v[160:161], v[150:151], v[148:149]
	v_add_f64 v[210:211], v[164:165], v[133:134]
	s_delay_alu instid0(VALU_DEP_2) | instskip(SKIP_1) | instid1(VALU_DEP_2)
	v_rcp_f64_e32 v[162:163], v[160:161]
	v_add_f64 v[150:151], v[160:161], -v[150:151]
	v_add_f64 v[164:165], v[210:211], -v[164:165]
	s_delay_alu instid0(VALU_DEP_2) | instskip(SKIP_3) | instid1(VALU_DEP_2)
	v_add_f64 v[148:149], v[148:149], -v[150:151]
	s_waitcnt_depctr 0xfff
	v_fma_f64 v[212:213], -v[160:161], v[162:163], 1.0
	v_add_f64 v[133:134], v[133:134], -v[164:165]
	v_fma_f64 v[162:163], v[212:213], v[162:163], v[162:163]
	s_delay_alu instid0(VALU_DEP_1) | instskip(NEXT) | instid1(VALU_DEP_1)
	v_fma_f64 v[146:147], -v[160:161], v[162:163], 1.0
	v_fma_f64 v[146:147], v[146:147], v[162:163], v[162:163]
	s_delay_alu instid0(VALU_DEP_1) | instskip(NEXT) | instid1(VALU_DEP_1)
	v_mul_f64 v[162:163], v[210:211], v[146:147]
	v_mul_f64 v[212:213], v[160:161], v[162:163]
	s_delay_alu instid0(VALU_DEP_1) | instskip(NEXT) | instid1(VALU_DEP_1)
	v_fma_f64 v[150:151], v[162:163], v[160:161], -v[212:213]
	v_fma_f64 v[150:151], v[162:163], v[148:149], v[150:151]
	s_delay_alu instid0(VALU_DEP_1) | instskip(NEXT) | instid1(VALU_DEP_1)
	v_add_f64 v[214:215], v[212:213], v[150:151]
	v_add_f64 v[224:225], v[210:211], -v[214:215]
	v_add_f64 v[164:165], v[214:215], -v[212:213]
	s_delay_alu instid0(VALU_DEP_2) | instskip(NEXT) | instid1(VALU_DEP_2)
	v_add_f64 v[210:211], v[210:211], -v[224:225]
	v_add_f64 v[150:151], v[164:165], -v[150:151]
	s_delay_alu instid0(VALU_DEP_2) | instskip(NEXT) | instid1(VALU_DEP_1)
	v_add_f64 v[210:211], v[210:211], -v[214:215]
	v_add_f64 v[133:134], v[133:134], v[210:211]
	s_delay_alu instid0(VALU_DEP_1) | instskip(NEXT) | instid1(VALU_DEP_1)
	v_add_f64 v[133:134], v[150:151], v[133:134]
	v_add_f64 v[150:151], v[224:225], v[133:134]
	s_delay_alu instid0(VALU_DEP_1) | instskip(SKIP_1) | instid1(VALU_DEP_2)
	v_mul_f64 v[164:165], v[146:147], v[150:151]
	v_add_f64 v[214:215], v[224:225], -v[150:151]
	v_mul_f64 v[210:211], v[160:161], v[164:165]
	s_delay_alu instid0(VALU_DEP_2) | instskip(NEXT) | instid1(VALU_DEP_2)
	v_add_f64 v[133:134], v[133:134], v[214:215]
	v_fma_f64 v[160:161], v[164:165], v[160:161], -v[210:211]
	s_delay_alu instid0(VALU_DEP_1) | instskip(NEXT) | instid1(VALU_DEP_1)
	v_fma_f64 v[148:149], v[164:165], v[148:149], v[160:161]
	v_add_f64 v[160:161], v[210:211], v[148:149]
	s_delay_alu instid0(VALU_DEP_1) | instskip(SKIP_1) | instid1(VALU_DEP_2)
	v_add_f64 v[212:213], v[150:151], -v[160:161]
	v_add_f64 v[210:211], v[160:161], -v[210:211]
	;; [unrolled: 1-line block ×3, first 2 shown]
	s_delay_alu instid0(VALU_DEP_2) | instskip(NEXT) | instid1(VALU_DEP_2)
	v_add_f64 v[148:149], v[210:211], -v[148:149]
	v_add_f64 v[150:151], v[150:151], -v[160:161]
	s_delay_alu instid0(VALU_DEP_1) | instskip(SKIP_1) | instid1(VALU_DEP_2)
	v_add_f64 v[133:134], v[133:134], v[150:151]
	v_add_f64 v[150:151], v[162:163], v[164:165]
	;; [unrolled: 1-line block ×3, first 2 shown]
	s_delay_alu instid0(VALU_DEP_2) | instskip(NEXT) | instid1(VALU_DEP_2)
	v_add_f64 v[148:149], v[150:151], -v[162:163]
	v_add_f64 v[133:134], v[212:213], v[133:134]
	s_delay_alu instid0(VALU_DEP_2) | instskip(NEXT) | instid1(VALU_DEP_2)
	v_add_f64 v[148:149], v[164:165], -v[148:149]
	v_mul_f64 v[133:134], v[146:147], v[133:134]
	s_delay_alu instid0(VALU_DEP_1) | instskip(NEXT) | instid1(VALU_DEP_1)
	v_add_f64 v[133:134], v[148:149], v[133:134]
	v_add_f64 v[146:147], v[150:151], v[133:134]
	s_delay_alu instid0(VALU_DEP_1) | instskip(NEXT) | instid1(VALU_DEP_1)
	v_mul_f64 v[148:149], v[146:147], v[146:147]
	v_fma_f64 v[160:161], v[148:149], s[30:31], vcc
	s_mov_b32 vcc_lo, 0xd7f4df2e
	s_mov_b32 vcc_hi, 0x3fc7474d
	v_mul_f64 v[162:163], v[146:147], v[148:149]
	s_delay_alu instid0(VALU_DEP_2)
	v_fma_f64 v[160:161], v[148:149], v[160:161], vcc
	s_mov_b32 vcc_lo, 0x16291751
	s_mov_b32 vcc_hi, 0x3fcc71c0
	s_delay_alu instid0(VALU_DEP_1) | instid1(SALU_CYCLE_1)
	v_fma_f64 v[160:161], v[148:149], v[160:161], vcc
	s_mov_b32 vcc_lo, 0x9b27acf1
	s_mov_b32 vcc_hi, 0x3fd24924
	s_delay_alu instid0(VALU_DEP_1) | instid1(SALU_CYCLE_1)
	;; [unrolled: 4-line block ×3, first 2 shown]
	v_fma_f64 v[160:161], v[148:149], v[160:161], vcc
	v_cmp_eq_f64_e32 vcc_lo, 0x7ff00000, v[8:9]
	s_delay_alu instid0(VALU_DEP_2) | instskip(SKIP_2) | instid1(VALU_DEP_3)
	v_fma_f64 v[148:149], v[148:149], v[160:161], s[18:19]
	v_ldexp_f64 v[160:161], v[146:147], 1
	v_add_f64 v[146:147], v[146:147], -v[150:151]
	v_mul_f64 v[148:149], v[162:163], v[148:149]
	v_cvt_f64_i32_e32 v[162:163], v166
	s_delay_alu instid0(VALU_DEP_3) | instskip(NEXT) | instid1(VALU_DEP_3)
	v_add_f64 v[133:134], v[133:134], -v[146:147]
	v_add_f64 v[150:151], v[160:161], v[148:149]
	s_delay_alu instid0(VALU_DEP_3) | instskip(NEXT) | instid1(VALU_DEP_3)
	v_mul_f64 v[164:165], v[162:163], s[20:21]
	v_ldexp_f64 v[133:134], v[133:134], 1
	s_delay_alu instid0(VALU_DEP_3) | instskip(NEXT) | instid1(VALU_DEP_3)
	v_add_f64 v[146:147], v[150:151], -v[160:161]
	v_fma_f64 v[160:161], v[162:163], s[20:21], -v[164:165]
	s_delay_alu instid0(VALU_DEP_2) | instskip(NEXT) | instid1(VALU_DEP_2)
	v_add_f64 v[146:147], v[148:149], -v[146:147]
	v_fma_f64 v[148:149], v[162:163], s[24:25], v[160:161]
	s_delay_alu instid0(VALU_DEP_2) | instskip(NEXT) | instid1(VALU_DEP_2)
	v_add_f64 v[133:134], v[133:134], v[146:147]
	v_add_f64 v[146:147], v[164:165], v[148:149]
	s_delay_alu instid0(VALU_DEP_2) | instskip(NEXT) | instid1(VALU_DEP_2)
	v_add_f64 v[160:161], v[150:151], v[133:134]
	v_add_f64 v[164:165], v[146:147], -v[164:165]
	s_delay_alu instid0(VALU_DEP_2) | instskip(SKIP_1) | instid1(VALU_DEP_3)
	v_add_f64 v[162:163], v[146:147], v[160:161]
	v_add_f64 v[150:151], v[160:161], -v[150:151]
	v_add_f64 v[148:149], v[148:149], -v[164:165]
	s_delay_alu instid0(VALU_DEP_3) | instskip(NEXT) | instid1(VALU_DEP_3)
	v_add_f64 v[210:211], v[162:163], -v[146:147]
	v_add_f64 v[133:134], v[133:134], -v[150:151]
	s_delay_alu instid0(VALU_DEP_2) | instskip(SKIP_1) | instid1(VALU_DEP_3)
	v_add_f64 v[212:213], v[162:163], -v[210:211]
	v_add_f64 v[150:151], v[160:161], -v[210:211]
	v_add_f64 v[160:161], v[148:149], v[133:134]
	s_delay_alu instid0(VALU_DEP_3) | instskip(NEXT) | instid1(VALU_DEP_1)
	v_add_f64 v[146:147], v[146:147], -v[212:213]
	v_add_f64 v[146:147], v[150:151], v[146:147]
	s_delay_alu instid0(VALU_DEP_3) | instskip(NEXT) | instid1(VALU_DEP_2)
	v_add_f64 v[150:151], v[160:161], -v[148:149]
	v_add_f64 v[146:147], v[160:161], v[146:147]
	s_delay_alu instid0(VALU_DEP_2) | instskip(SKIP_1) | instid1(VALU_DEP_3)
	v_add_f64 v[160:161], v[160:161], -v[150:151]
	v_add_f64 v[133:134], v[133:134], -v[150:151]
	v_add_f64 v[164:165], v[162:163], v[146:147]
	s_delay_alu instid0(VALU_DEP_3) | instskip(NEXT) | instid1(VALU_DEP_2)
	v_add_f64 v[148:149], v[148:149], -v[160:161]
	v_add_f64 v[150:151], v[164:165], -v[162:163]
	s_delay_alu instid0(VALU_DEP_2) | instskip(NEXT) | instid1(VALU_DEP_2)
	v_add_f64 v[133:134], v[133:134], v[148:149]
	v_add_f64 v[146:147], v[146:147], -v[150:151]
	s_delay_alu instid0(VALU_DEP_1) | instskip(NEXT) | instid1(VALU_DEP_1)
	v_add_f64 v[133:134], v[133:134], v[146:147]
	v_add_f64 v[133:134], v[164:165], v[133:134]
	s_delay_alu instid0(VALU_DEP_1) | instskip(SKIP_1) | instid1(VALU_DEP_2)
	v_dual_cndmask_b32 v133, v133, v8 :: v_dual_cndmask_b32 v134, v134, v9
	v_cmp_ngt_f64_e32 vcc_lo, -1.0, v[8:9]
	v_cndmask_b32_e32 v134, 0x7ff80000, v134, vcc_lo
	v_cmp_nge_f64_e32 vcc_lo, -1.0, v[8:9]
	s_delay_alu instid0(VALU_DEP_4) | instskip(SKIP_1) | instid1(VALU_DEP_4)
	v_cndmask_b32_e32 v133, 0, v133, vcc_lo
	v_cmp_neq_f64_e32 vcc_lo, -1.0, v[8:9]
	v_cndmask_b32_e32 v134, 0xfff00000, v134, vcc_lo
	s_delay_alu instid0(VALU_DEP_1)
	v_add_f64 v[8:9], v[6:7], v[133:134]
.LBB8_82:
	s_or_b32 exec_lo, exec_lo, s28
	s_delay_alu instid0(VALU_DEP_1)
	v_dual_mov_b32 v133, v8 :: v_dual_mov_b32 v134, v9
	v_dual_mov_b32 v6, v8 :: v_dual_mov_b32 v7, v9
.LBB8_83:
	s_or_b32 exec_lo, exec_lo, s27
	s_delay_alu instid0(VALU_DEP_2) | instskip(NEXT) | instid1(VALU_DEP_3)
	v_mov_b32_dpp v8, v133 row_shr:4 row_mask:0xf bank_mask:0xf
	v_mov_b32_dpp v9, v134 row_shr:4 row_mask:0xf bank_mask:0xf
	s_mov_b32 s27, exec_lo
	v_cmpx_lt_u32_e32 3, v145
	s_cbranch_execz .LBB8_87
; %bb.84:
	s_delay_alu instid0(VALU_DEP_2) | instskip(SKIP_3) | instid1(VALU_DEP_3)
	v_max_f64 v[133:134], v[8:9], v[8:9]
	v_max_f64 v[145:146], v[6:7], v[6:7]
	v_cmp_u_f64_e32 vcc_lo, v[8:9], v[8:9]
	v_cmp_u_f64_e64 s18, v[6:7], v[6:7]
	v_min_f64 v[147:148], v[133:134], v[145:146]
	v_max_f64 v[133:134], v[133:134], v[145:146]
	s_delay_alu instid0(VALU_DEP_2) | instskip(NEXT) | instid1(VALU_DEP_2)
	v_dual_cndmask_b32 v145, v147, v8 :: v_dual_cndmask_b32 v146, v148, v9
	v_dual_cndmask_b32 v147, v134, v9 :: v_dual_cndmask_b32 v148, v133, v8
	s_delay_alu instid0(VALU_DEP_2) | instskip(NEXT) | instid1(VALU_DEP_3)
	v_cndmask_b32_e64 v133, v145, v6, s18
	v_cndmask_b32_e64 v134, v146, v7, s18
	s_delay_alu instid0(VALU_DEP_3) | instskip(NEXT) | instid1(VALU_DEP_4)
	v_cndmask_b32_e64 v7, v147, v7, s18
	v_cndmask_b32_e64 v6, v148, v6, s18
	s_delay_alu instid0(VALU_DEP_3) | instskip(NEXT) | instid1(VALU_DEP_2)
	v_cmp_class_f64_e64 s18, v[133:134], 0x1f8
	v_cmp_neq_f64_e32 vcc_lo, v[133:134], v[6:7]
	s_delay_alu instid0(VALU_DEP_2) | instskip(NEXT) | instid1(SALU_CYCLE_1)
	s_or_b32 s18, vcc_lo, s18
	s_and_saveexec_b32 s28, s18
	s_cbranch_execz .LBB8_86
; %bb.85:
	v_add_f64 v[8:9], v[133:134], -v[6:7]
	s_mov_b32 s18, 0x652b82fe
	s_mov_b32 s19, 0x3ff71547
	;; [unrolled: 1-line block ×6, first 2 shown]
	s_mov_b32 vcc_lo, 0x6a5dcb37
	s_mov_b32 vcc_hi, 0x3e5ade15
	s_mov_b32 s30, 0xbf559e2b
	s_mov_b32 s31, 0x3fc3ab76
	s_delay_alu instid0(VALU_DEP_1) | instskip(SKIP_2) | instid1(VALU_DEP_1)
	v_mul_f64 v[133:134], v[8:9], s[18:19]
	s_mov_b32 s18, 0xfca7ab0c
	s_mov_b32 s19, 0x3e928af3
	v_rndne_f64_e32 v[133:134], v[133:134]
	s_delay_alu instid0(VALU_DEP_1) | instskip(SKIP_2) | instid1(VALU_DEP_2)
	v_fma_f64 v[145:146], v[133:134], s[20:21], v[8:9]
	v_cvt_i32_f64_e32 v149, v[133:134]
	s_mov_b32 s21, 0x3fe62e42
	v_fma_f64 v[145:146], v[133:134], s[24:25], v[145:146]
	s_mov_b32 s25, 0x3c7abc9e
	s_delay_alu instid0(VALU_DEP_1) | instskip(SKIP_3) | instid1(VALU_DEP_2)
	v_fma_f64 v[147:148], v[145:146], vcc, s[18:19]
	s_mov_b32 s18, 0x623fde64
	s_mov_b32 s19, 0x3ec71dee
	v_cmp_nlt_f64_e32 vcc_lo, 0x40900000, v[8:9]
	v_fma_f64 v[147:148], v[145:146], v[147:148], s[18:19]
	s_mov_b32 s18, 0x7c89e6b0
	s_mov_b32 s19, 0x3efa0199
	s_delay_alu instid0(VALU_DEP_1) | instid1(SALU_CYCLE_1)
	v_fma_f64 v[147:148], v[145:146], v[147:148], s[18:19]
	s_mov_b32 s18, 0x14761f6e
	s_mov_b32 s19, 0x3f2a01a0
	s_delay_alu instid0(VALU_DEP_1) | instid1(SALU_CYCLE_1)
	;; [unrolled: 4-line block ×7, first 2 shown]
	v_fma_f64 v[147:148], v[145:146], v[147:148], s[18:19]
	v_cmp_ngt_f64_e64 s18, 0xc090cc00, v[8:9]
	s_mov_b32 s19, 0x3fe55555
	s_delay_alu instid0(VALU_DEP_2) | instskip(NEXT) | instid1(VALU_DEP_1)
	v_fma_f64 v[147:148], v[145:146], v[147:148], 1.0
	v_fma_f64 v[133:134], v[145:146], v[147:148], 1.0
	s_delay_alu instid0(VALU_DEP_1) | instskip(NEXT) | instid1(VALU_DEP_1)
	v_ldexp_f64 v[133:134], v[133:134], v149
	v_cndmask_b32_e32 v134, 0x7ff00000, v134, vcc_lo
	s_and_b32 vcc_lo, s18, vcc_lo
	s_delay_alu instid0(VALU_DEP_2) | instskip(NEXT) | instid1(VALU_DEP_2)
	v_cndmask_b32_e32 v8, 0, v133, vcc_lo
	v_cndmask_b32_e64 v9, 0, v134, s18
	s_mov_b32 s18, 0x55555555
	s_delay_alu instid0(VALU_DEP_1) | instskip(NEXT) | instid1(VALU_DEP_1)
	v_add_f64 v[133:134], v[8:9], 1.0
	v_frexp_mant_f64_e32 v[145:146], v[133:134]
	v_frexp_exp_i32_f64_e32 v149, v[133:134]
	v_add_f64 v[147:148], v[133:134], -1.0
	s_delay_alu instid0(VALU_DEP_3) | instskip(SKIP_1) | instid1(VALU_DEP_2)
	v_cmp_gt_f64_e32 vcc_lo, s[18:19], v[145:146]
	s_mov_b32 s18, 0x55555780
	v_add_f64 v[145:146], v[147:148], -v[133:134]
	v_add_f64 v[147:148], v[8:9], -v[147:148]
	v_subrev_co_ci_u32_e32 v151, vcc_lo, 0, v149, vcc_lo
	s_delay_alu instid0(VALU_DEP_3) | instskip(SKIP_2) | instid1(VALU_DEP_2)
	v_add_f64 v[145:146], v[145:146], 1.0
	s_mov_b32 vcc_lo, 0x6b47b09a
	s_mov_b32 vcc_hi, 0x3fc38538
	v_sub_nc_u32_e32 v160, 0, v151
	s_delay_alu instid0(VALU_DEP_1) | instskip(NEXT) | instid1(VALU_DEP_3)
	v_ldexp_f64 v[133:134], v[133:134], v160
	v_add_f64 v[145:146], v[147:148], v[145:146]
	s_delay_alu instid0(VALU_DEP_2) | instskip(SKIP_1) | instid1(VALU_DEP_3)
	v_add_f64 v[149:150], v[133:134], 1.0
	v_add_f64 v[164:165], v[133:134], -1.0
	v_ldexp_f64 v[145:146], v[145:146], v160
	s_delay_alu instid0(VALU_DEP_3) | instskip(NEXT) | instid1(VALU_DEP_3)
	v_add_f64 v[147:148], v[149:150], -1.0
	v_add_f64 v[210:211], v[164:165], 1.0
	s_delay_alu instid0(VALU_DEP_2) | instskip(NEXT) | instid1(VALU_DEP_2)
	v_add_f64 v[147:148], v[133:134], -v[147:148]
	v_add_f64 v[133:134], v[133:134], -v[210:211]
	s_delay_alu instid0(VALU_DEP_2) | instskip(NEXT) | instid1(VALU_DEP_2)
	v_add_f64 v[147:148], v[145:146], v[147:148]
	v_add_f64 v[133:134], v[145:146], v[133:134]
	s_delay_alu instid0(VALU_DEP_2) | instskip(NEXT) | instid1(VALU_DEP_2)
	v_add_f64 v[160:161], v[149:150], v[147:148]
	v_add_f64 v[210:211], v[164:165], v[133:134]
	s_delay_alu instid0(VALU_DEP_2) | instskip(SKIP_1) | instid1(VALU_DEP_2)
	v_rcp_f64_e32 v[162:163], v[160:161]
	v_add_f64 v[149:150], v[160:161], -v[149:150]
	v_add_f64 v[164:165], v[210:211], -v[164:165]
	s_delay_alu instid0(VALU_DEP_2) | instskip(SKIP_3) | instid1(VALU_DEP_2)
	v_add_f64 v[147:148], v[147:148], -v[149:150]
	s_waitcnt_depctr 0xfff
	v_fma_f64 v[212:213], -v[160:161], v[162:163], 1.0
	v_add_f64 v[133:134], v[133:134], -v[164:165]
	v_fma_f64 v[162:163], v[212:213], v[162:163], v[162:163]
	s_delay_alu instid0(VALU_DEP_1) | instskip(NEXT) | instid1(VALU_DEP_1)
	v_fma_f64 v[145:146], -v[160:161], v[162:163], 1.0
	v_fma_f64 v[145:146], v[145:146], v[162:163], v[162:163]
	s_delay_alu instid0(VALU_DEP_1) | instskip(NEXT) | instid1(VALU_DEP_1)
	v_mul_f64 v[162:163], v[210:211], v[145:146]
	v_mul_f64 v[212:213], v[160:161], v[162:163]
	s_delay_alu instid0(VALU_DEP_1) | instskip(NEXT) | instid1(VALU_DEP_1)
	v_fma_f64 v[149:150], v[162:163], v[160:161], -v[212:213]
	v_fma_f64 v[149:150], v[162:163], v[147:148], v[149:150]
	s_delay_alu instid0(VALU_DEP_1) | instskip(NEXT) | instid1(VALU_DEP_1)
	v_add_f64 v[214:215], v[212:213], v[149:150]
	v_add_f64 v[224:225], v[210:211], -v[214:215]
	v_add_f64 v[164:165], v[214:215], -v[212:213]
	s_delay_alu instid0(VALU_DEP_2) | instskip(NEXT) | instid1(VALU_DEP_2)
	v_add_f64 v[210:211], v[210:211], -v[224:225]
	v_add_f64 v[149:150], v[164:165], -v[149:150]
	s_delay_alu instid0(VALU_DEP_2) | instskip(NEXT) | instid1(VALU_DEP_1)
	v_add_f64 v[210:211], v[210:211], -v[214:215]
	v_add_f64 v[133:134], v[133:134], v[210:211]
	s_delay_alu instid0(VALU_DEP_1) | instskip(NEXT) | instid1(VALU_DEP_1)
	v_add_f64 v[133:134], v[149:150], v[133:134]
	v_add_f64 v[149:150], v[224:225], v[133:134]
	s_delay_alu instid0(VALU_DEP_1) | instskip(SKIP_1) | instid1(VALU_DEP_2)
	v_mul_f64 v[164:165], v[145:146], v[149:150]
	v_add_f64 v[214:215], v[224:225], -v[149:150]
	v_mul_f64 v[210:211], v[160:161], v[164:165]
	s_delay_alu instid0(VALU_DEP_2) | instskip(NEXT) | instid1(VALU_DEP_2)
	v_add_f64 v[133:134], v[133:134], v[214:215]
	v_fma_f64 v[160:161], v[164:165], v[160:161], -v[210:211]
	s_delay_alu instid0(VALU_DEP_1) | instskip(NEXT) | instid1(VALU_DEP_1)
	v_fma_f64 v[147:148], v[164:165], v[147:148], v[160:161]
	v_add_f64 v[160:161], v[210:211], v[147:148]
	s_delay_alu instid0(VALU_DEP_1) | instskip(SKIP_1) | instid1(VALU_DEP_2)
	v_add_f64 v[212:213], v[149:150], -v[160:161]
	v_add_f64 v[210:211], v[160:161], -v[210:211]
	;; [unrolled: 1-line block ×3, first 2 shown]
	s_delay_alu instid0(VALU_DEP_2) | instskip(NEXT) | instid1(VALU_DEP_2)
	v_add_f64 v[147:148], v[210:211], -v[147:148]
	v_add_f64 v[149:150], v[149:150], -v[160:161]
	s_delay_alu instid0(VALU_DEP_1) | instskip(SKIP_1) | instid1(VALU_DEP_2)
	v_add_f64 v[133:134], v[133:134], v[149:150]
	v_add_f64 v[149:150], v[162:163], v[164:165]
	;; [unrolled: 1-line block ×3, first 2 shown]
	s_delay_alu instid0(VALU_DEP_2) | instskip(NEXT) | instid1(VALU_DEP_2)
	v_add_f64 v[147:148], v[149:150], -v[162:163]
	v_add_f64 v[133:134], v[212:213], v[133:134]
	s_delay_alu instid0(VALU_DEP_2) | instskip(NEXT) | instid1(VALU_DEP_2)
	v_add_f64 v[147:148], v[164:165], -v[147:148]
	v_mul_f64 v[133:134], v[145:146], v[133:134]
	s_delay_alu instid0(VALU_DEP_1) | instskip(NEXT) | instid1(VALU_DEP_1)
	v_add_f64 v[133:134], v[147:148], v[133:134]
	v_add_f64 v[145:146], v[149:150], v[133:134]
	s_delay_alu instid0(VALU_DEP_1) | instskip(NEXT) | instid1(VALU_DEP_1)
	v_mul_f64 v[147:148], v[145:146], v[145:146]
	v_fma_f64 v[160:161], v[147:148], s[30:31], vcc
	s_mov_b32 vcc_lo, 0xd7f4df2e
	s_mov_b32 vcc_hi, 0x3fc7474d
	v_mul_f64 v[162:163], v[145:146], v[147:148]
	s_delay_alu instid0(VALU_DEP_2)
	v_fma_f64 v[160:161], v[147:148], v[160:161], vcc
	s_mov_b32 vcc_lo, 0x16291751
	s_mov_b32 vcc_hi, 0x3fcc71c0
	s_delay_alu instid0(VALU_DEP_1) | instid1(SALU_CYCLE_1)
	v_fma_f64 v[160:161], v[147:148], v[160:161], vcc
	s_mov_b32 vcc_lo, 0x9b27acf1
	s_mov_b32 vcc_hi, 0x3fd24924
	s_delay_alu instid0(VALU_DEP_1) | instid1(SALU_CYCLE_1)
	;; [unrolled: 4-line block ×3, first 2 shown]
	v_fma_f64 v[160:161], v[147:148], v[160:161], vcc
	v_cmp_eq_f64_e32 vcc_lo, 0x7ff00000, v[8:9]
	s_delay_alu instid0(VALU_DEP_2) | instskip(SKIP_2) | instid1(VALU_DEP_3)
	v_fma_f64 v[147:148], v[147:148], v[160:161], s[18:19]
	v_ldexp_f64 v[160:161], v[145:146], 1
	v_add_f64 v[145:146], v[145:146], -v[149:150]
	v_mul_f64 v[147:148], v[162:163], v[147:148]
	v_cvt_f64_i32_e32 v[162:163], v151
	s_delay_alu instid0(VALU_DEP_3) | instskip(NEXT) | instid1(VALU_DEP_3)
	v_add_f64 v[133:134], v[133:134], -v[145:146]
	v_add_f64 v[149:150], v[160:161], v[147:148]
	s_delay_alu instid0(VALU_DEP_3) | instskip(NEXT) | instid1(VALU_DEP_3)
	v_mul_f64 v[164:165], v[162:163], s[20:21]
	v_ldexp_f64 v[133:134], v[133:134], 1
	s_delay_alu instid0(VALU_DEP_3) | instskip(NEXT) | instid1(VALU_DEP_3)
	v_add_f64 v[145:146], v[149:150], -v[160:161]
	v_fma_f64 v[160:161], v[162:163], s[20:21], -v[164:165]
	s_delay_alu instid0(VALU_DEP_2) | instskip(NEXT) | instid1(VALU_DEP_2)
	v_add_f64 v[145:146], v[147:148], -v[145:146]
	v_fma_f64 v[147:148], v[162:163], s[24:25], v[160:161]
	s_delay_alu instid0(VALU_DEP_2) | instskip(NEXT) | instid1(VALU_DEP_2)
	v_add_f64 v[133:134], v[133:134], v[145:146]
	v_add_f64 v[145:146], v[164:165], v[147:148]
	s_delay_alu instid0(VALU_DEP_2) | instskip(NEXT) | instid1(VALU_DEP_2)
	v_add_f64 v[160:161], v[149:150], v[133:134]
	v_add_f64 v[164:165], v[145:146], -v[164:165]
	s_delay_alu instid0(VALU_DEP_2) | instskip(SKIP_1) | instid1(VALU_DEP_3)
	v_add_f64 v[162:163], v[145:146], v[160:161]
	v_add_f64 v[149:150], v[160:161], -v[149:150]
	v_add_f64 v[147:148], v[147:148], -v[164:165]
	s_delay_alu instid0(VALU_DEP_3) | instskip(NEXT) | instid1(VALU_DEP_3)
	v_add_f64 v[210:211], v[162:163], -v[145:146]
	v_add_f64 v[133:134], v[133:134], -v[149:150]
	s_delay_alu instid0(VALU_DEP_2) | instskip(SKIP_1) | instid1(VALU_DEP_3)
	v_add_f64 v[212:213], v[162:163], -v[210:211]
	v_add_f64 v[149:150], v[160:161], -v[210:211]
	v_add_f64 v[160:161], v[147:148], v[133:134]
	s_delay_alu instid0(VALU_DEP_3) | instskip(NEXT) | instid1(VALU_DEP_1)
	v_add_f64 v[145:146], v[145:146], -v[212:213]
	v_add_f64 v[145:146], v[149:150], v[145:146]
	s_delay_alu instid0(VALU_DEP_3) | instskip(NEXT) | instid1(VALU_DEP_2)
	v_add_f64 v[149:150], v[160:161], -v[147:148]
	v_add_f64 v[145:146], v[160:161], v[145:146]
	s_delay_alu instid0(VALU_DEP_2) | instskip(SKIP_1) | instid1(VALU_DEP_3)
	v_add_f64 v[160:161], v[160:161], -v[149:150]
	v_add_f64 v[133:134], v[133:134], -v[149:150]
	v_add_f64 v[164:165], v[162:163], v[145:146]
	s_delay_alu instid0(VALU_DEP_3) | instskip(NEXT) | instid1(VALU_DEP_2)
	v_add_f64 v[147:148], v[147:148], -v[160:161]
	v_add_f64 v[149:150], v[164:165], -v[162:163]
	s_delay_alu instid0(VALU_DEP_2) | instskip(NEXT) | instid1(VALU_DEP_2)
	v_add_f64 v[133:134], v[133:134], v[147:148]
	v_add_f64 v[145:146], v[145:146], -v[149:150]
	s_delay_alu instid0(VALU_DEP_1) | instskip(NEXT) | instid1(VALU_DEP_1)
	v_add_f64 v[133:134], v[133:134], v[145:146]
	v_add_f64 v[133:134], v[164:165], v[133:134]
	s_delay_alu instid0(VALU_DEP_1) | instskip(SKIP_1) | instid1(VALU_DEP_2)
	v_dual_cndmask_b32 v133, v133, v8 :: v_dual_cndmask_b32 v134, v134, v9
	v_cmp_ngt_f64_e32 vcc_lo, -1.0, v[8:9]
	v_cndmask_b32_e32 v134, 0x7ff80000, v134, vcc_lo
	v_cmp_nge_f64_e32 vcc_lo, -1.0, v[8:9]
	s_delay_alu instid0(VALU_DEP_4) | instskip(SKIP_1) | instid1(VALU_DEP_4)
	v_cndmask_b32_e32 v133, 0, v133, vcc_lo
	v_cmp_neq_f64_e32 vcc_lo, -1.0, v[8:9]
	v_cndmask_b32_e32 v134, 0xfff00000, v134, vcc_lo
	s_delay_alu instid0(VALU_DEP_1)
	v_add_f64 v[8:9], v[6:7], v[133:134]
.LBB8_86:
	s_or_b32 exec_lo, exec_lo, s28
	s_delay_alu instid0(VALU_DEP_1)
	v_dual_mov_b32 v6, v8 :: v_dual_mov_b32 v7, v9
.LBB8_87:
	s_or_b32 exec_lo, exec_lo, s27
	ds_store_b64 v195, v[6:7]
.LBB8_88:
	s_or_b32 exec_lo, exec_lo, s26
	v_cmp_gt_u32_e32 vcc_lo, 32, v128
	s_mov_b32 s26, exec_lo
	s_waitcnt lgkmcnt(0)
	s_barrier
	buffer_gl0_inv
                                        ; implicit-def: $vgpr133_vgpr134
	v_cmpx_lt_u32_e32 31, v128
	s_cbranch_execz .LBB8_92
; %bb.89:
	v_lshl_add_u32 v6, v144, 3, -8
	v_cmp_u_f64_e64 s19, v[4:5], v[4:5]
	ds_load_b64 v[133:134], v6
	v_max_f64 v[6:7], v[4:5], v[4:5]
	s_waitcnt lgkmcnt(0)
	v_max_f64 v[8:9], v[133:134], v[133:134]
	v_cmp_u_f64_e64 s18, v[133:134], v[133:134]
	s_delay_alu instid0(VALU_DEP_2) | instskip(SKIP_1) | instid1(VALU_DEP_2)
	v_min_f64 v[144:145], v[8:9], v[6:7]
	v_max_f64 v[6:7], v[8:9], v[6:7]
	v_cndmask_b32_e64 v8, v144, v133, s18
	s_delay_alu instid0(VALU_DEP_3) | instskip(NEXT) | instid1(VALU_DEP_3)
	v_cndmask_b32_e64 v9, v145, v134, s18
	v_cndmask_b32_e64 v7, v7, v134, s18
	s_delay_alu instid0(VALU_DEP_4) | instskip(NEXT) | instid1(VALU_DEP_4)
	v_cndmask_b32_e64 v6, v6, v133, s18
	v_cndmask_b32_e64 v8, v8, v4, s19
	s_delay_alu instid0(VALU_DEP_4) | instskip(NEXT) | instid1(VALU_DEP_4)
	v_cndmask_b32_e64 v9, v9, v5, s19
	v_cndmask_b32_e64 v7, v7, v5, s19
	s_delay_alu instid0(VALU_DEP_4) | instskip(SKIP_1) | instid1(VALU_DEP_4)
	v_cndmask_b32_e64 v6, v6, v4, s19
	v_dual_mov_b32 v4, v133 :: v_dual_mov_b32 v5, v134
	v_cmp_class_f64_e64 s19, v[8:9], 0x1f8
	s_delay_alu instid0(VALU_DEP_3) | instskip(NEXT) | instid1(VALU_DEP_1)
	v_cmp_neq_f64_e64 s18, v[8:9], v[6:7]
	s_or_b32 s18, s18, s19
	s_delay_alu instid0(SALU_CYCLE_1)
	s_and_saveexec_b32 s27, s18
	s_cbranch_execz .LBB8_91
; %bb.90:
	v_add_f64 v[4:5], v[8:9], -v[6:7]
	s_mov_b32 s18, 0x652b82fe
	s_mov_b32 s19, 0x3ff71547
	;; [unrolled: 1-line block ×10, first 2 shown]
	s_delay_alu instid0(VALU_DEP_1) | instskip(SKIP_2) | instid1(VALU_DEP_1)
	v_mul_f64 v[8:9], v[4:5], s[18:19]
	s_mov_b32 s18, 0xfca7ab0c
	s_mov_b32 s19, 0x3e928af3
	v_rndne_f64_e32 v[8:9], v[8:9]
	s_delay_alu instid0(VALU_DEP_1) | instskip(SKIP_2) | instid1(VALU_DEP_2)
	v_fma_f64 v[144:145], v[8:9], s[20:21], v[4:5]
	v_cvt_i32_f64_e32 v148, v[8:9]
	s_mov_b32 s21, 0x3fe62e42
	v_fma_f64 v[144:145], v[8:9], s[24:25], v[144:145]
	s_mov_b32 s25, 0x3c7abc9e
	s_delay_alu instid0(VALU_DEP_1) | instskip(SKIP_4) | instid1(VALU_DEP_1)
	v_fma_f64 v[146:147], v[144:145], s[28:29], s[18:19]
	s_mov_b32 s18, 0x623fde64
	s_mov_b32 s19, 0x3ec71dee
	;; [unrolled: 1-line block ×4, first 2 shown]
	v_fma_f64 v[146:147], v[144:145], v[146:147], s[18:19]
	s_mov_b32 s18, 0x7c89e6b0
	s_mov_b32 s19, 0x3efa0199
	s_delay_alu instid0(VALU_DEP_1) | instid1(SALU_CYCLE_1)
	v_fma_f64 v[146:147], v[144:145], v[146:147], s[18:19]
	s_mov_b32 s18, 0x14761f6e
	s_mov_b32 s19, 0x3f2a01a0
	s_delay_alu instid0(VALU_DEP_1) | instid1(SALU_CYCLE_1)
	;; [unrolled: 4-line block ×7, first 2 shown]
	v_fma_f64 v[146:147], v[144:145], v[146:147], s[18:19]
	v_cmp_nlt_f64_e64 s18, 0x40900000, v[4:5]
	v_cmp_ngt_f64_e64 s19, 0xc090cc00, v[4:5]
	s_delay_alu instid0(VALU_DEP_3) | instskip(NEXT) | instid1(VALU_DEP_1)
	v_fma_f64 v[146:147], v[144:145], v[146:147], 1.0
	v_fma_f64 v[8:9], v[144:145], v[146:147], 1.0
	s_delay_alu instid0(VALU_DEP_1) | instskip(NEXT) | instid1(VALU_DEP_1)
	v_ldexp_f64 v[8:9], v[8:9], v148
	v_cndmask_b32_e64 v9, 0x7ff00000, v9, s18
	s_and_b32 s18, s19, s18
	s_delay_alu instid0(VALU_DEP_2) | instid1(SALU_CYCLE_1)
	v_cndmask_b32_e64 v4, 0, v8, s18
	s_mov_b32 s18, 0x55555555
	s_delay_alu instid0(VALU_DEP_2) | instskip(SKIP_1) | instid1(VALU_DEP_1)
	v_cndmask_b32_e64 v5, 0, v9, s19
	s_mov_b32 s19, 0x3fe55555
	v_add_f64 v[8:9], v[4:5], 1.0
	s_delay_alu instid0(VALU_DEP_1) | instskip(SKIP_2) | instid1(VALU_DEP_3)
	v_frexp_mant_f64_e32 v[144:145], v[8:9]
	v_frexp_exp_i32_f64_e32 v148, v[8:9]
	v_add_f64 v[146:147], v[8:9], -1.0
	v_cmp_gt_f64_e64 s18, s[18:19], v[144:145]
	s_delay_alu instid0(VALU_DEP_2) | instskip(SKIP_1) | instid1(VALU_DEP_3)
	v_add_f64 v[144:145], v[146:147], -v[8:9]
	v_add_f64 v[146:147], v[4:5], -v[146:147]
	v_subrev_co_ci_u32_e64 v166, s18, 0, v148, s18
	s_delay_alu instid0(VALU_DEP_3) | instskip(SKIP_1) | instid1(VALU_DEP_2)
	v_add_f64 v[144:145], v[144:145], 1.0
	s_mov_b32 s18, 0x55555780
	v_sub_nc_u32_e32 v150, 0, v166
	s_delay_alu instid0(VALU_DEP_1) | instskip(NEXT) | instid1(VALU_DEP_3)
	v_ldexp_f64 v[8:9], v[8:9], v150
	v_add_f64 v[144:145], v[146:147], v[144:145]
	s_delay_alu instid0(VALU_DEP_2) | instskip(SKIP_1) | instid1(VALU_DEP_3)
	v_add_f64 v[148:149], v[8:9], 1.0
	v_add_f64 v[162:163], v[8:9], -1.0
	v_ldexp_f64 v[144:145], v[144:145], v150
	s_delay_alu instid0(VALU_DEP_3) | instskip(NEXT) | instid1(VALU_DEP_3)
	v_add_f64 v[146:147], v[148:149], -1.0
	v_add_f64 v[164:165], v[162:163], 1.0
	s_delay_alu instid0(VALU_DEP_2) | instskip(NEXT) | instid1(VALU_DEP_2)
	v_add_f64 v[146:147], v[8:9], -v[146:147]
	v_add_f64 v[8:9], v[8:9], -v[164:165]
	s_delay_alu instid0(VALU_DEP_2) | instskip(NEXT) | instid1(VALU_DEP_2)
	v_add_f64 v[146:147], v[144:145], v[146:147]
	v_add_f64 v[8:9], v[144:145], v[8:9]
	s_delay_alu instid0(VALU_DEP_2) | instskip(NEXT) | instid1(VALU_DEP_2)
	v_add_f64 v[150:151], v[148:149], v[146:147]
	v_add_f64 v[164:165], v[162:163], v[8:9]
	s_delay_alu instid0(VALU_DEP_2) | instskip(SKIP_1) | instid1(VALU_DEP_2)
	v_rcp_f64_e32 v[160:161], v[150:151]
	v_add_f64 v[148:149], v[150:151], -v[148:149]
	v_add_f64 v[162:163], v[164:165], -v[162:163]
	s_delay_alu instid0(VALU_DEP_2) | instskip(SKIP_3) | instid1(VALU_DEP_2)
	v_add_f64 v[146:147], v[146:147], -v[148:149]
	s_waitcnt_depctr 0xfff
	v_fma_f64 v[210:211], -v[150:151], v[160:161], 1.0
	v_add_f64 v[8:9], v[8:9], -v[162:163]
	v_fma_f64 v[160:161], v[210:211], v[160:161], v[160:161]
	s_delay_alu instid0(VALU_DEP_1) | instskip(NEXT) | instid1(VALU_DEP_1)
	v_fma_f64 v[144:145], -v[150:151], v[160:161], 1.0
	v_fma_f64 v[144:145], v[144:145], v[160:161], v[160:161]
	s_delay_alu instid0(VALU_DEP_1) | instskip(NEXT) | instid1(VALU_DEP_1)
	v_mul_f64 v[160:161], v[164:165], v[144:145]
	v_mul_f64 v[210:211], v[150:151], v[160:161]
	s_delay_alu instid0(VALU_DEP_1) | instskip(NEXT) | instid1(VALU_DEP_1)
	v_fma_f64 v[148:149], v[160:161], v[150:151], -v[210:211]
	v_fma_f64 v[148:149], v[160:161], v[146:147], v[148:149]
	s_delay_alu instid0(VALU_DEP_1) | instskip(NEXT) | instid1(VALU_DEP_1)
	v_add_f64 v[212:213], v[210:211], v[148:149]
	v_add_f64 v[214:215], v[164:165], -v[212:213]
	v_add_f64 v[162:163], v[212:213], -v[210:211]
	s_delay_alu instid0(VALU_DEP_2) | instskip(NEXT) | instid1(VALU_DEP_2)
	v_add_f64 v[164:165], v[164:165], -v[214:215]
	v_add_f64 v[148:149], v[162:163], -v[148:149]
	s_delay_alu instid0(VALU_DEP_2) | instskip(NEXT) | instid1(VALU_DEP_1)
	v_add_f64 v[164:165], v[164:165], -v[212:213]
	v_add_f64 v[8:9], v[8:9], v[164:165]
	s_delay_alu instid0(VALU_DEP_1) | instskip(NEXT) | instid1(VALU_DEP_1)
	v_add_f64 v[8:9], v[148:149], v[8:9]
	v_add_f64 v[148:149], v[214:215], v[8:9]
	s_delay_alu instid0(VALU_DEP_1) | instskip(SKIP_1) | instid1(VALU_DEP_2)
	v_mul_f64 v[162:163], v[144:145], v[148:149]
	v_add_f64 v[212:213], v[214:215], -v[148:149]
	v_mul_f64 v[164:165], v[150:151], v[162:163]
	s_delay_alu instid0(VALU_DEP_2) | instskip(NEXT) | instid1(VALU_DEP_2)
	v_add_f64 v[8:9], v[8:9], v[212:213]
	v_fma_f64 v[150:151], v[162:163], v[150:151], -v[164:165]
	s_delay_alu instid0(VALU_DEP_1) | instskip(NEXT) | instid1(VALU_DEP_1)
	v_fma_f64 v[146:147], v[162:163], v[146:147], v[150:151]
	v_add_f64 v[150:151], v[164:165], v[146:147]
	s_delay_alu instid0(VALU_DEP_1) | instskip(SKIP_1) | instid1(VALU_DEP_2)
	v_add_f64 v[210:211], v[148:149], -v[150:151]
	v_add_f64 v[164:165], v[150:151], -v[164:165]
	;; [unrolled: 1-line block ×3, first 2 shown]
	s_delay_alu instid0(VALU_DEP_2) | instskip(NEXT) | instid1(VALU_DEP_2)
	v_add_f64 v[146:147], v[164:165], -v[146:147]
	v_add_f64 v[148:149], v[148:149], -v[150:151]
	s_delay_alu instid0(VALU_DEP_1) | instskip(SKIP_1) | instid1(VALU_DEP_2)
	v_add_f64 v[8:9], v[8:9], v[148:149]
	v_add_f64 v[148:149], v[160:161], v[162:163]
	;; [unrolled: 1-line block ×3, first 2 shown]
	s_delay_alu instid0(VALU_DEP_2) | instskip(NEXT) | instid1(VALU_DEP_2)
	v_add_f64 v[146:147], v[148:149], -v[160:161]
	v_add_f64 v[8:9], v[210:211], v[8:9]
	s_delay_alu instid0(VALU_DEP_2) | instskip(NEXT) | instid1(VALU_DEP_2)
	v_add_f64 v[146:147], v[162:163], -v[146:147]
	v_mul_f64 v[8:9], v[144:145], v[8:9]
	s_delay_alu instid0(VALU_DEP_1) | instskip(NEXT) | instid1(VALU_DEP_1)
	v_add_f64 v[8:9], v[146:147], v[8:9]
	v_add_f64 v[144:145], v[148:149], v[8:9]
	s_delay_alu instid0(VALU_DEP_1) | instskip(NEXT) | instid1(VALU_DEP_1)
	v_mul_f64 v[146:147], v[144:145], v[144:145]
	v_fma_f64 v[150:151], v[146:147], s[30:31], s[28:29]
	s_mov_b32 s28, 0xd7f4df2e
	s_mov_b32 s29, 0x3fc7474d
	v_mul_f64 v[160:161], v[144:145], v[146:147]
	s_delay_alu instid0(VALU_DEP_2)
	v_fma_f64 v[150:151], v[146:147], v[150:151], s[28:29]
	s_mov_b32 s28, 0x16291751
	s_mov_b32 s29, 0x3fcc71c0
	s_delay_alu instid0(VALU_DEP_1) | instid1(SALU_CYCLE_1)
	v_fma_f64 v[150:151], v[146:147], v[150:151], s[28:29]
	s_mov_b32 s28, 0x9b27acf1
	s_mov_b32 s29, 0x3fd24924
	s_delay_alu instid0(VALU_DEP_1) | instid1(SALU_CYCLE_1)
	;; [unrolled: 4-line block ×3, first 2 shown]
	v_fma_f64 v[150:151], v[146:147], v[150:151], s[28:29]
	s_delay_alu instid0(VALU_DEP_1) | instskip(SKIP_3) | instid1(VALU_DEP_4)
	v_fma_f64 v[146:147], v[146:147], v[150:151], s[18:19]
	v_ldexp_f64 v[150:151], v[144:145], 1
	v_add_f64 v[144:145], v[144:145], -v[148:149]
	v_cmp_eq_f64_e64 s18, 0x7ff00000, v[4:5]
	v_mul_f64 v[146:147], v[160:161], v[146:147]
	v_cvt_f64_i32_e32 v[160:161], v166
	s_delay_alu instid0(VALU_DEP_4) | instskip(NEXT) | instid1(VALU_DEP_3)
	v_add_f64 v[8:9], v[8:9], -v[144:145]
	v_add_f64 v[148:149], v[150:151], v[146:147]
	s_delay_alu instid0(VALU_DEP_3) | instskip(NEXT) | instid1(VALU_DEP_3)
	v_mul_f64 v[162:163], v[160:161], s[20:21]
	v_ldexp_f64 v[8:9], v[8:9], 1
	s_delay_alu instid0(VALU_DEP_3) | instskip(NEXT) | instid1(VALU_DEP_3)
	v_add_f64 v[144:145], v[148:149], -v[150:151]
	v_fma_f64 v[150:151], v[160:161], s[20:21], -v[162:163]
	s_delay_alu instid0(VALU_DEP_2) | instskip(NEXT) | instid1(VALU_DEP_2)
	v_add_f64 v[144:145], v[146:147], -v[144:145]
	v_fma_f64 v[146:147], v[160:161], s[24:25], v[150:151]
	s_delay_alu instid0(VALU_DEP_2) | instskip(NEXT) | instid1(VALU_DEP_2)
	v_add_f64 v[8:9], v[8:9], v[144:145]
	v_add_f64 v[144:145], v[162:163], v[146:147]
	s_delay_alu instid0(VALU_DEP_2) | instskip(NEXT) | instid1(VALU_DEP_2)
	v_add_f64 v[150:151], v[148:149], v[8:9]
	v_add_f64 v[162:163], v[144:145], -v[162:163]
	s_delay_alu instid0(VALU_DEP_2) | instskip(SKIP_1) | instid1(VALU_DEP_3)
	v_add_f64 v[160:161], v[144:145], v[150:151]
	v_add_f64 v[148:149], v[150:151], -v[148:149]
	v_add_f64 v[146:147], v[146:147], -v[162:163]
	s_delay_alu instid0(VALU_DEP_3) | instskip(NEXT) | instid1(VALU_DEP_3)
	v_add_f64 v[164:165], v[160:161], -v[144:145]
	v_add_f64 v[8:9], v[8:9], -v[148:149]
	s_delay_alu instid0(VALU_DEP_2) | instskip(SKIP_1) | instid1(VALU_DEP_3)
	v_add_f64 v[210:211], v[160:161], -v[164:165]
	v_add_f64 v[148:149], v[150:151], -v[164:165]
	v_add_f64 v[150:151], v[146:147], v[8:9]
	s_delay_alu instid0(VALU_DEP_3) | instskip(NEXT) | instid1(VALU_DEP_1)
	v_add_f64 v[144:145], v[144:145], -v[210:211]
	v_add_f64 v[144:145], v[148:149], v[144:145]
	s_delay_alu instid0(VALU_DEP_3) | instskip(NEXT) | instid1(VALU_DEP_2)
	v_add_f64 v[148:149], v[150:151], -v[146:147]
	v_add_f64 v[144:145], v[150:151], v[144:145]
	s_delay_alu instid0(VALU_DEP_2) | instskip(SKIP_1) | instid1(VALU_DEP_3)
	v_add_f64 v[150:151], v[150:151], -v[148:149]
	v_add_f64 v[8:9], v[8:9], -v[148:149]
	v_add_f64 v[162:163], v[160:161], v[144:145]
	s_delay_alu instid0(VALU_DEP_3) | instskip(NEXT) | instid1(VALU_DEP_2)
	v_add_f64 v[146:147], v[146:147], -v[150:151]
	v_add_f64 v[148:149], v[162:163], -v[160:161]
	s_delay_alu instid0(VALU_DEP_2) | instskip(NEXT) | instid1(VALU_DEP_2)
	v_add_f64 v[8:9], v[8:9], v[146:147]
	v_add_f64 v[144:145], v[144:145], -v[148:149]
	s_delay_alu instid0(VALU_DEP_1) | instskip(NEXT) | instid1(VALU_DEP_1)
	v_add_f64 v[8:9], v[8:9], v[144:145]
	v_add_f64 v[8:9], v[162:163], v[8:9]
	s_delay_alu instid0(VALU_DEP_1) | instskip(NEXT) | instid1(VALU_DEP_2)
	v_cndmask_b32_e64 v8, v8, v4, s18
	v_cndmask_b32_e64 v9, v9, v5, s18
	v_cmp_ngt_f64_e64 s18, -1.0, v[4:5]
	s_delay_alu instid0(VALU_DEP_1) | instskip(SKIP_1) | instid1(VALU_DEP_1)
	v_cndmask_b32_e64 v9, 0x7ff80000, v9, s18
	v_cmp_nge_f64_e64 s18, -1.0, v[4:5]
	v_cndmask_b32_e64 v8, 0, v8, s18
	v_cmp_neq_f64_e64 s18, -1.0, v[4:5]
	s_delay_alu instid0(VALU_DEP_1) | instskip(NEXT) | instid1(VALU_DEP_1)
	v_cndmask_b32_e64 v9, 0xfff00000, v9, s18
	v_add_f64 v[4:5], v[6:7], v[8:9]
.LBB8_91:
	s_or_b32 exec_lo, exec_lo, s27
.LBB8_92:
	s_delay_alu instid0(SALU_CYCLE_1) | instskip(SKIP_1) | instid1(VALU_DEP_1)
	s_or_b32 exec_lo, exec_lo, s26
	v_add_nc_u32_e32 v6, -1, v209
	v_cmp_gt_i32_e64 s18, 0, v6
	s_delay_alu instid0(VALU_DEP_1) | instskip(SKIP_1) | instid1(VALU_DEP_2)
	v_cndmask_b32_e64 v6, v6, v209, s18
	v_cmp_eq_u32_e64 s18, 0, v209
	v_lshlrev_b32_e32 v6, 2, v6
	ds_bpermute_b32 v210, v6, v4
	ds_bpermute_b32 v211, v6, v5
	s_and_saveexec_b32 s72, vcc_lo
	s_cbranch_execz .LBB8_217
; %bb.93:
	v_mov_b32_e32 v8, 0
	ds_load_b64 v[4:5], v8 offset:56
	s_and_saveexec_b32 s19, s18
	s_cbranch_execz .LBB8_102
; %bb.94:
	s_add_i32 s20, s12, 32
	s_mov_b32 s21, 0
	s_delay_alu instid0(SALU_CYCLE_1) | instskip(NEXT) | instid1(SALU_CYCLE_1)
	s_lshl_b64 s[20:21], s[20:21], 4
	v_add_co_u32 v144, vcc_lo, v116, s20
	v_add_co_ci_u32_e32 v145, vcc_lo, s21, v117, vcc_lo
	s_mov_b64 s[20:21], src_shared_base
	s_mov_b32 s20, exec_lo
	s_delay_alu instid0(VALU_DEP_1)
	v_cmpx_ne_u32_e64 s21, v145
	s_xor_b32 s20, exec_lo, s20
	s_cbranch_execz .LBB8_100
; %bb.95:
	s_mov_b64 s[24:25], src_private_base
	s_mov_b32 s21, exec_lo
	v_cmpx_ne_u32_e64 s25, v145
	s_xor_b32 s21, exec_lo, s21
	s_cbranch_execz .LBB8_97
; %bb.96:
	v_dual_mov_b32 v6, 1 :: v_dual_mov_b32 v7, 0
	s_waitcnt lgkmcnt(0)
	;;#ASMSTART
	global_store_dwordx4 v[144:145], v[4:7] off	
s_waitcnt vmcnt(0)
	;;#ASMEND
                                        ; implicit-def: $vgpr144_vgpr145
.LBB8_97:
	s_and_not1_saveexec_b32 s21, s21
	s_cbranch_execz .LBB8_99
; %bb.98:
	v_dual_mov_b32 v6, 1 :: v_dual_mov_b32 v7, 0
	s_waitcnt lgkmcnt(0)
	;;#ASMSTART
	flat_store_dwordx4 v[144:145], v[4:7] 	
s_waitcnt vmcnt(0)
	;;#ASMEND
.LBB8_99:
	s_or_b32 exec_lo, exec_lo, s21
                                        ; implicit-def: $vgpr144_vgpr145
.LBB8_100:
	s_and_not1_saveexec_b32 s20, s20
	s_cbranch_execz .LBB8_102
; %bb.101:
	v_cmp_ne_u64_e32 vcc_lo, 0, v[144:145]
	v_dual_mov_b32 v7, 0 :: v_dual_mov_b32 v6, 1
	v_cndmask_b32_e32 v9, -1, v144, vcc_lo
	s_waitcnt lgkmcnt(0)
	;;#ASMSTART
	ds_write_b128 v9, v[4:7] 	
s_waitcnt lgkmcnt(0)
	;;#ASMEND
.LBB8_102:
	s_or_b32 exec_lo, exec_lo, s19
	v_xad_u32 v144, v209, -1, s12
	s_mov_b64 s[20:21], src_shared_base
                                        ; implicit-def: $vgpr149_vgpr150
                                        ; implicit-def: $vgpr160_vgpr161
                                        ; implicit-def: $vgpr150_vgpr151
                                        ; implicit-def: $vgpr161_vgpr162
                                        ; implicit-def: $vgpr163_vgpr164
                                        ; implicit-def: $vgpr147_vgpr148
	s_delay_alu instid0(VALU_DEP_1) | instskip(NEXT) | instid1(VALU_DEP_1)
	v_add_nc_u32_e32 v7, 32, v144
	v_lshlrev_b64 v[6:7], 4, v[7:8]
                                        ; implicit-def: $vgpr8
	s_delay_alu instid0(VALU_DEP_1) | instskip(NEXT) | instid1(VALU_DEP_2)
	v_add_co_u32 v145, vcc_lo, v116, v6
	v_add_co_ci_u32_e32 v146, vcc_lo, v117, v7, vcc_lo
	s_delay_alu instid0(VALU_DEP_1) | instskip(SKIP_1) | instid1(SALU_CYCLE_1)
	v_cmp_ne_u32_e32 vcc_lo, s21, v146
	s_and_saveexec_b32 s19, vcc_lo
	s_xor_b32 s20, exec_lo, s19
	s_cbranch_execz .LBB8_108
; %bb.103:
	s_mov_b64 s[24:25], src_private_base
                                        ; implicit-def: $vgpr149_vgpr150
                                        ; implicit-def: $vgpr160_vgpr161
                                        ; implicit-def: $vgpr8
                                        ; implicit-def: $vgpr150_vgpr151
	s_delay_alu instid0(SALU_CYCLE_1) | instskip(NEXT) | instid1(VALU_DEP_1)
	v_cmp_ne_u32_e64 s19, s25, v146
                                        ; implicit-def: $vgpr161_vgpr162
                                        ; implicit-def: $vgpr163_vgpr164
                                        ; implicit-def: $vgpr147_vgpr148
	s_and_saveexec_b32 s21, s19
	s_delay_alu instid0(SALU_CYCLE_1)
	s_xor_b32 s19, exec_lo, s21
	s_cbranch_execz .LBB8_105
; %bb.104:
	;;#ASMSTART
	global_load_dwordx4 v[6:9], v[145:146] off glc	
s_waitcnt vmcnt(0)
	;;#ASMEND
	v_lshrrev_b64 v[147:148], 8, v[6:7]
	v_lshlrev_b64 v[148:149], 24, v[8:9]
	v_lshlrev_b64 v[149:150], 16, v[8:9]
	;; [unrolled: 1-line block ×3, first 2 shown]
	v_lshrrev_b32_e32 v151, 8, v7
	v_lshrrev_b32_e32 v150, 16, v7
	;; [unrolled: 1-line block ×3, first 2 shown]
	v_lshrrev_b64 v[163:164], 16, v[6:7]
	v_lshrrev_b64 v[161:162], 24, v[6:7]
	v_or_b32_e32 v160, v151, v148
	v_or_b32_e32 v150, v150, v149
	;; [unrolled: 1-line block ×3, first 2 shown]
.LBB8_105:
	s_and_not1_saveexec_b32 s19, s19
	s_cbranch_execz .LBB8_107
; %bb.106:
	;;#ASMSTART
	flat_load_dwordx4 v[6:9], v[145:146] glc	
s_waitcnt vmcnt(0)
	;;#ASMEND
	v_lshrrev_b64 v[147:148], 8, v[6:7]
	v_lshlrev_b64 v[148:149], 24, v[8:9]
	v_lshlrev_b64 v[149:150], 16, v[8:9]
	;; [unrolled: 1-line block ×3, first 2 shown]
	v_lshrrev_b32_e32 v151, 8, v7
	v_lshrrev_b32_e32 v150, 16, v7
	;; [unrolled: 1-line block ×3, first 2 shown]
	v_lshrrev_b64 v[163:164], 16, v[6:7]
	v_lshrrev_b64 v[161:162], 24, v[6:7]
	v_or_b32_e32 v160, v151, v148
	v_or_b32_e32 v150, v150, v149
	;; [unrolled: 1-line block ×3, first 2 shown]
.LBB8_107:
	s_or_b32 exec_lo, exec_lo, s19
.LBB8_108:
	s_and_not1_saveexec_b32 s20, s20
	s_cbranch_execz .LBB8_110
; %bb.109:
	v_cmp_ne_u64_e64 s19, 0, v[145:146]
	s_delay_alu instid0(VALU_DEP_1) | instskip(SKIP_1) | instid1(VALU_DEP_1)
	v_cndmask_b32_e64 v6, -1, v145, s19
	;;#ASMSTART
	ds_read_b128 v[6:9], v6 	
s_waitcnt lgkmcnt(0)
	;;#ASMEND
	v_lshrrev_b64 v[147:148], 8, v[6:7]
	v_lshlrev_b64 v[148:149], 24, v[8:9]
	v_lshlrev_b64 v[149:150], 16, v[8:9]
	;; [unrolled: 1-line block ×3, first 2 shown]
	v_lshrrev_b32_e32 v151, 8, v7
	v_lshrrev_b32_e32 v150, 16, v7
	v_lshrrev_b32_e32 v9, 24, v7
	v_lshrrev_b64 v[163:164], 16, v[6:7]
	v_lshrrev_b64 v[161:162], 24, v[6:7]
	v_or_b32_e32 v160, v151, v148
	v_or_b32_e32 v150, v150, v149
	;; [unrolled: 1-line block ×3, first 2 shown]
.LBB8_110:
	s_or_b32 exec_lo, exec_lo, s20
	v_lshlrev_b32_e32 v9, 8, v147
	v_lshlrev_b32_e32 v147, 16, v163
	v_lshlrev_b32_e32 v148, 24, v161
	v_lshlrev_b32_e32 v151, 8, v160
	v_and_b32_e32 v7, 0xff, v7
	v_perm_b32 v6, v9, v6, 0xc0c0500
	v_and_b32_e32 v9, 0xff0000, v147
	v_lshlrev_b32_e32 v147, 16, v150
	v_and_b32_e32 v150, 0xff00, v151
	s_mov_b32 s24, 0
	s_mov_b32 s21, exec_lo
	v_or3_b32 v6, v6, v9, v148
	v_lshlrev_b32_e32 v9, 24, v149
	v_and_b32_e32 v147, 0xff0000, v147
	v_or3_b32 v7, 0, v7, v150
	v_and_b32_e32 v149, 0xff, v8
	v_or3_b32 v6, v6, 0, 0
	s_delay_alu instid0(VALU_DEP_3) | instskip(NEXT) | instid1(VALU_DEP_2)
	v_or3_b32 v148, v7, v147, v9
	v_or3_b32 v147, v6, 0, 0
	s_delay_alu instid0(VALU_DEP_4)
	v_cmpx_eq_u16_e64 0, v149
	s_cbranch_execz .LBB8_138
; %bb.111:
	v_cmp_ne_u64_e64 s20, 0, v[145:146]
	s_mov_b64 s[26:27], src_private_base
	s_delay_alu instid0(SALU_CYCLE_1) | instskip(NEXT) | instid1(VALU_DEP_2)
	v_cmp_ne_u32_e64 s19, s27, v146
	v_cndmask_b32_e64 v165, -1, v145, s20
	s_branch .LBB8_113
.LBB8_112:                              ;   in Loop: Header=BB8_113 Depth=1
	s_or_b32 exec_lo, exec_lo, s20
	v_and_b32_e32 v9, 0xff, v8
	s_delay_alu instid0(VALU_DEP_1) | instskip(NEXT) | instid1(VALU_DEP_1)
	v_cmp_ne_u16_e64 s20, 0, v9
	s_or_b32 s24, s20, s24
	s_delay_alu instid0(SALU_CYCLE_1)
	s_and_not1_b32 exec_lo, exec_lo, s24
	s_cbranch_execz .LBB8_137
.LBB8_113:                              ; =>This Inner Loop Header: Depth=1
                                        ; implicit-def: $vgpr149_vgpr150
                                        ; implicit-def: $vgpr162_vgpr163
                                        ; implicit-def: $vgpr8
                                        ; implicit-def: $vgpr160_vgpr161
                                        ; implicit-def: $vgpr147_vgpr148
                                        ; implicit-def: $vgpr150_vgpr151
                                        ; implicit-def: $vgpr163_vgpr164
	s_and_saveexec_b32 s20, vcc_lo
	s_delay_alu instid0(SALU_CYCLE_1)
	s_xor_b32 s20, exec_lo, s20
	s_cbranch_execz .LBB8_119
; %bb.114:                              ;   in Loop: Header=BB8_113 Depth=1
                                        ; implicit-def: $vgpr149_vgpr150
                                        ; implicit-def: $vgpr162_vgpr163
                                        ; implicit-def: $vgpr8
                                        ; implicit-def: $vgpr160_vgpr161
                                        ; implicit-def: $vgpr147_vgpr148
                                        ; implicit-def: $vgpr150_vgpr151
                                        ; implicit-def: $vgpr163_vgpr164
	s_and_saveexec_b32 s25, s19
	s_delay_alu instid0(SALU_CYCLE_1)
	s_xor_b32 s25, exec_lo, s25
	s_cbranch_execz .LBB8_116
; %bb.115:                              ;   in Loop: Header=BB8_113 Depth=1
	;;#ASMSTART
	global_load_dwordx4 v[6:9], v[145:146] off glc	
s_waitcnt vmcnt(0)
	;;#ASMEND
	v_lshrrev_b64 v[147:148], 8, v[6:7]
	v_lshlrev_b64 v[148:149], 24, v[8:9]
	v_lshlrev_b64 v[149:150], 16, v[8:9]
	;; [unrolled: 1-line block ×3, first 2 shown]
	v_lshrrev_b32_e32 v151, 8, v7
	v_lshrrev_b32_e32 v150, 16, v7
	;; [unrolled: 1-line block ×3, first 2 shown]
	v_lshrrev_b64 v[163:164], 16, v[6:7]
	v_lshrrev_b64 v[160:161], 24, v[6:7]
	v_or_b32_e32 v162, v151, v148
	v_or_b32_e32 v150, v150, v149
	;; [unrolled: 1-line block ×3, first 2 shown]
.LBB8_116:                              ;   in Loop: Header=BB8_113 Depth=1
	s_and_not1_saveexec_b32 s25, s25
	s_cbranch_execz .LBB8_118
; %bb.117:                              ;   in Loop: Header=BB8_113 Depth=1
	;;#ASMSTART
	flat_load_dwordx4 v[6:9], v[145:146] glc	
s_waitcnt vmcnt(0)
	;;#ASMEND
	v_lshrrev_b64 v[147:148], 8, v[6:7]
	v_lshlrev_b64 v[148:149], 24, v[8:9]
	v_lshlrev_b64 v[149:150], 16, v[8:9]
	;; [unrolled: 1-line block ×3, first 2 shown]
	v_lshrrev_b32_e32 v151, 8, v7
	v_lshrrev_b32_e32 v150, 16, v7
	;; [unrolled: 1-line block ×3, first 2 shown]
	v_lshrrev_b64 v[163:164], 16, v[6:7]
	v_lshrrev_b64 v[160:161], 24, v[6:7]
	v_or_b32_e32 v162, v151, v148
	v_or_b32_e32 v150, v150, v149
	;; [unrolled: 1-line block ×3, first 2 shown]
.LBB8_118:                              ;   in Loop: Header=BB8_113 Depth=1
	s_or_b32 exec_lo, exec_lo, s25
.LBB8_119:                              ;   in Loop: Header=BB8_113 Depth=1
	s_and_not1_saveexec_b32 s20, s20
	s_cbranch_execz .LBB8_112
; %bb.120:                              ;   in Loop: Header=BB8_113 Depth=1
	;;#ASMSTART
	ds_read_b128 v[6:9], v165 	
s_waitcnt lgkmcnt(0)
	;;#ASMEND
	v_lshrrev_b64 v[147:148], 8, v[6:7]
	v_lshlrev_b64 v[148:149], 24, v[8:9]
	v_lshlrev_b64 v[149:150], 16, v[8:9]
	;; [unrolled: 1-line block ×3, first 2 shown]
	v_lshrrev_b32_e32 v151, 8, v7
	v_lshrrev_b32_e32 v150, 16, v7
	;; [unrolled: 1-line block ×3, first 2 shown]
	v_lshrrev_b64 v[163:164], 16, v[6:7]
	v_lshrrev_b64 v[160:161], 24, v[6:7]
	v_or_b32_e32 v162, v151, v148
	v_or_b32_e32 v150, v150, v149
	;; [unrolled: 1-line block ×3, first 2 shown]
	s_branch .LBB8_112
.LBB8_121:
                                        ; implicit-def: $vgpr4_vgpr5_vgpr6_vgpr7_vgpr8_vgpr9_vgpr10_vgpr11_vgpr12_vgpr13_vgpr14_vgpr15_vgpr16_vgpr17_vgpr18_vgpr19_vgpr20_vgpr21_vgpr22_vgpr23_vgpr24_vgpr25_vgpr26_vgpr27_vgpr28_vgpr29_vgpr30_vgpr31_vgpr32_vgpr33_vgpr34_vgpr35
	s_cbranch_execnz .LBB8_254
; %bb.469:
	s_getpc_b64 s[74:75]
.Lpost_getpc0:
	s_add_u32 s74, s74, (.LBB8_373-.Lpost_getpc0)&4294967295
	s_addc_u32 s75, s75, (.LBB8_373-.Lpost_getpc0)>>32
	s_setpc_b64 s[74:75]
.LBB8_122:
	v_add_co_u32 v32, vcc_lo, v30, v195
	v_add_co_ci_u32_e32 v33, vcc_lo, 0, v31, vcc_lo
	flat_load_b64 v[32:33], v[32:33]
	s_or_b32 exec_lo, exec_lo, s2
	s_delay_alu instid0(SALU_CYCLE_1)
	s_mov_b32 s2, exec_lo
	v_cmpx_lt_u32_e64 v199, v181
	s_cbranch_execz .LBB8_5
.LBB8_123:
	v_add_co_u32 v16, vcc_lo, v30, v195
	v_add_co_ci_u32_e32 v17, vcc_lo, 0, v31, vcc_lo
	flat_load_b64 v[16:17], v[16:17] offset:2048
	s_or_b32 exec_lo, exec_lo, s2
	s_delay_alu instid0(SALU_CYCLE_1)
	s_mov_b32 s2, exec_lo
	v_cmpx_lt_u32_e64 v198, v181
	s_cbranch_execz .LBB8_6
.LBB8_124:
	v_lshlrev_b32_e32 v26, 3, v198
	s_delay_alu instid0(VALU_DEP_1) | instskip(SKIP_3) | instid1(SALU_CYCLE_1)
	v_add_co_u32 v26, vcc_lo, v30, v26
	v_add_co_ci_u32_e32 v27, vcc_lo, 0, v31, vcc_lo
	flat_load_b64 v[26:27], v[26:27]
	s_or_b32 exec_lo, exec_lo, s2
	s_mov_b32 s2, exec_lo
	v_cmpx_lt_u32_e64 v197, v181
	s_cbranch_execz .LBB8_7
.LBB8_125:
	v_lshlrev_b32_e32 v28, 3, v197
	s_delay_alu instid0(VALU_DEP_1) | instskip(SKIP_3) | instid1(SALU_CYCLE_1)
	v_add_co_u32 v28, vcc_lo, v30, v28
	v_add_co_ci_u32_e32 v29, vcc_lo, 0, v31, vcc_lo
	flat_load_b64 v[28:29], v[28:29]
	s_or_b32 exec_lo, exec_lo, s2
	s_mov_b32 s2, exec_lo
	v_cmpx_lt_u32_e64 v196, v181
	s_cbranch_execz .LBB8_8
.LBB8_126:
	v_lshlrev_b32_e32 v18, 3, v196
	s_delay_alu instid0(VALU_DEP_1) | instskip(SKIP_3) | instid1(SALU_CYCLE_1)
	v_add_co_u32 v18, vcc_lo, v30, v18
	v_add_co_ci_u32_e32 v19, vcc_lo, 0, v31, vcc_lo
	flat_load_b64 v[18:19], v[18:19]
	s_or_b32 exec_lo, exec_lo, s2
	s_mov_b32 s2, exec_lo
	v_cmpx_lt_u32_e64 v194, v181
	s_cbranch_execz .LBB8_9
.LBB8_127:
	v_lshlrev_b32_e32 v20, 3, v194
	s_delay_alu instid0(VALU_DEP_1) | instskip(SKIP_3) | instid1(SALU_CYCLE_1)
	v_add_co_u32 v20, vcc_lo, v30, v20
	v_add_co_ci_u32_e32 v21, vcc_lo, 0, v31, vcc_lo
	flat_load_b64 v[20:21], v[20:21]
	s_or_b32 exec_lo, exec_lo, s2
	s_mov_b32 s2, exec_lo
	v_cmpx_lt_u32_e64 v193, v181
	s_cbranch_execz .LBB8_10
.LBB8_128:
	v_lshlrev_b32_e32 v22, 3, v193
	s_delay_alu instid0(VALU_DEP_1) | instskip(SKIP_3) | instid1(SALU_CYCLE_1)
	v_add_co_u32 v22, vcc_lo, v30, v22
	v_add_co_ci_u32_e32 v23, vcc_lo, 0, v31, vcc_lo
	flat_load_b64 v[22:23], v[22:23]
	s_or_b32 exec_lo, exec_lo, s2
	s_mov_b32 s2, exec_lo
	v_cmpx_lt_u32_e64 v192, v181
	s_cbranch_execz .LBB8_11
.LBB8_129:
	v_lshlrev_b32_e32 v24, 3, v192
	s_delay_alu instid0(VALU_DEP_1) | instskip(SKIP_3) | instid1(SALU_CYCLE_1)
	v_add_co_u32 v24, vcc_lo, v30, v24
	v_add_co_ci_u32_e32 v25, vcc_lo, 0, v31, vcc_lo
	flat_load_b64 v[24:25], v[24:25]
	s_or_b32 exec_lo, exec_lo, s2
	s_mov_b32 s2, exec_lo
	v_cmpx_lt_u32_e64 v183, v181
	s_cbranch_execz .LBB8_12
.LBB8_130:
	v_lshlrev_b32_e32 v0, 3, v183
	s_delay_alu instid0(VALU_DEP_1) | instskip(SKIP_3) | instid1(SALU_CYCLE_1)
	v_add_co_u32 v0, vcc_lo, v30, v0
	v_add_co_ci_u32_e32 v1, vcc_lo, 0, v31, vcc_lo
	flat_load_b64 v[0:1], v[0:1]
	s_or_b32 exec_lo, exec_lo, s2
	s_mov_b32 s2, exec_lo
	v_cmpx_lt_u32_e64 v180, v181
	s_cbranch_execz .LBB8_13
.LBB8_131:
	v_lshlrev_b32_e32 v2, 3, v180
	s_delay_alu instid0(VALU_DEP_1) | instskip(SKIP_3) | instid1(SALU_CYCLE_1)
	v_add_co_u32 v2, vcc_lo, v30, v2
	v_add_co_ci_u32_e32 v3, vcc_lo, 0, v31, vcc_lo
	flat_load_b64 v[2:3], v[2:3]
	s_or_b32 exec_lo, exec_lo, s2
	s_mov_b32 s2, exec_lo
	v_cmpx_lt_u32_e64 v179, v181
	s_cbranch_execz .LBB8_14
.LBB8_132:
	v_lshlrev_b32_e32 v4, 3, v179
	s_delay_alu instid0(VALU_DEP_1) | instskip(SKIP_3) | instid1(SALU_CYCLE_1)
	v_add_co_u32 v4, vcc_lo, v30, v4
	v_add_co_ci_u32_e32 v5, vcc_lo, 0, v31, vcc_lo
	flat_load_b64 v[4:5], v[4:5]
	s_or_b32 exec_lo, exec_lo, s2
	s_mov_b32 s2, exec_lo
	v_cmpx_lt_u32_e64 v178, v181
	s_cbranch_execz .LBB8_15
.LBB8_133:
	v_lshlrev_b32_e32 v6, 3, v178
	s_delay_alu instid0(VALU_DEP_1) | instskip(SKIP_3) | instid1(SALU_CYCLE_1)
	v_add_co_u32 v6, vcc_lo, v30, v6
	v_add_co_ci_u32_e32 v7, vcc_lo, 0, v31, vcc_lo
	flat_load_b64 v[6:7], v[6:7]
	s_or_b32 exec_lo, exec_lo, s2
	s_mov_b32 s2, exec_lo
	v_cmpx_lt_u32_e64 v177, v181
	s_cbranch_execz .LBB8_16
.LBB8_134:
	v_lshlrev_b32_e32 v8, 3, v177
	s_delay_alu instid0(VALU_DEP_1) | instskip(SKIP_3) | instid1(SALU_CYCLE_1)
	v_add_co_u32 v8, vcc_lo, v30, v8
	v_add_co_ci_u32_e32 v9, vcc_lo, 0, v31, vcc_lo
	flat_load_b64 v[8:9], v[8:9]
	s_or_b32 exec_lo, exec_lo, s2
	s_mov_b32 s2, exec_lo
	v_cmpx_lt_u32_e64 v176, v181
	s_cbranch_execz .LBB8_17
.LBB8_135:
	v_lshlrev_b32_e32 v10, 3, v176
	s_delay_alu instid0(VALU_DEP_1) | instskip(SKIP_3) | instid1(SALU_CYCLE_1)
	v_add_co_u32 v10, vcc_lo, v30, v10
	v_add_co_ci_u32_e32 v11, vcc_lo, 0, v31, vcc_lo
	flat_load_b64 v[10:11], v[10:11]
	s_or_b32 exec_lo, exec_lo, s2
	s_mov_b32 s2, exec_lo
	v_cmpx_lt_u32_e64 v167, v181
	s_cbranch_execz .LBB8_18
.LBB8_136:
	v_lshlrev_b32_e32 v12, 3, v167
	s_delay_alu instid0(VALU_DEP_1) | instskip(SKIP_3) | instid1(SALU_CYCLE_1)
	v_add_co_u32 v12, vcc_lo, v30, v12
	v_add_co_ci_u32_e32 v13, vcc_lo, 0, v31, vcc_lo
	flat_load_b64 v[12:13], v[12:13]
	s_or_b32 exec_lo, exec_lo, s2
	s_mov_b32 s2, exec_lo
	v_cmpx_lt_u32_e64 v135, v181
	s_cbranch_execnz .LBB8_19
	s_branch .LBB8_20
.LBB8_137:
	s_or_b32 exec_lo, exec_lo, s24
	v_lshlrev_b32_e32 v9, 8, v147
	v_lshlrev_b32_e32 v145, 16, v163
	;; [unrolled: 1-line block ×3, first 2 shown]
	v_and_b32_e32 v7, 0xff, v7
	v_lshlrev_b32_e32 v147, 16, v150
	v_perm_b32 v6, v9, v6, 0xc0c0500
	v_and_b32_e32 v9, 0xff0000, v145
	v_lshlrev_b32_e32 v145, 24, v160
	v_and_b32_e32 v146, 0xff00, v146
	s_delay_alu instid0(VALU_DEP_2) | instskip(NEXT) | instid1(VALU_DEP_2)
	v_or3_b32 v6, v6, v9, v145
	v_or3_b32 v7, 0, v7, v146
	v_and_b32_e32 v9, 0xff0000, v147
	v_lshlrev_b32_e32 v145, 24, v149
	s_delay_alu instid0(VALU_DEP_4) | instskip(NEXT) | instid1(VALU_DEP_2)
	v_or3_b32 v6, v6, 0, 0
	v_or3_b32 v148, v7, v9, v145
	s_delay_alu instid0(VALU_DEP_2)
	v_or3_b32 v147, v6, 0, 0
.LBB8_138:
	s_or_b32 exec_lo, exec_lo, s21
	v_cmp_ne_u32_e32 vcc_lo, 31, v209
	v_and_b32_e32 v7, 0xff, v8
	v_lshlrev_b32_e64 v213, v209, -1
	s_mov_b32 s28, exec_lo
	v_add_co_ci_u32_e32 v6, vcc_lo, 0, v209, vcc_lo
	s_delay_alu instid0(VALU_DEP_3) | instskip(NEXT) | instid1(VALU_DEP_2)
	v_cmp_eq_u16_e32 vcc_lo, 2, v7
	v_lshlrev_b32_e32 v212, 2, v6
	v_and_or_b32 v6, vcc_lo, v213, 0x80000000
	s_delay_alu instid0(VALU_DEP_1)
	v_ctz_i32_b32_e32 v9, v6
	v_dual_mov_b32 v6, v147 :: v_dual_mov_b32 v7, v148
	ds_bpermute_b32 v145, v212, v147
	ds_bpermute_b32 v146, v212, v148
	v_cmpx_lt_u32_e64 v209, v9
	s_cbranch_execz .LBB8_142
; %bb.139:
	s_waitcnt lgkmcnt(0)
	v_max_f64 v[6:7], v[145:146], v[145:146]
	v_max_f64 v[149:150], v[147:148], v[147:148]
	v_cmp_u_f64_e32 vcc_lo, v[145:146], v[145:146]
	v_cmp_u_f64_e64 s19, v[147:148], v[147:148]
	s_delay_alu instid0(VALU_DEP_3) | instskip(SKIP_1) | instid1(VALU_DEP_2)
	v_min_f64 v[160:161], v[6:7], v[149:150]
	v_max_f64 v[6:7], v[6:7], v[149:150]
	v_dual_cndmask_b32 v149, v160, v145 :: v_dual_cndmask_b32 v150, v161, v146
	s_delay_alu instid0(VALU_DEP_2) | instskip(NEXT) | instid1(VALU_DEP_2)
	v_dual_cndmask_b32 v7, v7, v146 :: v_dual_cndmask_b32 v6, v6, v145
	v_cndmask_b32_e64 v149, v149, v147, s19
	s_delay_alu instid0(VALU_DEP_3) | instskip(NEXT) | instid1(VALU_DEP_3)
	v_cndmask_b32_e64 v150, v150, v148, s19
	v_cndmask_b32_e64 v7, v7, v148, s19
	s_delay_alu instid0(VALU_DEP_4) | instskip(NEXT) | instid1(VALU_DEP_3)
	v_cndmask_b32_e64 v6, v6, v147, s19
	v_cmp_class_f64_e64 s19, v[149:150], 0x1f8
	s_delay_alu instid0(VALU_DEP_2) | instskip(NEXT) | instid1(VALU_DEP_2)
	v_cmp_neq_f64_e32 vcc_lo, v[149:150], v[6:7]
	s_or_b32 s19, vcc_lo, s19
	s_delay_alu instid0(SALU_CYCLE_1)
	s_and_saveexec_b32 s29, s19
	s_cbranch_execz .LBB8_141
; %bb.140:
	v_add_f64 v[145:146], v[149:150], -v[6:7]
	s_mov_b32 s20, 0x652b82fe
	s_mov_b32 s21, 0x3ff71547
	;; [unrolled: 1-line block ×5, first 2 shown]
	s_mov_b32 vcc_lo, 0x6a5dcb37
	s_mov_b32 s27, 0x3e928af3
	s_mov_b32 vcc_hi, 0x3e5ade15
	s_mov_b32 s30, 0xbf559e2b
	s_mov_b32 s31, 0x3fc3ab76
	s_delay_alu instid0(VALU_DEP_1) | instskip(SKIP_3) | instid1(VALU_DEP_2)
	v_mul_f64 v[147:148], v[145:146], s[20:21]
	s_mov_b32 s21, 0xbfe62e42
	s_mov_b32 s20, 0xfefa39ef
	v_cmp_ngt_f64_e64 s19, 0xc090cc00, v[145:146]
	v_rndne_f64_e32 v[147:148], v[147:148]
	s_delay_alu instid0(VALU_DEP_1) | instskip(SKIP_2) | instid1(VALU_DEP_2)
	v_fma_f64 v[149:150], v[147:148], s[20:21], v[145:146]
	v_cvt_i32_f64_e32 v151, v[147:148]
	s_mov_b32 s21, 0x3fe62e42
	v_fma_f64 v[149:150], v[147:148], s[24:25], v[149:150]
	s_mov_b32 s25, 0x3c7abc9e
	s_delay_alu instid0(VALU_DEP_1) | instskip(SKIP_3) | instid1(VALU_DEP_2)
	v_fma_f64 v[160:161], v[149:150], vcc, s[26:27]
	s_mov_b32 s26, 0x623fde64
	s_mov_b32 s27, 0x3ec71dee
	v_cmp_nlt_f64_e32 vcc_lo, 0x40900000, v[145:146]
	v_fma_f64 v[160:161], v[149:150], v[160:161], s[26:27]
	s_mov_b32 s26, 0x7c89e6b0
	s_mov_b32 s27, 0x3efa0199
	s_delay_alu instid0(VALU_DEP_1) | instid1(SALU_CYCLE_1)
	v_fma_f64 v[160:161], v[149:150], v[160:161], s[26:27]
	s_mov_b32 s26, 0x14761f6e
	s_mov_b32 s27, 0x3f2a01a0
	s_delay_alu instid0(VALU_DEP_1) | instid1(SALU_CYCLE_1)
	;; [unrolled: 4-line block ×7, first 2 shown]
	v_fma_f64 v[160:161], v[149:150], v[160:161], s[26:27]
	s_mov_b32 s27, 0x3fe55555
	s_mov_b32 s26, 0x55555555
	s_delay_alu instid0(VALU_DEP_1) | instskip(NEXT) | instid1(VALU_DEP_1)
	v_fma_f64 v[160:161], v[149:150], v[160:161], 1.0
	v_fma_f64 v[147:148], v[149:150], v[160:161], 1.0
	s_delay_alu instid0(VALU_DEP_1) | instskip(NEXT) | instid1(VALU_DEP_1)
	v_ldexp_f64 v[147:148], v[147:148], v151
	v_cndmask_b32_e32 v148, 0x7ff00000, v148, vcc_lo
	s_and_b32 vcc_lo, s19, vcc_lo
	s_delay_alu instid0(VALU_DEP_1) | instskip(NEXT) | instid1(VALU_DEP_3)
	v_cndmask_b32_e64 v146, 0, v148, s19
	v_cndmask_b32_e32 v145, 0, v147, vcc_lo
	s_delay_alu instid0(VALU_DEP_1) | instskip(NEXT) | instid1(VALU_DEP_1)
	v_add_f64 v[147:148], v[145:146], 1.0
	v_frexp_mant_f64_e32 v[149:150], v[147:148]
	v_frexp_exp_i32_f64_e32 v151, v[147:148]
	v_add_f64 v[160:161], v[147:148], -1.0
	s_delay_alu instid0(VALU_DEP_3) | instskip(SKIP_1) | instid1(VALU_DEP_2)
	v_cmp_gt_f64_e32 vcc_lo, s[26:27], v[149:150]
	s_mov_b32 s26, 0x55555780
	v_add_f64 v[149:150], v[160:161], -v[147:148]
	v_add_f64 v[160:161], v[145:146], -v[160:161]
	v_subrev_co_ci_u32_e32 v151, vcc_lo, 0, v151, vcc_lo
	s_delay_alu instid0(VALU_DEP_3) | instskip(SKIP_2) | instid1(VALU_DEP_2)
	v_add_f64 v[149:150], v[149:150], 1.0
	s_mov_b32 vcc_lo, 0x6b47b09a
	s_mov_b32 vcc_hi, 0x3fc38538
	v_sub_nc_u32_e32 v164, 0, v151
	s_delay_alu instid0(VALU_DEP_1) | instskip(NEXT) | instid1(VALU_DEP_3)
	v_ldexp_f64 v[147:148], v[147:148], v164
	v_add_f64 v[149:150], v[160:161], v[149:150]
	s_delay_alu instid0(VALU_DEP_2) | instskip(SKIP_1) | instid1(VALU_DEP_3)
	v_add_f64 v[162:163], v[147:148], 1.0
	v_add_f64 v[224:225], v[147:148], -1.0
	v_ldexp_f64 v[149:150], v[149:150], v164
	s_delay_alu instid0(VALU_DEP_3) | instskip(NEXT) | instid1(VALU_DEP_3)
	v_add_f64 v[160:161], v[162:163], -1.0
	v_add_f64 v[226:227], v[224:225], 1.0
	s_delay_alu instid0(VALU_DEP_2) | instskip(NEXT) | instid1(VALU_DEP_2)
	v_add_f64 v[160:161], v[147:148], -v[160:161]
	v_add_f64 v[147:148], v[147:148], -v[226:227]
	s_delay_alu instid0(VALU_DEP_2) | instskip(NEXT) | instid1(VALU_DEP_2)
	v_add_f64 v[160:161], v[149:150], v[160:161]
	v_add_f64 v[147:148], v[149:150], v[147:148]
	s_delay_alu instid0(VALU_DEP_2) | instskip(NEXT) | instid1(VALU_DEP_2)
	v_add_f64 v[164:165], v[162:163], v[160:161]
	v_add_f64 v[226:227], v[224:225], v[147:148]
	s_delay_alu instid0(VALU_DEP_2) | instskip(SKIP_1) | instid1(VALU_DEP_2)
	v_rcp_f64_e32 v[214:215], v[164:165]
	v_add_f64 v[162:163], v[164:165], -v[162:163]
	v_add_f64 v[224:225], v[226:227], -v[224:225]
	s_delay_alu instid0(VALU_DEP_2) | instskip(SKIP_3) | instid1(VALU_DEP_2)
	v_add_f64 v[160:161], v[160:161], -v[162:163]
	s_waitcnt_depctr 0xfff
	v_fma_f64 v[228:229], -v[164:165], v[214:215], 1.0
	v_add_f64 v[147:148], v[147:148], -v[224:225]
	v_fma_f64 v[214:215], v[228:229], v[214:215], v[214:215]
	s_delay_alu instid0(VALU_DEP_1) | instskip(NEXT) | instid1(VALU_DEP_1)
	v_fma_f64 v[149:150], -v[164:165], v[214:215], 1.0
	v_fma_f64 v[149:150], v[149:150], v[214:215], v[214:215]
	s_delay_alu instid0(VALU_DEP_1) | instskip(NEXT) | instid1(VALU_DEP_1)
	v_mul_f64 v[214:215], v[226:227], v[149:150]
	v_mul_f64 v[228:229], v[164:165], v[214:215]
	s_delay_alu instid0(VALU_DEP_1) | instskip(NEXT) | instid1(VALU_DEP_1)
	v_fma_f64 v[162:163], v[214:215], v[164:165], -v[228:229]
	v_fma_f64 v[162:163], v[214:215], v[160:161], v[162:163]
	s_delay_alu instid0(VALU_DEP_1) | instskip(NEXT) | instid1(VALU_DEP_1)
	v_add_f64 v[230:231], v[228:229], v[162:163]
	v_add_f64 v[240:241], v[226:227], -v[230:231]
	v_add_f64 v[224:225], v[230:231], -v[228:229]
	s_delay_alu instid0(VALU_DEP_2) | instskip(NEXT) | instid1(VALU_DEP_2)
	v_add_f64 v[226:227], v[226:227], -v[240:241]
	v_add_f64 v[162:163], v[224:225], -v[162:163]
	s_delay_alu instid0(VALU_DEP_2) | instskip(NEXT) | instid1(VALU_DEP_1)
	v_add_f64 v[226:227], v[226:227], -v[230:231]
	v_add_f64 v[147:148], v[147:148], v[226:227]
	s_delay_alu instid0(VALU_DEP_1) | instskip(NEXT) | instid1(VALU_DEP_1)
	v_add_f64 v[147:148], v[162:163], v[147:148]
	v_add_f64 v[162:163], v[240:241], v[147:148]
	s_delay_alu instid0(VALU_DEP_1) | instskip(SKIP_1) | instid1(VALU_DEP_2)
	v_mul_f64 v[224:225], v[149:150], v[162:163]
	v_add_f64 v[230:231], v[240:241], -v[162:163]
	v_mul_f64 v[226:227], v[164:165], v[224:225]
	s_delay_alu instid0(VALU_DEP_2) | instskip(NEXT) | instid1(VALU_DEP_2)
	v_add_f64 v[147:148], v[147:148], v[230:231]
	v_fma_f64 v[164:165], v[224:225], v[164:165], -v[226:227]
	s_delay_alu instid0(VALU_DEP_1) | instskip(NEXT) | instid1(VALU_DEP_1)
	v_fma_f64 v[160:161], v[224:225], v[160:161], v[164:165]
	v_add_f64 v[164:165], v[226:227], v[160:161]
	s_delay_alu instid0(VALU_DEP_1) | instskip(SKIP_1) | instid1(VALU_DEP_2)
	v_add_f64 v[228:229], v[162:163], -v[164:165]
	v_add_f64 v[226:227], v[164:165], -v[226:227]
	;; [unrolled: 1-line block ×3, first 2 shown]
	s_delay_alu instid0(VALU_DEP_2) | instskip(NEXT) | instid1(VALU_DEP_2)
	v_add_f64 v[160:161], v[226:227], -v[160:161]
	v_add_f64 v[162:163], v[162:163], -v[164:165]
	s_delay_alu instid0(VALU_DEP_1) | instskip(SKIP_1) | instid1(VALU_DEP_2)
	v_add_f64 v[147:148], v[147:148], v[162:163]
	v_add_f64 v[162:163], v[214:215], v[224:225]
	;; [unrolled: 1-line block ×3, first 2 shown]
	s_delay_alu instid0(VALU_DEP_2) | instskip(NEXT) | instid1(VALU_DEP_2)
	v_add_f64 v[160:161], v[162:163], -v[214:215]
	v_add_f64 v[147:148], v[228:229], v[147:148]
	s_delay_alu instid0(VALU_DEP_2) | instskip(NEXT) | instid1(VALU_DEP_2)
	v_add_f64 v[160:161], v[224:225], -v[160:161]
	v_mul_f64 v[147:148], v[149:150], v[147:148]
	s_delay_alu instid0(VALU_DEP_1) | instskip(NEXT) | instid1(VALU_DEP_1)
	v_add_f64 v[147:148], v[160:161], v[147:148]
	v_add_f64 v[149:150], v[162:163], v[147:148]
	s_delay_alu instid0(VALU_DEP_1) | instskip(NEXT) | instid1(VALU_DEP_1)
	v_mul_f64 v[160:161], v[149:150], v[149:150]
	v_fma_f64 v[164:165], v[160:161], s[30:31], vcc
	s_mov_b32 vcc_lo, 0xd7f4df2e
	s_mov_b32 vcc_hi, 0x3fc7474d
	v_mul_f64 v[214:215], v[149:150], v[160:161]
	s_delay_alu instid0(VALU_DEP_2)
	v_fma_f64 v[164:165], v[160:161], v[164:165], vcc
	s_mov_b32 vcc_lo, 0x16291751
	s_mov_b32 vcc_hi, 0x3fcc71c0
	s_delay_alu instid0(VALU_DEP_1) | instid1(SALU_CYCLE_1)
	v_fma_f64 v[164:165], v[160:161], v[164:165], vcc
	s_mov_b32 vcc_lo, 0x9b27acf1
	s_mov_b32 vcc_hi, 0x3fd24924
	s_delay_alu instid0(VALU_DEP_1) | instid1(SALU_CYCLE_1)
	;; [unrolled: 4-line block ×3, first 2 shown]
	v_fma_f64 v[164:165], v[160:161], v[164:165], vcc
	v_cmp_eq_f64_e32 vcc_lo, 0x7ff00000, v[145:146]
	s_delay_alu instid0(VALU_DEP_2) | instskip(SKIP_2) | instid1(VALU_DEP_3)
	v_fma_f64 v[160:161], v[160:161], v[164:165], s[26:27]
	v_ldexp_f64 v[164:165], v[149:150], 1
	v_add_f64 v[149:150], v[149:150], -v[162:163]
	v_mul_f64 v[160:161], v[214:215], v[160:161]
	v_cvt_f64_i32_e32 v[214:215], v151
	s_delay_alu instid0(VALU_DEP_3) | instskip(NEXT) | instid1(VALU_DEP_3)
	v_add_f64 v[147:148], v[147:148], -v[149:150]
	v_add_f64 v[162:163], v[164:165], v[160:161]
	s_delay_alu instid0(VALU_DEP_3) | instskip(NEXT) | instid1(VALU_DEP_3)
	v_mul_f64 v[224:225], v[214:215], s[20:21]
	v_ldexp_f64 v[147:148], v[147:148], 1
	s_delay_alu instid0(VALU_DEP_3) | instskip(NEXT) | instid1(VALU_DEP_3)
	v_add_f64 v[149:150], v[162:163], -v[164:165]
	v_fma_f64 v[164:165], v[214:215], s[20:21], -v[224:225]
	s_delay_alu instid0(VALU_DEP_2) | instskip(NEXT) | instid1(VALU_DEP_2)
	v_add_f64 v[149:150], v[160:161], -v[149:150]
	v_fma_f64 v[160:161], v[214:215], s[24:25], v[164:165]
	s_delay_alu instid0(VALU_DEP_2) | instskip(NEXT) | instid1(VALU_DEP_2)
	v_add_f64 v[147:148], v[147:148], v[149:150]
	v_add_f64 v[149:150], v[224:225], v[160:161]
	s_delay_alu instid0(VALU_DEP_2) | instskip(NEXT) | instid1(VALU_DEP_2)
	v_add_f64 v[164:165], v[162:163], v[147:148]
	v_add_f64 v[224:225], v[149:150], -v[224:225]
	s_delay_alu instid0(VALU_DEP_2) | instskip(SKIP_1) | instid1(VALU_DEP_3)
	v_add_f64 v[214:215], v[149:150], v[164:165]
	v_add_f64 v[162:163], v[164:165], -v[162:163]
	v_add_f64 v[160:161], v[160:161], -v[224:225]
	s_delay_alu instid0(VALU_DEP_3) | instskip(NEXT) | instid1(VALU_DEP_3)
	v_add_f64 v[226:227], v[214:215], -v[149:150]
	v_add_f64 v[147:148], v[147:148], -v[162:163]
	s_delay_alu instid0(VALU_DEP_2) | instskip(SKIP_1) | instid1(VALU_DEP_3)
	v_add_f64 v[228:229], v[214:215], -v[226:227]
	v_add_f64 v[162:163], v[164:165], -v[226:227]
	v_add_f64 v[164:165], v[160:161], v[147:148]
	s_delay_alu instid0(VALU_DEP_3) | instskip(NEXT) | instid1(VALU_DEP_1)
	v_add_f64 v[149:150], v[149:150], -v[228:229]
	v_add_f64 v[149:150], v[162:163], v[149:150]
	s_delay_alu instid0(VALU_DEP_3) | instskip(NEXT) | instid1(VALU_DEP_2)
	v_add_f64 v[162:163], v[164:165], -v[160:161]
	v_add_f64 v[149:150], v[164:165], v[149:150]
	s_delay_alu instid0(VALU_DEP_2) | instskip(SKIP_1) | instid1(VALU_DEP_3)
	v_add_f64 v[164:165], v[164:165], -v[162:163]
	v_add_f64 v[147:148], v[147:148], -v[162:163]
	v_add_f64 v[224:225], v[214:215], v[149:150]
	s_delay_alu instid0(VALU_DEP_3) | instskip(NEXT) | instid1(VALU_DEP_2)
	v_add_f64 v[160:161], v[160:161], -v[164:165]
	v_add_f64 v[162:163], v[224:225], -v[214:215]
	s_delay_alu instid0(VALU_DEP_2) | instskip(NEXT) | instid1(VALU_DEP_2)
	v_add_f64 v[147:148], v[147:148], v[160:161]
	v_add_f64 v[149:150], v[149:150], -v[162:163]
	s_delay_alu instid0(VALU_DEP_1) | instskip(NEXT) | instid1(VALU_DEP_1)
	v_add_f64 v[147:148], v[147:148], v[149:150]
	v_add_f64 v[147:148], v[224:225], v[147:148]
	s_delay_alu instid0(VALU_DEP_1) | instskip(SKIP_1) | instid1(VALU_DEP_2)
	v_dual_cndmask_b32 v148, v148, v146 :: v_dual_cndmask_b32 v147, v147, v145
	v_cmp_ngt_f64_e32 vcc_lo, -1.0, v[145:146]
	v_cndmask_b32_e32 v148, 0x7ff80000, v148, vcc_lo
	v_cmp_nge_f64_e32 vcc_lo, -1.0, v[145:146]
	s_delay_alu instid0(VALU_DEP_4) | instskip(SKIP_1) | instid1(VALU_DEP_4)
	v_cndmask_b32_e32 v147, 0, v147, vcc_lo
	v_cmp_neq_f64_e32 vcc_lo, -1.0, v[145:146]
	v_cndmask_b32_e32 v148, 0xfff00000, v148, vcc_lo
	s_delay_alu instid0(VALU_DEP_1)
	v_add_f64 v[145:146], v[6:7], v[147:148]
.LBB8_141:
	s_or_b32 exec_lo, exec_lo, s29
	s_delay_alu instid0(VALU_DEP_1)
	v_dual_mov_b32 v147, v145 :: v_dual_mov_b32 v148, v146
	v_dual_mov_b32 v6, v145 :: v_dual_mov_b32 v7, v146
.LBB8_142:
	s_or_b32 exec_lo, exec_lo, s28
	v_cmp_gt_u32_e32 vcc_lo, 30, v209
	v_add_nc_u32_e32 v215, 2, v209
	s_mov_b32 s28, exec_lo
	s_waitcnt lgkmcnt(1)
	v_cndmask_b32_e64 v145, 0, 1, vcc_lo
	s_delay_alu instid0(VALU_DEP_1) | instskip(NEXT) | instid1(VALU_DEP_1)
	v_lshlrev_b32_e32 v145, 1, v145
	v_add_lshl_u32 v214, v145, v209, 2
	ds_bpermute_b32 v145, v214, v147
	s_waitcnt lgkmcnt(1)
	ds_bpermute_b32 v146, v214, v148
	v_cmpx_le_u32_e64 v215, v9
	s_cbranch_execz .LBB8_146
; %bb.143:
	s_waitcnt lgkmcnt(0)
	v_max_f64 v[147:148], v[145:146], v[145:146]
	v_max_f64 v[149:150], v[6:7], v[6:7]
	v_cmp_u_f64_e32 vcc_lo, v[145:146], v[145:146]
	v_cmp_u_f64_e64 s19, v[6:7], v[6:7]
	s_delay_alu instid0(VALU_DEP_3) | instskip(SKIP_1) | instid1(VALU_DEP_2)
	v_min_f64 v[160:161], v[147:148], v[149:150]
	v_max_f64 v[147:148], v[147:148], v[149:150]
	v_dual_cndmask_b32 v149, v160, v145 :: v_dual_cndmask_b32 v150, v161, v146
	s_delay_alu instid0(VALU_DEP_2) | instskip(NEXT) | instid1(VALU_DEP_2)
	v_dual_cndmask_b32 v151, v148, v146 :: v_dual_cndmask_b32 v160, v147, v145
	v_cndmask_b32_e64 v147, v149, v6, s19
	s_delay_alu instid0(VALU_DEP_3) | instskip(NEXT) | instid1(VALU_DEP_3)
	v_cndmask_b32_e64 v148, v150, v7, s19
	v_cndmask_b32_e64 v7, v151, v7, s19
	s_delay_alu instid0(VALU_DEP_4) | instskip(NEXT) | instid1(VALU_DEP_3)
	v_cndmask_b32_e64 v6, v160, v6, s19
	v_cmp_class_f64_e64 s19, v[147:148], 0x1f8
	s_delay_alu instid0(VALU_DEP_2) | instskip(NEXT) | instid1(VALU_DEP_2)
	v_cmp_neq_f64_e32 vcc_lo, v[147:148], v[6:7]
	s_or_b32 s19, vcc_lo, s19
	s_delay_alu instid0(SALU_CYCLE_1)
	s_and_saveexec_b32 s29, s19
	s_cbranch_execz .LBB8_145
; %bb.144:
	v_add_f64 v[145:146], v[147:148], -v[6:7]
	s_mov_b32 s20, 0x652b82fe
	s_mov_b32 s21, 0x3ff71547
	;; [unrolled: 1-line block ×5, first 2 shown]
	s_mov_b32 vcc_lo, 0x6a5dcb37
	s_mov_b32 s27, 0x3e928af3
	s_mov_b32 vcc_hi, 0x3e5ade15
	s_mov_b32 s30, 0xbf559e2b
	s_mov_b32 s31, 0x3fc3ab76
	s_delay_alu instid0(VALU_DEP_1) | instskip(SKIP_3) | instid1(VALU_DEP_2)
	v_mul_f64 v[147:148], v[145:146], s[20:21]
	s_mov_b32 s21, 0xbfe62e42
	s_mov_b32 s20, 0xfefa39ef
	v_cmp_ngt_f64_e64 s19, 0xc090cc00, v[145:146]
	v_rndne_f64_e32 v[147:148], v[147:148]
	s_delay_alu instid0(VALU_DEP_1) | instskip(SKIP_2) | instid1(VALU_DEP_2)
	v_fma_f64 v[149:150], v[147:148], s[20:21], v[145:146]
	v_cvt_i32_f64_e32 v151, v[147:148]
	s_mov_b32 s21, 0x3fe62e42
	v_fma_f64 v[149:150], v[147:148], s[24:25], v[149:150]
	s_mov_b32 s25, 0x3c7abc9e
	s_delay_alu instid0(VALU_DEP_1) | instskip(SKIP_3) | instid1(VALU_DEP_2)
	v_fma_f64 v[160:161], v[149:150], vcc, s[26:27]
	s_mov_b32 s26, 0x623fde64
	s_mov_b32 s27, 0x3ec71dee
	v_cmp_nlt_f64_e32 vcc_lo, 0x40900000, v[145:146]
	v_fma_f64 v[160:161], v[149:150], v[160:161], s[26:27]
	s_mov_b32 s26, 0x7c89e6b0
	s_mov_b32 s27, 0x3efa0199
	s_delay_alu instid0(VALU_DEP_1) | instid1(SALU_CYCLE_1)
	v_fma_f64 v[160:161], v[149:150], v[160:161], s[26:27]
	s_mov_b32 s26, 0x14761f6e
	s_mov_b32 s27, 0x3f2a01a0
	s_delay_alu instid0(VALU_DEP_1) | instid1(SALU_CYCLE_1)
	;; [unrolled: 4-line block ×7, first 2 shown]
	v_fma_f64 v[160:161], v[149:150], v[160:161], s[26:27]
	s_mov_b32 s27, 0x3fe55555
	s_mov_b32 s26, 0x55555555
	s_delay_alu instid0(VALU_DEP_1) | instskip(NEXT) | instid1(VALU_DEP_1)
	v_fma_f64 v[160:161], v[149:150], v[160:161], 1.0
	v_fma_f64 v[147:148], v[149:150], v[160:161], 1.0
	s_delay_alu instid0(VALU_DEP_1) | instskip(NEXT) | instid1(VALU_DEP_1)
	v_ldexp_f64 v[147:148], v[147:148], v151
	v_cndmask_b32_e32 v148, 0x7ff00000, v148, vcc_lo
	s_and_b32 vcc_lo, s19, vcc_lo
	s_delay_alu instid0(VALU_DEP_1) | instskip(NEXT) | instid1(VALU_DEP_3)
	v_cndmask_b32_e64 v146, 0, v148, s19
	v_cndmask_b32_e32 v145, 0, v147, vcc_lo
	s_delay_alu instid0(VALU_DEP_1) | instskip(NEXT) | instid1(VALU_DEP_1)
	v_add_f64 v[147:148], v[145:146], 1.0
	v_frexp_mant_f64_e32 v[149:150], v[147:148]
	v_frexp_exp_i32_f64_e32 v151, v[147:148]
	v_add_f64 v[160:161], v[147:148], -1.0
	s_delay_alu instid0(VALU_DEP_3) | instskip(SKIP_1) | instid1(VALU_DEP_2)
	v_cmp_gt_f64_e32 vcc_lo, s[26:27], v[149:150]
	s_mov_b32 s26, 0x55555780
	v_add_f64 v[149:150], v[160:161], -v[147:148]
	v_add_f64 v[160:161], v[145:146], -v[160:161]
	v_subrev_co_ci_u32_e32 v151, vcc_lo, 0, v151, vcc_lo
	s_delay_alu instid0(VALU_DEP_3) | instskip(SKIP_2) | instid1(VALU_DEP_2)
	v_add_f64 v[149:150], v[149:150], 1.0
	s_mov_b32 vcc_lo, 0x6b47b09a
	s_mov_b32 vcc_hi, 0x3fc38538
	v_sub_nc_u32_e32 v164, 0, v151
	s_delay_alu instid0(VALU_DEP_1) | instskip(NEXT) | instid1(VALU_DEP_3)
	v_ldexp_f64 v[147:148], v[147:148], v164
	v_add_f64 v[149:150], v[160:161], v[149:150]
	s_delay_alu instid0(VALU_DEP_2) | instskip(SKIP_1) | instid1(VALU_DEP_3)
	v_add_f64 v[162:163], v[147:148], 1.0
	v_add_f64 v[226:227], v[147:148], -1.0
	v_ldexp_f64 v[149:150], v[149:150], v164
	s_delay_alu instid0(VALU_DEP_3) | instskip(NEXT) | instid1(VALU_DEP_3)
	v_add_f64 v[160:161], v[162:163], -1.0
	v_add_f64 v[228:229], v[226:227], 1.0
	s_delay_alu instid0(VALU_DEP_2) | instskip(NEXT) | instid1(VALU_DEP_2)
	v_add_f64 v[160:161], v[147:148], -v[160:161]
	v_add_f64 v[147:148], v[147:148], -v[228:229]
	s_delay_alu instid0(VALU_DEP_2) | instskip(NEXT) | instid1(VALU_DEP_2)
	v_add_f64 v[160:161], v[149:150], v[160:161]
	v_add_f64 v[147:148], v[149:150], v[147:148]
	s_delay_alu instid0(VALU_DEP_2) | instskip(NEXT) | instid1(VALU_DEP_2)
	v_add_f64 v[164:165], v[162:163], v[160:161]
	v_add_f64 v[228:229], v[226:227], v[147:148]
	s_delay_alu instid0(VALU_DEP_2) | instskip(SKIP_1) | instid1(VALU_DEP_2)
	v_rcp_f64_e32 v[224:225], v[164:165]
	v_add_f64 v[162:163], v[164:165], -v[162:163]
	v_add_f64 v[226:227], v[228:229], -v[226:227]
	s_delay_alu instid0(VALU_DEP_2) | instskip(SKIP_3) | instid1(VALU_DEP_2)
	v_add_f64 v[160:161], v[160:161], -v[162:163]
	s_waitcnt_depctr 0xfff
	v_fma_f64 v[230:231], -v[164:165], v[224:225], 1.0
	v_add_f64 v[147:148], v[147:148], -v[226:227]
	v_fma_f64 v[224:225], v[230:231], v[224:225], v[224:225]
	s_delay_alu instid0(VALU_DEP_1) | instskip(NEXT) | instid1(VALU_DEP_1)
	v_fma_f64 v[149:150], -v[164:165], v[224:225], 1.0
	v_fma_f64 v[149:150], v[149:150], v[224:225], v[224:225]
	s_delay_alu instid0(VALU_DEP_1) | instskip(NEXT) | instid1(VALU_DEP_1)
	v_mul_f64 v[224:225], v[228:229], v[149:150]
	v_mul_f64 v[230:231], v[164:165], v[224:225]
	s_delay_alu instid0(VALU_DEP_1) | instskip(NEXT) | instid1(VALU_DEP_1)
	v_fma_f64 v[162:163], v[224:225], v[164:165], -v[230:231]
	v_fma_f64 v[162:163], v[224:225], v[160:161], v[162:163]
	s_delay_alu instid0(VALU_DEP_1) | instskip(NEXT) | instid1(VALU_DEP_1)
	v_add_f64 v[240:241], v[230:231], v[162:163]
	v_add_f64 v[242:243], v[228:229], -v[240:241]
	v_add_f64 v[226:227], v[240:241], -v[230:231]
	s_delay_alu instid0(VALU_DEP_2) | instskip(NEXT) | instid1(VALU_DEP_2)
	v_add_f64 v[228:229], v[228:229], -v[242:243]
	v_add_f64 v[162:163], v[226:227], -v[162:163]
	s_delay_alu instid0(VALU_DEP_2) | instskip(NEXT) | instid1(VALU_DEP_1)
	v_add_f64 v[228:229], v[228:229], -v[240:241]
	v_add_f64 v[147:148], v[147:148], v[228:229]
	s_delay_alu instid0(VALU_DEP_1) | instskip(NEXT) | instid1(VALU_DEP_1)
	v_add_f64 v[147:148], v[162:163], v[147:148]
	v_add_f64 v[162:163], v[242:243], v[147:148]
	s_delay_alu instid0(VALU_DEP_1) | instskip(SKIP_1) | instid1(VALU_DEP_2)
	v_mul_f64 v[226:227], v[149:150], v[162:163]
	v_add_f64 v[240:241], v[242:243], -v[162:163]
	v_mul_f64 v[228:229], v[164:165], v[226:227]
	s_delay_alu instid0(VALU_DEP_2) | instskip(NEXT) | instid1(VALU_DEP_2)
	v_add_f64 v[147:148], v[147:148], v[240:241]
	v_fma_f64 v[164:165], v[226:227], v[164:165], -v[228:229]
	s_delay_alu instid0(VALU_DEP_1) | instskip(NEXT) | instid1(VALU_DEP_1)
	v_fma_f64 v[160:161], v[226:227], v[160:161], v[164:165]
	v_add_f64 v[164:165], v[228:229], v[160:161]
	s_delay_alu instid0(VALU_DEP_1) | instskip(SKIP_1) | instid1(VALU_DEP_2)
	v_add_f64 v[230:231], v[162:163], -v[164:165]
	v_add_f64 v[228:229], v[164:165], -v[228:229]
	;; [unrolled: 1-line block ×3, first 2 shown]
	s_delay_alu instid0(VALU_DEP_2) | instskip(NEXT) | instid1(VALU_DEP_2)
	v_add_f64 v[160:161], v[228:229], -v[160:161]
	v_add_f64 v[162:163], v[162:163], -v[164:165]
	s_delay_alu instid0(VALU_DEP_1) | instskip(SKIP_1) | instid1(VALU_DEP_2)
	v_add_f64 v[147:148], v[147:148], v[162:163]
	v_add_f64 v[162:163], v[224:225], v[226:227]
	;; [unrolled: 1-line block ×3, first 2 shown]
	s_delay_alu instid0(VALU_DEP_2) | instskip(NEXT) | instid1(VALU_DEP_2)
	v_add_f64 v[160:161], v[162:163], -v[224:225]
	v_add_f64 v[147:148], v[230:231], v[147:148]
	s_delay_alu instid0(VALU_DEP_2) | instskip(NEXT) | instid1(VALU_DEP_2)
	v_add_f64 v[160:161], v[226:227], -v[160:161]
	v_mul_f64 v[147:148], v[149:150], v[147:148]
	s_delay_alu instid0(VALU_DEP_1) | instskip(NEXT) | instid1(VALU_DEP_1)
	v_add_f64 v[147:148], v[160:161], v[147:148]
	v_add_f64 v[149:150], v[162:163], v[147:148]
	s_delay_alu instid0(VALU_DEP_1) | instskip(NEXT) | instid1(VALU_DEP_1)
	v_mul_f64 v[160:161], v[149:150], v[149:150]
	v_fma_f64 v[164:165], v[160:161], s[30:31], vcc
	s_mov_b32 vcc_lo, 0xd7f4df2e
	s_mov_b32 vcc_hi, 0x3fc7474d
	v_mul_f64 v[224:225], v[149:150], v[160:161]
	s_delay_alu instid0(VALU_DEP_2)
	v_fma_f64 v[164:165], v[160:161], v[164:165], vcc
	s_mov_b32 vcc_lo, 0x16291751
	s_mov_b32 vcc_hi, 0x3fcc71c0
	s_delay_alu instid0(VALU_DEP_1) | instid1(SALU_CYCLE_1)
	v_fma_f64 v[164:165], v[160:161], v[164:165], vcc
	s_mov_b32 vcc_lo, 0x9b27acf1
	s_mov_b32 vcc_hi, 0x3fd24924
	s_delay_alu instid0(VALU_DEP_1) | instid1(SALU_CYCLE_1)
	;; [unrolled: 4-line block ×3, first 2 shown]
	v_fma_f64 v[164:165], v[160:161], v[164:165], vcc
	v_cmp_eq_f64_e32 vcc_lo, 0x7ff00000, v[145:146]
	s_delay_alu instid0(VALU_DEP_2) | instskip(SKIP_2) | instid1(VALU_DEP_3)
	v_fma_f64 v[160:161], v[160:161], v[164:165], s[26:27]
	v_ldexp_f64 v[164:165], v[149:150], 1
	v_add_f64 v[149:150], v[149:150], -v[162:163]
	v_mul_f64 v[160:161], v[224:225], v[160:161]
	v_cvt_f64_i32_e32 v[224:225], v151
	s_delay_alu instid0(VALU_DEP_3) | instskip(NEXT) | instid1(VALU_DEP_3)
	v_add_f64 v[147:148], v[147:148], -v[149:150]
	v_add_f64 v[162:163], v[164:165], v[160:161]
	s_delay_alu instid0(VALU_DEP_3) | instskip(NEXT) | instid1(VALU_DEP_3)
	v_mul_f64 v[226:227], v[224:225], s[20:21]
	v_ldexp_f64 v[147:148], v[147:148], 1
	s_delay_alu instid0(VALU_DEP_3) | instskip(NEXT) | instid1(VALU_DEP_3)
	v_add_f64 v[149:150], v[162:163], -v[164:165]
	v_fma_f64 v[164:165], v[224:225], s[20:21], -v[226:227]
	s_delay_alu instid0(VALU_DEP_2) | instskip(NEXT) | instid1(VALU_DEP_2)
	v_add_f64 v[149:150], v[160:161], -v[149:150]
	v_fma_f64 v[160:161], v[224:225], s[24:25], v[164:165]
	s_delay_alu instid0(VALU_DEP_2) | instskip(NEXT) | instid1(VALU_DEP_2)
	v_add_f64 v[147:148], v[147:148], v[149:150]
	v_add_f64 v[149:150], v[226:227], v[160:161]
	s_delay_alu instid0(VALU_DEP_2) | instskip(NEXT) | instid1(VALU_DEP_2)
	v_add_f64 v[164:165], v[162:163], v[147:148]
	v_add_f64 v[226:227], v[149:150], -v[226:227]
	s_delay_alu instid0(VALU_DEP_2) | instskip(SKIP_1) | instid1(VALU_DEP_3)
	v_add_f64 v[224:225], v[149:150], v[164:165]
	v_add_f64 v[162:163], v[164:165], -v[162:163]
	v_add_f64 v[160:161], v[160:161], -v[226:227]
	s_delay_alu instid0(VALU_DEP_3) | instskip(NEXT) | instid1(VALU_DEP_3)
	v_add_f64 v[228:229], v[224:225], -v[149:150]
	v_add_f64 v[147:148], v[147:148], -v[162:163]
	s_delay_alu instid0(VALU_DEP_2) | instskip(SKIP_1) | instid1(VALU_DEP_3)
	v_add_f64 v[230:231], v[224:225], -v[228:229]
	v_add_f64 v[162:163], v[164:165], -v[228:229]
	v_add_f64 v[164:165], v[160:161], v[147:148]
	s_delay_alu instid0(VALU_DEP_3) | instskip(NEXT) | instid1(VALU_DEP_1)
	v_add_f64 v[149:150], v[149:150], -v[230:231]
	v_add_f64 v[149:150], v[162:163], v[149:150]
	s_delay_alu instid0(VALU_DEP_3) | instskip(NEXT) | instid1(VALU_DEP_2)
	v_add_f64 v[162:163], v[164:165], -v[160:161]
	v_add_f64 v[149:150], v[164:165], v[149:150]
	s_delay_alu instid0(VALU_DEP_2) | instskip(SKIP_1) | instid1(VALU_DEP_3)
	v_add_f64 v[164:165], v[164:165], -v[162:163]
	v_add_f64 v[147:148], v[147:148], -v[162:163]
	v_add_f64 v[226:227], v[224:225], v[149:150]
	s_delay_alu instid0(VALU_DEP_3) | instskip(NEXT) | instid1(VALU_DEP_2)
	v_add_f64 v[160:161], v[160:161], -v[164:165]
	v_add_f64 v[162:163], v[226:227], -v[224:225]
	s_delay_alu instid0(VALU_DEP_2) | instskip(NEXT) | instid1(VALU_DEP_2)
	v_add_f64 v[147:148], v[147:148], v[160:161]
	v_add_f64 v[149:150], v[149:150], -v[162:163]
	s_delay_alu instid0(VALU_DEP_1) | instskip(NEXT) | instid1(VALU_DEP_1)
	v_add_f64 v[147:148], v[147:148], v[149:150]
	v_add_f64 v[147:148], v[226:227], v[147:148]
	s_delay_alu instid0(VALU_DEP_1) | instskip(SKIP_1) | instid1(VALU_DEP_2)
	v_dual_cndmask_b32 v148, v148, v146 :: v_dual_cndmask_b32 v147, v147, v145
	v_cmp_ngt_f64_e32 vcc_lo, -1.0, v[145:146]
	v_cndmask_b32_e32 v148, 0x7ff80000, v148, vcc_lo
	v_cmp_nge_f64_e32 vcc_lo, -1.0, v[145:146]
	s_delay_alu instid0(VALU_DEP_4) | instskip(SKIP_1) | instid1(VALU_DEP_4)
	v_cndmask_b32_e32 v147, 0, v147, vcc_lo
	v_cmp_neq_f64_e32 vcc_lo, -1.0, v[145:146]
	v_cndmask_b32_e32 v148, 0xfff00000, v148, vcc_lo
	s_delay_alu instid0(VALU_DEP_1)
	v_add_f64 v[145:146], v[6:7], v[147:148]
.LBB8_145:
	s_or_b32 exec_lo, exec_lo, s29
	s_delay_alu instid0(VALU_DEP_1)
	v_dual_mov_b32 v147, v145 :: v_dual_mov_b32 v148, v146
	v_dual_mov_b32 v6, v145 :: v_dual_mov_b32 v7, v146
.LBB8_146:
	s_or_b32 exec_lo, exec_lo, s28
	v_cmp_gt_u32_e32 vcc_lo, 28, v209
	v_add_nc_u32_e32 v225, 4, v209
	s_mov_b32 s28, exec_lo
	s_waitcnt lgkmcnt(1)
	v_cndmask_b32_e64 v145, 0, 1, vcc_lo
	s_delay_alu instid0(VALU_DEP_1) | instskip(NEXT) | instid1(VALU_DEP_1)
	v_lshlrev_b32_e32 v145, 2, v145
	v_add_lshl_u32 v224, v145, v209, 2
	ds_bpermute_b32 v145, v224, v147
	s_waitcnt lgkmcnt(1)
	ds_bpermute_b32 v146, v224, v148
	v_cmpx_le_u32_e64 v225, v9
	s_cbranch_execz .LBB8_150
; %bb.147:
	s_waitcnt lgkmcnt(0)
	v_max_f64 v[147:148], v[145:146], v[145:146]
	v_max_f64 v[149:150], v[6:7], v[6:7]
	v_cmp_u_f64_e32 vcc_lo, v[145:146], v[145:146]
	v_cmp_u_f64_e64 s19, v[6:7], v[6:7]
	s_delay_alu instid0(VALU_DEP_3) | instskip(SKIP_1) | instid1(VALU_DEP_2)
	v_min_f64 v[160:161], v[147:148], v[149:150]
	v_max_f64 v[147:148], v[147:148], v[149:150]
	v_dual_cndmask_b32 v149, v160, v145 :: v_dual_cndmask_b32 v150, v161, v146
	s_delay_alu instid0(VALU_DEP_2) | instskip(NEXT) | instid1(VALU_DEP_2)
	v_dual_cndmask_b32 v151, v148, v146 :: v_dual_cndmask_b32 v160, v147, v145
	v_cndmask_b32_e64 v147, v149, v6, s19
	s_delay_alu instid0(VALU_DEP_3) | instskip(NEXT) | instid1(VALU_DEP_3)
	v_cndmask_b32_e64 v148, v150, v7, s19
	v_cndmask_b32_e64 v7, v151, v7, s19
	s_delay_alu instid0(VALU_DEP_4) | instskip(NEXT) | instid1(VALU_DEP_3)
	v_cndmask_b32_e64 v6, v160, v6, s19
	v_cmp_class_f64_e64 s19, v[147:148], 0x1f8
	s_delay_alu instid0(VALU_DEP_2) | instskip(NEXT) | instid1(VALU_DEP_2)
	v_cmp_neq_f64_e32 vcc_lo, v[147:148], v[6:7]
	s_or_b32 s19, vcc_lo, s19
	s_delay_alu instid0(SALU_CYCLE_1)
	s_and_saveexec_b32 s29, s19
	s_cbranch_execz .LBB8_149
; %bb.148:
	v_add_f64 v[145:146], v[147:148], -v[6:7]
	s_mov_b32 s20, 0x652b82fe
	s_mov_b32 s21, 0x3ff71547
	;; [unrolled: 1-line block ×5, first 2 shown]
	s_mov_b32 vcc_lo, 0x6a5dcb37
	s_mov_b32 s27, 0x3e928af3
	s_mov_b32 vcc_hi, 0x3e5ade15
	s_mov_b32 s30, 0xbf559e2b
	s_mov_b32 s31, 0x3fc3ab76
	s_delay_alu instid0(VALU_DEP_1) | instskip(SKIP_3) | instid1(VALU_DEP_2)
	v_mul_f64 v[147:148], v[145:146], s[20:21]
	s_mov_b32 s21, 0xbfe62e42
	s_mov_b32 s20, 0xfefa39ef
	v_cmp_ngt_f64_e64 s19, 0xc090cc00, v[145:146]
	v_rndne_f64_e32 v[147:148], v[147:148]
	s_delay_alu instid0(VALU_DEP_1) | instskip(SKIP_2) | instid1(VALU_DEP_2)
	v_fma_f64 v[149:150], v[147:148], s[20:21], v[145:146]
	v_cvt_i32_f64_e32 v151, v[147:148]
	s_mov_b32 s21, 0x3fe62e42
	v_fma_f64 v[149:150], v[147:148], s[24:25], v[149:150]
	s_mov_b32 s25, 0x3c7abc9e
	s_delay_alu instid0(VALU_DEP_1) | instskip(SKIP_3) | instid1(VALU_DEP_2)
	v_fma_f64 v[160:161], v[149:150], vcc, s[26:27]
	s_mov_b32 s26, 0x623fde64
	s_mov_b32 s27, 0x3ec71dee
	v_cmp_nlt_f64_e32 vcc_lo, 0x40900000, v[145:146]
	v_fma_f64 v[160:161], v[149:150], v[160:161], s[26:27]
	s_mov_b32 s26, 0x7c89e6b0
	s_mov_b32 s27, 0x3efa0199
	s_delay_alu instid0(VALU_DEP_1) | instid1(SALU_CYCLE_1)
	v_fma_f64 v[160:161], v[149:150], v[160:161], s[26:27]
	s_mov_b32 s26, 0x14761f6e
	s_mov_b32 s27, 0x3f2a01a0
	s_delay_alu instid0(VALU_DEP_1) | instid1(SALU_CYCLE_1)
	;; [unrolled: 4-line block ×7, first 2 shown]
	v_fma_f64 v[160:161], v[149:150], v[160:161], s[26:27]
	s_mov_b32 s27, 0x3fe55555
	s_mov_b32 s26, 0x55555555
	s_delay_alu instid0(VALU_DEP_1) | instskip(NEXT) | instid1(VALU_DEP_1)
	v_fma_f64 v[160:161], v[149:150], v[160:161], 1.0
	v_fma_f64 v[147:148], v[149:150], v[160:161], 1.0
	s_delay_alu instid0(VALU_DEP_1) | instskip(NEXT) | instid1(VALU_DEP_1)
	v_ldexp_f64 v[147:148], v[147:148], v151
	v_cndmask_b32_e32 v148, 0x7ff00000, v148, vcc_lo
	s_and_b32 vcc_lo, s19, vcc_lo
	s_delay_alu instid0(VALU_DEP_1) | instskip(NEXT) | instid1(VALU_DEP_3)
	v_cndmask_b32_e64 v146, 0, v148, s19
	v_cndmask_b32_e32 v145, 0, v147, vcc_lo
	s_delay_alu instid0(VALU_DEP_1) | instskip(NEXT) | instid1(VALU_DEP_1)
	v_add_f64 v[147:148], v[145:146], 1.0
	v_frexp_mant_f64_e32 v[149:150], v[147:148]
	v_frexp_exp_i32_f64_e32 v151, v[147:148]
	v_add_f64 v[160:161], v[147:148], -1.0
	s_delay_alu instid0(VALU_DEP_3) | instskip(SKIP_1) | instid1(VALU_DEP_2)
	v_cmp_gt_f64_e32 vcc_lo, s[26:27], v[149:150]
	s_mov_b32 s26, 0x55555780
	v_add_f64 v[149:150], v[160:161], -v[147:148]
	v_add_f64 v[160:161], v[145:146], -v[160:161]
	v_subrev_co_ci_u32_e32 v151, vcc_lo, 0, v151, vcc_lo
	s_delay_alu instid0(VALU_DEP_3) | instskip(SKIP_2) | instid1(VALU_DEP_2)
	v_add_f64 v[149:150], v[149:150], 1.0
	s_mov_b32 vcc_lo, 0x6b47b09a
	s_mov_b32 vcc_hi, 0x3fc38538
	v_sub_nc_u32_e32 v164, 0, v151
	s_delay_alu instid0(VALU_DEP_1) | instskip(NEXT) | instid1(VALU_DEP_3)
	v_ldexp_f64 v[147:148], v[147:148], v164
	v_add_f64 v[149:150], v[160:161], v[149:150]
	s_delay_alu instid0(VALU_DEP_2) | instskip(SKIP_1) | instid1(VALU_DEP_3)
	v_add_f64 v[162:163], v[147:148], 1.0
	v_add_f64 v[228:229], v[147:148], -1.0
	v_ldexp_f64 v[149:150], v[149:150], v164
	s_delay_alu instid0(VALU_DEP_3) | instskip(NEXT) | instid1(VALU_DEP_3)
	v_add_f64 v[160:161], v[162:163], -1.0
	v_add_f64 v[230:231], v[228:229], 1.0
	s_delay_alu instid0(VALU_DEP_2) | instskip(NEXT) | instid1(VALU_DEP_2)
	v_add_f64 v[160:161], v[147:148], -v[160:161]
	v_add_f64 v[147:148], v[147:148], -v[230:231]
	s_delay_alu instid0(VALU_DEP_2) | instskip(NEXT) | instid1(VALU_DEP_2)
	v_add_f64 v[160:161], v[149:150], v[160:161]
	v_add_f64 v[147:148], v[149:150], v[147:148]
	s_delay_alu instid0(VALU_DEP_2) | instskip(NEXT) | instid1(VALU_DEP_2)
	v_add_f64 v[164:165], v[162:163], v[160:161]
	v_add_f64 v[230:231], v[228:229], v[147:148]
	s_delay_alu instid0(VALU_DEP_2) | instskip(SKIP_1) | instid1(VALU_DEP_2)
	v_rcp_f64_e32 v[226:227], v[164:165]
	v_add_f64 v[162:163], v[164:165], -v[162:163]
	v_add_f64 v[228:229], v[230:231], -v[228:229]
	s_delay_alu instid0(VALU_DEP_2) | instskip(SKIP_3) | instid1(VALU_DEP_2)
	v_add_f64 v[160:161], v[160:161], -v[162:163]
	s_waitcnt_depctr 0xfff
	v_fma_f64 v[240:241], -v[164:165], v[226:227], 1.0
	v_add_f64 v[147:148], v[147:148], -v[228:229]
	v_fma_f64 v[226:227], v[240:241], v[226:227], v[226:227]
	s_delay_alu instid0(VALU_DEP_1) | instskip(NEXT) | instid1(VALU_DEP_1)
	v_fma_f64 v[149:150], -v[164:165], v[226:227], 1.0
	v_fma_f64 v[149:150], v[149:150], v[226:227], v[226:227]
	s_delay_alu instid0(VALU_DEP_1) | instskip(NEXT) | instid1(VALU_DEP_1)
	v_mul_f64 v[226:227], v[230:231], v[149:150]
	v_mul_f64 v[240:241], v[164:165], v[226:227]
	s_delay_alu instid0(VALU_DEP_1) | instskip(NEXT) | instid1(VALU_DEP_1)
	v_fma_f64 v[162:163], v[226:227], v[164:165], -v[240:241]
	v_fma_f64 v[162:163], v[226:227], v[160:161], v[162:163]
	s_delay_alu instid0(VALU_DEP_1) | instskip(NEXT) | instid1(VALU_DEP_1)
	v_add_f64 v[242:243], v[240:241], v[162:163]
	v_add_f64 v[244:245], v[230:231], -v[242:243]
	v_add_f64 v[228:229], v[242:243], -v[240:241]
	s_delay_alu instid0(VALU_DEP_2) | instskip(NEXT) | instid1(VALU_DEP_2)
	v_add_f64 v[230:231], v[230:231], -v[244:245]
	v_add_f64 v[162:163], v[228:229], -v[162:163]
	s_delay_alu instid0(VALU_DEP_2) | instskip(NEXT) | instid1(VALU_DEP_1)
	v_add_f64 v[230:231], v[230:231], -v[242:243]
	v_add_f64 v[147:148], v[147:148], v[230:231]
	s_delay_alu instid0(VALU_DEP_1) | instskip(NEXT) | instid1(VALU_DEP_1)
	v_add_f64 v[147:148], v[162:163], v[147:148]
	v_add_f64 v[162:163], v[244:245], v[147:148]
	s_delay_alu instid0(VALU_DEP_1) | instskip(SKIP_1) | instid1(VALU_DEP_2)
	v_mul_f64 v[228:229], v[149:150], v[162:163]
	v_add_f64 v[242:243], v[244:245], -v[162:163]
	v_mul_f64 v[230:231], v[164:165], v[228:229]
	s_delay_alu instid0(VALU_DEP_2) | instskip(NEXT) | instid1(VALU_DEP_2)
	v_add_f64 v[147:148], v[147:148], v[242:243]
	v_fma_f64 v[164:165], v[228:229], v[164:165], -v[230:231]
	s_delay_alu instid0(VALU_DEP_1) | instskip(NEXT) | instid1(VALU_DEP_1)
	v_fma_f64 v[160:161], v[228:229], v[160:161], v[164:165]
	v_add_f64 v[164:165], v[230:231], v[160:161]
	s_delay_alu instid0(VALU_DEP_1) | instskip(SKIP_1) | instid1(VALU_DEP_2)
	v_add_f64 v[240:241], v[162:163], -v[164:165]
	v_add_f64 v[230:231], v[164:165], -v[230:231]
	;; [unrolled: 1-line block ×3, first 2 shown]
	s_delay_alu instid0(VALU_DEP_2) | instskip(NEXT) | instid1(VALU_DEP_2)
	v_add_f64 v[160:161], v[230:231], -v[160:161]
	v_add_f64 v[162:163], v[162:163], -v[164:165]
	s_delay_alu instid0(VALU_DEP_1) | instskip(SKIP_1) | instid1(VALU_DEP_2)
	v_add_f64 v[147:148], v[147:148], v[162:163]
	v_add_f64 v[162:163], v[226:227], v[228:229]
	;; [unrolled: 1-line block ×3, first 2 shown]
	s_delay_alu instid0(VALU_DEP_2) | instskip(NEXT) | instid1(VALU_DEP_2)
	v_add_f64 v[160:161], v[162:163], -v[226:227]
	v_add_f64 v[147:148], v[240:241], v[147:148]
	s_delay_alu instid0(VALU_DEP_2) | instskip(NEXT) | instid1(VALU_DEP_2)
	v_add_f64 v[160:161], v[228:229], -v[160:161]
	v_mul_f64 v[147:148], v[149:150], v[147:148]
	s_delay_alu instid0(VALU_DEP_1) | instskip(NEXT) | instid1(VALU_DEP_1)
	v_add_f64 v[147:148], v[160:161], v[147:148]
	v_add_f64 v[149:150], v[162:163], v[147:148]
	s_delay_alu instid0(VALU_DEP_1) | instskip(NEXT) | instid1(VALU_DEP_1)
	v_mul_f64 v[160:161], v[149:150], v[149:150]
	v_fma_f64 v[164:165], v[160:161], s[30:31], vcc
	s_mov_b32 vcc_lo, 0xd7f4df2e
	s_mov_b32 vcc_hi, 0x3fc7474d
	v_mul_f64 v[226:227], v[149:150], v[160:161]
	s_delay_alu instid0(VALU_DEP_2)
	v_fma_f64 v[164:165], v[160:161], v[164:165], vcc
	s_mov_b32 vcc_lo, 0x16291751
	s_mov_b32 vcc_hi, 0x3fcc71c0
	s_delay_alu instid0(VALU_DEP_1) | instid1(SALU_CYCLE_1)
	v_fma_f64 v[164:165], v[160:161], v[164:165], vcc
	s_mov_b32 vcc_lo, 0x9b27acf1
	s_mov_b32 vcc_hi, 0x3fd24924
	s_delay_alu instid0(VALU_DEP_1) | instid1(SALU_CYCLE_1)
	;; [unrolled: 4-line block ×3, first 2 shown]
	v_fma_f64 v[164:165], v[160:161], v[164:165], vcc
	v_cmp_eq_f64_e32 vcc_lo, 0x7ff00000, v[145:146]
	s_delay_alu instid0(VALU_DEP_2) | instskip(SKIP_2) | instid1(VALU_DEP_3)
	v_fma_f64 v[160:161], v[160:161], v[164:165], s[26:27]
	v_ldexp_f64 v[164:165], v[149:150], 1
	v_add_f64 v[149:150], v[149:150], -v[162:163]
	v_mul_f64 v[160:161], v[226:227], v[160:161]
	v_cvt_f64_i32_e32 v[226:227], v151
	s_delay_alu instid0(VALU_DEP_3) | instskip(NEXT) | instid1(VALU_DEP_3)
	v_add_f64 v[147:148], v[147:148], -v[149:150]
	v_add_f64 v[162:163], v[164:165], v[160:161]
	s_delay_alu instid0(VALU_DEP_3) | instskip(NEXT) | instid1(VALU_DEP_3)
	v_mul_f64 v[228:229], v[226:227], s[20:21]
	v_ldexp_f64 v[147:148], v[147:148], 1
	s_delay_alu instid0(VALU_DEP_3) | instskip(NEXT) | instid1(VALU_DEP_3)
	v_add_f64 v[149:150], v[162:163], -v[164:165]
	v_fma_f64 v[164:165], v[226:227], s[20:21], -v[228:229]
	s_delay_alu instid0(VALU_DEP_2) | instskip(NEXT) | instid1(VALU_DEP_2)
	v_add_f64 v[149:150], v[160:161], -v[149:150]
	v_fma_f64 v[160:161], v[226:227], s[24:25], v[164:165]
	s_delay_alu instid0(VALU_DEP_2) | instskip(NEXT) | instid1(VALU_DEP_2)
	v_add_f64 v[147:148], v[147:148], v[149:150]
	v_add_f64 v[149:150], v[228:229], v[160:161]
	s_delay_alu instid0(VALU_DEP_2) | instskip(NEXT) | instid1(VALU_DEP_2)
	v_add_f64 v[164:165], v[162:163], v[147:148]
	v_add_f64 v[228:229], v[149:150], -v[228:229]
	s_delay_alu instid0(VALU_DEP_2) | instskip(SKIP_1) | instid1(VALU_DEP_3)
	v_add_f64 v[226:227], v[149:150], v[164:165]
	v_add_f64 v[162:163], v[164:165], -v[162:163]
	v_add_f64 v[160:161], v[160:161], -v[228:229]
	s_delay_alu instid0(VALU_DEP_3) | instskip(NEXT) | instid1(VALU_DEP_3)
	v_add_f64 v[230:231], v[226:227], -v[149:150]
	v_add_f64 v[147:148], v[147:148], -v[162:163]
	s_delay_alu instid0(VALU_DEP_2) | instskip(SKIP_1) | instid1(VALU_DEP_3)
	v_add_f64 v[240:241], v[226:227], -v[230:231]
	v_add_f64 v[162:163], v[164:165], -v[230:231]
	v_add_f64 v[164:165], v[160:161], v[147:148]
	s_delay_alu instid0(VALU_DEP_3) | instskip(NEXT) | instid1(VALU_DEP_1)
	v_add_f64 v[149:150], v[149:150], -v[240:241]
	v_add_f64 v[149:150], v[162:163], v[149:150]
	s_delay_alu instid0(VALU_DEP_3) | instskip(NEXT) | instid1(VALU_DEP_2)
	v_add_f64 v[162:163], v[164:165], -v[160:161]
	v_add_f64 v[149:150], v[164:165], v[149:150]
	s_delay_alu instid0(VALU_DEP_2) | instskip(SKIP_1) | instid1(VALU_DEP_3)
	v_add_f64 v[164:165], v[164:165], -v[162:163]
	v_add_f64 v[147:148], v[147:148], -v[162:163]
	v_add_f64 v[228:229], v[226:227], v[149:150]
	s_delay_alu instid0(VALU_DEP_3) | instskip(NEXT) | instid1(VALU_DEP_2)
	v_add_f64 v[160:161], v[160:161], -v[164:165]
	v_add_f64 v[162:163], v[228:229], -v[226:227]
	s_delay_alu instid0(VALU_DEP_2) | instskip(NEXT) | instid1(VALU_DEP_2)
	v_add_f64 v[147:148], v[147:148], v[160:161]
	v_add_f64 v[149:150], v[149:150], -v[162:163]
	s_delay_alu instid0(VALU_DEP_1) | instskip(NEXT) | instid1(VALU_DEP_1)
	v_add_f64 v[147:148], v[147:148], v[149:150]
	v_add_f64 v[147:148], v[228:229], v[147:148]
	s_delay_alu instid0(VALU_DEP_1) | instskip(SKIP_1) | instid1(VALU_DEP_2)
	v_dual_cndmask_b32 v148, v148, v146 :: v_dual_cndmask_b32 v147, v147, v145
	v_cmp_ngt_f64_e32 vcc_lo, -1.0, v[145:146]
	v_cndmask_b32_e32 v148, 0x7ff80000, v148, vcc_lo
	v_cmp_nge_f64_e32 vcc_lo, -1.0, v[145:146]
	s_delay_alu instid0(VALU_DEP_4) | instskip(SKIP_1) | instid1(VALU_DEP_4)
	v_cndmask_b32_e32 v147, 0, v147, vcc_lo
	v_cmp_neq_f64_e32 vcc_lo, -1.0, v[145:146]
	v_cndmask_b32_e32 v148, 0xfff00000, v148, vcc_lo
	s_delay_alu instid0(VALU_DEP_1)
	v_add_f64 v[145:146], v[6:7], v[147:148]
.LBB8_149:
	s_or_b32 exec_lo, exec_lo, s29
	s_delay_alu instid0(VALU_DEP_1)
	v_dual_mov_b32 v147, v145 :: v_dual_mov_b32 v148, v146
	v_dual_mov_b32 v6, v145 :: v_dual_mov_b32 v7, v146
.LBB8_150:
	s_or_b32 exec_lo, exec_lo, s28
	v_cmp_gt_u32_e32 vcc_lo, 24, v209
	v_add_nc_u32_e32 v227, 8, v209
	s_mov_b32 s28, exec_lo
	s_waitcnt lgkmcnt(1)
	v_cndmask_b32_e64 v145, 0, 1, vcc_lo
	s_delay_alu instid0(VALU_DEP_1) | instskip(NEXT) | instid1(VALU_DEP_1)
	v_lshlrev_b32_e32 v145, 3, v145
	v_add_lshl_u32 v226, v145, v209, 2
	ds_bpermute_b32 v145, v226, v147
	s_waitcnt lgkmcnt(1)
	ds_bpermute_b32 v146, v226, v148
	v_cmpx_le_u32_e64 v227, v9
	s_cbranch_execz .LBB8_154
; %bb.151:
	s_waitcnt lgkmcnt(0)
	v_max_f64 v[147:148], v[145:146], v[145:146]
	v_max_f64 v[149:150], v[6:7], v[6:7]
	v_cmp_u_f64_e32 vcc_lo, v[145:146], v[145:146]
	v_cmp_u_f64_e64 s19, v[6:7], v[6:7]
	s_delay_alu instid0(VALU_DEP_3) | instskip(SKIP_1) | instid1(VALU_DEP_2)
	v_min_f64 v[160:161], v[147:148], v[149:150]
	v_max_f64 v[147:148], v[147:148], v[149:150]
	v_dual_cndmask_b32 v149, v160, v145 :: v_dual_cndmask_b32 v150, v161, v146
	s_delay_alu instid0(VALU_DEP_2) | instskip(NEXT) | instid1(VALU_DEP_2)
	v_dual_cndmask_b32 v151, v148, v146 :: v_dual_cndmask_b32 v160, v147, v145
	v_cndmask_b32_e64 v147, v149, v6, s19
	s_delay_alu instid0(VALU_DEP_3) | instskip(NEXT) | instid1(VALU_DEP_3)
	v_cndmask_b32_e64 v148, v150, v7, s19
	v_cndmask_b32_e64 v7, v151, v7, s19
	s_delay_alu instid0(VALU_DEP_4) | instskip(NEXT) | instid1(VALU_DEP_3)
	v_cndmask_b32_e64 v6, v160, v6, s19
	v_cmp_class_f64_e64 s19, v[147:148], 0x1f8
	s_delay_alu instid0(VALU_DEP_2) | instskip(NEXT) | instid1(VALU_DEP_2)
	v_cmp_neq_f64_e32 vcc_lo, v[147:148], v[6:7]
	s_or_b32 s19, vcc_lo, s19
	s_delay_alu instid0(SALU_CYCLE_1)
	s_and_saveexec_b32 s29, s19
	s_cbranch_execz .LBB8_153
; %bb.152:
	v_add_f64 v[145:146], v[147:148], -v[6:7]
	s_mov_b32 s20, 0x652b82fe
	s_mov_b32 s21, 0x3ff71547
	;; [unrolled: 1-line block ×5, first 2 shown]
	s_mov_b32 vcc_lo, 0x6a5dcb37
	s_mov_b32 s27, 0x3e928af3
	s_mov_b32 vcc_hi, 0x3e5ade15
	s_mov_b32 s30, 0xbf559e2b
	s_mov_b32 s31, 0x3fc3ab76
	s_delay_alu instid0(VALU_DEP_1) | instskip(SKIP_3) | instid1(VALU_DEP_2)
	v_mul_f64 v[147:148], v[145:146], s[20:21]
	s_mov_b32 s21, 0xbfe62e42
	s_mov_b32 s20, 0xfefa39ef
	v_cmp_ngt_f64_e64 s19, 0xc090cc00, v[145:146]
	v_rndne_f64_e32 v[147:148], v[147:148]
	s_delay_alu instid0(VALU_DEP_1) | instskip(SKIP_1) | instid1(VALU_DEP_1)
	v_fma_f64 v[149:150], v[147:148], s[20:21], v[145:146]
	s_mov_b32 s21, 0x3fe62e42
	v_fma_f64 v[149:150], v[147:148], s[24:25], v[149:150]
	v_cvt_i32_f64_e32 v147, v[147:148]
	s_mov_b32 s25, 0x3c7abc9e
	s_delay_alu instid0(VALU_DEP_2) | instskip(SKIP_3) | instid1(VALU_DEP_2)
	v_fma_f64 v[160:161], v[149:150], vcc, s[26:27]
	s_mov_b32 s26, 0x623fde64
	s_mov_b32 s27, 0x3ec71dee
	v_cmp_nlt_f64_e32 vcc_lo, 0x40900000, v[145:146]
	v_fma_f64 v[160:161], v[149:150], v[160:161], s[26:27]
	s_mov_b32 s26, 0x7c89e6b0
	s_mov_b32 s27, 0x3efa0199
	s_delay_alu instid0(VALU_DEP_1) | instid1(SALU_CYCLE_1)
	v_fma_f64 v[160:161], v[149:150], v[160:161], s[26:27]
	s_mov_b32 s26, 0x14761f6e
	s_mov_b32 s27, 0x3f2a01a0
	s_delay_alu instid0(VALU_DEP_1) | instid1(SALU_CYCLE_1)
	;; [unrolled: 4-line block ×7, first 2 shown]
	v_fma_f64 v[160:161], v[149:150], v[160:161], s[26:27]
	s_mov_b32 s27, 0x3fe55555
	s_mov_b32 s26, 0x55555555
	s_delay_alu instid0(VALU_DEP_1) | instskip(NEXT) | instid1(VALU_DEP_1)
	v_fma_f64 v[160:161], v[149:150], v[160:161], 1.0
	v_fma_f64 v[149:150], v[149:150], v[160:161], 1.0
	s_delay_alu instid0(VALU_DEP_1) | instskip(NEXT) | instid1(VALU_DEP_1)
	v_ldexp_f64 v[147:148], v[149:150], v147
	v_cndmask_b32_e32 v148, 0x7ff00000, v148, vcc_lo
	s_and_b32 vcc_lo, s19, vcc_lo
	s_delay_alu instid0(VALU_DEP_1) | instskip(NEXT) | instid1(VALU_DEP_3)
	v_cndmask_b32_e64 v146, 0, v148, s19
	v_cndmask_b32_e32 v145, 0, v147, vcc_lo
	s_delay_alu instid0(VALU_DEP_1) | instskip(NEXT) | instid1(VALU_DEP_1)
	v_add_f64 v[147:148], v[145:146], 1.0
	v_add_f64 v[149:150], v[147:148], -1.0
	v_frexp_exp_i32_f64_e32 v151, v[147:148]
	s_delay_alu instid0(VALU_DEP_2) | instskip(SKIP_1) | instid1(VALU_DEP_2)
	v_add_f64 v[160:161], v[149:150], -v[147:148]
	v_add_f64 v[149:150], v[145:146], -v[149:150]
	v_add_f64 v[160:161], v[160:161], 1.0
	s_delay_alu instid0(VALU_DEP_1) | instskip(SKIP_1) | instid1(VALU_DEP_1)
	v_add_f64 v[149:150], v[149:150], v[160:161]
	v_frexp_mant_f64_e32 v[160:161], v[147:148]
	v_cmp_gt_f64_e32 vcc_lo, s[26:27], v[160:161]
	s_mov_b32 s26, 0x55555780
	v_subrev_co_ci_u32_e32 v151, vcc_lo, 0, v151, vcc_lo
	s_mov_b32 vcc_lo, 0x6b47b09a
	s_mov_b32 vcc_hi, 0x3fc38538
	s_delay_alu instid0(VALU_DEP_1) | instskip(NEXT) | instid1(VALU_DEP_1)
	v_sub_nc_u32_e32 v160, 0, v151
	v_ldexp_f64 v[147:148], v[147:148], v160
	v_ldexp_f64 v[149:150], v[149:150], v160
	s_delay_alu instid0(VALU_DEP_2) | instskip(NEXT) | instid1(VALU_DEP_1)
	v_add_f64 v[160:161], v[147:148], -1.0
	v_add_f64 v[162:163], v[160:161], 1.0
	s_delay_alu instid0(VALU_DEP_1) | instskip(NEXT) | instid1(VALU_DEP_1)
	v_add_f64 v[162:163], v[147:148], -v[162:163]
	v_add_f64 v[162:163], v[149:150], v[162:163]
	s_delay_alu instid0(VALU_DEP_1) | instskip(NEXT) | instid1(VALU_DEP_1)
	v_add_f64 v[164:165], v[160:161], v[162:163]
	v_add_f64 v[160:161], v[164:165], -v[160:161]
	s_delay_alu instid0(VALU_DEP_1) | instskip(SKIP_1) | instid1(VALU_DEP_1)
	v_add_f64 v[160:161], v[162:163], -v[160:161]
	v_add_f64 v[162:163], v[147:148], 1.0
	v_add_f64 v[228:229], v[162:163], -1.0
	s_delay_alu instid0(VALU_DEP_1) | instskip(NEXT) | instid1(VALU_DEP_1)
	v_add_f64 v[147:148], v[147:148], -v[228:229]
	v_add_f64 v[147:148], v[149:150], v[147:148]
	s_delay_alu instid0(VALU_DEP_1) | instskip(NEXT) | instid1(VALU_DEP_1)
	v_add_f64 v[149:150], v[162:163], v[147:148]
	v_add_f64 v[162:163], v[149:150], -v[162:163]
	s_delay_alu instid0(VALU_DEP_1) | instskip(SKIP_3) | instid1(VALU_DEP_1)
	v_add_f64 v[147:148], v[147:148], -v[162:163]
	v_rcp_f64_e32 v[162:163], v[149:150]
	s_waitcnt_depctr 0xfff
	v_fma_f64 v[228:229], -v[149:150], v[162:163], 1.0
	v_fma_f64 v[162:163], v[228:229], v[162:163], v[162:163]
	s_delay_alu instid0(VALU_DEP_1) | instskip(NEXT) | instid1(VALU_DEP_1)
	v_fma_f64 v[228:229], -v[149:150], v[162:163], 1.0
	v_fma_f64 v[162:163], v[228:229], v[162:163], v[162:163]
	s_delay_alu instid0(VALU_DEP_1) | instskip(NEXT) | instid1(VALU_DEP_1)
	v_mul_f64 v[228:229], v[164:165], v[162:163]
	v_mul_f64 v[230:231], v[149:150], v[228:229]
	s_delay_alu instid0(VALU_DEP_1) | instskip(NEXT) | instid1(VALU_DEP_1)
	v_fma_f64 v[240:241], v[228:229], v[149:150], -v[230:231]
	v_fma_f64 v[240:241], v[228:229], v[147:148], v[240:241]
	s_delay_alu instid0(VALU_DEP_1) | instskip(NEXT) | instid1(VALU_DEP_1)
	v_add_f64 v[242:243], v[230:231], v[240:241]
	v_add_f64 v[244:245], v[164:165], -v[242:243]
	v_add_f64 v[230:231], v[242:243], -v[230:231]
	s_delay_alu instid0(VALU_DEP_2) | instskip(NEXT) | instid1(VALU_DEP_1)
	v_add_f64 v[164:165], v[164:165], -v[244:245]
	v_add_f64 v[164:165], v[164:165], -v[242:243]
	s_delay_alu instid0(VALU_DEP_1) | instskip(NEXT) | instid1(VALU_DEP_4)
	v_add_f64 v[160:161], v[160:161], v[164:165]
	v_add_f64 v[164:165], v[230:231], -v[240:241]
	s_delay_alu instid0(VALU_DEP_1) | instskip(NEXT) | instid1(VALU_DEP_1)
	v_add_f64 v[160:161], v[164:165], v[160:161]
	v_add_f64 v[164:165], v[244:245], v[160:161]
	s_delay_alu instid0(VALU_DEP_1) | instskip(NEXT) | instid1(VALU_DEP_1)
	v_add_f64 v[230:231], v[244:245], -v[164:165]
	v_add_f64 v[160:161], v[160:161], v[230:231]
	v_mul_f64 v[230:231], v[162:163], v[164:165]
	s_delay_alu instid0(VALU_DEP_1) | instskip(NEXT) | instid1(VALU_DEP_1)
	v_mul_f64 v[240:241], v[149:150], v[230:231]
	v_fma_f64 v[149:150], v[230:231], v[149:150], -v[240:241]
	s_delay_alu instid0(VALU_DEP_1) | instskip(NEXT) | instid1(VALU_DEP_1)
	v_fma_f64 v[147:148], v[230:231], v[147:148], v[149:150]
	v_add_f64 v[149:150], v[240:241], v[147:148]
	s_delay_alu instid0(VALU_DEP_1) | instskip(SKIP_1) | instid1(VALU_DEP_2)
	v_add_f64 v[242:243], v[164:165], -v[149:150]
	v_add_f64 v[240:241], v[149:150], -v[240:241]
	;; [unrolled: 1-line block ×3, first 2 shown]
	s_delay_alu instid0(VALU_DEP_2) | instskip(NEXT) | instid1(VALU_DEP_2)
	v_add_f64 v[147:148], v[240:241], -v[147:148]
	v_add_f64 v[149:150], v[164:165], -v[149:150]
	v_cvt_f64_i32_e32 v[164:165], v151
	s_delay_alu instid0(VALU_DEP_2) | instskip(NEXT) | instid1(VALU_DEP_1)
	v_add_f64 v[149:150], v[160:161], v[149:150]
	v_add_f64 v[147:148], v[147:148], v[149:150]
	;; [unrolled: 1-line block ×3, first 2 shown]
	s_delay_alu instid0(VALU_DEP_2) | instskip(NEXT) | instid1(VALU_DEP_2)
	v_add_f64 v[147:148], v[242:243], v[147:148]
	v_add_f64 v[160:161], v[149:150], -v[228:229]
	v_mul_f64 v[228:229], v[164:165], s[20:21]
	s_delay_alu instid0(VALU_DEP_3) | instskip(NEXT) | instid1(VALU_DEP_3)
	v_mul_f64 v[147:148], v[162:163], v[147:148]
	v_add_f64 v[160:161], v[230:231], -v[160:161]
	s_delay_alu instid0(VALU_DEP_3) | instskip(NEXT) | instid1(VALU_DEP_2)
	v_fma_f64 v[230:231], v[164:165], s[20:21], -v[228:229]
	v_add_f64 v[147:148], v[160:161], v[147:148]
	s_delay_alu instid0(VALU_DEP_2) | instskip(NEXT) | instid1(VALU_DEP_2)
	v_fma_f64 v[164:165], v[164:165], s[24:25], v[230:231]
	v_add_f64 v[160:161], v[149:150], v[147:148]
	s_delay_alu instid0(VALU_DEP_2) | instskip(NEXT) | instid1(VALU_DEP_2)
	v_add_f64 v[230:231], v[228:229], v[164:165]
	v_add_f64 v[149:150], v[160:161], -v[149:150]
	s_delay_alu instid0(VALU_DEP_2) | instskip(NEXT) | instid1(VALU_DEP_2)
	v_add_f64 v[228:229], v[230:231], -v[228:229]
	v_add_f64 v[147:148], v[147:148], -v[149:150]
	v_mul_f64 v[149:150], v[160:161], v[160:161]
	s_delay_alu instid0(VALU_DEP_3) | instskip(SKIP_1) | instid1(VALU_DEP_4)
	v_add_f64 v[164:165], v[164:165], -v[228:229]
	v_ldexp_f64 v[228:229], v[160:161], 1
	v_ldexp_f64 v[147:148], v[147:148], 1
	s_delay_alu instid0(VALU_DEP_4)
	v_fma_f64 v[162:163], v[149:150], s[30:31], vcc
	s_mov_b32 vcc_lo, 0xd7f4df2e
	s_mov_b32 vcc_hi, 0x3fc7474d
	s_delay_alu instid0(VALU_DEP_1) | instid1(SALU_CYCLE_1)
	v_fma_f64 v[162:163], v[149:150], v[162:163], vcc
	s_mov_b32 vcc_lo, 0x16291751
	s_mov_b32 vcc_hi, 0x3fcc71c0
	s_delay_alu instid0(VALU_DEP_1) | instid1(SALU_CYCLE_1)
	;; [unrolled: 4-line block ×4, first 2 shown]
	v_fma_f64 v[162:163], v[149:150], v[162:163], vcc
	v_cmp_eq_f64_e32 vcc_lo, 0x7ff00000, v[145:146]
	s_delay_alu instid0(VALU_DEP_2) | instskip(SKIP_1) | instid1(VALU_DEP_1)
	v_fma_f64 v[162:163], v[149:150], v[162:163], s[26:27]
	v_mul_f64 v[149:150], v[160:161], v[149:150]
	v_mul_f64 v[149:150], v[149:150], v[162:163]
	s_delay_alu instid0(VALU_DEP_1) | instskip(NEXT) | instid1(VALU_DEP_1)
	v_add_f64 v[160:161], v[228:229], v[149:150]
	v_add_f64 v[162:163], v[160:161], -v[228:229]
	s_delay_alu instid0(VALU_DEP_1) | instskip(NEXT) | instid1(VALU_DEP_1)
	v_add_f64 v[149:150], v[149:150], -v[162:163]
	v_add_f64 v[147:148], v[147:148], v[149:150]
	s_delay_alu instid0(VALU_DEP_1) | instskip(NEXT) | instid1(VALU_DEP_1)
	v_add_f64 v[149:150], v[160:161], v[147:148]
	v_add_f64 v[160:161], v[149:150], -v[160:161]
	s_delay_alu instid0(VALU_DEP_1) | instskip(SKIP_1) | instid1(VALU_DEP_1)
	v_add_f64 v[147:148], v[147:148], -v[160:161]
	v_add_f64 v[160:161], v[230:231], v[149:150]
	v_add_f64 v[162:163], v[160:161], -v[230:231]
	s_delay_alu instid0(VALU_DEP_1) | instskip(SKIP_2) | instid1(VALU_DEP_3)
	v_add_f64 v[228:229], v[160:161], -v[162:163]
	v_add_f64 v[149:150], v[149:150], -v[162:163]
	v_add_f64 v[162:163], v[164:165], v[147:148]
	v_add_f64 v[228:229], v[230:231], -v[228:229]
	s_delay_alu instid0(VALU_DEP_1) | instskip(NEXT) | instid1(VALU_DEP_3)
	v_add_f64 v[149:150], v[149:150], v[228:229]
	v_add_f64 v[228:229], v[162:163], -v[164:165]
	s_delay_alu instid0(VALU_DEP_2) | instskip(NEXT) | instid1(VALU_DEP_2)
	v_add_f64 v[149:150], v[162:163], v[149:150]
	v_add_f64 v[230:231], v[162:163], -v[228:229]
	v_add_f64 v[147:148], v[147:148], -v[228:229]
	s_delay_alu instid0(VALU_DEP_3) | instskip(NEXT) | instid1(VALU_DEP_3)
	v_add_f64 v[162:163], v[160:161], v[149:150]
	v_add_f64 v[164:165], v[164:165], -v[230:231]
	s_delay_alu instid0(VALU_DEP_2) | instskip(NEXT) | instid1(VALU_DEP_2)
	v_add_f64 v[160:161], v[162:163], -v[160:161]
	v_add_f64 v[147:148], v[147:148], v[164:165]
	s_delay_alu instid0(VALU_DEP_2) | instskip(NEXT) | instid1(VALU_DEP_1)
	v_add_f64 v[149:150], v[149:150], -v[160:161]
	v_add_f64 v[147:148], v[147:148], v[149:150]
	s_delay_alu instid0(VALU_DEP_1) | instskip(NEXT) | instid1(VALU_DEP_1)
	v_add_f64 v[147:148], v[162:163], v[147:148]
	v_dual_cndmask_b32 v148, v148, v146 :: v_dual_cndmask_b32 v147, v147, v145
	v_cmp_ngt_f64_e32 vcc_lo, -1.0, v[145:146]
	s_delay_alu instid0(VALU_DEP_2) | instskip(SKIP_1) | instid1(VALU_DEP_4)
	v_cndmask_b32_e32 v148, 0x7ff80000, v148, vcc_lo
	v_cmp_nge_f64_e32 vcc_lo, -1.0, v[145:146]
	v_cndmask_b32_e32 v147, 0, v147, vcc_lo
	v_cmp_neq_f64_e32 vcc_lo, -1.0, v[145:146]
	s_delay_alu instid0(VALU_DEP_4) | instskip(NEXT) | instid1(VALU_DEP_1)
	v_cndmask_b32_e32 v148, 0xfff00000, v148, vcc_lo
	v_add_f64 v[145:146], v[6:7], v[147:148]
.LBB8_153:
	s_or_b32 exec_lo, exec_lo, s29
	s_delay_alu instid0(VALU_DEP_1)
	v_dual_mov_b32 v147, v145 :: v_dual_mov_b32 v148, v146
	v_dual_mov_b32 v6, v145 :: v_dual_mov_b32 v7, v146
.LBB8_154:
	s_or_b32 exec_lo, exec_lo, s28
	v_cmp_gt_u32_e32 vcc_lo, 16, v209
	v_add_nc_u32_e32 v229, 16, v209
	s_mov_b32 s28, exec_lo
	s_waitcnt lgkmcnt(1)
	v_cndmask_b32_e64 v145, 0, 1, vcc_lo
	s_delay_alu instid0(VALU_DEP_1) | instskip(NEXT) | instid1(VALU_DEP_1)
	v_lshlrev_b32_e32 v145, 4, v145
	v_add_lshl_u32 v228, v145, v209, 2
	ds_bpermute_b32 v145, v228, v147
	s_waitcnt lgkmcnt(1)
	ds_bpermute_b32 v146, v228, v148
	v_cmpx_le_u32_e64 v229, v9
	s_cbranch_execz .LBB8_158
; %bb.155:
	s_waitcnt lgkmcnt(0)
	v_max_f64 v[147:148], v[145:146], v[145:146]
	v_max_f64 v[149:150], v[6:7], v[6:7]
	v_cmp_u_f64_e32 vcc_lo, v[145:146], v[145:146]
	v_cmp_u_f64_e64 s19, v[6:7], v[6:7]
	s_delay_alu instid0(VALU_DEP_3) | instskip(SKIP_1) | instid1(VALU_DEP_2)
	v_min_f64 v[160:161], v[147:148], v[149:150]
	v_max_f64 v[147:148], v[147:148], v[149:150]
	v_cndmask_b32_e32 v9, v160, v145, vcc_lo
	s_delay_alu instid0(VALU_DEP_3) | instskip(NEXT) | instid1(VALU_DEP_3)
	v_cndmask_b32_e32 v149, v161, v146, vcc_lo
	v_dual_cndmask_b32 v150, v148, v146 :: v_dual_cndmask_b32 v151, v147, v145
	s_delay_alu instid0(VALU_DEP_3) | instskip(NEXT) | instid1(VALU_DEP_3)
	v_cndmask_b32_e64 v147, v9, v6, s19
	v_cndmask_b32_e64 v148, v149, v7, s19
	s_delay_alu instid0(VALU_DEP_3) | instskip(NEXT) | instid1(VALU_DEP_4)
	v_cndmask_b32_e64 v7, v150, v7, s19
	v_cndmask_b32_e64 v6, v151, v6, s19
	s_delay_alu instid0(VALU_DEP_3) | instskip(NEXT) | instid1(VALU_DEP_2)
	v_cmp_class_f64_e64 s19, v[147:148], 0x1f8
	v_cmp_neq_f64_e32 vcc_lo, v[147:148], v[6:7]
	s_delay_alu instid0(VALU_DEP_2) | instskip(NEXT) | instid1(SALU_CYCLE_1)
	s_or_b32 s19, vcc_lo, s19
	s_and_saveexec_b32 s29, s19
	s_cbranch_execz .LBB8_157
; %bb.156:
	v_add_f64 v[145:146], v[147:148], -v[6:7]
	s_mov_b32 s20, 0x652b82fe
	s_mov_b32 s21, 0x3ff71547
	;; [unrolled: 1-line block ×5, first 2 shown]
	s_mov_b32 vcc_lo, 0x6a5dcb37
	s_mov_b32 s27, 0x3e928af3
	s_mov_b32 vcc_hi, 0x3e5ade15
	s_mov_b32 s30, 0xbf559e2b
	s_mov_b32 s31, 0x3fc3ab76
	s_delay_alu instid0(VALU_DEP_1) | instskip(SKIP_3) | instid1(VALU_DEP_2)
	v_mul_f64 v[147:148], v[145:146], s[20:21]
	s_mov_b32 s21, 0xbfe62e42
	s_mov_b32 s20, 0xfefa39ef
	v_cmp_ngt_f64_e64 s19, 0xc090cc00, v[145:146]
	v_rndne_f64_e32 v[147:148], v[147:148]
	s_delay_alu instid0(VALU_DEP_1) | instskip(SKIP_2) | instid1(VALU_DEP_2)
	v_fma_f64 v[149:150], v[147:148], s[20:21], v[145:146]
	v_cvt_i32_f64_e32 v9, v[147:148]
	s_mov_b32 s21, 0x3fe62e42
	v_fma_f64 v[149:150], v[147:148], s[24:25], v[149:150]
	s_mov_b32 s25, 0x3c7abc9e
	s_delay_alu instid0(VALU_DEP_1) | instskip(SKIP_3) | instid1(VALU_DEP_2)
	v_fma_f64 v[160:161], v[149:150], vcc, s[26:27]
	s_mov_b32 s26, 0x623fde64
	s_mov_b32 s27, 0x3ec71dee
	v_cmp_nlt_f64_e32 vcc_lo, 0x40900000, v[145:146]
	v_fma_f64 v[160:161], v[149:150], v[160:161], s[26:27]
	s_mov_b32 s26, 0x7c89e6b0
	s_mov_b32 s27, 0x3efa0199
	s_delay_alu instid0(VALU_DEP_1) | instid1(SALU_CYCLE_1)
	v_fma_f64 v[160:161], v[149:150], v[160:161], s[26:27]
	s_mov_b32 s26, 0x14761f6e
	s_mov_b32 s27, 0x3f2a01a0
	s_delay_alu instid0(VALU_DEP_1) | instid1(SALU_CYCLE_1)
	;; [unrolled: 4-line block ×7, first 2 shown]
	v_fma_f64 v[160:161], v[149:150], v[160:161], s[26:27]
	s_mov_b32 s27, 0x3fe55555
	s_mov_b32 s26, 0x55555555
	s_delay_alu instid0(VALU_DEP_1) | instskip(NEXT) | instid1(VALU_DEP_1)
	v_fma_f64 v[160:161], v[149:150], v[160:161], 1.0
	v_fma_f64 v[149:150], v[149:150], v[160:161], 1.0
	s_delay_alu instid0(VALU_DEP_1) | instskip(NEXT) | instid1(VALU_DEP_1)
	v_ldexp_f64 v[147:148], v[149:150], v9
	v_cndmask_b32_e32 v9, 0x7ff00000, v148, vcc_lo
	s_and_b32 vcc_lo, s19, vcc_lo
	s_delay_alu instid0(VALU_DEP_2) | instskip(NEXT) | instid1(VALU_DEP_2)
	v_cndmask_b32_e32 v145, 0, v147, vcc_lo
	v_cndmask_b32_e64 v146, 0, v9, s19
	s_delay_alu instid0(VALU_DEP_1) | instskip(NEXT) | instid1(VALU_DEP_1)
	v_add_f64 v[147:148], v[145:146], 1.0
	v_add_f64 v[149:150], v[147:148], -1.0
	v_frexp_exp_i32_f64_e32 v9, v[147:148]
	s_delay_alu instid0(VALU_DEP_2) | instskip(SKIP_1) | instid1(VALU_DEP_2)
	v_add_f64 v[160:161], v[149:150], -v[147:148]
	v_add_f64 v[149:150], v[145:146], -v[149:150]
	v_add_f64 v[160:161], v[160:161], 1.0
	s_delay_alu instid0(VALU_DEP_1) | instskip(SKIP_1) | instid1(VALU_DEP_1)
	v_add_f64 v[149:150], v[149:150], v[160:161]
	v_frexp_mant_f64_e32 v[160:161], v[147:148]
	v_cmp_gt_f64_e32 vcc_lo, s[26:27], v[160:161]
	s_mov_b32 s26, 0x55555780
	v_subrev_co_ci_u32_e32 v9, vcc_lo, 0, v9, vcc_lo
	s_mov_b32 vcc_lo, 0x6b47b09a
	s_mov_b32 vcc_hi, 0x3fc38538
	s_delay_alu instid0(VALU_DEP_1) | instskip(NEXT) | instid1(VALU_DEP_1)
	v_sub_nc_u32_e32 v151, 0, v9
	v_ldexp_f64 v[147:148], v[147:148], v151
	v_ldexp_f64 v[149:150], v[149:150], v151
	s_delay_alu instid0(VALU_DEP_2) | instskip(NEXT) | instid1(VALU_DEP_1)
	v_add_f64 v[160:161], v[147:148], -1.0
	v_add_f64 v[162:163], v[160:161], 1.0
	s_delay_alu instid0(VALU_DEP_1) | instskip(NEXT) | instid1(VALU_DEP_1)
	v_add_f64 v[162:163], v[147:148], -v[162:163]
	v_add_f64 v[162:163], v[149:150], v[162:163]
	s_delay_alu instid0(VALU_DEP_1) | instskip(NEXT) | instid1(VALU_DEP_1)
	v_add_f64 v[164:165], v[160:161], v[162:163]
	v_add_f64 v[160:161], v[164:165], -v[160:161]
	s_delay_alu instid0(VALU_DEP_1) | instskip(SKIP_1) | instid1(VALU_DEP_1)
	v_add_f64 v[160:161], v[162:163], -v[160:161]
	v_add_f64 v[162:163], v[147:148], 1.0
	v_add_f64 v[230:231], v[162:163], -1.0
	s_delay_alu instid0(VALU_DEP_1) | instskip(NEXT) | instid1(VALU_DEP_1)
	v_add_f64 v[147:148], v[147:148], -v[230:231]
	v_add_f64 v[147:148], v[149:150], v[147:148]
	s_delay_alu instid0(VALU_DEP_1) | instskip(NEXT) | instid1(VALU_DEP_1)
	v_add_f64 v[149:150], v[162:163], v[147:148]
	v_add_f64 v[162:163], v[149:150], -v[162:163]
	s_delay_alu instid0(VALU_DEP_1) | instskip(SKIP_3) | instid1(VALU_DEP_1)
	v_add_f64 v[147:148], v[147:148], -v[162:163]
	v_rcp_f64_e32 v[162:163], v[149:150]
	s_waitcnt_depctr 0xfff
	v_fma_f64 v[230:231], -v[149:150], v[162:163], 1.0
	v_fma_f64 v[162:163], v[230:231], v[162:163], v[162:163]
	s_delay_alu instid0(VALU_DEP_1) | instskip(NEXT) | instid1(VALU_DEP_1)
	v_fma_f64 v[230:231], -v[149:150], v[162:163], 1.0
	v_fma_f64 v[162:163], v[230:231], v[162:163], v[162:163]
	s_delay_alu instid0(VALU_DEP_1) | instskip(NEXT) | instid1(VALU_DEP_1)
	v_mul_f64 v[230:231], v[164:165], v[162:163]
	v_mul_f64 v[240:241], v[149:150], v[230:231]
	s_delay_alu instid0(VALU_DEP_1) | instskip(NEXT) | instid1(VALU_DEP_1)
	v_fma_f64 v[242:243], v[230:231], v[149:150], -v[240:241]
	v_fma_f64 v[242:243], v[230:231], v[147:148], v[242:243]
	s_delay_alu instid0(VALU_DEP_1) | instskip(NEXT) | instid1(VALU_DEP_1)
	v_add_f64 v[244:245], v[240:241], v[242:243]
	v_add_f64 v[246:247], v[164:165], -v[244:245]
	v_add_f64 v[240:241], v[244:245], -v[240:241]
	s_delay_alu instid0(VALU_DEP_2) | instskip(NEXT) | instid1(VALU_DEP_1)
	v_add_f64 v[164:165], v[164:165], -v[246:247]
	v_add_f64 v[164:165], v[164:165], -v[244:245]
	s_delay_alu instid0(VALU_DEP_1) | instskip(NEXT) | instid1(VALU_DEP_4)
	v_add_f64 v[160:161], v[160:161], v[164:165]
	v_add_f64 v[164:165], v[240:241], -v[242:243]
	s_delay_alu instid0(VALU_DEP_1) | instskip(NEXT) | instid1(VALU_DEP_1)
	v_add_f64 v[160:161], v[164:165], v[160:161]
	v_add_f64 v[164:165], v[246:247], v[160:161]
	s_delay_alu instid0(VALU_DEP_1) | instskip(NEXT) | instid1(VALU_DEP_1)
	v_add_f64 v[240:241], v[246:247], -v[164:165]
	v_add_f64 v[160:161], v[160:161], v[240:241]
	v_mul_f64 v[240:241], v[162:163], v[164:165]
	s_delay_alu instid0(VALU_DEP_1) | instskip(NEXT) | instid1(VALU_DEP_1)
	v_mul_f64 v[242:243], v[149:150], v[240:241]
	v_fma_f64 v[149:150], v[240:241], v[149:150], -v[242:243]
	s_delay_alu instid0(VALU_DEP_1) | instskip(NEXT) | instid1(VALU_DEP_1)
	v_fma_f64 v[147:148], v[240:241], v[147:148], v[149:150]
	v_add_f64 v[149:150], v[242:243], v[147:148]
	s_delay_alu instid0(VALU_DEP_1) | instskip(SKIP_1) | instid1(VALU_DEP_2)
	v_add_f64 v[244:245], v[164:165], -v[149:150]
	v_add_f64 v[242:243], v[149:150], -v[242:243]
	;; [unrolled: 1-line block ×3, first 2 shown]
	s_delay_alu instid0(VALU_DEP_2) | instskip(NEXT) | instid1(VALU_DEP_2)
	v_add_f64 v[147:148], v[242:243], -v[147:148]
	v_add_f64 v[149:150], v[164:165], -v[149:150]
	v_cvt_f64_i32_e32 v[164:165], v9
	s_delay_alu instid0(VALU_DEP_2) | instskip(NEXT) | instid1(VALU_DEP_1)
	v_add_f64 v[149:150], v[160:161], v[149:150]
	v_add_f64 v[147:148], v[147:148], v[149:150]
	;; [unrolled: 1-line block ×3, first 2 shown]
	s_delay_alu instid0(VALU_DEP_2) | instskip(NEXT) | instid1(VALU_DEP_2)
	v_add_f64 v[147:148], v[244:245], v[147:148]
	v_add_f64 v[160:161], v[149:150], -v[230:231]
	v_mul_f64 v[230:231], v[164:165], s[20:21]
	s_delay_alu instid0(VALU_DEP_3) | instskip(NEXT) | instid1(VALU_DEP_3)
	v_mul_f64 v[147:148], v[162:163], v[147:148]
	v_add_f64 v[160:161], v[240:241], -v[160:161]
	s_delay_alu instid0(VALU_DEP_3) | instskip(NEXT) | instid1(VALU_DEP_2)
	v_fma_f64 v[240:241], v[164:165], s[20:21], -v[230:231]
	v_add_f64 v[147:148], v[160:161], v[147:148]
	s_delay_alu instid0(VALU_DEP_2) | instskip(NEXT) | instid1(VALU_DEP_2)
	v_fma_f64 v[164:165], v[164:165], s[24:25], v[240:241]
	v_add_f64 v[160:161], v[149:150], v[147:148]
	s_delay_alu instid0(VALU_DEP_2) | instskip(NEXT) | instid1(VALU_DEP_2)
	v_add_f64 v[240:241], v[230:231], v[164:165]
	v_add_f64 v[149:150], v[160:161], -v[149:150]
	s_delay_alu instid0(VALU_DEP_2) | instskip(NEXT) | instid1(VALU_DEP_2)
	v_add_f64 v[230:231], v[240:241], -v[230:231]
	v_add_f64 v[147:148], v[147:148], -v[149:150]
	v_mul_f64 v[149:150], v[160:161], v[160:161]
	s_delay_alu instid0(VALU_DEP_3) | instskip(SKIP_1) | instid1(VALU_DEP_4)
	v_add_f64 v[164:165], v[164:165], -v[230:231]
	v_ldexp_f64 v[230:231], v[160:161], 1
	v_ldexp_f64 v[147:148], v[147:148], 1
	s_delay_alu instid0(VALU_DEP_4)
	v_fma_f64 v[162:163], v[149:150], s[30:31], vcc
	s_mov_b32 vcc_lo, 0xd7f4df2e
	s_mov_b32 vcc_hi, 0x3fc7474d
	s_delay_alu instid0(VALU_DEP_1) | instid1(SALU_CYCLE_1)
	v_fma_f64 v[162:163], v[149:150], v[162:163], vcc
	s_mov_b32 vcc_lo, 0x16291751
	s_mov_b32 vcc_hi, 0x3fcc71c0
	s_delay_alu instid0(VALU_DEP_1) | instid1(SALU_CYCLE_1)
	;; [unrolled: 4-line block ×4, first 2 shown]
	v_fma_f64 v[162:163], v[149:150], v[162:163], vcc
	v_cmp_eq_f64_e32 vcc_lo, 0x7ff00000, v[145:146]
	s_delay_alu instid0(VALU_DEP_2) | instskip(SKIP_1) | instid1(VALU_DEP_1)
	v_fma_f64 v[162:163], v[149:150], v[162:163], s[26:27]
	v_mul_f64 v[149:150], v[160:161], v[149:150]
	v_mul_f64 v[149:150], v[149:150], v[162:163]
	s_delay_alu instid0(VALU_DEP_1) | instskip(NEXT) | instid1(VALU_DEP_1)
	v_add_f64 v[160:161], v[230:231], v[149:150]
	v_add_f64 v[162:163], v[160:161], -v[230:231]
	s_delay_alu instid0(VALU_DEP_1) | instskip(NEXT) | instid1(VALU_DEP_1)
	v_add_f64 v[149:150], v[149:150], -v[162:163]
	v_add_f64 v[147:148], v[147:148], v[149:150]
	s_delay_alu instid0(VALU_DEP_1) | instskip(NEXT) | instid1(VALU_DEP_1)
	v_add_f64 v[149:150], v[160:161], v[147:148]
	v_add_f64 v[160:161], v[149:150], -v[160:161]
	s_delay_alu instid0(VALU_DEP_1) | instskip(SKIP_1) | instid1(VALU_DEP_1)
	v_add_f64 v[147:148], v[147:148], -v[160:161]
	v_add_f64 v[160:161], v[240:241], v[149:150]
	v_add_f64 v[162:163], v[160:161], -v[240:241]
	s_delay_alu instid0(VALU_DEP_1) | instskip(SKIP_2) | instid1(VALU_DEP_3)
	v_add_f64 v[230:231], v[160:161], -v[162:163]
	v_add_f64 v[149:150], v[149:150], -v[162:163]
	v_add_f64 v[162:163], v[164:165], v[147:148]
	v_add_f64 v[230:231], v[240:241], -v[230:231]
	s_delay_alu instid0(VALU_DEP_1) | instskip(NEXT) | instid1(VALU_DEP_3)
	v_add_f64 v[149:150], v[149:150], v[230:231]
	v_add_f64 v[230:231], v[162:163], -v[164:165]
	s_delay_alu instid0(VALU_DEP_2) | instskip(NEXT) | instid1(VALU_DEP_2)
	v_add_f64 v[149:150], v[162:163], v[149:150]
	v_add_f64 v[240:241], v[162:163], -v[230:231]
	v_add_f64 v[147:148], v[147:148], -v[230:231]
	s_delay_alu instid0(VALU_DEP_3) | instskip(NEXT) | instid1(VALU_DEP_3)
	v_add_f64 v[162:163], v[160:161], v[149:150]
	v_add_f64 v[164:165], v[164:165], -v[240:241]
	s_delay_alu instid0(VALU_DEP_2) | instskip(NEXT) | instid1(VALU_DEP_2)
	v_add_f64 v[160:161], v[162:163], -v[160:161]
	v_add_f64 v[147:148], v[147:148], v[164:165]
	s_delay_alu instid0(VALU_DEP_2) | instskip(NEXT) | instid1(VALU_DEP_1)
	v_add_f64 v[149:150], v[149:150], -v[160:161]
	v_add_f64 v[147:148], v[147:148], v[149:150]
	s_delay_alu instid0(VALU_DEP_1) | instskip(NEXT) | instid1(VALU_DEP_1)
	v_add_f64 v[147:148], v[162:163], v[147:148]
	v_cndmask_b32_e32 v9, v147, v145, vcc_lo
	s_delay_alu instid0(VALU_DEP_2) | instskip(SKIP_1) | instid1(VALU_DEP_2)
	v_cndmask_b32_e32 v147, v148, v146, vcc_lo
	v_cmp_ngt_f64_e32 vcc_lo, -1.0, v[145:146]
	v_cndmask_b32_e32 v148, 0x7ff80000, v147, vcc_lo
	v_cmp_nge_f64_e32 vcc_lo, -1.0, v[145:146]
	v_cndmask_b32_e32 v147, 0, v9, vcc_lo
	v_cmp_neq_f64_e32 vcc_lo, -1.0, v[145:146]
	s_delay_alu instid0(VALU_DEP_4) | instskip(NEXT) | instid1(VALU_DEP_1)
	v_cndmask_b32_e32 v148, 0xfff00000, v148, vcc_lo
	v_add_f64 v[145:146], v[6:7], v[147:148]
.LBB8_157:
	s_or_b32 exec_lo, exec_lo, s29
	s_delay_alu instid0(VALU_DEP_1)
	v_dual_mov_b32 v6, v145 :: v_dual_mov_b32 v7, v146
.LBB8_158:
	s_or_b32 exec_lo, exec_lo, s28
	s_waitcnt lgkmcnt(1)
	v_mov_b32_e32 v145, 0
	s_mov_b32 s24, 0x652b82fe
	s_mov_b32 s26, 0xfefa39ef
	;; [unrolled: 1-line block ×20, first 2 shown]
	s_mov_b64 s[20:21], src_shared_base
	s_mov_b32 s25, 0x3ff71547
	s_mov_b32 s27, 0xbfe62e42
	;; [unrolled: 1-line block ×20, first 2 shown]
	s_mov_b64 vcc, src_private_base
	s_mov_b32 s66, 0x55555780
	s_mov_b32 s69, 0x3fe62e42
	;; [unrolled: 1-line block ×3, first 2 shown]
	s_branch .LBB8_160
.LBB8_159:                              ;   in Loop: Header=BB8_160 Depth=1
	s_or_b32 exec_lo, exec_lo, s20
	v_subrev_nc_u32_e32 v144, 32, v144
.LBB8_160:                              ; =>This Loop Header: Depth=1
                                        ;     Child Loop BB8_172 Depth 2
	s_waitcnt lgkmcnt(0)
	s_delay_alu instid0(VALU_DEP_2) | instskip(NEXT) | instid1(VALU_DEP_3)
	v_dual_mov_b32 v147, v7 :: v_dual_and_b32 v8, 0xff, v8
	v_mov_b32_e32 v146, v6
	s_delay_alu instid0(VALU_DEP_2) | instskip(SKIP_2) | instid1(VALU_DEP_1)
	v_cmp_ne_u16_e32 vcc_lo, 2, v8
	v_cndmask_b32_e64 v8, 0, 1, vcc_lo
	;;#ASMSTART
	;;#ASMEND
	v_cmp_ne_u32_e32 vcc_lo, 0, v8
	s_cmp_lg_u32 vcc_lo, exec_lo
	s_cbranch_scc1 .LBB8_180
; %bb.161:                              ;   in Loop: Header=BB8_160 Depth=1
	v_lshlrev_b64 v[6:7], 4, v[144:145]
                                        ; implicit-def: $vgpr160_vgpr161
                                        ; implicit-def: $vgpr161_vgpr162
                                        ; implicit-def: $vgpr162_vgpr163
                                        ; implicit-def: $vgpr8
                                        ; implicit-def: $vgpr163_vgpr164
                                        ; implicit-def: $vgpr165_vgpr166
                                        ; implicit-def: $vgpr150_vgpr151
	s_delay_alu instid0(VALU_DEP_1) | instskip(NEXT) | instid1(VALU_DEP_2)
	v_add_co_u32 v148, vcc_lo, v116, v6
	v_add_co_ci_u32_e32 v149, vcc_lo, v117, v7, vcc_lo
	s_delay_alu instid0(VALU_DEP_1) | instskip(SKIP_1) | instid1(SALU_CYCLE_1)
	v_cmp_ne_u32_e32 vcc_lo, s21, v149
	s_and_saveexec_b32 s19, vcc_lo
	s_xor_b32 s20, exec_lo, s19
	s_cbranch_execz .LBB8_167
; %bb.162:                              ;   in Loop: Header=BB8_160 Depth=1
	v_cmp_ne_u32_e64 s19, vcc_hi, v149
                                        ; implicit-def: $vgpr160_vgpr161
                                        ; implicit-def: $vgpr161_vgpr162
                                        ; implicit-def: $vgpr162_vgpr163
                                        ; implicit-def: $vgpr8
                                        ; implicit-def: $vgpr163_vgpr164
                                        ; implicit-def: $vgpr165_vgpr166
                                        ; implicit-def: $vgpr150_vgpr151
	s_delay_alu instid0(VALU_DEP_1) | instskip(NEXT) | instid1(SALU_CYCLE_1)
	s_and_saveexec_b32 s67, s19
	s_xor_b32 s19, exec_lo, s67
	s_cbranch_execz .LBB8_164
; %bb.163:                              ;   in Loop: Header=BB8_160 Depth=1
	;;#ASMSTART
	global_load_dwordx4 v[6:9], v[148:149] off glc	
s_waitcnt vmcnt(0)
	;;#ASMEND
	v_lshlrev_b64 v[160:161], 24, v[8:9]
	v_lshrrev_b64 v[150:151], 8, v[6:7]
	v_lshlrev_b64 v[161:162], 16, v[8:9]
	v_lshlrev_b64 v[230:231], 8, v[8:9]
	v_lshrrev_b32_e32 v151, 8, v7
	v_lshrrev_b32_e32 v240, 16, v7
	;; [unrolled: 1-line block ×3, first 2 shown]
	v_lshrrev_b64 v[165:166], 16, v[6:7]
	v_lshrrev_b64 v[163:164], 24, v[6:7]
	v_or_b32_e32 v162, v151, v160
	v_or_b32_e32 v161, v240, v161
	v_or_b32_e32 v160, v9, v230
.LBB8_164:                              ;   in Loop: Header=BB8_160 Depth=1
	s_and_not1_saveexec_b32 s19, s19
	s_cbranch_execz .LBB8_166
; %bb.165:                              ;   in Loop: Header=BB8_160 Depth=1
	;;#ASMSTART
	flat_load_dwordx4 v[6:9], v[148:149] glc	
s_waitcnt vmcnt(0)
	;;#ASMEND
	v_lshlrev_b64 v[160:161], 24, v[8:9]
	v_lshrrev_b64 v[150:151], 8, v[6:7]
	v_lshlrev_b64 v[161:162], 16, v[8:9]
	v_lshlrev_b64 v[230:231], 8, v[8:9]
	v_lshrrev_b32_e32 v151, 8, v7
	v_lshrrev_b32_e32 v240, 16, v7
	;; [unrolled: 1-line block ×3, first 2 shown]
	v_lshrrev_b64 v[165:166], 16, v[6:7]
	v_lshrrev_b64 v[163:164], 24, v[6:7]
	v_or_b32_e32 v162, v151, v160
	v_or_b32_e32 v161, v240, v161
	;; [unrolled: 1-line block ×3, first 2 shown]
.LBB8_166:                              ;   in Loop: Header=BB8_160 Depth=1
	s_or_b32 exec_lo, exec_lo, s19
.LBB8_167:                              ;   in Loop: Header=BB8_160 Depth=1
	s_and_not1_saveexec_b32 s20, s20
	s_cbranch_execz .LBB8_169
; %bb.168:                              ;   in Loop: Header=BB8_160 Depth=1
	v_cmp_ne_u64_e64 s19, 0, v[148:149]
	s_delay_alu instid0(VALU_DEP_1) | instskip(SKIP_2) | instid1(VALU_DEP_2)
	v_cndmask_b32_e64 v6, -1, v148, s19
	;;#ASMSTART
	ds_read_b128 v[6:9], v6 	
s_waitcnt lgkmcnt(0)
	;;#ASMEND
	v_lshlrev_b64 v[160:161], 24, v[8:9]
	v_lshrrev_b64 v[150:151], 8, v[6:7]
	v_lshlrev_b64 v[161:162], 16, v[8:9]
	v_lshlrev_b64 v[230:231], 8, v[8:9]
	v_lshrrev_b32_e32 v151, 8, v7
	v_lshrrev_b32_e32 v240, 16, v7
	;; [unrolled: 1-line block ×3, first 2 shown]
	v_lshrrev_b64 v[165:166], 16, v[6:7]
	v_lshrrev_b64 v[163:164], 24, v[6:7]
	v_or_b32_e32 v162, v151, v160
	v_or_b32_e32 v161, v240, v161
	;; [unrolled: 1-line block ×3, first 2 shown]
.LBB8_169:                              ;   in Loop: Header=BB8_160 Depth=1
	s_or_b32 exec_lo, exec_lo, s20
	v_lshlrev_b32_e32 v9, 8, v150
	v_lshlrev_b32_e32 v150, 16, v165
	;; [unrolled: 1-line block ×4, first 2 shown]
	v_and_b32_e32 v7, 0xff, v7
	v_perm_b32 v6, v9, v6, 0xc0c0500
	v_and_b32_e32 v9, 0xff0000, v150
	v_lshlrev_b32_e32 v150, 16, v161
	v_and_b32_e32 v161, 0xff00, v162
	s_mov_b32 s67, exec_lo
	s_delay_alu instid0(VALU_DEP_3)
	v_or3_b32 v6, v6, v9, v151
	v_lshlrev_b32_e32 v9, 24, v160
	v_and_b32_e32 v150, 0xff0000, v150
	v_or3_b32 v7, 0, v7, v161
	v_and_b32_e32 v160, 0xff, v8
	v_or3_b32 v6, v6, 0, 0
	s_delay_alu instid0(VALU_DEP_3) | instskip(NEXT) | instid1(VALU_DEP_2)
	v_or3_b32 v151, v7, v150, v9
	v_or3_b32 v150, v6, 0, 0
	s_delay_alu instid0(VALU_DEP_4)
	v_cmpx_eq_u16_e64 0, v160
	s_cbranch_execz .LBB8_182
; %bb.170:                              ;   in Loop: Header=BB8_160 Depth=1
	v_cmp_ne_u64_e64 s20, 0, v[148:149]
	v_cmp_ne_u32_e64 s19, vcc_hi, v149
	s_mov_b32 s68, 0
	s_delay_alu instid0(VALU_DEP_2)
	v_cndmask_b32_e64 v230, -1, v148, s20
	s_branch .LBB8_172
.LBB8_171:                              ;   in Loop: Header=BB8_172 Depth=2
	s_or_b32 exec_lo, exec_lo, s20
	v_and_b32_e32 v9, 0xff, v8
	s_delay_alu instid0(VALU_DEP_1) | instskip(NEXT) | instid1(VALU_DEP_1)
	v_cmp_ne_u16_e64 s20, 0, v9
	s_or_b32 s68, s20, s68
	s_delay_alu instid0(SALU_CYCLE_1)
	s_and_not1_b32 exec_lo, exec_lo, s68
	s_cbranch_execz .LBB8_181
.LBB8_172:                              ;   Parent Loop BB8_160 Depth=1
                                        ; =>  This Inner Loop Header: Depth=2
                                        ; implicit-def: $vgpr160_vgpr161
                                        ; implicit-def: $vgpr164_vgpr165
                                        ; implicit-def: $vgpr8
                                        ; implicit-def: $vgpr150_vgpr151
                                        ; implicit-def: $vgpr161_vgpr162
                                        ; implicit-def: $vgpr165_vgpr166
                                        ; implicit-def: $vgpr162_vgpr163
	s_and_saveexec_b32 s20, vcc_lo
	s_delay_alu instid0(SALU_CYCLE_1)
	s_xor_b32 s20, exec_lo, s20
	s_cbranch_execz .LBB8_178
; %bb.173:                              ;   in Loop: Header=BB8_172 Depth=2
                                        ; implicit-def: $vgpr160_vgpr161
                                        ; implicit-def: $vgpr164_vgpr165
                                        ; implicit-def: $vgpr8
                                        ; implicit-def: $vgpr150_vgpr151
                                        ; implicit-def: $vgpr161_vgpr162
                                        ; implicit-def: $vgpr165_vgpr166
                                        ; implicit-def: $vgpr162_vgpr163
	s_and_saveexec_b32 s70, s19
	s_delay_alu instid0(SALU_CYCLE_1)
	s_xor_b32 s70, exec_lo, s70
	s_cbranch_execz .LBB8_175
; %bb.174:                              ;   in Loop: Header=BB8_172 Depth=2
	;;#ASMSTART
	global_load_dwordx4 v[6:9], v[148:149] off glc	
s_waitcnt vmcnt(0)
	;;#ASMEND
	v_lshlrev_b64 v[160:161], 24, v[8:9]
	v_lshrrev_b64 v[150:151], 8, v[6:7]
	v_lshlrev_b64 v[161:162], 16, v[8:9]
	v_lshlrev_b64 v[240:241], 8, v[8:9]
	v_lshrrev_b32_e32 v151, 8, v7
	v_lshrrev_b32_e32 v231, 16, v7
	;; [unrolled: 1-line block ×3, first 2 shown]
	v_lshrrev_b64 v[165:166], 16, v[6:7]
	v_lshrrev_b64 v[162:163], 24, v[6:7]
	v_or_b32_e32 v164, v151, v160
	v_or_b32_e32 v161, v231, v161
	;; [unrolled: 1-line block ×3, first 2 shown]
.LBB8_175:                              ;   in Loop: Header=BB8_172 Depth=2
	s_and_not1_saveexec_b32 s70, s70
	s_cbranch_execz .LBB8_177
; %bb.176:                              ;   in Loop: Header=BB8_172 Depth=2
	;;#ASMSTART
	flat_load_dwordx4 v[6:9], v[148:149] glc	
s_waitcnt vmcnt(0)
	;;#ASMEND
	v_lshlrev_b64 v[160:161], 24, v[8:9]
	v_lshrrev_b64 v[150:151], 8, v[6:7]
	v_lshlrev_b64 v[161:162], 16, v[8:9]
	v_lshlrev_b64 v[240:241], 8, v[8:9]
	v_lshrrev_b32_e32 v151, 8, v7
	v_lshrrev_b32_e32 v231, 16, v7
	;; [unrolled: 1-line block ×3, first 2 shown]
	v_lshrrev_b64 v[165:166], 16, v[6:7]
	v_lshrrev_b64 v[162:163], 24, v[6:7]
	v_or_b32_e32 v164, v151, v160
	v_or_b32_e32 v161, v231, v161
	;; [unrolled: 1-line block ×3, first 2 shown]
.LBB8_177:                              ;   in Loop: Header=BB8_172 Depth=2
	s_or_b32 exec_lo, exec_lo, s70
.LBB8_178:                              ;   in Loop: Header=BB8_172 Depth=2
	s_and_not1_saveexec_b32 s20, s20
	s_cbranch_execz .LBB8_171
; %bb.179:                              ;   in Loop: Header=BB8_172 Depth=2
	;;#ASMSTART
	ds_read_b128 v[6:9], v230 	
s_waitcnt lgkmcnt(0)
	;;#ASMEND
	v_lshlrev_b64 v[160:161], 24, v[8:9]
	v_lshrrev_b64 v[150:151], 8, v[6:7]
	v_lshlrev_b64 v[161:162], 16, v[8:9]
	v_lshlrev_b64 v[240:241], 8, v[8:9]
	v_lshrrev_b32_e32 v151, 8, v7
	v_lshrrev_b32_e32 v231, 16, v7
	;; [unrolled: 1-line block ×3, first 2 shown]
	v_lshrrev_b64 v[165:166], 16, v[6:7]
	v_lshrrev_b64 v[162:163], 24, v[6:7]
	v_or_b32_e32 v164, v151, v160
	v_or_b32_e32 v161, v231, v161
	;; [unrolled: 1-line block ×3, first 2 shown]
	s_branch .LBB8_171
.LBB8_180:                              ;   in Loop: Header=BB8_160 Depth=1
                                        ; implicit-def: $vgpr6_vgpr7
                                        ; implicit-def: $vgpr8
	s_cbranch_execz .LBB8_160
	s_branch .LBB8_204
.LBB8_181:                              ;   in Loop: Header=BB8_160 Depth=1
	s_or_b32 exec_lo, exec_lo, s68
	v_lshlrev_b32_e32 v9, 8, v150
	v_lshlrev_b32_e32 v148, 16, v165
	;; [unrolled: 1-line block ×3, first 2 shown]
	v_and_b32_e32 v7, 0xff, v7
	v_lshlrev_b32_e32 v150, 16, v161
	v_perm_b32 v6, v9, v6, 0xc0c0500
	v_and_b32_e32 v9, 0xff0000, v148
	v_lshlrev_b32_e32 v148, 24, v162
	v_and_b32_e32 v149, 0xff00, v149
	s_delay_alu instid0(VALU_DEP_2) | instskip(NEXT) | instid1(VALU_DEP_2)
	v_or3_b32 v6, v6, v9, v148
	v_or3_b32 v7, 0, v7, v149
	v_and_b32_e32 v9, 0xff0000, v150
	v_lshlrev_b32_e32 v148, 24, v160
	s_delay_alu instid0(VALU_DEP_4) | instskip(NEXT) | instid1(VALU_DEP_2)
	v_or3_b32 v6, v6, 0, 0
	v_or3_b32 v151, v7, v9, v148
	s_delay_alu instid0(VALU_DEP_2)
	v_or3_b32 v150, v6, 0, 0
.LBB8_182:                              ;   in Loop: Header=BB8_160 Depth=1
	s_or_b32 exec_lo, exec_lo, s67
	v_and_b32_e32 v6, 0xff, v8
	ds_bpermute_b32 v148, v212, v150
	ds_bpermute_b32 v149, v212, v151
	s_mov_b32 s20, exec_lo
	v_cmp_eq_u16_e32 vcc_lo, 2, v6
	v_and_or_b32 v6, vcc_lo, v213, 0x80000000
	s_delay_alu instid0(VALU_DEP_1) | instskip(SKIP_1) | instid1(VALU_DEP_2)
	v_ctz_i32_b32_e32 v9, v6
	v_dual_mov_b32 v6, v150 :: v_dual_mov_b32 v7, v151
	v_cmpx_lt_u32_e64 v209, v9
	s_cbranch_execz .LBB8_186
; %bb.183:                              ;   in Loop: Header=BB8_160 Depth=1
	s_waitcnt lgkmcnt(0)
	v_max_f64 v[6:7], v[148:149], v[148:149]
	v_max_f64 v[160:161], v[150:151], v[150:151]
	v_cmp_u_f64_e32 vcc_lo, v[148:149], v[148:149]
	v_cmp_u_f64_e64 s19, v[150:151], v[150:151]
	s_delay_alu instid0(VALU_DEP_3) | instskip(SKIP_1) | instid1(VALU_DEP_2)
	v_min_f64 v[162:163], v[6:7], v[160:161]
	v_max_f64 v[6:7], v[6:7], v[160:161]
	v_dual_cndmask_b32 v160, v162, v148 :: v_dual_cndmask_b32 v161, v163, v149
	s_delay_alu instid0(VALU_DEP_2) | instskip(NEXT) | instid1(VALU_DEP_2)
	v_dual_cndmask_b32 v7, v7, v149 :: v_dual_cndmask_b32 v6, v6, v148
	v_cndmask_b32_e64 v160, v160, v150, s19
	s_delay_alu instid0(VALU_DEP_3) | instskip(NEXT) | instid1(VALU_DEP_3)
	v_cndmask_b32_e64 v161, v161, v151, s19
	v_cndmask_b32_e64 v7, v7, v151, s19
	s_delay_alu instid0(VALU_DEP_4) | instskip(NEXT) | instid1(VALU_DEP_3)
	v_cndmask_b32_e64 v6, v6, v150, s19
	v_cmp_class_f64_e64 s19, v[160:161], 0x1f8
	s_delay_alu instid0(VALU_DEP_2) | instskip(NEXT) | instid1(VALU_DEP_2)
	v_cmp_neq_f64_e32 vcc_lo, v[160:161], v[6:7]
	s_or_b32 s19, vcc_lo, s19
	s_delay_alu instid0(SALU_CYCLE_1)
	s_and_saveexec_b32 s73, s19
	s_cbranch_execz .LBB8_185
; %bb.184:                              ;   in Loop: Header=BB8_160 Depth=1
	v_add_f64 v[148:149], v[160:161], -v[6:7]
	s_mov_b32 s67, s53
	s_mov_b32 s68, s26
	;; [unrolled: 1-line block ×3, first 2 shown]
	s_delay_alu instid0(VALU_DEP_1) | instskip(SKIP_2) | instid1(VALU_DEP_3)
	v_mul_f64 v[150:151], v[148:149], s[24:25]
	v_cmp_nlt_f64_e32 vcc_lo, 0x40900000, v[148:149]
	v_cmp_ngt_f64_e64 s19, 0xc090cc00, v[148:149]
	v_rndne_f64_e32 v[150:151], v[150:151]
	s_delay_alu instid0(VALU_DEP_1) | instskip(SKIP_1) | instid1(VALU_DEP_2)
	v_fma_f64 v[160:161], v[150:151], s[26:27], v[148:149]
	v_cvt_i32_f64_e32 v164, v[150:151]
	v_fma_f64 v[160:161], v[150:151], s[28:29], v[160:161]
	s_delay_alu instid0(VALU_DEP_1) | instskip(NEXT) | instid1(VALU_DEP_1)
	v_fma_f64 v[162:163], v[160:161], s[34:35], s[30:31]
	v_fma_f64 v[162:163], v[160:161], v[162:163], s[36:37]
	s_delay_alu instid0(VALU_DEP_1) | instskip(NEXT) | instid1(VALU_DEP_1)
	v_fma_f64 v[162:163], v[160:161], v[162:163], s[38:39]
	;; [unrolled: 3-line block ×5, first 2 shown]
	v_fma_f64 v[162:163], v[160:161], v[162:163], 1.0
	s_delay_alu instid0(VALU_DEP_1) | instskip(NEXT) | instid1(VALU_DEP_1)
	v_fma_f64 v[150:151], v[160:161], v[162:163], 1.0
	v_ldexp_f64 v[150:151], v[150:151], v164
	s_delay_alu instid0(VALU_DEP_1) | instskip(SKIP_1) | instid1(VALU_DEP_1)
	v_cndmask_b32_e32 v151, 0x7ff00000, v151, vcc_lo
	s_and_b32 vcc_lo, s19, vcc_lo
	v_cndmask_b32_e64 v149, 0, v151, s19
	s_delay_alu instid0(VALU_DEP_3) | instskip(NEXT) | instid1(VALU_DEP_1)
	v_cndmask_b32_e32 v148, 0, v150, vcc_lo
	v_add_f64 v[150:151], v[148:149], 1.0
	s_delay_alu instid0(VALU_DEP_1) | instskip(SKIP_2) | instid1(VALU_DEP_3)
	v_frexp_mant_f64_e32 v[160:161], v[150:151]
	v_frexp_exp_i32_f64_e32 v164, v[150:151]
	v_add_f64 v[162:163], v[150:151], -1.0
	v_cmp_gt_f64_e32 vcc_lo, s[52:53], v[160:161]
	s_delay_alu instid0(VALU_DEP_2) | instskip(SKIP_2) | instid1(VALU_DEP_3)
	v_add_f64 v[160:161], v[162:163], -v[150:151]
	v_add_f64 v[162:163], v[148:149], -v[162:163]
	v_subrev_co_ci_u32_e32 v166, vcc_lo, 0, v164, vcc_lo
	v_add_f64 v[160:161], v[160:161], 1.0
	v_cmp_eq_f64_e32 vcc_lo, 0x7ff00000, v[148:149]
	s_delay_alu instid0(VALU_DEP_3) | instskip(NEXT) | instid1(VALU_DEP_1)
	v_sub_nc_u32_e32 v230, 0, v166
	v_ldexp_f64 v[150:151], v[150:151], v230
	s_delay_alu instid0(VALU_DEP_4) | instskip(NEXT) | instid1(VALU_DEP_2)
	v_add_f64 v[160:161], v[162:163], v[160:161]
	v_add_f64 v[164:165], v[150:151], 1.0
	v_add_f64 v[242:243], v[150:151], -1.0
	s_delay_alu instid0(VALU_DEP_3) | instskip(NEXT) | instid1(VALU_DEP_3)
	v_ldexp_f64 v[160:161], v[160:161], v230
	v_add_f64 v[162:163], v[164:165], -1.0
	s_delay_alu instid0(VALU_DEP_3) | instskip(NEXT) | instid1(VALU_DEP_2)
	v_add_f64 v[244:245], v[242:243], 1.0
	v_add_f64 v[162:163], v[150:151], -v[162:163]
	s_delay_alu instid0(VALU_DEP_2) | instskip(NEXT) | instid1(VALU_DEP_2)
	v_add_f64 v[150:151], v[150:151], -v[244:245]
	v_add_f64 v[162:163], v[160:161], v[162:163]
	s_delay_alu instid0(VALU_DEP_2) | instskip(NEXT) | instid1(VALU_DEP_2)
	v_add_f64 v[150:151], v[160:161], v[150:151]
	v_add_f64 v[230:231], v[164:165], v[162:163]
	s_delay_alu instid0(VALU_DEP_2) | instskip(NEXT) | instid1(VALU_DEP_2)
	v_add_f64 v[244:245], v[242:243], v[150:151]
	v_rcp_f64_e32 v[240:241], v[230:231]
	v_add_f64 v[164:165], v[230:231], -v[164:165]
	s_delay_alu instid0(VALU_DEP_2) | instskip(NEXT) | instid1(VALU_DEP_2)
	v_add_f64 v[242:243], v[244:245], -v[242:243]
	v_add_f64 v[162:163], v[162:163], -v[164:165]
	s_waitcnt_depctr 0xfff
	v_fma_f64 v[246:247], -v[230:231], v[240:241], 1.0
	v_add_f64 v[150:151], v[150:151], -v[242:243]
	s_delay_alu instid0(VALU_DEP_2) | instskip(NEXT) | instid1(VALU_DEP_1)
	v_fma_f64 v[240:241], v[246:247], v[240:241], v[240:241]
	v_fma_f64 v[160:161], -v[230:231], v[240:241], 1.0
	s_delay_alu instid0(VALU_DEP_1) | instskip(NEXT) | instid1(VALU_DEP_1)
	v_fma_f64 v[160:161], v[160:161], v[240:241], v[240:241]
	v_mul_f64 v[240:241], v[244:245], v[160:161]
	s_delay_alu instid0(VALU_DEP_1) | instskip(NEXT) | instid1(VALU_DEP_1)
	v_mul_f64 v[246:247], v[230:231], v[240:241]
	v_fma_f64 v[164:165], v[240:241], v[230:231], -v[246:247]
	s_delay_alu instid0(VALU_DEP_1) | instskip(NEXT) | instid1(VALU_DEP_1)
	v_fma_f64 v[164:165], v[240:241], v[162:163], v[164:165]
	v_add_f64 v[40:41], v[246:247], v[164:165]
	s_delay_alu instid0(VALU_DEP_1) | instskip(SKIP_1) | instid1(VALU_DEP_2)
	v_add_f64 v[42:43], v[244:245], -v[40:41]
	v_add_f64 v[242:243], v[40:41], -v[246:247]
	;; [unrolled: 1-line block ×3, first 2 shown]
	s_delay_alu instid0(VALU_DEP_2) | instskip(NEXT) | instid1(VALU_DEP_2)
	v_add_f64 v[164:165], v[242:243], -v[164:165]
	v_add_f64 v[244:245], v[244:245], -v[40:41]
	s_delay_alu instid0(VALU_DEP_1) | instskip(NEXT) | instid1(VALU_DEP_1)
	v_add_f64 v[150:151], v[150:151], v[244:245]
	v_add_f64 v[150:151], v[164:165], v[150:151]
	s_delay_alu instid0(VALU_DEP_1) | instskip(NEXT) | instid1(VALU_DEP_1)
	v_add_f64 v[164:165], v[42:43], v[150:151]
	v_mul_f64 v[242:243], v[160:161], v[164:165]
	v_add_f64 v[40:41], v[42:43], -v[164:165]
	s_delay_alu instid0(VALU_DEP_2) | instskip(NEXT) | instid1(VALU_DEP_2)
	v_mul_f64 v[244:245], v[230:231], v[242:243]
	v_add_f64 v[150:151], v[150:151], v[40:41]
	s_delay_alu instid0(VALU_DEP_2) | instskip(NEXT) | instid1(VALU_DEP_1)
	v_fma_f64 v[230:231], v[242:243], v[230:231], -v[244:245]
	v_fma_f64 v[162:163], v[242:243], v[162:163], v[230:231]
	s_delay_alu instid0(VALU_DEP_1) | instskip(NEXT) | instid1(VALU_DEP_1)
	v_add_f64 v[230:231], v[244:245], v[162:163]
	v_add_f64 v[246:247], v[164:165], -v[230:231]
	v_add_f64 v[244:245], v[230:231], -v[244:245]
	s_delay_alu instid0(VALU_DEP_2) | instskip(NEXT) | instid1(VALU_DEP_2)
	v_add_f64 v[164:165], v[164:165], -v[246:247]
	v_add_f64 v[162:163], v[244:245], -v[162:163]
	s_delay_alu instid0(VALU_DEP_2) | instskip(NEXT) | instid1(VALU_DEP_1)
	v_add_f64 v[164:165], v[164:165], -v[230:231]
	v_add_f64 v[150:151], v[150:151], v[164:165]
	v_add_f64 v[164:165], v[240:241], v[242:243]
	s_delay_alu instid0(VALU_DEP_2) | instskip(NEXT) | instid1(VALU_DEP_2)
	v_add_f64 v[150:151], v[162:163], v[150:151]
	v_add_f64 v[162:163], v[164:165], -v[240:241]
	s_delay_alu instid0(VALU_DEP_2) | instskip(NEXT) | instid1(VALU_DEP_2)
	v_add_f64 v[150:151], v[246:247], v[150:151]
	v_add_f64 v[162:163], v[242:243], -v[162:163]
	s_delay_alu instid0(VALU_DEP_2) | instskip(NEXT) | instid1(VALU_DEP_1)
	v_mul_f64 v[150:151], v[160:161], v[150:151]
	v_add_f64 v[150:151], v[162:163], v[150:151]
	s_delay_alu instid0(VALU_DEP_1) | instskip(NEXT) | instid1(VALU_DEP_1)
	v_add_f64 v[160:161], v[164:165], v[150:151]
	v_mul_f64 v[162:163], v[160:161], v[160:161]
	s_delay_alu instid0(VALU_DEP_1) | instskip(SKIP_1) | instid1(VALU_DEP_2)
	v_fma_f64 v[230:231], v[162:163], s[56:57], s[54:55]
	v_mul_f64 v[240:241], v[160:161], v[162:163]
	v_fma_f64 v[230:231], v[162:163], v[230:231], s[58:59]
	s_delay_alu instid0(VALU_DEP_1) | instskip(NEXT) | instid1(VALU_DEP_1)
	v_fma_f64 v[230:231], v[162:163], v[230:231], s[60:61]
	v_fma_f64 v[230:231], v[162:163], v[230:231], s[62:63]
	s_delay_alu instid0(VALU_DEP_1) | instskip(NEXT) | instid1(VALU_DEP_1)
	v_fma_f64 v[230:231], v[162:163], v[230:231], s[64:65]
	v_fma_f64 v[162:163], v[162:163], v[230:231], s[66:67]
	v_ldexp_f64 v[230:231], v[160:161], 1
	v_add_f64 v[160:161], v[160:161], -v[164:165]
	s_delay_alu instid0(VALU_DEP_3) | instskip(SKIP_1) | instid1(VALU_DEP_3)
	v_mul_f64 v[162:163], v[240:241], v[162:163]
	v_cvt_f64_i32_e32 v[240:241], v166
	v_add_f64 v[150:151], v[150:151], -v[160:161]
	s_delay_alu instid0(VALU_DEP_3) | instskip(NEXT) | instid1(VALU_DEP_3)
	v_add_f64 v[164:165], v[230:231], v[162:163]
	v_mul_f64 v[242:243], v[240:241], s[68:69]
	s_delay_alu instid0(VALU_DEP_3) | instskip(NEXT) | instid1(VALU_DEP_3)
	v_ldexp_f64 v[150:151], v[150:151], 1
	v_add_f64 v[160:161], v[164:165], -v[230:231]
	s_delay_alu instid0(VALU_DEP_3) | instskip(NEXT) | instid1(VALU_DEP_2)
	v_fma_f64 v[230:231], v[240:241], s[68:69], -v[242:243]
	v_add_f64 v[160:161], v[162:163], -v[160:161]
	s_delay_alu instid0(VALU_DEP_2) | instskip(NEXT) | instid1(VALU_DEP_2)
	v_fma_f64 v[162:163], v[240:241], s[70:71], v[230:231]
	v_add_f64 v[150:151], v[150:151], v[160:161]
	s_delay_alu instid0(VALU_DEP_2) | instskip(NEXT) | instid1(VALU_DEP_2)
	v_add_f64 v[160:161], v[242:243], v[162:163]
	v_add_f64 v[230:231], v[164:165], v[150:151]
	s_delay_alu instid0(VALU_DEP_2) | instskip(NEXT) | instid1(VALU_DEP_2)
	v_add_f64 v[242:243], v[160:161], -v[242:243]
	v_add_f64 v[240:241], v[160:161], v[230:231]
	v_add_f64 v[164:165], v[230:231], -v[164:165]
	s_delay_alu instid0(VALU_DEP_3) | instskip(NEXT) | instid1(VALU_DEP_3)
	v_add_f64 v[162:163], v[162:163], -v[242:243]
	v_add_f64 v[244:245], v[240:241], -v[160:161]
	s_delay_alu instid0(VALU_DEP_3) | instskip(NEXT) | instid1(VALU_DEP_2)
	v_add_f64 v[150:151], v[150:151], -v[164:165]
	v_add_f64 v[246:247], v[240:241], -v[244:245]
	;; [unrolled: 1-line block ×3, first 2 shown]
	s_delay_alu instid0(VALU_DEP_3) | instskip(NEXT) | instid1(VALU_DEP_3)
	v_add_f64 v[230:231], v[162:163], v[150:151]
	v_add_f64 v[160:161], v[160:161], -v[246:247]
	s_delay_alu instid0(VALU_DEP_1) | instskip(NEXT) | instid1(VALU_DEP_3)
	v_add_f64 v[160:161], v[164:165], v[160:161]
	v_add_f64 v[164:165], v[230:231], -v[162:163]
	s_delay_alu instid0(VALU_DEP_2) | instskip(NEXT) | instid1(VALU_DEP_2)
	v_add_f64 v[160:161], v[230:231], v[160:161]
	v_add_f64 v[230:231], v[230:231], -v[164:165]
	v_add_f64 v[150:151], v[150:151], -v[164:165]
	s_delay_alu instid0(VALU_DEP_3) | instskip(NEXT) | instid1(VALU_DEP_3)
	v_add_f64 v[242:243], v[240:241], v[160:161]
	v_add_f64 v[162:163], v[162:163], -v[230:231]
	s_delay_alu instid0(VALU_DEP_2) | instskip(NEXT) | instid1(VALU_DEP_2)
	v_add_f64 v[164:165], v[242:243], -v[240:241]
	v_add_f64 v[150:151], v[150:151], v[162:163]
	s_delay_alu instid0(VALU_DEP_2) | instskip(NEXT) | instid1(VALU_DEP_1)
	v_add_f64 v[160:161], v[160:161], -v[164:165]
	v_add_f64 v[150:151], v[150:151], v[160:161]
	s_delay_alu instid0(VALU_DEP_1) | instskip(NEXT) | instid1(VALU_DEP_1)
	v_add_f64 v[150:151], v[242:243], v[150:151]
	v_dual_cndmask_b32 v151, v151, v149 :: v_dual_cndmask_b32 v150, v150, v148
	v_cmp_ngt_f64_e32 vcc_lo, -1.0, v[148:149]
	s_delay_alu instid0(VALU_DEP_2) | instskip(SKIP_1) | instid1(VALU_DEP_4)
	v_cndmask_b32_e32 v151, 0x7ff80000, v151, vcc_lo
	v_cmp_nge_f64_e32 vcc_lo, -1.0, v[148:149]
	v_cndmask_b32_e32 v150, 0, v150, vcc_lo
	v_cmp_neq_f64_e32 vcc_lo, -1.0, v[148:149]
	s_delay_alu instid0(VALU_DEP_4) | instskip(NEXT) | instid1(VALU_DEP_1)
	v_cndmask_b32_e32 v151, 0xfff00000, v151, vcc_lo
	v_add_f64 v[148:149], v[6:7], v[150:151]
.LBB8_185:                              ;   in Loop: Header=BB8_160 Depth=1
	s_or_b32 exec_lo, exec_lo, s73
	s_delay_alu instid0(VALU_DEP_1)
	v_dual_mov_b32 v150, v148 :: v_dual_mov_b32 v151, v149
	v_dual_mov_b32 v6, v148 :: v_dual_mov_b32 v7, v149
.LBB8_186:                              ;   in Loop: Header=BB8_160 Depth=1
	s_or_b32 exec_lo, exec_lo, s20
	s_waitcnt lgkmcnt(1)
	ds_bpermute_b32 v148, v214, v150
	s_waitcnt lgkmcnt(1)
	ds_bpermute_b32 v149, v214, v151
	s_mov_b32 s20, exec_lo
	v_cmpx_le_u32_e64 v215, v9
	s_cbranch_execz .LBB8_190
; %bb.187:                              ;   in Loop: Header=BB8_160 Depth=1
	s_waitcnt lgkmcnt(0)
	v_max_f64 v[150:151], v[148:149], v[148:149]
	v_max_f64 v[160:161], v[6:7], v[6:7]
	v_cmp_u_f64_e32 vcc_lo, v[148:149], v[148:149]
	v_cmp_u_f64_e64 s19, v[6:7], v[6:7]
	s_delay_alu instid0(VALU_DEP_3) | instskip(SKIP_1) | instid1(VALU_DEP_2)
	v_min_f64 v[162:163], v[150:151], v[160:161]
	v_max_f64 v[150:151], v[150:151], v[160:161]
	v_dual_cndmask_b32 v160, v162, v148 :: v_dual_cndmask_b32 v161, v163, v149
	s_delay_alu instid0(VALU_DEP_2) | instskip(NEXT) | instid1(VALU_DEP_2)
	v_dual_cndmask_b32 v162, v151, v149 :: v_dual_cndmask_b32 v163, v150, v148
	v_cndmask_b32_e64 v150, v160, v6, s19
	s_delay_alu instid0(VALU_DEP_3) | instskip(NEXT) | instid1(VALU_DEP_3)
	v_cndmask_b32_e64 v151, v161, v7, s19
	v_cndmask_b32_e64 v7, v162, v7, s19
	s_delay_alu instid0(VALU_DEP_4) | instskip(NEXT) | instid1(VALU_DEP_3)
	v_cndmask_b32_e64 v6, v163, v6, s19
	v_cmp_class_f64_e64 s19, v[150:151], 0x1f8
	s_delay_alu instid0(VALU_DEP_2) | instskip(NEXT) | instid1(VALU_DEP_2)
	v_cmp_neq_f64_e32 vcc_lo, v[150:151], v[6:7]
	s_or_b32 s19, vcc_lo, s19
	s_delay_alu instid0(SALU_CYCLE_1)
	s_and_saveexec_b32 s73, s19
	s_cbranch_execz .LBB8_189
; %bb.188:                              ;   in Loop: Header=BB8_160 Depth=1
	v_add_f64 v[148:149], v[150:151], -v[6:7]
	s_mov_b32 s67, s53
	s_mov_b32 s68, s26
	;; [unrolled: 1-line block ×3, first 2 shown]
	s_delay_alu instid0(VALU_DEP_1) | instskip(SKIP_2) | instid1(VALU_DEP_3)
	v_mul_f64 v[150:151], v[148:149], s[24:25]
	v_cmp_nlt_f64_e32 vcc_lo, 0x40900000, v[148:149]
	v_cmp_ngt_f64_e64 s19, 0xc090cc00, v[148:149]
	v_rndne_f64_e32 v[150:151], v[150:151]
	s_delay_alu instid0(VALU_DEP_1) | instskip(SKIP_1) | instid1(VALU_DEP_2)
	v_fma_f64 v[160:161], v[150:151], s[26:27], v[148:149]
	v_cvt_i32_f64_e32 v164, v[150:151]
	v_fma_f64 v[160:161], v[150:151], s[28:29], v[160:161]
	s_delay_alu instid0(VALU_DEP_1) | instskip(NEXT) | instid1(VALU_DEP_1)
	v_fma_f64 v[162:163], v[160:161], s[34:35], s[30:31]
	v_fma_f64 v[162:163], v[160:161], v[162:163], s[36:37]
	s_delay_alu instid0(VALU_DEP_1) | instskip(NEXT) | instid1(VALU_DEP_1)
	v_fma_f64 v[162:163], v[160:161], v[162:163], s[38:39]
	;; [unrolled: 3-line block ×5, first 2 shown]
	v_fma_f64 v[162:163], v[160:161], v[162:163], 1.0
	s_delay_alu instid0(VALU_DEP_1) | instskip(NEXT) | instid1(VALU_DEP_1)
	v_fma_f64 v[150:151], v[160:161], v[162:163], 1.0
	v_ldexp_f64 v[150:151], v[150:151], v164
	s_delay_alu instid0(VALU_DEP_1) | instskip(SKIP_1) | instid1(VALU_DEP_1)
	v_cndmask_b32_e32 v151, 0x7ff00000, v151, vcc_lo
	s_and_b32 vcc_lo, s19, vcc_lo
	v_cndmask_b32_e64 v149, 0, v151, s19
	s_delay_alu instid0(VALU_DEP_3) | instskip(NEXT) | instid1(VALU_DEP_1)
	v_cndmask_b32_e32 v148, 0, v150, vcc_lo
	v_add_f64 v[150:151], v[148:149], 1.0
	s_delay_alu instid0(VALU_DEP_1) | instskip(SKIP_2) | instid1(VALU_DEP_3)
	v_frexp_mant_f64_e32 v[160:161], v[150:151]
	v_frexp_exp_i32_f64_e32 v164, v[150:151]
	v_add_f64 v[162:163], v[150:151], -1.0
	v_cmp_gt_f64_e32 vcc_lo, s[52:53], v[160:161]
	s_delay_alu instid0(VALU_DEP_2) | instskip(SKIP_2) | instid1(VALU_DEP_3)
	v_add_f64 v[160:161], v[162:163], -v[150:151]
	v_add_f64 v[162:163], v[148:149], -v[162:163]
	v_subrev_co_ci_u32_e32 v166, vcc_lo, 0, v164, vcc_lo
	v_add_f64 v[160:161], v[160:161], 1.0
	v_cmp_eq_f64_e32 vcc_lo, 0x7ff00000, v[148:149]
	s_delay_alu instid0(VALU_DEP_3) | instskip(NEXT) | instid1(VALU_DEP_1)
	v_sub_nc_u32_e32 v230, 0, v166
	v_ldexp_f64 v[150:151], v[150:151], v230
	s_delay_alu instid0(VALU_DEP_4) | instskip(NEXT) | instid1(VALU_DEP_2)
	v_add_f64 v[160:161], v[162:163], v[160:161]
	v_add_f64 v[164:165], v[150:151], 1.0
	v_add_f64 v[242:243], v[150:151], -1.0
	s_delay_alu instid0(VALU_DEP_3) | instskip(NEXT) | instid1(VALU_DEP_3)
	v_ldexp_f64 v[160:161], v[160:161], v230
	v_add_f64 v[162:163], v[164:165], -1.0
	s_delay_alu instid0(VALU_DEP_3) | instskip(NEXT) | instid1(VALU_DEP_2)
	v_add_f64 v[244:245], v[242:243], 1.0
	v_add_f64 v[162:163], v[150:151], -v[162:163]
	s_delay_alu instid0(VALU_DEP_2) | instskip(NEXT) | instid1(VALU_DEP_2)
	v_add_f64 v[150:151], v[150:151], -v[244:245]
	v_add_f64 v[162:163], v[160:161], v[162:163]
	s_delay_alu instid0(VALU_DEP_2) | instskip(NEXT) | instid1(VALU_DEP_2)
	v_add_f64 v[150:151], v[160:161], v[150:151]
	v_add_f64 v[230:231], v[164:165], v[162:163]
	s_delay_alu instid0(VALU_DEP_2) | instskip(NEXT) | instid1(VALU_DEP_2)
	v_add_f64 v[244:245], v[242:243], v[150:151]
	v_rcp_f64_e32 v[240:241], v[230:231]
	v_add_f64 v[164:165], v[230:231], -v[164:165]
	s_delay_alu instid0(VALU_DEP_2) | instskip(NEXT) | instid1(VALU_DEP_2)
	v_add_f64 v[242:243], v[244:245], -v[242:243]
	v_add_f64 v[162:163], v[162:163], -v[164:165]
	s_waitcnt_depctr 0xfff
	v_fma_f64 v[246:247], -v[230:231], v[240:241], 1.0
	v_add_f64 v[150:151], v[150:151], -v[242:243]
	s_delay_alu instid0(VALU_DEP_2) | instskip(NEXT) | instid1(VALU_DEP_1)
	v_fma_f64 v[240:241], v[246:247], v[240:241], v[240:241]
	v_fma_f64 v[160:161], -v[230:231], v[240:241], 1.0
	s_delay_alu instid0(VALU_DEP_1) | instskip(NEXT) | instid1(VALU_DEP_1)
	v_fma_f64 v[160:161], v[160:161], v[240:241], v[240:241]
	v_mul_f64 v[240:241], v[244:245], v[160:161]
	s_delay_alu instid0(VALU_DEP_1) | instskip(NEXT) | instid1(VALU_DEP_1)
	v_mul_f64 v[246:247], v[230:231], v[240:241]
	v_fma_f64 v[164:165], v[240:241], v[230:231], -v[246:247]
	s_delay_alu instid0(VALU_DEP_1) | instskip(NEXT) | instid1(VALU_DEP_1)
	v_fma_f64 v[164:165], v[240:241], v[162:163], v[164:165]
	v_add_f64 v[40:41], v[246:247], v[164:165]
	s_delay_alu instid0(VALU_DEP_1) | instskip(SKIP_1) | instid1(VALU_DEP_2)
	v_add_f64 v[42:43], v[244:245], -v[40:41]
	v_add_f64 v[242:243], v[40:41], -v[246:247]
	v_add_f64 v[244:245], v[244:245], -v[42:43]
	s_delay_alu instid0(VALU_DEP_2) | instskip(NEXT) | instid1(VALU_DEP_2)
	v_add_f64 v[164:165], v[242:243], -v[164:165]
	v_add_f64 v[244:245], v[244:245], -v[40:41]
	s_delay_alu instid0(VALU_DEP_1) | instskip(NEXT) | instid1(VALU_DEP_1)
	v_add_f64 v[150:151], v[150:151], v[244:245]
	v_add_f64 v[150:151], v[164:165], v[150:151]
	s_delay_alu instid0(VALU_DEP_1) | instskip(NEXT) | instid1(VALU_DEP_1)
	v_add_f64 v[164:165], v[42:43], v[150:151]
	v_mul_f64 v[242:243], v[160:161], v[164:165]
	v_add_f64 v[40:41], v[42:43], -v[164:165]
	s_delay_alu instid0(VALU_DEP_2) | instskip(NEXT) | instid1(VALU_DEP_2)
	v_mul_f64 v[244:245], v[230:231], v[242:243]
	v_add_f64 v[150:151], v[150:151], v[40:41]
	s_delay_alu instid0(VALU_DEP_2) | instskip(NEXT) | instid1(VALU_DEP_1)
	v_fma_f64 v[230:231], v[242:243], v[230:231], -v[244:245]
	v_fma_f64 v[162:163], v[242:243], v[162:163], v[230:231]
	s_delay_alu instid0(VALU_DEP_1) | instskip(NEXT) | instid1(VALU_DEP_1)
	v_add_f64 v[230:231], v[244:245], v[162:163]
	v_add_f64 v[246:247], v[164:165], -v[230:231]
	v_add_f64 v[244:245], v[230:231], -v[244:245]
	s_delay_alu instid0(VALU_DEP_2) | instskip(NEXT) | instid1(VALU_DEP_2)
	v_add_f64 v[164:165], v[164:165], -v[246:247]
	v_add_f64 v[162:163], v[244:245], -v[162:163]
	s_delay_alu instid0(VALU_DEP_2) | instskip(NEXT) | instid1(VALU_DEP_1)
	v_add_f64 v[164:165], v[164:165], -v[230:231]
	v_add_f64 v[150:151], v[150:151], v[164:165]
	v_add_f64 v[164:165], v[240:241], v[242:243]
	s_delay_alu instid0(VALU_DEP_2) | instskip(NEXT) | instid1(VALU_DEP_2)
	v_add_f64 v[150:151], v[162:163], v[150:151]
	v_add_f64 v[162:163], v[164:165], -v[240:241]
	s_delay_alu instid0(VALU_DEP_2) | instskip(NEXT) | instid1(VALU_DEP_2)
	v_add_f64 v[150:151], v[246:247], v[150:151]
	v_add_f64 v[162:163], v[242:243], -v[162:163]
	s_delay_alu instid0(VALU_DEP_2) | instskip(NEXT) | instid1(VALU_DEP_1)
	v_mul_f64 v[150:151], v[160:161], v[150:151]
	v_add_f64 v[150:151], v[162:163], v[150:151]
	s_delay_alu instid0(VALU_DEP_1) | instskip(NEXT) | instid1(VALU_DEP_1)
	v_add_f64 v[160:161], v[164:165], v[150:151]
	v_mul_f64 v[162:163], v[160:161], v[160:161]
	s_delay_alu instid0(VALU_DEP_1) | instskip(SKIP_1) | instid1(VALU_DEP_2)
	v_fma_f64 v[230:231], v[162:163], s[56:57], s[54:55]
	v_mul_f64 v[240:241], v[160:161], v[162:163]
	v_fma_f64 v[230:231], v[162:163], v[230:231], s[58:59]
	s_delay_alu instid0(VALU_DEP_1) | instskip(NEXT) | instid1(VALU_DEP_1)
	v_fma_f64 v[230:231], v[162:163], v[230:231], s[60:61]
	v_fma_f64 v[230:231], v[162:163], v[230:231], s[62:63]
	s_delay_alu instid0(VALU_DEP_1) | instskip(NEXT) | instid1(VALU_DEP_1)
	v_fma_f64 v[230:231], v[162:163], v[230:231], s[64:65]
	v_fma_f64 v[162:163], v[162:163], v[230:231], s[66:67]
	v_ldexp_f64 v[230:231], v[160:161], 1
	v_add_f64 v[160:161], v[160:161], -v[164:165]
	s_delay_alu instid0(VALU_DEP_3) | instskip(SKIP_1) | instid1(VALU_DEP_3)
	v_mul_f64 v[162:163], v[240:241], v[162:163]
	v_cvt_f64_i32_e32 v[240:241], v166
	v_add_f64 v[150:151], v[150:151], -v[160:161]
	s_delay_alu instid0(VALU_DEP_3) | instskip(NEXT) | instid1(VALU_DEP_3)
	v_add_f64 v[164:165], v[230:231], v[162:163]
	v_mul_f64 v[242:243], v[240:241], s[68:69]
	s_delay_alu instid0(VALU_DEP_3) | instskip(NEXT) | instid1(VALU_DEP_3)
	v_ldexp_f64 v[150:151], v[150:151], 1
	v_add_f64 v[160:161], v[164:165], -v[230:231]
	s_delay_alu instid0(VALU_DEP_3) | instskip(NEXT) | instid1(VALU_DEP_2)
	v_fma_f64 v[230:231], v[240:241], s[68:69], -v[242:243]
	v_add_f64 v[160:161], v[162:163], -v[160:161]
	s_delay_alu instid0(VALU_DEP_2) | instskip(NEXT) | instid1(VALU_DEP_2)
	v_fma_f64 v[162:163], v[240:241], s[70:71], v[230:231]
	v_add_f64 v[150:151], v[150:151], v[160:161]
	s_delay_alu instid0(VALU_DEP_2) | instskip(NEXT) | instid1(VALU_DEP_2)
	v_add_f64 v[160:161], v[242:243], v[162:163]
	v_add_f64 v[230:231], v[164:165], v[150:151]
	s_delay_alu instid0(VALU_DEP_2) | instskip(NEXT) | instid1(VALU_DEP_2)
	v_add_f64 v[242:243], v[160:161], -v[242:243]
	v_add_f64 v[240:241], v[160:161], v[230:231]
	v_add_f64 v[164:165], v[230:231], -v[164:165]
	s_delay_alu instid0(VALU_DEP_3) | instskip(NEXT) | instid1(VALU_DEP_3)
	v_add_f64 v[162:163], v[162:163], -v[242:243]
	v_add_f64 v[244:245], v[240:241], -v[160:161]
	s_delay_alu instid0(VALU_DEP_3) | instskip(NEXT) | instid1(VALU_DEP_2)
	v_add_f64 v[150:151], v[150:151], -v[164:165]
	v_add_f64 v[246:247], v[240:241], -v[244:245]
	;; [unrolled: 1-line block ×3, first 2 shown]
	s_delay_alu instid0(VALU_DEP_3) | instskip(NEXT) | instid1(VALU_DEP_3)
	v_add_f64 v[230:231], v[162:163], v[150:151]
	v_add_f64 v[160:161], v[160:161], -v[246:247]
	s_delay_alu instid0(VALU_DEP_1) | instskip(NEXT) | instid1(VALU_DEP_3)
	v_add_f64 v[160:161], v[164:165], v[160:161]
	v_add_f64 v[164:165], v[230:231], -v[162:163]
	s_delay_alu instid0(VALU_DEP_2) | instskip(NEXT) | instid1(VALU_DEP_2)
	v_add_f64 v[160:161], v[230:231], v[160:161]
	v_add_f64 v[230:231], v[230:231], -v[164:165]
	v_add_f64 v[150:151], v[150:151], -v[164:165]
	s_delay_alu instid0(VALU_DEP_3) | instskip(NEXT) | instid1(VALU_DEP_3)
	v_add_f64 v[242:243], v[240:241], v[160:161]
	v_add_f64 v[162:163], v[162:163], -v[230:231]
	s_delay_alu instid0(VALU_DEP_2) | instskip(NEXT) | instid1(VALU_DEP_2)
	v_add_f64 v[164:165], v[242:243], -v[240:241]
	v_add_f64 v[150:151], v[150:151], v[162:163]
	s_delay_alu instid0(VALU_DEP_2) | instskip(NEXT) | instid1(VALU_DEP_1)
	v_add_f64 v[160:161], v[160:161], -v[164:165]
	v_add_f64 v[150:151], v[150:151], v[160:161]
	s_delay_alu instid0(VALU_DEP_1) | instskip(NEXT) | instid1(VALU_DEP_1)
	v_add_f64 v[150:151], v[242:243], v[150:151]
	v_dual_cndmask_b32 v151, v151, v149 :: v_dual_cndmask_b32 v150, v150, v148
	v_cmp_ngt_f64_e32 vcc_lo, -1.0, v[148:149]
	s_delay_alu instid0(VALU_DEP_2) | instskip(SKIP_1) | instid1(VALU_DEP_4)
	v_cndmask_b32_e32 v151, 0x7ff80000, v151, vcc_lo
	v_cmp_nge_f64_e32 vcc_lo, -1.0, v[148:149]
	v_cndmask_b32_e32 v150, 0, v150, vcc_lo
	v_cmp_neq_f64_e32 vcc_lo, -1.0, v[148:149]
	s_delay_alu instid0(VALU_DEP_4) | instskip(NEXT) | instid1(VALU_DEP_1)
	v_cndmask_b32_e32 v151, 0xfff00000, v151, vcc_lo
	v_add_f64 v[148:149], v[6:7], v[150:151]
.LBB8_189:                              ;   in Loop: Header=BB8_160 Depth=1
	s_or_b32 exec_lo, exec_lo, s73
	s_delay_alu instid0(VALU_DEP_1)
	v_dual_mov_b32 v150, v148 :: v_dual_mov_b32 v151, v149
	v_dual_mov_b32 v6, v148 :: v_dual_mov_b32 v7, v149
.LBB8_190:                              ;   in Loop: Header=BB8_160 Depth=1
	s_or_b32 exec_lo, exec_lo, s20
	s_waitcnt lgkmcnt(1)
	ds_bpermute_b32 v148, v224, v150
	s_waitcnt lgkmcnt(1)
	ds_bpermute_b32 v149, v224, v151
	s_mov_b32 s20, exec_lo
	v_cmpx_le_u32_e64 v225, v9
	s_cbranch_execz .LBB8_194
; %bb.191:                              ;   in Loop: Header=BB8_160 Depth=1
	s_waitcnt lgkmcnt(0)
	v_max_f64 v[150:151], v[148:149], v[148:149]
	v_max_f64 v[160:161], v[6:7], v[6:7]
	v_cmp_u_f64_e32 vcc_lo, v[148:149], v[148:149]
	v_cmp_u_f64_e64 s19, v[6:7], v[6:7]
	s_delay_alu instid0(VALU_DEP_3) | instskip(SKIP_1) | instid1(VALU_DEP_2)
	v_min_f64 v[162:163], v[150:151], v[160:161]
	v_max_f64 v[150:151], v[150:151], v[160:161]
	v_dual_cndmask_b32 v160, v162, v148 :: v_dual_cndmask_b32 v161, v163, v149
	s_delay_alu instid0(VALU_DEP_2) | instskip(NEXT) | instid1(VALU_DEP_2)
	v_dual_cndmask_b32 v162, v151, v149 :: v_dual_cndmask_b32 v163, v150, v148
	v_cndmask_b32_e64 v150, v160, v6, s19
	s_delay_alu instid0(VALU_DEP_3) | instskip(NEXT) | instid1(VALU_DEP_3)
	v_cndmask_b32_e64 v151, v161, v7, s19
	v_cndmask_b32_e64 v7, v162, v7, s19
	s_delay_alu instid0(VALU_DEP_4) | instskip(NEXT) | instid1(VALU_DEP_3)
	v_cndmask_b32_e64 v6, v163, v6, s19
	v_cmp_class_f64_e64 s19, v[150:151], 0x1f8
	s_delay_alu instid0(VALU_DEP_2) | instskip(NEXT) | instid1(VALU_DEP_2)
	v_cmp_neq_f64_e32 vcc_lo, v[150:151], v[6:7]
	s_or_b32 s19, vcc_lo, s19
	s_delay_alu instid0(SALU_CYCLE_1)
	s_and_saveexec_b32 s73, s19
	s_cbranch_execz .LBB8_193
; %bb.192:                              ;   in Loop: Header=BB8_160 Depth=1
	v_add_f64 v[148:149], v[150:151], -v[6:7]
	s_mov_b32 s67, s53
	s_mov_b32 s68, s26
	;; [unrolled: 1-line block ×3, first 2 shown]
	s_delay_alu instid0(VALU_DEP_1) | instskip(SKIP_2) | instid1(VALU_DEP_3)
	v_mul_f64 v[150:151], v[148:149], s[24:25]
	v_cmp_nlt_f64_e32 vcc_lo, 0x40900000, v[148:149]
	v_cmp_ngt_f64_e64 s19, 0xc090cc00, v[148:149]
	v_rndne_f64_e32 v[150:151], v[150:151]
	s_delay_alu instid0(VALU_DEP_1) | instskip(SKIP_1) | instid1(VALU_DEP_2)
	v_fma_f64 v[160:161], v[150:151], s[26:27], v[148:149]
	v_cvt_i32_f64_e32 v164, v[150:151]
	v_fma_f64 v[160:161], v[150:151], s[28:29], v[160:161]
	s_delay_alu instid0(VALU_DEP_1) | instskip(NEXT) | instid1(VALU_DEP_1)
	v_fma_f64 v[162:163], v[160:161], s[34:35], s[30:31]
	v_fma_f64 v[162:163], v[160:161], v[162:163], s[36:37]
	s_delay_alu instid0(VALU_DEP_1) | instskip(NEXT) | instid1(VALU_DEP_1)
	v_fma_f64 v[162:163], v[160:161], v[162:163], s[38:39]
	v_fma_f64 v[162:163], v[160:161], v[162:163], s[40:41]
	s_delay_alu instid0(VALU_DEP_1) | instskip(NEXT) | instid1(VALU_DEP_1)
	v_fma_f64 v[162:163], v[160:161], v[162:163], s[42:43]
	v_fma_f64 v[162:163], v[160:161], v[162:163], s[44:45]
	s_delay_alu instid0(VALU_DEP_1) | instskip(NEXT) | instid1(VALU_DEP_1)
	v_fma_f64 v[162:163], v[160:161], v[162:163], s[46:47]
	v_fma_f64 v[162:163], v[160:161], v[162:163], s[48:49]
	s_delay_alu instid0(VALU_DEP_1) | instskip(NEXT) | instid1(VALU_DEP_1)
	v_fma_f64 v[162:163], v[160:161], v[162:163], s[50:51]
	v_fma_f64 v[162:163], v[160:161], v[162:163], 1.0
	s_delay_alu instid0(VALU_DEP_1) | instskip(NEXT) | instid1(VALU_DEP_1)
	v_fma_f64 v[150:151], v[160:161], v[162:163], 1.0
	v_ldexp_f64 v[150:151], v[150:151], v164
	s_delay_alu instid0(VALU_DEP_1) | instskip(SKIP_1) | instid1(VALU_DEP_1)
	v_cndmask_b32_e32 v151, 0x7ff00000, v151, vcc_lo
	s_and_b32 vcc_lo, s19, vcc_lo
	v_cndmask_b32_e64 v149, 0, v151, s19
	s_delay_alu instid0(VALU_DEP_3) | instskip(NEXT) | instid1(VALU_DEP_1)
	v_cndmask_b32_e32 v148, 0, v150, vcc_lo
	v_add_f64 v[150:151], v[148:149], 1.0
	s_delay_alu instid0(VALU_DEP_1) | instskip(SKIP_2) | instid1(VALU_DEP_3)
	v_frexp_mant_f64_e32 v[160:161], v[150:151]
	v_frexp_exp_i32_f64_e32 v164, v[150:151]
	v_add_f64 v[162:163], v[150:151], -1.0
	v_cmp_gt_f64_e32 vcc_lo, s[52:53], v[160:161]
	s_delay_alu instid0(VALU_DEP_2) | instskip(SKIP_2) | instid1(VALU_DEP_3)
	v_add_f64 v[160:161], v[162:163], -v[150:151]
	v_add_f64 v[162:163], v[148:149], -v[162:163]
	v_subrev_co_ci_u32_e32 v166, vcc_lo, 0, v164, vcc_lo
	v_add_f64 v[160:161], v[160:161], 1.0
	v_cmp_eq_f64_e32 vcc_lo, 0x7ff00000, v[148:149]
	s_delay_alu instid0(VALU_DEP_3) | instskip(NEXT) | instid1(VALU_DEP_1)
	v_sub_nc_u32_e32 v230, 0, v166
	v_ldexp_f64 v[150:151], v[150:151], v230
	s_delay_alu instid0(VALU_DEP_4) | instskip(NEXT) | instid1(VALU_DEP_2)
	v_add_f64 v[160:161], v[162:163], v[160:161]
	v_add_f64 v[164:165], v[150:151], 1.0
	v_add_f64 v[242:243], v[150:151], -1.0
	s_delay_alu instid0(VALU_DEP_3) | instskip(NEXT) | instid1(VALU_DEP_3)
	v_ldexp_f64 v[160:161], v[160:161], v230
	v_add_f64 v[162:163], v[164:165], -1.0
	s_delay_alu instid0(VALU_DEP_3) | instskip(NEXT) | instid1(VALU_DEP_2)
	v_add_f64 v[244:245], v[242:243], 1.0
	v_add_f64 v[162:163], v[150:151], -v[162:163]
	s_delay_alu instid0(VALU_DEP_2) | instskip(NEXT) | instid1(VALU_DEP_2)
	v_add_f64 v[150:151], v[150:151], -v[244:245]
	v_add_f64 v[162:163], v[160:161], v[162:163]
	s_delay_alu instid0(VALU_DEP_2) | instskip(NEXT) | instid1(VALU_DEP_2)
	v_add_f64 v[150:151], v[160:161], v[150:151]
	v_add_f64 v[230:231], v[164:165], v[162:163]
	s_delay_alu instid0(VALU_DEP_2) | instskip(NEXT) | instid1(VALU_DEP_2)
	v_add_f64 v[244:245], v[242:243], v[150:151]
	v_rcp_f64_e32 v[240:241], v[230:231]
	v_add_f64 v[164:165], v[230:231], -v[164:165]
	s_delay_alu instid0(VALU_DEP_2) | instskip(NEXT) | instid1(VALU_DEP_2)
	v_add_f64 v[242:243], v[244:245], -v[242:243]
	v_add_f64 v[162:163], v[162:163], -v[164:165]
	s_waitcnt_depctr 0xfff
	v_fma_f64 v[246:247], -v[230:231], v[240:241], 1.0
	v_add_f64 v[150:151], v[150:151], -v[242:243]
	s_delay_alu instid0(VALU_DEP_2) | instskip(NEXT) | instid1(VALU_DEP_1)
	v_fma_f64 v[240:241], v[246:247], v[240:241], v[240:241]
	v_fma_f64 v[160:161], -v[230:231], v[240:241], 1.0
	s_delay_alu instid0(VALU_DEP_1) | instskip(NEXT) | instid1(VALU_DEP_1)
	v_fma_f64 v[160:161], v[160:161], v[240:241], v[240:241]
	v_mul_f64 v[240:241], v[244:245], v[160:161]
	s_delay_alu instid0(VALU_DEP_1) | instskip(NEXT) | instid1(VALU_DEP_1)
	v_mul_f64 v[246:247], v[230:231], v[240:241]
	v_fma_f64 v[164:165], v[240:241], v[230:231], -v[246:247]
	s_delay_alu instid0(VALU_DEP_1) | instskip(NEXT) | instid1(VALU_DEP_1)
	v_fma_f64 v[164:165], v[240:241], v[162:163], v[164:165]
	v_add_f64 v[40:41], v[246:247], v[164:165]
	s_delay_alu instid0(VALU_DEP_1) | instskip(SKIP_1) | instid1(VALU_DEP_2)
	v_add_f64 v[42:43], v[244:245], -v[40:41]
	v_add_f64 v[242:243], v[40:41], -v[246:247]
	;; [unrolled: 1-line block ×3, first 2 shown]
	s_delay_alu instid0(VALU_DEP_2) | instskip(NEXT) | instid1(VALU_DEP_2)
	v_add_f64 v[164:165], v[242:243], -v[164:165]
	v_add_f64 v[244:245], v[244:245], -v[40:41]
	s_delay_alu instid0(VALU_DEP_1) | instskip(NEXT) | instid1(VALU_DEP_1)
	v_add_f64 v[150:151], v[150:151], v[244:245]
	v_add_f64 v[150:151], v[164:165], v[150:151]
	s_delay_alu instid0(VALU_DEP_1) | instskip(NEXT) | instid1(VALU_DEP_1)
	v_add_f64 v[164:165], v[42:43], v[150:151]
	v_mul_f64 v[242:243], v[160:161], v[164:165]
	v_add_f64 v[40:41], v[42:43], -v[164:165]
	s_delay_alu instid0(VALU_DEP_2) | instskip(NEXT) | instid1(VALU_DEP_2)
	v_mul_f64 v[244:245], v[230:231], v[242:243]
	v_add_f64 v[150:151], v[150:151], v[40:41]
	s_delay_alu instid0(VALU_DEP_2) | instskip(NEXT) | instid1(VALU_DEP_1)
	v_fma_f64 v[230:231], v[242:243], v[230:231], -v[244:245]
	v_fma_f64 v[162:163], v[242:243], v[162:163], v[230:231]
	s_delay_alu instid0(VALU_DEP_1) | instskip(NEXT) | instid1(VALU_DEP_1)
	v_add_f64 v[230:231], v[244:245], v[162:163]
	v_add_f64 v[246:247], v[164:165], -v[230:231]
	v_add_f64 v[244:245], v[230:231], -v[244:245]
	s_delay_alu instid0(VALU_DEP_2) | instskip(NEXT) | instid1(VALU_DEP_2)
	v_add_f64 v[164:165], v[164:165], -v[246:247]
	v_add_f64 v[162:163], v[244:245], -v[162:163]
	s_delay_alu instid0(VALU_DEP_2) | instskip(NEXT) | instid1(VALU_DEP_1)
	v_add_f64 v[164:165], v[164:165], -v[230:231]
	v_add_f64 v[150:151], v[150:151], v[164:165]
	v_add_f64 v[164:165], v[240:241], v[242:243]
	s_delay_alu instid0(VALU_DEP_2) | instskip(NEXT) | instid1(VALU_DEP_2)
	v_add_f64 v[150:151], v[162:163], v[150:151]
	v_add_f64 v[162:163], v[164:165], -v[240:241]
	s_delay_alu instid0(VALU_DEP_2) | instskip(NEXT) | instid1(VALU_DEP_2)
	v_add_f64 v[150:151], v[246:247], v[150:151]
	v_add_f64 v[162:163], v[242:243], -v[162:163]
	s_delay_alu instid0(VALU_DEP_2) | instskip(NEXT) | instid1(VALU_DEP_1)
	v_mul_f64 v[150:151], v[160:161], v[150:151]
	v_add_f64 v[150:151], v[162:163], v[150:151]
	s_delay_alu instid0(VALU_DEP_1) | instskip(NEXT) | instid1(VALU_DEP_1)
	v_add_f64 v[160:161], v[164:165], v[150:151]
	v_mul_f64 v[162:163], v[160:161], v[160:161]
	s_delay_alu instid0(VALU_DEP_1) | instskip(SKIP_1) | instid1(VALU_DEP_2)
	v_fma_f64 v[230:231], v[162:163], s[56:57], s[54:55]
	v_mul_f64 v[240:241], v[160:161], v[162:163]
	v_fma_f64 v[230:231], v[162:163], v[230:231], s[58:59]
	s_delay_alu instid0(VALU_DEP_1) | instskip(NEXT) | instid1(VALU_DEP_1)
	v_fma_f64 v[230:231], v[162:163], v[230:231], s[60:61]
	v_fma_f64 v[230:231], v[162:163], v[230:231], s[62:63]
	s_delay_alu instid0(VALU_DEP_1) | instskip(NEXT) | instid1(VALU_DEP_1)
	v_fma_f64 v[230:231], v[162:163], v[230:231], s[64:65]
	v_fma_f64 v[162:163], v[162:163], v[230:231], s[66:67]
	v_ldexp_f64 v[230:231], v[160:161], 1
	v_add_f64 v[160:161], v[160:161], -v[164:165]
	s_delay_alu instid0(VALU_DEP_3) | instskip(SKIP_1) | instid1(VALU_DEP_3)
	v_mul_f64 v[162:163], v[240:241], v[162:163]
	v_cvt_f64_i32_e32 v[240:241], v166
	v_add_f64 v[150:151], v[150:151], -v[160:161]
	s_delay_alu instid0(VALU_DEP_3) | instskip(NEXT) | instid1(VALU_DEP_3)
	v_add_f64 v[164:165], v[230:231], v[162:163]
	v_mul_f64 v[242:243], v[240:241], s[68:69]
	s_delay_alu instid0(VALU_DEP_3) | instskip(NEXT) | instid1(VALU_DEP_3)
	v_ldexp_f64 v[150:151], v[150:151], 1
	v_add_f64 v[160:161], v[164:165], -v[230:231]
	s_delay_alu instid0(VALU_DEP_3) | instskip(NEXT) | instid1(VALU_DEP_2)
	v_fma_f64 v[230:231], v[240:241], s[68:69], -v[242:243]
	v_add_f64 v[160:161], v[162:163], -v[160:161]
	s_delay_alu instid0(VALU_DEP_2) | instskip(NEXT) | instid1(VALU_DEP_2)
	v_fma_f64 v[162:163], v[240:241], s[70:71], v[230:231]
	v_add_f64 v[150:151], v[150:151], v[160:161]
	s_delay_alu instid0(VALU_DEP_2) | instskip(NEXT) | instid1(VALU_DEP_2)
	v_add_f64 v[160:161], v[242:243], v[162:163]
	v_add_f64 v[230:231], v[164:165], v[150:151]
	s_delay_alu instid0(VALU_DEP_2) | instskip(NEXT) | instid1(VALU_DEP_2)
	v_add_f64 v[242:243], v[160:161], -v[242:243]
	v_add_f64 v[240:241], v[160:161], v[230:231]
	v_add_f64 v[164:165], v[230:231], -v[164:165]
	s_delay_alu instid0(VALU_DEP_3) | instskip(NEXT) | instid1(VALU_DEP_3)
	v_add_f64 v[162:163], v[162:163], -v[242:243]
	v_add_f64 v[244:245], v[240:241], -v[160:161]
	s_delay_alu instid0(VALU_DEP_3) | instskip(NEXT) | instid1(VALU_DEP_2)
	v_add_f64 v[150:151], v[150:151], -v[164:165]
	v_add_f64 v[246:247], v[240:241], -v[244:245]
	;; [unrolled: 1-line block ×3, first 2 shown]
	s_delay_alu instid0(VALU_DEP_3) | instskip(NEXT) | instid1(VALU_DEP_3)
	v_add_f64 v[230:231], v[162:163], v[150:151]
	v_add_f64 v[160:161], v[160:161], -v[246:247]
	s_delay_alu instid0(VALU_DEP_1) | instskip(NEXT) | instid1(VALU_DEP_3)
	v_add_f64 v[160:161], v[164:165], v[160:161]
	v_add_f64 v[164:165], v[230:231], -v[162:163]
	s_delay_alu instid0(VALU_DEP_2) | instskip(NEXT) | instid1(VALU_DEP_2)
	v_add_f64 v[160:161], v[230:231], v[160:161]
	v_add_f64 v[230:231], v[230:231], -v[164:165]
	v_add_f64 v[150:151], v[150:151], -v[164:165]
	s_delay_alu instid0(VALU_DEP_3) | instskip(NEXT) | instid1(VALU_DEP_3)
	v_add_f64 v[242:243], v[240:241], v[160:161]
	v_add_f64 v[162:163], v[162:163], -v[230:231]
	s_delay_alu instid0(VALU_DEP_2) | instskip(NEXT) | instid1(VALU_DEP_2)
	v_add_f64 v[164:165], v[242:243], -v[240:241]
	v_add_f64 v[150:151], v[150:151], v[162:163]
	s_delay_alu instid0(VALU_DEP_2) | instskip(NEXT) | instid1(VALU_DEP_1)
	v_add_f64 v[160:161], v[160:161], -v[164:165]
	v_add_f64 v[150:151], v[150:151], v[160:161]
	s_delay_alu instid0(VALU_DEP_1) | instskip(NEXT) | instid1(VALU_DEP_1)
	v_add_f64 v[150:151], v[242:243], v[150:151]
	v_dual_cndmask_b32 v151, v151, v149 :: v_dual_cndmask_b32 v150, v150, v148
	v_cmp_ngt_f64_e32 vcc_lo, -1.0, v[148:149]
	s_delay_alu instid0(VALU_DEP_2) | instskip(SKIP_1) | instid1(VALU_DEP_4)
	v_cndmask_b32_e32 v151, 0x7ff80000, v151, vcc_lo
	v_cmp_nge_f64_e32 vcc_lo, -1.0, v[148:149]
	v_cndmask_b32_e32 v150, 0, v150, vcc_lo
	v_cmp_neq_f64_e32 vcc_lo, -1.0, v[148:149]
	s_delay_alu instid0(VALU_DEP_4) | instskip(NEXT) | instid1(VALU_DEP_1)
	v_cndmask_b32_e32 v151, 0xfff00000, v151, vcc_lo
	v_add_f64 v[148:149], v[6:7], v[150:151]
.LBB8_193:                              ;   in Loop: Header=BB8_160 Depth=1
	s_or_b32 exec_lo, exec_lo, s73
	s_delay_alu instid0(VALU_DEP_1)
	v_dual_mov_b32 v150, v148 :: v_dual_mov_b32 v151, v149
	v_dual_mov_b32 v6, v148 :: v_dual_mov_b32 v7, v149
.LBB8_194:                              ;   in Loop: Header=BB8_160 Depth=1
	s_or_b32 exec_lo, exec_lo, s20
	s_waitcnt lgkmcnt(1)
	ds_bpermute_b32 v148, v226, v150
	s_waitcnt lgkmcnt(1)
	ds_bpermute_b32 v149, v226, v151
	s_mov_b32 s20, exec_lo
	v_cmpx_le_u32_e64 v227, v9
	s_cbranch_execz .LBB8_198
; %bb.195:                              ;   in Loop: Header=BB8_160 Depth=1
	s_waitcnt lgkmcnt(0)
	v_max_f64 v[150:151], v[148:149], v[148:149]
	v_max_f64 v[160:161], v[6:7], v[6:7]
	v_cmp_u_f64_e32 vcc_lo, v[148:149], v[148:149]
	v_cmp_u_f64_e64 s19, v[6:7], v[6:7]
	s_delay_alu instid0(VALU_DEP_3) | instskip(SKIP_1) | instid1(VALU_DEP_2)
	v_min_f64 v[162:163], v[150:151], v[160:161]
	v_max_f64 v[150:151], v[150:151], v[160:161]
	v_dual_cndmask_b32 v160, v162, v148 :: v_dual_cndmask_b32 v161, v163, v149
	s_delay_alu instid0(VALU_DEP_2) | instskip(NEXT) | instid1(VALU_DEP_2)
	v_dual_cndmask_b32 v162, v151, v149 :: v_dual_cndmask_b32 v163, v150, v148
	v_cndmask_b32_e64 v150, v160, v6, s19
	s_delay_alu instid0(VALU_DEP_3) | instskip(NEXT) | instid1(VALU_DEP_3)
	v_cndmask_b32_e64 v151, v161, v7, s19
	v_cndmask_b32_e64 v7, v162, v7, s19
	s_delay_alu instid0(VALU_DEP_4) | instskip(NEXT) | instid1(VALU_DEP_3)
	v_cndmask_b32_e64 v6, v163, v6, s19
	v_cmp_class_f64_e64 s19, v[150:151], 0x1f8
	s_delay_alu instid0(VALU_DEP_2) | instskip(NEXT) | instid1(VALU_DEP_2)
	v_cmp_neq_f64_e32 vcc_lo, v[150:151], v[6:7]
	s_or_b32 s19, vcc_lo, s19
	s_delay_alu instid0(SALU_CYCLE_1)
	s_and_saveexec_b32 s73, s19
	s_cbranch_execz .LBB8_197
; %bb.196:                              ;   in Loop: Header=BB8_160 Depth=1
	v_add_f64 v[148:149], v[150:151], -v[6:7]
	s_mov_b32 s67, s53
	s_mov_b32 s68, s26
	;; [unrolled: 1-line block ×3, first 2 shown]
	s_delay_alu instid0(VALU_DEP_1) | instskip(SKIP_2) | instid1(VALU_DEP_3)
	v_mul_f64 v[150:151], v[148:149], s[24:25]
	v_cmp_nlt_f64_e32 vcc_lo, 0x40900000, v[148:149]
	v_cmp_ngt_f64_e64 s19, 0xc090cc00, v[148:149]
	v_rndne_f64_e32 v[150:151], v[150:151]
	s_delay_alu instid0(VALU_DEP_1) | instskip(SKIP_1) | instid1(VALU_DEP_2)
	v_fma_f64 v[160:161], v[150:151], s[26:27], v[148:149]
	v_cvt_i32_f64_e32 v164, v[150:151]
	v_fma_f64 v[160:161], v[150:151], s[28:29], v[160:161]
	s_delay_alu instid0(VALU_DEP_1) | instskip(NEXT) | instid1(VALU_DEP_1)
	v_fma_f64 v[162:163], v[160:161], s[34:35], s[30:31]
	v_fma_f64 v[162:163], v[160:161], v[162:163], s[36:37]
	s_delay_alu instid0(VALU_DEP_1) | instskip(NEXT) | instid1(VALU_DEP_1)
	v_fma_f64 v[162:163], v[160:161], v[162:163], s[38:39]
	;; [unrolled: 3-line block ×5, first 2 shown]
	v_fma_f64 v[162:163], v[160:161], v[162:163], 1.0
	s_delay_alu instid0(VALU_DEP_1) | instskip(NEXT) | instid1(VALU_DEP_1)
	v_fma_f64 v[150:151], v[160:161], v[162:163], 1.0
	v_ldexp_f64 v[150:151], v[150:151], v164
	s_delay_alu instid0(VALU_DEP_1) | instskip(SKIP_1) | instid1(VALU_DEP_1)
	v_cndmask_b32_e32 v151, 0x7ff00000, v151, vcc_lo
	s_and_b32 vcc_lo, s19, vcc_lo
	v_cndmask_b32_e64 v149, 0, v151, s19
	s_delay_alu instid0(VALU_DEP_3) | instskip(NEXT) | instid1(VALU_DEP_1)
	v_cndmask_b32_e32 v148, 0, v150, vcc_lo
	v_add_f64 v[150:151], v[148:149], 1.0
	s_delay_alu instid0(VALU_DEP_1) | instskip(SKIP_2) | instid1(VALU_DEP_3)
	v_frexp_mant_f64_e32 v[160:161], v[150:151]
	v_frexp_exp_i32_f64_e32 v164, v[150:151]
	v_add_f64 v[162:163], v[150:151], -1.0
	v_cmp_gt_f64_e32 vcc_lo, s[52:53], v[160:161]
	s_delay_alu instid0(VALU_DEP_2) | instskip(SKIP_2) | instid1(VALU_DEP_3)
	v_add_f64 v[160:161], v[162:163], -v[150:151]
	v_add_f64 v[162:163], v[148:149], -v[162:163]
	v_subrev_co_ci_u32_e32 v166, vcc_lo, 0, v164, vcc_lo
	v_add_f64 v[160:161], v[160:161], 1.0
	v_cmp_eq_f64_e32 vcc_lo, 0x7ff00000, v[148:149]
	s_delay_alu instid0(VALU_DEP_3) | instskip(NEXT) | instid1(VALU_DEP_1)
	v_sub_nc_u32_e32 v230, 0, v166
	v_ldexp_f64 v[150:151], v[150:151], v230
	s_delay_alu instid0(VALU_DEP_4) | instskip(NEXT) | instid1(VALU_DEP_2)
	v_add_f64 v[160:161], v[162:163], v[160:161]
	v_add_f64 v[164:165], v[150:151], 1.0
	v_add_f64 v[242:243], v[150:151], -1.0
	s_delay_alu instid0(VALU_DEP_3) | instskip(NEXT) | instid1(VALU_DEP_3)
	v_ldexp_f64 v[160:161], v[160:161], v230
	v_add_f64 v[162:163], v[164:165], -1.0
	s_delay_alu instid0(VALU_DEP_3) | instskip(NEXT) | instid1(VALU_DEP_2)
	v_add_f64 v[244:245], v[242:243], 1.0
	v_add_f64 v[162:163], v[150:151], -v[162:163]
	s_delay_alu instid0(VALU_DEP_2) | instskip(NEXT) | instid1(VALU_DEP_2)
	v_add_f64 v[150:151], v[150:151], -v[244:245]
	v_add_f64 v[162:163], v[160:161], v[162:163]
	s_delay_alu instid0(VALU_DEP_2) | instskip(NEXT) | instid1(VALU_DEP_2)
	v_add_f64 v[150:151], v[160:161], v[150:151]
	v_add_f64 v[230:231], v[164:165], v[162:163]
	s_delay_alu instid0(VALU_DEP_2) | instskip(NEXT) | instid1(VALU_DEP_2)
	v_add_f64 v[244:245], v[242:243], v[150:151]
	v_rcp_f64_e32 v[240:241], v[230:231]
	v_add_f64 v[164:165], v[230:231], -v[164:165]
	s_delay_alu instid0(VALU_DEP_2) | instskip(NEXT) | instid1(VALU_DEP_2)
	v_add_f64 v[242:243], v[244:245], -v[242:243]
	v_add_f64 v[162:163], v[162:163], -v[164:165]
	s_waitcnt_depctr 0xfff
	v_fma_f64 v[246:247], -v[230:231], v[240:241], 1.0
	v_add_f64 v[150:151], v[150:151], -v[242:243]
	s_delay_alu instid0(VALU_DEP_2) | instskip(NEXT) | instid1(VALU_DEP_1)
	v_fma_f64 v[240:241], v[246:247], v[240:241], v[240:241]
	v_fma_f64 v[160:161], -v[230:231], v[240:241], 1.0
	s_delay_alu instid0(VALU_DEP_1) | instskip(NEXT) | instid1(VALU_DEP_1)
	v_fma_f64 v[160:161], v[160:161], v[240:241], v[240:241]
	v_mul_f64 v[240:241], v[244:245], v[160:161]
	s_delay_alu instid0(VALU_DEP_1) | instskip(NEXT) | instid1(VALU_DEP_1)
	v_mul_f64 v[246:247], v[230:231], v[240:241]
	v_fma_f64 v[164:165], v[240:241], v[230:231], -v[246:247]
	s_delay_alu instid0(VALU_DEP_1) | instskip(NEXT) | instid1(VALU_DEP_1)
	v_fma_f64 v[164:165], v[240:241], v[162:163], v[164:165]
	v_add_f64 v[40:41], v[246:247], v[164:165]
	s_delay_alu instid0(VALU_DEP_1) | instskip(SKIP_1) | instid1(VALU_DEP_2)
	v_add_f64 v[42:43], v[244:245], -v[40:41]
	v_add_f64 v[242:243], v[40:41], -v[246:247]
	;; [unrolled: 1-line block ×3, first 2 shown]
	s_delay_alu instid0(VALU_DEP_2) | instskip(NEXT) | instid1(VALU_DEP_2)
	v_add_f64 v[164:165], v[242:243], -v[164:165]
	v_add_f64 v[244:245], v[244:245], -v[40:41]
	s_delay_alu instid0(VALU_DEP_1) | instskip(NEXT) | instid1(VALU_DEP_1)
	v_add_f64 v[150:151], v[150:151], v[244:245]
	v_add_f64 v[150:151], v[164:165], v[150:151]
	s_delay_alu instid0(VALU_DEP_1) | instskip(NEXT) | instid1(VALU_DEP_1)
	v_add_f64 v[164:165], v[42:43], v[150:151]
	v_mul_f64 v[242:243], v[160:161], v[164:165]
	v_add_f64 v[40:41], v[42:43], -v[164:165]
	s_delay_alu instid0(VALU_DEP_2) | instskip(NEXT) | instid1(VALU_DEP_2)
	v_mul_f64 v[244:245], v[230:231], v[242:243]
	v_add_f64 v[150:151], v[150:151], v[40:41]
	s_delay_alu instid0(VALU_DEP_2) | instskip(NEXT) | instid1(VALU_DEP_1)
	v_fma_f64 v[230:231], v[242:243], v[230:231], -v[244:245]
	v_fma_f64 v[162:163], v[242:243], v[162:163], v[230:231]
	s_delay_alu instid0(VALU_DEP_1) | instskip(NEXT) | instid1(VALU_DEP_1)
	v_add_f64 v[230:231], v[244:245], v[162:163]
	v_add_f64 v[246:247], v[164:165], -v[230:231]
	v_add_f64 v[244:245], v[230:231], -v[244:245]
	s_delay_alu instid0(VALU_DEP_2) | instskip(NEXT) | instid1(VALU_DEP_2)
	v_add_f64 v[164:165], v[164:165], -v[246:247]
	v_add_f64 v[162:163], v[244:245], -v[162:163]
	s_delay_alu instid0(VALU_DEP_2) | instskip(NEXT) | instid1(VALU_DEP_1)
	v_add_f64 v[164:165], v[164:165], -v[230:231]
	v_add_f64 v[150:151], v[150:151], v[164:165]
	v_add_f64 v[164:165], v[240:241], v[242:243]
	s_delay_alu instid0(VALU_DEP_2) | instskip(NEXT) | instid1(VALU_DEP_2)
	v_add_f64 v[150:151], v[162:163], v[150:151]
	v_add_f64 v[162:163], v[164:165], -v[240:241]
	s_delay_alu instid0(VALU_DEP_2) | instskip(NEXT) | instid1(VALU_DEP_2)
	v_add_f64 v[150:151], v[246:247], v[150:151]
	v_add_f64 v[162:163], v[242:243], -v[162:163]
	s_delay_alu instid0(VALU_DEP_2) | instskip(NEXT) | instid1(VALU_DEP_1)
	v_mul_f64 v[150:151], v[160:161], v[150:151]
	v_add_f64 v[150:151], v[162:163], v[150:151]
	s_delay_alu instid0(VALU_DEP_1) | instskip(NEXT) | instid1(VALU_DEP_1)
	v_add_f64 v[160:161], v[164:165], v[150:151]
	v_mul_f64 v[162:163], v[160:161], v[160:161]
	s_delay_alu instid0(VALU_DEP_1) | instskip(SKIP_1) | instid1(VALU_DEP_2)
	v_fma_f64 v[230:231], v[162:163], s[56:57], s[54:55]
	v_mul_f64 v[240:241], v[160:161], v[162:163]
	v_fma_f64 v[230:231], v[162:163], v[230:231], s[58:59]
	s_delay_alu instid0(VALU_DEP_1) | instskip(NEXT) | instid1(VALU_DEP_1)
	v_fma_f64 v[230:231], v[162:163], v[230:231], s[60:61]
	v_fma_f64 v[230:231], v[162:163], v[230:231], s[62:63]
	s_delay_alu instid0(VALU_DEP_1) | instskip(NEXT) | instid1(VALU_DEP_1)
	v_fma_f64 v[230:231], v[162:163], v[230:231], s[64:65]
	v_fma_f64 v[162:163], v[162:163], v[230:231], s[66:67]
	v_ldexp_f64 v[230:231], v[160:161], 1
	v_add_f64 v[160:161], v[160:161], -v[164:165]
	s_delay_alu instid0(VALU_DEP_3) | instskip(SKIP_1) | instid1(VALU_DEP_3)
	v_mul_f64 v[162:163], v[240:241], v[162:163]
	v_cvt_f64_i32_e32 v[240:241], v166
	v_add_f64 v[150:151], v[150:151], -v[160:161]
	s_delay_alu instid0(VALU_DEP_3) | instskip(NEXT) | instid1(VALU_DEP_3)
	v_add_f64 v[164:165], v[230:231], v[162:163]
	v_mul_f64 v[242:243], v[240:241], s[68:69]
	s_delay_alu instid0(VALU_DEP_3) | instskip(NEXT) | instid1(VALU_DEP_3)
	v_ldexp_f64 v[150:151], v[150:151], 1
	v_add_f64 v[160:161], v[164:165], -v[230:231]
	s_delay_alu instid0(VALU_DEP_3) | instskip(NEXT) | instid1(VALU_DEP_2)
	v_fma_f64 v[230:231], v[240:241], s[68:69], -v[242:243]
	v_add_f64 v[160:161], v[162:163], -v[160:161]
	s_delay_alu instid0(VALU_DEP_2) | instskip(NEXT) | instid1(VALU_DEP_2)
	v_fma_f64 v[162:163], v[240:241], s[70:71], v[230:231]
	v_add_f64 v[150:151], v[150:151], v[160:161]
	s_delay_alu instid0(VALU_DEP_2) | instskip(NEXT) | instid1(VALU_DEP_2)
	v_add_f64 v[160:161], v[242:243], v[162:163]
	v_add_f64 v[230:231], v[164:165], v[150:151]
	s_delay_alu instid0(VALU_DEP_2) | instskip(NEXT) | instid1(VALU_DEP_2)
	v_add_f64 v[242:243], v[160:161], -v[242:243]
	v_add_f64 v[240:241], v[160:161], v[230:231]
	v_add_f64 v[164:165], v[230:231], -v[164:165]
	s_delay_alu instid0(VALU_DEP_3) | instskip(NEXT) | instid1(VALU_DEP_3)
	v_add_f64 v[162:163], v[162:163], -v[242:243]
	v_add_f64 v[244:245], v[240:241], -v[160:161]
	s_delay_alu instid0(VALU_DEP_3) | instskip(NEXT) | instid1(VALU_DEP_2)
	v_add_f64 v[150:151], v[150:151], -v[164:165]
	v_add_f64 v[246:247], v[240:241], -v[244:245]
	;; [unrolled: 1-line block ×3, first 2 shown]
	s_delay_alu instid0(VALU_DEP_3) | instskip(NEXT) | instid1(VALU_DEP_3)
	v_add_f64 v[230:231], v[162:163], v[150:151]
	v_add_f64 v[160:161], v[160:161], -v[246:247]
	s_delay_alu instid0(VALU_DEP_1) | instskip(NEXT) | instid1(VALU_DEP_3)
	v_add_f64 v[160:161], v[164:165], v[160:161]
	v_add_f64 v[164:165], v[230:231], -v[162:163]
	s_delay_alu instid0(VALU_DEP_2) | instskip(NEXT) | instid1(VALU_DEP_2)
	v_add_f64 v[160:161], v[230:231], v[160:161]
	v_add_f64 v[230:231], v[230:231], -v[164:165]
	v_add_f64 v[150:151], v[150:151], -v[164:165]
	s_delay_alu instid0(VALU_DEP_3) | instskip(NEXT) | instid1(VALU_DEP_3)
	v_add_f64 v[242:243], v[240:241], v[160:161]
	v_add_f64 v[162:163], v[162:163], -v[230:231]
	s_delay_alu instid0(VALU_DEP_2) | instskip(NEXT) | instid1(VALU_DEP_2)
	v_add_f64 v[164:165], v[242:243], -v[240:241]
	v_add_f64 v[150:151], v[150:151], v[162:163]
	s_delay_alu instid0(VALU_DEP_2) | instskip(NEXT) | instid1(VALU_DEP_1)
	v_add_f64 v[160:161], v[160:161], -v[164:165]
	v_add_f64 v[150:151], v[150:151], v[160:161]
	s_delay_alu instid0(VALU_DEP_1) | instskip(NEXT) | instid1(VALU_DEP_1)
	v_add_f64 v[150:151], v[242:243], v[150:151]
	v_dual_cndmask_b32 v151, v151, v149 :: v_dual_cndmask_b32 v150, v150, v148
	v_cmp_ngt_f64_e32 vcc_lo, -1.0, v[148:149]
	s_delay_alu instid0(VALU_DEP_2) | instskip(SKIP_1) | instid1(VALU_DEP_4)
	v_cndmask_b32_e32 v151, 0x7ff80000, v151, vcc_lo
	v_cmp_nge_f64_e32 vcc_lo, -1.0, v[148:149]
	v_cndmask_b32_e32 v150, 0, v150, vcc_lo
	v_cmp_neq_f64_e32 vcc_lo, -1.0, v[148:149]
	s_delay_alu instid0(VALU_DEP_4) | instskip(NEXT) | instid1(VALU_DEP_1)
	v_cndmask_b32_e32 v151, 0xfff00000, v151, vcc_lo
	v_add_f64 v[148:149], v[6:7], v[150:151]
.LBB8_197:                              ;   in Loop: Header=BB8_160 Depth=1
	s_or_b32 exec_lo, exec_lo, s73
	s_delay_alu instid0(VALU_DEP_1)
	v_dual_mov_b32 v150, v148 :: v_dual_mov_b32 v151, v149
	v_dual_mov_b32 v6, v148 :: v_dual_mov_b32 v7, v149
.LBB8_198:                              ;   in Loop: Header=BB8_160 Depth=1
	s_or_b32 exec_lo, exec_lo, s20
	s_waitcnt lgkmcnt(1)
	ds_bpermute_b32 v148, v228, v150
	s_waitcnt lgkmcnt(1)
	ds_bpermute_b32 v149, v228, v151
	s_mov_b32 s20, exec_lo
	v_cmpx_le_u32_e64 v229, v9
	s_cbranch_execz .LBB8_202
; %bb.199:                              ;   in Loop: Header=BB8_160 Depth=1
	s_waitcnt lgkmcnt(0)
	v_max_f64 v[150:151], v[148:149], v[148:149]
	v_max_f64 v[160:161], v[6:7], v[6:7]
	v_cmp_u_f64_e32 vcc_lo, v[148:149], v[148:149]
	v_cmp_u_f64_e64 s19, v[6:7], v[6:7]
	s_delay_alu instid0(VALU_DEP_3) | instskip(SKIP_1) | instid1(VALU_DEP_2)
	v_min_f64 v[162:163], v[150:151], v[160:161]
	v_max_f64 v[150:151], v[150:151], v[160:161]
	v_dual_cndmask_b32 v9, v162, v148 :: v_dual_cndmask_b32 v160, v163, v149
	s_delay_alu instid0(VALU_DEP_2) | instskip(NEXT) | instid1(VALU_DEP_2)
	v_dual_cndmask_b32 v161, v151, v149 :: v_dual_cndmask_b32 v162, v150, v148
	v_cndmask_b32_e64 v150, v9, v6, s19
	s_delay_alu instid0(VALU_DEP_3) | instskip(NEXT) | instid1(VALU_DEP_3)
	v_cndmask_b32_e64 v151, v160, v7, s19
	v_cndmask_b32_e64 v7, v161, v7, s19
	s_delay_alu instid0(VALU_DEP_4) | instskip(NEXT) | instid1(VALU_DEP_3)
	v_cndmask_b32_e64 v6, v162, v6, s19
	v_cmp_class_f64_e64 s19, v[150:151], 0x1f8
	s_delay_alu instid0(VALU_DEP_2) | instskip(NEXT) | instid1(VALU_DEP_2)
	v_cmp_neq_f64_e32 vcc_lo, v[150:151], v[6:7]
	s_or_b32 s19, vcc_lo, s19
	s_delay_alu instid0(SALU_CYCLE_1)
	s_and_saveexec_b32 s73, s19
	s_cbranch_execz .LBB8_201
; %bb.200:                              ;   in Loop: Header=BB8_160 Depth=1
	v_add_f64 v[148:149], v[150:151], -v[6:7]
	s_mov_b32 s67, s53
	s_mov_b32 s68, s26
	;; [unrolled: 1-line block ×3, first 2 shown]
	s_delay_alu instid0(VALU_DEP_1) | instskip(SKIP_2) | instid1(VALU_DEP_3)
	v_mul_f64 v[150:151], v[148:149], s[24:25]
	v_cmp_nlt_f64_e32 vcc_lo, 0x40900000, v[148:149]
	v_cmp_ngt_f64_e64 s19, 0xc090cc00, v[148:149]
	v_rndne_f64_e32 v[150:151], v[150:151]
	s_delay_alu instid0(VALU_DEP_1) | instskip(SKIP_1) | instid1(VALU_DEP_2)
	v_fma_f64 v[160:161], v[150:151], s[26:27], v[148:149]
	v_cvt_i32_f64_e32 v9, v[150:151]
	v_fma_f64 v[160:161], v[150:151], s[28:29], v[160:161]
	s_delay_alu instid0(VALU_DEP_1) | instskip(NEXT) | instid1(VALU_DEP_1)
	v_fma_f64 v[162:163], v[160:161], s[34:35], s[30:31]
	v_fma_f64 v[162:163], v[160:161], v[162:163], s[36:37]
	s_delay_alu instid0(VALU_DEP_1) | instskip(NEXT) | instid1(VALU_DEP_1)
	v_fma_f64 v[162:163], v[160:161], v[162:163], s[38:39]
	;; [unrolled: 3-line block ×5, first 2 shown]
	v_fma_f64 v[162:163], v[160:161], v[162:163], 1.0
	s_delay_alu instid0(VALU_DEP_1) | instskip(NEXT) | instid1(VALU_DEP_1)
	v_fma_f64 v[150:151], v[160:161], v[162:163], 1.0
	v_ldexp_f64 v[150:151], v[150:151], v9
	s_delay_alu instid0(VALU_DEP_1) | instskip(SKIP_1) | instid1(VALU_DEP_2)
	v_cndmask_b32_e32 v9, 0x7ff00000, v151, vcc_lo
	s_and_b32 vcc_lo, s19, vcc_lo
	v_cndmask_b32_e32 v148, 0, v150, vcc_lo
	s_delay_alu instid0(VALU_DEP_2) | instskip(NEXT) | instid1(VALU_DEP_1)
	v_cndmask_b32_e64 v149, 0, v9, s19
	v_add_f64 v[150:151], v[148:149], 1.0
	s_delay_alu instid0(VALU_DEP_1) | instskip(SKIP_2) | instid1(VALU_DEP_3)
	v_frexp_mant_f64_e32 v[160:161], v[150:151]
	v_frexp_exp_i32_f64_e32 v9, v[150:151]
	v_add_f64 v[162:163], v[150:151], -1.0
	v_cmp_gt_f64_e32 vcc_lo, s[52:53], v[160:161]
	s_delay_alu instid0(VALU_DEP_2) | instskip(SKIP_2) | instid1(VALU_DEP_3)
	v_add_f64 v[160:161], v[162:163], -v[150:151]
	v_add_f64 v[162:163], v[148:149], -v[162:163]
	v_subrev_co_ci_u32_e32 v9, vcc_lo, 0, v9, vcc_lo
	v_add_f64 v[160:161], v[160:161], 1.0
	v_cmp_eq_f64_e32 vcc_lo, 0x7ff00000, v[148:149]
	s_delay_alu instid0(VALU_DEP_3) | instskip(NEXT) | instid1(VALU_DEP_1)
	v_sub_nc_u32_e32 v166, 0, v9
	v_ldexp_f64 v[150:151], v[150:151], v166
	s_delay_alu instid0(VALU_DEP_4) | instskip(NEXT) | instid1(VALU_DEP_2)
	v_add_f64 v[160:161], v[162:163], v[160:161]
	v_add_f64 v[164:165], v[150:151], 1.0
	v_add_f64 v[242:243], v[150:151], -1.0
	s_delay_alu instid0(VALU_DEP_3) | instskip(NEXT) | instid1(VALU_DEP_3)
	v_ldexp_f64 v[160:161], v[160:161], v166
	v_add_f64 v[162:163], v[164:165], -1.0
	s_delay_alu instid0(VALU_DEP_3) | instskip(NEXT) | instid1(VALU_DEP_2)
	v_add_f64 v[244:245], v[242:243], 1.0
	v_add_f64 v[162:163], v[150:151], -v[162:163]
	s_delay_alu instid0(VALU_DEP_2) | instskip(NEXT) | instid1(VALU_DEP_2)
	v_add_f64 v[150:151], v[150:151], -v[244:245]
	v_add_f64 v[162:163], v[160:161], v[162:163]
	s_delay_alu instid0(VALU_DEP_2) | instskip(NEXT) | instid1(VALU_DEP_2)
	v_add_f64 v[150:151], v[160:161], v[150:151]
	v_add_f64 v[230:231], v[164:165], v[162:163]
	s_delay_alu instid0(VALU_DEP_2) | instskip(NEXT) | instid1(VALU_DEP_2)
	v_add_f64 v[244:245], v[242:243], v[150:151]
	v_rcp_f64_e32 v[240:241], v[230:231]
	v_add_f64 v[164:165], v[230:231], -v[164:165]
	s_delay_alu instid0(VALU_DEP_2) | instskip(NEXT) | instid1(VALU_DEP_2)
	v_add_f64 v[242:243], v[244:245], -v[242:243]
	v_add_f64 v[162:163], v[162:163], -v[164:165]
	s_waitcnt_depctr 0xfff
	v_fma_f64 v[246:247], -v[230:231], v[240:241], 1.0
	v_add_f64 v[150:151], v[150:151], -v[242:243]
	s_delay_alu instid0(VALU_DEP_2) | instskip(NEXT) | instid1(VALU_DEP_1)
	v_fma_f64 v[240:241], v[246:247], v[240:241], v[240:241]
	v_fma_f64 v[160:161], -v[230:231], v[240:241], 1.0
	s_delay_alu instid0(VALU_DEP_1) | instskip(NEXT) | instid1(VALU_DEP_1)
	v_fma_f64 v[160:161], v[160:161], v[240:241], v[240:241]
	v_mul_f64 v[240:241], v[244:245], v[160:161]
	s_delay_alu instid0(VALU_DEP_1) | instskip(NEXT) | instid1(VALU_DEP_1)
	v_mul_f64 v[246:247], v[230:231], v[240:241]
	v_fma_f64 v[164:165], v[240:241], v[230:231], -v[246:247]
	s_delay_alu instid0(VALU_DEP_1) | instskip(NEXT) | instid1(VALU_DEP_1)
	v_fma_f64 v[164:165], v[240:241], v[162:163], v[164:165]
	v_add_f64 v[40:41], v[246:247], v[164:165]
	s_delay_alu instid0(VALU_DEP_1) | instskip(SKIP_1) | instid1(VALU_DEP_2)
	v_add_f64 v[42:43], v[244:245], -v[40:41]
	v_add_f64 v[242:243], v[40:41], -v[246:247]
	;; [unrolled: 1-line block ×3, first 2 shown]
	s_delay_alu instid0(VALU_DEP_2) | instskip(NEXT) | instid1(VALU_DEP_2)
	v_add_f64 v[164:165], v[242:243], -v[164:165]
	v_add_f64 v[244:245], v[244:245], -v[40:41]
	s_delay_alu instid0(VALU_DEP_1) | instskip(NEXT) | instid1(VALU_DEP_1)
	v_add_f64 v[150:151], v[150:151], v[244:245]
	v_add_f64 v[150:151], v[164:165], v[150:151]
	s_delay_alu instid0(VALU_DEP_1) | instskip(NEXT) | instid1(VALU_DEP_1)
	v_add_f64 v[164:165], v[42:43], v[150:151]
	v_mul_f64 v[242:243], v[160:161], v[164:165]
	v_add_f64 v[40:41], v[42:43], -v[164:165]
	s_delay_alu instid0(VALU_DEP_2) | instskip(NEXT) | instid1(VALU_DEP_2)
	v_mul_f64 v[244:245], v[230:231], v[242:243]
	v_add_f64 v[150:151], v[150:151], v[40:41]
	s_delay_alu instid0(VALU_DEP_2) | instskip(NEXT) | instid1(VALU_DEP_1)
	v_fma_f64 v[230:231], v[242:243], v[230:231], -v[244:245]
	v_fma_f64 v[162:163], v[242:243], v[162:163], v[230:231]
	s_delay_alu instid0(VALU_DEP_1) | instskip(NEXT) | instid1(VALU_DEP_1)
	v_add_f64 v[230:231], v[244:245], v[162:163]
	v_add_f64 v[246:247], v[164:165], -v[230:231]
	v_add_f64 v[244:245], v[230:231], -v[244:245]
	s_delay_alu instid0(VALU_DEP_2) | instskip(NEXT) | instid1(VALU_DEP_2)
	v_add_f64 v[164:165], v[164:165], -v[246:247]
	v_add_f64 v[162:163], v[244:245], -v[162:163]
	s_delay_alu instid0(VALU_DEP_2) | instskip(NEXT) | instid1(VALU_DEP_1)
	v_add_f64 v[164:165], v[164:165], -v[230:231]
	v_add_f64 v[150:151], v[150:151], v[164:165]
	v_add_f64 v[164:165], v[240:241], v[242:243]
	s_delay_alu instid0(VALU_DEP_2) | instskip(NEXT) | instid1(VALU_DEP_2)
	v_add_f64 v[150:151], v[162:163], v[150:151]
	v_add_f64 v[162:163], v[164:165], -v[240:241]
	s_delay_alu instid0(VALU_DEP_2) | instskip(NEXT) | instid1(VALU_DEP_2)
	v_add_f64 v[150:151], v[246:247], v[150:151]
	v_add_f64 v[162:163], v[242:243], -v[162:163]
	s_delay_alu instid0(VALU_DEP_2) | instskip(NEXT) | instid1(VALU_DEP_1)
	v_mul_f64 v[150:151], v[160:161], v[150:151]
	v_add_f64 v[150:151], v[162:163], v[150:151]
	s_delay_alu instid0(VALU_DEP_1) | instskip(NEXT) | instid1(VALU_DEP_1)
	v_add_f64 v[160:161], v[164:165], v[150:151]
	v_mul_f64 v[162:163], v[160:161], v[160:161]
	s_delay_alu instid0(VALU_DEP_1) | instskip(SKIP_1) | instid1(VALU_DEP_2)
	v_fma_f64 v[230:231], v[162:163], s[56:57], s[54:55]
	v_mul_f64 v[240:241], v[160:161], v[162:163]
	v_fma_f64 v[230:231], v[162:163], v[230:231], s[58:59]
	s_delay_alu instid0(VALU_DEP_1) | instskip(NEXT) | instid1(VALU_DEP_1)
	v_fma_f64 v[230:231], v[162:163], v[230:231], s[60:61]
	v_fma_f64 v[230:231], v[162:163], v[230:231], s[62:63]
	s_delay_alu instid0(VALU_DEP_1) | instskip(NEXT) | instid1(VALU_DEP_1)
	v_fma_f64 v[230:231], v[162:163], v[230:231], s[64:65]
	v_fma_f64 v[162:163], v[162:163], v[230:231], s[66:67]
	v_ldexp_f64 v[230:231], v[160:161], 1
	v_add_f64 v[160:161], v[160:161], -v[164:165]
	s_delay_alu instid0(VALU_DEP_3) | instskip(SKIP_1) | instid1(VALU_DEP_3)
	v_mul_f64 v[162:163], v[240:241], v[162:163]
	v_cvt_f64_i32_e32 v[240:241], v9
	v_add_f64 v[150:151], v[150:151], -v[160:161]
	s_delay_alu instid0(VALU_DEP_3) | instskip(NEXT) | instid1(VALU_DEP_3)
	v_add_f64 v[164:165], v[230:231], v[162:163]
	v_mul_f64 v[242:243], v[240:241], s[68:69]
	s_delay_alu instid0(VALU_DEP_3) | instskip(NEXT) | instid1(VALU_DEP_3)
	v_ldexp_f64 v[150:151], v[150:151], 1
	v_add_f64 v[160:161], v[164:165], -v[230:231]
	s_delay_alu instid0(VALU_DEP_3) | instskip(NEXT) | instid1(VALU_DEP_2)
	v_fma_f64 v[230:231], v[240:241], s[68:69], -v[242:243]
	v_add_f64 v[160:161], v[162:163], -v[160:161]
	s_delay_alu instid0(VALU_DEP_2) | instskip(NEXT) | instid1(VALU_DEP_2)
	v_fma_f64 v[162:163], v[240:241], s[70:71], v[230:231]
	v_add_f64 v[150:151], v[150:151], v[160:161]
	s_delay_alu instid0(VALU_DEP_2) | instskip(NEXT) | instid1(VALU_DEP_2)
	v_add_f64 v[160:161], v[242:243], v[162:163]
	v_add_f64 v[230:231], v[164:165], v[150:151]
	s_delay_alu instid0(VALU_DEP_2) | instskip(NEXT) | instid1(VALU_DEP_2)
	v_add_f64 v[242:243], v[160:161], -v[242:243]
	v_add_f64 v[240:241], v[160:161], v[230:231]
	v_add_f64 v[164:165], v[230:231], -v[164:165]
	s_delay_alu instid0(VALU_DEP_3) | instskip(NEXT) | instid1(VALU_DEP_3)
	v_add_f64 v[162:163], v[162:163], -v[242:243]
	v_add_f64 v[244:245], v[240:241], -v[160:161]
	s_delay_alu instid0(VALU_DEP_3) | instskip(NEXT) | instid1(VALU_DEP_2)
	v_add_f64 v[150:151], v[150:151], -v[164:165]
	v_add_f64 v[246:247], v[240:241], -v[244:245]
	;; [unrolled: 1-line block ×3, first 2 shown]
	s_delay_alu instid0(VALU_DEP_3) | instskip(NEXT) | instid1(VALU_DEP_3)
	v_add_f64 v[230:231], v[162:163], v[150:151]
	v_add_f64 v[160:161], v[160:161], -v[246:247]
	s_delay_alu instid0(VALU_DEP_1) | instskip(NEXT) | instid1(VALU_DEP_3)
	v_add_f64 v[160:161], v[164:165], v[160:161]
	v_add_f64 v[164:165], v[230:231], -v[162:163]
	s_delay_alu instid0(VALU_DEP_2) | instskip(NEXT) | instid1(VALU_DEP_2)
	v_add_f64 v[160:161], v[230:231], v[160:161]
	v_add_f64 v[230:231], v[230:231], -v[164:165]
	v_add_f64 v[150:151], v[150:151], -v[164:165]
	s_delay_alu instid0(VALU_DEP_3) | instskip(NEXT) | instid1(VALU_DEP_3)
	v_add_f64 v[242:243], v[240:241], v[160:161]
	v_add_f64 v[162:163], v[162:163], -v[230:231]
	s_delay_alu instid0(VALU_DEP_2) | instskip(NEXT) | instid1(VALU_DEP_2)
	v_add_f64 v[164:165], v[242:243], -v[240:241]
	v_add_f64 v[150:151], v[150:151], v[162:163]
	s_delay_alu instid0(VALU_DEP_2) | instskip(NEXT) | instid1(VALU_DEP_1)
	v_add_f64 v[160:161], v[160:161], -v[164:165]
	v_add_f64 v[150:151], v[150:151], v[160:161]
	s_delay_alu instid0(VALU_DEP_1) | instskip(NEXT) | instid1(VALU_DEP_1)
	v_add_f64 v[150:151], v[242:243], v[150:151]
	v_dual_cndmask_b32 v9, v150, v148 :: v_dual_cndmask_b32 v150, v151, v149
	v_cmp_ngt_f64_e32 vcc_lo, -1.0, v[148:149]
	s_delay_alu instid0(VALU_DEP_2) | instskip(SKIP_1) | instid1(VALU_DEP_4)
	v_cndmask_b32_e32 v151, 0x7ff80000, v150, vcc_lo
	v_cmp_nge_f64_e32 vcc_lo, -1.0, v[148:149]
	v_cndmask_b32_e32 v150, 0, v9, vcc_lo
	v_cmp_neq_f64_e32 vcc_lo, -1.0, v[148:149]
	s_delay_alu instid0(VALU_DEP_4) | instskip(NEXT) | instid1(VALU_DEP_1)
	v_cndmask_b32_e32 v151, 0xfff00000, v151, vcc_lo
	v_add_f64 v[148:149], v[6:7], v[150:151]
.LBB8_201:                              ;   in Loop: Header=BB8_160 Depth=1
	s_or_b32 exec_lo, exec_lo, s73
	s_delay_alu instid0(VALU_DEP_1)
	v_dual_mov_b32 v6, v148 :: v_dual_mov_b32 v7, v149
.LBB8_202:                              ;   in Loop: Header=BB8_160 Depth=1
	s_or_b32 exec_lo, exec_lo, s20
	s_waitcnt lgkmcnt(0)
	v_max_f64 v[148:149], v[146:147], v[146:147]
	s_delay_alu instid0(VALU_DEP_2) | instskip(SKIP_2) | instid1(VALU_DEP_3)
	v_max_f64 v[150:151], v[6:7], v[6:7]
	v_cmp_u_f64_e32 vcc_lo, v[6:7], v[6:7]
	v_cmp_u_f64_e64 s19, v[146:147], v[146:147]
	v_min_f64 v[160:161], v[150:151], v[148:149]
	v_max_f64 v[148:149], v[150:151], v[148:149]
	s_delay_alu instid0(VALU_DEP_2) | instskip(NEXT) | instid1(VALU_DEP_2)
	v_dual_cndmask_b32 v9, v160, v6 :: v_dual_cndmask_b32 v150, v161, v7
	v_dual_cndmask_b32 v149, v149, v7 :: v_dual_cndmask_b32 v148, v148, v6
	s_delay_alu instid0(VALU_DEP_2) | instskip(NEXT) | instid1(VALU_DEP_3)
	v_cndmask_b32_e64 v151, v150, v147, s19
	v_cndmask_b32_e64 v150, v9, v146, s19
	s_delay_alu instid0(VALU_DEP_3) | instskip(NEXT) | instid1(VALU_DEP_4)
	v_cndmask_b32_e64 v149, v149, v147, s19
	v_cndmask_b32_e64 v148, v148, v146, s19
	s_delay_alu instid0(VALU_DEP_3) | instskip(NEXT) | instid1(VALU_DEP_2)
	v_cmp_class_f64_e64 s19, v[150:151], 0x1f8
	v_cmp_neq_f64_e32 vcc_lo, v[150:151], v[148:149]
	s_delay_alu instid0(VALU_DEP_2) | instskip(NEXT) | instid1(SALU_CYCLE_1)
	s_or_b32 s19, vcc_lo, s19
	s_and_saveexec_b32 s20, s19
	s_delay_alu instid0(SALU_CYCLE_1)
	s_xor_b32 s20, exec_lo, s20
	s_cbranch_execz .LBB8_159
; %bb.203:                              ;   in Loop: Header=BB8_160 Depth=1
	v_add_f64 v[6:7], v[150:151], -v[148:149]
	s_mov_b32 s67, s53
	s_mov_b32 s68, s26
	;; [unrolled: 1-line block ×3, first 2 shown]
	s_delay_alu instid0(VALU_DEP_1) | instskip(SKIP_2) | instid1(VALU_DEP_3)
	v_mul_f64 v[150:151], v[6:7], s[24:25]
	v_cmp_nlt_f64_e32 vcc_lo, 0x40900000, v[6:7]
	v_cmp_ngt_f64_e64 s19, 0xc090cc00, v[6:7]
	v_rndne_f64_e32 v[150:151], v[150:151]
	s_delay_alu instid0(VALU_DEP_1) | instskip(SKIP_1) | instid1(VALU_DEP_2)
	v_fma_f64 v[160:161], v[150:151], s[26:27], v[6:7]
	v_cvt_i32_f64_e32 v9, v[150:151]
	v_fma_f64 v[160:161], v[150:151], s[28:29], v[160:161]
	s_delay_alu instid0(VALU_DEP_1) | instskip(NEXT) | instid1(VALU_DEP_1)
	v_fma_f64 v[162:163], v[160:161], s[34:35], s[30:31]
	v_fma_f64 v[162:163], v[160:161], v[162:163], s[36:37]
	s_delay_alu instid0(VALU_DEP_1) | instskip(NEXT) | instid1(VALU_DEP_1)
	v_fma_f64 v[162:163], v[160:161], v[162:163], s[38:39]
	;; [unrolled: 3-line block ×5, first 2 shown]
	v_fma_f64 v[162:163], v[160:161], v[162:163], 1.0
	s_delay_alu instid0(VALU_DEP_1) | instskip(NEXT) | instid1(VALU_DEP_1)
	v_fma_f64 v[150:151], v[160:161], v[162:163], 1.0
	v_ldexp_f64 v[150:151], v[150:151], v9
	s_delay_alu instid0(VALU_DEP_1) | instskip(SKIP_1) | instid1(VALU_DEP_2)
	v_cndmask_b32_e32 v9, 0x7ff00000, v151, vcc_lo
	s_and_b32 vcc_lo, s19, vcc_lo
	v_cndmask_b32_e32 v6, 0, v150, vcc_lo
	s_delay_alu instid0(VALU_DEP_2) | instskip(NEXT) | instid1(VALU_DEP_1)
	v_cndmask_b32_e64 v7, 0, v9, s19
	v_add_f64 v[150:151], v[6:7], 1.0
	s_delay_alu instid0(VALU_DEP_1) | instskip(SKIP_2) | instid1(VALU_DEP_3)
	v_frexp_mant_f64_e32 v[160:161], v[150:151]
	v_frexp_exp_i32_f64_e32 v9, v[150:151]
	v_add_f64 v[162:163], v[150:151], -1.0
	v_cmp_gt_f64_e32 vcc_lo, s[52:53], v[160:161]
	s_delay_alu instid0(VALU_DEP_2) | instskip(SKIP_2) | instid1(VALU_DEP_3)
	v_add_f64 v[160:161], v[162:163], -v[150:151]
	v_add_f64 v[162:163], v[6:7], -v[162:163]
	v_subrev_co_ci_u32_e32 v9, vcc_lo, 0, v9, vcc_lo
	v_add_f64 v[160:161], v[160:161], 1.0
	v_cmp_eq_f64_e32 vcc_lo, 0x7ff00000, v[6:7]
	s_delay_alu instid0(VALU_DEP_3) | instskip(NEXT) | instid1(VALU_DEP_1)
	v_sub_nc_u32_e32 v166, 0, v9
	v_ldexp_f64 v[150:151], v[150:151], v166
	s_delay_alu instid0(VALU_DEP_4) | instskip(NEXT) | instid1(VALU_DEP_2)
	v_add_f64 v[160:161], v[162:163], v[160:161]
	v_add_f64 v[164:165], v[150:151], 1.0
	v_add_f64 v[242:243], v[150:151], -1.0
	s_delay_alu instid0(VALU_DEP_3) | instskip(NEXT) | instid1(VALU_DEP_3)
	v_ldexp_f64 v[160:161], v[160:161], v166
	v_add_f64 v[162:163], v[164:165], -1.0
	s_delay_alu instid0(VALU_DEP_3) | instskip(NEXT) | instid1(VALU_DEP_2)
	v_add_f64 v[244:245], v[242:243], 1.0
	v_add_f64 v[162:163], v[150:151], -v[162:163]
	s_delay_alu instid0(VALU_DEP_2) | instskip(NEXT) | instid1(VALU_DEP_2)
	v_add_f64 v[150:151], v[150:151], -v[244:245]
	v_add_f64 v[162:163], v[160:161], v[162:163]
	s_delay_alu instid0(VALU_DEP_2) | instskip(NEXT) | instid1(VALU_DEP_2)
	v_add_f64 v[150:151], v[160:161], v[150:151]
	v_add_f64 v[230:231], v[164:165], v[162:163]
	s_delay_alu instid0(VALU_DEP_2) | instskip(NEXT) | instid1(VALU_DEP_2)
	v_add_f64 v[244:245], v[242:243], v[150:151]
	v_rcp_f64_e32 v[240:241], v[230:231]
	v_add_f64 v[164:165], v[230:231], -v[164:165]
	s_delay_alu instid0(VALU_DEP_2) | instskip(NEXT) | instid1(VALU_DEP_2)
	v_add_f64 v[242:243], v[244:245], -v[242:243]
	v_add_f64 v[162:163], v[162:163], -v[164:165]
	s_waitcnt_depctr 0xfff
	v_fma_f64 v[246:247], -v[230:231], v[240:241], 1.0
	v_add_f64 v[150:151], v[150:151], -v[242:243]
	s_delay_alu instid0(VALU_DEP_2) | instskip(NEXT) | instid1(VALU_DEP_1)
	v_fma_f64 v[240:241], v[246:247], v[240:241], v[240:241]
	v_fma_f64 v[160:161], -v[230:231], v[240:241], 1.0
	s_delay_alu instid0(VALU_DEP_1) | instskip(NEXT) | instid1(VALU_DEP_1)
	v_fma_f64 v[160:161], v[160:161], v[240:241], v[240:241]
	v_mul_f64 v[240:241], v[244:245], v[160:161]
	s_delay_alu instid0(VALU_DEP_1) | instskip(NEXT) | instid1(VALU_DEP_1)
	v_mul_f64 v[246:247], v[230:231], v[240:241]
	v_fma_f64 v[164:165], v[240:241], v[230:231], -v[246:247]
	s_delay_alu instid0(VALU_DEP_1) | instskip(NEXT) | instid1(VALU_DEP_1)
	v_fma_f64 v[164:165], v[240:241], v[162:163], v[164:165]
	v_add_f64 v[40:41], v[246:247], v[164:165]
	s_delay_alu instid0(VALU_DEP_1) | instskip(SKIP_1) | instid1(VALU_DEP_2)
	v_add_f64 v[42:43], v[244:245], -v[40:41]
	v_add_f64 v[242:243], v[40:41], -v[246:247]
	;; [unrolled: 1-line block ×3, first 2 shown]
	s_delay_alu instid0(VALU_DEP_2) | instskip(NEXT) | instid1(VALU_DEP_2)
	v_add_f64 v[164:165], v[242:243], -v[164:165]
	v_add_f64 v[244:245], v[244:245], -v[40:41]
	s_delay_alu instid0(VALU_DEP_1) | instskip(NEXT) | instid1(VALU_DEP_1)
	v_add_f64 v[150:151], v[150:151], v[244:245]
	v_add_f64 v[150:151], v[164:165], v[150:151]
	s_delay_alu instid0(VALU_DEP_1) | instskip(NEXT) | instid1(VALU_DEP_1)
	v_add_f64 v[164:165], v[42:43], v[150:151]
	v_mul_f64 v[242:243], v[160:161], v[164:165]
	v_add_f64 v[40:41], v[42:43], -v[164:165]
	s_delay_alu instid0(VALU_DEP_2) | instskip(NEXT) | instid1(VALU_DEP_2)
	v_mul_f64 v[244:245], v[230:231], v[242:243]
	v_add_f64 v[150:151], v[150:151], v[40:41]
	s_delay_alu instid0(VALU_DEP_2) | instskip(NEXT) | instid1(VALU_DEP_1)
	v_fma_f64 v[230:231], v[242:243], v[230:231], -v[244:245]
	v_fma_f64 v[162:163], v[242:243], v[162:163], v[230:231]
	s_delay_alu instid0(VALU_DEP_1) | instskip(NEXT) | instid1(VALU_DEP_1)
	v_add_f64 v[230:231], v[244:245], v[162:163]
	v_add_f64 v[246:247], v[164:165], -v[230:231]
	v_add_f64 v[244:245], v[230:231], -v[244:245]
	s_delay_alu instid0(VALU_DEP_2) | instskip(NEXT) | instid1(VALU_DEP_2)
	v_add_f64 v[164:165], v[164:165], -v[246:247]
	v_add_f64 v[162:163], v[244:245], -v[162:163]
	s_delay_alu instid0(VALU_DEP_2) | instskip(NEXT) | instid1(VALU_DEP_1)
	v_add_f64 v[164:165], v[164:165], -v[230:231]
	v_add_f64 v[150:151], v[150:151], v[164:165]
	v_add_f64 v[164:165], v[240:241], v[242:243]
	s_delay_alu instid0(VALU_DEP_2) | instskip(NEXT) | instid1(VALU_DEP_2)
	v_add_f64 v[150:151], v[162:163], v[150:151]
	v_add_f64 v[162:163], v[164:165], -v[240:241]
	s_delay_alu instid0(VALU_DEP_2) | instskip(NEXT) | instid1(VALU_DEP_2)
	v_add_f64 v[150:151], v[246:247], v[150:151]
	v_add_f64 v[162:163], v[242:243], -v[162:163]
	s_delay_alu instid0(VALU_DEP_2) | instskip(NEXT) | instid1(VALU_DEP_1)
	v_mul_f64 v[150:151], v[160:161], v[150:151]
	v_add_f64 v[150:151], v[162:163], v[150:151]
	s_delay_alu instid0(VALU_DEP_1) | instskip(NEXT) | instid1(VALU_DEP_1)
	v_add_f64 v[160:161], v[164:165], v[150:151]
	v_mul_f64 v[162:163], v[160:161], v[160:161]
	s_delay_alu instid0(VALU_DEP_1) | instskip(SKIP_1) | instid1(VALU_DEP_2)
	v_fma_f64 v[230:231], v[162:163], s[56:57], s[54:55]
	v_mul_f64 v[240:241], v[160:161], v[162:163]
	v_fma_f64 v[230:231], v[162:163], v[230:231], s[58:59]
	s_delay_alu instid0(VALU_DEP_1) | instskip(NEXT) | instid1(VALU_DEP_1)
	v_fma_f64 v[230:231], v[162:163], v[230:231], s[60:61]
	v_fma_f64 v[230:231], v[162:163], v[230:231], s[62:63]
	s_delay_alu instid0(VALU_DEP_1) | instskip(NEXT) | instid1(VALU_DEP_1)
	v_fma_f64 v[230:231], v[162:163], v[230:231], s[64:65]
	v_fma_f64 v[162:163], v[162:163], v[230:231], s[66:67]
	v_ldexp_f64 v[230:231], v[160:161], 1
	v_add_f64 v[160:161], v[160:161], -v[164:165]
	s_delay_alu instid0(VALU_DEP_3) | instskip(SKIP_1) | instid1(VALU_DEP_3)
	v_mul_f64 v[162:163], v[240:241], v[162:163]
	v_cvt_f64_i32_e32 v[240:241], v9
	v_add_f64 v[150:151], v[150:151], -v[160:161]
	s_delay_alu instid0(VALU_DEP_3) | instskip(NEXT) | instid1(VALU_DEP_3)
	v_add_f64 v[164:165], v[230:231], v[162:163]
	v_mul_f64 v[242:243], v[240:241], s[68:69]
	s_delay_alu instid0(VALU_DEP_3) | instskip(NEXT) | instid1(VALU_DEP_3)
	v_ldexp_f64 v[150:151], v[150:151], 1
	v_add_f64 v[160:161], v[164:165], -v[230:231]
	s_delay_alu instid0(VALU_DEP_3) | instskip(NEXT) | instid1(VALU_DEP_2)
	v_fma_f64 v[230:231], v[240:241], s[68:69], -v[242:243]
	v_add_f64 v[160:161], v[162:163], -v[160:161]
	s_delay_alu instid0(VALU_DEP_2) | instskip(NEXT) | instid1(VALU_DEP_2)
	v_fma_f64 v[162:163], v[240:241], s[70:71], v[230:231]
	v_add_f64 v[150:151], v[150:151], v[160:161]
	s_delay_alu instid0(VALU_DEP_2) | instskip(NEXT) | instid1(VALU_DEP_2)
	v_add_f64 v[160:161], v[242:243], v[162:163]
	v_add_f64 v[230:231], v[164:165], v[150:151]
	s_delay_alu instid0(VALU_DEP_2) | instskip(NEXT) | instid1(VALU_DEP_2)
	v_add_f64 v[242:243], v[160:161], -v[242:243]
	v_add_f64 v[240:241], v[160:161], v[230:231]
	v_add_f64 v[164:165], v[230:231], -v[164:165]
	s_delay_alu instid0(VALU_DEP_3) | instskip(NEXT) | instid1(VALU_DEP_3)
	v_add_f64 v[162:163], v[162:163], -v[242:243]
	v_add_f64 v[244:245], v[240:241], -v[160:161]
	s_delay_alu instid0(VALU_DEP_3) | instskip(NEXT) | instid1(VALU_DEP_2)
	v_add_f64 v[150:151], v[150:151], -v[164:165]
	v_add_f64 v[246:247], v[240:241], -v[244:245]
	;; [unrolled: 1-line block ×3, first 2 shown]
	s_delay_alu instid0(VALU_DEP_3) | instskip(NEXT) | instid1(VALU_DEP_3)
	v_add_f64 v[230:231], v[162:163], v[150:151]
	v_add_f64 v[160:161], v[160:161], -v[246:247]
	s_delay_alu instid0(VALU_DEP_1) | instskip(NEXT) | instid1(VALU_DEP_3)
	v_add_f64 v[160:161], v[164:165], v[160:161]
	v_add_f64 v[164:165], v[230:231], -v[162:163]
	s_delay_alu instid0(VALU_DEP_2) | instskip(NEXT) | instid1(VALU_DEP_2)
	v_add_f64 v[160:161], v[230:231], v[160:161]
	v_add_f64 v[230:231], v[230:231], -v[164:165]
	v_add_f64 v[150:151], v[150:151], -v[164:165]
	s_delay_alu instid0(VALU_DEP_3) | instskip(NEXT) | instid1(VALU_DEP_3)
	v_add_f64 v[242:243], v[240:241], v[160:161]
	v_add_f64 v[162:163], v[162:163], -v[230:231]
	s_delay_alu instid0(VALU_DEP_2) | instskip(NEXT) | instid1(VALU_DEP_2)
	v_add_f64 v[164:165], v[242:243], -v[240:241]
	v_add_f64 v[150:151], v[150:151], v[162:163]
	s_delay_alu instid0(VALU_DEP_2) | instskip(NEXT) | instid1(VALU_DEP_1)
	v_add_f64 v[160:161], v[160:161], -v[164:165]
	v_add_f64 v[150:151], v[150:151], v[160:161]
	s_delay_alu instid0(VALU_DEP_1) | instskip(NEXT) | instid1(VALU_DEP_1)
	v_add_f64 v[150:151], v[242:243], v[150:151]
	v_dual_cndmask_b32 v9, v150, v6 :: v_dual_cndmask_b32 v150, v151, v7
	v_cmp_ngt_f64_e32 vcc_lo, -1.0, v[6:7]
	s_delay_alu instid0(VALU_DEP_2) | instskip(SKIP_1) | instid1(VALU_DEP_4)
	v_cndmask_b32_e32 v151, 0x7ff80000, v150, vcc_lo
	v_cmp_nge_f64_e32 vcc_lo, -1.0, v[6:7]
	v_cndmask_b32_e32 v150, 0, v9, vcc_lo
	v_cmp_neq_f64_e32 vcc_lo, -1.0, v[6:7]
	s_delay_alu instid0(VALU_DEP_4) | instskip(NEXT) | instid1(VALU_DEP_1)
	v_cndmask_b32_e32 v151, 0xfff00000, v151, vcc_lo
	v_add_f64 v[6:7], v[148:149], v[150:151]
	s_branch .LBB8_159
.LBB8_204:
	s_and_saveexec_b32 s28, s18
	s_cbranch_execz .LBB8_215
; %bb.205:
	v_max_f64 v[6:7], v[4:5], v[4:5]
	v_max_f64 v[8:9], v[146:147], v[146:147]
	v_cmp_u_f64_e32 vcc_lo, v[146:147], v[146:147]
	v_cmp_u_f64_e64 s19, v[4:5], v[4:5]
	s_delay_alu instid0(VALU_DEP_3) | instskip(SKIP_1) | instid1(VALU_DEP_2)
	v_min_f64 v[144:145], v[8:9], v[6:7]
	v_max_f64 v[6:7], v[8:9], v[6:7]
	v_dual_cndmask_b32 v8, v144, v146 :: v_dual_cndmask_b32 v9, v145, v147
	s_delay_alu instid0(VALU_DEP_2) | instskip(NEXT) | instid1(VALU_DEP_2)
	v_dual_cndmask_b32 v7, v7, v147 :: v_dual_cndmask_b32 v6, v6, v146
	v_cndmask_b32_e64 v8, v8, v4, s19
	s_delay_alu instid0(VALU_DEP_3) | instskip(NEXT) | instid1(VALU_DEP_3)
	v_cndmask_b32_e64 v9, v9, v5, s19
	v_cndmask_b32_e64 v7, v7, v5, s19
	s_delay_alu instid0(VALU_DEP_4) | instskip(SKIP_1) | instid1(VALU_DEP_4)
	v_cndmask_b32_e64 v6, v6, v4, s19
	v_dual_mov_b32 v4, v146 :: v_dual_mov_b32 v5, v147
	v_cmp_class_f64_e64 s19, v[8:9], 0x1f8
	s_delay_alu instid0(VALU_DEP_3) | instskip(NEXT) | instid1(VALU_DEP_2)
	v_cmp_neq_f64_e32 vcc_lo, v[8:9], v[6:7]
	s_or_b32 s19, vcc_lo, s19
	s_delay_alu instid0(SALU_CYCLE_1)
	s_and_saveexec_b32 s29, s19
	s_cbranch_execz .LBB8_207
; %bb.206:
	v_add_f64 v[4:5], v[8:9], -v[6:7]
	s_mov_b32 s20, 0x652b82fe
	s_mov_b32 s21, 0x3ff71547
	;; [unrolled: 1-line block ×5, first 2 shown]
	s_mov_b32 vcc_lo, 0x6a5dcb37
	s_mov_b32 s27, 0x3e928af3
	s_mov_b32 vcc_hi, 0x3e5ade15
	s_mov_b32 s30, 0xbf559e2b
	s_mov_b32 s31, 0x3fc3ab76
	s_delay_alu instid0(VALU_DEP_1) | instskip(SKIP_3) | instid1(VALU_DEP_2)
	v_mul_f64 v[8:9], v[4:5], s[20:21]
	s_mov_b32 s21, 0xbfe62e42
	s_mov_b32 s20, 0xfefa39ef
	v_cmp_ngt_f64_e64 s19, 0xc090cc00, v[4:5]
	v_rndne_f64_e32 v[8:9], v[8:9]
	s_delay_alu instid0(VALU_DEP_1) | instskip(SKIP_2) | instid1(VALU_DEP_2)
	v_fma_f64 v[144:145], v[8:9], s[20:21], v[4:5]
	v_cvt_i32_f64_e32 v150, v[8:9]
	s_mov_b32 s21, 0x3fe62e42
	v_fma_f64 v[144:145], v[8:9], s[24:25], v[144:145]
	s_mov_b32 s25, 0x3c7abc9e
	s_delay_alu instid0(VALU_DEP_1) | instskip(SKIP_3) | instid1(VALU_DEP_2)
	v_fma_f64 v[148:149], v[144:145], vcc, s[26:27]
	s_mov_b32 s26, 0x623fde64
	s_mov_b32 s27, 0x3ec71dee
	v_cmp_nlt_f64_e32 vcc_lo, 0x40900000, v[4:5]
	v_fma_f64 v[148:149], v[144:145], v[148:149], s[26:27]
	s_mov_b32 s26, 0x7c89e6b0
	s_mov_b32 s27, 0x3efa0199
	s_delay_alu instid0(VALU_DEP_1) | instid1(SALU_CYCLE_1)
	v_fma_f64 v[148:149], v[144:145], v[148:149], s[26:27]
	s_mov_b32 s26, 0x14761f6e
	s_mov_b32 s27, 0x3f2a01a0
	s_delay_alu instid0(VALU_DEP_1) | instid1(SALU_CYCLE_1)
	;; [unrolled: 4-line block ×7, first 2 shown]
	v_fma_f64 v[148:149], v[144:145], v[148:149], s[26:27]
	s_mov_b32 s27, 0x3fe55555
	s_mov_b32 s26, 0x55555555
	s_delay_alu instid0(VALU_DEP_1) | instskip(NEXT) | instid1(VALU_DEP_1)
	v_fma_f64 v[148:149], v[144:145], v[148:149], 1.0
	v_fma_f64 v[8:9], v[144:145], v[148:149], 1.0
	s_delay_alu instid0(VALU_DEP_1) | instskip(NEXT) | instid1(VALU_DEP_1)
	v_ldexp_f64 v[8:9], v[8:9], v150
	v_cndmask_b32_e32 v9, 0x7ff00000, v9, vcc_lo
	s_and_b32 vcc_lo, s19, vcc_lo
	s_delay_alu instid0(VALU_DEP_1) | instskip(NEXT) | instid1(VALU_DEP_3)
	v_cndmask_b32_e64 v5, 0, v9, s19
	v_cndmask_b32_e32 v4, 0, v8, vcc_lo
	s_delay_alu instid0(VALU_DEP_1) | instskip(NEXT) | instid1(VALU_DEP_1)
	v_add_f64 v[8:9], v[4:5], 1.0
	v_frexp_mant_f64_e32 v[144:145], v[8:9]
	v_frexp_exp_i32_f64_e32 v150, v[8:9]
	v_add_f64 v[148:149], v[8:9], -1.0
	s_delay_alu instid0(VALU_DEP_3) | instskip(SKIP_1) | instid1(VALU_DEP_2)
	v_cmp_gt_f64_e32 vcc_lo, s[26:27], v[144:145]
	s_mov_b32 s26, 0x55555780
	v_add_f64 v[144:145], v[148:149], -v[8:9]
	v_add_f64 v[148:149], v[4:5], -v[148:149]
	v_subrev_co_ci_u32_e32 v166, vcc_lo, 0, v150, vcc_lo
	s_delay_alu instid0(VALU_DEP_3) | instskip(SKIP_2) | instid1(VALU_DEP_2)
	v_add_f64 v[144:145], v[144:145], 1.0
	s_mov_b32 vcc_lo, 0x6b47b09a
	s_mov_b32 vcc_hi, 0x3fc38538
	v_sub_nc_u32_e32 v160, 0, v166
	s_delay_alu instid0(VALU_DEP_1) | instskip(NEXT) | instid1(VALU_DEP_3)
	v_ldexp_f64 v[8:9], v[8:9], v160
	v_add_f64 v[144:145], v[148:149], v[144:145]
	s_delay_alu instid0(VALU_DEP_2) | instskip(SKIP_1) | instid1(VALU_DEP_3)
	v_add_f64 v[150:151], v[8:9], 1.0
	v_add_f64 v[164:165], v[8:9], -1.0
	v_ldexp_f64 v[144:145], v[144:145], v160
	s_delay_alu instid0(VALU_DEP_3) | instskip(NEXT) | instid1(VALU_DEP_3)
	v_add_f64 v[148:149], v[150:151], -1.0
	v_add_f64 v[212:213], v[164:165], 1.0
	s_delay_alu instid0(VALU_DEP_2) | instskip(NEXT) | instid1(VALU_DEP_2)
	v_add_f64 v[148:149], v[8:9], -v[148:149]
	v_add_f64 v[8:9], v[8:9], -v[212:213]
	s_delay_alu instid0(VALU_DEP_2) | instskip(NEXT) | instid1(VALU_DEP_2)
	v_add_f64 v[148:149], v[144:145], v[148:149]
	v_add_f64 v[8:9], v[144:145], v[8:9]
	s_delay_alu instid0(VALU_DEP_2) | instskip(NEXT) | instid1(VALU_DEP_2)
	v_add_f64 v[160:161], v[150:151], v[148:149]
	v_add_f64 v[212:213], v[164:165], v[8:9]
	s_delay_alu instid0(VALU_DEP_2) | instskip(SKIP_1) | instid1(VALU_DEP_2)
	v_rcp_f64_e32 v[162:163], v[160:161]
	v_add_f64 v[150:151], v[160:161], -v[150:151]
	v_add_f64 v[164:165], v[212:213], -v[164:165]
	s_delay_alu instid0(VALU_DEP_2) | instskip(SKIP_3) | instid1(VALU_DEP_2)
	v_add_f64 v[148:149], v[148:149], -v[150:151]
	s_waitcnt_depctr 0xfff
	v_fma_f64 v[214:215], -v[160:161], v[162:163], 1.0
	v_add_f64 v[8:9], v[8:9], -v[164:165]
	v_fma_f64 v[162:163], v[214:215], v[162:163], v[162:163]
	s_delay_alu instid0(VALU_DEP_1) | instskip(NEXT) | instid1(VALU_DEP_1)
	v_fma_f64 v[144:145], -v[160:161], v[162:163], 1.0
	v_fma_f64 v[144:145], v[144:145], v[162:163], v[162:163]
	s_delay_alu instid0(VALU_DEP_1) | instskip(NEXT) | instid1(VALU_DEP_1)
	v_mul_f64 v[162:163], v[212:213], v[144:145]
	v_mul_f64 v[214:215], v[160:161], v[162:163]
	s_delay_alu instid0(VALU_DEP_1) | instskip(NEXT) | instid1(VALU_DEP_1)
	v_fma_f64 v[150:151], v[162:163], v[160:161], -v[214:215]
	v_fma_f64 v[150:151], v[162:163], v[148:149], v[150:151]
	s_delay_alu instid0(VALU_DEP_1) | instskip(NEXT) | instid1(VALU_DEP_1)
	v_add_f64 v[224:225], v[214:215], v[150:151]
	v_add_f64 v[226:227], v[212:213], -v[224:225]
	v_add_f64 v[164:165], v[224:225], -v[214:215]
	s_delay_alu instid0(VALU_DEP_2) | instskip(NEXT) | instid1(VALU_DEP_2)
	v_add_f64 v[212:213], v[212:213], -v[226:227]
	v_add_f64 v[150:151], v[164:165], -v[150:151]
	s_delay_alu instid0(VALU_DEP_2) | instskip(NEXT) | instid1(VALU_DEP_1)
	v_add_f64 v[212:213], v[212:213], -v[224:225]
	v_add_f64 v[8:9], v[8:9], v[212:213]
	s_delay_alu instid0(VALU_DEP_1) | instskip(NEXT) | instid1(VALU_DEP_1)
	v_add_f64 v[8:9], v[150:151], v[8:9]
	v_add_f64 v[150:151], v[226:227], v[8:9]
	s_delay_alu instid0(VALU_DEP_1) | instskip(SKIP_1) | instid1(VALU_DEP_2)
	v_mul_f64 v[164:165], v[144:145], v[150:151]
	v_add_f64 v[224:225], v[226:227], -v[150:151]
	v_mul_f64 v[212:213], v[160:161], v[164:165]
	s_delay_alu instid0(VALU_DEP_2) | instskip(NEXT) | instid1(VALU_DEP_2)
	v_add_f64 v[8:9], v[8:9], v[224:225]
	v_fma_f64 v[160:161], v[164:165], v[160:161], -v[212:213]
	s_delay_alu instid0(VALU_DEP_1) | instskip(NEXT) | instid1(VALU_DEP_1)
	v_fma_f64 v[148:149], v[164:165], v[148:149], v[160:161]
	v_add_f64 v[160:161], v[212:213], v[148:149]
	s_delay_alu instid0(VALU_DEP_1) | instskip(SKIP_1) | instid1(VALU_DEP_2)
	v_add_f64 v[214:215], v[150:151], -v[160:161]
	v_add_f64 v[212:213], v[160:161], -v[212:213]
	;; [unrolled: 1-line block ×3, first 2 shown]
	s_delay_alu instid0(VALU_DEP_2) | instskip(NEXT) | instid1(VALU_DEP_2)
	v_add_f64 v[148:149], v[212:213], -v[148:149]
	v_add_f64 v[150:151], v[150:151], -v[160:161]
	s_delay_alu instid0(VALU_DEP_1) | instskip(SKIP_1) | instid1(VALU_DEP_2)
	v_add_f64 v[8:9], v[8:9], v[150:151]
	v_add_f64 v[150:151], v[162:163], v[164:165]
	;; [unrolled: 1-line block ×3, first 2 shown]
	s_delay_alu instid0(VALU_DEP_2) | instskip(NEXT) | instid1(VALU_DEP_2)
	v_add_f64 v[148:149], v[150:151], -v[162:163]
	v_add_f64 v[8:9], v[214:215], v[8:9]
	s_delay_alu instid0(VALU_DEP_2) | instskip(NEXT) | instid1(VALU_DEP_2)
	v_add_f64 v[148:149], v[164:165], -v[148:149]
	v_mul_f64 v[8:9], v[144:145], v[8:9]
	s_delay_alu instid0(VALU_DEP_1) | instskip(NEXT) | instid1(VALU_DEP_1)
	v_add_f64 v[8:9], v[148:149], v[8:9]
	v_add_f64 v[144:145], v[150:151], v[8:9]
	s_delay_alu instid0(VALU_DEP_1) | instskip(NEXT) | instid1(VALU_DEP_1)
	v_mul_f64 v[148:149], v[144:145], v[144:145]
	v_fma_f64 v[160:161], v[148:149], s[30:31], vcc
	s_mov_b32 vcc_lo, 0xd7f4df2e
	s_mov_b32 vcc_hi, 0x3fc7474d
	v_mul_f64 v[162:163], v[144:145], v[148:149]
	s_delay_alu instid0(VALU_DEP_2)
	v_fma_f64 v[160:161], v[148:149], v[160:161], vcc
	s_mov_b32 vcc_lo, 0x16291751
	s_mov_b32 vcc_hi, 0x3fcc71c0
	s_delay_alu instid0(VALU_DEP_1) | instid1(SALU_CYCLE_1)
	v_fma_f64 v[160:161], v[148:149], v[160:161], vcc
	s_mov_b32 vcc_lo, 0x9b27acf1
	s_mov_b32 vcc_hi, 0x3fd24924
	s_delay_alu instid0(VALU_DEP_1) | instid1(SALU_CYCLE_1)
	v_fma_f64 v[160:161], v[148:149], v[160:161], vcc
	s_mov_b32 vcc_lo, 0x998ef7b6
	s_mov_b32 vcc_hi, 0x3fd99999
	s_delay_alu instid0(VALU_DEP_1) | instid1(SALU_CYCLE_1)
	v_fma_f64 v[160:161], v[148:149], v[160:161], vcc
	v_cmp_eq_f64_e32 vcc_lo, 0x7ff00000, v[4:5]
	s_delay_alu instid0(VALU_DEP_2) | instskip(SKIP_2) | instid1(VALU_DEP_3)
	v_fma_f64 v[148:149], v[148:149], v[160:161], s[26:27]
	v_ldexp_f64 v[160:161], v[144:145], 1
	v_add_f64 v[144:145], v[144:145], -v[150:151]
	v_mul_f64 v[148:149], v[162:163], v[148:149]
	v_cvt_f64_i32_e32 v[162:163], v166
	s_delay_alu instid0(VALU_DEP_3) | instskip(NEXT) | instid1(VALU_DEP_3)
	v_add_f64 v[8:9], v[8:9], -v[144:145]
	v_add_f64 v[150:151], v[160:161], v[148:149]
	s_delay_alu instid0(VALU_DEP_3) | instskip(NEXT) | instid1(VALU_DEP_3)
	v_mul_f64 v[164:165], v[162:163], s[20:21]
	v_ldexp_f64 v[8:9], v[8:9], 1
	s_delay_alu instid0(VALU_DEP_3) | instskip(NEXT) | instid1(VALU_DEP_3)
	v_add_f64 v[144:145], v[150:151], -v[160:161]
	v_fma_f64 v[160:161], v[162:163], s[20:21], -v[164:165]
	s_delay_alu instid0(VALU_DEP_2) | instskip(NEXT) | instid1(VALU_DEP_2)
	v_add_f64 v[144:145], v[148:149], -v[144:145]
	v_fma_f64 v[148:149], v[162:163], s[24:25], v[160:161]
	s_delay_alu instid0(VALU_DEP_2) | instskip(NEXT) | instid1(VALU_DEP_2)
	v_add_f64 v[8:9], v[8:9], v[144:145]
	v_add_f64 v[144:145], v[164:165], v[148:149]
	s_delay_alu instid0(VALU_DEP_2) | instskip(NEXT) | instid1(VALU_DEP_2)
	v_add_f64 v[160:161], v[150:151], v[8:9]
	v_add_f64 v[164:165], v[144:145], -v[164:165]
	s_delay_alu instid0(VALU_DEP_2) | instskip(SKIP_1) | instid1(VALU_DEP_3)
	v_add_f64 v[162:163], v[144:145], v[160:161]
	v_add_f64 v[150:151], v[160:161], -v[150:151]
	v_add_f64 v[148:149], v[148:149], -v[164:165]
	s_delay_alu instid0(VALU_DEP_3) | instskip(NEXT) | instid1(VALU_DEP_3)
	v_add_f64 v[212:213], v[162:163], -v[144:145]
	v_add_f64 v[8:9], v[8:9], -v[150:151]
	s_delay_alu instid0(VALU_DEP_2) | instskip(SKIP_1) | instid1(VALU_DEP_3)
	v_add_f64 v[214:215], v[162:163], -v[212:213]
	v_add_f64 v[150:151], v[160:161], -v[212:213]
	v_add_f64 v[160:161], v[148:149], v[8:9]
	s_delay_alu instid0(VALU_DEP_3) | instskip(NEXT) | instid1(VALU_DEP_1)
	v_add_f64 v[144:145], v[144:145], -v[214:215]
	v_add_f64 v[144:145], v[150:151], v[144:145]
	s_delay_alu instid0(VALU_DEP_3) | instskip(NEXT) | instid1(VALU_DEP_2)
	v_add_f64 v[150:151], v[160:161], -v[148:149]
	v_add_f64 v[144:145], v[160:161], v[144:145]
	s_delay_alu instid0(VALU_DEP_2) | instskip(SKIP_1) | instid1(VALU_DEP_3)
	v_add_f64 v[160:161], v[160:161], -v[150:151]
	v_add_f64 v[8:9], v[8:9], -v[150:151]
	v_add_f64 v[164:165], v[162:163], v[144:145]
	s_delay_alu instid0(VALU_DEP_3) | instskip(NEXT) | instid1(VALU_DEP_2)
	v_add_f64 v[148:149], v[148:149], -v[160:161]
	v_add_f64 v[150:151], v[164:165], -v[162:163]
	s_delay_alu instid0(VALU_DEP_2) | instskip(NEXT) | instid1(VALU_DEP_2)
	v_add_f64 v[8:9], v[8:9], v[148:149]
	v_add_f64 v[144:145], v[144:145], -v[150:151]
	s_delay_alu instid0(VALU_DEP_1) | instskip(NEXT) | instid1(VALU_DEP_1)
	v_add_f64 v[8:9], v[8:9], v[144:145]
	v_add_f64 v[8:9], v[164:165], v[8:9]
	s_delay_alu instid0(VALU_DEP_1) | instskip(SKIP_1) | instid1(VALU_DEP_2)
	v_dual_cndmask_b32 v9, v9, v5 :: v_dual_cndmask_b32 v8, v8, v4
	v_cmp_ngt_f64_e32 vcc_lo, -1.0, v[4:5]
	v_cndmask_b32_e32 v9, 0x7ff80000, v9, vcc_lo
	v_cmp_nge_f64_e32 vcc_lo, -1.0, v[4:5]
	s_delay_alu instid0(VALU_DEP_4) | instskip(SKIP_1) | instid1(VALU_DEP_4)
	v_cndmask_b32_e32 v8, 0, v8, vcc_lo
	v_cmp_neq_f64_e32 vcc_lo, -1.0, v[4:5]
	v_cndmask_b32_e32 v9, 0xfff00000, v9, vcc_lo
	s_delay_alu instid0(VALU_DEP_1)
	v_add_f64 v[4:5], v[6:7], v[8:9]
.LBB8_207:
	s_or_b32 exec_lo, exec_lo, s29
	s_add_i32 s20, s12, 32
	s_mov_b32 s21, 0
	s_mov_b32 s12, exec_lo
	s_lshl_b64 s[20:21], s[20:21], 4
	s_delay_alu instid0(SALU_CYCLE_1)
	v_add_co_u32 v8, vcc_lo, v116, s20
	v_add_co_ci_u32_e32 v9, vcc_lo, s21, v117, vcc_lo
	s_mov_b64 s[20:21], src_shared_base
	s_delay_alu instid0(VALU_DEP_1) | instid1(SALU_CYCLE_1)
	v_cmpx_ne_u32_e64 s21, v9
	s_xor_b32 s12, exec_lo, s12
	s_cbranch_execz .LBB8_213
; %bb.208:
	s_mov_b64 s[20:21], src_private_base
	s_mov_b32 s19, exec_lo
	v_cmpx_ne_u32_e64 s21, v9
	s_xor_b32 s19, exec_lo, s19
	s_cbranch_execz .LBB8_210
; %bb.209:
	v_dual_mov_b32 v7, 0 :: v_dual_mov_b32 v6, 2
	;;#ASMSTART
	global_store_dwordx4 v[8:9], v[4:7] off	
s_waitcnt vmcnt(0)
	;;#ASMEND
                                        ; implicit-def: $vgpr4_vgpr5
                                        ; implicit-def: $vgpr8_vgpr9
.LBB8_210:
	s_and_not1_saveexec_b32 s19, s19
	s_cbranch_execz .LBB8_212
; %bb.211:
	v_dual_mov_b32 v7, 0 :: v_dual_mov_b32 v6, 2
	;;#ASMSTART
	flat_store_dwordx4 v[8:9], v[4:7] 	
s_waitcnt vmcnt(0)
	;;#ASMEND
.LBB8_212:
	s_or_b32 exec_lo, exec_lo, s19
                                        ; implicit-def: $vgpr8_vgpr9
                                        ; implicit-def: $vgpr4_vgpr5
.LBB8_213:
	s_and_not1_saveexec_b32 s12, s12
	s_cbranch_execz .LBB8_215
; %bb.214:
	v_cmp_ne_u64_e32 vcc_lo, 0, v[8:9]
	v_dual_mov_b32 v6, 2 :: v_dual_mov_b32 v7, 0
	v_cndmask_b32_e32 v8, -1, v8, vcc_lo
	;;#ASMSTART
	ds_write_b128 v8, v[4:7] 	
s_waitcnt lgkmcnt(0)
	;;#ASMEND
.LBB8_215:
	s_or_b32 exec_lo, exec_lo, s28
	v_cmp_eq_u32_e32 vcc_lo, 0, v128
	s_and_b32 exec_lo, exec_lo, vcc_lo
	s_cbranch_execz .LBB8_217
; %bb.216:
	v_mov_b32_e32 v4, 0
	ds_store_b64 v4, v[146:147] offset:56
.LBB8_217:
	s_or_b32 exec_lo, exec_lo, s72
	v_dual_mov_b32 v4, 0 :: v_dual_mov_b32 v9, v1
	s_waitcnt lgkmcnt(0)
	s_barrier
	buffer_gl0_inv
	ds_load_b64 v[4:5], v4 offset:56
	v_mov_b32_e32 v8, v0
	s_mov_b32 s26, exec_lo
	v_cmpx_ne_u32_e32 0, v128
	s_cbranch_execz .LBB8_221
; %bb.218:
	v_cndmask_b32_e64 v9, v211, v134, s18
	v_cndmask_b32_e64 v8, v210, v133, s18
	s_delay_alu instid0(VALU_DEP_1) | instskip(SKIP_1) | instid1(VALU_DEP_2)
	v_max_f64 v[6:7], v[8:9], v[8:9]
	v_cmp_u_f64_e32 vcc_lo, v[8:9], v[8:9]
	v_min_f64 v[133:134], v[6:7], v[131:132]
	v_max_f64 v[6:7], v[6:7], v[131:132]
	s_delay_alu instid0(VALU_DEP_2) | instskip(NEXT) | instid1(VALU_DEP_2)
	v_dual_cndmask_b32 v131, v133, v8 :: v_dual_cndmask_b32 v132, v134, v9
	v_dual_cndmask_b32 v7, v7, v9 :: v_dual_cndmask_b32 v6, v6, v8
	s_delay_alu instid0(VALU_DEP_2) | instskip(NEXT) | instid1(VALU_DEP_3)
	v_cndmask_b32_e64 v131, v131, v0, s17
	v_cndmask_b32_e64 v132, v132, v1, s17
	s_delay_alu instid0(VALU_DEP_3) | instskip(NEXT) | instid1(VALU_DEP_4)
	v_cndmask_b32_e64 v7, v7, v1, s17
	v_cndmask_b32_e64 v6, v6, v0, s17
	s_delay_alu instid0(VALU_DEP_3) | instskip(NEXT) | instid1(VALU_DEP_2)
	v_cmp_class_f64_e64 s12, v[131:132], 0x1f8
	v_cmp_neq_f64_e32 vcc_lo, v[131:132], v[6:7]
	s_delay_alu instid0(VALU_DEP_2) | instskip(NEXT) | instid1(SALU_CYCLE_1)
	s_or_b32 s12, vcc_lo, s12
	s_and_saveexec_b32 s17, s12
	s_cbranch_execz .LBB8_220
; %bb.219:
	v_add_f64 v[8:9], v[131:132], -v[6:7]
	s_mov_b32 s18, 0x652b82fe
	s_mov_b32 s19, 0x3ff71547
	;; [unrolled: 1-line block ×8, first 2 shown]
	s_delay_alu instid0(VALU_DEP_1) | instskip(SKIP_4) | instid1(VALU_DEP_3)
	v_mul_f64 v[131:132], v[8:9], s[18:19]
	s_mov_b32 s19, 0xbfe62e42
	s_mov_b32 s18, 0xfefa39ef
	v_cmp_nlt_f64_e32 vcc_lo, 0x40900000, v[8:9]
	v_cmp_ngt_f64_e64 s12, 0xc090cc00, v[8:9]
	v_rndne_f64_e32 v[131:132], v[131:132]
	s_delay_alu instid0(VALU_DEP_1) | instskip(SKIP_2) | instid1(VALU_DEP_2)
	v_fma_f64 v[133:134], v[131:132], s[18:19], v[8:9]
	v_cvt_i32_f64_e32 v146, v[131:132]
	s_mov_b32 s19, 0x3fe62e42
	v_fma_f64 v[133:134], v[131:132], s[20:21], v[133:134]
	s_mov_b32 s21, 0x3c7abc9e
	s_delay_alu instid0(VALU_DEP_1) | instskip(SKIP_4) | instid1(VALU_DEP_1)
	v_fma_f64 v[144:145], v[133:134], s[28:29], s[24:25]
	s_mov_b32 s24, 0x623fde64
	s_mov_b32 s25, 0x3ec71dee
	;; [unrolled: 1-line block ×4, first 2 shown]
	v_fma_f64 v[144:145], v[133:134], v[144:145], s[24:25]
	s_mov_b32 s24, 0x7c89e6b0
	s_mov_b32 s25, 0x3efa0199
	s_delay_alu instid0(VALU_DEP_1) | instid1(SALU_CYCLE_1)
	v_fma_f64 v[144:145], v[133:134], v[144:145], s[24:25]
	s_mov_b32 s24, 0x14761f6e
	s_mov_b32 s25, 0x3f2a01a0
	s_delay_alu instid0(VALU_DEP_1) | instid1(SALU_CYCLE_1)
	;; [unrolled: 4-line block ×7, first 2 shown]
	v_fma_f64 v[144:145], v[133:134], v[144:145], s[24:25]
	s_mov_b32 s25, 0x3fe55555
	s_mov_b32 s24, 0x55555555
	s_delay_alu instid0(VALU_DEP_1) | instskip(NEXT) | instid1(VALU_DEP_1)
	v_fma_f64 v[144:145], v[133:134], v[144:145], 1.0
	v_fma_f64 v[131:132], v[133:134], v[144:145], 1.0
	s_delay_alu instid0(VALU_DEP_1) | instskip(NEXT) | instid1(VALU_DEP_1)
	v_ldexp_f64 v[131:132], v[131:132], v146
	v_cndmask_b32_e32 v132, 0x7ff00000, v132, vcc_lo
	s_and_b32 vcc_lo, s12, vcc_lo
	s_delay_alu instid0(VALU_DEP_2) | instskip(NEXT) | instid1(VALU_DEP_2)
	v_cndmask_b32_e32 v8, 0, v131, vcc_lo
	v_cndmask_b32_e64 v9, 0, v132, s12
	s_delay_alu instid0(VALU_DEP_1) | instskip(NEXT) | instid1(VALU_DEP_1)
	v_add_f64 v[131:132], v[8:9], 1.0
	v_frexp_mant_f64_e32 v[133:134], v[131:132]
	v_frexp_exp_i32_f64_e32 v146, v[131:132]
	v_add_f64 v[144:145], v[131:132], -1.0
	s_delay_alu instid0(VALU_DEP_3) | instskip(SKIP_1) | instid1(VALU_DEP_2)
	v_cmp_gt_f64_e32 vcc_lo, s[24:25], v[133:134]
	s_mov_b32 s24, 0x55555780
	v_add_f64 v[133:134], v[144:145], -v[131:132]
	v_add_f64 v[144:145], v[8:9], -v[144:145]
	v_subrev_co_ci_u32_e32 v166, vcc_lo, 0, v146, vcc_lo
	s_delay_alu instid0(VALU_DEP_3) | instskip(SKIP_2) | instid1(VALU_DEP_2)
	v_add_f64 v[133:134], v[133:134], 1.0
	s_mov_b32 vcc_lo, 0xbf559e2b
	s_mov_b32 vcc_hi, 0x3fc3ab76
	v_sub_nc_u32_e32 v148, 0, v166
	s_delay_alu instid0(VALU_DEP_1) | instskip(NEXT) | instid1(VALU_DEP_3)
	v_ldexp_f64 v[131:132], v[131:132], v148
	v_add_f64 v[133:134], v[144:145], v[133:134]
	s_delay_alu instid0(VALU_DEP_2) | instskip(SKIP_1) | instid1(VALU_DEP_3)
	v_add_f64 v[146:147], v[131:132], 1.0
	v_add_f64 v[160:161], v[131:132], -1.0
	v_ldexp_f64 v[133:134], v[133:134], v148
	s_delay_alu instid0(VALU_DEP_3) | instskip(NEXT) | instid1(VALU_DEP_3)
	v_add_f64 v[144:145], v[146:147], -1.0
	v_add_f64 v[162:163], v[160:161], 1.0
	s_delay_alu instid0(VALU_DEP_2) | instskip(NEXT) | instid1(VALU_DEP_2)
	v_add_f64 v[144:145], v[131:132], -v[144:145]
	v_add_f64 v[131:132], v[131:132], -v[162:163]
	s_delay_alu instid0(VALU_DEP_2) | instskip(NEXT) | instid1(VALU_DEP_2)
	v_add_f64 v[144:145], v[133:134], v[144:145]
	v_add_f64 v[131:132], v[133:134], v[131:132]
	s_delay_alu instid0(VALU_DEP_2) | instskip(NEXT) | instid1(VALU_DEP_2)
	v_add_f64 v[148:149], v[146:147], v[144:145]
	v_add_f64 v[162:163], v[160:161], v[131:132]
	s_delay_alu instid0(VALU_DEP_2) | instskip(SKIP_1) | instid1(VALU_DEP_2)
	v_rcp_f64_e32 v[150:151], v[148:149]
	v_add_f64 v[146:147], v[148:149], -v[146:147]
	v_add_f64 v[160:161], v[162:163], -v[160:161]
	s_delay_alu instid0(VALU_DEP_2) | instskip(SKIP_3) | instid1(VALU_DEP_2)
	v_add_f64 v[144:145], v[144:145], -v[146:147]
	s_waitcnt_depctr 0xfff
	v_fma_f64 v[164:165], -v[148:149], v[150:151], 1.0
	v_add_f64 v[131:132], v[131:132], -v[160:161]
	v_fma_f64 v[150:151], v[164:165], v[150:151], v[150:151]
	s_delay_alu instid0(VALU_DEP_1) | instskip(NEXT) | instid1(VALU_DEP_1)
	v_fma_f64 v[133:134], -v[148:149], v[150:151], 1.0
	v_fma_f64 v[133:134], v[133:134], v[150:151], v[150:151]
	s_delay_alu instid0(VALU_DEP_1) | instskip(NEXT) | instid1(VALU_DEP_1)
	v_mul_f64 v[150:151], v[162:163], v[133:134]
	v_mul_f64 v[164:165], v[148:149], v[150:151]
	s_delay_alu instid0(VALU_DEP_1) | instskip(NEXT) | instid1(VALU_DEP_1)
	v_fma_f64 v[146:147], v[150:151], v[148:149], -v[164:165]
	v_fma_f64 v[146:147], v[150:151], v[144:145], v[146:147]
	s_delay_alu instid0(VALU_DEP_1) | instskip(NEXT) | instid1(VALU_DEP_1)
	v_add_f64 v[209:210], v[164:165], v[146:147]
	v_add_f64 v[211:212], v[162:163], -v[209:210]
	v_add_f64 v[160:161], v[209:210], -v[164:165]
	s_delay_alu instid0(VALU_DEP_2) | instskip(NEXT) | instid1(VALU_DEP_2)
	v_add_f64 v[162:163], v[162:163], -v[211:212]
	v_add_f64 v[146:147], v[160:161], -v[146:147]
	s_delay_alu instid0(VALU_DEP_2) | instskip(NEXT) | instid1(VALU_DEP_1)
	v_add_f64 v[162:163], v[162:163], -v[209:210]
	v_add_f64 v[131:132], v[131:132], v[162:163]
	s_delay_alu instid0(VALU_DEP_1) | instskip(NEXT) | instid1(VALU_DEP_1)
	v_add_f64 v[131:132], v[146:147], v[131:132]
	v_add_f64 v[146:147], v[211:212], v[131:132]
	s_delay_alu instid0(VALU_DEP_1) | instskip(SKIP_1) | instid1(VALU_DEP_2)
	v_mul_f64 v[160:161], v[133:134], v[146:147]
	v_add_f64 v[209:210], v[211:212], -v[146:147]
	v_mul_f64 v[162:163], v[148:149], v[160:161]
	s_delay_alu instid0(VALU_DEP_2) | instskip(NEXT) | instid1(VALU_DEP_2)
	v_add_f64 v[131:132], v[131:132], v[209:210]
	v_fma_f64 v[148:149], v[160:161], v[148:149], -v[162:163]
	s_delay_alu instid0(VALU_DEP_1) | instskip(NEXT) | instid1(VALU_DEP_1)
	v_fma_f64 v[144:145], v[160:161], v[144:145], v[148:149]
	v_add_f64 v[148:149], v[162:163], v[144:145]
	s_delay_alu instid0(VALU_DEP_1) | instskip(SKIP_1) | instid1(VALU_DEP_2)
	v_add_f64 v[164:165], v[146:147], -v[148:149]
	v_add_f64 v[162:163], v[148:149], -v[162:163]
	v_add_f64 v[146:147], v[146:147], -v[164:165]
	s_delay_alu instid0(VALU_DEP_2) | instskip(NEXT) | instid1(VALU_DEP_2)
	v_add_f64 v[144:145], v[162:163], -v[144:145]
	v_add_f64 v[146:147], v[146:147], -v[148:149]
	s_delay_alu instid0(VALU_DEP_1) | instskip(SKIP_1) | instid1(VALU_DEP_2)
	v_add_f64 v[131:132], v[131:132], v[146:147]
	v_add_f64 v[146:147], v[150:151], v[160:161]
	;; [unrolled: 1-line block ×3, first 2 shown]
	s_delay_alu instid0(VALU_DEP_2) | instskip(NEXT) | instid1(VALU_DEP_2)
	v_add_f64 v[144:145], v[146:147], -v[150:151]
	v_add_f64 v[131:132], v[164:165], v[131:132]
	s_delay_alu instid0(VALU_DEP_2) | instskip(NEXT) | instid1(VALU_DEP_2)
	v_add_f64 v[144:145], v[160:161], -v[144:145]
	v_mul_f64 v[131:132], v[133:134], v[131:132]
	s_delay_alu instid0(VALU_DEP_1) | instskip(NEXT) | instid1(VALU_DEP_1)
	v_add_f64 v[131:132], v[144:145], v[131:132]
	v_add_f64 v[133:134], v[146:147], v[131:132]
	s_delay_alu instid0(VALU_DEP_1) | instskip(NEXT) | instid1(VALU_DEP_1)
	v_mul_f64 v[144:145], v[133:134], v[133:134]
	v_fma_f64 v[148:149], v[144:145], vcc, s[28:29]
	s_mov_b32 s28, 0xd7f4df2e
	s_mov_b32 s29, 0x3fc7474d
	v_mul_f64 v[150:151], v[133:134], v[144:145]
	v_cmp_eq_f64_e32 vcc_lo, 0x7ff00000, v[8:9]
	s_delay_alu instid0(VALU_DEP_3)
	v_fma_f64 v[148:149], v[144:145], v[148:149], s[28:29]
	s_mov_b32 s28, 0x16291751
	s_mov_b32 s29, 0x3fcc71c0
	s_delay_alu instid0(VALU_DEP_1) | instid1(SALU_CYCLE_1)
	v_fma_f64 v[148:149], v[144:145], v[148:149], s[28:29]
	s_mov_b32 s28, 0x9b27acf1
	s_mov_b32 s29, 0x3fd24924
	s_delay_alu instid0(VALU_DEP_1) | instid1(SALU_CYCLE_1)
	;; [unrolled: 4-line block ×3, first 2 shown]
	v_fma_f64 v[148:149], v[144:145], v[148:149], s[28:29]
	s_delay_alu instid0(VALU_DEP_1) | instskip(SKIP_2) | instid1(VALU_DEP_3)
	v_fma_f64 v[144:145], v[144:145], v[148:149], s[24:25]
	v_ldexp_f64 v[148:149], v[133:134], 1
	v_add_f64 v[133:134], v[133:134], -v[146:147]
	v_mul_f64 v[144:145], v[150:151], v[144:145]
	v_cvt_f64_i32_e32 v[150:151], v166
	s_delay_alu instid0(VALU_DEP_3) | instskip(NEXT) | instid1(VALU_DEP_3)
	v_add_f64 v[131:132], v[131:132], -v[133:134]
	v_add_f64 v[146:147], v[148:149], v[144:145]
	s_delay_alu instid0(VALU_DEP_3) | instskip(NEXT) | instid1(VALU_DEP_3)
	v_mul_f64 v[160:161], v[150:151], s[18:19]
	v_ldexp_f64 v[131:132], v[131:132], 1
	s_delay_alu instid0(VALU_DEP_3) | instskip(NEXT) | instid1(VALU_DEP_3)
	v_add_f64 v[133:134], v[146:147], -v[148:149]
	v_fma_f64 v[148:149], v[150:151], s[18:19], -v[160:161]
	s_delay_alu instid0(VALU_DEP_2) | instskip(NEXT) | instid1(VALU_DEP_2)
	v_add_f64 v[133:134], v[144:145], -v[133:134]
	v_fma_f64 v[144:145], v[150:151], s[20:21], v[148:149]
	s_delay_alu instid0(VALU_DEP_2) | instskip(NEXT) | instid1(VALU_DEP_2)
	v_add_f64 v[131:132], v[131:132], v[133:134]
	v_add_f64 v[133:134], v[160:161], v[144:145]
	s_delay_alu instid0(VALU_DEP_2) | instskip(NEXT) | instid1(VALU_DEP_2)
	v_add_f64 v[148:149], v[146:147], v[131:132]
	v_add_f64 v[160:161], v[133:134], -v[160:161]
	s_delay_alu instid0(VALU_DEP_2) | instskip(SKIP_1) | instid1(VALU_DEP_3)
	v_add_f64 v[150:151], v[133:134], v[148:149]
	v_add_f64 v[146:147], v[148:149], -v[146:147]
	v_add_f64 v[144:145], v[144:145], -v[160:161]
	s_delay_alu instid0(VALU_DEP_3) | instskip(NEXT) | instid1(VALU_DEP_3)
	v_add_f64 v[162:163], v[150:151], -v[133:134]
	v_add_f64 v[131:132], v[131:132], -v[146:147]
	s_delay_alu instid0(VALU_DEP_2) | instskip(SKIP_1) | instid1(VALU_DEP_3)
	v_add_f64 v[164:165], v[150:151], -v[162:163]
	v_add_f64 v[146:147], v[148:149], -v[162:163]
	v_add_f64 v[148:149], v[144:145], v[131:132]
	s_delay_alu instid0(VALU_DEP_3) | instskip(NEXT) | instid1(VALU_DEP_1)
	v_add_f64 v[133:134], v[133:134], -v[164:165]
	v_add_f64 v[133:134], v[146:147], v[133:134]
	s_delay_alu instid0(VALU_DEP_3) | instskip(NEXT) | instid1(VALU_DEP_2)
	v_add_f64 v[146:147], v[148:149], -v[144:145]
	v_add_f64 v[133:134], v[148:149], v[133:134]
	s_delay_alu instid0(VALU_DEP_2) | instskip(SKIP_1) | instid1(VALU_DEP_3)
	v_add_f64 v[148:149], v[148:149], -v[146:147]
	v_add_f64 v[131:132], v[131:132], -v[146:147]
	v_add_f64 v[160:161], v[150:151], v[133:134]
	s_delay_alu instid0(VALU_DEP_3) | instskip(NEXT) | instid1(VALU_DEP_2)
	v_add_f64 v[144:145], v[144:145], -v[148:149]
	v_add_f64 v[146:147], v[160:161], -v[150:151]
	s_delay_alu instid0(VALU_DEP_2) | instskip(NEXT) | instid1(VALU_DEP_2)
	v_add_f64 v[131:132], v[131:132], v[144:145]
	v_add_f64 v[133:134], v[133:134], -v[146:147]
	s_delay_alu instid0(VALU_DEP_1) | instskip(NEXT) | instid1(VALU_DEP_1)
	v_add_f64 v[131:132], v[131:132], v[133:134]
	v_add_f64 v[131:132], v[160:161], v[131:132]
	s_delay_alu instid0(VALU_DEP_1) | instskip(SKIP_1) | instid1(VALU_DEP_2)
	v_dual_cndmask_b32 v131, v131, v8 :: v_dual_cndmask_b32 v132, v132, v9
	v_cmp_ngt_f64_e32 vcc_lo, -1.0, v[8:9]
	v_cndmask_b32_e32 v132, 0x7ff80000, v132, vcc_lo
	v_cmp_nge_f64_e32 vcc_lo, -1.0, v[8:9]
	s_delay_alu instid0(VALU_DEP_4) | instskip(SKIP_1) | instid1(VALU_DEP_4)
	v_cndmask_b32_e32 v131, 0, v131, vcc_lo
	v_cmp_neq_f64_e32 vcc_lo, -1.0, v[8:9]
	v_cndmask_b32_e32 v132, 0xfff00000, v132, vcc_lo
	s_delay_alu instid0(VALU_DEP_1)
	v_add_f64 v[8:9], v[6:7], v[131:132]
.LBB8_220:
	s_or_b32 exec_lo, exec_lo, s17
.LBB8_221:
	s_delay_alu instid0(SALU_CYCLE_1) | instskip(NEXT) | instid1(VALU_DEP_1)
	s_or_b32 exec_lo, exec_lo, s26
	v_max_f64 v[6:7], v[8:9], v[8:9]
	s_waitcnt lgkmcnt(0)
	v_max_f64 v[131:132], v[4:5], v[4:5]
	v_cmp_u_f64_e32 vcc_lo, v[4:5], v[4:5]
	v_cmp_u_f64_e64 s12, v[8:9], v[8:9]
	s_delay_alu instid0(VALU_DEP_3) | instskip(SKIP_1) | instid1(VALU_DEP_2)
	v_min_f64 v[133:134], v[131:132], v[6:7]
	v_max_f64 v[6:7], v[131:132], v[6:7]
	v_dual_cndmask_b32 v131, v133, v4 :: v_dual_cndmask_b32 v132, v134, v5
	s_delay_alu instid0(VALU_DEP_2) | instskip(NEXT) | instid1(VALU_DEP_2)
	v_dual_cndmask_b32 v7, v7, v5 :: v_dual_cndmask_b32 v6, v6, v4
	v_cndmask_b32_e64 v131, v131, v8, s12
	s_delay_alu instid0(VALU_DEP_3) | instskip(NEXT) | instid1(VALU_DEP_3)
	v_cndmask_b32_e64 v132, v132, v9, s12
	v_cndmask_b32_e64 v7, v7, v9, s12
	s_delay_alu instid0(VALU_DEP_4) | instskip(NEXT) | instid1(VALU_DEP_3)
	v_cndmask_b32_e64 v6, v6, v8, s12
	v_cmp_class_f64_e64 s12, v[131:132], 0x1f8
	s_delay_alu instid0(VALU_DEP_2) | instskip(NEXT) | instid1(VALU_DEP_2)
	v_cmp_neq_f64_e32 vcc_lo, v[131:132], v[6:7]
	s_or_b32 s12, vcc_lo, s12
	s_delay_alu instid0(SALU_CYCLE_1)
	s_and_saveexec_b32 s17, s12
	s_cbranch_execz .LBB8_223
; %bb.222:
	v_add_f64 v[4:5], v[131:132], -v[6:7]
	s_mov_b32 s18, 0x652b82fe
	s_mov_b32 s19, 0x3ff71547
	;; [unrolled: 1-line block ×10, first 2 shown]
	s_delay_alu instid0(VALU_DEP_1) | instskip(SKIP_4) | instid1(VALU_DEP_3)
	v_mul_f64 v[8:9], v[4:5], s[18:19]
	s_mov_b32 s19, 0xbfe62e42
	s_mov_b32 s18, 0xfefa39ef
	v_cmp_nlt_f64_e32 vcc_lo, 0x40900000, v[4:5]
	v_cmp_ngt_f64_e64 s12, 0xc090cc00, v[4:5]
	v_rndne_f64_e32 v[8:9], v[8:9]
	s_delay_alu instid0(VALU_DEP_1) | instskip(SKIP_2) | instid1(VALU_DEP_2)
	v_fma_f64 v[131:132], v[8:9], s[18:19], v[4:5]
	v_cvt_i32_f64_e32 v144, v[8:9]
	s_mov_b32 s19, 0x3fe62e42
	v_fma_f64 v[131:132], v[8:9], s[20:21], v[131:132]
	s_mov_b32 s21, 0x3c7abc9e
	s_delay_alu instid0(VALU_DEP_1) | instskip(SKIP_4) | instid1(VALU_DEP_1)
	v_fma_f64 v[133:134], v[131:132], s[26:27], s[24:25]
	s_mov_b32 s24, 0x623fde64
	s_mov_b32 s25, 0x3ec71dee
	s_mov_b32 s26, 0x6b47b09a
	s_mov_b32 s27, 0x3fc38538
	v_fma_f64 v[133:134], v[131:132], v[133:134], s[24:25]
	s_mov_b32 s24, 0x7c89e6b0
	s_mov_b32 s25, 0x3efa0199
	s_delay_alu instid0(VALU_DEP_1) | instid1(SALU_CYCLE_1)
	v_fma_f64 v[133:134], v[131:132], v[133:134], s[24:25]
	s_mov_b32 s24, 0x14761f6e
	s_mov_b32 s25, 0x3f2a01a0
	s_delay_alu instid0(VALU_DEP_1) | instid1(SALU_CYCLE_1)
	;; [unrolled: 4-line block ×7, first 2 shown]
	v_fma_f64 v[133:134], v[131:132], v[133:134], s[24:25]
	s_mov_b32 s25, 0x3fe55555
	s_mov_b32 s24, 0x55555555
	s_delay_alu instid0(VALU_DEP_1) | instskip(NEXT) | instid1(VALU_DEP_1)
	v_fma_f64 v[133:134], v[131:132], v[133:134], 1.0
	v_fma_f64 v[8:9], v[131:132], v[133:134], 1.0
	s_delay_alu instid0(VALU_DEP_1) | instskip(NEXT) | instid1(VALU_DEP_1)
	v_ldexp_f64 v[8:9], v[8:9], v144
	v_cndmask_b32_e32 v9, 0x7ff00000, v9, vcc_lo
	s_and_b32 vcc_lo, s12, vcc_lo
	s_delay_alu instid0(VALU_DEP_1) | instskip(NEXT) | instid1(VALU_DEP_3)
	v_cndmask_b32_e64 v5, 0, v9, s12
	v_cndmask_b32_e32 v4, 0, v8, vcc_lo
	s_delay_alu instid0(VALU_DEP_1) | instskip(NEXT) | instid1(VALU_DEP_1)
	v_add_f64 v[8:9], v[4:5], 1.0
	v_frexp_mant_f64_e32 v[131:132], v[8:9]
	v_frexp_exp_i32_f64_e32 v144, v[8:9]
	v_add_f64 v[133:134], v[8:9], -1.0
	s_delay_alu instid0(VALU_DEP_3) | instskip(SKIP_1) | instid1(VALU_DEP_2)
	v_cmp_gt_f64_e32 vcc_lo, s[24:25], v[131:132]
	s_mov_b32 s24, 0x55555780
	v_add_f64 v[131:132], v[133:134], -v[8:9]
	v_add_f64 v[133:134], v[4:5], -v[133:134]
	v_subrev_co_ci_u32_e32 v166, vcc_lo, 0, v144, vcc_lo
	s_delay_alu instid0(VALU_DEP_3) | instskip(SKIP_1) | instid1(VALU_DEP_3)
	v_add_f64 v[131:132], v[131:132], 1.0
	v_cmp_eq_f64_e32 vcc_lo, 0x7ff00000, v[4:5]
	v_sub_nc_u32_e32 v146, 0, v166
	s_delay_alu instid0(VALU_DEP_1) | instskip(NEXT) | instid1(VALU_DEP_4)
	v_ldexp_f64 v[8:9], v[8:9], v146
	v_add_f64 v[131:132], v[133:134], v[131:132]
	s_delay_alu instid0(VALU_DEP_2) | instskip(SKIP_1) | instid1(VALU_DEP_3)
	v_add_f64 v[144:145], v[8:9], 1.0
	v_add_f64 v[150:151], v[8:9], -1.0
	v_ldexp_f64 v[131:132], v[131:132], v146
	s_delay_alu instid0(VALU_DEP_3) | instskip(NEXT) | instid1(VALU_DEP_3)
	v_add_f64 v[133:134], v[144:145], -1.0
	v_add_f64 v[160:161], v[150:151], 1.0
	s_delay_alu instid0(VALU_DEP_2) | instskip(NEXT) | instid1(VALU_DEP_2)
	v_add_f64 v[133:134], v[8:9], -v[133:134]
	v_add_f64 v[8:9], v[8:9], -v[160:161]
	s_delay_alu instid0(VALU_DEP_2) | instskip(NEXT) | instid1(VALU_DEP_2)
	v_add_f64 v[133:134], v[131:132], v[133:134]
	v_add_f64 v[8:9], v[131:132], v[8:9]
	s_delay_alu instid0(VALU_DEP_2) | instskip(NEXT) | instid1(VALU_DEP_2)
	v_add_f64 v[146:147], v[144:145], v[133:134]
	v_add_f64 v[160:161], v[150:151], v[8:9]
	s_delay_alu instid0(VALU_DEP_2) | instskip(SKIP_1) | instid1(VALU_DEP_2)
	v_rcp_f64_e32 v[148:149], v[146:147]
	v_add_f64 v[144:145], v[146:147], -v[144:145]
	v_add_f64 v[150:151], v[160:161], -v[150:151]
	s_delay_alu instid0(VALU_DEP_2) | instskip(SKIP_3) | instid1(VALU_DEP_2)
	v_add_f64 v[133:134], v[133:134], -v[144:145]
	s_waitcnt_depctr 0xfff
	v_fma_f64 v[162:163], -v[146:147], v[148:149], 1.0
	v_add_f64 v[8:9], v[8:9], -v[150:151]
	v_fma_f64 v[148:149], v[162:163], v[148:149], v[148:149]
	s_delay_alu instid0(VALU_DEP_1) | instskip(NEXT) | instid1(VALU_DEP_1)
	v_fma_f64 v[131:132], -v[146:147], v[148:149], 1.0
	v_fma_f64 v[131:132], v[131:132], v[148:149], v[148:149]
	s_delay_alu instid0(VALU_DEP_1) | instskip(NEXT) | instid1(VALU_DEP_1)
	v_mul_f64 v[148:149], v[160:161], v[131:132]
	v_mul_f64 v[162:163], v[146:147], v[148:149]
	s_delay_alu instid0(VALU_DEP_1) | instskip(NEXT) | instid1(VALU_DEP_1)
	v_fma_f64 v[144:145], v[148:149], v[146:147], -v[162:163]
	v_fma_f64 v[144:145], v[148:149], v[133:134], v[144:145]
	s_delay_alu instid0(VALU_DEP_1) | instskip(NEXT) | instid1(VALU_DEP_1)
	v_add_f64 v[164:165], v[162:163], v[144:145]
	v_add_f64 v[209:210], v[160:161], -v[164:165]
	v_add_f64 v[150:151], v[164:165], -v[162:163]
	s_delay_alu instid0(VALU_DEP_2) | instskip(NEXT) | instid1(VALU_DEP_2)
	v_add_f64 v[160:161], v[160:161], -v[209:210]
	v_add_f64 v[144:145], v[150:151], -v[144:145]
	s_delay_alu instid0(VALU_DEP_2) | instskip(NEXT) | instid1(VALU_DEP_1)
	v_add_f64 v[160:161], v[160:161], -v[164:165]
	v_add_f64 v[8:9], v[8:9], v[160:161]
	s_delay_alu instid0(VALU_DEP_1) | instskip(NEXT) | instid1(VALU_DEP_1)
	v_add_f64 v[8:9], v[144:145], v[8:9]
	v_add_f64 v[144:145], v[209:210], v[8:9]
	s_delay_alu instid0(VALU_DEP_1) | instskip(SKIP_1) | instid1(VALU_DEP_2)
	v_mul_f64 v[150:151], v[131:132], v[144:145]
	v_add_f64 v[164:165], v[209:210], -v[144:145]
	v_mul_f64 v[160:161], v[146:147], v[150:151]
	s_delay_alu instid0(VALU_DEP_2) | instskip(NEXT) | instid1(VALU_DEP_2)
	v_add_f64 v[8:9], v[8:9], v[164:165]
	v_fma_f64 v[146:147], v[150:151], v[146:147], -v[160:161]
	s_delay_alu instid0(VALU_DEP_1) | instskip(NEXT) | instid1(VALU_DEP_1)
	v_fma_f64 v[133:134], v[150:151], v[133:134], v[146:147]
	v_add_f64 v[146:147], v[160:161], v[133:134]
	s_delay_alu instid0(VALU_DEP_1) | instskip(SKIP_1) | instid1(VALU_DEP_2)
	v_add_f64 v[162:163], v[144:145], -v[146:147]
	v_add_f64 v[160:161], v[146:147], -v[160:161]
	;; [unrolled: 1-line block ×3, first 2 shown]
	s_delay_alu instid0(VALU_DEP_2) | instskip(NEXT) | instid1(VALU_DEP_2)
	v_add_f64 v[133:134], v[160:161], -v[133:134]
	v_add_f64 v[144:145], v[144:145], -v[146:147]
	s_delay_alu instid0(VALU_DEP_1) | instskip(SKIP_1) | instid1(VALU_DEP_2)
	v_add_f64 v[8:9], v[8:9], v[144:145]
	v_add_f64 v[144:145], v[148:149], v[150:151]
	;; [unrolled: 1-line block ×3, first 2 shown]
	s_delay_alu instid0(VALU_DEP_2) | instskip(NEXT) | instid1(VALU_DEP_2)
	v_add_f64 v[133:134], v[144:145], -v[148:149]
	v_add_f64 v[8:9], v[162:163], v[8:9]
	s_delay_alu instid0(VALU_DEP_2) | instskip(NEXT) | instid1(VALU_DEP_2)
	v_add_f64 v[133:134], v[150:151], -v[133:134]
	v_mul_f64 v[8:9], v[131:132], v[8:9]
	s_delay_alu instid0(VALU_DEP_1) | instskip(NEXT) | instid1(VALU_DEP_1)
	v_add_f64 v[8:9], v[133:134], v[8:9]
	v_add_f64 v[131:132], v[144:145], v[8:9]
	s_delay_alu instid0(VALU_DEP_1) | instskip(NEXT) | instid1(VALU_DEP_1)
	v_mul_f64 v[133:134], v[131:132], v[131:132]
	v_fma_f64 v[146:147], v[133:134], s[28:29], s[26:27]
	s_mov_b32 s26, 0xd7f4df2e
	s_mov_b32 s27, 0x3fc7474d
	v_mul_f64 v[148:149], v[131:132], v[133:134]
	s_delay_alu instid0(VALU_DEP_2)
	v_fma_f64 v[146:147], v[133:134], v[146:147], s[26:27]
	s_mov_b32 s26, 0x16291751
	s_mov_b32 s27, 0x3fcc71c0
	s_delay_alu instid0(VALU_DEP_1) | instid1(SALU_CYCLE_1)
	v_fma_f64 v[146:147], v[133:134], v[146:147], s[26:27]
	s_mov_b32 s26, 0x9b27acf1
	s_mov_b32 s27, 0x3fd24924
	s_delay_alu instid0(VALU_DEP_1) | instid1(SALU_CYCLE_1)
	;; [unrolled: 4-line block ×3, first 2 shown]
	v_fma_f64 v[146:147], v[133:134], v[146:147], s[26:27]
	s_delay_alu instid0(VALU_DEP_1) | instskip(SKIP_2) | instid1(VALU_DEP_3)
	v_fma_f64 v[133:134], v[133:134], v[146:147], s[24:25]
	v_ldexp_f64 v[146:147], v[131:132], 1
	v_add_f64 v[131:132], v[131:132], -v[144:145]
	v_mul_f64 v[133:134], v[148:149], v[133:134]
	v_cvt_f64_i32_e32 v[148:149], v166
	s_delay_alu instid0(VALU_DEP_3) | instskip(NEXT) | instid1(VALU_DEP_3)
	v_add_f64 v[8:9], v[8:9], -v[131:132]
	v_add_f64 v[144:145], v[146:147], v[133:134]
	s_delay_alu instid0(VALU_DEP_3) | instskip(NEXT) | instid1(VALU_DEP_3)
	v_mul_f64 v[150:151], v[148:149], s[18:19]
	v_ldexp_f64 v[8:9], v[8:9], 1
	s_delay_alu instid0(VALU_DEP_3) | instskip(NEXT) | instid1(VALU_DEP_3)
	v_add_f64 v[131:132], v[144:145], -v[146:147]
	v_fma_f64 v[146:147], v[148:149], s[18:19], -v[150:151]
	s_delay_alu instid0(VALU_DEP_2) | instskip(NEXT) | instid1(VALU_DEP_2)
	v_add_f64 v[131:132], v[133:134], -v[131:132]
	v_fma_f64 v[133:134], v[148:149], s[20:21], v[146:147]
	s_delay_alu instid0(VALU_DEP_2) | instskip(NEXT) | instid1(VALU_DEP_2)
	v_add_f64 v[8:9], v[8:9], v[131:132]
	v_add_f64 v[131:132], v[150:151], v[133:134]
	s_delay_alu instid0(VALU_DEP_2) | instskip(NEXT) | instid1(VALU_DEP_2)
	v_add_f64 v[146:147], v[144:145], v[8:9]
	v_add_f64 v[150:151], v[131:132], -v[150:151]
	s_delay_alu instid0(VALU_DEP_2) | instskip(SKIP_1) | instid1(VALU_DEP_3)
	v_add_f64 v[148:149], v[131:132], v[146:147]
	v_add_f64 v[144:145], v[146:147], -v[144:145]
	v_add_f64 v[133:134], v[133:134], -v[150:151]
	s_delay_alu instid0(VALU_DEP_3) | instskip(NEXT) | instid1(VALU_DEP_3)
	v_add_f64 v[160:161], v[148:149], -v[131:132]
	v_add_f64 v[8:9], v[8:9], -v[144:145]
	s_delay_alu instid0(VALU_DEP_2) | instskip(SKIP_1) | instid1(VALU_DEP_3)
	v_add_f64 v[162:163], v[148:149], -v[160:161]
	v_add_f64 v[144:145], v[146:147], -v[160:161]
	v_add_f64 v[146:147], v[133:134], v[8:9]
	s_delay_alu instid0(VALU_DEP_3) | instskip(NEXT) | instid1(VALU_DEP_1)
	v_add_f64 v[131:132], v[131:132], -v[162:163]
	v_add_f64 v[131:132], v[144:145], v[131:132]
	s_delay_alu instid0(VALU_DEP_3) | instskip(NEXT) | instid1(VALU_DEP_2)
	v_add_f64 v[144:145], v[146:147], -v[133:134]
	v_add_f64 v[131:132], v[146:147], v[131:132]
	s_delay_alu instid0(VALU_DEP_2) | instskip(SKIP_1) | instid1(VALU_DEP_3)
	v_add_f64 v[146:147], v[146:147], -v[144:145]
	v_add_f64 v[8:9], v[8:9], -v[144:145]
	v_add_f64 v[150:151], v[148:149], v[131:132]
	s_delay_alu instid0(VALU_DEP_3) | instskip(NEXT) | instid1(VALU_DEP_2)
	v_add_f64 v[133:134], v[133:134], -v[146:147]
	v_add_f64 v[144:145], v[150:151], -v[148:149]
	s_delay_alu instid0(VALU_DEP_2) | instskip(NEXT) | instid1(VALU_DEP_2)
	v_add_f64 v[8:9], v[8:9], v[133:134]
	v_add_f64 v[131:132], v[131:132], -v[144:145]
	s_delay_alu instid0(VALU_DEP_1) | instskip(NEXT) | instid1(VALU_DEP_1)
	v_add_f64 v[8:9], v[8:9], v[131:132]
	v_add_f64 v[8:9], v[150:151], v[8:9]
	s_delay_alu instid0(VALU_DEP_1) | instskip(SKIP_1) | instid1(VALU_DEP_2)
	v_dual_cndmask_b32 v9, v9, v5 :: v_dual_cndmask_b32 v8, v8, v4
	v_cmp_ngt_f64_e32 vcc_lo, -1.0, v[4:5]
	v_cndmask_b32_e32 v9, 0x7ff80000, v9, vcc_lo
	v_cmp_nge_f64_e32 vcc_lo, -1.0, v[4:5]
	s_delay_alu instid0(VALU_DEP_4) | instskip(SKIP_1) | instid1(VALU_DEP_4)
	v_cndmask_b32_e32 v8, 0, v8, vcc_lo
	v_cmp_neq_f64_e32 vcc_lo, -1.0, v[4:5]
	v_cndmask_b32_e32 v9, 0xfff00000, v9, vcc_lo
	s_delay_alu instid0(VALU_DEP_1)
	v_add_f64 v[4:5], v[6:7], v[8:9]
.LBB8_223:
	s_or_b32 exec_lo, exec_lo, s17
	s_delay_alu instid0(VALU_DEP_1) | instskip(SKIP_1) | instid1(VALU_DEP_2)
	v_max_f64 v[6:7], v[4:5], v[4:5]
	v_cmp_u_f64_e32 vcc_lo, v[4:5], v[4:5]
	v_min_f64 v[8:9], v[6:7], v[54:55]
	v_max_f64 v[6:7], v[6:7], v[54:55]
	s_delay_alu instid0(VALU_DEP_2) | instskip(NEXT) | instid1(VALU_DEP_2)
	v_dual_cndmask_b32 v8, v8, v4 :: v_dual_cndmask_b32 v9, v9, v5
	v_dual_cndmask_b32 v7, v7, v5 :: v_dual_cndmask_b32 v6, v6, v4
	s_delay_alu instid0(VALU_DEP_2) | instskip(NEXT) | instid1(VALU_DEP_3)
	v_cndmask_b32_e64 v131, v8, v2, s1
	v_cndmask_b32_e64 v132, v9, v3, s1
	s_delay_alu instid0(VALU_DEP_3) | instskip(NEXT) | instid1(VALU_DEP_4)
	v_cndmask_b32_e64 v9, v7, v3, s1
	v_cndmask_b32_e64 v8, v6, v2, s1
	v_dual_mov_b32 v7, v5 :: v_dual_mov_b32 v6, v4
	s_delay_alu instid0(VALU_DEP_4) | instskip(NEXT) | instid1(VALU_DEP_3)
	v_cmp_class_f64_e64 s1, v[131:132], 0x1f8
	v_cmp_neq_f64_e32 vcc_lo, v[131:132], v[8:9]
	s_delay_alu instid0(VALU_DEP_2) | instskip(NEXT) | instid1(SALU_CYCLE_1)
	s_or_b32 s1, vcc_lo, s1
	s_and_saveexec_b32 s12, s1
	s_cbranch_execz .LBB8_225
; %bb.224:
	v_add_f64 v[6:7], v[131:132], -v[8:9]
	s_mov_b32 s18, 0x652b82fe
	s_mov_b32 s19, 0x3ff71547
	;; [unrolled: 1-line block ×10, first 2 shown]
	s_delay_alu instid0(VALU_DEP_1) | instskip(SKIP_4) | instid1(VALU_DEP_3)
	v_mul_f64 v[131:132], v[6:7], s[18:19]
	s_mov_b32 s19, 0xbfe62e42
	s_mov_b32 s18, 0xfefa39ef
	v_cmp_nlt_f64_e32 vcc_lo, 0x40900000, v[6:7]
	v_cmp_ngt_f64_e64 s1, 0xc090cc00, v[6:7]
	v_rndne_f64_e32 v[131:132], v[131:132]
	s_delay_alu instid0(VALU_DEP_1) | instskip(SKIP_2) | instid1(VALU_DEP_2)
	v_fma_f64 v[133:134], v[131:132], s[18:19], v[6:7]
	v_cvt_i32_f64_e32 v146, v[131:132]
	s_mov_b32 s19, 0x3fe62e42
	v_fma_f64 v[133:134], v[131:132], s[20:21], v[133:134]
	s_mov_b32 s21, 0x3c7abc9e
	s_delay_alu instid0(VALU_DEP_1) | instskip(SKIP_4) | instid1(VALU_DEP_1)
	v_fma_f64 v[144:145], v[133:134], s[26:27], s[24:25]
	s_mov_b32 s24, 0x623fde64
	s_mov_b32 s25, 0x3ec71dee
	;; [unrolled: 1-line block ×4, first 2 shown]
	v_fma_f64 v[144:145], v[133:134], v[144:145], s[24:25]
	s_mov_b32 s24, 0x7c89e6b0
	s_mov_b32 s25, 0x3efa0199
	s_delay_alu instid0(VALU_DEP_1) | instid1(SALU_CYCLE_1)
	v_fma_f64 v[144:145], v[133:134], v[144:145], s[24:25]
	s_mov_b32 s24, 0x14761f6e
	s_mov_b32 s25, 0x3f2a01a0
	s_delay_alu instid0(VALU_DEP_1) | instid1(SALU_CYCLE_1)
	;; [unrolled: 4-line block ×7, first 2 shown]
	v_fma_f64 v[144:145], v[133:134], v[144:145], s[24:25]
	s_mov_b32 s25, 0x3fe55555
	s_mov_b32 s24, 0x55555555
	s_delay_alu instid0(VALU_DEP_1) | instskip(NEXT) | instid1(VALU_DEP_1)
	v_fma_f64 v[144:145], v[133:134], v[144:145], 1.0
	v_fma_f64 v[131:132], v[133:134], v[144:145], 1.0
	s_delay_alu instid0(VALU_DEP_1) | instskip(NEXT) | instid1(VALU_DEP_1)
	v_ldexp_f64 v[131:132], v[131:132], v146
	v_cndmask_b32_e32 v132, 0x7ff00000, v132, vcc_lo
	s_and_b32 vcc_lo, s1, vcc_lo
	s_delay_alu instid0(VALU_DEP_2) | instskip(NEXT) | instid1(VALU_DEP_2)
	v_cndmask_b32_e32 v6, 0, v131, vcc_lo
	v_cndmask_b32_e64 v7, 0, v132, s1
	s_delay_alu instid0(VALU_DEP_1) | instskip(NEXT) | instid1(VALU_DEP_1)
	v_add_f64 v[131:132], v[6:7], 1.0
	v_frexp_mant_f64_e32 v[133:134], v[131:132]
	v_frexp_exp_i32_f64_e32 v146, v[131:132]
	v_add_f64 v[144:145], v[131:132], -1.0
	s_delay_alu instid0(VALU_DEP_3) | instskip(SKIP_1) | instid1(VALU_DEP_2)
	v_cmp_gt_f64_e32 vcc_lo, s[24:25], v[133:134]
	s_mov_b32 s24, 0x55555780
	v_add_f64 v[133:134], v[144:145], -v[131:132]
	v_add_f64 v[144:145], v[6:7], -v[144:145]
	v_subrev_co_ci_u32_e32 v166, vcc_lo, 0, v146, vcc_lo
	s_delay_alu instid0(VALU_DEP_3) | instskip(SKIP_1) | instid1(VALU_DEP_3)
	v_add_f64 v[133:134], v[133:134], 1.0
	v_cmp_eq_f64_e32 vcc_lo, 0x7ff00000, v[6:7]
	v_sub_nc_u32_e32 v148, 0, v166
	s_delay_alu instid0(VALU_DEP_1) | instskip(NEXT) | instid1(VALU_DEP_4)
	v_ldexp_f64 v[131:132], v[131:132], v148
	v_add_f64 v[133:134], v[144:145], v[133:134]
	s_delay_alu instid0(VALU_DEP_2) | instskip(SKIP_1) | instid1(VALU_DEP_3)
	v_add_f64 v[146:147], v[131:132], 1.0
	v_add_f64 v[160:161], v[131:132], -1.0
	v_ldexp_f64 v[133:134], v[133:134], v148
	s_delay_alu instid0(VALU_DEP_3) | instskip(NEXT) | instid1(VALU_DEP_3)
	v_add_f64 v[144:145], v[146:147], -1.0
	v_add_f64 v[162:163], v[160:161], 1.0
	s_delay_alu instid0(VALU_DEP_2) | instskip(NEXT) | instid1(VALU_DEP_2)
	v_add_f64 v[144:145], v[131:132], -v[144:145]
	v_add_f64 v[131:132], v[131:132], -v[162:163]
	s_delay_alu instid0(VALU_DEP_2) | instskip(NEXT) | instid1(VALU_DEP_2)
	v_add_f64 v[144:145], v[133:134], v[144:145]
	v_add_f64 v[131:132], v[133:134], v[131:132]
	s_delay_alu instid0(VALU_DEP_2) | instskip(NEXT) | instid1(VALU_DEP_2)
	v_add_f64 v[148:149], v[146:147], v[144:145]
	v_add_f64 v[162:163], v[160:161], v[131:132]
	s_delay_alu instid0(VALU_DEP_2) | instskip(SKIP_1) | instid1(VALU_DEP_2)
	v_rcp_f64_e32 v[150:151], v[148:149]
	v_add_f64 v[146:147], v[148:149], -v[146:147]
	v_add_f64 v[160:161], v[162:163], -v[160:161]
	s_delay_alu instid0(VALU_DEP_2) | instskip(SKIP_3) | instid1(VALU_DEP_2)
	v_add_f64 v[144:145], v[144:145], -v[146:147]
	s_waitcnt_depctr 0xfff
	v_fma_f64 v[164:165], -v[148:149], v[150:151], 1.0
	v_add_f64 v[131:132], v[131:132], -v[160:161]
	v_fma_f64 v[150:151], v[164:165], v[150:151], v[150:151]
	s_delay_alu instid0(VALU_DEP_1) | instskip(NEXT) | instid1(VALU_DEP_1)
	v_fma_f64 v[133:134], -v[148:149], v[150:151], 1.0
	v_fma_f64 v[133:134], v[133:134], v[150:151], v[150:151]
	s_delay_alu instid0(VALU_DEP_1) | instskip(NEXT) | instid1(VALU_DEP_1)
	v_mul_f64 v[150:151], v[162:163], v[133:134]
	v_mul_f64 v[164:165], v[148:149], v[150:151]
	s_delay_alu instid0(VALU_DEP_1) | instskip(NEXT) | instid1(VALU_DEP_1)
	v_fma_f64 v[146:147], v[150:151], v[148:149], -v[164:165]
	v_fma_f64 v[146:147], v[150:151], v[144:145], v[146:147]
	s_delay_alu instid0(VALU_DEP_1) | instskip(NEXT) | instid1(VALU_DEP_1)
	v_add_f64 v[209:210], v[164:165], v[146:147]
	v_add_f64 v[211:212], v[162:163], -v[209:210]
	v_add_f64 v[160:161], v[209:210], -v[164:165]
	s_delay_alu instid0(VALU_DEP_2) | instskip(NEXT) | instid1(VALU_DEP_2)
	v_add_f64 v[162:163], v[162:163], -v[211:212]
	v_add_f64 v[146:147], v[160:161], -v[146:147]
	s_delay_alu instid0(VALU_DEP_2) | instskip(NEXT) | instid1(VALU_DEP_1)
	v_add_f64 v[162:163], v[162:163], -v[209:210]
	v_add_f64 v[131:132], v[131:132], v[162:163]
	s_delay_alu instid0(VALU_DEP_1) | instskip(NEXT) | instid1(VALU_DEP_1)
	v_add_f64 v[131:132], v[146:147], v[131:132]
	v_add_f64 v[146:147], v[211:212], v[131:132]
	s_delay_alu instid0(VALU_DEP_1) | instskip(SKIP_1) | instid1(VALU_DEP_2)
	v_mul_f64 v[160:161], v[133:134], v[146:147]
	v_add_f64 v[209:210], v[211:212], -v[146:147]
	v_mul_f64 v[162:163], v[148:149], v[160:161]
	s_delay_alu instid0(VALU_DEP_2) | instskip(NEXT) | instid1(VALU_DEP_2)
	v_add_f64 v[131:132], v[131:132], v[209:210]
	v_fma_f64 v[148:149], v[160:161], v[148:149], -v[162:163]
	s_delay_alu instid0(VALU_DEP_1) | instskip(NEXT) | instid1(VALU_DEP_1)
	v_fma_f64 v[144:145], v[160:161], v[144:145], v[148:149]
	v_add_f64 v[148:149], v[162:163], v[144:145]
	s_delay_alu instid0(VALU_DEP_1) | instskip(SKIP_1) | instid1(VALU_DEP_2)
	v_add_f64 v[164:165], v[146:147], -v[148:149]
	v_add_f64 v[162:163], v[148:149], -v[162:163]
	;; [unrolled: 1-line block ×3, first 2 shown]
	s_delay_alu instid0(VALU_DEP_2) | instskip(NEXT) | instid1(VALU_DEP_2)
	v_add_f64 v[144:145], v[162:163], -v[144:145]
	v_add_f64 v[146:147], v[146:147], -v[148:149]
	s_delay_alu instid0(VALU_DEP_1) | instskip(SKIP_1) | instid1(VALU_DEP_2)
	v_add_f64 v[131:132], v[131:132], v[146:147]
	v_add_f64 v[146:147], v[150:151], v[160:161]
	;; [unrolled: 1-line block ×3, first 2 shown]
	s_delay_alu instid0(VALU_DEP_2) | instskip(NEXT) | instid1(VALU_DEP_2)
	v_add_f64 v[144:145], v[146:147], -v[150:151]
	v_add_f64 v[131:132], v[164:165], v[131:132]
	s_delay_alu instid0(VALU_DEP_2) | instskip(NEXT) | instid1(VALU_DEP_2)
	v_add_f64 v[144:145], v[160:161], -v[144:145]
	v_mul_f64 v[131:132], v[133:134], v[131:132]
	s_delay_alu instid0(VALU_DEP_1) | instskip(NEXT) | instid1(VALU_DEP_1)
	v_add_f64 v[131:132], v[144:145], v[131:132]
	v_add_f64 v[133:134], v[146:147], v[131:132]
	s_delay_alu instid0(VALU_DEP_1) | instskip(NEXT) | instid1(VALU_DEP_1)
	v_mul_f64 v[144:145], v[133:134], v[133:134]
	v_fma_f64 v[148:149], v[144:145], s[28:29], s[26:27]
	s_mov_b32 s26, 0xd7f4df2e
	s_mov_b32 s27, 0x3fc7474d
	v_mul_f64 v[150:151], v[133:134], v[144:145]
	s_delay_alu instid0(VALU_DEP_2)
	v_fma_f64 v[148:149], v[144:145], v[148:149], s[26:27]
	s_mov_b32 s26, 0x16291751
	s_mov_b32 s27, 0x3fcc71c0
	s_delay_alu instid0(VALU_DEP_1) | instid1(SALU_CYCLE_1)
	v_fma_f64 v[148:149], v[144:145], v[148:149], s[26:27]
	s_mov_b32 s26, 0x9b27acf1
	s_mov_b32 s27, 0x3fd24924
	s_delay_alu instid0(VALU_DEP_1) | instid1(SALU_CYCLE_1)
	;; [unrolled: 4-line block ×3, first 2 shown]
	v_fma_f64 v[148:149], v[144:145], v[148:149], s[26:27]
	s_delay_alu instid0(VALU_DEP_1) | instskip(SKIP_2) | instid1(VALU_DEP_3)
	v_fma_f64 v[144:145], v[144:145], v[148:149], s[24:25]
	v_ldexp_f64 v[148:149], v[133:134], 1
	v_add_f64 v[133:134], v[133:134], -v[146:147]
	v_mul_f64 v[144:145], v[150:151], v[144:145]
	v_cvt_f64_i32_e32 v[150:151], v166
	s_delay_alu instid0(VALU_DEP_3) | instskip(NEXT) | instid1(VALU_DEP_3)
	v_add_f64 v[131:132], v[131:132], -v[133:134]
	v_add_f64 v[146:147], v[148:149], v[144:145]
	s_delay_alu instid0(VALU_DEP_3) | instskip(NEXT) | instid1(VALU_DEP_3)
	v_mul_f64 v[160:161], v[150:151], s[18:19]
	v_ldexp_f64 v[131:132], v[131:132], 1
	s_delay_alu instid0(VALU_DEP_3) | instskip(NEXT) | instid1(VALU_DEP_3)
	v_add_f64 v[133:134], v[146:147], -v[148:149]
	v_fma_f64 v[148:149], v[150:151], s[18:19], -v[160:161]
	s_delay_alu instid0(VALU_DEP_2) | instskip(NEXT) | instid1(VALU_DEP_2)
	v_add_f64 v[133:134], v[144:145], -v[133:134]
	v_fma_f64 v[144:145], v[150:151], s[20:21], v[148:149]
	s_delay_alu instid0(VALU_DEP_2) | instskip(NEXT) | instid1(VALU_DEP_2)
	v_add_f64 v[131:132], v[131:132], v[133:134]
	v_add_f64 v[133:134], v[160:161], v[144:145]
	s_delay_alu instid0(VALU_DEP_2) | instskip(NEXT) | instid1(VALU_DEP_2)
	v_add_f64 v[148:149], v[146:147], v[131:132]
	v_add_f64 v[160:161], v[133:134], -v[160:161]
	s_delay_alu instid0(VALU_DEP_2) | instskip(SKIP_1) | instid1(VALU_DEP_3)
	v_add_f64 v[150:151], v[133:134], v[148:149]
	v_add_f64 v[146:147], v[148:149], -v[146:147]
	v_add_f64 v[144:145], v[144:145], -v[160:161]
	s_delay_alu instid0(VALU_DEP_3) | instskip(NEXT) | instid1(VALU_DEP_3)
	v_add_f64 v[162:163], v[150:151], -v[133:134]
	v_add_f64 v[131:132], v[131:132], -v[146:147]
	s_delay_alu instid0(VALU_DEP_2) | instskip(SKIP_1) | instid1(VALU_DEP_3)
	v_add_f64 v[164:165], v[150:151], -v[162:163]
	v_add_f64 v[146:147], v[148:149], -v[162:163]
	v_add_f64 v[148:149], v[144:145], v[131:132]
	s_delay_alu instid0(VALU_DEP_3) | instskip(NEXT) | instid1(VALU_DEP_1)
	v_add_f64 v[133:134], v[133:134], -v[164:165]
	v_add_f64 v[133:134], v[146:147], v[133:134]
	s_delay_alu instid0(VALU_DEP_3) | instskip(NEXT) | instid1(VALU_DEP_2)
	v_add_f64 v[146:147], v[148:149], -v[144:145]
	v_add_f64 v[133:134], v[148:149], v[133:134]
	s_delay_alu instid0(VALU_DEP_2) | instskip(SKIP_1) | instid1(VALU_DEP_3)
	v_add_f64 v[148:149], v[148:149], -v[146:147]
	v_add_f64 v[131:132], v[131:132], -v[146:147]
	v_add_f64 v[160:161], v[150:151], v[133:134]
	s_delay_alu instid0(VALU_DEP_3) | instskip(NEXT) | instid1(VALU_DEP_2)
	v_add_f64 v[144:145], v[144:145], -v[148:149]
	v_add_f64 v[146:147], v[160:161], -v[150:151]
	s_delay_alu instid0(VALU_DEP_2) | instskip(NEXT) | instid1(VALU_DEP_2)
	v_add_f64 v[131:132], v[131:132], v[144:145]
	v_add_f64 v[133:134], v[133:134], -v[146:147]
	s_delay_alu instid0(VALU_DEP_1) | instskip(NEXT) | instid1(VALU_DEP_1)
	v_add_f64 v[131:132], v[131:132], v[133:134]
	v_add_f64 v[131:132], v[160:161], v[131:132]
	s_delay_alu instid0(VALU_DEP_1) | instskip(SKIP_1) | instid1(VALU_DEP_2)
	v_dual_cndmask_b32 v131, v131, v6 :: v_dual_cndmask_b32 v132, v132, v7
	v_cmp_ngt_f64_e32 vcc_lo, -1.0, v[6:7]
	v_cndmask_b32_e32 v132, 0x7ff80000, v132, vcc_lo
	v_cmp_nge_f64_e32 vcc_lo, -1.0, v[6:7]
	s_delay_alu instid0(VALU_DEP_4) | instskip(SKIP_1) | instid1(VALU_DEP_4)
	v_cndmask_b32_e32 v131, 0, v131, vcc_lo
	v_cmp_neq_f64_e32 vcc_lo, -1.0, v[6:7]
	v_cndmask_b32_e32 v132, 0xfff00000, v132, vcc_lo
	s_delay_alu instid0(VALU_DEP_1)
	v_add_f64 v[6:7], v[8:9], v[131:132]
.LBB8_225:
	s_or_b32 exec_lo, exec_lo, s12
	s_delay_alu instid0(VALU_DEP_1) | instskip(SKIP_1) | instid1(VALU_DEP_2)
	v_max_f64 v[8:9], v[6:7], v[6:7]
	v_cmp_u_f64_e32 vcc_lo, v[6:7], v[6:7]
	v_min_f64 v[131:132], v[8:9], v[10:11]
	v_max_f64 v[8:9], v[8:9], v[10:11]
	s_delay_alu instid0(VALU_DEP_2) | instskip(NEXT) | instid1(VALU_DEP_2)
	v_dual_cndmask_b32 v10, v131, v6 :: v_dual_cndmask_b32 v11, v132, v7
	v_dual_cndmask_b32 v9, v9, v7 :: v_dual_cndmask_b32 v8, v8, v6
	s_delay_alu instid0(VALU_DEP_2) | instskip(NEXT) | instid1(VALU_DEP_3)
	v_cndmask_b32_e64 v131, v10, v112, s2
	v_cndmask_b32_e64 v132, v11, v113, s2
	s_delay_alu instid0(VALU_DEP_3) | instskip(NEXT) | instid1(VALU_DEP_4)
	v_cndmask_b32_e64 v11, v9, v113, s2
	v_cndmask_b32_e64 v10, v8, v112, s2
	v_dual_mov_b32 v9, v7 :: v_dual_mov_b32 v8, v6
	s_delay_alu instid0(VALU_DEP_4) | instskip(NEXT) | instid1(VALU_DEP_3)
	v_cmp_class_f64_e64 s1, v[131:132], 0x1f8
	v_cmp_neq_f64_e32 vcc_lo, v[131:132], v[10:11]
	s_delay_alu instid0(VALU_DEP_2) | instskip(NEXT) | instid1(SALU_CYCLE_1)
	s_or_b32 s1, vcc_lo, s1
	s_and_saveexec_b32 s2, s1
	s_cbranch_execz .LBB8_227
; %bb.226:
	v_add_f64 v[8:9], v[131:132], -v[10:11]
	s_mov_b32 s18, 0x652b82fe
	s_mov_b32 s19, 0x3ff71547
	;; [unrolled: 1-line block ×10, first 2 shown]
	s_delay_alu instid0(VALU_DEP_1) | instskip(SKIP_4) | instid1(VALU_DEP_3)
	v_mul_f64 v[131:132], v[8:9], s[18:19]
	s_mov_b32 s19, 0xbfe62e42
	s_mov_b32 s18, 0xfefa39ef
	v_cmp_nlt_f64_e32 vcc_lo, 0x40900000, v[8:9]
	v_cmp_ngt_f64_e64 s1, 0xc090cc00, v[8:9]
	v_rndne_f64_e32 v[131:132], v[131:132]
	s_delay_alu instid0(VALU_DEP_1) | instskip(SKIP_2) | instid1(VALU_DEP_2)
	v_fma_f64 v[133:134], v[131:132], s[18:19], v[8:9]
	v_cvt_i32_f64_e32 v146, v[131:132]
	s_mov_b32 s19, 0x3fe62e42
	v_fma_f64 v[133:134], v[131:132], s[20:21], v[133:134]
	s_mov_b32 s21, 0x3c7abc9e
	s_delay_alu instid0(VALU_DEP_1) | instskip(SKIP_4) | instid1(VALU_DEP_1)
	v_fma_f64 v[144:145], v[133:134], s[26:27], s[24:25]
	s_mov_b32 s24, 0x623fde64
	s_mov_b32 s25, 0x3ec71dee
	;; [unrolled: 1-line block ×4, first 2 shown]
	v_fma_f64 v[144:145], v[133:134], v[144:145], s[24:25]
	s_mov_b32 s24, 0x7c89e6b0
	s_mov_b32 s25, 0x3efa0199
	s_delay_alu instid0(VALU_DEP_1) | instid1(SALU_CYCLE_1)
	v_fma_f64 v[144:145], v[133:134], v[144:145], s[24:25]
	s_mov_b32 s24, 0x14761f6e
	s_mov_b32 s25, 0x3f2a01a0
	s_delay_alu instid0(VALU_DEP_1) | instid1(SALU_CYCLE_1)
	;; [unrolled: 4-line block ×7, first 2 shown]
	v_fma_f64 v[144:145], v[133:134], v[144:145], s[24:25]
	s_mov_b32 s25, 0x3fe55555
	s_mov_b32 s24, 0x55555555
	s_delay_alu instid0(VALU_DEP_1) | instskip(NEXT) | instid1(VALU_DEP_1)
	v_fma_f64 v[144:145], v[133:134], v[144:145], 1.0
	v_fma_f64 v[131:132], v[133:134], v[144:145], 1.0
	s_delay_alu instid0(VALU_DEP_1) | instskip(NEXT) | instid1(VALU_DEP_1)
	v_ldexp_f64 v[131:132], v[131:132], v146
	v_cndmask_b32_e32 v132, 0x7ff00000, v132, vcc_lo
	s_and_b32 vcc_lo, s1, vcc_lo
	s_delay_alu instid0(VALU_DEP_2) | instskip(NEXT) | instid1(VALU_DEP_2)
	v_cndmask_b32_e32 v8, 0, v131, vcc_lo
	v_cndmask_b32_e64 v9, 0, v132, s1
	s_delay_alu instid0(VALU_DEP_1) | instskip(NEXT) | instid1(VALU_DEP_1)
	v_add_f64 v[131:132], v[8:9], 1.0
	v_frexp_mant_f64_e32 v[133:134], v[131:132]
	v_frexp_exp_i32_f64_e32 v146, v[131:132]
	v_add_f64 v[144:145], v[131:132], -1.0
	s_delay_alu instid0(VALU_DEP_3) | instskip(SKIP_1) | instid1(VALU_DEP_2)
	v_cmp_gt_f64_e32 vcc_lo, s[24:25], v[133:134]
	s_mov_b32 s24, 0x55555780
	v_add_f64 v[133:134], v[144:145], -v[131:132]
	v_add_f64 v[144:145], v[8:9], -v[144:145]
	v_subrev_co_ci_u32_e32 v166, vcc_lo, 0, v146, vcc_lo
	s_delay_alu instid0(VALU_DEP_3) | instskip(SKIP_1) | instid1(VALU_DEP_3)
	v_add_f64 v[133:134], v[133:134], 1.0
	v_cmp_eq_f64_e32 vcc_lo, 0x7ff00000, v[8:9]
	v_sub_nc_u32_e32 v148, 0, v166
	s_delay_alu instid0(VALU_DEP_1) | instskip(NEXT) | instid1(VALU_DEP_4)
	v_ldexp_f64 v[131:132], v[131:132], v148
	v_add_f64 v[133:134], v[144:145], v[133:134]
	s_delay_alu instid0(VALU_DEP_2) | instskip(SKIP_1) | instid1(VALU_DEP_3)
	v_add_f64 v[146:147], v[131:132], 1.0
	v_add_f64 v[160:161], v[131:132], -1.0
	v_ldexp_f64 v[133:134], v[133:134], v148
	s_delay_alu instid0(VALU_DEP_3) | instskip(NEXT) | instid1(VALU_DEP_3)
	v_add_f64 v[144:145], v[146:147], -1.0
	v_add_f64 v[162:163], v[160:161], 1.0
	s_delay_alu instid0(VALU_DEP_2) | instskip(NEXT) | instid1(VALU_DEP_2)
	v_add_f64 v[144:145], v[131:132], -v[144:145]
	v_add_f64 v[131:132], v[131:132], -v[162:163]
	s_delay_alu instid0(VALU_DEP_2) | instskip(NEXT) | instid1(VALU_DEP_2)
	v_add_f64 v[144:145], v[133:134], v[144:145]
	v_add_f64 v[131:132], v[133:134], v[131:132]
	s_delay_alu instid0(VALU_DEP_2) | instskip(NEXT) | instid1(VALU_DEP_2)
	v_add_f64 v[148:149], v[146:147], v[144:145]
	v_add_f64 v[162:163], v[160:161], v[131:132]
	s_delay_alu instid0(VALU_DEP_2) | instskip(SKIP_1) | instid1(VALU_DEP_2)
	v_rcp_f64_e32 v[150:151], v[148:149]
	v_add_f64 v[146:147], v[148:149], -v[146:147]
	v_add_f64 v[160:161], v[162:163], -v[160:161]
	s_delay_alu instid0(VALU_DEP_2) | instskip(SKIP_3) | instid1(VALU_DEP_2)
	v_add_f64 v[144:145], v[144:145], -v[146:147]
	s_waitcnt_depctr 0xfff
	v_fma_f64 v[164:165], -v[148:149], v[150:151], 1.0
	v_add_f64 v[131:132], v[131:132], -v[160:161]
	v_fma_f64 v[150:151], v[164:165], v[150:151], v[150:151]
	s_delay_alu instid0(VALU_DEP_1) | instskip(NEXT) | instid1(VALU_DEP_1)
	v_fma_f64 v[133:134], -v[148:149], v[150:151], 1.0
	v_fma_f64 v[133:134], v[133:134], v[150:151], v[150:151]
	s_delay_alu instid0(VALU_DEP_1) | instskip(NEXT) | instid1(VALU_DEP_1)
	v_mul_f64 v[150:151], v[162:163], v[133:134]
	v_mul_f64 v[164:165], v[148:149], v[150:151]
	s_delay_alu instid0(VALU_DEP_1) | instskip(NEXT) | instid1(VALU_DEP_1)
	v_fma_f64 v[146:147], v[150:151], v[148:149], -v[164:165]
	v_fma_f64 v[146:147], v[150:151], v[144:145], v[146:147]
	s_delay_alu instid0(VALU_DEP_1) | instskip(NEXT) | instid1(VALU_DEP_1)
	v_add_f64 v[209:210], v[164:165], v[146:147]
	v_add_f64 v[211:212], v[162:163], -v[209:210]
	v_add_f64 v[160:161], v[209:210], -v[164:165]
	s_delay_alu instid0(VALU_DEP_2) | instskip(NEXT) | instid1(VALU_DEP_2)
	v_add_f64 v[162:163], v[162:163], -v[211:212]
	v_add_f64 v[146:147], v[160:161], -v[146:147]
	s_delay_alu instid0(VALU_DEP_2) | instskip(NEXT) | instid1(VALU_DEP_1)
	v_add_f64 v[162:163], v[162:163], -v[209:210]
	v_add_f64 v[131:132], v[131:132], v[162:163]
	s_delay_alu instid0(VALU_DEP_1) | instskip(NEXT) | instid1(VALU_DEP_1)
	v_add_f64 v[131:132], v[146:147], v[131:132]
	v_add_f64 v[146:147], v[211:212], v[131:132]
	s_delay_alu instid0(VALU_DEP_1) | instskip(SKIP_1) | instid1(VALU_DEP_2)
	v_mul_f64 v[160:161], v[133:134], v[146:147]
	v_add_f64 v[209:210], v[211:212], -v[146:147]
	v_mul_f64 v[162:163], v[148:149], v[160:161]
	s_delay_alu instid0(VALU_DEP_2) | instskip(NEXT) | instid1(VALU_DEP_2)
	v_add_f64 v[131:132], v[131:132], v[209:210]
	v_fma_f64 v[148:149], v[160:161], v[148:149], -v[162:163]
	s_delay_alu instid0(VALU_DEP_1) | instskip(NEXT) | instid1(VALU_DEP_1)
	v_fma_f64 v[144:145], v[160:161], v[144:145], v[148:149]
	v_add_f64 v[148:149], v[162:163], v[144:145]
	s_delay_alu instid0(VALU_DEP_1) | instskip(SKIP_1) | instid1(VALU_DEP_2)
	v_add_f64 v[164:165], v[146:147], -v[148:149]
	v_add_f64 v[162:163], v[148:149], -v[162:163]
	;; [unrolled: 1-line block ×3, first 2 shown]
	s_delay_alu instid0(VALU_DEP_2) | instskip(NEXT) | instid1(VALU_DEP_2)
	v_add_f64 v[144:145], v[162:163], -v[144:145]
	v_add_f64 v[146:147], v[146:147], -v[148:149]
	s_delay_alu instid0(VALU_DEP_1) | instskip(SKIP_1) | instid1(VALU_DEP_2)
	v_add_f64 v[131:132], v[131:132], v[146:147]
	v_add_f64 v[146:147], v[150:151], v[160:161]
	;; [unrolled: 1-line block ×3, first 2 shown]
	s_delay_alu instid0(VALU_DEP_2) | instskip(NEXT) | instid1(VALU_DEP_2)
	v_add_f64 v[144:145], v[146:147], -v[150:151]
	v_add_f64 v[131:132], v[164:165], v[131:132]
	s_delay_alu instid0(VALU_DEP_2) | instskip(NEXT) | instid1(VALU_DEP_2)
	v_add_f64 v[144:145], v[160:161], -v[144:145]
	v_mul_f64 v[131:132], v[133:134], v[131:132]
	s_delay_alu instid0(VALU_DEP_1) | instskip(NEXT) | instid1(VALU_DEP_1)
	v_add_f64 v[131:132], v[144:145], v[131:132]
	v_add_f64 v[133:134], v[146:147], v[131:132]
	s_delay_alu instid0(VALU_DEP_1) | instskip(NEXT) | instid1(VALU_DEP_1)
	v_mul_f64 v[144:145], v[133:134], v[133:134]
	v_fma_f64 v[148:149], v[144:145], s[28:29], s[26:27]
	s_mov_b32 s26, 0xd7f4df2e
	s_mov_b32 s27, 0x3fc7474d
	v_mul_f64 v[150:151], v[133:134], v[144:145]
	s_delay_alu instid0(VALU_DEP_2)
	v_fma_f64 v[148:149], v[144:145], v[148:149], s[26:27]
	s_mov_b32 s26, 0x16291751
	s_mov_b32 s27, 0x3fcc71c0
	s_delay_alu instid0(VALU_DEP_1) | instid1(SALU_CYCLE_1)
	v_fma_f64 v[148:149], v[144:145], v[148:149], s[26:27]
	s_mov_b32 s26, 0x9b27acf1
	s_mov_b32 s27, 0x3fd24924
	s_delay_alu instid0(VALU_DEP_1) | instid1(SALU_CYCLE_1)
	;; [unrolled: 4-line block ×3, first 2 shown]
	v_fma_f64 v[148:149], v[144:145], v[148:149], s[26:27]
	s_delay_alu instid0(VALU_DEP_1) | instskip(SKIP_2) | instid1(VALU_DEP_3)
	v_fma_f64 v[144:145], v[144:145], v[148:149], s[24:25]
	v_ldexp_f64 v[148:149], v[133:134], 1
	v_add_f64 v[133:134], v[133:134], -v[146:147]
	v_mul_f64 v[144:145], v[150:151], v[144:145]
	v_cvt_f64_i32_e32 v[150:151], v166
	s_delay_alu instid0(VALU_DEP_3) | instskip(NEXT) | instid1(VALU_DEP_3)
	v_add_f64 v[131:132], v[131:132], -v[133:134]
	v_add_f64 v[146:147], v[148:149], v[144:145]
	s_delay_alu instid0(VALU_DEP_3) | instskip(NEXT) | instid1(VALU_DEP_3)
	v_mul_f64 v[160:161], v[150:151], s[18:19]
	v_ldexp_f64 v[131:132], v[131:132], 1
	s_delay_alu instid0(VALU_DEP_3) | instskip(NEXT) | instid1(VALU_DEP_3)
	v_add_f64 v[133:134], v[146:147], -v[148:149]
	v_fma_f64 v[148:149], v[150:151], s[18:19], -v[160:161]
	s_delay_alu instid0(VALU_DEP_2) | instskip(NEXT) | instid1(VALU_DEP_2)
	v_add_f64 v[133:134], v[144:145], -v[133:134]
	v_fma_f64 v[144:145], v[150:151], s[20:21], v[148:149]
	s_delay_alu instid0(VALU_DEP_2) | instskip(NEXT) | instid1(VALU_DEP_2)
	v_add_f64 v[131:132], v[131:132], v[133:134]
	v_add_f64 v[133:134], v[160:161], v[144:145]
	s_delay_alu instid0(VALU_DEP_2) | instskip(NEXT) | instid1(VALU_DEP_2)
	v_add_f64 v[148:149], v[146:147], v[131:132]
	v_add_f64 v[160:161], v[133:134], -v[160:161]
	s_delay_alu instid0(VALU_DEP_2) | instskip(SKIP_1) | instid1(VALU_DEP_3)
	v_add_f64 v[150:151], v[133:134], v[148:149]
	v_add_f64 v[146:147], v[148:149], -v[146:147]
	v_add_f64 v[144:145], v[144:145], -v[160:161]
	s_delay_alu instid0(VALU_DEP_3) | instskip(NEXT) | instid1(VALU_DEP_3)
	v_add_f64 v[162:163], v[150:151], -v[133:134]
	v_add_f64 v[131:132], v[131:132], -v[146:147]
	s_delay_alu instid0(VALU_DEP_2) | instskip(SKIP_1) | instid1(VALU_DEP_3)
	v_add_f64 v[164:165], v[150:151], -v[162:163]
	v_add_f64 v[146:147], v[148:149], -v[162:163]
	v_add_f64 v[148:149], v[144:145], v[131:132]
	s_delay_alu instid0(VALU_DEP_3) | instskip(NEXT) | instid1(VALU_DEP_1)
	v_add_f64 v[133:134], v[133:134], -v[164:165]
	v_add_f64 v[133:134], v[146:147], v[133:134]
	s_delay_alu instid0(VALU_DEP_3) | instskip(NEXT) | instid1(VALU_DEP_2)
	v_add_f64 v[146:147], v[148:149], -v[144:145]
	v_add_f64 v[133:134], v[148:149], v[133:134]
	s_delay_alu instid0(VALU_DEP_2) | instskip(SKIP_1) | instid1(VALU_DEP_3)
	v_add_f64 v[148:149], v[148:149], -v[146:147]
	v_add_f64 v[131:132], v[131:132], -v[146:147]
	v_add_f64 v[160:161], v[150:151], v[133:134]
	s_delay_alu instid0(VALU_DEP_3) | instskip(NEXT) | instid1(VALU_DEP_2)
	v_add_f64 v[144:145], v[144:145], -v[148:149]
	v_add_f64 v[146:147], v[160:161], -v[150:151]
	s_delay_alu instid0(VALU_DEP_2) | instskip(NEXT) | instid1(VALU_DEP_2)
	v_add_f64 v[131:132], v[131:132], v[144:145]
	v_add_f64 v[133:134], v[133:134], -v[146:147]
	s_delay_alu instid0(VALU_DEP_1) | instskip(NEXT) | instid1(VALU_DEP_1)
	v_add_f64 v[131:132], v[131:132], v[133:134]
	v_add_f64 v[131:132], v[160:161], v[131:132]
	s_delay_alu instid0(VALU_DEP_1) | instskip(SKIP_1) | instid1(VALU_DEP_2)
	v_dual_cndmask_b32 v131, v131, v8 :: v_dual_cndmask_b32 v132, v132, v9
	v_cmp_ngt_f64_e32 vcc_lo, -1.0, v[8:9]
	v_cndmask_b32_e32 v132, 0x7ff80000, v132, vcc_lo
	v_cmp_nge_f64_e32 vcc_lo, -1.0, v[8:9]
	s_delay_alu instid0(VALU_DEP_4) | instskip(SKIP_1) | instid1(VALU_DEP_4)
	v_cndmask_b32_e32 v131, 0, v131, vcc_lo
	v_cmp_neq_f64_e32 vcc_lo, -1.0, v[8:9]
	v_cndmask_b32_e32 v132, 0xfff00000, v132, vcc_lo
	s_delay_alu instid0(VALU_DEP_1)
	v_add_f64 v[8:9], v[10:11], v[131:132]
.LBB8_227:
	s_or_b32 exec_lo, exec_lo, s2
	s_delay_alu instid0(VALU_DEP_1) | instskip(SKIP_1) | instid1(VALU_DEP_2)
	v_max_f64 v[10:11], v[8:9], v[8:9]
	v_cmp_u_f64_e32 vcc_lo, v[8:9], v[8:9]
	v_min_f64 v[131:132], v[10:11], v[12:13]
	v_max_f64 v[10:11], v[10:11], v[12:13]
	s_delay_alu instid0(VALU_DEP_2) | instskip(NEXT) | instid1(VALU_DEP_2)
	v_dual_cndmask_b32 v12, v131, v8 :: v_dual_cndmask_b32 v13, v132, v9
	v_dual_cndmask_b32 v11, v11, v9 :: v_dual_cndmask_b32 v10, v10, v8
	s_delay_alu instid0(VALU_DEP_2) | instskip(NEXT) | instid1(VALU_DEP_3)
	v_cndmask_b32_e64 v131, v12, v114, s3
	v_cndmask_b32_e64 v132, v13, v115, s3
	s_delay_alu instid0(VALU_DEP_3) | instskip(NEXT) | instid1(VALU_DEP_4)
	v_cndmask_b32_e64 v13, v11, v115, s3
	v_cndmask_b32_e64 v12, v10, v114, s3
	v_dual_mov_b32 v11, v9 :: v_dual_mov_b32 v10, v8
	s_delay_alu instid0(VALU_DEP_4) | instskip(NEXT) | instid1(VALU_DEP_3)
	v_cmp_class_f64_e64 s1, v[131:132], 0x1f8
	v_cmp_neq_f64_e32 vcc_lo, v[131:132], v[12:13]
	s_delay_alu instid0(VALU_DEP_2) | instskip(NEXT) | instid1(SALU_CYCLE_1)
	s_or_b32 s1, vcc_lo, s1
	s_and_saveexec_b32 s12, s1
	s_cbranch_execz .LBB8_229
; %bb.228:
	v_add_f64 v[10:11], v[131:132], -v[12:13]
	s_mov_b32 s2, 0x652b82fe
	s_mov_b32 s3, 0x3ff71547
	;; [unrolled: 1-line block ×10, first 2 shown]
	s_delay_alu instid0(VALU_DEP_1) | instskip(SKIP_4) | instid1(VALU_DEP_3)
	v_mul_f64 v[131:132], v[10:11], s[2:3]
	s_mov_b32 s3, 0xbfe62e42
	s_mov_b32 s2, 0xfefa39ef
	v_cmp_nlt_f64_e32 vcc_lo, 0x40900000, v[10:11]
	v_cmp_ngt_f64_e64 s1, 0xc090cc00, v[10:11]
	v_rndne_f64_e32 v[131:132], v[131:132]
	s_delay_alu instid0(VALU_DEP_1) | instskip(SKIP_2) | instid1(VALU_DEP_2)
	v_fma_f64 v[133:134], v[131:132], s[2:3], v[10:11]
	v_cvt_i32_f64_e32 v146, v[131:132]
	s_mov_b32 s3, 0x3fe62e42
	v_fma_f64 v[133:134], v[131:132], s[18:19], v[133:134]
	s_mov_b32 s19, 0x3c7abc9e
	s_delay_alu instid0(VALU_DEP_1) | instskip(SKIP_4) | instid1(VALU_DEP_1)
	v_fma_f64 v[144:145], v[133:134], s[24:25], s[20:21]
	s_mov_b32 s20, 0x623fde64
	s_mov_b32 s21, 0x3ec71dee
	;; [unrolled: 1-line block ×4, first 2 shown]
	v_fma_f64 v[144:145], v[133:134], v[144:145], s[20:21]
	s_mov_b32 s20, 0x7c89e6b0
	s_mov_b32 s21, 0x3efa0199
	s_delay_alu instid0(VALU_DEP_1) | instid1(SALU_CYCLE_1)
	v_fma_f64 v[144:145], v[133:134], v[144:145], s[20:21]
	s_mov_b32 s20, 0x14761f6e
	s_mov_b32 s21, 0x3f2a01a0
	s_delay_alu instid0(VALU_DEP_1) | instid1(SALU_CYCLE_1)
	;; [unrolled: 4-line block ×7, first 2 shown]
	v_fma_f64 v[144:145], v[133:134], v[144:145], s[20:21]
	s_mov_b32 s21, 0x3fe55555
	s_mov_b32 s20, 0x55555555
	s_delay_alu instid0(VALU_DEP_1) | instskip(NEXT) | instid1(VALU_DEP_1)
	v_fma_f64 v[144:145], v[133:134], v[144:145], 1.0
	v_fma_f64 v[131:132], v[133:134], v[144:145], 1.0
	s_delay_alu instid0(VALU_DEP_1) | instskip(NEXT) | instid1(VALU_DEP_1)
	v_ldexp_f64 v[131:132], v[131:132], v146
	v_cndmask_b32_e32 v132, 0x7ff00000, v132, vcc_lo
	s_and_b32 vcc_lo, s1, vcc_lo
	s_delay_alu instid0(VALU_DEP_2) | instskip(NEXT) | instid1(VALU_DEP_2)
	v_cndmask_b32_e32 v10, 0, v131, vcc_lo
	v_cndmask_b32_e64 v11, 0, v132, s1
	s_delay_alu instid0(VALU_DEP_1) | instskip(NEXT) | instid1(VALU_DEP_1)
	v_add_f64 v[131:132], v[10:11], 1.0
	v_frexp_mant_f64_e32 v[133:134], v[131:132]
	v_frexp_exp_i32_f64_e32 v146, v[131:132]
	v_add_f64 v[144:145], v[131:132], -1.0
	s_delay_alu instid0(VALU_DEP_3) | instskip(SKIP_1) | instid1(VALU_DEP_2)
	v_cmp_gt_f64_e32 vcc_lo, s[20:21], v[133:134]
	s_mov_b32 s20, 0x55555780
	v_add_f64 v[133:134], v[144:145], -v[131:132]
	v_add_f64 v[144:145], v[10:11], -v[144:145]
	v_subrev_co_ci_u32_e32 v166, vcc_lo, 0, v146, vcc_lo
	s_delay_alu instid0(VALU_DEP_3) | instskip(SKIP_1) | instid1(VALU_DEP_3)
	v_add_f64 v[133:134], v[133:134], 1.0
	v_cmp_eq_f64_e32 vcc_lo, 0x7ff00000, v[10:11]
	v_sub_nc_u32_e32 v148, 0, v166
	s_delay_alu instid0(VALU_DEP_1) | instskip(NEXT) | instid1(VALU_DEP_4)
	v_ldexp_f64 v[131:132], v[131:132], v148
	v_add_f64 v[133:134], v[144:145], v[133:134]
	s_delay_alu instid0(VALU_DEP_2) | instskip(SKIP_1) | instid1(VALU_DEP_3)
	v_add_f64 v[146:147], v[131:132], 1.0
	v_add_f64 v[160:161], v[131:132], -1.0
	v_ldexp_f64 v[133:134], v[133:134], v148
	s_delay_alu instid0(VALU_DEP_3) | instskip(NEXT) | instid1(VALU_DEP_3)
	v_add_f64 v[144:145], v[146:147], -1.0
	v_add_f64 v[162:163], v[160:161], 1.0
	s_delay_alu instid0(VALU_DEP_2) | instskip(NEXT) | instid1(VALU_DEP_2)
	v_add_f64 v[144:145], v[131:132], -v[144:145]
	v_add_f64 v[131:132], v[131:132], -v[162:163]
	s_delay_alu instid0(VALU_DEP_2) | instskip(NEXT) | instid1(VALU_DEP_2)
	v_add_f64 v[144:145], v[133:134], v[144:145]
	v_add_f64 v[131:132], v[133:134], v[131:132]
	s_delay_alu instid0(VALU_DEP_2) | instskip(NEXT) | instid1(VALU_DEP_2)
	v_add_f64 v[148:149], v[146:147], v[144:145]
	v_add_f64 v[162:163], v[160:161], v[131:132]
	s_delay_alu instid0(VALU_DEP_2) | instskip(SKIP_1) | instid1(VALU_DEP_2)
	v_rcp_f64_e32 v[150:151], v[148:149]
	v_add_f64 v[146:147], v[148:149], -v[146:147]
	v_add_f64 v[160:161], v[162:163], -v[160:161]
	s_delay_alu instid0(VALU_DEP_2) | instskip(SKIP_3) | instid1(VALU_DEP_2)
	v_add_f64 v[144:145], v[144:145], -v[146:147]
	s_waitcnt_depctr 0xfff
	v_fma_f64 v[164:165], -v[148:149], v[150:151], 1.0
	v_add_f64 v[131:132], v[131:132], -v[160:161]
	v_fma_f64 v[150:151], v[164:165], v[150:151], v[150:151]
	s_delay_alu instid0(VALU_DEP_1) | instskip(NEXT) | instid1(VALU_DEP_1)
	v_fma_f64 v[133:134], -v[148:149], v[150:151], 1.0
	v_fma_f64 v[133:134], v[133:134], v[150:151], v[150:151]
	s_delay_alu instid0(VALU_DEP_1) | instskip(NEXT) | instid1(VALU_DEP_1)
	v_mul_f64 v[150:151], v[162:163], v[133:134]
	v_mul_f64 v[164:165], v[148:149], v[150:151]
	s_delay_alu instid0(VALU_DEP_1) | instskip(NEXT) | instid1(VALU_DEP_1)
	v_fma_f64 v[146:147], v[150:151], v[148:149], -v[164:165]
	v_fma_f64 v[146:147], v[150:151], v[144:145], v[146:147]
	s_delay_alu instid0(VALU_DEP_1) | instskip(NEXT) | instid1(VALU_DEP_1)
	v_add_f64 v[209:210], v[164:165], v[146:147]
	v_add_f64 v[211:212], v[162:163], -v[209:210]
	v_add_f64 v[160:161], v[209:210], -v[164:165]
	s_delay_alu instid0(VALU_DEP_2) | instskip(NEXT) | instid1(VALU_DEP_2)
	v_add_f64 v[162:163], v[162:163], -v[211:212]
	v_add_f64 v[146:147], v[160:161], -v[146:147]
	s_delay_alu instid0(VALU_DEP_2) | instskip(NEXT) | instid1(VALU_DEP_1)
	v_add_f64 v[162:163], v[162:163], -v[209:210]
	v_add_f64 v[131:132], v[131:132], v[162:163]
	s_delay_alu instid0(VALU_DEP_1) | instskip(NEXT) | instid1(VALU_DEP_1)
	v_add_f64 v[131:132], v[146:147], v[131:132]
	v_add_f64 v[146:147], v[211:212], v[131:132]
	s_delay_alu instid0(VALU_DEP_1) | instskip(SKIP_1) | instid1(VALU_DEP_2)
	v_mul_f64 v[160:161], v[133:134], v[146:147]
	v_add_f64 v[209:210], v[211:212], -v[146:147]
	v_mul_f64 v[162:163], v[148:149], v[160:161]
	s_delay_alu instid0(VALU_DEP_2) | instskip(NEXT) | instid1(VALU_DEP_2)
	v_add_f64 v[131:132], v[131:132], v[209:210]
	v_fma_f64 v[148:149], v[160:161], v[148:149], -v[162:163]
	s_delay_alu instid0(VALU_DEP_1) | instskip(NEXT) | instid1(VALU_DEP_1)
	v_fma_f64 v[144:145], v[160:161], v[144:145], v[148:149]
	v_add_f64 v[148:149], v[162:163], v[144:145]
	s_delay_alu instid0(VALU_DEP_1) | instskip(SKIP_1) | instid1(VALU_DEP_2)
	v_add_f64 v[164:165], v[146:147], -v[148:149]
	v_add_f64 v[162:163], v[148:149], -v[162:163]
	;; [unrolled: 1-line block ×3, first 2 shown]
	s_delay_alu instid0(VALU_DEP_2) | instskip(NEXT) | instid1(VALU_DEP_2)
	v_add_f64 v[144:145], v[162:163], -v[144:145]
	v_add_f64 v[146:147], v[146:147], -v[148:149]
	s_delay_alu instid0(VALU_DEP_1) | instskip(SKIP_1) | instid1(VALU_DEP_2)
	v_add_f64 v[131:132], v[131:132], v[146:147]
	v_add_f64 v[146:147], v[150:151], v[160:161]
	;; [unrolled: 1-line block ×3, first 2 shown]
	s_delay_alu instid0(VALU_DEP_2) | instskip(NEXT) | instid1(VALU_DEP_2)
	v_add_f64 v[144:145], v[146:147], -v[150:151]
	v_add_f64 v[131:132], v[164:165], v[131:132]
	s_delay_alu instid0(VALU_DEP_2) | instskip(NEXT) | instid1(VALU_DEP_2)
	v_add_f64 v[144:145], v[160:161], -v[144:145]
	v_mul_f64 v[131:132], v[133:134], v[131:132]
	s_delay_alu instid0(VALU_DEP_1) | instskip(NEXT) | instid1(VALU_DEP_1)
	v_add_f64 v[131:132], v[144:145], v[131:132]
	v_add_f64 v[133:134], v[146:147], v[131:132]
	s_delay_alu instid0(VALU_DEP_1) | instskip(NEXT) | instid1(VALU_DEP_1)
	v_mul_f64 v[144:145], v[133:134], v[133:134]
	v_fma_f64 v[148:149], v[144:145], s[26:27], s[24:25]
	s_mov_b32 s24, 0xd7f4df2e
	s_mov_b32 s25, 0x3fc7474d
	v_mul_f64 v[150:151], v[133:134], v[144:145]
	s_delay_alu instid0(VALU_DEP_2)
	v_fma_f64 v[148:149], v[144:145], v[148:149], s[24:25]
	s_mov_b32 s24, 0x16291751
	s_mov_b32 s25, 0x3fcc71c0
	s_delay_alu instid0(VALU_DEP_1) | instid1(SALU_CYCLE_1)
	v_fma_f64 v[148:149], v[144:145], v[148:149], s[24:25]
	s_mov_b32 s24, 0x9b27acf1
	s_mov_b32 s25, 0x3fd24924
	s_delay_alu instid0(VALU_DEP_1) | instid1(SALU_CYCLE_1)
	;; [unrolled: 4-line block ×3, first 2 shown]
	v_fma_f64 v[148:149], v[144:145], v[148:149], s[24:25]
	s_delay_alu instid0(VALU_DEP_1) | instskip(SKIP_2) | instid1(VALU_DEP_3)
	v_fma_f64 v[144:145], v[144:145], v[148:149], s[20:21]
	v_ldexp_f64 v[148:149], v[133:134], 1
	v_add_f64 v[133:134], v[133:134], -v[146:147]
	v_mul_f64 v[144:145], v[150:151], v[144:145]
	v_cvt_f64_i32_e32 v[150:151], v166
	s_delay_alu instid0(VALU_DEP_3) | instskip(NEXT) | instid1(VALU_DEP_3)
	v_add_f64 v[131:132], v[131:132], -v[133:134]
	v_add_f64 v[146:147], v[148:149], v[144:145]
	s_delay_alu instid0(VALU_DEP_3) | instskip(NEXT) | instid1(VALU_DEP_3)
	v_mul_f64 v[160:161], v[150:151], s[2:3]
	v_ldexp_f64 v[131:132], v[131:132], 1
	s_delay_alu instid0(VALU_DEP_3) | instskip(NEXT) | instid1(VALU_DEP_3)
	v_add_f64 v[133:134], v[146:147], -v[148:149]
	v_fma_f64 v[148:149], v[150:151], s[2:3], -v[160:161]
	s_delay_alu instid0(VALU_DEP_2) | instskip(NEXT) | instid1(VALU_DEP_2)
	v_add_f64 v[133:134], v[144:145], -v[133:134]
	v_fma_f64 v[144:145], v[150:151], s[18:19], v[148:149]
	s_delay_alu instid0(VALU_DEP_2) | instskip(NEXT) | instid1(VALU_DEP_2)
	v_add_f64 v[131:132], v[131:132], v[133:134]
	v_add_f64 v[133:134], v[160:161], v[144:145]
	s_delay_alu instid0(VALU_DEP_2) | instskip(NEXT) | instid1(VALU_DEP_2)
	v_add_f64 v[148:149], v[146:147], v[131:132]
	v_add_f64 v[160:161], v[133:134], -v[160:161]
	s_delay_alu instid0(VALU_DEP_2) | instskip(SKIP_1) | instid1(VALU_DEP_3)
	v_add_f64 v[150:151], v[133:134], v[148:149]
	v_add_f64 v[146:147], v[148:149], -v[146:147]
	v_add_f64 v[144:145], v[144:145], -v[160:161]
	s_delay_alu instid0(VALU_DEP_3) | instskip(NEXT) | instid1(VALU_DEP_3)
	v_add_f64 v[162:163], v[150:151], -v[133:134]
	v_add_f64 v[131:132], v[131:132], -v[146:147]
	s_delay_alu instid0(VALU_DEP_2) | instskip(SKIP_1) | instid1(VALU_DEP_3)
	v_add_f64 v[164:165], v[150:151], -v[162:163]
	v_add_f64 v[146:147], v[148:149], -v[162:163]
	v_add_f64 v[148:149], v[144:145], v[131:132]
	s_delay_alu instid0(VALU_DEP_3) | instskip(NEXT) | instid1(VALU_DEP_1)
	v_add_f64 v[133:134], v[133:134], -v[164:165]
	v_add_f64 v[133:134], v[146:147], v[133:134]
	s_delay_alu instid0(VALU_DEP_3) | instskip(NEXT) | instid1(VALU_DEP_2)
	v_add_f64 v[146:147], v[148:149], -v[144:145]
	v_add_f64 v[133:134], v[148:149], v[133:134]
	s_delay_alu instid0(VALU_DEP_2) | instskip(SKIP_1) | instid1(VALU_DEP_3)
	v_add_f64 v[148:149], v[148:149], -v[146:147]
	v_add_f64 v[131:132], v[131:132], -v[146:147]
	v_add_f64 v[160:161], v[150:151], v[133:134]
	s_delay_alu instid0(VALU_DEP_3) | instskip(NEXT) | instid1(VALU_DEP_2)
	v_add_f64 v[144:145], v[144:145], -v[148:149]
	v_add_f64 v[146:147], v[160:161], -v[150:151]
	s_delay_alu instid0(VALU_DEP_2) | instskip(NEXT) | instid1(VALU_DEP_2)
	v_add_f64 v[131:132], v[131:132], v[144:145]
	v_add_f64 v[133:134], v[133:134], -v[146:147]
	s_delay_alu instid0(VALU_DEP_1) | instskip(NEXT) | instid1(VALU_DEP_1)
	v_add_f64 v[131:132], v[131:132], v[133:134]
	v_add_f64 v[131:132], v[160:161], v[131:132]
	s_delay_alu instid0(VALU_DEP_1) | instskip(SKIP_1) | instid1(VALU_DEP_2)
	v_dual_cndmask_b32 v131, v131, v10 :: v_dual_cndmask_b32 v132, v132, v11
	v_cmp_ngt_f64_e32 vcc_lo, -1.0, v[10:11]
	v_cndmask_b32_e32 v132, 0x7ff80000, v132, vcc_lo
	v_cmp_nge_f64_e32 vcc_lo, -1.0, v[10:11]
	s_delay_alu instid0(VALU_DEP_4) | instskip(SKIP_1) | instid1(VALU_DEP_4)
	v_cndmask_b32_e32 v131, 0, v131, vcc_lo
	v_cmp_neq_f64_e32 vcc_lo, -1.0, v[10:11]
	v_cndmask_b32_e32 v132, 0xfff00000, v132, vcc_lo
	s_delay_alu instid0(VALU_DEP_1)
	v_add_f64 v[10:11], v[12:13], v[131:132]
.LBB8_229:
	s_or_b32 exec_lo, exec_lo, s12
	s_delay_alu instid0(VALU_DEP_1) | instskip(SKIP_1) | instid1(VALU_DEP_2)
	v_max_f64 v[12:13], v[10:11], v[10:11]
	v_cmp_u_f64_e32 vcc_lo, v[10:11], v[10:11]
	v_min_f64 v[131:132], v[12:13], v[14:15]
	v_max_f64 v[12:13], v[12:13], v[14:15]
	s_delay_alu instid0(VALU_DEP_2) | instskip(NEXT) | instid1(VALU_DEP_2)
	v_dual_cndmask_b32 v14, v131, v10 :: v_dual_cndmask_b32 v15, v132, v11
	v_dual_cndmask_b32 v13, v13, v11 :: v_dual_cndmask_b32 v12, v12, v10
	s_delay_alu instid0(VALU_DEP_2) | instskip(NEXT) | instid1(VALU_DEP_3)
	v_cndmask_b32_e64 v131, v14, v100, s4
	v_cndmask_b32_e64 v132, v15, v101, s4
	s_delay_alu instid0(VALU_DEP_3) | instskip(NEXT) | instid1(VALU_DEP_4)
	v_cndmask_b32_e64 v15, v13, v101, s4
	v_cndmask_b32_e64 v14, v12, v100, s4
	v_dual_mov_b32 v13, v11 :: v_dual_mov_b32 v12, v10
	s_delay_alu instid0(VALU_DEP_4) | instskip(NEXT) | instid1(VALU_DEP_3)
	v_cmp_class_f64_e64 s1, v[131:132], 0x1f8
	v_cmp_neq_f64_e32 vcc_lo, v[131:132], v[14:15]
	s_delay_alu instid0(VALU_DEP_2) | instskip(NEXT) | instid1(SALU_CYCLE_1)
	s_or_b32 s1, vcc_lo, s1
	s_and_saveexec_b32 s4, s1
	s_cbranch_execz .LBB8_231
; %bb.230:
	v_add_f64 v[12:13], v[131:132], -v[14:15]
	s_mov_b32 s2, 0x652b82fe
	s_mov_b32 s3, 0x3ff71547
	;; [unrolled: 1-line block ×10, first 2 shown]
	s_delay_alu instid0(VALU_DEP_1) | instskip(SKIP_4) | instid1(VALU_DEP_3)
	v_mul_f64 v[131:132], v[12:13], s[2:3]
	s_mov_b32 s3, 0xbfe62e42
	s_mov_b32 s2, 0xfefa39ef
	v_cmp_nlt_f64_e32 vcc_lo, 0x40900000, v[12:13]
	v_cmp_ngt_f64_e64 s1, 0xc090cc00, v[12:13]
	v_rndne_f64_e32 v[131:132], v[131:132]
	s_delay_alu instid0(VALU_DEP_1) | instskip(SKIP_2) | instid1(VALU_DEP_2)
	v_fma_f64 v[133:134], v[131:132], s[2:3], v[12:13]
	v_cvt_i32_f64_e32 v146, v[131:132]
	s_mov_b32 s3, 0x3fe62e42
	v_fma_f64 v[133:134], v[131:132], s[18:19], v[133:134]
	s_mov_b32 s19, 0x3c7abc9e
	s_delay_alu instid0(VALU_DEP_1) | instskip(SKIP_4) | instid1(VALU_DEP_1)
	v_fma_f64 v[144:145], v[133:134], s[24:25], s[20:21]
	s_mov_b32 s20, 0x623fde64
	s_mov_b32 s21, 0x3ec71dee
	;; [unrolled: 1-line block ×4, first 2 shown]
	v_fma_f64 v[144:145], v[133:134], v[144:145], s[20:21]
	s_mov_b32 s20, 0x7c89e6b0
	s_mov_b32 s21, 0x3efa0199
	s_delay_alu instid0(VALU_DEP_1) | instid1(SALU_CYCLE_1)
	v_fma_f64 v[144:145], v[133:134], v[144:145], s[20:21]
	s_mov_b32 s20, 0x14761f6e
	s_mov_b32 s21, 0x3f2a01a0
	s_delay_alu instid0(VALU_DEP_1) | instid1(SALU_CYCLE_1)
	;; [unrolled: 4-line block ×7, first 2 shown]
	v_fma_f64 v[144:145], v[133:134], v[144:145], s[20:21]
	s_mov_b32 s21, 0x3fe55555
	s_mov_b32 s20, 0x55555555
	s_delay_alu instid0(VALU_DEP_1) | instskip(NEXT) | instid1(VALU_DEP_1)
	v_fma_f64 v[144:145], v[133:134], v[144:145], 1.0
	v_fma_f64 v[131:132], v[133:134], v[144:145], 1.0
	s_delay_alu instid0(VALU_DEP_1) | instskip(NEXT) | instid1(VALU_DEP_1)
	v_ldexp_f64 v[131:132], v[131:132], v146
	v_cndmask_b32_e32 v132, 0x7ff00000, v132, vcc_lo
	s_and_b32 vcc_lo, s1, vcc_lo
	s_delay_alu instid0(VALU_DEP_2) | instskip(NEXT) | instid1(VALU_DEP_2)
	v_cndmask_b32_e32 v12, 0, v131, vcc_lo
	v_cndmask_b32_e64 v13, 0, v132, s1
	s_delay_alu instid0(VALU_DEP_1) | instskip(NEXT) | instid1(VALU_DEP_1)
	v_add_f64 v[131:132], v[12:13], 1.0
	v_frexp_mant_f64_e32 v[133:134], v[131:132]
	v_frexp_exp_i32_f64_e32 v146, v[131:132]
	v_add_f64 v[144:145], v[131:132], -1.0
	s_delay_alu instid0(VALU_DEP_3) | instskip(SKIP_1) | instid1(VALU_DEP_2)
	v_cmp_gt_f64_e32 vcc_lo, s[20:21], v[133:134]
	s_mov_b32 s20, 0x55555780
	v_add_f64 v[133:134], v[144:145], -v[131:132]
	v_add_f64 v[144:145], v[12:13], -v[144:145]
	v_subrev_co_ci_u32_e32 v166, vcc_lo, 0, v146, vcc_lo
	s_delay_alu instid0(VALU_DEP_3) | instskip(SKIP_1) | instid1(VALU_DEP_3)
	v_add_f64 v[133:134], v[133:134], 1.0
	v_cmp_eq_f64_e32 vcc_lo, 0x7ff00000, v[12:13]
	v_sub_nc_u32_e32 v148, 0, v166
	s_delay_alu instid0(VALU_DEP_1) | instskip(NEXT) | instid1(VALU_DEP_4)
	v_ldexp_f64 v[131:132], v[131:132], v148
	v_add_f64 v[133:134], v[144:145], v[133:134]
	s_delay_alu instid0(VALU_DEP_2) | instskip(SKIP_1) | instid1(VALU_DEP_3)
	v_add_f64 v[146:147], v[131:132], 1.0
	v_add_f64 v[160:161], v[131:132], -1.0
	v_ldexp_f64 v[133:134], v[133:134], v148
	s_delay_alu instid0(VALU_DEP_3) | instskip(NEXT) | instid1(VALU_DEP_3)
	v_add_f64 v[144:145], v[146:147], -1.0
	v_add_f64 v[162:163], v[160:161], 1.0
	s_delay_alu instid0(VALU_DEP_2) | instskip(NEXT) | instid1(VALU_DEP_2)
	v_add_f64 v[144:145], v[131:132], -v[144:145]
	v_add_f64 v[131:132], v[131:132], -v[162:163]
	s_delay_alu instid0(VALU_DEP_2) | instskip(NEXT) | instid1(VALU_DEP_2)
	v_add_f64 v[144:145], v[133:134], v[144:145]
	v_add_f64 v[131:132], v[133:134], v[131:132]
	s_delay_alu instid0(VALU_DEP_2) | instskip(NEXT) | instid1(VALU_DEP_2)
	v_add_f64 v[148:149], v[146:147], v[144:145]
	v_add_f64 v[162:163], v[160:161], v[131:132]
	s_delay_alu instid0(VALU_DEP_2) | instskip(SKIP_1) | instid1(VALU_DEP_2)
	v_rcp_f64_e32 v[150:151], v[148:149]
	v_add_f64 v[146:147], v[148:149], -v[146:147]
	v_add_f64 v[160:161], v[162:163], -v[160:161]
	s_delay_alu instid0(VALU_DEP_2) | instskip(SKIP_3) | instid1(VALU_DEP_2)
	v_add_f64 v[144:145], v[144:145], -v[146:147]
	s_waitcnt_depctr 0xfff
	v_fma_f64 v[164:165], -v[148:149], v[150:151], 1.0
	v_add_f64 v[131:132], v[131:132], -v[160:161]
	v_fma_f64 v[150:151], v[164:165], v[150:151], v[150:151]
	s_delay_alu instid0(VALU_DEP_1) | instskip(NEXT) | instid1(VALU_DEP_1)
	v_fma_f64 v[133:134], -v[148:149], v[150:151], 1.0
	v_fma_f64 v[133:134], v[133:134], v[150:151], v[150:151]
	s_delay_alu instid0(VALU_DEP_1) | instskip(NEXT) | instid1(VALU_DEP_1)
	v_mul_f64 v[150:151], v[162:163], v[133:134]
	v_mul_f64 v[164:165], v[148:149], v[150:151]
	s_delay_alu instid0(VALU_DEP_1) | instskip(NEXT) | instid1(VALU_DEP_1)
	v_fma_f64 v[146:147], v[150:151], v[148:149], -v[164:165]
	v_fma_f64 v[146:147], v[150:151], v[144:145], v[146:147]
	s_delay_alu instid0(VALU_DEP_1) | instskip(NEXT) | instid1(VALU_DEP_1)
	v_add_f64 v[209:210], v[164:165], v[146:147]
	v_add_f64 v[211:212], v[162:163], -v[209:210]
	v_add_f64 v[160:161], v[209:210], -v[164:165]
	s_delay_alu instid0(VALU_DEP_2) | instskip(NEXT) | instid1(VALU_DEP_2)
	v_add_f64 v[162:163], v[162:163], -v[211:212]
	v_add_f64 v[146:147], v[160:161], -v[146:147]
	s_delay_alu instid0(VALU_DEP_2) | instskip(NEXT) | instid1(VALU_DEP_1)
	v_add_f64 v[162:163], v[162:163], -v[209:210]
	v_add_f64 v[131:132], v[131:132], v[162:163]
	s_delay_alu instid0(VALU_DEP_1) | instskip(NEXT) | instid1(VALU_DEP_1)
	v_add_f64 v[131:132], v[146:147], v[131:132]
	v_add_f64 v[146:147], v[211:212], v[131:132]
	s_delay_alu instid0(VALU_DEP_1) | instskip(SKIP_1) | instid1(VALU_DEP_2)
	v_mul_f64 v[160:161], v[133:134], v[146:147]
	v_add_f64 v[209:210], v[211:212], -v[146:147]
	v_mul_f64 v[162:163], v[148:149], v[160:161]
	s_delay_alu instid0(VALU_DEP_2) | instskip(NEXT) | instid1(VALU_DEP_2)
	v_add_f64 v[131:132], v[131:132], v[209:210]
	v_fma_f64 v[148:149], v[160:161], v[148:149], -v[162:163]
	s_delay_alu instid0(VALU_DEP_1) | instskip(NEXT) | instid1(VALU_DEP_1)
	v_fma_f64 v[144:145], v[160:161], v[144:145], v[148:149]
	v_add_f64 v[148:149], v[162:163], v[144:145]
	s_delay_alu instid0(VALU_DEP_1) | instskip(SKIP_1) | instid1(VALU_DEP_2)
	v_add_f64 v[164:165], v[146:147], -v[148:149]
	v_add_f64 v[162:163], v[148:149], -v[162:163]
	;; [unrolled: 1-line block ×3, first 2 shown]
	s_delay_alu instid0(VALU_DEP_2) | instskip(NEXT) | instid1(VALU_DEP_2)
	v_add_f64 v[144:145], v[162:163], -v[144:145]
	v_add_f64 v[146:147], v[146:147], -v[148:149]
	s_delay_alu instid0(VALU_DEP_1) | instskip(SKIP_1) | instid1(VALU_DEP_2)
	v_add_f64 v[131:132], v[131:132], v[146:147]
	v_add_f64 v[146:147], v[150:151], v[160:161]
	;; [unrolled: 1-line block ×3, first 2 shown]
	s_delay_alu instid0(VALU_DEP_2) | instskip(NEXT) | instid1(VALU_DEP_2)
	v_add_f64 v[144:145], v[146:147], -v[150:151]
	v_add_f64 v[131:132], v[164:165], v[131:132]
	s_delay_alu instid0(VALU_DEP_2) | instskip(NEXT) | instid1(VALU_DEP_2)
	v_add_f64 v[144:145], v[160:161], -v[144:145]
	v_mul_f64 v[131:132], v[133:134], v[131:132]
	s_delay_alu instid0(VALU_DEP_1) | instskip(NEXT) | instid1(VALU_DEP_1)
	v_add_f64 v[131:132], v[144:145], v[131:132]
	v_add_f64 v[133:134], v[146:147], v[131:132]
	s_delay_alu instid0(VALU_DEP_1) | instskip(NEXT) | instid1(VALU_DEP_1)
	v_mul_f64 v[144:145], v[133:134], v[133:134]
	v_fma_f64 v[148:149], v[144:145], s[26:27], s[24:25]
	s_mov_b32 s24, 0xd7f4df2e
	s_mov_b32 s25, 0x3fc7474d
	v_mul_f64 v[150:151], v[133:134], v[144:145]
	s_delay_alu instid0(VALU_DEP_2)
	v_fma_f64 v[148:149], v[144:145], v[148:149], s[24:25]
	s_mov_b32 s24, 0x16291751
	s_mov_b32 s25, 0x3fcc71c0
	s_delay_alu instid0(VALU_DEP_1) | instid1(SALU_CYCLE_1)
	v_fma_f64 v[148:149], v[144:145], v[148:149], s[24:25]
	s_mov_b32 s24, 0x9b27acf1
	s_mov_b32 s25, 0x3fd24924
	s_delay_alu instid0(VALU_DEP_1) | instid1(SALU_CYCLE_1)
	;; [unrolled: 4-line block ×3, first 2 shown]
	v_fma_f64 v[148:149], v[144:145], v[148:149], s[24:25]
	s_delay_alu instid0(VALU_DEP_1) | instskip(SKIP_2) | instid1(VALU_DEP_3)
	v_fma_f64 v[144:145], v[144:145], v[148:149], s[20:21]
	v_ldexp_f64 v[148:149], v[133:134], 1
	v_add_f64 v[133:134], v[133:134], -v[146:147]
	v_mul_f64 v[144:145], v[150:151], v[144:145]
	v_cvt_f64_i32_e32 v[150:151], v166
	s_delay_alu instid0(VALU_DEP_3) | instskip(NEXT) | instid1(VALU_DEP_3)
	v_add_f64 v[131:132], v[131:132], -v[133:134]
	v_add_f64 v[146:147], v[148:149], v[144:145]
	s_delay_alu instid0(VALU_DEP_3) | instskip(NEXT) | instid1(VALU_DEP_3)
	v_mul_f64 v[160:161], v[150:151], s[2:3]
	v_ldexp_f64 v[131:132], v[131:132], 1
	s_delay_alu instid0(VALU_DEP_3) | instskip(NEXT) | instid1(VALU_DEP_3)
	v_add_f64 v[133:134], v[146:147], -v[148:149]
	v_fma_f64 v[148:149], v[150:151], s[2:3], -v[160:161]
	s_delay_alu instid0(VALU_DEP_2) | instskip(NEXT) | instid1(VALU_DEP_2)
	v_add_f64 v[133:134], v[144:145], -v[133:134]
	v_fma_f64 v[144:145], v[150:151], s[18:19], v[148:149]
	s_delay_alu instid0(VALU_DEP_2) | instskip(NEXT) | instid1(VALU_DEP_2)
	v_add_f64 v[131:132], v[131:132], v[133:134]
	v_add_f64 v[133:134], v[160:161], v[144:145]
	s_delay_alu instid0(VALU_DEP_2) | instskip(NEXT) | instid1(VALU_DEP_2)
	v_add_f64 v[148:149], v[146:147], v[131:132]
	v_add_f64 v[160:161], v[133:134], -v[160:161]
	s_delay_alu instid0(VALU_DEP_2) | instskip(SKIP_1) | instid1(VALU_DEP_3)
	v_add_f64 v[150:151], v[133:134], v[148:149]
	v_add_f64 v[146:147], v[148:149], -v[146:147]
	v_add_f64 v[144:145], v[144:145], -v[160:161]
	s_delay_alu instid0(VALU_DEP_3) | instskip(NEXT) | instid1(VALU_DEP_3)
	v_add_f64 v[162:163], v[150:151], -v[133:134]
	v_add_f64 v[131:132], v[131:132], -v[146:147]
	s_delay_alu instid0(VALU_DEP_2) | instskip(SKIP_1) | instid1(VALU_DEP_3)
	v_add_f64 v[164:165], v[150:151], -v[162:163]
	v_add_f64 v[146:147], v[148:149], -v[162:163]
	v_add_f64 v[148:149], v[144:145], v[131:132]
	s_delay_alu instid0(VALU_DEP_3) | instskip(NEXT) | instid1(VALU_DEP_1)
	v_add_f64 v[133:134], v[133:134], -v[164:165]
	v_add_f64 v[133:134], v[146:147], v[133:134]
	s_delay_alu instid0(VALU_DEP_3) | instskip(NEXT) | instid1(VALU_DEP_2)
	v_add_f64 v[146:147], v[148:149], -v[144:145]
	v_add_f64 v[133:134], v[148:149], v[133:134]
	s_delay_alu instid0(VALU_DEP_2) | instskip(SKIP_1) | instid1(VALU_DEP_3)
	v_add_f64 v[148:149], v[148:149], -v[146:147]
	v_add_f64 v[131:132], v[131:132], -v[146:147]
	v_add_f64 v[160:161], v[150:151], v[133:134]
	s_delay_alu instid0(VALU_DEP_3) | instskip(NEXT) | instid1(VALU_DEP_2)
	v_add_f64 v[144:145], v[144:145], -v[148:149]
	v_add_f64 v[146:147], v[160:161], -v[150:151]
	s_delay_alu instid0(VALU_DEP_2) | instskip(NEXT) | instid1(VALU_DEP_2)
	v_add_f64 v[131:132], v[131:132], v[144:145]
	v_add_f64 v[133:134], v[133:134], -v[146:147]
	s_delay_alu instid0(VALU_DEP_1) | instskip(NEXT) | instid1(VALU_DEP_1)
	v_add_f64 v[131:132], v[131:132], v[133:134]
	v_add_f64 v[131:132], v[160:161], v[131:132]
	s_delay_alu instid0(VALU_DEP_1) | instskip(SKIP_1) | instid1(VALU_DEP_2)
	v_dual_cndmask_b32 v131, v131, v12 :: v_dual_cndmask_b32 v132, v132, v13
	v_cmp_ngt_f64_e32 vcc_lo, -1.0, v[12:13]
	v_cndmask_b32_e32 v132, 0x7ff80000, v132, vcc_lo
	v_cmp_nge_f64_e32 vcc_lo, -1.0, v[12:13]
	s_delay_alu instid0(VALU_DEP_4) | instskip(SKIP_1) | instid1(VALU_DEP_4)
	v_cndmask_b32_e32 v131, 0, v131, vcc_lo
	v_cmp_neq_f64_e32 vcc_lo, -1.0, v[12:13]
	v_cndmask_b32_e32 v132, 0xfff00000, v132, vcc_lo
	s_delay_alu instid0(VALU_DEP_1)
	v_add_f64 v[12:13], v[14:15], v[131:132]
.LBB8_231:
	s_or_b32 exec_lo, exec_lo, s4
	s_delay_alu instid0(VALU_DEP_1) | instskip(SKIP_1) | instid1(VALU_DEP_2)
	v_max_f64 v[14:15], v[12:13], v[12:13]
	v_cmp_u_f64_e32 vcc_lo, v[12:13], v[12:13]
	v_min_f64 v[131:132], v[14:15], v[16:17]
	v_max_f64 v[14:15], v[14:15], v[16:17]
	s_delay_alu instid0(VALU_DEP_2) | instskip(NEXT) | instid1(VALU_DEP_2)
	v_dual_cndmask_b32 v16, v131, v12 :: v_dual_cndmask_b32 v17, v132, v13
	v_dual_cndmask_b32 v15, v15, v13 :: v_dual_cndmask_b32 v14, v14, v12
	s_delay_alu instid0(VALU_DEP_2) | instskip(NEXT) | instid1(VALU_DEP_3)
	v_cndmask_b32_e64 v131, v16, v102, s5
	v_cndmask_b32_e64 v132, v17, v103, s5
	s_delay_alu instid0(VALU_DEP_3) | instskip(NEXT) | instid1(VALU_DEP_4)
	v_cndmask_b32_e64 v17, v15, v103, s5
	v_cndmask_b32_e64 v16, v14, v102, s5
	v_dual_mov_b32 v15, v13 :: v_dual_mov_b32 v14, v12
	s_delay_alu instid0(VALU_DEP_4) | instskip(NEXT) | instid1(VALU_DEP_3)
	v_cmp_class_f64_e64 s1, v[131:132], 0x1f8
	v_cmp_neq_f64_e32 vcc_lo, v[131:132], v[16:17]
	s_delay_alu instid0(VALU_DEP_2) | instskip(NEXT) | instid1(SALU_CYCLE_1)
	s_or_b32 s1, vcc_lo, s1
	s_and_saveexec_b32 s12, s1
	s_cbranch_execz .LBB8_233
; %bb.232:
	v_add_f64 v[14:15], v[131:132], -v[16:17]
	s_mov_b32 s2, 0x652b82fe
	s_mov_b32 s3, 0x3ff71547
	;; [unrolled: 1-line block ×10, first 2 shown]
	s_delay_alu instid0(VALU_DEP_1) | instskip(SKIP_4) | instid1(VALU_DEP_3)
	v_mul_f64 v[131:132], v[14:15], s[2:3]
	s_mov_b32 s3, 0xbfe62e42
	s_mov_b32 s2, 0xfefa39ef
	v_cmp_nlt_f64_e32 vcc_lo, 0x40900000, v[14:15]
	v_cmp_ngt_f64_e64 s1, 0xc090cc00, v[14:15]
	v_rndne_f64_e32 v[131:132], v[131:132]
	s_delay_alu instid0(VALU_DEP_1) | instskip(SKIP_2) | instid1(VALU_DEP_2)
	v_fma_f64 v[133:134], v[131:132], s[2:3], v[14:15]
	v_cvt_i32_f64_e32 v146, v[131:132]
	s_mov_b32 s3, 0x3fe62e42
	v_fma_f64 v[133:134], v[131:132], s[4:5], v[133:134]
	s_mov_b32 s5, 0x3c7abc9e
	s_delay_alu instid0(VALU_DEP_1) | instskip(SKIP_4) | instid1(VALU_DEP_1)
	v_fma_f64 v[144:145], v[133:134], s[20:21], s[18:19]
	s_mov_b32 s18, 0x623fde64
	s_mov_b32 s19, 0x3ec71dee
	;; [unrolled: 1-line block ×4, first 2 shown]
	v_fma_f64 v[144:145], v[133:134], v[144:145], s[18:19]
	s_mov_b32 s18, 0x7c89e6b0
	s_mov_b32 s19, 0x3efa0199
	s_delay_alu instid0(VALU_DEP_1) | instid1(SALU_CYCLE_1)
	v_fma_f64 v[144:145], v[133:134], v[144:145], s[18:19]
	s_mov_b32 s18, 0x14761f6e
	s_mov_b32 s19, 0x3f2a01a0
	s_delay_alu instid0(VALU_DEP_1) | instid1(SALU_CYCLE_1)
	;; [unrolled: 4-line block ×7, first 2 shown]
	v_fma_f64 v[144:145], v[133:134], v[144:145], s[18:19]
	s_mov_b32 s19, 0x3fe55555
	s_mov_b32 s18, 0x55555555
	s_delay_alu instid0(VALU_DEP_1) | instskip(NEXT) | instid1(VALU_DEP_1)
	v_fma_f64 v[144:145], v[133:134], v[144:145], 1.0
	v_fma_f64 v[131:132], v[133:134], v[144:145], 1.0
	s_delay_alu instid0(VALU_DEP_1) | instskip(NEXT) | instid1(VALU_DEP_1)
	v_ldexp_f64 v[131:132], v[131:132], v146
	v_cndmask_b32_e32 v132, 0x7ff00000, v132, vcc_lo
	s_and_b32 vcc_lo, s1, vcc_lo
	s_delay_alu instid0(VALU_DEP_2) | instskip(NEXT) | instid1(VALU_DEP_2)
	v_cndmask_b32_e32 v14, 0, v131, vcc_lo
	v_cndmask_b32_e64 v15, 0, v132, s1
	s_delay_alu instid0(VALU_DEP_1) | instskip(NEXT) | instid1(VALU_DEP_1)
	v_add_f64 v[131:132], v[14:15], 1.0
	v_frexp_mant_f64_e32 v[133:134], v[131:132]
	v_frexp_exp_i32_f64_e32 v146, v[131:132]
	v_add_f64 v[144:145], v[131:132], -1.0
	s_delay_alu instid0(VALU_DEP_3) | instskip(SKIP_1) | instid1(VALU_DEP_2)
	v_cmp_gt_f64_e32 vcc_lo, s[18:19], v[133:134]
	s_mov_b32 s18, 0x55555780
	v_add_f64 v[133:134], v[144:145], -v[131:132]
	v_add_f64 v[144:145], v[14:15], -v[144:145]
	v_subrev_co_ci_u32_e32 v166, vcc_lo, 0, v146, vcc_lo
	s_delay_alu instid0(VALU_DEP_3) | instskip(SKIP_1) | instid1(VALU_DEP_3)
	v_add_f64 v[133:134], v[133:134], 1.0
	v_cmp_eq_f64_e32 vcc_lo, 0x7ff00000, v[14:15]
	v_sub_nc_u32_e32 v148, 0, v166
	s_delay_alu instid0(VALU_DEP_1) | instskip(NEXT) | instid1(VALU_DEP_4)
	v_ldexp_f64 v[131:132], v[131:132], v148
	v_add_f64 v[133:134], v[144:145], v[133:134]
	s_delay_alu instid0(VALU_DEP_2) | instskip(SKIP_1) | instid1(VALU_DEP_3)
	v_add_f64 v[146:147], v[131:132], 1.0
	v_add_f64 v[160:161], v[131:132], -1.0
	v_ldexp_f64 v[133:134], v[133:134], v148
	s_delay_alu instid0(VALU_DEP_3) | instskip(NEXT) | instid1(VALU_DEP_3)
	v_add_f64 v[144:145], v[146:147], -1.0
	v_add_f64 v[162:163], v[160:161], 1.0
	s_delay_alu instid0(VALU_DEP_2) | instskip(NEXT) | instid1(VALU_DEP_2)
	v_add_f64 v[144:145], v[131:132], -v[144:145]
	v_add_f64 v[131:132], v[131:132], -v[162:163]
	s_delay_alu instid0(VALU_DEP_2) | instskip(NEXT) | instid1(VALU_DEP_2)
	v_add_f64 v[144:145], v[133:134], v[144:145]
	v_add_f64 v[131:132], v[133:134], v[131:132]
	s_delay_alu instid0(VALU_DEP_2) | instskip(NEXT) | instid1(VALU_DEP_2)
	v_add_f64 v[148:149], v[146:147], v[144:145]
	v_add_f64 v[162:163], v[160:161], v[131:132]
	s_delay_alu instid0(VALU_DEP_2) | instskip(SKIP_1) | instid1(VALU_DEP_2)
	v_rcp_f64_e32 v[150:151], v[148:149]
	v_add_f64 v[146:147], v[148:149], -v[146:147]
	v_add_f64 v[160:161], v[162:163], -v[160:161]
	s_delay_alu instid0(VALU_DEP_2) | instskip(SKIP_3) | instid1(VALU_DEP_2)
	v_add_f64 v[144:145], v[144:145], -v[146:147]
	s_waitcnt_depctr 0xfff
	v_fma_f64 v[164:165], -v[148:149], v[150:151], 1.0
	v_add_f64 v[131:132], v[131:132], -v[160:161]
	v_fma_f64 v[150:151], v[164:165], v[150:151], v[150:151]
	s_delay_alu instid0(VALU_DEP_1) | instskip(NEXT) | instid1(VALU_DEP_1)
	v_fma_f64 v[133:134], -v[148:149], v[150:151], 1.0
	v_fma_f64 v[133:134], v[133:134], v[150:151], v[150:151]
	s_delay_alu instid0(VALU_DEP_1) | instskip(NEXT) | instid1(VALU_DEP_1)
	v_mul_f64 v[150:151], v[162:163], v[133:134]
	v_mul_f64 v[164:165], v[148:149], v[150:151]
	s_delay_alu instid0(VALU_DEP_1) | instskip(NEXT) | instid1(VALU_DEP_1)
	v_fma_f64 v[146:147], v[150:151], v[148:149], -v[164:165]
	v_fma_f64 v[146:147], v[150:151], v[144:145], v[146:147]
	s_delay_alu instid0(VALU_DEP_1) | instskip(NEXT) | instid1(VALU_DEP_1)
	v_add_f64 v[209:210], v[164:165], v[146:147]
	v_add_f64 v[211:212], v[162:163], -v[209:210]
	v_add_f64 v[160:161], v[209:210], -v[164:165]
	s_delay_alu instid0(VALU_DEP_2) | instskip(NEXT) | instid1(VALU_DEP_2)
	v_add_f64 v[162:163], v[162:163], -v[211:212]
	v_add_f64 v[146:147], v[160:161], -v[146:147]
	s_delay_alu instid0(VALU_DEP_2) | instskip(NEXT) | instid1(VALU_DEP_1)
	v_add_f64 v[162:163], v[162:163], -v[209:210]
	v_add_f64 v[131:132], v[131:132], v[162:163]
	s_delay_alu instid0(VALU_DEP_1) | instskip(NEXT) | instid1(VALU_DEP_1)
	v_add_f64 v[131:132], v[146:147], v[131:132]
	v_add_f64 v[146:147], v[211:212], v[131:132]
	s_delay_alu instid0(VALU_DEP_1) | instskip(SKIP_1) | instid1(VALU_DEP_2)
	v_mul_f64 v[160:161], v[133:134], v[146:147]
	v_add_f64 v[209:210], v[211:212], -v[146:147]
	v_mul_f64 v[162:163], v[148:149], v[160:161]
	s_delay_alu instid0(VALU_DEP_2) | instskip(NEXT) | instid1(VALU_DEP_2)
	v_add_f64 v[131:132], v[131:132], v[209:210]
	v_fma_f64 v[148:149], v[160:161], v[148:149], -v[162:163]
	s_delay_alu instid0(VALU_DEP_1) | instskip(NEXT) | instid1(VALU_DEP_1)
	v_fma_f64 v[144:145], v[160:161], v[144:145], v[148:149]
	v_add_f64 v[148:149], v[162:163], v[144:145]
	s_delay_alu instid0(VALU_DEP_1) | instskip(SKIP_1) | instid1(VALU_DEP_2)
	v_add_f64 v[164:165], v[146:147], -v[148:149]
	v_add_f64 v[162:163], v[148:149], -v[162:163]
	v_add_f64 v[146:147], v[146:147], -v[164:165]
	s_delay_alu instid0(VALU_DEP_2) | instskip(NEXT) | instid1(VALU_DEP_2)
	v_add_f64 v[144:145], v[162:163], -v[144:145]
	v_add_f64 v[146:147], v[146:147], -v[148:149]
	s_delay_alu instid0(VALU_DEP_1) | instskip(SKIP_1) | instid1(VALU_DEP_2)
	v_add_f64 v[131:132], v[131:132], v[146:147]
	v_add_f64 v[146:147], v[150:151], v[160:161]
	;; [unrolled: 1-line block ×3, first 2 shown]
	s_delay_alu instid0(VALU_DEP_2) | instskip(NEXT) | instid1(VALU_DEP_2)
	v_add_f64 v[144:145], v[146:147], -v[150:151]
	v_add_f64 v[131:132], v[164:165], v[131:132]
	s_delay_alu instid0(VALU_DEP_2) | instskip(NEXT) | instid1(VALU_DEP_2)
	v_add_f64 v[144:145], v[160:161], -v[144:145]
	v_mul_f64 v[131:132], v[133:134], v[131:132]
	s_delay_alu instid0(VALU_DEP_1) | instskip(NEXT) | instid1(VALU_DEP_1)
	v_add_f64 v[131:132], v[144:145], v[131:132]
	v_add_f64 v[133:134], v[146:147], v[131:132]
	s_delay_alu instid0(VALU_DEP_1) | instskip(NEXT) | instid1(VALU_DEP_1)
	v_mul_f64 v[144:145], v[133:134], v[133:134]
	v_fma_f64 v[148:149], v[144:145], s[24:25], s[20:21]
	s_mov_b32 s20, 0xd7f4df2e
	s_mov_b32 s21, 0x3fc7474d
	v_mul_f64 v[150:151], v[133:134], v[144:145]
	s_delay_alu instid0(VALU_DEP_2)
	v_fma_f64 v[148:149], v[144:145], v[148:149], s[20:21]
	s_mov_b32 s20, 0x16291751
	s_mov_b32 s21, 0x3fcc71c0
	s_delay_alu instid0(VALU_DEP_1) | instid1(SALU_CYCLE_1)
	v_fma_f64 v[148:149], v[144:145], v[148:149], s[20:21]
	s_mov_b32 s20, 0x9b27acf1
	s_mov_b32 s21, 0x3fd24924
	s_delay_alu instid0(VALU_DEP_1) | instid1(SALU_CYCLE_1)
	;; [unrolled: 4-line block ×3, first 2 shown]
	v_fma_f64 v[148:149], v[144:145], v[148:149], s[20:21]
	s_delay_alu instid0(VALU_DEP_1) | instskip(SKIP_2) | instid1(VALU_DEP_3)
	v_fma_f64 v[144:145], v[144:145], v[148:149], s[18:19]
	v_ldexp_f64 v[148:149], v[133:134], 1
	v_add_f64 v[133:134], v[133:134], -v[146:147]
	v_mul_f64 v[144:145], v[150:151], v[144:145]
	v_cvt_f64_i32_e32 v[150:151], v166
	s_delay_alu instid0(VALU_DEP_3) | instskip(NEXT) | instid1(VALU_DEP_3)
	v_add_f64 v[131:132], v[131:132], -v[133:134]
	v_add_f64 v[146:147], v[148:149], v[144:145]
	s_delay_alu instid0(VALU_DEP_3) | instskip(NEXT) | instid1(VALU_DEP_3)
	v_mul_f64 v[160:161], v[150:151], s[2:3]
	v_ldexp_f64 v[131:132], v[131:132], 1
	s_delay_alu instid0(VALU_DEP_3) | instskip(NEXT) | instid1(VALU_DEP_3)
	v_add_f64 v[133:134], v[146:147], -v[148:149]
	v_fma_f64 v[148:149], v[150:151], s[2:3], -v[160:161]
	s_delay_alu instid0(VALU_DEP_2) | instskip(NEXT) | instid1(VALU_DEP_2)
	v_add_f64 v[133:134], v[144:145], -v[133:134]
	v_fma_f64 v[144:145], v[150:151], s[4:5], v[148:149]
	s_delay_alu instid0(VALU_DEP_2) | instskip(NEXT) | instid1(VALU_DEP_2)
	v_add_f64 v[131:132], v[131:132], v[133:134]
	v_add_f64 v[133:134], v[160:161], v[144:145]
	s_delay_alu instid0(VALU_DEP_2) | instskip(NEXT) | instid1(VALU_DEP_2)
	v_add_f64 v[148:149], v[146:147], v[131:132]
	v_add_f64 v[160:161], v[133:134], -v[160:161]
	s_delay_alu instid0(VALU_DEP_2) | instskip(SKIP_1) | instid1(VALU_DEP_3)
	v_add_f64 v[150:151], v[133:134], v[148:149]
	v_add_f64 v[146:147], v[148:149], -v[146:147]
	v_add_f64 v[144:145], v[144:145], -v[160:161]
	s_delay_alu instid0(VALU_DEP_3) | instskip(NEXT) | instid1(VALU_DEP_3)
	v_add_f64 v[162:163], v[150:151], -v[133:134]
	v_add_f64 v[131:132], v[131:132], -v[146:147]
	s_delay_alu instid0(VALU_DEP_2) | instskip(SKIP_1) | instid1(VALU_DEP_3)
	v_add_f64 v[164:165], v[150:151], -v[162:163]
	v_add_f64 v[146:147], v[148:149], -v[162:163]
	v_add_f64 v[148:149], v[144:145], v[131:132]
	s_delay_alu instid0(VALU_DEP_3) | instskip(NEXT) | instid1(VALU_DEP_1)
	v_add_f64 v[133:134], v[133:134], -v[164:165]
	v_add_f64 v[133:134], v[146:147], v[133:134]
	s_delay_alu instid0(VALU_DEP_3) | instskip(NEXT) | instid1(VALU_DEP_2)
	v_add_f64 v[146:147], v[148:149], -v[144:145]
	v_add_f64 v[133:134], v[148:149], v[133:134]
	s_delay_alu instid0(VALU_DEP_2) | instskip(SKIP_1) | instid1(VALU_DEP_3)
	v_add_f64 v[148:149], v[148:149], -v[146:147]
	v_add_f64 v[131:132], v[131:132], -v[146:147]
	v_add_f64 v[160:161], v[150:151], v[133:134]
	s_delay_alu instid0(VALU_DEP_3) | instskip(NEXT) | instid1(VALU_DEP_2)
	v_add_f64 v[144:145], v[144:145], -v[148:149]
	v_add_f64 v[146:147], v[160:161], -v[150:151]
	s_delay_alu instid0(VALU_DEP_2) | instskip(NEXT) | instid1(VALU_DEP_2)
	v_add_f64 v[131:132], v[131:132], v[144:145]
	v_add_f64 v[133:134], v[133:134], -v[146:147]
	s_delay_alu instid0(VALU_DEP_1) | instskip(NEXT) | instid1(VALU_DEP_1)
	v_add_f64 v[131:132], v[131:132], v[133:134]
	v_add_f64 v[131:132], v[160:161], v[131:132]
	s_delay_alu instid0(VALU_DEP_1) | instskip(SKIP_1) | instid1(VALU_DEP_2)
	v_dual_cndmask_b32 v131, v131, v14 :: v_dual_cndmask_b32 v132, v132, v15
	v_cmp_ngt_f64_e32 vcc_lo, -1.0, v[14:15]
	v_cndmask_b32_e32 v132, 0x7ff80000, v132, vcc_lo
	v_cmp_nge_f64_e32 vcc_lo, -1.0, v[14:15]
	s_delay_alu instid0(VALU_DEP_4) | instskip(SKIP_1) | instid1(VALU_DEP_4)
	v_cndmask_b32_e32 v131, 0, v131, vcc_lo
	v_cmp_neq_f64_e32 vcc_lo, -1.0, v[14:15]
	v_cndmask_b32_e32 v132, 0xfff00000, v132, vcc_lo
	s_delay_alu instid0(VALU_DEP_1)
	v_add_f64 v[14:15], v[16:17], v[131:132]
.LBB8_233:
	s_or_b32 exec_lo, exec_lo, s12
	s_delay_alu instid0(VALU_DEP_1) | instskip(SKIP_1) | instid1(VALU_DEP_2)
	v_max_f64 v[16:17], v[14:15], v[14:15]
	v_cmp_u_f64_e32 vcc_lo, v[14:15], v[14:15]
	v_min_f64 v[131:132], v[16:17], v[18:19]
	v_max_f64 v[16:17], v[16:17], v[18:19]
	s_delay_alu instid0(VALU_DEP_2) | instskip(NEXT) | instid1(VALU_DEP_2)
	v_dual_cndmask_b32 v18, v131, v14 :: v_dual_cndmask_b32 v19, v132, v15
	v_dual_cndmask_b32 v17, v17, v15 :: v_dual_cndmask_b32 v16, v16, v14
	s_delay_alu instid0(VALU_DEP_2) | instskip(NEXT) | instid1(VALU_DEP_3)
	v_cndmask_b32_e64 v131, v18, v96, s6
	v_cndmask_b32_e64 v132, v19, v97, s6
	s_delay_alu instid0(VALU_DEP_3) | instskip(NEXT) | instid1(VALU_DEP_4)
	v_cndmask_b32_e64 v19, v17, v97, s6
	v_cndmask_b32_e64 v18, v16, v96, s6
	v_dual_mov_b32 v17, v15 :: v_dual_mov_b32 v16, v14
	s_delay_alu instid0(VALU_DEP_4) | instskip(NEXT) | instid1(VALU_DEP_3)
	v_cmp_class_f64_e64 s1, v[131:132], 0x1f8
	v_cmp_neq_f64_e32 vcc_lo, v[131:132], v[18:19]
	s_delay_alu instid0(VALU_DEP_2) | instskip(NEXT) | instid1(SALU_CYCLE_1)
	s_or_b32 s1, vcc_lo, s1
	s_and_saveexec_b32 s6, s1
	s_cbranch_execz .LBB8_235
; %bb.234:
	v_add_f64 v[16:17], v[131:132], -v[18:19]
	s_mov_b32 s2, 0x652b82fe
	s_mov_b32 s3, 0x3ff71547
	;; [unrolled: 1-line block ×10, first 2 shown]
	s_delay_alu instid0(VALU_DEP_1) | instskip(SKIP_4) | instid1(VALU_DEP_3)
	v_mul_f64 v[131:132], v[16:17], s[2:3]
	s_mov_b32 s3, 0xbfe62e42
	s_mov_b32 s2, 0xfefa39ef
	v_cmp_nlt_f64_e32 vcc_lo, 0x40900000, v[16:17]
	v_cmp_ngt_f64_e64 s1, 0xc090cc00, v[16:17]
	v_rndne_f64_e32 v[131:132], v[131:132]
	s_delay_alu instid0(VALU_DEP_1) | instskip(SKIP_2) | instid1(VALU_DEP_2)
	v_fma_f64 v[133:134], v[131:132], s[2:3], v[16:17]
	v_cvt_i32_f64_e32 v146, v[131:132]
	s_mov_b32 s3, 0x3fe62e42
	v_fma_f64 v[133:134], v[131:132], s[4:5], v[133:134]
	s_mov_b32 s5, 0x3c7abc9e
	s_delay_alu instid0(VALU_DEP_1) | instskip(SKIP_4) | instid1(VALU_DEP_1)
	v_fma_f64 v[144:145], v[133:134], s[20:21], s[18:19]
	s_mov_b32 s18, 0x623fde64
	s_mov_b32 s19, 0x3ec71dee
	s_mov_b32 s20, 0x6b47b09a
	s_mov_b32 s21, 0x3fc38538
	v_fma_f64 v[144:145], v[133:134], v[144:145], s[18:19]
	s_mov_b32 s18, 0x7c89e6b0
	s_mov_b32 s19, 0x3efa0199
	s_delay_alu instid0(VALU_DEP_1) | instid1(SALU_CYCLE_1)
	v_fma_f64 v[144:145], v[133:134], v[144:145], s[18:19]
	s_mov_b32 s18, 0x14761f6e
	s_mov_b32 s19, 0x3f2a01a0
	s_delay_alu instid0(VALU_DEP_1) | instid1(SALU_CYCLE_1)
	;; [unrolled: 4-line block ×7, first 2 shown]
	v_fma_f64 v[144:145], v[133:134], v[144:145], s[18:19]
	s_mov_b32 s19, 0x3fe55555
	s_mov_b32 s18, 0x55555555
	s_delay_alu instid0(VALU_DEP_1) | instskip(NEXT) | instid1(VALU_DEP_1)
	v_fma_f64 v[144:145], v[133:134], v[144:145], 1.0
	v_fma_f64 v[131:132], v[133:134], v[144:145], 1.0
	s_delay_alu instid0(VALU_DEP_1) | instskip(NEXT) | instid1(VALU_DEP_1)
	v_ldexp_f64 v[131:132], v[131:132], v146
	v_cndmask_b32_e32 v132, 0x7ff00000, v132, vcc_lo
	s_and_b32 vcc_lo, s1, vcc_lo
	s_delay_alu instid0(VALU_DEP_2) | instskip(NEXT) | instid1(VALU_DEP_2)
	v_cndmask_b32_e32 v16, 0, v131, vcc_lo
	v_cndmask_b32_e64 v17, 0, v132, s1
	s_delay_alu instid0(VALU_DEP_1) | instskip(NEXT) | instid1(VALU_DEP_1)
	v_add_f64 v[131:132], v[16:17], 1.0
	v_frexp_mant_f64_e32 v[133:134], v[131:132]
	v_frexp_exp_i32_f64_e32 v146, v[131:132]
	v_add_f64 v[144:145], v[131:132], -1.0
	s_delay_alu instid0(VALU_DEP_3) | instskip(SKIP_1) | instid1(VALU_DEP_2)
	v_cmp_gt_f64_e32 vcc_lo, s[18:19], v[133:134]
	s_mov_b32 s18, 0x55555780
	v_add_f64 v[133:134], v[144:145], -v[131:132]
	v_add_f64 v[144:145], v[16:17], -v[144:145]
	v_subrev_co_ci_u32_e32 v166, vcc_lo, 0, v146, vcc_lo
	s_delay_alu instid0(VALU_DEP_3) | instskip(SKIP_1) | instid1(VALU_DEP_3)
	v_add_f64 v[133:134], v[133:134], 1.0
	v_cmp_eq_f64_e32 vcc_lo, 0x7ff00000, v[16:17]
	v_sub_nc_u32_e32 v148, 0, v166
	s_delay_alu instid0(VALU_DEP_1) | instskip(NEXT) | instid1(VALU_DEP_4)
	v_ldexp_f64 v[131:132], v[131:132], v148
	v_add_f64 v[133:134], v[144:145], v[133:134]
	s_delay_alu instid0(VALU_DEP_2) | instskip(SKIP_1) | instid1(VALU_DEP_3)
	v_add_f64 v[146:147], v[131:132], 1.0
	v_add_f64 v[160:161], v[131:132], -1.0
	v_ldexp_f64 v[133:134], v[133:134], v148
	s_delay_alu instid0(VALU_DEP_3) | instskip(NEXT) | instid1(VALU_DEP_3)
	v_add_f64 v[144:145], v[146:147], -1.0
	v_add_f64 v[162:163], v[160:161], 1.0
	s_delay_alu instid0(VALU_DEP_2) | instskip(NEXT) | instid1(VALU_DEP_2)
	v_add_f64 v[144:145], v[131:132], -v[144:145]
	v_add_f64 v[131:132], v[131:132], -v[162:163]
	s_delay_alu instid0(VALU_DEP_2) | instskip(NEXT) | instid1(VALU_DEP_2)
	v_add_f64 v[144:145], v[133:134], v[144:145]
	v_add_f64 v[131:132], v[133:134], v[131:132]
	s_delay_alu instid0(VALU_DEP_2) | instskip(NEXT) | instid1(VALU_DEP_2)
	v_add_f64 v[148:149], v[146:147], v[144:145]
	v_add_f64 v[162:163], v[160:161], v[131:132]
	s_delay_alu instid0(VALU_DEP_2) | instskip(SKIP_1) | instid1(VALU_DEP_2)
	v_rcp_f64_e32 v[150:151], v[148:149]
	v_add_f64 v[146:147], v[148:149], -v[146:147]
	v_add_f64 v[160:161], v[162:163], -v[160:161]
	s_delay_alu instid0(VALU_DEP_2) | instskip(SKIP_3) | instid1(VALU_DEP_2)
	v_add_f64 v[144:145], v[144:145], -v[146:147]
	s_waitcnt_depctr 0xfff
	v_fma_f64 v[164:165], -v[148:149], v[150:151], 1.0
	v_add_f64 v[131:132], v[131:132], -v[160:161]
	v_fma_f64 v[150:151], v[164:165], v[150:151], v[150:151]
	s_delay_alu instid0(VALU_DEP_1) | instskip(NEXT) | instid1(VALU_DEP_1)
	v_fma_f64 v[133:134], -v[148:149], v[150:151], 1.0
	v_fma_f64 v[133:134], v[133:134], v[150:151], v[150:151]
	s_delay_alu instid0(VALU_DEP_1) | instskip(NEXT) | instid1(VALU_DEP_1)
	v_mul_f64 v[150:151], v[162:163], v[133:134]
	v_mul_f64 v[164:165], v[148:149], v[150:151]
	s_delay_alu instid0(VALU_DEP_1) | instskip(NEXT) | instid1(VALU_DEP_1)
	v_fma_f64 v[146:147], v[150:151], v[148:149], -v[164:165]
	v_fma_f64 v[146:147], v[150:151], v[144:145], v[146:147]
	s_delay_alu instid0(VALU_DEP_1) | instskip(NEXT) | instid1(VALU_DEP_1)
	v_add_f64 v[209:210], v[164:165], v[146:147]
	v_add_f64 v[211:212], v[162:163], -v[209:210]
	v_add_f64 v[160:161], v[209:210], -v[164:165]
	s_delay_alu instid0(VALU_DEP_2) | instskip(NEXT) | instid1(VALU_DEP_2)
	v_add_f64 v[162:163], v[162:163], -v[211:212]
	v_add_f64 v[146:147], v[160:161], -v[146:147]
	s_delay_alu instid0(VALU_DEP_2) | instskip(NEXT) | instid1(VALU_DEP_1)
	v_add_f64 v[162:163], v[162:163], -v[209:210]
	v_add_f64 v[131:132], v[131:132], v[162:163]
	s_delay_alu instid0(VALU_DEP_1) | instskip(NEXT) | instid1(VALU_DEP_1)
	v_add_f64 v[131:132], v[146:147], v[131:132]
	v_add_f64 v[146:147], v[211:212], v[131:132]
	s_delay_alu instid0(VALU_DEP_1) | instskip(SKIP_1) | instid1(VALU_DEP_2)
	v_mul_f64 v[160:161], v[133:134], v[146:147]
	v_add_f64 v[209:210], v[211:212], -v[146:147]
	v_mul_f64 v[162:163], v[148:149], v[160:161]
	s_delay_alu instid0(VALU_DEP_2) | instskip(NEXT) | instid1(VALU_DEP_2)
	v_add_f64 v[131:132], v[131:132], v[209:210]
	v_fma_f64 v[148:149], v[160:161], v[148:149], -v[162:163]
	s_delay_alu instid0(VALU_DEP_1) | instskip(NEXT) | instid1(VALU_DEP_1)
	v_fma_f64 v[144:145], v[160:161], v[144:145], v[148:149]
	v_add_f64 v[148:149], v[162:163], v[144:145]
	s_delay_alu instid0(VALU_DEP_1) | instskip(SKIP_1) | instid1(VALU_DEP_2)
	v_add_f64 v[164:165], v[146:147], -v[148:149]
	v_add_f64 v[162:163], v[148:149], -v[162:163]
	;; [unrolled: 1-line block ×3, first 2 shown]
	s_delay_alu instid0(VALU_DEP_2) | instskip(NEXT) | instid1(VALU_DEP_2)
	v_add_f64 v[144:145], v[162:163], -v[144:145]
	v_add_f64 v[146:147], v[146:147], -v[148:149]
	s_delay_alu instid0(VALU_DEP_1) | instskip(SKIP_1) | instid1(VALU_DEP_2)
	v_add_f64 v[131:132], v[131:132], v[146:147]
	v_add_f64 v[146:147], v[150:151], v[160:161]
	;; [unrolled: 1-line block ×3, first 2 shown]
	s_delay_alu instid0(VALU_DEP_2) | instskip(NEXT) | instid1(VALU_DEP_2)
	v_add_f64 v[144:145], v[146:147], -v[150:151]
	v_add_f64 v[131:132], v[164:165], v[131:132]
	s_delay_alu instid0(VALU_DEP_2) | instskip(NEXT) | instid1(VALU_DEP_2)
	v_add_f64 v[144:145], v[160:161], -v[144:145]
	v_mul_f64 v[131:132], v[133:134], v[131:132]
	s_delay_alu instid0(VALU_DEP_1) | instskip(NEXT) | instid1(VALU_DEP_1)
	v_add_f64 v[131:132], v[144:145], v[131:132]
	v_add_f64 v[133:134], v[146:147], v[131:132]
	s_delay_alu instid0(VALU_DEP_1) | instskip(NEXT) | instid1(VALU_DEP_1)
	v_mul_f64 v[144:145], v[133:134], v[133:134]
	v_fma_f64 v[148:149], v[144:145], s[24:25], s[20:21]
	s_mov_b32 s20, 0xd7f4df2e
	s_mov_b32 s21, 0x3fc7474d
	v_mul_f64 v[150:151], v[133:134], v[144:145]
	s_delay_alu instid0(VALU_DEP_2)
	v_fma_f64 v[148:149], v[144:145], v[148:149], s[20:21]
	s_mov_b32 s20, 0x16291751
	s_mov_b32 s21, 0x3fcc71c0
	s_delay_alu instid0(VALU_DEP_1) | instid1(SALU_CYCLE_1)
	v_fma_f64 v[148:149], v[144:145], v[148:149], s[20:21]
	s_mov_b32 s20, 0x9b27acf1
	s_mov_b32 s21, 0x3fd24924
	s_delay_alu instid0(VALU_DEP_1) | instid1(SALU_CYCLE_1)
	;; [unrolled: 4-line block ×3, first 2 shown]
	v_fma_f64 v[148:149], v[144:145], v[148:149], s[20:21]
	s_delay_alu instid0(VALU_DEP_1) | instskip(SKIP_2) | instid1(VALU_DEP_3)
	v_fma_f64 v[144:145], v[144:145], v[148:149], s[18:19]
	v_ldexp_f64 v[148:149], v[133:134], 1
	v_add_f64 v[133:134], v[133:134], -v[146:147]
	v_mul_f64 v[144:145], v[150:151], v[144:145]
	v_cvt_f64_i32_e32 v[150:151], v166
	s_delay_alu instid0(VALU_DEP_3) | instskip(NEXT) | instid1(VALU_DEP_3)
	v_add_f64 v[131:132], v[131:132], -v[133:134]
	v_add_f64 v[146:147], v[148:149], v[144:145]
	s_delay_alu instid0(VALU_DEP_3) | instskip(NEXT) | instid1(VALU_DEP_3)
	v_mul_f64 v[160:161], v[150:151], s[2:3]
	v_ldexp_f64 v[131:132], v[131:132], 1
	s_delay_alu instid0(VALU_DEP_3) | instskip(NEXT) | instid1(VALU_DEP_3)
	v_add_f64 v[133:134], v[146:147], -v[148:149]
	v_fma_f64 v[148:149], v[150:151], s[2:3], -v[160:161]
	s_delay_alu instid0(VALU_DEP_2) | instskip(NEXT) | instid1(VALU_DEP_2)
	v_add_f64 v[133:134], v[144:145], -v[133:134]
	v_fma_f64 v[144:145], v[150:151], s[4:5], v[148:149]
	s_delay_alu instid0(VALU_DEP_2) | instskip(NEXT) | instid1(VALU_DEP_2)
	v_add_f64 v[131:132], v[131:132], v[133:134]
	v_add_f64 v[133:134], v[160:161], v[144:145]
	s_delay_alu instid0(VALU_DEP_2) | instskip(NEXT) | instid1(VALU_DEP_2)
	v_add_f64 v[148:149], v[146:147], v[131:132]
	v_add_f64 v[160:161], v[133:134], -v[160:161]
	s_delay_alu instid0(VALU_DEP_2) | instskip(SKIP_1) | instid1(VALU_DEP_3)
	v_add_f64 v[150:151], v[133:134], v[148:149]
	v_add_f64 v[146:147], v[148:149], -v[146:147]
	v_add_f64 v[144:145], v[144:145], -v[160:161]
	s_delay_alu instid0(VALU_DEP_3) | instskip(NEXT) | instid1(VALU_DEP_3)
	v_add_f64 v[162:163], v[150:151], -v[133:134]
	v_add_f64 v[131:132], v[131:132], -v[146:147]
	s_delay_alu instid0(VALU_DEP_2) | instskip(SKIP_1) | instid1(VALU_DEP_3)
	v_add_f64 v[164:165], v[150:151], -v[162:163]
	v_add_f64 v[146:147], v[148:149], -v[162:163]
	v_add_f64 v[148:149], v[144:145], v[131:132]
	s_delay_alu instid0(VALU_DEP_3) | instskip(NEXT) | instid1(VALU_DEP_1)
	v_add_f64 v[133:134], v[133:134], -v[164:165]
	v_add_f64 v[133:134], v[146:147], v[133:134]
	s_delay_alu instid0(VALU_DEP_3) | instskip(NEXT) | instid1(VALU_DEP_2)
	v_add_f64 v[146:147], v[148:149], -v[144:145]
	v_add_f64 v[133:134], v[148:149], v[133:134]
	s_delay_alu instid0(VALU_DEP_2) | instskip(SKIP_1) | instid1(VALU_DEP_3)
	v_add_f64 v[148:149], v[148:149], -v[146:147]
	v_add_f64 v[131:132], v[131:132], -v[146:147]
	v_add_f64 v[160:161], v[150:151], v[133:134]
	s_delay_alu instid0(VALU_DEP_3) | instskip(NEXT) | instid1(VALU_DEP_2)
	v_add_f64 v[144:145], v[144:145], -v[148:149]
	v_add_f64 v[146:147], v[160:161], -v[150:151]
	s_delay_alu instid0(VALU_DEP_2) | instskip(NEXT) | instid1(VALU_DEP_2)
	v_add_f64 v[131:132], v[131:132], v[144:145]
	v_add_f64 v[133:134], v[133:134], -v[146:147]
	s_delay_alu instid0(VALU_DEP_1) | instskip(NEXT) | instid1(VALU_DEP_1)
	v_add_f64 v[131:132], v[131:132], v[133:134]
	v_add_f64 v[131:132], v[160:161], v[131:132]
	s_delay_alu instid0(VALU_DEP_1) | instskip(SKIP_1) | instid1(VALU_DEP_2)
	v_dual_cndmask_b32 v131, v131, v16 :: v_dual_cndmask_b32 v132, v132, v17
	v_cmp_ngt_f64_e32 vcc_lo, -1.0, v[16:17]
	v_cndmask_b32_e32 v132, 0x7ff80000, v132, vcc_lo
	v_cmp_nge_f64_e32 vcc_lo, -1.0, v[16:17]
	s_delay_alu instid0(VALU_DEP_4) | instskip(SKIP_1) | instid1(VALU_DEP_4)
	v_cndmask_b32_e32 v131, 0, v131, vcc_lo
	v_cmp_neq_f64_e32 vcc_lo, -1.0, v[16:17]
	v_cndmask_b32_e32 v132, 0xfff00000, v132, vcc_lo
	s_delay_alu instid0(VALU_DEP_1)
	v_add_f64 v[16:17], v[18:19], v[131:132]
.LBB8_235:
	s_or_b32 exec_lo, exec_lo, s6
	s_delay_alu instid0(VALU_DEP_1) | instskip(SKIP_1) | instid1(VALU_DEP_2)
	v_max_f64 v[18:19], v[16:17], v[16:17]
	v_cmp_u_f64_e32 vcc_lo, v[16:17], v[16:17]
	v_min_f64 v[131:132], v[18:19], v[20:21]
	v_max_f64 v[18:19], v[18:19], v[20:21]
	s_delay_alu instid0(VALU_DEP_2) | instskip(NEXT) | instid1(VALU_DEP_2)
	v_dual_cndmask_b32 v20, v131, v16 :: v_dual_cndmask_b32 v21, v132, v17
	v_dual_cndmask_b32 v19, v19, v17 :: v_dual_cndmask_b32 v18, v18, v16
	s_delay_alu instid0(VALU_DEP_2) | instskip(NEXT) | instid1(VALU_DEP_3)
	v_cndmask_b32_e64 v131, v20, v98, s7
	v_cndmask_b32_e64 v132, v21, v99, s7
	s_delay_alu instid0(VALU_DEP_3) | instskip(NEXT) | instid1(VALU_DEP_4)
	v_cndmask_b32_e64 v21, v19, v99, s7
	v_cndmask_b32_e64 v20, v18, v98, s7
	v_dual_mov_b32 v19, v17 :: v_dual_mov_b32 v18, v16
	s_delay_alu instid0(VALU_DEP_4) | instskip(NEXT) | instid1(VALU_DEP_3)
	v_cmp_class_f64_e64 s1, v[131:132], 0x1f8
	v_cmp_neq_f64_e32 vcc_lo, v[131:132], v[20:21]
	s_delay_alu instid0(VALU_DEP_2) | instskip(NEXT) | instid1(SALU_CYCLE_1)
	s_or_b32 s1, vcc_lo, s1
	s_and_saveexec_b32 s12, s1
	s_cbranch_execz .LBB8_237
; %bb.236:
	v_add_f64 v[18:19], v[131:132], -v[20:21]
	s_mov_b32 s2, 0x652b82fe
	s_mov_b32 s3, 0x3ff71547
	;; [unrolled: 1-line block ×10, first 2 shown]
	s_delay_alu instid0(VALU_DEP_1) | instskip(SKIP_4) | instid1(VALU_DEP_3)
	v_mul_f64 v[131:132], v[18:19], s[2:3]
	s_mov_b32 s3, 0xbfe62e42
	s_mov_b32 s2, 0xfefa39ef
	v_cmp_nlt_f64_e32 vcc_lo, 0x40900000, v[18:19]
	v_cmp_ngt_f64_e64 s1, 0xc090cc00, v[18:19]
	v_rndne_f64_e32 v[131:132], v[131:132]
	s_delay_alu instid0(VALU_DEP_1) | instskip(SKIP_2) | instid1(VALU_DEP_2)
	v_fma_f64 v[133:134], v[131:132], s[2:3], v[18:19]
	v_cvt_i32_f64_e32 v146, v[131:132]
	s_mov_b32 s3, 0x3fe62e42
	v_fma_f64 v[133:134], v[131:132], s[4:5], v[133:134]
	s_mov_b32 s5, 0x3c7abc9e
	s_delay_alu instid0(VALU_DEP_1) | instskip(SKIP_4) | instid1(VALU_DEP_1)
	v_fma_f64 v[144:145], v[133:134], s[18:19], s[6:7]
	s_mov_b32 s6, 0x623fde64
	s_mov_b32 s7, 0x3ec71dee
	;; [unrolled: 1-line block ×4, first 2 shown]
	v_fma_f64 v[144:145], v[133:134], v[144:145], s[6:7]
	s_mov_b32 s6, 0x7c89e6b0
	s_mov_b32 s7, 0x3efa0199
	s_delay_alu instid0(VALU_DEP_1) | instid1(SALU_CYCLE_1)
	v_fma_f64 v[144:145], v[133:134], v[144:145], s[6:7]
	s_mov_b32 s6, 0x14761f6e
	s_mov_b32 s7, 0x3f2a01a0
	s_delay_alu instid0(VALU_DEP_1) | instid1(SALU_CYCLE_1)
	;; [unrolled: 4-line block ×7, first 2 shown]
	v_fma_f64 v[144:145], v[133:134], v[144:145], s[6:7]
	s_mov_b32 s7, 0x3fe55555
	s_mov_b32 s6, 0x55555555
	s_delay_alu instid0(VALU_DEP_1) | instskip(NEXT) | instid1(VALU_DEP_1)
	v_fma_f64 v[144:145], v[133:134], v[144:145], 1.0
	v_fma_f64 v[131:132], v[133:134], v[144:145], 1.0
	s_delay_alu instid0(VALU_DEP_1) | instskip(NEXT) | instid1(VALU_DEP_1)
	v_ldexp_f64 v[131:132], v[131:132], v146
	v_cndmask_b32_e32 v132, 0x7ff00000, v132, vcc_lo
	s_and_b32 vcc_lo, s1, vcc_lo
	s_delay_alu instid0(VALU_DEP_2) | instskip(NEXT) | instid1(VALU_DEP_2)
	v_cndmask_b32_e32 v18, 0, v131, vcc_lo
	v_cndmask_b32_e64 v19, 0, v132, s1
	s_delay_alu instid0(VALU_DEP_1) | instskip(NEXT) | instid1(VALU_DEP_1)
	v_add_f64 v[131:132], v[18:19], 1.0
	v_frexp_mant_f64_e32 v[133:134], v[131:132]
	v_frexp_exp_i32_f64_e32 v146, v[131:132]
	v_add_f64 v[144:145], v[131:132], -1.0
	s_delay_alu instid0(VALU_DEP_3) | instskip(SKIP_1) | instid1(VALU_DEP_2)
	v_cmp_gt_f64_e32 vcc_lo, s[6:7], v[133:134]
	s_mov_b32 s6, 0x55555780
	v_add_f64 v[133:134], v[144:145], -v[131:132]
	v_add_f64 v[144:145], v[18:19], -v[144:145]
	v_subrev_co_ci_u32_e32 v166, vcc_lo, 0, v146, vcc_lo
	s_delay_alu instid0(VALU_DEP_3) | instskip(SKIP_1) | instid1(VALU_DEP_3)
	v_add_f64 v[133:134], v[133:134], 1.0
	v_cmp_eq_f64_e32 vcc_lo, 0x7ff00000, v[18:19]
	v_sub_nc_u32_e32 v148, 0, v166
	s_delay_alu instid0(VALU_DEP_1) | instskip(NEXT) | instid1(VALU_DEP_4)
	v_ldexp_f64 v[131:132], v[131:132], v148
	v_add_f64 v[133:134], v[144:145], v[133:134]
	s_delay_alu instid0(VALU_DEP_2) | instskip(SKIP_1) | instid1(VALU_DEP_3)
	v_add_f64 v[146:147], v[131:132], 1.0
	v_add_f64 v[160:161], v[131:132], -1.0
	v_ldexp_f64 v[133:134], v[133:134], v148
	s_delay_alu instid0(VALU_DEP_3) | instskip(NEXT) | instid1(VALU_DEP_3)
	v_add_f64 v[144:145], v[146:147], -1.0
	v_add_f64 v[162:163], v[160:161], 1.0
	s_delay_alu instid0(VALU_DEP_2) | instskip(NEXT) | instid1(VALU_DEP_2)
	v_add_f64 v[144:145], v[131:132], -v[144:145]
	v_add_f64 v[131:132], v[131:132], -v[162:163]
	s_delay_alu instid0(VALU_DEP_2) | instskip(NEXT) | instid1(VALU_DEP_2)
	v_add_f64 v[144:145], v[133:134], v[144:145]
	v_add_f64 v[131:132], v[133:134], v[131:132]
	s_delay_alu instid0(VALU_DEP_2) | instskip(NEXT) | instid1(VALU_DEP_2)
	v_add_f64 v[148:149], v[146:147], v[144:145]
	v_add_f64 v[162:163], v[160:161], v[131:132]
	s_delay_alu instid0(VALU_DEP_2) | instskip(SKIP_1) | instid1(VALU_DEP_2)
	v_rcp_f64_e32 v[150:151], v[148:149]
	v_add_f64 v[146:147], v[148:149], -v[146:147]
	v_add_f64 v[160:161], v[162:163], -v[160:161]
	s_delay_alu instid0(VALU_DEP_2) | instskip(SKIP_3) | instid1(VALU_DEP_2)
	v_add_f64 v[144:145], v[144:145], -v[146:147]
	s_waitcnt_depctr 0xfff
	v_fma_f64 v[164:165], -v[148:149], v[150:151], 1.0
	v_add_f64 v[131:132], v[131:132], -v[160:161]
	v_fma_f64 v[150:151], v[164:165], v[150:151], v[150:151]
	s_delay_alu instid0(VALU_DEP_1) | instskip(NEXT) | instid1(VALU_DEP_1)
	v_fma_f64 v[133:134], -v[148:149], v[150:151], 1.0
	v_fma_f64 v[133:134], v[133:134], v[150:151], v[150:151]
	s_delay_alu instid0(VALU_DEP_1) | instskip(NEXT) | instid1(VALU_DEP_1)
	v_mul_f64 v[150:151], v[162:163], v[133:134]
	v_mul_f64 v[164:165], v[148:149], v[150:151]
	s_delay_alu instid0(VALU_DEP_1) | instskip(NEXT) | instid1(VALU_DEP_1)
	v_fma_f64 v[146:147], v[150:151], v[148:149], -v[164:165]
	v_fma_f64 v[146:147], v[150:151], v[144:145], v[146:147]
	s_delay_alu instid0(VALU_DEP_1) | instskip(NEXT) | instid1(VALU_DEP_1)
	v_add_f64 v[209:210], v[164:165], v[146:147]
	v_add_f64 v[211:212], v[162:163], -v[209:210]
	v_add_f64 v[160:161], v[209:210], -v[164:165]
	s_delay_alu instid0(VALU_DEP_2) | instskip(NEXT) | instid1(VALU_DEP_2)
	v_add_f64 v[162:163], v[162:163], -v[211:212]
	v_add_f64 v[146:147], v[160:161], -v[146:147]
	s_delay_alu instid0(VALU_DEP_2) | instskip(NEXT) | instid1(VALU_DEP_1)
	v_add_f64 v[162:163], v[162:163], -v[209:210]
	v_add_f64 v[131:132], v[131:132], v[162:163]
	s_delay_alu instid0(VALU_DEP_1) | instskip(NEXT) | instid1(VALU_DEP_1)
	v_add_f64 v[131:132], v[146:147], v[131:132]
	v_add_f64 v[146:147], v[211:212], v[131:132]
	s_delay_alu instid0(VALU_DEP_1) | instskip(SKIP_1) | instid1(VALU_DEP_2)
	v_mul_f64 v[160:161], v[133:134], v[146:147]
	v_add_f64 v[209:210], v[211:212], -v[146:147]
	v_mul_f64 v[162:163], v[148:149], v[160:161]
	s_delay_alu instid0(VALU_DEP_2) | instskip(NEXT) | instid1(VALU_DEP_2)
	v_add_f64 v[131:132], v[131:132], v[209:210]
	v_fma_f64 v[148:149], v[160:161], v[148:149], -v[162:163]
	s_delay_alu instid0(VALU_DEP_1) | instskip(NEXT) | instid1(VALU_DEP_1)
	v_fma_f64 v[144:145], v[160:161], v[144:145], v[148:149]
	v_add_f64 v[148:149], v[162:163], v[144:145]
	s_delay_alu instid0(VALU_DEP_1) | instskip(SKIP_1) | instid1(VALU_DEP_2)
	v_add_f64 v[164:165], v[146:147], -v[148:149]
	v_add_f64 v[162:163], v[148:149], -v[162:163]
	;; [unrolled: 1-line block ×3, first 2 shown]
	s_delay_alu instid0(VALU_DEP_2) | instskip(NEXT) | instid1(VALU_DEP_2)
	v_add_f64 v[144:145], v[162:163], -v[144:145]
	v_add_f64 v[146:147], v[146:147], -v[148:149]
	s_delay_alu instid0(VALU_DEP_1) | instskip(SKIP_1) | instid1(VALU_DEP_2)
	v_add_f64 v[131:132], v[131:132], v[146:147]
	v_add_f64 v[146:147], v[150:151], v[160:161]
	;; [unrolled: 1-line block ×3, first 2 shown]
	s_delay_alu instid0(VALU_DEP_2) | instskip(NEXT) | instid1(VALU_DEP_2)
	v_add_f64 v[144:145], v[146:147], -v[150:151]
	v_add_f64 v[131:132], v[164:165], v[131:132]
	s_delay_alu instid0(VALU_DEP_2) | instskip(NEXT) | instid1(VALU_DEP_2)
	v_add_f64 v[144:145], v[160:161], -v[144:145]
	v_mul_f64 v[131:132], v[133:134], v[131:132]
	s_delay_alu instid0(VALU_DEP_1) | instskip(NEXT) | instid1(VALU_DEP_1)
	v_add_f64 v[131:132], v[144:145], v[131:132]
	v_add_f64 v[133:134], v[146:147], v[131:132]
	s_delay_alu instid0(VALU_DEP_1) | instskip(NEXT) | instid1(VALU_DEP_1)
	v_mul_f64 v[144:145], v[133:134], v[133:134]
	v_fma_f64 v[148:149], v[144:145], s[20:21], s[18:19]
	s_mov_b32 s18, 0xd7f4df2e
	s_mov_b32 s19, 0x3fc7474d
	v_mul_f64 v[150:151], v[133:134], v[144:145]
	s_delay_alu instid0(VALU_DEP_2)
	v_fma_f64 v[148:149], v[144:145], v[148:149], s[18:19]
	s_mov_b32 s18, 0x16291751
	s_mov_b32 s19, 0x3fcc71c0
	s_delay_alu instid0(VALU_DEP_1) | instid1(SALU_CYCLE_1)
	v_fma_f64 v[148:149], v[144:145], v[148:149], s[18:19]
	s_mov_b32 s18, 0x9b27acf1
	s_mov_b32 s19, 0x3fd24924
	s_delay_alu instid0(VALU_DEP_1) | instid1(SALU_CYCLE_1)
	v_fma_f64 v[148:149], v[144:145], v[148:149], s[18:19]
	s_mov_b32 s18, 0x998ef7b6
	s_mov_b32 s19, 0x3fd99999
	s_delay_alu instid0(VALU_DEP_1) | instid1(SALU_CYCLE_1)
	v_fma_f64 v[148:149], v[144:145], v[148:149], s[18:19]
	s_delay_alu instid0(VALU_DEP_1) | instskip(SKIP_2) | instid1(VALU_DEP_3)
	v_fma_f64 v[144:145], v[144:145], v[148:149], s[6:7]
	v_ldexp_f64 v[148:149], v[133:134], 1
	v_add_f64 v[133:134], v[133:134], -v[146:147]
	v_mul_f64 v[144:145], v[150:151], v[144:145]
	v_cvt_f64_i32_e32 v[150:151], v166
	s_delay_alu instid0(VALU_DEP_3) | instskip(NEXT) | instid1(VALU_DEP_3)
	v_add_f64 v[131:132], v[131:132], -v[133:134]
	v_add_f64 v[146:147], v[148:149], v[144:145]
	s_delay_alu instid0(VALU_DEP_3) | instskip(NEXT) | instid1(VALU_DEP_3)
	v_mul_f64 v[160:161], v[150:151], s[2:3]
	v_ldexp_f64 v[131:132], v[131:132], 1
	s_delay_alu instid0(VALU_DEP_3) | instskip(NEXT) | instid1(VALU_DEP_3)
	v_add_f64 v[133:134], v[146:147], -v[148:149]
	v_fma_f64 v[148:149], v[150:151], s[2:3], -v[160:161]
	s_delay_alu instid0(VALU_DEP_2) | instskip(NEXT) | instid1(VALU_DEP_2)
	v_add_f64 v[133:134], v[144:145], -v[133:134]
	v_fma_f64 v[144:145], v[150:151], s[4:5], v[148:149]
	s_delay_alu instid0(VALU_DEP_2) | instskip(NEXT) | instid1(VALU_DEP_2)
	v_add_f64 v[131:132], v[131:132], v[133:134]
	v_add_f64 v[133:134], v[160:161], v[144:145]
	s_delay_alu instid0(VALU_DEP_2) | instskip(NEXT) | instid1(VALU_DEP_2)
	v_add_f64 v[148:149], v[146:147], v[131:132]
	v_add_f64 v[160:161], v[133:134], -v[160:161]
	s_delay_alu instid0(VALU_DEP_2) | instskip(SKIP_1) | instid1(VALU_DEP_3)
	v_add_f64 v[150:151], v[133:134], v[148:149]
	v_add_f64 v[146:147], v[148:149], -v[146:147]
	v_add_f64 v[144:145], v[144:145], -v[160:161]
	s_delay_alu instid0(VALU_DEP_3) | instskip(NEXT) | instid1(VALU_DEP_3)
	v_add_f64 v[162:163], v[150:151], -v[133:134]
	v_add_f64 v[131:132], v[131:132], -v[146:147]
	s_delay_alu instid0(VALU_DEP_2) | instskip(SKIP_1) | instid1(VALU_DEP_3)
	v_add_f64 v[164:165], v[150:151], -v[162:163]
	v_add_f64 v[146:147], v[148:149], -v[162:163]
	v_add_f64 v[148:149], v[144:145], v[131:132]
	s_delay_alu instid0(VALU_DEP_3) | instskip(NEXT) | instid1(VALU_DEP_1)
	v_add_f64 v[133:134], v[133:134], -v[164:165]
	v_add_f64 v[133:134], v[146:147], v[133:134]
	s_delay_alu instid0(VALU_DEP_3) | instskip(NEXT) | instid1(VALU_DEP_2)
	v_add_f64 v[146:147], v[148:149], -v[144:145]
	v_add_f64 v[133:134], v[148:149], v[133:134]
	s_delay_alu instid0(VALU_DEP_2) | instskip(SKIP_1) | instid1(VALU_DEP_3)
	v_add_f64 v[148:149], v[148:149], -v[146:147]
	v_add_f64 v[131:132], v[131:132], -v[146:147]
	v_add_f64 v[160:161], v[150:151], v[133:134]
	s_delay_alu instid0(VALU_DEP_3) | instskip(NEXT) | instid1(VALU_DEP_2)
	v_add_f64 v[144:145], v[144:145], -v[148:149]
	v_add_f64 v[146:147], v[160:161], -v[150:151]
	s_delay_alu instid0(VALU_DEP_2) | instskip(NEXT) | instid1(VALU_DEP_2)
	v_add_f64 v[131:132], v[131:132], v[144:145]
	v_add_f64 v[133:134], v[133:134], -v[146:147]
	s_delay_alu instid0(VALU_DEP_1) | instskip(NEXT) | instid1(VALU_DEP_1)
	v_add_f64 v[131:132], v[131:132], v[133:134]
	v_add_f64 v[131:132], v[160:161], v[131:132]
	s_delay_alu instid0(VALU_DEP_1) | instskip(SKIP_1) | instid1(VALU_DEP_2)
	v_dual_cndmask_b32 v131, v131, v18 :: v_dual_cndmask_b32 v132, v132, v19
	v_cmp_ngt_f64_e32 vcc_lo, -1.0, v[18:19]
	v_cndmask_b32_e32 v132, 0x7ff80000, v132, vcc_lo
	v_cmp_nge_f64_e32 vcc_lo, -1.0, v[18:19]
	s_delay_alu instid0(VALU_DEP_4) | instskip(SKIP_1) | instid1(VALU_DEP_4)
	v_cndmask_b32_e32 v131, 0, v131, vcc_lo
	v_cmp_neq_f64_e32 vcc_lo, -1.0, v[18:19]
	v_cndmask_b32_e32 v132, 0xfff00000, v132, vcc_lo
	s_delay_alu instid0(VALU_DEP_1)
	v_add_f64 v[18:19], v[20:21], v[131:132]
.LBB8_237:
	s_or_b32 exec_lo, exec_lo, s12
	s_delay_alu instid0(VALU_DEP_1) | instskip(SKIP_1) | instid1(VALU_DEP_2)
	v_max_f64 v[20:21], v[18:19], v[18:19]
	v_cmp_u_f64_e32 vcc_lo, v[18:19], v[18:19]
	v_min_f64 v[131:132], v[20:21], v[22:23]
	v_max_f64 v[20:21], v[20:21], v[22:23]
	s_delay_alu instid0(VALU_DEP_2) | instskip(NEXT) | instid1(VALU_DEP_2)
	v_dual_cndmask_b32 v22, v131, v18 :: v_dual_cndmask_b32 v23, v132, v19
	v_dual_cndmask_b32 v21, v21, v19 :: v_dual_cndmask_b32 v20, v20, v18
	s_delay_alu instid0(VALU_DEP_2) | instskip(NEXT) | instid1(VALU_DEP_3)
	v_cndmask_b32_e64 v131, v22, v84, s8
	v_cndmask_b32_e64 v132, v23, v85, s8
	s_delay_alu instid0(VALU_DEP_3) | instskip(NEXT) | instid1(VALU_DEP_4)
	v_cndmask_b32_e64 v23, v21, v85, s8
	v_cndmask_b32_e64 v22, v20, v84, s8
	v_dual_mov_b32 v21, v19 :: v_dual_mov_b32 v20, v18
	s_delay_alu instid0(VALU_DEP_4) | instskip(NEXT) | instid1(VALU_DEP_3)
	v_cmp_class_f64_e64 s1, v[131:132], 0x1f8
	v_cmp_neq_f64_e32 vcc_lo, v[131:132], v[22:23]
	s_delay_alu instid0(VALU_DEP_2) | instskip(NEXT) | instid1(SALU_CYCLE_1)
	s_or_b32 s1, vcc_lo, s1
	s_and_saveexec_b32 s8, s1
	s_cbranch_execz .LBB8_239
; %bb.238:
	v_add_f64 v[20:21], v[131:132], -v[22:23]
	s_mov_b32 s2, 0x652b82fe
	s_mov_b32 s3, 0x3ff71547
	;; [unrolled: 1-line block ×10, first 2 shown]
	s_delay_alu instid0(VALU_DEP_1) | instskip(SKIP_4) | instid1(VALU_DEP_3)
	v_mul_f64 v[131:132], v[20:21], s[2:3]
	s_mov_b32 s3, 0xbfe62e42
	s_mov_b32 s2, 0xfefa39ef
	v_cmp_nlt_f64_e32 vcc_lo, 0x40900000, v[20:21]
	v_cmp_ngt_f64_e64 s1, 0xc090cc00, v[20:21]
	v_rndne_f64_e32 v[131:132], v[131:132]
	s_delay_alu instid0(VALU_DEP_1) | instskip(SKIP_2) | instid1(VALU_DEP_2)
	v_fma_f64 v[133:134], v[131:132], s[2:3], v[20:21]
	v_cvt_i32_f64_e32 v146, v[131:132]
	s_mov_b32 s3, 0x3fe62e42
	v_fma_f64 v[133:134], v[131:132], s[4:5], v[133:134]
	s_mov_b32 s5, 0x3c7abc9e
	s_delay_alu instid0(VALU_DEP_1) | instskip(SKIP_4) | instid1(VALU_DEP_1)
	v_fma_f64 v[144:145], v[133:134], s[18:19], s[6:7]
	s_mov_b32 s6, 0x623fde64
	s_mov_b32 s7, 0x3ec71dee
	;; [unrolled: 1-line block ×4, first 2 shown]
	v_fma_f64 v[144:145], v[133:134], v[144:145], s[6:7]
	s_mov_b32 s6, 0x7c89e6b0
	s_mov_b32 s7, 0x3efa0199
	s_delay_alu instid0(VALU_DEP_1) | instid1(SALU_CYCLE_1)
	v_fma_f64 v[144:145], v[133:134], v[144:145], s[6:7]
	s_mov_b32 s6, 0x14761f6e
	s_mov_b32 s7, 0x3f2a01a0
	s_delay_alu instid0(VALU_DEP_1) | instid1(SALU_CYCLE_1)
	;; [unrolled: 4-line block ×7, first 2 shown]
	v_fma_f64 v[144:145], v[133:134], v[144:145], s[6:7]
	s_mov_b32 s7, 0x3fe55555
	s_mov_b32 s6, 0x55555555
	s_delay_alu instid0(VALU_DEP_1) | instskip(NEXT) | instid1(VALU_DEP_1)
	v_fma_f64 v[144:145], v[133:134], v[144:145], 1.0
	v_fma_f64 v[131:132], v[133:134], v[144:145], 1.0
	s_delay_alu instid0(VALU_DEP_1) | instskip(NEXT) | instid1(VALU_DEP_1)
	v_ldexp_f64 v[131:132], v[131:132], v146
	v_cndmask_b32_e32 v132, 0x7ff00000, v132, vcc_lo
	s_and_b32 vcc_lo, s1, vcc_lo
	s_delay_alu instid0(VALU_DEP_2) | instskip(NEXT) | instid1(VALU_DEP_2)
	v_cndmask_b32_e32 v20, 0, v131, vcc_lo
	v_cndmask_b32_e64 v21, 0, v132, s1
	s_delay_alu instid0(VALU_DEP_1) | instskip(NEXT) | instid1(VALU_DEP_1)
	v_add_f64 v[131:132], v[20:21], 1.0
	v_frexp_mant_f64_e32 v[133:134], v[131:132]
	v_frexp_exp_i32_f64_e32 v146, v[131:132]
	v_add_f64 v[144:145], v[131:132], -1.0
	s_delay_alu instid0(VALU_DEP_3) | instskip(SKIP_1) | instid1(VALU_DEP_2)
	v_cmp_gt_f64_e32 vcc_lo, s[6:7], v[133:134]
	s_mov_b32 s6, 0x55555780
	v_add_f64 v[133:134], v[144:145], -v[131:132]
	v_add_f64 v[144:145], v[20:21], -v[144:145]
	v_subrev_co_ci_u32_e32 v166, vcc_lo, 0, v146, vcc_lo
	s_delay_alu instid0(VALU_DEP_3) | instskip(SKIP_1) | instid1(VALU_DEP_3)
	v_add_f64 v[133:134], v[133:134], 1.0
	v_cmp_eq_f64_e32 vcc_lo, 0x7ff00000, v[20:21]
	v_sub_nc_u32_e32 v148, 0, v166
	s_delay_alu instid0(VALU_DEP_1) | instskip(NEXT) | instid1(VALU_DEP_4)
	v_ldexp_f64 v[131:132], v[131:132], v148
	v_add_f64 v[133:134], v[144:145], v[133:134]
	s_delay_alu instid0(VALU_DEP_2) | instskip(SKIP_1) | instid1(VALU_DEP_3)
	v_add_f64 v[146:147], v[131:132], 1.0
	v_add_f64 v[160:161], v[131:132], -1.0
	v_ldexp_f64 v[133:134], v[133:134], v148
	s_delay_alu instid0(VALU_DEP_3) | instskip(NEXT) | instid1(VALU_DEP_3)
	v_add_f64 v[144:145], v[146:147], -1.0
	v_add_f64 v[162:163], v[160:161], 1.0
	s_delay_alu instid0(VALU_DEP_2) | instskip(NEXT) | instid1(VALU_DEP_2)
	v_add_f64 v[144:145], v[131:132], -v[144:145]
	v_add_f64 v[131:132], v[131:132], -v[162:163]
	s_delay_alu instid0(VALU_DEP_2) | instskip(NEXT) | instid1(VALU_DEP_2)
	v_add_f64 v[144:145], v[133:134], v[144:145]
	v_add_f64 v[131:132], v[133:134], v[131:132]
	s_delay_alu instid0(VALU_DEP_2) | instskip(NEXT) | instid1(VALU_DEP_2)
	v_add_f64 v[148:149], v[146:147], v[144:145]
	v_add_f64 v[162:163], v[160:161], v[131:132]
	s_delay_alu instid0(VALU_DEP_2) | instskip(SKIP_1) | instid1(VALU_DEP_2)
	v_rcp_f64_e32 v[150:151], v[148:149]
	v_add_f64 v[146:147], v[148:149], -v[146:147]
	v_add_f64 v[160:161], v[162:163], -v[160:161]
	s_delay_alu instid0(VALU_DEP_2) | instskip(SKIP_3) | instid1(VALU_DEP_2)
	v_add_f64 v[144:145], v[144:145], -v[146:147]
	s_waitcnt_depctr 0xfff
	v_fma_f64 v[164:165], -v[148:149], v[150:151], 1.0
	v_add_f64 v[131:132], v[131:132], -v[160:161]
	v_fma_f64 v[150:151], v[164:165], v[150:151], v[150:151]
	s_delay_alu instid0(VALU_DEP_1) | instskip(NEXT) | instid1(VALU_DEP_1)
	v_fma_f64 v[133:134], -v[148:149], v[150:151], 1.0
	v_fma_f64 v[133:134], v[133:134], v[150:151], v[150:151]
	s_delay_alu instid0(VALU_DEP_1) | instskip(NEXT) | instid1(VALU_DEP_1)
	v_mul_f64 v[150:151], v[162:163], v[133:134]
	v_mul_f64 v[164:165], v[148:149], v[150:151]
	s_delay_alu instid0(VALU_DEP_1) | instskip(NEXT) | instid1(VALU_DEP_1)
	v_fma_f64 v[146:147], v[150:151], v[148:149], -v[164:165]
	v_fma_f64 v[146:147], v[150:151], v[144:145], v[146:147]
	s_delay_alu instid0(VALU_DEP_1) | instskip(NEXT) | instid1(VALU_DEP_1)
	v_add_f64 v[209:210], v[164:165], v[146:147]
	v_add_f64 v[211:212], v[162:163], -v[209:210]
	v_add_f64 v[160:161], v[209:210], -v[164:165]
	s_delay_alu instid0(VALU_DEP_2) | instskip(NEXT) | instid1(VALU_DEP_2)
	v_add_f64 v[162:163], v[162:163], -v[211:212]
	v_add_f64 v[146:147], v[160:161], -v[146:147]
	s_delay_alu instid0(VALU_DEP_2) | instskip(NEXT) | instid1(VALU_DEP_1)
	v_add_f64 v[162:163], v[162:163], -v[209:210]
	v_add_f64 v[131:132], v[131:132], v[162:163]
	s_delay_alu instid0(VALU_DEP_1) | instskip(NEXT) | instid1(VALU_DEP_1)
	v_add_f64 v[131:132], v[146:147], v[131:132]
	v_add_f64 v[146:147], v[211:212], v[131:132]
	s_delay_alu instid0(VALU_DEP_1) | instskip(SKIP_1) | instid1(VALU_DEP_2)
	v_mul_f64 v[160:161], v[133:134], v[146:147]
	v_add_f64 v[209:210], v[211:212], -v[146:147]
	v_mul_f64 v[162:163], v[148:149], v[160:161]
	s_delay_alu instid0(VALU_DEP_2) | instskip(NEXT) | instid1(VALU_DEP_2)
	v_add_f64 v[131:132], v[131:132], v[209:210]
	v_fma_f64 v[148:149], v[160:161], v[148:149], -v[162:163]
	s_delay_alu instid0(VALU_DEP_1) | instskip(NEXT) | instid1(VALU_DEP_1)
	v_fma_f64 v[144:145], v[160:161], v[144:145], v[148:149]
	v_add_f64 v[148:149], v[162:163], v[144:145]
	s_delay_alu instid0(VALU_DEP_1) | instskip(SKIP_1) | instid1(VALU_DEP_2)
	v_add_f64 v[164:165], v[146:147], -v[148:149]
	v_add_f64 v[162:163], v[148:149], -v[162:163]
	;; [unrolled: 1-line block ×3, first 2 shown]
	s_delay_alu instid0(VALU_DEP_2) | instskip(NEXT) | instid1(VALU_DEP_2)
	v_add_f64 v[144:145], v[162:163], -v[144:145]
	v_add_f64 v[146:147], v[146:147], -v[148:149]
	s_delay_alu instid0(VALU_DEP_1) | instskip(SKIP_1) | instid1(VALU_DEP_2)
	v_add_f64 v[131:132], v[131:132], v[146:147]
	v_add_f64 v[146:147], v[150:151], v[160:161]
	;; [unrolled: 1-line block ×3, first 2 shown]
	s_delay_alu instid0(VALU_DEP_2) | instskip(NEXT) | instid1(VALU_DEP_2)
	v_add_f64 v[144:145], v[146:147], -v[150:151]
	v_add_f64 v[131:132], v[164:165], v[131:132]
	s_delay_alu instid0(VALU_DEP_2) | instskip(NEXT) | instid1(VALU_DEP_2)
	v_add_f64 v[144:145], v[160:161], -v[144:145]
	v_mul_f64 v[131:132], v[133:134], v[131:132]
	s_delay_alu instid0(VALU_DEP_1) | instskip(NEXT) | instid1(VALU_DEP_1)
	v_add_f64 v[131:132], v[144:145], v[131:132]
	v_add_f64 v[133:134], v[146:147], v[131:132]
	s_delay_alu instid0(VALU_DEP_1) | instskip(NEXT) | instid1(VALU_DEP_1)
	v_mul_f64 v[144:145], v[133:134], v[133:134]
	v_fma_f64 v[148:149], v[144:145], s[20:21], s[18:19]
	s_mov_b32 s18, 0xd7f4df2e
	s_mov_b32 s19, 0x3fc7474d
	v_mul_f64 v[150:151], v[133:134], v[144:145]
	s_delay_alu instid0(VALU_DEP_2)
	v_fma_f64 v[148:149], v[144:145], v[148:149], s[18:19]
	s_mov_b32 s18, 0x16291751
	s_mov_b32 s19, 0x3fcc71c0
	s_delay_alu instid0(VALU_DEP_1) | instid1(SALU_CYCLE_1)
	v_fma_f64 v[148:149], v[144:145], v[148:149], s[18:19]
	s_mov_b32 s18, 0x9b27acf1
	s_mov_b32 s19, 0x3fd24924
	s_delay_alu instid0(VALU_DEP_1) | instid1(SALU_CYCLE_1)
	;; [unrolled: 4-line block ×3, first 2 shown]
	v_fma_f64 v[148:149], v[144:145], v[148:149], s[18:19]
	s_delay_alu instid0(VALU_DEP_1) | instskip(SKIP_2) | instid1(VALU_DEP_3)
	v_fma_f64 v[144:145], v[144:145], v[148:149], s[6:7]
	v_ldexp_f64 v[148:149], v[133:134], 1
	v_add_f64 v[133:134], v[133:134], -v[146:147]
	v_mul_f64 v[144:145], v[150:151], v[144:145]
	v_cvt_f64_i32_e32 v[150:151], v166
	s_delay_alu instid0(VALU_DEP_3) | instskip(NEXT) | instid1(VALU_DEP_3)
	v_add_f64 v[131:132], v[131:132], -v[133:134]
	v_add_f64 v[146:147], v[148:149], v[144:145]
	s_delay_alu instid0(VALU_DEP_3) | instskip(NEXT) | instid1(VALU_DEP_3)
	v_mul_f64 v[160:161], v[150:151], s[2:3]
	v_ldexp_f64 v[131:132], v[131:132], 1
	s_delay_alu instid0(VALU_DEP_3) | instskip(NEXT) | instid1(VALU_DEP_3)
	v_add_f64 v[133:134], v[146:147], -v[148:149]
	v_fma_f64 v[148:149], v[150:151], s[2:3], -v[160:161]
	s_delay_alu instid0(VALU_DEP_2) | instskip(NEXT) | instid1(VALU_DEP_2)
	v_add_f64 v[133:134], v[144:145], -v[133:134]
	v_fma_f64 v[144:145], v[150:151], s[4:5], v[148:149]
	s_delay_alu instid0(VALU_DEP_2) | instskip(NEXT) | instid1(VALU_DEP_2)
	v_add_f64 v[131:132], v[131:132], v[133:134]
	v_add_f64 v[133:134], v[160:161], v[144:145]
	s_delay_alu instid0(VALU_DEP_2) | instskip(NEXT) | instid1(VALU_DEP_2)
	v_add_f64 v[148:149], v[146:147], v[131:132]
	v_add_f64 v[160:161], v[133:134], -v[160:161]
	s_delay_alu instid0(VALU_DEP_2) | instskip(SKIP_1) | instid1(VALU_DEP_3)
	v_add_f64 v[150:151], v[133:134], v[148:149]
	v_add_f64 v[146:147], v[148:149], -v[146:147]
	v_add_f64 v[144:145], v[144:145], -v[160:161]
	s_delay_alu instid0(VALU_DEP_3) | instskip(NEXT) | instid1(VALU_DEP_3)
	v_add_f64 v[162:163], v[150:151], -v[133:134]
	v_add_f64 v[131:132], v[131:132], -v[146:147]
	s_delay_alu instid0(VALU_DEP_2) | instskip(SKIP_1) | instid1(VALU_DEP_3)
	v_add_f64 v[164:165], v[150:151], -v[162:163]
	v_add_f64 v[146:147], v[148:149], -v[162:163]
	v_add_f64 v[148:149], v[144:145], v[131:132]
	s_delay_alu instid0(VALU_DEP_3) | instskip(NEXT) | instid1(VALU_DEP_1)
	v_add_f64 v[133:134], v[133:134], -v[164:165]
	v_add_f64 v[133:134], v[146:147], v[133:134]
	s_delay_alu instid0(VALU_DEP_3) | instskip(NEXT) | instid1(VALU_DEP_2)
	v_add_f64 v[146:147], v[148:149], -v[144:145]
	v_add_f64 v[133:134], v[148:149], v[133:134]
	s_delay_alu instid0(VALU_DEP_2) | instskip(SKIP_1) | instid1(VALU_DEP_3)
	v_add_f64 v[148:149], v[148:149], -v[146:147]
	v_add_f64 v[131:132], v[131:132], -v[146:147]
	v_add_f64 v[160:161], v[150:151], v[133:134]
	s_delay_alu instid0(VALU_DEP_3) | instskip(NEXT) | instid1(VALU_DEP_2)
	v_add_f64 v[144:145], v[144:145], -v[148:149]
	v_add_f64 v[146:147], v[160:161], -v[150:151]
	s_delay_alu instid0(VALU_DEP_2) | instskip(NEXT) | instid1(VALU_DEP_2)
	v_add_f64 v[131:132], v[131:132], v[144:145]
	v_add_f64 v[133:134], v[133:134], -v[146:147]
	s_delay_alu instid0(VALU_DEP_1) | instskip(NEXT) | instid1(VALU_DEP_1)
	v_add_f64 v[131:132], v[131:132], v[133:134]
	v_add_f64 v[131:132], v[160:161], v[131:132]
	s_delay_alu instid0(VALU_DEP_1) | instskip(SKIP_1) | instid1(VALU_DEP_2)
	v_dual_cndmask_b32 v131, v131, v20 :: v_dual_cndmask_b32 v132, v132, v21
	v_cmp_ngt_f64_e32 vcc_lo, -1.0, v[20:21]
	v_cndmask_b32_e32 v132, 0x7ff80000, v132, vcc_lo
	v_cmp_nge_f64_e32 vcc_lo, -1.0, v[20:21]
	s_delay_alu instid0(VALU_DEP_4) | instskip(SKIP_1) | instid1(VALU_DEP_4)
	v_cndmask_b32_e32 v131, 0, v131, vcc_lo
	v_cmp_neq_f64_e32 vcc_lo, -1.0, v[20:21]
	v_cndmask_b32_e32 v132, 0xfff00000, v132, vcc_lo
	s_delay_alu instid0(VALU_DEP_1)
	v_add_f64 v[20:21], v[22:23], v[131:132]
.LBB8_239:
	s_or_b32 exec_lo, exec_lo, s8
	s_delay_alu instid0(VALU_DEP_1) | instskip(SKIP_1) | instid1(VALU_DEP_2)
	v_max_f64 v[22:23], v[20:21], v[20:21]
	v_cmp_u_f64_e32 vcc_lo, v[20:21], v[20:21]
	v_min_f64 v[131:132], v[22:23], v[24:25]
	v_max_f64 v[22:23], v[22:23], v[24:25]
	s_delay_alu instid0(VALU_DEP_2) | instskip(NEXT) | instid1(VALU_DEP_2)
	v_dual_cndmask_b32 v24, v131, v20 :: v_dual_cndmask_b32 v25, v132, v21
	v_dual_cndmask_b32 v23, v23, v21 :: v_dual_cndmask_b32 v22, v22, v20
	s_delay_alu instid0(VALU_DEP_2) | instskip(NEXT) | instid1(VALU_DEP_3)
	v_cndmask_b32_e64 v131, v24, v86, s9
	v_cndmask_b32_e64 v132, v25, v87, s9
	s_delay_alu instid0(VALU_DEP_3) | instskip(NEXT) | instid1(VALU_DEP_4)
	v_cndmask_b32_e64 v25, v23, v87, s9
	v_cndmask_b32_e64 v24, v22, v86, s9
	v_dual_mov_b32 v23, v21 :: v_dual_mov_b32 v22, v20
	s_delay_alu instid0(VALU_DEP_4) | instskip(NEXT) | instid1(VALU_DEP_3)
	v_cmp_class_f64_e64 s1, v[131:132], 0x1f8
	v_cmp_neq_f64_e32 vcc_lo, v[131:132], v[24:25]
	s_delay_alu instid0(VALU_DEP_2) | instskip(NEXT) | instid1(SALU_CYCLE_1)
	s_or_b32 s1, vcc_lo, s1
	s_and_saveexec_b32 s8, s1
	s_cbranch_execz .LBB8_241
; %bb.240:
	v_add_f64 v[22:23], v[131:132], -v[24:25]
	s_mov_b32 s2, 0x652b82fe
	s_mov_b32 s3, 0x3ff71547
	;; [unrolled: 1-line block ×10, first 2 shown]
	s_delay_alu instid0(VALU_DEP_1) | instskip(SKIP_4) | instid1(VALU_DEP_3)
	v_mul_f64 v[131:132], v[22:23], s[2:3]
	s_mov_b32 s3, 0xbfe62e42
	s_mov_b32 s2, 0xfefa39ef
	v_cmp_nlt_f64_e32 vcc_lo, 0x40900000, v[22:23]
	v_cmp_ngt_f64_e64 s1, 0xc090cc00, v[22:23]
	v_rndne_f64_e32 v[131:132], v[131:132]
	s_delay_alu instid0(VALU_DEP_1) | instskip(SKIP_2) | instid1(VALU_DEP_2)
	v_fma_f64 v[133:134], v[131:132], s[2:3], v[22:23]
	v_cvt_i32_f64_e32 v146, v[131:132]
	s_mov_b32 s3, 0x3fe62e42
	v_fma_f64 v[133:134], v[131:132], s[4:5], v[133:134]
	s_mov_b32 s5, 0x3c7abc9e
	s_delay_alu instid0(VALU_DEP_1) | instskip(SKIP_4) | instid1(VALU_DEP_1)
	v_fma_f64 v[144:145], v[133:134], s[18:19], s[6:7]
	s_mov_b32 s6, 0x623fde64
	s_mov_b32 s7, 0x3ec71dee
	;; [unrolled: 1-line block ×4, first 2 shown]
	v_fma_f64 v[144:145], v[133:134], v[144:145], s[6:7]
	s_mov_b32 s6, 0x7c89e6b0
	s_mov_b32 s7, 0x3efa0199
	s_delay_alu instid0(VALU_DEP_1) | instid1(SALU_CYCLE_1)
	v_fma_f64 v[144:145], v[133:134], v[144:145], s[6:7]
	s_mov_b32 s6, 0x14761f6e
	s_mov_b32 s7, 0x3f2a01a0
	s_delay_alu instid0(VALU_DEP_1) | instid1(SALU_CYCLE_1)
	;; [unrolled: 4-line block ×7, first 2 shown]
	v_fma_f64 v[144:145], v[133:134], v[144:145], s[6:7]
	s_mov_b32 s7, 0x3fe55555
	s_mov_b32 s6, 0x55555555
	s_delay_alu instid0(VALU_DEP_1) | instskip(NEXT) | instid1(VALU_DEP_1)
	v_fma_f64 v[144:145], v[133:134], v[144:145], 1.0
	v_fma_f64 v[131:132], v[133:134], v[144:145], 1.0
	s_delay_alu instid0(VALU_DEP_1) | instskip(NEXT) | instid1(VALU_DEP_1)
	v_ldexp_f64 v[131:132], v[131:132], v146
	v_cndmask_b32_e32 v132, 0x7ff00000, v132, vcc_lo
	s_and_b32 vcc_lo, s1, vcc_lo
	s_delay_alu instid0(VALU_DEP_2) | instskip(NEXT) | instid1(VALU_DEP_2)
	v_cndmask_b32_e32 v22, 0, v131, vcc_lo
	v_cndmask_b32_e64 v23, 0, v132, s1
	s_delay_alu instid0(VALU_DEP_1) | instskip(NEXT) | instid1(VALU_DEP_1)
	v_add_f64 v[131:132], v[22:23], 1.0
	v_frexp_mant_f64_e32 v[133:134], v[131:132]
	v_frexp_exp_i32_f64_e32 v146, v[131:132]
	v_add_f64 v[144:145], v[131:132], -1.0
	s_delay_alu instid0(VALU_DEP_3) | instskip(SKIP_1) | instid1(VALU_DEP_2)
	v_cmp_gt_f64_e32 vcc_lo, s[6:7], v[133:134]
	s_mov_b32 s6, 0x55555780
	v_add_f64 v[133:134], v[144:145], -v[131:132]
	v_add_f64 v[144:145], v[22:23], -v[144:145]
	v_subrev_co_ci_u32_e32 v166, vcc_lo, 0, v146, vcc_lo
	s_delay_alu instid0(VALU_DEP_3) | instskip(SKIP_1) | instid1(VALU_DEP_3)
	v_add_f64 v[133:134], v[133:134], 1.0
	v_cmp_eq_f64_e32 vcc_lo, 0x7ff00000, v[22:23]
	v_sub_nc_u32_e32 v148, 0, v166
	s_delay_alu instid0(VALU_DEP_1) | instskip(NEXT) | instid1(VALU_DEP_4)
	v_ldexp_f64 v[131:132], v[131:132], v148
	v_add_f64 v[133:134], v[144:145], v[133:134]
	s_delay_alu instid0(VALU_DEP_2) | instskip(SKIP_1) | instid1(VALU_DEP_3)
	v_add_f64 v[146:147], v[131:132], 1.0
	v_add_f64 v[160:161], v[131:132], -1.0
	v_ldexp_f64 v[133:134], v[133:134], v148
	s_delay_alu instid0(VALU_DEP_3) | instskip(NEXT) | instid1(VALU_DEP_3)
	v_add_f64 v[144:145], v[146:147], -1.0
	v_add_f64 v[162:163], v[160:161], 1.0
	s_delay_alu instid0(VALU_DEP_2) | instskip(NEXT) | instid1(VALU_DEP_2)
	v_add_f64 v[144:145], v[131:132], -v[144:145]
	v_add_f64 v[131:132], v[131:132], -v[162:163]
	s_delay_alu instid0(VALU_DEP_2) | instskip(NEXT) | instid1(VALU_DEP_2)
	v_add_f64 v[144:145], v[133:134], v[144:145]
	v_add_f64 v[131:132], v[133:134], v[131:132]
	s_delay_alu instid0(VALU_DEP_2) | instskip(NEXT) | instid1(VALU_DEP_2)
	v_add_f64 v[148:149], v[146:147], v[144:145]
	v_add_f64 v[162:163], v[160:161], v[131:132]
	s_delay_alu instid0(VALU_DEP_2) | instskip(SKIP_1) | instid1(VALU_DEP_2)
	v_rcp_f64_e32 v[150:151], v[148:149]
	v_add_f64 v[146:147], v[148:149], -v[146:147]
	v_add_f64 v[160:161], v[162:163], -v[160:161]
	s_delay_alu instid0(VALU_DEP_2) | instskip(SKIP_3) | instid1(VALU_DEP_2)
	v_add_f64 v[144:145], v[144:145], -v[146:147]
	s_waitcnt_depctr 0xfff
	v_fma_f64 v[164:165], -v[148:149], v[150:151], 1.0
	v_add_f64 v[131:132], v[131:132], -v[160:161]
	v_fma_f64 v[150:151], v[164:165], v[150:151], v[150:151]
	s_delay_alu instid0(VALU_DEP_1) | instskip(NEXT) | instid1(VALU_DEP_1)
	v_fma_f64 v[133:134], -v[148:149], v[150:151], 1.0
	v_fma_f64 v[133:134], v[133:134], v[150:151], v[150:151]
	s_delay_alu instid0(VALU_DEP_1) | instskip(NEXT) | instid1(VALU_DEP_1)
	v_mul_f64 v[150:151], v[162:163], v[133:134]
	v_mul_f64 v[164:165], v[148:149], v[150:151]
	s_delay_alu instid0(VALU_DEP_1) | instskip(NEXT) | instid1(VALU_DEP_1)
	v_fma_f64 v[146:147], v[150:151], v[148:149], -v[164:165]
	v_fma_f64 v[146:147], v[150:151], v[144:145], v[146:147]
	s_delay_alu instid0(VALU_DEP_1) | instskip(NEXT) | instid1(VALU_DEP_1)
	v_add_f64 v[209:210], v[164:165], v[146:147]
	v_add_f64 v[211:212], v[162:163], -v[209:210]
	v_add_f64 v[160:161], v[209:210], -v[164:165]
	s_delay_alu instid0(VALU_DEP_2) | instskip(NEXT) | instid1(VALU_DEP_2)
	v_add_f64 v[162:163], v[162:163], -v[211:212]
	v_add_f64 v[146:147], v[160:161], -v[146:147]
	s_delay_alu instid0(VALU_DEP_2) | instskip(NEXT) | instid1(VALU_DEP_1)
	v_add_f64 v[162:163], v[162:163], -v[209:210]
	v_add_f64 v[131:132], v[131:132], v[162:163]
	s_delay_alu instid0(VALU_DEP_1) | instskip(NEXT) | instid1(VALU_DEP_1)
	v_add_f64 v[131:132], v[146:147], v[131:132]
	v_add_f64 v[146:147], v[211:212], v[131:132]
	s_delay_alu instid0(VALU_DEP_1) | instskip(SKIP_1) | instid1(VALU_DEP_2)
	v_mul_f64 v[160:161], v[133:134], v[146:147]
	v_add_f64 v[209:210], v[211:212], -v[146:147]
	v_mul_f64 v[162:163], v[148:149], v[160:161]
	s_delay_alu instid0(VALU_DEP_2) | instskip(NEXT) | instid1(VALU_DEP_2)
	v_add_f64 v[131:132], v[131:132], v[209:210]
	v_fma_f64 v[148:149], v[160:161], v[148:149], -v[162:163]
	s_delay_alu instid0(VALU_DEP_1) | instskip(NEXT) | instid1(VALU_DEP_1)
	v_fma_f64 v[144:145], v[160:161], v[144:145], v[148:149]
	v_add_f64 v[148:149], v[162:163], v[144:145]
	s_delay_alu instid0(VALU_DEP_1) | instskip(SKIP_1) | instid1(VALU_DEP_2)
	v_add_f64 v[164:165], v[146:147], -v[148:149]
	v_add_f64 v[162:163], v[148:149], -v[162:163]
	;; [unrolled: 1-line block ×3, first 2 shown]
	s_delay_alu instid0(VALU_DEP_2) | instskip(NEXT) | instid1(VALU_DEP_2)
	v_add_f64 v[144:145], v[162:163], -v[144:145]
	v_add_f64 v[146:147], v[146:147], -v[148:149]
	s_delay_alu instid0(VALU_DEP_1) | instskip(SKIP_1) | instid1(VALU_DEP_2)
	v_add_f64 v[131:132], v[131:132], v[146:147]
	v_add_f64 v[146:147], v[150:151], v[160:161]
	;; [unrolled: 1-line block ×3, first 2 shown]
	s_delay_alu instid0(VALU_DEP_2) | instskip(NEXT) | instid1(VALU_DEP_2)
	v_add_f64 v[144:145], v[146:147], -v[150:151]
	v_add_f64 v[131:132], v[164:165], v[131:132]
	s_delay_alu instid0(VALU_DEP_2) | instskip(NEXT) | instid1(VALU_DEP_2)
	v_add_f64 v[144:145], v[160:161], -v[144:145]
	v_mul_f64 v[131:132], v[133:134], v[131:132]
	s_delay_alu instid0(VALU_DEP_1) | instskip(NEXT) | instid1(VALU_DEP_1)
	v_add_f64 v[131:132], v[144:145], v[131:132]
	v_add_f64 v[133:134], v[146:147], v[131:132]
	s_delay_alu instid0(VALU_DEP_1) | instskip(NEXT) | instid1(VALU_DEP_1)
	v_mul_f64 v[144:145], v[133:134], v[133:134]
	v_fma_f64 v[148:149], v[144:145], s[20:21], s[18:19]
	s_mov_b32 s18, 0xd7f4df2e
	s_mov_b32 s19, 0x3fc7474d
	v_mul_f64 v[150:151], v[133:134], v[144:145]
	s_delay_alu instid0(VALU_DEP_2)
	v_fma_f64 v[148:149], v[144:145], v[148:149], s[18:19]
	s_mov_b32 s18, 0x16291751
	s_mov_b32 s19, 0x3fcc71c0
	s_delay_alu instid0(VALU_DEP_1) | instid1(SALU_CYCLE_1)
	v_fma_f64 v[148:149], v[144:145], v[148:149], s[18:19]
	s_mov_b32 s18, 0x9b27acf1
	s_mov_b32 s19, 0x3fd24924
	s_delay_alu instid0(VALU_DEP_1) | instid1(SALU_CYCLE_1)
	v_fma_f64 v[148:149], v[144:145], v[148:149], s[18:19]
	s_mov_b32 s18, 0x998ef7b6
	s_mov_b32 s19, 0x3fd99999
	s_delay_alu instid0(VALU_DEP_1) | instid1(SALU_CYCLE_1)
	v_fma_f64 v[148:149], v[144:145], v[148:149], s[18:19]
	s_delay_alu instid0(VALU_DEP_1) | instskip(SKIP_2) | instid1(VALU_DEP_3)
	v_fma_f64 v[144:145], v[144:145], v[148:149], s[6:7]
	v_ldexp_f64 v[148:149], v[133:134], 1
	v_add_f64 v[133:134], v[133:134], -v[146:147]
	v_mul_f64 v[144:145], v[150:151], v[144:145]
	v_cvt_f64_i32_e32 v[150:151], v166
	s_delay_alu instid0(VALU_DEP_3) | instskip(NEXT) | instid1(VALU_DEP_3)
	v_add_f64 v[131:132], v[131:132], -v[133:134]
	v_add_f64 v[146:147], v[148:149], v[144:145]
	s_delay_alu instid0(VALU_DEP_3) | instskip(NEXT) | instid1(VALU_DEP_3)
	v_mul_f64 v[160:161], v[150:151], s[2:3]
	v_ldexp_f64 v[131:132], v[131:132], 1
	s_delay_alu instid0(VALU_DEP_3) | instskip(NEXT) | instid1(VALU_DEP_3)
	v_add_f64 v[133:134], v[146:147], -v[148:149]
	v_fma_f64 v[148:149], v[150:151], s[2:3], -v[160:161]
	s_delay_alu instid0(VALU_DEP_2) | instskip(NEXT) | instid1(VALU_DEP_2)
	v_add_f64 v[133:134], v[144:145], -v[133:134]
	v_fma_f64 v[144:145], v[150:151], s[4:5], v[148:149]
	s_delay_alu instid0(VALU_DEP_2) | instskip(NEXT) | instid1(VALU_DEP_2)
	v_add_f64 v[131:132], v[131:132], v[133:134]
	v_add_f64 v[133:134], v[160:161], v[144:145]
	s_delay_alu instid0(VALU_DEP_2) | instskip(NEXT) | instid1(VALU_DEP_2)
	v_add_f64 v[148:149], v[146:147], v[131:132]
	v_add_f64 v[160:161], v[133:134], -v[160:161]
	s_delay_alu instid0(VALU_DEP_2) | instskip(SKIP_1) | instid1(VALU_DEP_3)
	v_add_f64 v[150:151], v[133:134], v[148:149]
	v_add_f64 v[146:147], v[148:149], -v[146:147]
	v_add_f64 v[144:145], v[144:145], -v[160:161]
	s_delay_alu instid0(VALU_DEP_3) | instskip(NEXT) | instid1(VALU_DEP_3)
	v_add_f64 v[162:163], v[150:151], -v[133:134]
	v_add_f64 v[131:132], v[131:132], -v[146:147]
	s_delay_alu instid0(VALU_DEP_2) | instskip(SKIP_1) | instid1(VALU_DEP_3)
	v_add_f64 v[164:165], v[150:151], -v[162:163]
	v_add_f64 v[146:147], v[148:149], -v[162:163]
	v_add_f64 v[148:149], v[144:145], v[131:132]
	s_delay_alu instid0(VALU_DEP_3) | instskip(NEXT) | instid1(VALU_DEP_1)
	v_add_f64 v[133:134], v[133:134], -v[164:165]
	v_add_f64 v[133:134], v[146:147], v[133:134]
	s_delay_alu instid0(VALU_DEP_3) | instskip(NEXT) | instid1(VALU_DEP_2)
	v_add_f64 v[146:147], v[148:149], -v[144:145]
	v_add_f64 v[133:134], v[148:149], v[133:134]
	s_delay_alu instid0(VALU_DEP_2) | instskip(SKIP_1) | instid1(VALU_DEP_3)
	v_add_f64 v[148:149], v[148:149], -v[146:147]
	v_add_f64 v[131:132], v[131:132], -v[146:147]
	v_add_f64 v[160:161], v[150:151], v[133:134]
	s_delay_alu instid0(VALU_DEP_3) | instskip(NEXT) | instid1(VALU_DEP_2)
	v_add_f64 v[144:145], v[144:145], -v[148:149]
	v_add_f64 v[146:147], v[160:161], -v[150:151]
	s_delay_alu instid0(VALU_DEP_2) | instskip(NEXT) | instid1(VALU_DEP_2)
	v_add_f64 v[131:132], v[131:132], v[144:145]
	v_add_f64 v[133:134], v[133:134], -v[146:147]
	s_delay_alu instid0(VALU_DEP_1) | instskip(NEXT) | instid1(VALU_DEP_1)
	v_add_f64 v[131:132], v[131:132], v[133:134]
	v_add_f64 v[131:132], v[160:161], v[131:132]
	s_delay_alu instid0(VALU_DEP_1) | instskip(SKIP_1) | instid1(VALU_DEP_2)
	v_dual_cndmask_b32 v131, v131, v22 :: v_dual_cndmask_b32 v132, v132, v23
	v_cmp_ngt_f64_e32 vcc_lo, -1.0, v[22:23]
	v_cndmask_b32_e32 v132, 0x7ff80000, v132, vcc_lo
	v_cmp_nge_f64_e32 vcc_lo, -1.0, v[22:23]
	s_delay_alu instid0(VALU_DEP_4) | instskip(SKIP_1) | instid1(VALU_DEP_4)
	v_cndmask_b32_e32 v131, 0, v131, vcc_lo
	v_cmp_neq_f64_e32 vcc_lo, -1.0, v[22:23]
	v_cndmask_b32_e32 v132, 0xfff00000, v132, vcc_lo
	s_delay_alu instid0(VALU_DEP_1)
	v_add_f64 v[22:23], v[24:25], v[131:132]
.LBB8_241:
	s_or_b32 exec_lo, exec_lo, s8
	s_delay_alu instid0(VALU_DEP_1) | instskip(SKIP_1) | instid1(VALU_DEP_2)
	v_max_f64 v[24:25], v[22:23], v[22:23]
	v_cmp_u_f64_e32 vcc_lo, v[22:23], v[22:23]
	v_min_f64 v[131:132], v[24:25], v[26:27]
	v_max_f64 v[24:25], v[24:25], v[26:27]
	s_delay_alu instid0(VALU_DEP_2) | instskip(NEXT) | instid1(VALU_DEP_2)
	v_dual_cndmask_b32 v26, v131, v22 :: v_dual_cndmask_b32 v27, v132, v23
	v_dual_cndmask_b32 v25, v25, v23 :: v_dual_cndmask_b32 v24, v24, v22
	s_delay_alu instid0(VALU_DEP_2) | instskip(NEXT) | instid1(VALU_DEP_3)
	v_cndmask_b32_e64 v131, v26, v80, s10
	v_cndmask_b32_e64 v132, v27, v81, s10
	s_delay_alu instid0(VALU_DEP_3) | instskip(NEXT) | instid1(VALU_DEP_4)
	v_cndmask_b32_e64 v27, v25, v81, s10
	v_cndmask_b32_e64 v26, v24, v80, s10
	v_dual_mov_b32 v25, v23 :: v_dual_mov_b32 v24, v22
	s_delay_alu instid0(VALU_DEP_4) | instskip(NEXT) | instid1(VALU_DEP_3)
	v_cmp_class_f64_e64 s1, v[131:132], 0x1f8
	v_cmp_neq_f64_e32 vcc_lo, v[131:132], v[26:27]
	s_delay_alu instid0(VALU_DEP_2) | instskip(NEXT) | instid1(SALU_CYCLE_1)
	s_or_b32 s1, vcc_lo, s1
	s_and_saveexec_b32 s8, s1
	s_cbranch_execz .LBB8_243
; %bb.242:
	v_add_f64 v[24:25], v[131:132], -v[26:27]
	s_mov_b32 s2, 0x652b82fe
	s_mov_b32 s3, 0x3ff71547
	;; [unrolled: 1-line block ×10, first 2 shown]
	s_delay_alu instid0(VALU_DEP_1) | instskip(SKIP_4) | instid1(VALU_DEP_3)
	v_mul_f64 v[131:132], v[24:25], s[2:3]
	s_mov_b32 s3, 0xbfe62e42
	s_mov_b32 s2, 0xfefa39ef
	v_cmp_nlt_f64_e32 vcc_lo, 0x40900000, v[24:25]
	v_cmp_ngt_f64_e64 s1, 0xc090cc00, v[24:25]
	v_rndne_f64_e32 v[131:132], v[131:132]
	s_delay_alu instid0(VALU_DEP_1) | instskip(SKIP_2) | instid1(VALU_DEP_2)
	v_fma_f64 v[133:134], v[131:132], s[2:3], v[24:25]
	v_cvt_i32_f64_e32 v146, v[131:132]
	s_mov_b32 s3, 0x3fe62e42
	v_fma_f64 v[133:134], v[131:132], s[4:5], v[133:134]
	s_mov_b32 s5, 0x3c7abc9e
	s_delay_alu instid0(VALU_DEP_1) | instskip(SKIP_4) | instid1(VALU_DEP_1)
	v_fma_f64 v[144:145], v[133:134], s[18:19], s[6:7]
	s_mov_b32 s6, 0x623fde64
	s_mov_b32 s7, 0x3ec71dee
	;; [unrolled: 1-line block ×4, first 2 shown]
	v_fma_f64 v[144:145], v[133:134], v[144:145], s[6:7]
	s_mov_b32 s6, 0x7c89e6b0
	s_mov_b32 s7, 0x3efa0199
	s_delay_alu instid0(VALU_DEP_1) | instid1(SALU_CYCLE_1)
	v_fma_f64 v[144:145], v[133:134], v[144:145], s[6:7]
	s_mov_b32 s6, 0x14761f6e
	s_mov_b32 s7, 0x3f2a01a0
	s_delay_alu instid0(VALU_DEP_1) | instid1(SALU_CYCLE_1)
	;; [unrolled: 4-line block ×7, first 2 shown]
	v_fma_f64 v[144:145], v[133:134], v[144:145], s[6:7]
	s_mov_b32 s7, 0x3fe55555
	s_mov_b32 s6, 0x55555555
	s_delay_alu instid0(VALU_DEP_1) | instskip(NEXT) | instid1(VALU_DEP_1)
	v_fma_f64 v[144:145], v[133:134], v[144:145], 1.0
	v_fma_f64 v[131:132], v[133:134], v[144:145], 1.0
	s_delay_alu instid0(VALU_DEP_1) | instskip(NEXT) | instid1(VALU_DEP_1)
	v_ldexp_f64 v[131:132], v[131:132], v146
	v_cndmask_b32_e32 v132, 0x7ff00000, v132, vcc_lo
	s_and_b32 vcc_lo, s1, vcc_lo
	s_delay_alu instid0(VALU_DEP_2) | instskip(NEXT) | instid1(VALU_DEP_2)
	v_cndmask_b32_e32 v24, 0, v131, vcc_lo
	v_cndmask_b32_e64 v25, 0, v132, s1
	s_delay_alu instid0(VALU_DEP_1) | instskip(NEXT) | instid1(VALU_DEP_1)
	v_add_f64 v[131:132], v[24:25], 1.0
	v_frexp_mant_f64_e32 v[133:134], v[131:132]
	v_frexp_exp_i32_f64_e32 v146, v[131:132]
	v_add_f64 v[144:145], v[131:132], -1.0
	s_delay_alu instid0(VALU_DEP_3) | instskip(SKIP_1) | instid1(VALU_DEP_2)
	v_cmp_gt_f64_e32 vcc_lo, s[6:7], v[133:134]
	s_mov_b32 s6, 0x55555780
	v_add_f64 v[133:134], v[144:145], -v[131:132]
	v_add_f64 v[144:145], v[24:25], -v[144:145]
	v_subrev_co_ci_u32_e32 v166, vcc_lo, 0, v146, vcc_lo
	s_delay_alu instid0(VALU_DEP_3) | instskip(SKIP_1) | instid1(VALU_DEP_3)
	v_add_f64 v[133:134], v[133:134], 1.0
	v_cmp_eq_f64_e32 vcc_lo, 0x7ff00000, v[24:25]
	v_sub_nc_u32_e32 v148, 0, v166
	s_delay_alu instid0(VALU_DEP_1) | instskip(NEXT) | instid1(VALU_DEP_4)
	v_ldexp_f64 v[131:132], v[131:132], v148
	v_add_f64 v[133:134], v[144:145], v[133:134]
	s_delay_alu instid0(VALU_DEP_2) | instskip(SKIP_1) | instid1(VALU_DEP_3)
	v_add_f64 v[146:147], v[131:132], 1.0
	v_add_f64 v[160:161], v[131:132], -1.0
	v_ldexp_f64 v[133:134], v[133:134], v148
	s_delay_alu instid0(VALU_DEP_3) | instskip(NEXT) | instid1(VALU_DEP_3)
	v_add_f64 v[144:145], v[146:147], -1.0
	v_add_f64 v[162:163], v[160:161], 1.0
	s_delay_alu instid0(VALU_DEP_2) | instskip(NEXT) | instid1(VALU_DEP_2)
	v_add_f64 v[144:145], v[131:132], -v[144:145]
	v_add_f64 v[131:132], v[131:132], -v[162:163]
	s_delay_alu instid0(VALU_DEP_2) | instskip(NEXT) | instid1(VALU_DEP_2)
	v_add_f64 v[144:145], v[133:134], v[144:145]
	v_add_f64 v[131:132], v[133:134], v[131:132]
	s_delay_alu instid0(VALU_DEP_2) | instskip(NEXT) | instid1(VALU_DEP_2)
	v_add_f64 v[148:149], v[146:147], v[144:145]
	v_add_f64 v[162:163], v[160:161], v[131:132]
	s_delay_alu instid0(VALU_DEP_2) | instskip(SKIP_1) | instid1(VALU_DEP_2)
	v_rcp_f64_e32 v[150:151], v[148:149]
	v_add_f64 v[146:147], v[148:149], -v[146:147]
	v_add_f64 v[160:161], v[162:163], -v[160:161]
	s_delay_alu instid0(VALU_DEP_2) | instskip(SKIP_3) | instid1(VALU_DEP_2)
	v_add_f64 v[144:145], v[144:145], -v[146:147]
	s_waitcnt_depctr 0xfff
	v_fma_f64 v[164:165], -v[148:149], v[150:151], 1.0
	v_add_f64 v[131:132], v[131:132], -v[160:161]
	v_fma_f64 v[150:151], v[164:165], v[150:151], v[150:151]
	s_delay_alu instid0(VALU_DEP_1) | instskip(NEXT) | instid1(VALU_DEP_1)
	v_fma_f64 v[133:134], -v[148:149], v[150:151], 1.0
	v_fma_f64 v[133:134], v[133:134], v[150:151], v[150:151]
	s_delay_alu instid0(VALU_DEP_1) | instskip(NEXT) | instid1(VALU_DEP_1)
	v_mul_f64 v[150:151], v[162:163], v[133:134]
	v_mul_f64 v[164:165], v[148:149], v[150:151]
	s_delay_alu instid0(VALU_DEP_1) | instskip(NEXT) | instid1(VALU_DEP_1)
	v_fma_f64 v[146:147], v[150:151], v[148:149], -v[164:165]
	v_fma_f64 v[146:147], v[150:151], v[144:145], v[146:147]
	s_delay_alu instid0(VALU_DEP_1) | instskip(NEXT) | instid1(VALU_DEP_1)
	v_add_f64 v[209:210], v[164:165], v[146:147]
	v_add_f64 v[211:212], v[162:163], -v[209:210]
	v_add_f64 v[160:161], v[209:210], -v[164:165]
	s_delay_alu instid0(VALU_DEP_2) | instskip(NEXT) | instid1(VALU_DEP_2)
	v_add_f64 v[162:163], v[162:163], -v[211:212]
	v_add_f64 v[146:147], v[160:161], -v[146:147]
	s_delay_alu instid0(VALU_DEP_2) | instskip(NEXT) | instid1(VALU_DEP_1)
	v_add_f64 v[162:163], v[162:163], -v[209:210]
	v_add_f64 v[131:132], v[131:132], v[162:163]
	s_delay_alu instid0(VALU_DEP_1) | instskip(NEXT) | instid1(VALU_DEP_1)
	v_add_f64 v[131:132], v[146:147], v[131:132]
	v_add_f64 v[146:147], v[211:212], v[131:132]
	s_delay_alu instid0(VALU_DEP_1) | instskip(SKIP_1) | instid1(VALU_DEP_2)
	v_mul_f64 v[160:161], v[133:134], v[146:147]
	v_add_f64 v[209:210], v[211:212], -v[146:147]
	v_mul_f64 v[162:163], v[148:149], v[160:161]
	s_delay_alu instid0(VALU_DEP_2) | instskip(NEXT) | instid1(VALU_DEP_2)
	v_add_f64 v[131:132], v[131:132], v[209:210]
	v_fma_f64 v[148:149], v[160:161], v[148:149], -v[162:163]
	s_delay_alu instid0(VALU_DEP_1) | instskip(NEXT) | instid1(VALU_DEP_1)
	v_fma_f64 v[144:145], v[160:161], v[144:145], v[148:149]
	v_add_f64 v[148:149], v[162:163], v[144:145]
	s_delay_alu instid0(VALU_DEP_1) | instskip(SKIP_1) | instid1(VALU_DEP_2)
	v_add_f64 v[164:165], v[146:147], -v[148:149]
	v_add_f64 v[162:163], v[148:149], -v[162:163]
	;; [unrolled: 1-line block ×3, first 2 shown]
	s_delay_alu instid0(VALU_DEP_2) | instskip(NEXT) | instid1(VALU_DEP_2)
	v_add_f64 v[144:145], v[162:163], -v[144:145]
	v_add_f64 v[146:147], v[146:147], -v[148:149]
	s_delay_alu instid0(VALU_DEP_1) | instskip(SKIP_1) | instid1(VALU_DEP_2)
	v_add_f64 v[131:132], v[131:132], v[146:147]
	v_add_f64 v[146:147], v[150:151], v[160:161]
	;; [unrolled: 1-line block ×3, first 2 shown]
	s_delay_alu instid0(VALU_DEP_2) | instskip(NEXT) | instid1(VALU_DEP_2)
	v_add_f64 v[144:145], v[146:147], -v[150:151]
	v_add_f64 v[131:132], v[164:165], v[131:132]
	s_delay_alu instid0(VALU_DEP_2) | instskip(NEXT) | instid1(VALU_DEP_2)
	v_add_f64 v[144:145], v[160:161], -v[144:145]
	v_mul_f64 v[131:132], v[133:134], v[131:132]
	s_delay_alu instid0(VALU_DEP_1) | instskip(NEXT) | instid1(VALU_DEP_1)
	v_add_f64 v[131:132], v[144:145], v[131:132]
	v_add_f64 v[133:134], v[146:147], v[131:132]
	s_delay_alu instid0(VALU_DEP_1) | instskip(NEXT) | instid1(VALU_DEP_1)
	v_mul_f64 v[144:145], v[133:134], v[133:134]
	v_fma_f64 v[148:149], v[144:145], s[20:21], s[18:19]
	s_mov_b32 s18, 0xd7f4df2e
	s_mov_b32 s19, 0x3fc7474d
	v_mul_f64 v[150:151], v[133:134], v[144:145]
	s_delay_alu instid0(VALU_DEP_2)
	v_fma_f64 v[148:149], v[144:145], v[148:149], s[18:19]
	s_mov_b32 s18, 0x16291751
	s_mov_b32 s19, 0x3fcc71c0
	s_delay_alu instid0(VALU_DEP_1) | instid1(SALU_CYCLE_1)
	v_fma_f64 v[148:149], v[144:145], v[148:149], s[18:19]
	s_mov_b32 s18, 0x9b27acf1
	s_mov_b32 s19, 0x3fd24924
	s_delay_alu instid0(VALU_DEP_1) | instid1(SALU_CYCLE_1)
	;; [unrolled: 4-line block ×3, first 2 shown]
	v_fma_f64 v[148:149], v[144:145], v[148:149], s[18:19]
	s_delay_alu instid0(VALU_DEP_1) | instskip(SKIP_2) | instid1(VALU_DEP_3)
	v_fma_f64 v[144:145], v[144:145], v[148:149], s[6:7]
	v_ldexp_f64 v[148:149], v[133:134], 1
	v_add_f64 v[133:134], v[133:134], -v[146:147]
	v_mul_f64 v[144:145], v[150:151], v[144:145]
	v_cvt_f64_i32_e32 v[150:151], v166
	s_delay_alu instid0(VALU_DEP_3) | instskip(NEXT) | instid1(VALU_DEP_3)
	v_add_f64 v[131:132], v[131:132], -v[133:134]
	v_add_f64 v[146:147], v[148:149], v[144:145]
	s_delay_alu instid0(VALU_DEP_3) | instskip(NEXT) | instid1(VALU_DEP_3)
	v_mul_f64 v[160:161], v[150:151], s[2:3]
	v_ldexp_f64 v[131:132], v[131:132], 1
	s_delay_alu instid0(VALU_DEP_3) | instskip(NEXT) | instid1(VALU_DEP_3)
	v_add_f64 v[133:134], v[146:147], -v[148:149]
	v_fma_f64 v[148:149], v[150:151], s[2:3], -v[160:161]
	s_delay_alu instid0(VALU_DEP_2) | instskip(NEXT) | instid1(VALU_DEP_2)
	v_add_f64 v[133:134], v[144:145], -v[133:134]
	v_fma_f64 v[144:145], v[150:151], s[4:5], v[148:149]
	s_delay_alu instid0(VALU_DEP_2) | instskip(NEXT) | instid1(VALU_DEP_2)
	v_add_f64 v[131:132], v[131:132], v[133:134]
	v_add_f64 v[133:134], v[160:161], v[144:145]
	s_delay_alu instid0(VALU_DEP_2) | instskip(NEXT) | instid1(VALU_DEP_2)
	v_add_f64 v[148:149], v[146:147], v[131:132]
	v_add_f64 v[160:161], v[133:134], -v[160:161]
	s_delay_alu instid0(VALU_DEP_2) | instskip(SKIP_1) | instid1(VALU_DEP_3)
	v_add_f64 v[150:151], v[133:134], v[148:149]
	v_add_f64 v[146:147], v[148:149], -v[146:147]
	v_add_f64 v[144:145], v[144:145], -v[160:161]
	s_delay_alu instid0(VALU_DEP_3) | instskip(NEXT) | instid1(VALU_DEP_3)
	v_add_f64 v[162:163], v[150:151], -v[133:134]
	v_add_f64 v[131:132], v[131:132], -v[146:147]
	s_delay_alu instid0(VALU_DEP_2) | instskip(SKIP_1) | instid1(VALU_DEP_3)
	v_add_f64 v[164:165], v[150:151], -v[162:163]
	v_add_f64 v[146:147], v[148:149], -v[162:163]
	v_add_f64 v[148:149], v[144:145], v[131:132]
	s_delay_alu instid0(VALU_DEP_3) | instskip(NEXT) | instid1(VALU_DEP_1)
	v_add_f64 v[133:134], v[133:134], -v[164:165]
	v_add_f64 v[133:134], v[146:147], v[133:134]
	s_delay_alu instid0(VALU_DEP_3) | instskip(NEXT) | instid1(VALU_DEP_2)
	v_add_f64 v[146:147], v[148:149], -v[144:145]
	v_add_f64 v[133:134], v[148:149], v[133:134]
	s_delay_alu instid0(VALU_DEP_2) | instskip(SKIP_1) | instid1(VALU_DEP_3)
	v_add_f64 v[148:149], v[148:149], -v[146:147]
	v_add_f64 v[131:132], v[131:132], -v[146:147]
	v_add_f64 v[160:161], v[150:151], v[133:134]
	s_delay_alu instid0(VALU_DEP_3) | instskip(NEXT) | instid1(VALU_DEP_2)
	v_add_f64 v[144:145], v[144:145], -v[148:149]
	v_add_f64 v[146:147], v[160:161], -v[150:151]
	s_delay_alu instid0(VALU_DEP_2) | instskip(NEXT) | instid1(VALU_DEP_2)
	v_add_f64 v[131:132], v[131:132], v[144:145]
	v_add_f64 v[133:134], v[133:134], -v[146:147]
	s_delay_alu instid0(VALU_DEP_1) | instskip(NEXT) | instid1(VALU_DEP_1)
	v_add_f64 v[131:132], v[131:132], v[133:134]
	v_add_f64 v[131:132], v[160:161], v[131:132]
	s_delay_alu instid0(VALU_DEP_1) | instskip(SKIP_1) | instid1(VALU_DEP_2)
	v_dual_cndmask_b32 v131, v131, v24 :: v_dual_cndmask_b32 v132, v132, v25
	v_cmp_ngt_f64_e32 vcc_lo, -1.0, v[24:25]
	v_cndmask_b32_e32 v132, 0x7ff80000, v132, vcc_lo
	v_cmp_nge_f64_e32 vcc_lo, -1.0, v[24:25]
	s_delay_alu instid0(VALU_DEP_4) | instskip(SKIP_1) | instid1(VALU_DEP_4)
	v_cndmask_b32_e32 v131, 0, v131, vcc_lo
	v_cmp_neq_f64_e32 vcc_lo, -1.0, v[24:25]
	v_cndmask_b32_e32 v132, 0xfff00000, v132, vcc_lo
	s_delay_alu instid0(VALU_DEP_1)
	v_add_f64 v[24:25], v[26:27], v[131:132]
.LBB8_243:
	s_or_b32 exec_lo, exec_lo, s8
	s_delay_alu instid0(VALU_DEP_1) | instskip(SKIP_1) | instid1(VALU_DEP_2)
	v_max_f64 v[26:27], v[24:25], v[24:25]
	v_cmp_u_f64_e32 vcc_lo, v[24:25], v[24:25]
	v_min_f64 v[131:132], v[26:27], v[28:29]
	v_max_f64 v[26:27], v[26:27], v[28:29]
	s_delay_alu instid0(VALU_DEP_2) | instskip(NEXT) | instid1(VALU_DEP_2)
	v_dual_cndmask_b32 v28, v131, v24 :: v_dual_cndmask_b32 v29, v132, v25
	v_dual_cndmask_b32 v27, v27, v25 :: v_dual_cndmask_b32 v26, v26, v24
	s_delay_alu instid0(VALU_DEP_2) | instskip(NEXT) | instid1(VALU_DEP_3)
	v_cndmask_b32_e64 v131, v28, v82, s11
	v_cndmask_b32_e64 v132, v29, v83, s11
	s_delay_alu instid0(VALU_DEP_3) | instskip(NEXT) | instid1(VALU_DEP_4)
	v_cndmask_b32_e64 v29, v27, v83, s11
	v_cndmask_b32_e64 v28, v26, v82, s11
	v_dual_mov_b32 v27, v25 :: v_dual_mov_b32 v26, v24
	s_delay_alu instid0(VALU_DEP_4) | instskip(NEXT) | instid1(VALU_DEP_3)
	v_cmp_class_f64_e64 s1, v[131:132], 0x1f8
	v_cmp_neq_f64_e32 vcc_lo, v[131:132], v[28:29]
	s_delay_alu instid0(VALU_DEP_2) | instskip(NEXT) | instid1(SALU_CYCLE_1)
	s_or_b32 s1, vcc_lo, s1
	s_and_saveexec_b32 s8, s1
	s_cbranch_execz .LBB8_245
; %bb.244:
	v_add_f64 v[26:27], v[131:132], -v[28:29]
	s_mov_b32 s2, 0x652b82fe
	s_mov_b32 s3, 0x3ff71547
	;; [unrolled: 1-line block ×10, first 2 shown]
	s_delay_alu instid0(VALU_DEP_1) | instskip(SKIP_4) | instid1(VALU_DEP_3)
	v_mul_f64 v[131:132], v[26:27], s[2:3]
	s_mov_b32 s3, 0xbfe62e42
	s_mov_b32 s2, 0xfefa39ef
	v_cmp_nlt_f64_e32 vcc_lo, 0x40900000, v[26:27]
	v_cmp_ngt_f64_e64 s1, 0xc090cc00, v[26:27]
	v_rndne_f64_e32 v[131:132], v[131:132]
	s_delay_alu instid0(VALU_DEP_1) | instskip(SKIP_2) | instid1(VALU_DEP_2)
	v_fma_f64 v[133:134], v[131:132], s[2:3], v[26:27]
	v_cvt_i32_f64_e32 v146, v[131:132]
	s_mov_b32 s3, 0x3fe62e42
	v_fma_f64 v[133:134], v[131:132], s[4:5], v[133:134]
	s_mov_b32 s5, 0x3c7abc9e
	s_delay_alu instid0(VALU_DEP_1) | instskip(SKIP_4) | instid1(VALU_DEP_1)
	v_fma_f64 v[144:145], v[133:134], s[10:11], s[6:7]
	s_mov_b32 s6, 0x623fde64
	s_mov_b32 s7, 0x3ec71dee
	;; [unrolled: 1-line block ×4, first 2 shown]
	v_fma_f64 v[144:145], v[133:134], v[144:145], s[6:7]
	s_mov_b32 s6, 0x7c89e6b0
	s_mov_b32 s7, 0x3efa0199
	s_delay_alu instid0(VALU_DEP_1) | instid1(SALU_CYCLE_1)
	v_fma_f64 v[144:145], v[133:134], v[144:145], s[6:7]
	s_mov_b32 s6, 0x14761f6e
	s_mov_b32 s7, 0x3f2a01a0
	s_delay_alu instid0(VALU_DEP_1) | instid1(SALU_CYCLE_1)
	v_fma_f64 v[144:145], v[133:134], v[144:145], s[6:7]
	s_mov_b32 s6, 0x1852b7b0
	s_mov_b32 s7, 0x3f56c16c
	s_delay_alu instid0(VALU_DEP_1) | instid1(SALU_CYCLE_1)
	v_fma_f64 v[144:145], v[133:134], v[144:145], s[6:7]
	s_mov_b32 s6, 0x11122322
	s_mov_b32 s7, 0x3f811111
	s_delay_alu instid0(VALU_DEP_1) | instid1(SALU_CYCLE_1)
	v_fma_f64 v[144:145], v[133:134], v[144:145], s[6:7]
	s_mov_b32 s6, 0x555502a1
	s_mov_b32 s7, 0x3fa55555
	s_delay_alu instid0(VALU_DEP_1) | instid1(SALU_CYCLE_1)
	v_fma_f64 v[144:145], v[133:134], v[144:145], s[6:7]
	s_mov_b32 s6, 0x55555511
	s_mov_b32 s7, 0x3fc55555
	s_delay_alu instid0(VALU_DEP_1) | instid1(SALU_CYCLE_1)
	v_fma_f64 v[144:145], v[133:134], v[144:145], s[6:7]
	s_mov_b32 s6, 11
	s_mov_b32 s7, 0x3fe00000
	s_delay_alu instid0(VALU_DEP_1) | instid1(SALU_CYCLE_1)
	v_fma_f64 v[144:145], v[133:134], v[144:145], s[6:7]
	s_mov_b32 s7, 0x3fe55555
	s_mov_b32 s6, 0x55555555
	s_delay_alu instid0(VALU_DEP_1) | instskip(NEXT) | instid1(VALU_DEP_1)
	v_fma_f64 v[144:145], v[133:134], v[144:145], 1.0
	v_fma_f64 v[131:132], v[133:134], v[144:145], 1.0
	s_delay_alu instid0(VALU_DEP_1) | instskip(NEXT) | instid1(VALU_DEP_1)
	v_ldexp_f64 v[131:132], v[131:132], v146
	v_cndmask_b32_e32 v132, 0x7ff00000, v132, vcc_lo
	s_and_b32 vcc_lo, s1, vcc_lo
	s_delay_alu instid0(VALU_DEP_2) | instskip(NEXT) | instid1(VALU_DEP_2)
	v_cndmask_b32_e32 v26, 0, v131, vcc_lo
	v_cndmask_b32_e64 v27, 0, v132, s1
	s_delay_alu instid0(VALU_DEP_1) | instskip(NEXT) | instid1(VALU_DEP_1)
	v_add_f64 v[131:132], v[26:27], 1.0
	v_frexp_mant_f64_e32 v[133:134], v[131:132]
	v_frexp_exp_i32_f64_e32 v146, v[131:132]
	v_add_f64 v[144:145], v[131:132], -1.0
	s_delay_alu instid0(VALU_DEP_3) | instskip(SKIP_1) | instid1(VALU_DEP_2)
	v_cmp_gt_f64_e32 vcc_lo, s[6:7], v[133:134]
	s_mov_b32 s6, 0x55555780
	v_add_f64 v[133:134], v[144:145], -v[131:132]
	v_add_f64 v[144:145], v[26:27], -v[144:145]
	v_subrev_co_ci_u32_e32 v166, vcc_lo, 0, v146, vcc_lo
	s_delay_alu instid0(VALU_DEP_3) | instskip(SKIP_1) | instid1(VALU_DEP_3)
	v_add_f64 v[133:134], v[133:134], 1.0
	v_cmp_eq_f64_e32 vcc_lo, 0x7ff00000, v[26:27]
	v_sub_nc_u32_e32 v148, 0, v166
	s_delay_alu instid0(VALU_DEP_1) | instskip(NEXT) | instid1(VALU_DEP_4)
	v_ldexp_f64 v[131:132], v[131:132], v148
	v_add_f64 v[133:134], v[144:145], v[133:134]
	s_delay_alu instid0(VALU_DEP_2) | instskip(SKIP_1) | instid1(VALU_DEP_3)
	v_add_f64 v[146:147], v[131:132], 1.0
	v_add_f64 v[160:161], v[131:132], -1.0
	v_ldexp_f64 v[133:134], v[133:134], v148
	s_delay_alu instid0(VALU_DEP_3) | instskip(NEXT) | instid1(VALU_DEP_3)
	v_add_f64 v[144:145], v[146:147], -1.0
	v_add_f64 v[162:163], v[160:161], 1.0
	s_delay_alu instid0(VALU_DEP_2) | instskip(NEXT) | instid1(VALU_DEP_2)
	v_add_f64 v[144:145], v[131:132], -v[144:145]
	v_add_f64 v[131:132], v[131:132], -v[162:163]
	s_delay_alu instid0(VALU_DEP_2) | instskip(NEXT) | instid1(VALU_DEP_2)
	v_add_f64 v[144:145], v[133:134], v[144:145]
	v_add_f64 v[131:132], v[133:134], v[131:132]
	s_delay_alu instid0(VALU_DEP_2) | instskip(NEXT) | instid1(VALU_DEP_2)
	v_add_f64 v[148:149], v[146:147], v[144:145]
	v_add_f64 v[162:163], v[160:161], v[131:132]
	s_delay_alu instid0(VALU_DEP_2) | instskip(SKIP_1) | instid1(VALU_DEP_2)
	v_rcp_f64_e32 v[150:151], v[148:149]
	v_add_f64 v[146:147], v[148:149], -v[146:147]
	v_add_f64 v[160:161], v[162:163], -v[160:161]
	s_delay_alu instid0(VALU_DEP_2) | instskip(SKIP_3) | instid1(VALU_DEP_2)
	v_add_f64 v[144:145], v[144:145], -v[146:147]
	s_waitcnt_depctr 0xfff
	v_fma_f64 v[164:165], -v[148:149], v[150:151], 1.0
	v_add_f64 v[131:132], v[131:132], -v[160:161]
	v_fma_f64 v[150:151], v[164:165], v[150:151], v[150:151]
	s_delay_alu instid0(VALU_DEP_1) | instskip(NEXT) | instid1(VALU_DEP_1)
	v_fma_f64 v[133:134], -v[148:149], v[150:151], 1.0
	v_fma_f64 v[133:134], v[133:134], v[150:151], v[150:151]
	s_delay_alu instid0(VALU_DEP_1) | instskip(NEXT) | instid1(VALU_DEP_1)
	v_mul_f64 v[150:151], v[162:163], v[133:134]
	v_mul_f64 v[164:165], v[148:149], v[150:151]
	s_delay_alu instid0(VALU_DEP_1) | instskip(NEXT) | instid1(VALU_DEP_1)
	v_fma_f64 v[146:147], v[150:151], v[148:149], -v[164:165]
	v_fma_f64 v[146:147], v[150:151], v[144:145], v[146:147]
	s_delay_alu instid0(VALU_DEP_1) | instskip(NEXT) | instid1(VALU_DEP_1)
	v_add_f64 v[209:210], v[164:165], v[146:147]
	v_add_f64 v[211:212], v[162:163], -v[209:210]
	v_add_f64 v[160:161], v[209:210], -v[164:165]
	s_delay_alu instid0(VALU_DEP_2) | instskip(NEXT) | instid1(VALU_DEP_2)
	v_add_f64 v[162:163], v[162:163], -v[211:212]
	v_add_f64 v[146:147], v[160:161], -v[146:147]
	s_delay_alu instid0(VALU_DEP_2) | instskip(NEXT) | instid1(VALU_DEP_1)
	v_add_f64 v[162:163], v[162:163], -v[209:210]
	v_add_f64 v[131:132], v[131:132], v[162:163]
	s_delay_alu instid0(VALU_DEP_1) | instskip(NEXT) | instid1(VALU_DEP_1)
	v_add_f64 v[131:132], v[146:147], v[131:132]
	v_add_f64 v[146:147], v[211:212], v[131:132]
	s_delay_alu instid0(VALU_DEP_1) | instskip(SKIP_1) | instid1(VALU_DEP_2)
	v_mul_f64 v[160:161], v[133:134], v[146:147]
	v_add_f64 v[209:210], v[211:212], -v[146:147]
	v_mul_f64 v[162:163], v[148:149], v[160:161]
	s_delay_alu instid0(VALU_DEP_2) | instskip(NEXT) | instid1(VALU_DEP_2)
	v_add_f64 v[131:132], v[131:132], v[209:210]
	v_fma_f64 v[148:149], v[160:161], v[148:149], -v[162:163]
	s_delay_alu instid0(VALU_DEP_1) | instskip(NEXT) | instid1(VALU_DEP_1)
	v_fma_f64 v[144:145], v[160:161], v[144:145], v[148:149]
	v_add_f64 v[148:149], v[162:163], v[144:145]
	s_delay_alu instid0(VALU_DEP_1) | instskip(SKIP_1) | instid1(VALU_DEP_2)
	v_add_f64 v[164:165], v[146:147], -v[148:149]
	v_add_f64 v[162:163], v[148:149], -v[162:163]
	;; [unrolled: 1-line block ×3, first 2 shown]
	s_delay_alu instid0(VALU_DEP_2) | instskip(NEXT) | instid1(VALU_DEP_2)
	v_add_f64 v[144:145], v[162:163], -v[144:145]
	v_add_f64 v[146:147], v[146:147], -v[148:149]
	s_delay_alu instid0(VALU_DEP_1) | instskip(SKIP_1) | instid1(VALU_DEP_2)
	v_add_f64 v[131:132], v[131:132], v[146:147]
	v_add_f64 v[146:147], v[150:151], v[160:161]
	;; [unrolled: 1-line block ×3, first 2 shown]
	s_delay_alu instid0(VALU_DEP_2) | instskip(NEXT) | instid1(VALU_DEP_2)
	v_add_f64 v[144:145], v[146:147], -v[150:151]
	v_add_f64 v[131:132], v[164:165], v[131:132]
	s_delay_alu instid0(VALU_DEP_2) | instskip(NEXT) | instid1(VALU_DEP_2)
	v_add_f64 v[144:145], v[160:161], -v[144:145]
	v_mul_f64 v[131:132], v[133:134], v[131:132]
	s_delay_alu instid0(VALU_DEP_1) | instskip(NEXT) | instid1(VALU_DEP_1)
	v_add_f64 v[131:132], v[144:145], v[131:132]
	v_add_f64 v[133:134], v[146:147], v[131:132]
	s_delay_alu instid0(VALU_DEP_1) | instskip(NEXT) | instid1(VALU_DEP_1)
	v_mul_f64 v[144:145], v[133:134], v[133:134]
	v_fma_f64 v[148:149], v[144:145], s[18:19], s[10:11]
	s_mov_b32 s10, 0xd7f4df2e
	s_mov_b32 s11, 0x3fc7474d
	v_mul_f64 v[150:151], v[133:134], v[144:145]
	s_delay_alu instid0(VALU_DEP_2)
	v_fma_f64 v[148:149], v[144:145], v[148:149], s[10:11]
	s_mov_b32 s10, 0x16291751
	s_mov_b32 s11, 0x3fcc71c0
	s_delay_alu instid0(VALU_DEP_1) | instid1(SALU_CYCLE_1)
	v_fma_f64 v[148:149], v[144:145], v[148:149], s[10:11]
	s_mov_b32 s10, 0x9b27acf1
	s_mov_b32 s11, 0x3fd24924
	s_delay_alu instid0(VALU_DEP_1) | instid1(SALU_CYCLE_1)
	;; [unrolled: 4-line block ×3, first 2 shown]
	v_fma_f64 v[148:149], v[144:145], v[148:149], s[10:11]
	s_delay_alu instid0(VALU_DEP_1) | instskip(SKIP_2) | instid1(VALU_DEP_3)
	v_fma_f64 v[144:145], v[144:145], v[148:149], s[6:7]
	v_ldexp_f64 v[148:149], v[133:134], 1
	v_add_f64 v[133:134], v[133:134], -v[146:147]
	v_mul_f64 v[144:145], v[150:151], v[144:145]
	v_cvt_f64_i32_e32 v[150:151], v166
	s_delay_alu instid0(VALU_DEP_3) | instskip(NEXT) | instid1(VALU_DEP_3)
	v_add_f64 v[131:132], v[131:132], -v[133:134]
	v_add_f64 v[146:147], v[148:149], v[144:145]
	s_delay_alu instid0(VALU_DEP_3) | instskip(NEXT) | instid1(VALU_DEP_3)
	v_mul_f64 v[160:161], v[150:151], s[2:3]
	v_ldexp_f64 v[131:132], v[131:132], 1
	s_delay_alu instid0(VALU_DEP_3) | instskip(NEXT) | instid1(VALU_DEP_3)
	v_add_f64 v[133:134], v[146:147], -v[148:149]
	v_fma_f64 v[148:149], v[150:151], s[2:3], -v[160:161]
	s_delay_alu instid0(VALU_DEP_2) | instskip(NEXT) | instid1(VALU_DEP_2)
	v_add_f64 v[133:134], v[144:145], -v[133:134]
	v_fma_f64 v[144:145], v[150:151], s[4:5], v[148:149]
	s_delay_alu instid0(VALU_DEP_2) | instskip(NEXT) | instid1(VALU_DEP_2)
	v_add_f64 v[131:132], v[131:132], v[133:134]
	v_add_f64 v[133:134], v[160:161], v[144:145]
	s_delay_alu instid0(VALU_DEP_2) | instskip(NEXT) | instid1(VALU_DEP_2)
	v_add_f64 v[148:149], v[146:147], v[131:132]
	v_add_f64 v[160:161], v[133:134], -v[160:161]
	s_delay_alu instid0(VALU_DEP_2) | instskip(SKIP_1) | instid1(VALU_DEP_3)
	v_add_f64 v[150:151], v[133:134], v[148:149]
	v_add_f64 v[146:147], v[148:149], -v[146:147]
	v_add_f64 v[144:145], v[144:145], -v[160:161]
	s_delay_alu instid0(VALU_DEP_3) | instskip(NEXT) | instid1(VALU_DEP_3)
	v_add_f64 v[162:163], v[150:151], -v[133:134]
	v_add_f64 v[131:132], v[131:132], -v[146:147]
	s_delay_alu instid0(VALU_DEP_2) | instskip(SKIP_1) | instid1(VALU_DEP_3)
	v_add_f64 v[164:165], v[150:151], -v[162:163]
	v_add_f64 v[146:147], v[148:149], -v[162:163]
	v_add_f64 v[148:149], v[144:145], v[131:132]
	s_delay_alu instid0(VALU_DEP_3) | instskip(NEXT) | instid1(VALU_DEP_1)
	v_add_f64 v[133:134], v[133:134], -v[164:165]
	v_add_f64 v[133:134], v[146:147], v[133:134]
	s_delay_alu instid0(VALU_DEP_3) | instskip(NEXT) | instid1(VALU_DEP_2)
	v_add_f64 v[146:147], v[148:149], -v[144:145]
	v_add_f64 v[133:134], v[148:149], v[133:134]
	s_delay_alu instid0(VALU_DEP_2) | instskip(SKIP_1) | instid1(VALU_DEP_3)
	v_add_f64 v[148:149], v[148:149], -v[146:147]
	v_add_f64 v[131:132], v[131:132], -v[146:147]
	v_add_f64 v[160:161], v[150:151], v[133:134]
	s_delay_alu instid0(VALU_DEP_3) | instskip(NEXT) | instid1(VALU_DEP_2)
	v_add_f64 v[144:145], v[144:145], -v[148:149]
	v_add_f64 v[146:147], v[160:161], -v[150:151]
	s_delay_alu instid0(VALU_DEP_2) | instskip(NEXT) | instid1(VALU_DEP_2)
	v_add_f64 v[131:132], v[131:132], v[144:145]
	v_add_f64 v[133:134], v[133:134], -v[146:147]
	s_delay_alu instid0(VALU_DEP_1) | instskip(NEXT) | instid1(VALU_DEP_1)
	v_add_f64 v[131:132], v[131:132], v[133:134]
	v_add_f64 v[131:132], v[160:161], v[131:132]
	s_delay_alu instid0(VALU_DEP_1) | instskip(SKIP_1) | instid1(VALU_DEP_2)
	v_dual_cndmask_b32 v131, v131, v26 :: v_dual_cndmask_b32 v132, v132, v27
	v_cmp_ngt_f64_e32 vcc_lo, -1.0, v[26:27]
	v_cndmask_b32_e32 v132, 0x7ff80000, v132, vcc_lo
	v_cmp_nge_f64_e32 vcc_lo, -1.0, v[26:27]
	s_delay_alu instid0(VALU_DEP_4) | instskip(SKIP_1) | instid1(VALU_DEP_4)
	v_cndmask_b32_e32 v131, 0, v131, vcc_lo
	v_cmp_neq_f64_e32 vcc_lo, -1.0, v[26:27]
	v_cndmask_b32_e32 v132, 0xfff00000, v132, vcc_lo
	s_delay_alu instid0(VALU_DEP_1)
	v_add_f64 v[26:27], v[28:29], v[131:132]
.LBB8_245:
	s_or_b32 exec_lo, exec_lo, s8
	s_delay_alu instid0(VALU_DEP_1) | instskip(SKIP_1) | instid1(VALU_DEP_2)
	v_max_f64 v[28:29], v[26:27], v[26:27]
	v_cmp_u_f64_e32 vcc_lo, v[26:27], v[26:27]
	v_min_f64 v[131:132], v[28:29], v[30:31]
	v_max_f64 v[28:29], v[28:29], v[30:31]
	s_delay_alu instid0(VALU_DEP_2) | instskip(NEXT) | instid1(VALU_DEP_2)
	v_dual_cndmask_b32 v30, v131, v26 :: v_dual_cndmask_b32 v31, v132, v27
	v_dual_cndmask_b32 v29, v29, v27 :: v_dual_cndmask_b32 v28, v28, v26
	s_delay_alu instid0(VALU_DEP_2) | instskip(NEXT) | instid1(VALU_DEP_3)
	v_cndmask_b32_e64 v131, v30, v68, s13
	v_cndmask_b32_e64 v132, v31, v69, s13
	s_delay_alu instid0(VALU_DEP_3) | instskip(NEXT) | instid1(VALU_DEP_4)
	v_cndmask_b32_e64 v31, v29, v69, s13
	v_cndmask_b32_e64 v30, v28, v68, s13
	v_dual_mov_b32 v29, v27 :: v_dual_mov_b32 v28, v26
	s_delay_alu instid0(VALU_DEP_4) | instskip(NEXT) | instid1(VALU_DEP_3)
	v_cmp_class_f64_e64 s1, v[131:132], 0x1f8
	v_cmp_neq_f64_e32 vcc_lo, v[131:132], v[30:31]
	s_delay_alu instid0(VALU_DEP_2) | instskip(NEXT) | instid1(SALU_CYCLE_1)
	s_or_b32 s1, vcc_lo, s1
	s_and_saveexec_b32 s8, s1
	s_cbranch_execz .LBB8_247
; %bb.246:
	v_add_f64 v[28:29], v[131:132], -v[30:31]
	s_mov_b32 s2, 0x652b82fe
	s_mov_b32 s3, 0x3ff71547
	;; [unrolled: 1-line block ×10, first 2 shown]
	s_delay_alu instid0(VALU_DEP_1) | instskip(SKIP_4) | instid1(VALU_DEP_3)
	v_mul_f64 v[131:132], v[28:29], s[2:3]
	s_mov_b32 s3, 0xbfe62e42
	s_mov_b32 s2, 0xfefa39ef
	v_cmp_nlt_f64_e32 vcc_lo, 0x40900000, v[28:29]
	v_cmp_ngt_f64_e64 s1, 0xc090cc00, v[28:29]
	v_rndne_f64_e32 v[131:132], v[131:132]
	s_delay_alu instid0(VALU_DEP_1) | instskip(SKIP_2) | instid1(VALU_DEP_2)
	v_fma_f64 v[133:134], v[131:132], s[2:3], v[28:29]
	v_cvt_i32_f64_e32 v146, v[131:132]
	s_mov_b32 s3, 0x3fe62e42
	v_fma_f64 v[133:134], v[131:132], s[4:5], v[133:134]
	s_mov_b32 s5, 0x3c7abc9e
	s_delay_alu instid0(VALU_DEP_1) | instskip(SKIP_4) | instid1(VALU_DEP_1)
	v_fma_f64 v[144:145], v[133:134], s[10:11], s[6:7]
	s_mov_b32 s6, 0x623fde64
	s_mov_b32 s7, 0x3ec71dee
	;; [unrolled: 1-line block ×4, first 2 shown]
	v_fma_f64 v[144:145], v[133:134], v[144:145], s[6:7]
	s_mov_b32 s6, 0x7c89e6b0
	s_mov_b32 s7, 0x3efa0199
	s_delay_alu instid0(VALU_DEP_1) | instid1(SALU_CYCLE_1)
	v_fma_f64 v[144:145], v[133:134], v[144:145], s[6:7]
	s_mov_b32 s6, 0x14761f6e
	s_mov_b32 s7, 0x3f2a01a0
	s_delay_alu instid0(VALU_DEP_1) | instid1(SALU_CYCLE_1)
	;; [unrolled: 4-line block ×7, first 2 shown]
	v_fma_f64 v[144:145], v[133:134], v[144:145], s[6:7]
	s_mov_b32 s7, 0x3fe55555
	s_mov_b32 s6, 0x55555555
	s_delay_alu instid0(VALU_DEP_1) | instskip(NEXT) | instid1(VALU_DEP_1)
	v_fma_f64 v[144:145], v[133:134], v[144:145], 1.0
	v_fma_f64 v[131:132], v[133:134], v[144:145], 1.0
	s_delay_alu instid0(VALU_DEP_1) | instskip(NEXT) | instid1(VALU_DEP_1)
	v_ldexp_f64 v[131:132], v[131:132], v146
	v_cndmask_b32_e32 v132, 0x7ff00000, v132, vcc_lo
	s_and_b32 vcc_lo, s1, vcc_lo
	s_delay_alu instid0(VALU_DEP_2) | instskip(NEXT) | instid1(VALU_DEP_2)
	v_cndmask_b32_e32 v28, 0, v131, vcc_lo
	v_cndmask_b32_e64 v29, 0, v132, s1
	s_delay_alu instid0(VALU_DEP_1) | instskip(NEXT) | instid1(VALU_DEP_1)
	v_add_f64 v[131:132], v[28:29], 1.0
	v_frexp_mant_f64_e32 v[133:134], v[131:132]
	v_frexp_exp_i32_f64_e32 v146, v[131:132]
	v_add_f64 v[144:145], v[131:132], -1.0
	s_delay_alu instid0(VALU_DEP_3) | instskip(SKIP_1) | instid1(VALU_DEP_2)
	v_cmp_gt_f64_e32 vcc_lo, s[6:7], v[133:134]
	s_mov_b32 s6, 0x55555780
	v_add_f64 v[133:134], v[144:145], -v[131:132]
	v_add_f64 v[144:145], v[28:29], -v[144:145]
	v_subrev_co_ci_u32_e32 v166, vcc_lo, 0, v146, vcc_lo
	s_delay_alu instid0(VALU_DEP_3) | instskip(SKIP_1) | instid1(VALU_DEP_3)
	v_add_f64 v[133:134], v[133:134], 1.0
	v_cmp_eq_f64_e32 vcc_lo, 0x7ff00000, v[28:29]
	v_sub_nc_u32_e32 v148, 0, v166
	s_delay_alu instid0(VALU_DEP_1) | instskip(NEXT) | instid1(VALU_DEP_4)
	v_ldexp_f64 v[131:132], v[131:132], v148
	v_add_f64 v[133:134], v[144:145], v[133:134]
	s_delay_alu instid0(VALU_DEP_2) | instskip(SKIP_1) | instid1(VALU_DEP_3)
	v_add_f64 v[146:147], v[131:132], 1.0
	v_add_f64 v[160:161], v[131:132], -1.0
	v_ldexp_f64 v[133:134], v[133:134], v148
	s_delay_alu instid0(VALU_DEP_3) | instskip(NEXT) | instid1(VALU_DEP_3)
	v_add_f64 v[144:145], v[146:147], -1.0
	v_add_f64 v[162:163], v[160:161], 1.0
	s_delay_alu instid0(VALU_DEP_2) | instskip(NEXT) | instid1(VALU_DEP_2)
	v_add_f64 v[144:145], v[131:132], -v[144:145]
	v_add_f64 v[131:132], v[131:132], -v[162:163]
	s_delay_alu instid0(VALU_DEP_2) | instskip(NEXT) | instid1(VALU_DEP_2)
	v_add_f64 v[144:145], v[133:134], v[144:145]
	v_add_f64 v[131:132], v[133:134], v[131:132]
	s_delay_alu instid0(VALU_DEP_2) | instskip(NEXT) | instid1(VALU_DEP_2)
	v_add_f64 v[148:149], v[146:147], v[144:145]
	v_add_f64 v[162:163], v[160:161], v[131:132]
	s_delay_alu instid0(VALU_DEP_2) | instskip(SKIP_1) | instid1(VALU_DEP_2)
	v_rcp_f64_e32 v[150:151], v[148:149]
	v_add_f64 v[146:147], v[148:149], -v[146:147]
	v_add_f64 v[160:161], v[162:163], -v[160:161]
	s_delay_alu instid0(VALU_DEP_2) | instskip(SKIP_3) | instid1(VALU_DEP_2)
	v_add_f64 v[144:145], v[144:145], -v[146:147]
	s_waitcnt_depctr 0xfff
	v_fma_f64 v[164:165], -v[148:149], v[150:151], 1.0
	v_add_f64 v[131:132], v[131:132], -v[160:161]
	v_fma_f64 v[150:151], v[164:165], v[150:151], v[150:151]
	s_delay_alu instid0(VALU_DEP_1) | instskip(NEXT) | instid1(VALU_DEP_1)
	v_fma_f64 v[133:134], -v[148:149], v[150:151], 1.0
	v_fma_f64 v[133:134], v[133:134], v[150:151], v[150:151]
	s_delay_alu instid0(VALU_DEP_1) | instskip(NEXT) | instid1(VALU_DEP_1)
	v_mul_f64 v[150:151], v[162:163], v[133:134]
	v_mul_f64 v[164:165], v[148:149], v[150:151]
	s_delay_alu instid0(VALU_DEP_1) | instskip(NEXT) | instid1(VALU_DEP_1)
	v_fma_f64 v[146:147], v[150:151], v[148:149], -v[164:165]
	v_fma_f64 v[146:147], v[150:151], v[144:145], v[146:147]
	s_delay_alu instid0(VALU_DEP_1) | instskip(NEXT) | instid1(VALU_DEP_1)
	v_add_f64 v[209:210], v[164:165], v[146:147]
	v_add_f64 v[211:212], v[162:163], -v[209:210]
	v_add_f64 v[160:161], v[209:210], -v[164:165]
	s_delay_alu instid0(VALU_DEP_2) | instskip(NEXT) | instid1(VALU_DEP_2)
	v_add_f64 v[162:163], v[162:163], -v[211:212]
	v_add_f64 v[146:147], v[160:161], -v[146:147]
	s_delay_alu instid0(VALU_DEP_2) | instskip(NEXT) | instid1(VALU_DEP_1)
	v_add_f64 v[162:163], v[162:163], -v[209:210]
	v_add_f64 v[131:132], v[131:132], v[162:163]
	s_delay_alu instid0(VALU_DEP_1) | instskip(NEXT) | instid1(VALU_DEP_1)
	v_add_f64 v[131:132], v[146:147], v[131:132]
	v_add_f64 v[146:147], v[211:212], v[131:132]
	s_delay_alu instid0(VALU_DEP_1) | instskip(SKIP_1) | instid1(VALU_DEP_2)
	v_mul_f64 v[160:161], v[133:134], v[146:147]
	v_add_f64 v[209:210], v[211:212], -v[146:147]
	v_mul_f64 v[162:163], v[148:149], v[160:161]
	s_delay_alu instid0(VALU_DEP_2) | instskip(NEXT) | instid1(VALU_DEP_2)
	v_add_f64 v[131:132], v[131:132], v[209:210]
	v_fma_f64 v[148:149], v[160:161], v[148:149], -v[162:163]
	s_delay_alu instid0(VALU_DEP_1) | instskip(NEXT) | instid1(VALU_DEP_1)
	v_fma_f64 v[144:145], v[160:161], v[144:145], v[148:149]
	v_add_f64 v[148:149], v[162:163], v[144:145]
	s_delay_alu instid0(VALU_DEP_1) | instskip(SKIP_1) | instid1(VALU_DEP_2)
	v_add_f64 v[164:165], v[146:147], -v[148:149]
	v_add_f64 v[162:163], v[148:149], -v[162:163]
	;; [unrolled: 1-line block ×3, first 2 shown]
	s_delay_alu instid0(VALU_DEP_2) | instskip(NEXT) | instid1(VALU_DEP_2)
	v_add_f64 v[144:145], v[162:163], -v[144:145]
	v_add_f64 v[146:147], v[146:147], -v[148:149]
	s_delay_alu instid0(VALU_DEP_1) | instskip(SKIP_1) | instid1(VALU_DEP_2)
	v_add_f64 v[131:132], v[131:132], v[146:147]
	v_add_f64 v[146:147], v[150:151], v[160:161]
	;; [unrolled: 1-line block ×3, first 2 shown]
	s_delay_alu instid0(VALU_DEP_2) | instskip(NEXT) | instid1(VALU_DEP_2)
	v_add_f64 v[144:145], v[146:147], -v[150:151]
	v_add_f64 v[131:132], v[164:165], v[131:132]
	s_delay_alu instid0(VALU_DEP_2) | instskip(NEXT) | instid1(VALU_DEP_2)
	v_add_f64 v[144:145], v[160:161], -v[144:145]
	v_mul_f64 v[131:132], v[133:134], v[131:132]
	s_delay_alu instid0(VALU_DEP_1) | instskip(NEXT) | instid1(VALU_DEP_1)
	v_add_f64 v[131:132], v[144:145], v[131:132]
	v_add_f64 v[133:134], v[146:147], v[131:132]
	s_delay_alu instid0(VALU_DEP_1) | instskip(NEXT) | instid1(VALU_DEP_1)
	v_mul_f64 v[144:145], v[133:134], v[133:134]
	v_fma_f64 v[148:149], v[144:145], s[12:13], s[10:11]
	s_mov_b32 s10, 0xd7f4df2e
	s_mov_b32 s11, 0x3fc7474d
	v_mul_f64 v[150:151], v[133:134], v[144:145]
	s_delay_alu instid0(VALU_DEP_2)
	v_fma_f64 v[148:149], v[144:145], v[148:149], s[10:11]
	s_mov_b32 s10, 0x16291751
	s_mov_b32 s11, 0x3fcc71c0
	s_delay_alu instid0(VALU_DEP_1) | instid1(SALU_CYCLE_1)
	v_fma_f64 v[148:149], v[144:145], v[148:149], s[10:11]
	s_mov_b32 s10, 0x9b27acf1
	s_mov_b32 s11, 0x3fd24924
	s_delay_alu instid0(VALU_DEP_1) | instid1(SALU_CYCLE_1)
	v_fma_f64 v[148:149], v[144:145], v[148:149], s[10:11]
	s_mov_b32 s10, 0x998ef7b6
	s_mov_b32 s11, 0x3fd99999
	s_delay_alu instid0(VALU_DEP_1) | instid1(SALU_CYCLE_1)
	v_fma_f64 v[148:149], v[144:145], v[148:149], s[10:11]
	s_delay_alu instid0(VALU_DEP_1) | instskip(SKIP_2) | instid1(VALU_DEP_3)
	v_fma_f64 v[144:145], v[144:145], v[148:149], s[6:7]
	v_ldexp_f64 v[148:149], v[133:134], 1
	v_add_f64 v[133:134], v[133:134], -v[146:147]
	v_mul_f64 v[144:145], v[150:151], v[144:145]
	v_cvt_f64_i32_e32 v[150:151], v166
	s_delay_alu instid0(VALU_DEP_3) | instskip(NEXT) | instid1(VALU_DEP_3)
	v_add_f64 v[131:132], v[131:132], -v[133:134]
	v_add_f64 v[146:147], v[148:149], v[144:145]
	s_delay_alu instid0(VALU_DEP_3) | instskip(NEXT) | instid1(VALU_DEP_3)
	v_mul_f64 v[160:161], v[150:151], s[2:3]
	v_ldexp_f64 v[131:132], v[131:132], 1
	s_delay_alu instid0(VALU_DEP_3) | instskip(NEXT) | instid1(VALU_DEP_3)
	v_add_f64 v[133:134], v[146:147], -v[148:149]
	v_fma_f64 v[148:149], v[150:151], s[2:3], -v[160:161]
	s_delay_alu instid0(VALU_DEP_2) | instskip(NEXT) | instid1(VALU_DEP_2)
	v_add_f64 v[133:134], v[144:145], -v[133:134]
	v_fma_f64 v[144:145], v[150:151], s[4:5], v[148:149]
	s_delay_alu instid0(VALU_DEP_2) | instskip(NEXT) | instid1(VALU_DEP_2)
	v_add_f64 v[131:132], v[131:132], v[133:134]
	v_add_f64 v[133:134], v[160:161], v[144:145]
	s_delay_alu instid0(VALU_DEP_2) | instskip(NEXT) | instid1(VALU_DEP_2)
	v_add_f64 v[148:149], v[146:147], v[131:132]
	v_add_f64 v[160:161], v[133:134], -v[160:161]
	s_delay_alu instid0(VALU_DEP_2) | instskip(SKIP_1) | instid1(VALU_DEP_3)
	v_add_f64 v[150:151], v[133:134], v[148:149]
	v_add_f64 v[146:147], v[148:149], -v[146:147]
	v_add_f64 v[144:145], v[144:145], -v[160:161]
	s_delay_alu instid0(VALU_DEP_3) | instskip(NEXT) | instid1(VALU_DEP_3)
	v_add_f64 v[162:163], v[150:151], -v[133:134]
	v_add_f64 v[131:132], v[131:132], -v[146:147]
	s_delay_alu instid0(VALU_DEP_2) | instskip(SKIP_1) | instid1(VALU_DEP_3)
	v_add_f64 v[164:165], v[150:151], -v[162:163]
	v_add_f64 v[146:147], v[148:149], -v[162:163]
	v_add_f64 v[148:149], v[144:145], v[131:132]
	s_delay_alu instid0(VALU_DEP_3) | instskip(NEXT) | instid1(VALU_DEP_1)
	v_add_f64 v[133:134], v[133:134], -v[164:165]
	v_add_f64 v[133:134], v[146:147], v[133:134]
	s_delay_alu instid0(VALU_DEP_3) | instskip(NEXT) | instid1(VALU_DEP_2)
	v_add_f64 v[146:147], v[148:149], -v[144:145]
	v_add_f64 v[133:134], v[148:149], v[133:134]
	s_delay_alu instid0(VALU_DEP_2) | instskip(SKIP_1) | instid1(VALU_DEP_3)
	v_add_f64 v[148:149], v[148:149], -v[146:147]
	v_add_f64 v[131:132], v[131:132], -v[146:147]
	v_add_f64 v[160:161], v[150:151], v[133:134]
	s_delay_alu instid0(VALU_DEP_3) | instskip(NEXT) | instid1(VALU_DEP_2)
	v_add_f64 v[144:145], v[144:145], -v[148:149]
	v_add_f64 v[146:147], v[160:161], -v[150:151]
	s_delay_alu instid0(VALU_DEP_2) | instskip(NEXT) | instid1(VALU_DEP_2)
	v_add_f64 v[131:132], v[131:132], v[144:145]
	v_add_f64 v[133:134], v[133:134], -v[146:147]
	s_delay_alu instid0(VALU_DEP_1) | instskip(NEXT) | instid1(VALU_DEP_1)
	v_add_f64 v[131:132], v[131:132], v[133:134]
	v_add_f64 v[131:132], v[160:161], v[131:132]
	s_delay_alu instid0(VALU_DEP_1) | instskip(SKIP_1) | instid1(VALU_DEP_2)
	v_dual_cndmask_b32 v131, v131, v28 :: v_dual_cndmask_b32 v132, v132, v29
	v_cmp_ngt_f64_e32 vcc_lo, -1.0, v[28:29]
	v_cndmask_b32_e32 v132, 0x7ff80000, v132, vcc_lo
	v_cmp_nge_f64_e32 vcc_lo, -1.0, v[28:29]
	s_delay_alu instid0(VALU_DEP_4) | instskip(SKIP_1) | instid1(VALU_DEP_4)
	v_cndmask_b32_e32 v131, 0, v131, vcc_lo
	v_cmp_neq_f64_e32 vcc_lo, -1.0, v[28:29]
	v_cndmask_b32_e32 v132, 0xfff00000, v132, vcc_lo
	s_delay_alu instid0(VALU_DEP_1)
	v_add_f64 v[28:29], v[30:31], v[131:132]
.LBB8_247:
	s_or_b32 exec_lo, exec_lo, s8
	s_delay_alu instid0(VALU_DEP_1) | instskip(SKIP_1) | instid1(VALU_DEP_2)
	v_max_f64 v[30:31], v[28:29], v[28:29]
	v_cmp_u_f64_e32 vcc_lo, v[28:29], v[28:29]
	v_min_f64 v[131:132], v[30:31], v[32:33]
	v_max_f64 v[30:31], v[30:31], v[32:33]
	s_delay_alu instid0(VALU_DEP_2) | instskip(NEXT) | instid1(VALU_DEP_2)
	v_dual_cndmask_b32 v32, v131, v28 :: v_dual_cndmask_b32 v33, v132, v29
	v_dual_cndmask_b32 v31, v31, v29 :: v_dual_cndmask_b32 v30, v30, v28
	s_delay_alu instid0(VALU_DEP_2) | instskip(NEXT) | instid1(VALU_DEP_3)
	v_cndmask_b32_e64 v131, v32, v70, s14
	v_cndmask_b32_e64 v132, v33, v71, s14
	s_delay_alu instid0(VALU_DEP_3) | instskip(NEXT) | instid1(VALU_DEP_4)
	v_cndmask_b32_e64 v33, v31, v71, s14
	v_cndmask_b32_e64 v32, v30, v70, s14
	v_dual_mov_b32 v31, v29 :: v_dual_mov_b32 v30, v28
	s_delay_alu instid0(VALU_DEP_4) | instskip(NEXT) | instid1(VALU_DEP_3)
	v_cmp_class_f64_e64 s1, v[131:132], 0x1f8
	v_cmp_neq_f64_e32 vcc_lo, v[131:132], v[32:33]
	s_delay_alu instid0(VALU_DEP_2) | instskip(NEXT) | instid1(SALU_CYCLE_1)
	s_or_b32 s1, vcc_lo, s1
	s_and_saveexec_b32 s8, s1
	s_cbranch_execz .LBB8_249
; %bb.248:
	v_add_f64 v[30:31], v[131:132], -v[32:33]
	s_mov_b32 s2, 0x652b82fe
	s_mov_b32 s3, 0x3ff71547
	;; [unrolled: 1-line block ×10, first 2 shown]
	s_delay_alu instid0(VALU_DEP_1) | instskip(SKIP_4) | instid1(VALU_DEP_3)
	v_mul_f64 v[131:132], v[30:31], s[2:3]
	s_mov_b32 s3, 0xbfe62e42
	s_mov_b32 s2, 0xfefa39ef
	v_cmp_nlt_f64_e32 vcc_lo, 0x40900000, v[30:31]
	v_cmp_ngt_f64_e64 s1, 0xc090cc00, v[30:31]
	v_rndne_f64_e32 v[131:132], v[131:132]
	s_delay_alu instid0(VALU_DEP_1) | instskip(SKIP_2) | instid1(VALU_DEP_2)
	v_fma_f64 v[133:134], v[131:132], s[2:3], v[30:31]
	v_cvt_i32_f64_e32 v146, v[131:132]
	s_mov_b32 s3, 0x3fe62e42
	v_fma_f64 v[133:134], v[131:132], s[4:5], v[133:134]
	s_mov_b32 s5, 0x3c7abc9e
	s_delay_alu instid0(VALU_DEP_1) | instskip(SKIP_4) | instid1(VALU_DEP_1)
	v_fma_f64 v[144:145], v[133:134], s[10:11], s[6:7]
	s_mov_b32 s6, 0x623fde64
	s_mov_b32 s7, 0x3ec71dee
	;; [unrolled: 1-line block ×4, first 2 shown]
	v_fma_f64 v[144:145], v[133:134], v[144:145], s[6:7]
	s_mov_b32 s6, 0x7c89e6b0
	s_mov_b32 s7, 0x3efa0199
	s_delay_alu instid0(VALU_DEP_1) | instid1(SALU_CYCLE_1)
	v_fma_f64 v[144:145], v[133:134], v[144:145], s[6:7]
	s_mov_b32 s6, 0x14761f6e
	s_mov_b32 s7, 0x3f2a01a0
	s_delay_alu instid0(VALU_DEP_1) | instid1(SALU_CYCLE_1)
	;; [unrolled: 4-line block ×7, first 2 shown]
	v_fma_f64 v[144:145], v[133:134], v[144:145], s[6:7]
	s_mov_b32 s7, 0x3fe55555
	s_mov_b32 s6, 0x55555555
	s_delay_alu instid0(VALU_DEP_1) | instskip(NEXT) | instid1(VALU_DEP_1)
	v_fma_f64 v[144:145], v[133:134], v[144:145], 1.0
	v_fma_f64 v[131:132], v[133:134], v[144:145], 1.0
	s_delay_alu instid0(VALU_DEP_1) | instskip(NEXT) | instid1(VALU_DEP_1)
	v_ldexp_f64 v[131:132], v[131:132], v146
	v_cndmask_b32_e32 v132, 0x7ff00000, v132, vcc_lo
	s_and_b32 vcc_lo, s1, vcc_lo
	s_delay_alu instid0(VALU_DEP_2) | instskip(NEXT) | instid1(VALU_DEP_2)
	v_cndmask_b32_e32 v30, 0, v131, vcc_lo
	v_cndmask_b32_e64 v31, 0, v132, s1
	s_delay_alu instid0(VALU_DEP_1) | instskip(NEXT) | instid1(VALU_DEP_1)
	v_add_f64 v[131:132], v[30:31], 1.0
	v_frexp_mant_f64_e32 v[133:134], v[131:132]
	v_frexp_exp_i32_f64_e32 v146, v[131:132]
	v_add_f64 v[144:145], v[131:132], -1.0
	s_delay_alu instid0(VALU_DEP_3) | instskip(SKIP_1) | instid1(VALU_DEP_2)
	v_cmp_gt_f64_e32 vcc_lo, s[6:7], v[133:134]
	s_mov_b32 s6, 0x55555780
	v_add_f64 v[133:134], v[144:145], -v[131:132]
	v_add_f64 v[144:145], v[30:31], -v[144:145]
	v_subrev_co_ci_u32_e32 v166, vcc_lo, 0, v146, vcc_lo
	s_delay_alu instid0(VALU_DEP_3) | instskip(SKIP_1) | instid1(VALU_DEP_3)
	v_add_f64 v[133:134], v[133:134], 1.0
	v_cmp_eq_f64_e32 vcc_lo, 0x7ff00000, v[30:31]
	v_sub_nc_u32_e32 v148, 0, v166
	s_delay_alu instid0(VALU_DEP_1) | instskip(NEXT) | instid1(VALU_DEP_4)
	v_ldexp_f64 v[131:132], v[131:132], v148
	v_add_f64 v[133:134], v[144:145], v[133:134]
	s_delay_alu instid0(VALU_DEP_2) | instskip(SKIP_1) | instid1(VALU_DEP_3)
	v_add_f64 v[146:147], v[131:132], 1.0
	v_add_f64 v[160:161], v[131:132], -1.0
	v_ldexp_f64 v[133:134], v[133:134], v148
	s_delay_alu instid0(VALU_DEP_3) | instskip(NEXT) | instid1(VALU_DEP_3)
	v_add_f64 v[144:145], v[146:147], -1.0
	v_add_f64 v[162:163], v[160:161], 1.0
	s_delay_alu instid0(VALU_DEP_2) | instskip(NEXT) | instid1(VALU_DEP_2)
	v_add_f64 v[144:145], v[131:132], -v[144:145]
	v_add_f64 v[131:132], v[131:132], -v[162:163]
	s_delay_alu instid0(VALU_DEP_2) | instskip(NEXT) | instid1(VALU_DEP_2)
	v_add_f64 v[144:145], v[133:134], v[144:145]
	v_add_f64 v[131:132], v[133:134], v[131:132]
	s_delay_alu instid0(VALU_DEP_2) | instskip(NEXT) | instid1(VALU_DEP_2)
	v_add_f64 v[148:149], v[146:147], v[144:145]
	v_add_f64 v[162:163], v[160:161], v[131:132]
	s_delay_alu instid0(VALU_DEP_2) | instskip(SKIP_1) | instid1(VALU_DEP_2)
	v_rcp_f64_e32 v[150:151], v[148:149]
	v_add_f64 v[146:147], v[148:149], -v[146:147]
	v_add_f64 v[160:161], v[162:163], -v[160:161]
	s_delay_alu instid0(VALU_DEP_2) | instskip(SKIP_3) | instid1(VALU_DEP_2)
	v_add_f64 v[144:145], v[144:145], -v[146:147]
	s_waitcnt_depctr 0xfff
	v_fma_f64 v[164:165], -v[148:149], v[150:151], 1.0
	v_add_f64 v[131:132], v[131:132], -v[160:161]
	v_fma_f64 v[150:151], v[164:165], v[150:151], v[150:151]
	s_delay_alu instid0(VALU_DEP_1) | instskip(NEXT) | instid1(VALU_DEP_1)
	v_fma_f64 v[133:134], -v[148:149], v[150:151], 1.0
	v_fma_f64 v[133:134], v[133:134], v[150:151], v[150:151]
	s_delay_alu instid0(VALU_DEP_1) | instskip(NEXT) | instid1(VALU_DEP_1)
	v_mul_f64 v[150:151], v[162:163], v[133:134]
	v_mul_f64 v[164:165], v[148:149], v[150:151]
	s_delay_alu instid0(VALU_DEP_1) | instskip(NEXT) | instid1(VALU_DEP_1)
	v_fma_f64 v[146:147], v[150:151], v[148:149], -v[164:165]
	v_fma_f64 v[146:147], v[150:151], v[144:145], v[146:147]
	s_delay_alu instid0(VALU_DEP_1) | instskip(NEXT) | instid1(VALU_DEP_1)
	v_add_f64 v[209:210], v[164:165], v[146:147]
	v_add_f64 v[211:212], v[162:163], -v[209:210]
	v_add_f64 v[160:161], v[209:210], -v[164:165]
	s_delay_alu instid0(VALU_DEP_2) | instskip(NEXT) | instid1(VALU_DEP_2)
	v_add_f64 v[162:163], v[162:163], -v[211:212]
	v_add_f64 v[146:147], v[160:161], -v[146:147]
	s_delay_alu instid0(VALU_DEP_2) | instskip(NEXT) | instid1(VALU_DEP_1)
	v_add_f64 v[162:163], v[162:163], -v[209:210]
	v_add_f64 v[131:132], v[131:132], v[162:163]
	s_delay_alu instid0(VALU_DEP_1) | instskip(NEXT) | instid1(VALU_DEP_1)
	v_add_f64 v[131:132], v[146:147], v[131:132]
	v_add_f64 v[146:147], v[211:212], v[131:132]
	s_delay_alu instid0(VALU_DEP_1) | instskip(SKIP_1) | instid1(VALU_DEP_2)
	v_mul_f64 v[160:161], v[133:134], v[146:147]
	v_add_f64 v[209:210], v[211:212], -v[146:147]
	v_mul_f64 v[162:163], v[148:149], v[160:161]
	s_delay_alu instid0(VALU_DEP_2) | instskip(NEXT) | instid1(VALU_DEP_2)
	v_add_f64 v[131:132], v[131:132], v[209:210]
	v_fma_f64 v[148:149], v[160:161], v[148:149], -v[162:163]
	s_delay_alu instid0(VALU_DEP_1) | instskip(NEXT) | instid1(VALU_DEP_1)
	v_fma_f64 v[144:145], v[160:161], v[144:145], v[148:149]
	v_add_f64 v[148:149], v[162:163], v[144:145]
	s_delay_alu instid0(VALU_DEP_1) | instskip(SKIP_1) | instid1(VALU_DEP_2)
	v_add_f64 v[164:165], v[146:147], -v[148:149]
	v_add_f64 v[162:163], v[148:149], -v[162:163]
	;; [unrolled: 1-line block ×3, first 2 shown]
	s_delay_alu instid0(VALU_DEP_2) | instskip(NEXT) | instid1(VALU_DEP_2)
	v_add_f64 v[144:145], v[162:163], -v[144:145]
	v_add_f64 v[146:147], v[146:147], -v[148:149]
	s_delay_alu instid0(VALU_DEP_1) | instskip(SKIP_1) | instid1(VALU_DEP_2)
	v_add_f64 v[131:132], v[131:132], v[146:147]
	v_add_f64 v[146:147], v[150:151], v[160:161]
	;; [unrolled: 1-line block ×3, first 2 shown]
	s_delay_alu instid0(VALU_DEP_2) | instskip(NEXT) | instid1(VALU_DEP_2)
	v_add_f64 v[144:145], v[146:147], -v[150:151]
	v_add_f64 v[131:132], v[164:165], v[131:132]
	s_delay_alu instid0(VALU_DEP_2) | instskip(NEXT) | instid1(VALU_DEP_2)
	v_add_f64 v[144:145], v[160:161], -v[144:145]
	v_mul_f64 v[131:132], v[133:134], v[131:132]
	s_delay_alu instid0(VALU_DEP_1) | instskip(NEXT) | instid1(VALU_DEP_1)
	v_add_f64 v[131:132], v[144:145], v[131:132]
	v_add_f64 v[133:134], v[146:147], v[131:132]
	s_delay_alu instid0(VALU_DEP_1) | instskip(NEXT) | instid1(VALU_DEP_1)
	v_mul_f64 v[144:145], v[133:134], v[133:134]
	v_fma_f64 v[148:149], v[144:145], s[12:13], s[10:11]
	s_mov_b32 s10, 0xd7f4df2e
	s_mov_b32 s11, 0x3fc7474d
	v_mul_f64 v[150:151], v[133:134], v[144:145]
	s_delay_alu instid0(VALU_DEP_2)
	v_fma_f64 v[148:149], v[144:145], v[148:149], s[10:11]
	s_mov_b32 s10, 0x16291751
	s_mov_b32 s11, 0x3fcc71c0
	s_delay_alu instid0(VALU_DEP_1) | instid1(SALU_CYCLE_1)
	v_fma_f64 v[148:149], v[144:145], v[148:149], s[10:11]
	s_mov_b32 s10, 0x9b27acf1
	s_mov_b32 s11, 0x3fd24924
	s_delay_alu instid0(VALU_DEP_1) | instid1(SALU_CYCLE_1)
	;; [unrolled: 4-line block ×3, first 2 shown]
	v_fma_f64 v[148:149], v[144:145], v[148:149], s[10:11]
	s_delay_alu instid0(VALU_DEP_1) | instskip(SKIP_2) | instid1(VALU_DEP_3)
	v_fma_f64 v[144:145], v[144:145], v[148:149], s[6:7]
	v_ldexp_f64 v[148:149], v[133:134], 1
	v_add_f64 v[133:134], v[133:134], -v[146:147]
	v_mul_f64 v[144:145], v[150:151], v[144:145]
	v_cvt_f64_i32_e32 v[150:151], v166
	s_delay_alu instid0(VALU_DEP_3) | instskip(NEXT) | instid1(VALU_DEP_3)
	v_add_f64 v[131:132], v[131:132], -v[133:134]
	v_add_f64 v[146:147], v[148:149], v[144:145]
	s_delay_alu instid0(VALU_DEP_3) | instskip(NEXT) | instid1(VALU_DEP_3)
	v_mul_f64 v[160:161], v[150:151], s[2:3]
	v_ldexp_f64 v[131:132], v[131:132], 1
	s_delay_alu instid0(VALU_DEP_3) | instskip(NEXT) | instid1(VALU_DEP_3)
	v_add_f64 v[133:134], v[146:147], -v[148:149]
	v_fma_f64 v[148:149], v[150:151], s[2:3], -v[160:161]
	s_delay_alu instid0(VALU_DEP_2) | instskip(NEXT) | instid1(VALU_DEP_2)
	v_add_f64 v[133:134], v[144:145], -v[133:134]
	v_fma_f64 v[144:145], v[150:151], s[4:5], v[148:149]
	s_delay_alu instid0(VALU_DEP_2) | instskip(NEXT) | instid1(VALU_DEP_2)
	v_add_f64 v[131:132], v[131:132], v[133:134]
	v_add_f64 v[133:134], v[160:161], v[144:145]
	s_delay_alu instid0(VALU_DEP_2) | instskip(NEXT) | instid1(VALU_DEP_2)
	v_add_f64 v[148:149], v[146:147], v[131:132]
	v_add_f64 v[160:161], v[133:134], -v[160:161]
	s_delay_alu instid0(VALU_DEP_2) | instskip(SKIP_1) | instid1(VALU_DEP_3)
	v_add_f64 v[150:151], v[133:134], v[148:149]
	v_add_f64 v[146:147], v[148:149], -v[146:147]
	v_add_f64 v[144:145], v[144:145], -v[160:161]
	s_delay_alu instid0(VALU_DEP_3) | instskip(NEXT) | instid1(VALU_DEP_3)
	v_add_f64 v[162:163], v[150:151], -v[133:134]
	v_add_f64 v[131:132], v[131:132], -v[146:147]
	s_delay_alu instid0(VALU_DEP_2) | instskip(SKIP_1) | instid1(VALU_DEP_3)
	v_add_f64 v[164:165], v[150:151], -v[162:163]
	v_add_f64 v[146:147], v[148:149], -v[162:163]
	v_add_f64 v[148:149], v[144:145], v[131:132]
	s_delay_alu instid0(VALU_DEP_3) | instskip(NEXT) | instid1(VALU_DEP_1)
	v_add_f64 v[133:134], v[133:134], -v[164:165]
	v_add_f64 v[133:134], v[146:147], v[133:134]
	s_delay_alu instid0(VALU_DEP_3) | instskip(NEXT) | instid1(VALU_DEP_2)
	v_add_f64 v[146:147], v[148:149], -v[144:145]
	v_add_f64 v[133:134], v[148:149], v[133:134]
	s_delay_alu instid0(VALU_DEP_2) | instskip(SKIP_1) | instid1(VALU_DEP_3)
	v_add_f64 v[148:149], v[148:149], -v[146:147]
	v_add_f64 v[131:132], v[131:132], -v[146:147]
	v_add_f64 v[160:161], v[150:151], v[133:134]
	s_delay_alu instid0(VALU_DEP_3) | instskip(NEXT) | instid1(VALU_DEP_2)
	v_add_f64 v[144:145], v[144:145], -v[148:149]
	v_add_f64 v[146:147], v[160:161], -v[150:151]
	s_delay_alu instid0(VALU_DEP_2) | instskip(NEXT) | instid1(VALU_DEP_2)
	v_add_f64 v[131:132], v[131:132], v[144:145]
	v_add_f64 v[133:134], v[133:134], -v[146:147]
	s_delay_alu instid0(VALU_DEP_1) | instskip(NEXT) | instid1(VALU_DEP_1)
	v_add_f64 v[131:132], v[131:132], v[133:134]
	v_add_f64 v[131:132], v[160:161], v[131:132]
	s_delay_alu instid0(VALU_DEP_1) | instskip(SKIP_1) | instid1(VALU_DEP_2)
	v_dual_cndmask_b32 v131, v131, v30 :: v_dual_cndmask_b32 v132, v132, v31
	v_cmp_ngt_f64_e32 vcc_lo, -1.0, v[30:31]
	v_cndmask_b32_e32 v132, 0x7ff80000, v132, vcc_lo
	v_cmp_nge_f64_e32 vcc_lo, -1.0, v[30:31]
	s_delay_alu instid0(VALU_DEP_4) | instskip(SKIP_1) | instid1(VALU_DEP_4)
	v_cndmask_b32_e32 v131, 0, v131, vcc_lo
	v_cmp_neq_f64_e32 vcc_lo, -1.0, v[30:31]
	v_cndmask_b32_e32 v132, 0xfff00000, v132, vcc_lo
	s_delay_alu instid0(VALU_DEP_1)
	v_add_f64 v[30:31], v[32:33], v[131:132]
.LBB8_249:
	s_or_b32 exec_lo, exec_lo, s8
	s_delay_alu instid0(VALU_DEP_1) | instskip(SKIP_1) | instid1(VALU_DEP_2)
	v_max_f64 v[32:33], v[30:31], v[30:31]
	v_cmp_u_f64_e32 vcc_lo, v[30:31], v[30:31]
	v_min_f64 v[131:132], v[32:33], v[34:35]
	v_max_f64 v[32:33], v[32:33], v[34:35]
	s_delay_alu instid0(VALU_DEP_2) | instskip(NEXT) | instid1(VALU_DEP_2)
	v_dual_cndmask_b32 v34, v131, v30 :: v_dual_cndmask_b32 v35, v132, v31
	v_dual_cndmask_b32 v33, v33, v31 :: v_dual_cndmask_b32 v32, v32, v30
	s_delay_alu instid0(VALU_DEP_2) | instskip(NEXT) | instid1(VALU_DEP_3)
	v_cndmask_b32_e64 v131, v34, v64, s15
	v_cndmask_b32_e64 v132, v35, v65, s15
	s_delay_alu instid0(VALU_DEP_3) | instskip(NEXT) | instid1(VALU_DEP_4)
	v_cndmask_b32_e64 v35, v33, v65, s15
	v_cndmask_b32_e64 v34, v32, v64, s15
	v_dual_mov_b32 v33, v31 :: v_dual_mov_b32 v32, v30
	s_delay_alu instid0(VALU_DEP_4) | instskip(NEXT) | instid1(VALU_DEP_3)
	v_cmp_class_f64_e64 s1, v[131:132], 0x1f8
	v_cmp_neq_f64_e32 vcc_lo, v[131:132], v[34:35]
	s_delay_alu instid0(VALU_DEP_2) | instskip(NEXT) | instid1(SALU_CYCLE_1)
	s_or_b32 s1, vcc_lo, s1
	s_and_saveexec_b32 s8, s1
	s_cbranch_execz .LBB8_251
; %bb.250:
	v_add_f64 v[32:33], v[131:132], -v[34:35]
	s_mov_b32 s2, 0x652b82fe
	s_mov_b32 s3, 0x3ff71547
	;; [unrolled: 1-line block ×10, first 2 shown]
	s_delay_alu instid0(VALU_DEP_1) | instskip(SKIP_4) | instid1(VALU_DEP_3)
	v_mul_f64 v[131:132], v[32:33], s[2:3]
	s_mov_b32 s3, 0xbfe62e42
	s_mov_b32 s2, 0xfefa39ef
	v_cmp_nlt_f64_e32 vcc_lo, 0x40900000, v[32:33]
	v_cmp_ngt_f64_e64 s1, 0xc090cc00, v[32:33]
	v_rndne_f64_e32 v[131:132], v[131:132]
	s_delay_alu instid0(VALU_DEP_1) | instskip(SKIP_2) | instid1(VALU_DEP_2)
	v_fma_f64 v[133:134], v[131:132], s[2:3], v[32:33]
	v_cvt_i32_f64_e32 v146, v[131:132]
	s_mov_b32 s3, 0x3fe62e42
	v_fma_f64 v[133:134], v[131:132], s[4:5], v[133:134]
	s_mov_b32 s5, 0x3c7abc9e
	s_delay_alu instid0(VALU_DEP_1) | instskip(SKIP_4) | instid1(VALU_DEP_1)
	v_fma_f64 v[144:145], v[133:134], s[10:11], s[6:7]
	s_mov_b32 s6, 0x623fde64
	s_mov_b32 s7, 0x3ec71dee
	s_mov_b32 s10, 0x6b47b09a
	s_mov_b32 s11, 0x3fc38538
	v_fma_f64 v[144:145], v[133:134], v[144:145], s[6:7]
	s_mov_b32 s6, 0x7c89e6b0
	s_mov_b32 s7, 0x3efa0199
	s_delay_alu instid0(VALU_DEP_1) | instid1(SALU_CYCLE_1)
	v_fma_f64 v[144:145], v[133:134], v[144:145], s[6:7]
	s_mov_b32 s6, 0x14761f6e
	s_mov_b32 s7, 0x3f2a01a0
	s_delay_alu instid0(VALU_DEP_1) | instid1(SALU_CYCLE_1)
	;; [unrolled: 4-line block ×7, first 2 shown]
	v_fma_f64 v[144:145], v[133:134], v[144:145], s[6:7]
	s_mov_b32 s7, 0x3fe55555
	s_mov_b32 s6, 0x55555555
	s_delay_alu instid0(VALU_DEP_1) | instskip(NEXT) | instid1(VALU_DEP_1)
	v_fma_f64 v[144:145], v[133:134], v[144:145], 1.0
	v_fma_f64 v[131:132], v[133:134], v[144:145], 1.0
	s_delay_alu instid0(VALU_DEP_1) | instskip(NEXT) | instid1(VALU_DEP_1)
	v_ldexp_f64 v[131:132], v[131:132], v146
	v_cndmask_b32_e32 v132, 0x7ff00000, v132, vcc_lo
	s_and_b32 vcc_lo, s1, vcc_lo
	s_delay_alu instid0(VALU_DEP_2) | instskip(NEXT) | instid1(VALU_DEP_2)
	v_cndmask_b32_e32 v32, 0, v131, vcc_lo
	v_cndmask_b32_e64 v33, 0, v132, s1
	s_delay_alu instid0(VALU_DEP_1) | instskip(NEXT) | instid1(VALU_DEP_1)
	v_add_f64 v[131:132], v[32:33], 1.0
	v_frexp_mant_f64_e32 v[133:134], v[131:132]
	v_frexp_exp_i32_f64_e32 v146, v[131:132]
	v_add_f64 v[144:145], v[131:132], -1.0
	s_delay_alu instid0(VALU_DEP_3) | instskip(SKIP_1) | instid1(VALU_DEP_2)
	v_cmp_gt_f64_e32 vcc_lo, s[6:7], v[133:134]
	s_mov_b32 s6, 0x55555780
	v_add_f64 v[133:134], v[144:145], -v[131:132]
	v_add_f64 v[144:145], v[32:33], -v[144:145]
	v_subrev_co_ci_u32_e32 v166, vcc_lo, 0, v146, vcc_lo
	s_delay_alu instid0(VALU_DEP_3) | instskip(SKIP_1) | instid1(VALU_DEP_3)
	v_add_f64 v[133:134], v[133:134], 1.0
	v_cmp_eq_f64_e32 vcc_lo, 0x7ff00000, v[32:33]
	v_sub_nc_u32_e32 v148, 0, v166
	s_delay_alu instid0(VALU_DEP_1) | instskip(NEXT) | instid1(VALU_DEP_4)
	v_ldexp_f64 v[131:132], v[131:132], v148
	v_add_f64 v[133:134], v[144:145], v[133:134]
	s_delay_alu instid0(VALU_DEP_2) | instskip(SKIP_1) | instid1(VALU_DEP_3)
	v_add_f64 v[146:147], v[131:132], 1.0
	v_add_f64 v[160:161], v[131:132], -1.0
	v_ldexp_f64 v[133:134], v[133:134], v148
	s_delay_alu instid0(VALU_DEP_3) | instskip(NEXT) | instid1(VALU_DEP_3)
	v_add_f64 v[144:145], v[146:147], -1.0
	v_add_f64 v[162:163], v[160:161], 1.0
	s_delay_alu instid0(VALU_DEP_2) | instskip(NEXT) | instid1(VALU_DEP_2)
	v_add_f64 v[144:145], v[131:132], -v[144:145]
	v_add_f64 v[131:132], v[131:132], -v[162:163]
	s_delay_alu instid0(VALU_DEP_2) | instskip(NEXT) | instid1(VALU_DEP_2)
	v_add_f64 v[144:145], v[133:134], v[144:145]
	v_add_f64 v[131:132], v[133:134], v[131:132]
	s_delay_alu instid0(VALU_DEP_2) | instskip(NEXT) | instid1(VALU_DEP_2)
	v_add_f64 v[148:149], v[146:147], v[144:145]
	v_add_f64 v[162:163], v[160:161], v[131:132]
	s_delay_alu instid0(VALU_DEP_2) | instskip(SKIP_1) | instid1(VALU_DEP_2)
	v_rcp_f64_e32 v[150:151], v[148:149]
	v_add_f64 v[146:147], v[148:149], -v[146:147]
	v_add_f64 v[160:161], v[162:163], -v[160:161]
	s_delay_alu instid0(VALU_DEP_2) | instskip(SKIP_3) | instid1(VALU_DEP_2)
	v_add_f64 v[144:145], v[144:145], -v[146:147]
	s_waitcnt_depctr 0xfff
	v_fma_f64 v[164:165], -v[148:149], v[150:151], 1.0
	v_add_f64 v[131:132], v[131:132], -v[160:161]
	v_fma_f64 v[150:151], v[164:165], v[150:151], v[150:151]
	s_delay_alu instid0(VALU_DEP_1) | instskip(NEXT) | instid1(VALU_DEP_1)
	v_fma_f64 v[133:134], -v[148:149], v[150:151], 1.0
	v_fma_f64 v[133:134], v[133:134], v[150:151], v[150:151]
	s_delay_alu instid0(VALU_DEP_1) | instskip(NEXT) | instid1(VALU_DEP_1)
	v_mul_f64 v[150:151], v[162:163], v[133:134]
	v_mul_f64 v[164:165], v[148:149], v[150:151]
	s_delay_alu instid0(VALU_DEP_1) | instskip(NEXT) | instid1(VALU_DEP_1)
	v_fma_f64 v[146:147], v[150:151], v[148:149], -v[164:165]
	v_fma_f64 v[146:147], v[150:151], v[144:145], v[146:147]
	s_delay_alu instid0(VALU_DEP_1) | instskip(NEXT) | instid1(VALU_DEP_1)
	v_add_f64 v[209:210], v[164:165], v[146:147]
	v_add_f64 v[211:212], v[162:163], -v[209:210]
	v_add_f64 v[160:161], v[209:210], -v[164:165]
	s_delay_alu instid0(VALU_DEP_2) | instskip(NEXT) | instid1(VALU_DEP_2)
	v_add_f64 v[162:163], v[162:163], -v[211:212]
	v_add_f64 v[146:147], v[160:161], -v[146:147]
	s_delay_alu instid0(VALU_DEP_2) | instskip(NEXT) | instid1(VALU_DEP_1)
	v_add_f64 v[162:163], v[162:163], -v[209:210]
	v_add_f64 v[131:132], v[131:132], v[162:163]
	s_delay_alu instid0(VALU_DEP_1) | instskip(NEXT) | instid1(VALU_DEP_1)
	v_add_f64 v[131:132], v[146:147], v[131:132]
	v_add_f64 v[146:147], v[211:212], v[131:132]
	s_delay_alu instid0(VALU_DEP_1) | instskip(SKIP_1) | instid1(VALU_DEP_2)
	v_mul_f64 v[160:161], v[133:134], v[146:147]
	v_add_f64 v[209:210], v[211:212], -v[146:147]
	v_mul_f64 v[162:163], v[148:149], v[160:161]
	s_delay_alu instid0(VALU_DEP_2) | instskip(NEXT) | instid1(VALU_DEP_2)
	v_add_f64 v[131:132], v[131:132], v[209:210]
	v_fma_f64 v[148:149], v[160:161], v[148:149], -v[162:163]
	s_delay_alu instid0(VALU_DEP_1) | instskip(NEXT) | instid1(VALU_DEP_1)
	v_fma_f64 v[144:145], v[160:161], v[144:145], v[148:149]
	v_add_f64 v[148:149], v[162:163], v[144:145]
	s_delay_alu instid0(VALU_DEP_1) | instskip(SKIP_1) | instid1(VALU_DEP_2)
	v_add_f64 v[164:165], v[146:147], -v[148:149]
	v_add_f64 v[162:163], v[148:149], -v[162:163]
	v_add_f64 v[146:147], v[146:147], -v[164:165]
	s_delay_alu instid0(VALU_DEP_2) | instskip(NEXT) | instid1(VALU_DEP_2)
	v_add_f64 v[144:145], v[162:163], -v[144:145]
	v_add_f64 v[146:147], v[146:147], -v[148:149]
	s_delay_alu instid0(VALU_DEP_1) | instskip(SKIP_1) | instid1(VALU_DEP_2)
	v_add_f64 v[131:132], v[131:132], v[146:147]
	v_add_f64 v[146:147], v[150:151], v[160:161]
	;; [unrolled: 1-line block ×3, first 2 shown]
	s_delay_alu instid0(VALU_DEP_2) | instskip(NEXT) | instid1(VALU_DEP_2)
	v_add_f64 v[144:145], v[146:147], -v[150:151]
	v_add_f64 v[131:132], v[164:165], v[131:132]
	s_delay_alu instid0(VALU_DEP_2) | instskip(NEXT) | instid1(VALU_DEP_2)
	v_add_f64 v[144:145], v[160:161], -v[144:145]
	v_mul_f64 v[131:132], v[133:134], v[131:132]
	s_delay_alu instid0(VALU_DEP_1) | instskip(NEXT) | instid1(VALU_DEP_1)
	v_add_f64 v[131:132], v[144:145], v[131:132]
	v_add_f64 v[133:134], v[146:147], v[131:132]
	s_delay_alu instid0(VALU_DEP_1) | instskip(NEXT) | instid1(VALU_DEP_1)
	v_mul_f64 v[144:145], v[133:134], v[133:134]
	v_fma_f64 v[148:149], v[144:145], s[12:13], s[10:11]
	s_mov_b32 s10, 0xd7f4df2e
	s_mov_b32 s11, 0x3fc7474d
	v_mul_f64 v[150:151], v[133:134], v[144:145]
	s_delay_alu instid0(VALU_DEP_2)
	v_fma_f64 v[148:149], v[144:145], v[148:149], s[10:11]
	s_mov_b32 s10, 0x16291751
	s_mov_b32 s11, 0x3fcc71c0
	s_delay_alu instid0(VALU_DEP_1) | instid1(SALU_CYCLE_1)
	v_fma_f64 v[148:149], v[144:145], v[148:149], s[10:11]
	s_mov_b32 s10, 0x9b27acf1
	s_mov_b32 s11, 0x3fd24924
	s_delay_alu instid0(VALU_DEP_1) | instid1(SALU_CYCLE_1)
	;; [unrolled: 4-line block ×3, first 2 shown]
	v_fma_f64 v[148:149], v[144:145], v[148:149], s[10:11]
	s_delay_alu instid0(VALU_DEP_1) | instskip(SKIP_2) | instid1(VALU_DEP_3)
	v_fma_f64 v[144:145], v[144:145], v[148:149], s[6:7]
	v_ldexp_f64 v[148:149], v[133:134], 1
	v_add_f64 v[133:134], v[133:134], -v[146:147]
	v_mul_f64 v[144:145], v[150:151], v[144:145]
	v_cvt_f64_i32_e32 v[150:151], v166
	s_delay_alu instid0(VALU_DEP_3) | instskip(NEXT) | instid1(VALU_DEP_3)
	v_add_f64 v[131:132], v[131:132], -v[133:134]
	v_add_f64 v[146:147], v[148:149], v[144:145]
	s_delay_alu instid0(VALU_DEP_3) | instskip(NEXT) | instid1(VALU_DEP_3)
	v_mul_f64 v[160:161], v[150:151], s[2:3]
	v_ldexp_f64 v[131:132], v[131:132], 1
	s_delay_alu instid0(VALU_DEP_3) | instskip(NEXT) | instid1(VALU_DEP_3)
	v_add_f64 v[133:134], v[146:147], -v[148:149]
	v_fma_f64 v[148:149], v[150:151], s[2:3], -v[160:161]
	s_delay_alu instid0(VALU_DEP_2) | instskip(NEXT) | instid1(VALU_DEP_2)
	v_add_f64 v[133:134], v[144:145], -v[133:134]
	v_fma_f64 v[144:145], v[150:151], s[4:5], v[148:149]
	s_delay_alu instid0(VALU_DEP_2) | instskip(NEXT) | instid1(VALU_DEP_2)
	v_add_f64 v[131:132], v[131:132], v[133:134]
	v_add_f64 v[133:134], v[160:161], v[144:145]
	s_delay_alu instid0(VALU_DEP_2) | instskip(NEXT) | instid1(VALU_DEP_2)
	v_add_f64 v[148:149], v[146:147], v[131:132]
	v_add_f64 v[160:161], v[133:134], -v[160:161]
	s_delay_alu instid0(VALU_DEP_2) | instskip(SKIP_1) | instid1(VALU_DEP_3)
	v_add_f64 v[150:151], v[133:134], v[148:149]
	v_add_f64 v[146:147], v[148:149], -v[146:147]
	v_add_f64 v[144:145], v[144:145], -v[160:161]
	s_delay_alu instid0(VALU_DEP_3) | instskip(NEXT) | instid1(VALU_DEP_3)
	v_add_f64 v[162:163], v[150:151], -v[133:134]
	v_add_f64 v[131:132], v[131:132], -v[146:147]
	s_delay_alu instid0(VALU_DEP_2) | instskip(SKIP_1) | instid1(VALU_DEP_3)
	v_add_f64 v[164:165], v[150:151], -v[162:163]
	v_add_f64 v[146:147], v[148:149], -v[162:163]
	v_add_f64 v[148:149], v[144:145], v[131:132]
	s_delay_alu instid0(VALU_DEP_3) | instskip(NEXT) | instid1(VALU_DEP_1)
	v_add_f64 v[133:134], v[133:134], -v[164:165]
	v_add_f64 v[133:134], v[146:147], v[133:134]
	s_delay_alu instid0(VALU_DEP_3) | instskip(NEXT) | instid1(VALU_DEP_2)
	v_add_f64 v[146:147], v[148:149], -v[144:145]
	v_add_f64 v[133:134], v[148:149], v[133:134]
	s_delay_alu instid0(VALU_DEP_2) | instskip(SKIP_1) | instid1(VALU_DEP_3)
	v_add_f64 v[148:149], v[148:149], -v[146:147]
	v_add_f64 v[131:132], v[131:132], -v[146:147]
	v_add_f64 v[160:161], v[150:151], v[133:134]
	s_delay_alu instid0(VALU_DEP_3) | instskip(NEXT) | instid1(VALU_DEP_2)
	v_add_f64 v[144:145], v[144:145], -v[148:149]
	v_add_f64 v[146:147], v[160:161], -v[150:151]
	s_delay_alu instid0(VALU_DEP_2) | instskip(NEXT) | instid1(VALU_DEP_2)
	v_add_f64 v[131:132], v[131:132], v[144:145]
	v_add_f64 v[133:134], v[133:134], -v[146:147]
	s_delay_alu instid0(VALU_DEP_1) | instskip(NEXT) | instid1(VALU_DEP_1)
	v_add_f64 v[131:132], v[131:132], v[133:134]
	v_add_f64 v[131:132], v[160:161], v[131:132]
	s_delay_alu instid0(VALU_DEP_1) | instskip(SKIP_1) | instid1(VALU_DEP_2)
	v_dual_cndmask_b32 v131, v131, v32 :: v_dual_cndmask_b32 v132, v132, v33
	v_cmp_ngt_f64_e32 vcc_lo, -1.0, v[32:33]
	v_cndmask_b32_e32 v132, 0x7ff80000, v132, vcc_lo
	v_cmp_nge_f64_e32 vcc_lo, -1.0, v[32:33]
	s_delay_alu instid0(VALU_DEP_4) | instskip(SKIP_1) | instid1(VALU_DEP_4)
	v_cndmask_b32_e32 v131, 0, v131, vcc_lo
	v_cmp_neq_f64_e32 vcc_lo, -1.0, v[32:33]
	v_cndmask_b32_e32 v132, 0xfff00000, v132, vcc_lo
	s_delay_alu instid0(VALU_DEP_1)
	v_add_f64 v[32:33], v[34:35], v[131:132]
.LBB8_251:
	s_or_b32 exec_lo, exec_lo, s8
	s_delay_alu instid0(VALU_DEP_1) | instskip(SKIP_1) | instid1(VALU_DEP_2)
	v_max_f64 v[34:35], v[32:33], v[32:33]
	v_cmp_u_f64_e32 vcc_lo, v[32:33], v[32:33]
	v_min_f64 v[131:132], v[34:35], v[129:130]
	v_max_f64 v[34:35], v[34:35], v[129:130]
	s_delay_alu instid0(VALU_DEP_2) | instskip(NEXT) | instid1(VALU_DEP_2)
	v_dual_cndmask_b32 v129, v131, v32 :: v_dual_cndmask_b32 v130, v132, v33
	v_dual_cndmask_b32 v35, v35, v33 :: v_dual_cndmask_b32 v34, v34, v32
	s_delay_alu instid0(VALU_DEP_2) | instskip(NEXT) | instid1(VALU_DEP_3)
	v_cndmask_b32_e64 v131, v129, v66, s16
	v_cndmask_b32_e64 v132, v130, v67, s16
	s_delay_alu instid0(VALU_DEP_3) | instskip(NEXT) | instid1(VALU_DEP_4)
	v_cndmask_b32_e64 v130, v35, v67, s16
	v_cndmask_b32_e64 v129, v34, v66, s16
	v_dual_mov_b32 v35, v33 :: v_dual_mov_b32 v34, v32
	s_delay_alu instid0(VALU_DEP_4) | instskip(NEXT) | instid1(VALU_DEP_3)
	v_cmp_class_f64_e64 s1, v[131:132], 0x1f8
	v_cmp_neq_f64_e32 vcc_lo, v[131:132], v[129:130]
	s_delay_alu instid0(VALU_DEP_2) | instskip(NEXT) | instid1(SALU_CYCLE_1)
	s_or_b32 s1, vcc_lo, s1
	s_and_saveexec_b32 s8, s1
	s_cbranch_execz .LBB8_253
; %bb.252:
	v_add_f64 v[34:35], v[131:132], -v[129:130]
	s_mov_b32 s2, 0x652b82fe
	s_mov_b32 s3, 0x3ff71547
	;; [unrolled: 1-line block ×10, first 2 shown]
	s_delay_alu instid0(VALU_DEP_1) | instskip(SKIP_4) | instid1(VALU_DEP_3)
	v_mul_f64 v[131:132], v[34:35], s[2:3]
	s_mov_b32 s3, 0xbfe62e42
	s_mov_b32 s2, 0xfefa39ef
	v_cmp_nlt_f64_e32 vcc_lo, 0x40900000, v[34:35]
	v_cmp_ngt_f64_e64 s1, 0xc090cc00, v[34:35]
	v_rndne_f64_e32 v[131:132], v[131:132]
	s_delay_alu instid0(VALU_DEP_1) | instskip(SKIP_2) | instid1(VALU_DEP_2)
	v_fma_f64 v[133:134], v[131:132], s[2:3], v[34:35]
	v_cvt_i32_f64_e32 v146, v[131:132]
	s_mov_b32 s3, 0x3fe62e42
	v_fma_f64 v[133:134], v[131:132], s[4:5], v[133:134]
	s_mov_b32 s5, 0x3c7abc9e
	s_delay_alu instid0(VALU_DEP_1) | instskip(SKIP_4) | instid1(VALU_DEP_1)
	v_fma_f64 v[144:145], v[133:134], s[10:11], s[6:7]
	s_mov_b32 s6, 0x623fde64
	s_mov_b32 s7, 0x3ec71dee
	;; [unrolled: 1-line block ×4, first 2 shown]
	v_fma_f64 v[144:145], v[133:134], v[144:145], s[6:7]
	s_mov_b32 s6, 0x7c89e6b0
	s_mov_b32 s7, 0x3efa0199
	s_delay_alu instid0(VALU_DEP_1) | instid1(SALU_CYCLE_1)
	v_fma_f64 v[144:145], v[133:134], v[144:145], s[6:7]
	s_mov_b32 s6, 0x14761f6e
	s_mov_b32 s7, 0x3f2a01a0
	s_delay_alu instid0(VALU_DEP_1) | instid1(SALU_CYCLE_1)
	;; [unrolled: 4-line block ×7, first 2 shown]
	v_fma_f64 v[144:145], v[133:134], v[144:145], s[6:7]
	s_mov_b32 s7, 0x3fe55555
	s_mov_b32 s6, 0x55555555
	s_delay_alu instid0(VALU_DEP_1) | instskip(NEXT) | instid1(VALU_DEP_1)
	v_fma_f64 v[144:145], v[133:134], v[144:145], 1.0
	v_fma_f64 v[131:132], v[133:134], v[144:145], 1.0
	s_delay_alu instid0(VALU_DEP_1) | instskip(NEXT) | instid1(VALU_DEP_1)
	v_ldexp_f64 v[131:132], v[131:132], v146
	v_cndmask_b32_e32 v132, 0x7ff00000, v132, vcc_lo
	s_and_b32 vcc_lo, s1, vcc_lo
	s_delay_alu instid0(VALU_DEP_2) | instskip(NEXT) | instid1(VALU_DEP_2)
	v_cndmask_b32_e32 v34, 0, v131, vcc_lo
	v_cndmask_b32_e64 v35, 0, v132, s1
	s_delay_alu instid0(VALU_DEP_1) | instskip(NEXT) | instid1(VALU_DEP_1)
	v_add_f64 v[131:132], v[34:35], 1.0
	v_frexp_mant_f64_e32 v[133:134], v[131:132]
	v_frexp_exp_i32_f64_e32 v146, v[131:132]
	v_add_f64 v[144:145], v[131:132], -1.0
	s_delay_alu instid0(VALU_DEP_3) | instskip(SKIP_1) | instid1(VALU_DEP_2)
	v_cmp_gt_f64_e32 vcc_lo, s[6:7], v[133:134]
	s_mov_b32 s6, 0x55555780
	v_add_f64 v[133:134], v[144:145], -v[131:132]
	v_add_f64 v[144:145], v[34:35], -v[144:145]
	v_subrev_co_ci_u32_e32 v166, vcc_lo, 0, v146, vcc_lo
	s_delay_alu instid0(VALU_DEP_3) | instskip(SKIP_1) | instid1(VALU_DEP_3)
	v_add_f64 v[133:134], v[133:134], 1.0
	v_cmp_eq_f64_e32 vcc_lo, 0x7ff00000, v[34:35]
	v_sub_nc_u32_e32 v148, 0, v166
	s_delay_alu instid0(VALU_DEP_1) | instskip(NEXT) | instid1(VALU_DEP_4)
	v_ldexp_f64 v[131:132], v[131:132], v148
	v_add_f64 v[133:134], v[144:145], v[133:134]
	s_delay_alu instid0(VALU_DEP_2) | instskip(SKIP_1) | instid1(VALU_DEP_3)
	v_add_f64 v[146:147], v[131:132], 1.0
	v_add_f64 v[160:161], v[131:132], -1.0
	v_ldexp_f64 v[133:134], v[133:134], v148
	s_delay_alu instid0(VALU_DEP_3) | instskip(NEXT) | instid1(VALU_DEP_3)
	v_add_f64 v[144:145], v[146:147], -1.0
	v_add_f64 v[162:163], v[160:161], 1.0
	s_delay_alu instid0(VALU_DEP_2) | instskip(NEXT) | instid1(VALU_DEP_2)
	v_add_f64 v[144:145], v[131:132], -v[144:145]
	v_add_f64 v[131:132], v[131:132], -v[162:163]
	s_delay_alu instid0(VALU_DEP_2) | instskip(NEXT) | instid1(VALU_DEP_2)
	v_add_f64 v[144:145], v[133:134], v[144:145]
	v_add_f64 v[131:132], v[133:134], v[131:132]
	s_delay_alu instid0(VALU_DEP_2) | instskip(NEXT) | instid1(VALU_DEP_2)
	v_add_f64 v[148:149], v[146:147], v[144:145]
	v_add_f64 v[162:163], v[160:161], v[131:132]
	s_delay_alu instid0(VALU_DEP_2) | instskip(SKIP_1) | instid1(VALU_DEP_2)
	v_rcp_f64_e32 v[150:151], v[148:149]
	v_add_f64 v[146:147], v[148:149], -v[146:147]
	v_add_f64 v[160:161], v[162:163], -v[160:161]
	s_delay_alu instid0(VALU_DEP_2) | instskip(SKIP_3) | instid1(VALU_DEP_2)
	v_add_f64 v[144:145], v[144:145], -v[146:147]
	s_waitcnt_depctr 0xfff
	v_fma_f64 v[164:165], -v[148:149], v[150:151], 1.0
	v_add_f64 v[131:132], v[131:132], -v[160:161]
	v_fma_f64 v[150:151], v[164:165], v[150:151], v[150:151]
	s_delay_alu instid0(VALU_DEP_1) | instskip(NEXT) | instid1(VALU_DEP_1)
	v_fma_f64 v[133:134], -v[148:149], v[150:151], 1.0
	v_fma_f64 v[133:134], v[133:134], v[150:151], v[150:151]
	s_delay_alu instid0(VALU_DEP_1) | instskip(NEXT) | instid1(VALU_DEP_1)
	v_mul_f64 v[150:151], v[162:163], v[133:134]
	v_mul_f64 v[164:165], v[148:149], v[150:151]
	s_delay_alu instid0(VALU_DEP_1) | instskip(NEXT) | instid1(VALU_DEP_1)
	v_fma_f64 v[146:147], v[150:151], v[148:149], -v[164:165]
	v_fma_f64 v[146:147], v[150:151], v[144:145], v[146:147]
	s_delay_alu instid0(VALU_DEP_1) | instskip(NEXT) | instid1(VALU_DEP_1)
	v_add_f64 v[209:210], v[164:165], v[146:147]
	v_add_f64 v[211:212], v[162:163], -v[209:210]
	v_add_f64 v[160:161], v[209:210], -v[164:165]
	s_delay_alu instid0(VALU_DEP_2) | instskip(NEXT) | instid1(VALU_DEP_2)
	v_add_f64 v[162:163], v[162:163], -v[211:212]
	v_add_f64 v[146:147], v[160:161], -v[146:147]
	s_delay_alu instid0(VALU_DEP_2) | instskip(NEXT) | instid1(VALU_DEP_1)
	v_add_f64 v[162:163], v[162:163], -v[209:210]
	v_add_f64 v[131:132], v[131:132], v[162:163]
	s_delay_alu instid0(VALU_DEP_1) | instskip(NEXT) | instid1(VALU_DEP_1)
	v_add_f64 v[131:132], v[146:147], v[131:132]
	v_add_f64 v[146:147], v[211:212], v[131:132]
	s_delay_alu instid0(VALU_DEP_1) | instskip(SKIP_1) | instid1(VALU_DEP_2)
	v_mul_f64 v[160:161], v[133:134], v[146:147]
	v_add_f64 v[209:210], v[211:212], -v[146:147]
	v_mul_f64 v[162:163], v[148:149], v[160:161]
	s_delay_alu instid0(VALU_DEP_2) | instskip(NEXT) | instid1(VALU_DEP_2)
	v_add_f64 v[131:132], v[131:132], v[209:210]
	v_fma_f64 v[148:149], v[160:161], v[148:149], -v[162:163]
	s_delay_alu instid0(VALU_DEP_1) | instskip(NEXT) | instid1(VALU_DEP_1)
	v_fma_f64 v[144:145], v[160:161], v[144:145], v[148:149]
	v_add_f64 v[148:149], v[162:163], v[144:145]
	s_delay_alu instid0(VALU_DEP_1) | instskip(SKIP_1) | instid1(VALU_DEP_2)
	v_add_f64 v[164:165], v[146:147], -v[148:149]
	v_add_f64 v[162:163], v[148:149], -v[162:163]
	v_add_f64 v[146:147], v[146:147], -v[164:165]
	s_delay_alu instid0(VALU_DEP_2) | instskip(NEXT) | instid1(VALU_DEP_2)
	v_add_f64 v[144:145], v[162:163], -v[144:145]
	v_add_f64 v[146:147], v[146:147], -v[148:149]
	s_delay_alu instid0(VALU_DEP_1) | instskip(SKIP_1) | instid1(VALU_DEP_2)
	v_add_f64 v[131:132], v[131:132], v[146:147]
	v_add_f64 v[146:147], v[150:151], v[160:161]
	;; [unrolled: 1-line block ×3, first 2 shown]
	s_delay_alu instid0(VALU_DEP_2) | instskip(NEXT) | instid1(VALU_DEP_2)
	v_add_f64 v[144:145], v[146:147], -v[150:151]
	v_add_f64 v[131:132], v[164:165], v[131:132]
	s_delay_alu instid0(VALU_DEP_2) | instskip(NEXT) | instid1(VALU_DEP_2)
	v_add_f64 v[144:145], v[160:161], -v[144:145]
	v_mul_f64 v[131:132], v[133:134], v[131:132]
	s_delay_alu instid0(VALU_DEP_1) | instskip(NEXT) | instid1(VALU_DEP_1)
	v_add_f64 v[131:132], v[144:145], v[131:132]
	v_add_f64 v[133:134], v[146:147], v[131:132]
	s_delay_alu instid0(VALU_DEP_1) | instskip(NEXT) | instid1(VALU_DEP_1)
	v_mul_f64 v[144:145], v[133:134], v[133:134]
	v_fma_f64 v[148:149], v[144:145], s[12:13], s[10:11]
	s_mov_b32 s10, 0xd7f4df2e
	s_mov_b32 s11, 0x3fc7474d
	v_mul_f64 v[150:151], v[133:134], v[144:145]
	s_delay_alu instid0(VALU_DEP_2)
	v_fma_f64 v[148:149], v[144:145], v[148:149], s[10:11]
	s_mov_b32 s10, 0x16291751
	s_mov_b32 s11, 0x3fcc71c0
	s_delay_alu instid0(VALU_DEP_1) | instid1(SALU_CYCLE_1)
	v_fma_f64 v[148:149], v[144:145], v[148:149], s[10:11]
	s_mov_b32 s10, 0x9b27acf1
	s_mov_b32 s11, 0x3fd24924
	s_delay_alu instid0(VALU_DEP_1) | instid1(SALU_CYCLE_1)
	v_fma_f64 v[148:149], v[144:145], v[148:149], s[10:11]
	s_mov_b32 s10, 0x998ef7b6
	s_mov_b32 s11, 0x3fd99999
	s_delay_alu instid0(VALU_DEP_1) | instid1(SALU_CYCLE_1)
	v_fma_f64 v[148:149], v[144:145], v[148:149], s[10:11]
	s_delay_alu instid0(VALU_DEP_1) | instskip(SKIP_2) | instid1(VALU_DEP_3)
	v_fma_f64 v[144:145], v[144:145], v[148:149], s[6:7]
	v_ldexp_f64 v[148:149], v[133:134], 1
	v_add_f64 v[133:134], v[133:134], -v[146:147]
	v_mul_f64 v[144:145], v[150:151], v[144:145]
	v_cvt_f64_i32_e32 v[150:151], v166
	s_delay_alu instid0(VALU_DEP_3) | instskip(NEXT) | instid1(VALU_DEP_3)
	v_add_f64 v[131:132], v[131:132], -v[133:134]
	v_add_f64 v[146:147], v[148:149], v[144:145]
	s_delay_alu instid0(VALU_DEP_3) | instskip(NEXT) | instid1(VALU_DEP_3)
	v_mul_f64 v[160:161], v[150:151], s[2:3]
	v_ldexp_f64 v[131:132], v[131:132], 1
	s_delay_alu instid0(VALU_DEP_3) | instskip(NEXT) | instid1(VALU_DEP_3)
	v_add_f64 v[133:134], v[146:147], -v[148:149]
	v_fma_f64 v[148:149], v[150:151], s[2:3], -v[160:161]
	s_delay_alu instid0(VALU_DEP_2) | instskip(NEXT) | instid1(VALU_DEP_2)
	v_add_f64 v[133:134], v[144:145], -v[133:134]
	v_fma_f64 v[144:145], v[150:151], s[4:5], v[148:149]
	s_delay_alu instid0(VALU_DEP_2) | instskip(NEXT) | instid1(VALU_DEP_2)
	v_add_f64 v[131:132], v[131:132], v[133:134]
	v_add_f64 v[133:134], v[160:161], v[144:145]
	s_delay_alu instid0(VALU_DEP_2) | instskip(NEXT) | instid1(VALU_DEP_2)
	v_add_f64 v[148:149], v[146:147], v[131:132]
	v_add_f64 v[160:161], v[133:134], -v[160:161]
	s_delay_alu instid0(VALU_DEP_2) | instskip(SKIP_1) | instid1(VALU_DEP_3)
	v_add_f64 v[150:151], v[133:134], v[148:149]
	v_add_f64 v[146:147], v[148:149], -v[146:147]
	v_add_f64 v[144:145], v[144:145], -v[160:161]
	s_delay_alu instid0(VALU_DEP_3) | instskip(NEXT) | instid1(VALU_DEP_3)
	v_add_f64 v[162:163], v[150:151], -v[133:134]
	v_add_f64 v[131:132], v[131:132], -v[146:147]
	s_delay_alu instid0(VALU_DEP_2) | instskip(SKIP_1) | instid1(VALU_DEP_3)
	v_add_f64 v[164:165], v[150:151], -v[162:163]
	v_add_f64 v[146:147], v[148:149], -v[162:163]
	v_add_f64 v[148:149], v[144:145], v[131:132]
	s_delay_alu instid0(VALU_DEP_3) | instskip(NEXT) | instid1(VALU_DEP_1)
	v_add_f64 v[133:134], v[133:134], -v[164:165]
	v_add_f64 v[133:134], v[146:147], v[133:134]
	s_delay_alu instid0(VALU_DEP_3) | instskip(NEXT) | instid1(VALU_DEP_2)
	v_add_f64 v[146:147], v[148:149], -v[144:145]
	v_add_f64 v[133:134], v[148:149], v[133:134]
	s_delay_alu instid0(VALU_DEP_2) | instskip(SKIP_1) | instid1(VALU_DEP_3)
	v_add_f64 v[148:149], v[148:149], -v[146:147]
	v_add_f64 v[131:132], v[131:132], -v[146:147]
	v_add_f64 v[160:161], v[150:151], v[133:134]
	s_delay_alu instid0(VALU_DEP_3) | instskip(NEXT) | instid1(VALU_DEP_2)
	v_add_f64 v[144:145], v[144:145], -v[148:149]
	v_add_f64 v[146:147], v[160:161], -v[150:151]
	s_delay_alu instid0(VALU_DEP_2) | instskip(NEXT) | instid1(VALU_DEP_2)
	v_add_f64 v[131:132], v[131:132], v[144:145]
	v_add_f64 v[133:134], v[133:134], -v[146:147]
	s_delay_alu instid0(VALU_DEP_1) | instskip(NEXT) | instid1(VALU_DEP_1)
	v_add_f64 v[131:132], v[131:132], v[133:134]
	v_add_f64 v[131:132], v[160:161], v[131:132]
	s_delay_alu instid0(VALU_DEP_1) | instskip(SKIP_1) | instid1(VALU_DEP_2)
	v_dual_cndmask_b32 v131, v131, v34 :: v_dual_cndmask_b32 v132, v132, v35
	v_cmp_ngt_f64_e32 vcc_lo, -1.0, v[34:35]
	v_cndmask_b32_e32 v132, 0x7ff80000, v132, vcc_lo
	v_cmp_nge_f64_e32 vcc_lo, -1.0, v[34:35]
	s_delay_alu instid0(VALU_DEP_4) | instskip(SKIP_1) | instid1(VALU_DEP_4)
	v_cndmask_b32_e32 v131, 0, v131, vcc_lo
	v_cmp_neq_f64_e32 vcc_lo, -1.0, v[34:35]
	v_cndmask_b32_e32 v132, 0xfff00000, v132, vcc_lo
	s_delay_alu instid0(VALU_DEP_1)
	v_add_f64 v[34:35], v[129:130], v[131:132]
.LBB8_253:
	s_or_b32 exec_lo, exec_lo, s8
	s_branch .LBB8_373
.LBB8_254:
	v_cmp_ne_u64_e32 vcc_lo, 0, v[48:49]
	v_cmp_eq_u32_e64 s2, 0, v128
	v_cmp_ne_u32_e64 s1, 0, v128
	s_delay_alu instid0(VALU_DEP_2) | instskip(NEXT) | instid1(SALU_CYCLE_1)
	s_and_b32 s2, s2, vcc_lo
	s_and_saveexec_b32 s8, s2
	s_cbranch_execz .LBB8_258
; %bb.255:
	flat_load_b64 v[4:5], v[36:37]
	v_max_f64 v[6:7], v[0:1], v[0:1]
	v_cmp_u_f64_e64 s2, v[0:1], v[0:1]
	s_waitcnt vmcnt(0) lgkmcnt(0)
	v_max_f64 v[8:9], v[4:5], v[4:5]
	v_cmp_u_f64_e32 vcc_lo, v[4:5], v[4:5]
	s_delay_alu instid0(VALU_DEP_2) | instskip(SKIP_1) | instid1(VALU_DEP_2)
	v_min_f64 v[10:11], v[8:9], v[6:7]
	v_max_f64 v[6:7], v[8:9], v[6:7]
	v_dual_cndmask_b32 v8, v10, v4 :: v_dual_cndmask_b32 v9, v11, v5
	s_delay_alu instid0(VALU_DEP_2) | instskip(NEXT) | instid1(VALU_DEP_2)
	v_dual_cndmask_b32 v10, v7, v5 :: v_dual_cndmask_b32 v11, v6, v4
	v_cndmask_b32_e64 v6, v8, v0, s2
	s_delay_alu instid0(VALU_DEP_3) | instskip(NEXT) | instid1(VALU_DEP_3)
	v_cndmask_b32_e64 v7, v9, v1, s2
	v_cndmask_b32_e64 v1, v10, v1, s2
	s_delay_alu instid0(VALU_DEP_4) | instskip(NEXT) | instid1(VALU_DEP_3)
	v_cndmask_b32_e64 v0, v11, v0, s2
	v_cmp_class_f64_e64 s2, v[6:7], 0x1f8
	s_delay_alu instid0(VALU_DEP_2) | instskip(NEXT) | instid1(VALU_DEP_2)
	v_cmp_neq_f64_e32 vcc_lo, v[6:7], v[0:1]
	s_or_b32 s2, vcc_lo, s2
	s_delay_alu instid0(SALU_CYCLE_1)
	s_and_saveexec_b32 s9, s2
	s_cbranch_execz .LBB8_257
; %bb.256:
	v_add_f64 v[4:5], v[6:7], -v[0:1]
	s_mov_b32 s2, 0x652b82fe
	s_mov_b32 s3, 0x3ff71547
	s_mov_b32 s5, 0xbfe62e42
	s_mov_b32 s4, 0xfefa39ef
	s_mov_b32 s7, 0xbc7abc9e
	s_mov_b32 s6, 0x3b39803f
	s_mov_b32 s10, 0x6a5dcb37
	s_mov_b32 s11, 0x3e5ade15
	s_mov_b32 s12, 0xbf559e2b
	s_mov_b32 s13, 0x3fc3ab76
	s_delay_alu instid0(VALU_DEP_1) | instskip(SKIP_3) | instid1(VALU_DEP_2)
	v_mul_f64 v[6:7], v[4:5], s[2:3]
	s_mov_b32 s2, 0xfca7ab0c
	s_mov_b32 s3, 0x3e928af3
	v_cmp_nlt_f64_e32 vcc_lo, 0x40900000, v[4:5]
	v_rndne_f64_e32 v[6:7], v[6:7]
	s_delay_alu instid0(VALU_DEP_1) | instskip(SKIP_2) | instid1(VALU_DEP_2)
	v_fma_f64 v[8:9], v[6:7], s[4:5], v[4:5]
	v_cvt_i32_f64_e32 v12, v[6:7]
	s_mov_b32 s5, 0x3fe62e42
	v_fma_f64 v[8:9], v[6:7], s[6:7], v[8:9]
	s_mov_b32 s7, 0x3c7abc9e
	s_delay_alu instid0(VALU_DEP_1) | instskip(SKIP_4) | instid1(VALU_DEP_1)
	v_fma_f64 v[10:11], v[8:9], s[10:11], s[2:3]
	s_mov_b32 s2, 0x623fde64
	s_mov_b32 s3, 0x3ec71dee
	;; [unrolled: 1-line block ×4, first 2 shown]
	v_fma_f64 v[10:11], v[8:9], v[10:11], s[2:3]
	s_mov_b32 s2, 0x7c89e6b0
	s_mov_b32 s3, 0x3efa0199
	s_delay_alu instid0(VALU_DEP_1) | instid1(SALU_CYCLE_1)
	v_fma_f64 v[10:11], v[8:9], v[10:11], s[2:3]
	s_mov_b32 s2, 0x14761f6e
	s_mov_b32 s3, 0x3f2a01a0
	s_delay_alu instid0(VALU_DEP_1) | instid1(SALU_CYCLE_1)
	;; [unrolled: 4-line block ×7, first 2 shown]
	v_fma_f64 v[10:11], v[8:9], v[10:11], s[2:3]
	v_cmp_ngt_f64_e64 s2, 0xc090cc00, v[4:5]
	s_mov_b32 s3, 0x3fe55555
	s_delay_alu instid0(VALU_DEP_2) | instskip(NEXT) | instid1(VALU_DEP_1)
	v_fma_f64 v[10:11], v[8:9], v[10:11], 1.0
	v_fma_f64 v[6:7], v[8:9], v[10:11], 1.0
	s_delay_alu instid0(VALU_DEP_1) | instskip(NEXT) | instid1(VALU_DEP_1)
	v_ldexp_f64 v[6:7], v[6:7], v12
	v_cndmask_b32_e32 v7, 0x7ff00000, v7, vcc_lo
	s_and_b32 vcc_lo, s2, vcc_lo
	s_delay_alu instid0(VALU_DEP_1) | instskip(NEXT) | instid1(VALU_DEP_3)
	v_cndmask_b32_e64 v5, 0, v7, s2
	v_cndmask_b32_e32 v4, 0, v6, vcc_lo
	s_mov_b32 s2, 0x55555555
	s_delay_alu instid0(VALU_DEP_1) | instskip(NEXT) | instid1(VALU_DEP_1)
	v_add_f64 v[6:7], v[4:5], 1.0
	v_frexp_mant_f64_e32 v[8:9], v[6:7]
	v_frexp_exp_i32_f64_e32 v12, v[6:7]
	v_add_f64 v[10:11], v[6:7], -1.0
	s_delay_alu instid0(VALU_DEP_3) | instskip(SKIP_1) | instid1(VALU_DEP_2)
	v_cmp_gt_f64_e32 vcc_lo, s[2:3], v[8:9]
	s_mov_b32 s2, 0x55555780
	v_add_f64 v[8:9], v[10:11], -v[6:7]
	v_add_f64 v[10:11], v[4:5], -v[10:11]
	v_subrev_co_ci_u32_e32 v28, vcc_lo, 0, v12, vcc_lo
	s_delay_alu instid0(VALU_DEP_3) | instskip(SKIP_1) | instid1(VALU_DEP_3)
	v_add_f64 v[8:9], v[8:9], 1.0
	v_cmp_eq_f64_e32 vcc_lo, 0x7ff00000, v[4:5]
	v_sub_nc_u32_e32 v14, 0, v28
	s_delay_alu instid0(VALU_DEP_1) | instskip(NEXT) | instid1(VALU_DEP_4)
	v_ldexp_f64 v[6:7], v[6:7], v14
	v_add_f64 v[8:9], v[10:11], v[8:9]
	s_delay_alu instid0(VALU_DEP_2) | instskip(SKIP_1) | instid1(VALU_DEP_3)
	v_add_f64 v[12:13], v[6:7], 1.0
	v_add_f64 v[18:19], v[6:7], -1.0
	v_ldexp_f64 v[8:9], v[8:9], v14
	s_delay_alu instid0(VALU_DEP_3) | instskip(NEXT) | instid1(VALU_DEP_3)
	v_add_f64 v[10:11], v[12:13], -1.0
	v_add_f64 v[20:21], v[18:19], 1.0
	s_delay_alu instid0(VALU_DEP_2) | instskip(NEXT) | instid1(VALU_DEP_2)
	v_add_f64 v[10:11], v[6:7], -v[10:11]
	v_add_f64 v[6:7], v[6:7], -v[20:21]
	s_delay_alu instid0(VALU_DEP_2) | instskip(NEXT) | instid1(VALU_DEP_2)
	v_add_f64 v[10:11], v[8:9], v[10:11]
	v_add_f64 v[6:7], v[8:9], v[6:7]
	s_delay_alu instid0(VALU_DEP_2) | instskip(NEXT) | instid1(VALU_DEP_2)
	v_add_f64 v[14:15], v[12:13], v[10:11]
	v_add_f64 v[20:21], v[18:19], v[6:7]
	s_delay_alu instid0(VALU_DEP_2) | instskip(SKIP_1) | instid1(VALU_DEP_2)
	v_rcp_f64_e32 v[16:17], v[14:15]
	v_add_f64 v[12:13], v[14:15], -v[12:13]
	v_add_f64 v[18:19], v[20:21], -v[18:19]
	s_delay_alu instid0(VALU_DEP_2) | instskip(SKIP_3) | instid1(VALU_DEP_2)
	v_add_f64 v[10:11], v[10:11], -v[12:13]
	s_waitcnt_depctr 0xfff
	v_fma_f64 v[22:23], -v[14:15], v[16:17], 1.0
	v_add_f64 v[6:7], v[6:7], -v[18:19]
	v_fma_f64 v[16:17], v[22:23], v[16:17], v[16:17]
	s_delay_alu instid0(VALU_DEP_1) | instskip(NEXT) | instid1(VALU_DEP_1)
	v_fma_f64 v[8:9], -v[14:15], v[16:17], 1.0
	v_fma_f64 v[8:9], v[8:9], v[16:17], v[16:17]
	s_delay_alu instid0(VALU_DEP_1) | instskip(NEXT) | instid1(VALU_DEP_1)
	v_mul_f64 v[16:17], v[20:21], v[8:9]
	v_mul_f64 v[22:23], v[14:15], v[16:17]
	s_delay_alu instid0(VALU_DEP_1) | instskip(NEXT) | instid1(VALU_DEP_1)
	v_fma_f64 v[12:13], v[16:17], v[14:15], -v[22:23]
	v_fma_f64 v[12:13], v[16:17], v[10:11], v[12:13]
	s_delay_alu instid0(VALU_DEP_1) | instskip(NEXT) | instid1(VALU_DEP_1)
	v_add_f64 v[24:25], v[22:23], v[12:13]
	v_add_f64 v[26:27], v[20:21], -v[24:25]
	v_add_f64 v[18:19], v[24:25], -v[22:23]
	s_delay_alu instid0(VALU_DEP_2) | instskip(NEXT) | instid1(VALU_DEP_2)
	v_add_f64 v[20:21], v[20:21], -v[26:27]
	v_add_f64 v[12:13], v[18:19], -v[12:13]
	s_delay_alu instid0(VALU_DEP_2) | instskip(NEXT) | instid1(VALU_DEP_1)
	v_add_f64 v[20:21], v[20:21], -v[24:25]
	v_add_f64 v[6:7], v[6:7], v[20:21]
	s_delay_alu instid0(VALU_DEP_1) | instskip(NEXT) | instid1(VALU_DEP_1)
	v_add_f64 v[6:7], v[12:13], v[6:7]
	v_add_f64 v[12:13], v[26:27], v[6:7]
	s_delay_alu instid0(VALU_DEP_1) | instskip(SKIP_1) | instid1(VALU_DEP_2)
	v_mul_f64 v[18:19], v[8:9], v[12:13]
	v_add_f64 v[24:25], v[26:27], -v[12:13]
	v_mul_f64 v[20:21], v[14:15], v[18:19]
	s_delay_alu instid0(VALU_DEP_2) | instskip(NEXT) | instid1(VALU_DEP_2)
	v_add_f64 v[6:7], v[6:7], v[24:25]
	v_fma_f64 v[14:15], v[18:19], v[14:15], -v[20:21]
	s_delay_alu instid0(VALU_DEP_1) | instskip(NEXT) | instid1(VALU_DEP_1)
	v_fma_f64 v[10:11], v[18:19], v[10:11], v[14:15]
	v_add_f64 v[14:15], v[20:21], v[10:11]
	s_delay_alu instid0(VALU_DEP_1) | instskip(SKIP_1) | instid1(VALU_DEP_2)
	v_add_f64 v[22:23], v[12:13], -v[14:15]
	v_add_f64 v[20:21], v[14:15], -v[20:21]
	;; [unrolled: 1-line block ×3, first 2 shown]
	s_delay_alu instid0(VALU_DEP_2) | instskip(NEXT) | instid1(VALU_DEP_2)
	v_add_f64 v[10:11], v[20:21], -v[10:11]
	v_add_f64 v[12:13], v[12:13], -v[14:15]
	s_delay_alu instid0(VALU_DEP_1) | instskip(SKIP_1) | instid1(VALU_DEP_2)
	v_add_f64 v[6:7], v[6:7], v[12:13]
	v_add_f64 v[12:13], v[16:17], v[18:19]
	;; [unrolled: 1-line block ×3, first 2 shown]
	s_delay_alu instid0(VALU_DEP_2) | instskip(NEXT) | instid1(VALU_DEP_2)
	v_add_f64 v[10:11], v[12:13], -v[16:17]
	v_add_f64 v[6:7], v[22:23], v[6:7]
	s_delay_alu instid0(VALU_DEP_2) | instskip(NEXT) | instid1(VALU_DEP_2)
	v_add_f64 v[10:11], v[18:19], -v[10:11]
	v_mul_f64 v[6:7], v[8:9], v[6:7]
	s_delay_alu instid0(VALU_DEP_1) | instskip(NEXT) | instid1(VALU_DEP_1)
	v_add_f64 v[6:7], v[10:11], v[6:7]
	v_add_f64 v[8:9], v[12:13], v[6:7]
	s_delay_alu instid0(VALU_DEP_1) | instskip(NEXT) | instid1(VALU_DEP_1)
	v_mul_f64 v[10:11], v[8:9], v[8:9]
	v_fma_f64 v[14:15], v[10:11], s[12:13], s[10:11]
	s_mov_b32 s10, 0xd7f4df2e
	s_mov_b32 s11, 0x3fc7474d
	v_mul_f64 v[16:17], v[8:9], v[10:11]
	s_delay_alu instid0(VALU_DEP_2)
	v_fma_f64 v[14:15], v[10:11], v[14:15], s[10:11]
	s_mov_b32 s10, 0x16291751
	s_mov_b32 s11, 0x3fcc71c0
	s_delay_alu instid0(VALU_DEP_1) | instid1(SALU_CYCLE_1)
	v_fma_f64 v[14:15], v[10:11], v[14:15], s[10:11]
	s_mov_b32 s10, 0x9b27acf1
	s_mov_b32 s11, 0x3fd24924
	s_delay_alu instid0(VALU_DEP_1) | instid1(SALU_CYCLE_1)
	;; [unrolled: 4-line block ×3, first 2 shown]
	v_fma_f64 v[14:15], v[10:11], v[14:15], s[10:11]
	s_delay_alu instid0(VALU_DEP_1) | instskip(SKIP_2) | instid1(VALU_DEP_3)
	v_fma_f64 v[10:11], v[10:11], v[14:15], s[2:3]
	v_ldexp_f64 v[14:15], v[8:9], 1
	v_add_f64 v[8:9], v[8:9], -v[12:13]
	v_mul_f64 v[10:11], v[16:17], v[10:11]
	v_cvt_f64_i32_e32 v[16:17], v28
	s_delay_alu instid0(VALU_DEP_3) | instskip(NEXT) | instid1(VALU_DEP_3)
	v_add_f64 v[6:7], v[6:7], -v[8:9]
	v_add_f64 v[12:13], v[14:15], v[10:11]
	s_delay_alu instid0(VALU_DEP_3) | instskip(NEXT) | instid1(VALU_DEP_3)
	v_mul_f64 v[18:19], v[16:17], s[4:5]
	v_ldexp_f64 v[6:7], v[6:7], 1
	s_delay_alu instid0(VALU_DEP_3) | instskip(NEXT) | instid1(VALU_DEP_3)
	v_add_f64 v[8:9], v[12:13], -v[14:15]
	v_fma_f64 v[14:15], v[16:17], s[4:5], -v[18:19]
	s_delay_alu instid0(VALU_DEP_2) | instskip(NEXT) | instid1(VALU_DEP_2)
	v_add_f64 v[8:9], v[10:11], -v[8:9]
	v_fma_f64 v[10:11], v[16:17], s[6:7], v[14:15]
	s_delay_alu instid0(VALU_DEP_2) | instskip(NEXT) | instid1(VALU_DEP_2)
	v_add_f64 v[6:7], v[6:7], v[8:9]
	v_add_f64 v[8:9], v[18:19], v[10:11]
	s_delay_alu instid0(VALU_DEP_2) | instskip(NEXT) | instid1(VALU_DEP_2)
	v_add_f64 v[14:15], v[12:13], v[6:7]
	v_add_f64 v[18:19], v[8:9], -v[18:19]
	s_delay_alu instid0(VALU_DEP_2) | instskip(SKIP_1) | instid1(VALU_DEP_3)
	v_add_f64 v[16:17], v[8:9], v[14:15]
	v_add_f64 v[12:13], v[14:15], -v[12:13]
	v_add_f64 v[10:11], v[10:11], -v[18:19]
	s_delay_alu instid0(VALU_DEP_3) | instskip(NEXT) | instid1(VALU_DEP_3)
	v_add_f64 v[20:21], v[16:17], -v[8:9]
	v_add_f64 v[6:7], v[6:7], -v[12:13]
	s_delay_alu instid0(VALU_DEP_2) | instskip(SKIP_1) | instid1(VALU_DEP_3)
	v_add_f64 v[22:23], v[16:17], -v[20:21]
	v_add_f64 v[12:13], v[14:15], -v[20:21]
	v_add_f64 v[14:15], v[10:11], v[6:7]
	s_delay_alu instid0(VALU_DEP_3) | instskip(NEXT) | instid1(VALU_DEP_1)
	v_add_f64 v[8:9], v[8:9], -v[22:23]
	v_add_f64 v[8:9], v[12:13], v[8:9]
	s_delay_alu instid0(VALU_DEP_3) | instskip(NEXT) | instid1(VALU_DEP_2)
	v_add_f64 v[12:13], v[14:15], -v[10:11]
	v_add_f64 v[8:9], v[14:15], v[8:9]
	s_delay_alu instid0(VALU_DEP_2) | instskip(SKIP_1) | instid1(VALU_DEP_3)
	v_add_f64 v[14:15], v[14:15], -v[12:13]
	v_add_f64 v[6:7], v[6:7], -v[12:13]
	v_add_f64 v[18:19], v[16:17], v[8:9]
	s_delay_alu instid0(VALU_DEP_3) | instskip(NEXT) | instid1(VALU_DEP_2)
	v_add_f64 v[10:11], v[10:11], -v[14:15]
	v_add_f64 v[12:13], v[18:19], -v[16:17]
	s_delay_alu instid0(VALU_DEP_2) | instskip(NEXT) | instid1(VALU_DEP_2)
	v_add_f64 v[6:7], v[6:7], v[10:11]
	v_add_f64 v[8:9], v[8:9], -v[12:13]
	s_delay_alu instid0(VALU_DEP_1) | instskip(NEXT) | instid1(VALU_DEP_1)
	v_add_f64 v[6:7], v[6:7], v[8:9]
	v_add_f64 v[6:7], v[18:19], v[6:7]
	s_delay_alu instid0(VALU_DEP_1) | instskip(SKIP_1) | instid1(VALU_DEP_2)
	v_dual_cndmask_b32 v7, v7, v5 :: v_dual_cndmask_b32 v6, v6, v4
	v_cmp_ngt_f64_e32 vcc_lo, -1.0, v[4:5]
	v_cndmask_b32_e32 v7, 0x7ff80000, v7, vcc_lo
	v_cmp_nge_f64_e32 vcc_lo, -1.0, v[4:5]
	s_delay_alu instid0(VALU_DEP_4) | instskip(SKIP_1) | instid1(VALU_DEP_4)
	v_cndmask_b32_e32 v6, 0, v6, vcc_lo
	v_cmp_neq_f64_e32 vcc_lo, -1.0, v[4:5]
	v_cndmask_b32_e32 v7, 0xfff00000, v7, vcc_lo
	s_delay_alu instid0(VALU_DEP_1)
	v_add_f64 v[4:5], v[0:1], v[6:7]
.LBB8_257:
	s_or_b32 exec_lo, exec_lo, s9
	s_delay_alu instid0(VALU_DEP_1)
	v_dual_mov_b32 v0, v4 :: v_dual_mov_b32 v1, v5
.LBB8_258:
	s_or_b32 exec_lo, exec_lo, s8
	s_delay_alu instid0(VALU_DEP_1) | instskip(SKIP_3) | instid1(VALU_DEP_4)
	v_max_f64 v[32:33], v[0:1], v[0:1]
	v_cmp_u_f64_e64 s16, v[0:1], v[0:1]
	v_cmp_u_f64_e32 vcc_lo, v[2:3], v[2:3]
	v_dual_mov_b32 v49, v1 :: v_dual_mov_b32 v48, v0
	v_min_f64 v[34:35], v[32:33], v[54:55]
	v_max_f64 v[36:37], v[32:33], v[54:55]
	s_delay_alu instid0(VALU_DEP_2) | instskip(NEXT) | instid1(VALU_DEP_3)
	v_cndmask_b32_e64 v4, v34, v0, s16
	v_cndmask_b32_e64 v5, v35, v1, s16
	s_delay_alu instid0(VALU_DEP_3) | instskip(NEXT) | instid1(VALU_DEP_4)
	v_cndmask_b32_e64 v8, v37, v1, s16
	v_cndmask_b32_e64 v9, v36, v0, s16
	s_delay_alu instid0(VALU_DEP_3) | instskip(NEXT) | instid1(VALU_DEP_2)
	v_dual_cndmask_b32 v6, v4, v2 :: v_dual_cndmask_b32 v7, v5, v3
	v_dual_cndmask_b32 v5, v8, v3 :: v_dual_cndmask_b32 v4, v9, v2
	s_delay_alu instid0(VALU_DEP_2) | instskip(NEXT) | instid1(VALU_DEP_2)
	v_cmp_class_f64_e64 s3, v[6:7], 0x1f8
	v_cmp_neq_f64_e64 s2, v[6:7], v[4:5]
	s_delay_alu instid0(VALU_DEP_1) | instskip(NEXT) | instid1(SALU_CYCLE_1)
	s_or_b32 s2, s2, s3
	s_and_saveexec_b32 s8, s2
	s_cbranch_execz .LBB8_260
; %bb.259:
	v_add_f64 v[6:7], v[6:7], -v[4:5]
	s_mov_b32 s2, 0x652b82fe
	s_mov_b32 s3, 0x3ff71547
	;; [unrolled: 1-line block ×10, first 2 shown]
	s_delay_alu instid0(VALU_DEP_1) | instskip(SKIP_2) | instid1(VALU_DEP_1)
	v_mul_f64 v[8:9], v[6:7], s[2:3]
	s_mov_b32 s2, 0xfca7ab0c
	s_mov_b32 s3, 0x3e928af3
	v_rndne_f64_e32 v[8:9], v[8:9]
	s_delay_alu instid0(VALU_DEP_1) | instskip(SKIP_2) | instid1(VALU_DEP_2)
	v_fma_f64 v[10:11], v[8:9], s[4:5], v[6:7]
	v_cvt_i32_f64_e32 v14, v[8:9]
	s_mov_b32 s5, 0x3fe62e42
	v_fma_f64 v[10:11], v[8:9], s[6:7], v[10:11]
	s_mov_b32 s7, 0x3c7abc9e
	s_delay_alu instid0(VALU_DEP_1) | instskip(SKIP_4) | instid1(VALU_DEP_1)
	v_fma_f64 v[12:13], v[10:11], s[10:11], s[2:3]
	s_mov_b32 s2, 0x623fde64
	s_mov_b32 s3, 0x3ec71dee
	;; [unrolled: 1-line block ×4, first 2 shown]
	v_fma_f64 v[12:13], v[10:11], v[12:13], s[2:3]
	s_mov_b32 s2, 0x7c89e6b0
	s_mov_b32 s3, 0x3efa0199
	s_delay_alu instid0(VALU_DEP_1) | instid1(SALU_CYCLE_1)
	v_fma_f64 v[12:13], v[10:11], v[12:13], s[2:3]
	s_mov_b32 s2, 0x14761f6e
	s_mov_b32 s3, 0x3f2a01a0
	s_delay_alu instid0(VALU_DEP_1) | instid1(SALU_CYCLE_1)
	;; [unrolled: 4-line block ×7, first 2 shown]
	v_fma_f64 v[12:13], v[10:11], v[12:13], s[2:3]
	v_cmp_nlt_f64_e64 s2, 0x40900000, v[6:7]
	v_cmp_ngt_f64_e64 s3, 0xc090cc00, v[6:7]
	s_delay_alu instid0(VALU_DEP_3) | instskip(NEXT) | instid1(VALU_DEP_1)
	v_fma_f64 v[12:13], v[10:11], v[12:13], 1.0
	v_fma_f64 v[8:9], v[10:11], v[12:13], 1.0
	s_delay_alu instid0(VALU_DEP_1) | instskip(NEXT) | instid1(VALU_DEP_1)
	v_ldexp_f64 v[8:9], v[8:9], v14
	v_cndmask_b32_e64 v9, 0x7ff00000, v9, s2
	s_and_b32 s2, s3, s2
	s_delay_alu instid0(VALU_DEP_2) | instid1(SALU_CYCLE_1)
	v_cndmask_b32_e64 v6, 0, v8, s2
	s_mov_b32 s2, 0x55555555
	s_delay_alu instid0(VALU_DEP_2) | instskip(SKIP_1) | instid1(VALU_DEP_1)
	v_cndmask_b32_e64 v7, 0, v9, s3
	s_mov_b32 s3, 0x3fe55555
	v_add_f64 v[8:9], v[6:7], 1.0
	s_delay_alu instid0(VALU_DEP_1) | instskip(SKIP_2) | instid1(VALU_DEP_3)
	v_frexp_mant_f64_e32 v[10:11], v[8:9]
	v_frexp_exp_i32_f64_e32 v14, v[8:9]
	v_add_f64 v[12:13], v[8:9], -1.0
	v_cmp_gt_f64_e64 s2, s[2:3], v[10:11]
	s_delay_alu instid0(VALU_DEP_2) | instskip(SKIP_1) | instid1(VALU_DEP_3)
	v_add_f64 v[10:11], v[12:13], -v[8:9]
	v_add_f64 v[12:13], v[6:7], -v[12:13]
	v_subrev_co_ci_u32_e64 v30, s2, 0, v14, s2
	s_delay_alu instid0(VALU_DEP_3) | instskip(SKIP_1) | instid1(VALU_DEP_2)
	v_add_f64 v[10:11], v[10:11], 1.0
	s_mov_b32 s2, 0x55555780
	v_sub_nc_u32_e32 v16, 0, v30
	s_delay_alu instid0(VALU_DEP_1) | instskip(NEXT) | instid1(VALU_DEP_3)
	v_ldexp_f64 v[8:9], v[8:9], v16
	v_add_f64 v[10:11], v[12:13], v[10:11]
	s_delay_alu instid0(VALU_DEP_2) | instskip(SKIP_1) | instid1(VALU_DEP_3)
	v_add_f64 v[14:15], v[8:9], 1.0
	v_add_f64 v[20:21], v[8:9], -1.0
	v_ldexp_f64 v[10:11], v[10:11], v16
	s_delay_alu instid0(VALU_DEP_3) | instskip(NEXT) | instid1(VALU_DEP_3)
	v_add_f64 v[12:13], v[14:15], -1.0
	v_add_f64 v[22:23], v[20:21], 1.0
	s_delay_alu instid0(VALU_DEP_2) | instskip(NEXT) | instid1(VALU_DEP_2)
	v_add_f64 v[12:13], v[8:9], -v[12:13]
	v_add_f64 v[8:9], v[8:9], -v[22:23]
	s_delay_alu instid0(VALU_DEP_2) | instskip(NEXT) | instid1(VALU_DEP_2)
	v_add_f64 v[12:13], v[10:11], v[12:13]
	v_add_f64 v[8:9], v[10:11], v[8:9]
	s_delay_alu instid0(VALU_DEP_2) | instskip(NEXT) | instid1(VALU_DEP_2)
	v_add_f64 v[16:17], v[14:15], v[12:13]
	v_add_f64 v[22:23], v[20:21], v[8:9]
	s_delay_alu instid0(VALU_DEP_2) | instskip(SKIP_1) | instid1(VALU_DEP_2)
	v_rcp_f64_e32 v[18:19], v[16:17]
	v_add_f64 v[14:15], v[16:17], -v[14:15]
	v_add_f64 v[20:21], v[22:23], -v[20:21]
	s_delay_alu instid0(VALU_DEP_2) | instskip(SKIP_3) | instid1(VALU_DEP_2)
	v_add_f64 v[12:13], v[12:13], -v[14:15]
	s_waitcnt_depctr 0xfff
	v_fma_f64 v[24:25], -v[16:17], v[18:19], 1.0
	v_add_f64 v[8:9], v[8:9], -v[20:21]
	v_fma_f64 v[18:19], v[24:25], v[18:19], v[18:19]
	s_delay_alu instid0(VALU_DEP_1) | instskip(NEXT) | instid1(VALU_DEP_1)
	v_fma_f64 v[10:11], -v[16:17], v[18:19], 1.0
	v_fma_f64 v[10:11], v[10:11], v[18:19], v[18:19]
	s_delay_alu instid0(VALU_DEP_1) | instskip(NEXT) | instid1(VALU_DEP_1)
	v_mul_f64 v[18:19], v[22:23], v[10:11]
	v_mul_f64 v[24:25], v[16:17], v[18:19]
	s_delay_alu instid0(VALU_DEP_1) | instskip(NEXT) | instid1(VALU_DEP_1)
	v_fma_f64 v[14:15], v[18:19], v[16:17], -v[24:25]
	v_fma_f64 v[14:15], v[18:19], v[12:13], v[14:15]
	s_delay_alu instid0(VALU_DEP_1) | instskip(NEXT) | instid1(VALU_DEP_1)
	v_add_f64 v[26:27], v[24:25], v[14:15]
	v_add_f64 v[28:29], v[22:23], -v[26:27]
	v_add_f64 v[20:21], v[26:27], -v[24:25]
	s_delay_alu instid0(VALU_DEP_2) | instskip(NEXT) | instid1(VALU_DEP_2)
	v_add_f64 v[22:23], v[22:23], -v[28:29]
	v_add_f64 v[14:15], v[20:21], -v[14:15]
	s_delay_alu instid0(VALU_DEP_2) | instskip(NEXT) | instid1(VALU_DEP_1)
	v_add_f64 v[22:23], v[22:23], -v[26:27]
	v_add_f64 v[8:9], v[8:9], v[22:23]
	s_delay_alu instid0(VALU_DEP_1) | instskip(NEXT) | instid1(VALU_DEP_1)
	v_add_f64 v[8:9], v[14:15], v[8:9]
	v_add_f64 v[14:15], v[28:29], v[8:9]
	s_delay_alu instid0(VALU_DEP_1) | instskip(SKIP_1) | instid1(VALU_DEP_2)
	v_mul_f64 v[20:21], v[10:11], v[14:15]
	v_add_f64 v[26:27], v[28:29], -v[14:15]
	v_mul_f64 v[22:23], v[16:17], v[20:21]
	s_delay_alu instid0(VALU_DEP_2) | instskip(NEXT) | instid1(VALU_DEP_2)
	v_add_f64 v[8:9], v[8:9], v[26:27]
	v_fma_f64 v[16:17], v[20:21], v[16:17], -v[22:23]
	s_delay_alu instid0(VALU_DEP_1) | instskip(NEXT) | instid1(VALU_DEP_1)
	v_fma_f64 v[12:13], v[20:21], v[12:13], v[16:17]
	v_add_f64 v[16:17], v[22:23], v[12:13]
	s_delay_alu instid0(VALU_DEP_1) | instskip(SKIP_1) | instid1(VALU_DEP_2)
	v_add_f64 v[24:25], v[14:15], -v[16:17]
	v_add_f64 v[22:23], v[16:17], -v[22:23]
	;; [unrolled: 1-line block ×3, first 2 shown]
	s_delay_alu instid0(VALU_DEP_2) | instskip(NEXT) | instid1(VALU_DEP_2)
	v_add_f64 v[12:13], v[22:23], -v[12:13]
	v_add_f64 v[14:15], v[14:15], -v[16:17]
	s_delay_alu instid0(VALU_DEP_1) | instskip(SKIP_1) | instid1(VALU_DEP_2)
	v_add_f64 v[8:9], v[8:9], v[14:15]
	v_add_f64 v[14:15], v[18:19], v[20:21]
	;; [unrolled: 1-line block ×3, first 2 shown]
	s_delay_alu instid0(VALU_DEP_2) | instskip(NEXT) | instid1(VALU_DEP_2)
	v_add_f64 v[12:13], v[14:15], -v[18:19]
	v_add_f64 v[8:9], v[24:25], v[8:9]
	s_delay_alu instid0(VALU_DEP_2) | instskip(NEXT) | instid1(VALU_DEP_2)
	v_add_f64 v[12:13], v[20:21], -v[12:13]
	v_mul_f64 v[8:9], v[10:11], v[8:9]
	s_delay_alu instid0(VALU_DEP_1) | instskip(NEXT) | instid1(VALU_DEP_1)
	v_add_f64 v[8:9], v[12:13], v[8:9]
	v_add_f64 v[10:11], v[14:15], v[8:9]
	s_delay_alu instid0(VALU_DEP_1) | instskip(NEXT) | instid1(VALU_DEP_1)
	v_mul_f64 v[12:13], v[10:11], v[10:11]
	v_fma_f64 v[16:17], v[12:13], s[12:13], s[10:11]
	s_mov_b32 s10, 0xd7f4df2e
	s_mov_b32 s11, 0x3fc7474d
	v_mul_f64 v[18:19], v[10:11], v[12:13]
	s_delay_alu instid0(VALU_DEP_2)
	v_fma_f64 v[16:17], v[12:13], v[16:17], s[10:11]
	s_mov_b32 s10, 0x16291751
	s_mov_b32 s11, 0x3fcc71c0
	s_delay_alu instid0(VALU_DEP_1) | instid1(SALU_CYCLE_1)
	v_fma_f64 v[16:17], v[12:13], v[16:17], s[10:11]
	s_mov_b32 s10, 0x9b27acf1
	s_mov_b32 s11, 0x3fd24924
	s_delay_alu instid0(VALU_DEP_1) | instid1(SALU_CYCLE_1)
	;; [unrolled: 4-line block ×3, first 2 shown]
	v_fma_f64 v[16:17], v[12:13], v[16:17], s[10:11]
	s_delay_alu instid0(VALU_DEP_1) | instskip(SKIP_3) | instid1(VALU_DEP_4)
	v_fma_f64 v[12:13], v[12:13], v[16:17], s[2:3]
	v_ldexp_f64 v[16:17], v[10:11], 1
	v_add_f64 v[10:11], v[10:11], -v[14:15]
	v_cmp_eq_f64_e64 s2, 0x7ff00000, v[6:7]
	v_mul_f64 v[12:13], v[18:19], v[12:13]
	v_cvt_f64_i32_e32 v[18:19], v30
	s_delay_alu instid0(VALU_DEP_4) | instskip(NEXT) | instid1(VALU_DEP_3)
	v_add_f64 v[8:9], v[8:9], -v[10:11]
	v_add_f64 v[14:15], v[16:17], v[12:13]
	s_delay_alu instid0(VALU_DEP_3) | instskip(NEXT) | instid1(VALU_DEP_3)
	v_mul_f64 v[20:21], v[18:19], s[4:5]
	v_ldexp_f64 v[8:9], v[8:9], 1
	s_delay_alu instid0(VALU_DEP_3) | instskip(NEXT) | instid1(VALU_DEP_3)
	v_add_f64 v[10:11], v[14:15], -v[16:17]
	v_fma_f64 v[16:17], v[18:19], s[4:5], -v[20:21]
	s_delay_alu instid0(VALU_DEP_2) | instskip(NEXT) | instid1(VALU_DEP_2)
	v_add_f64 v[10:11], v[12:13], -v[10:11]
	v_fma_f64 v[12:13], v[18:19], s[6:7], v[16:17]
	s_delay_alu instid0(VALU_DEP_2) | instskip(NEXT) | instid1(VALU_DEP_2)
	v_add_f64 v[8:9], v[8:9], v[10:11]
	v_add_f64 v[10:11], v[20:21], v[12:13]
	s_delay_alu instid0(VALU_DEP_2) | instskip(NEXT) | instid1(VALU_DEP_2)
	v_add_f64 v[16:17], v[14:15], v[8:9]
	v_add_f64 v[20:21], v[10:11], -v[20:21]
	s_delay_alu instid0(VALU_DEP_2) | instskip(SKIP_1) | instid1(VALU_DEP_3)
	v_add_f64 v[18:19], v[10:11], v[16:17]
	v_add_f64 v[14:15], v[16:17], -v[14:15]
	v_add_f64 v[12:13], v[12:13], -v[20:21]
	s_delay_alu instid0(VALU_DEP_3) | instskip(NEXT) | instid1(VALU_DEP_3)
	v_add_f64 v[22:23], v[18:19], -v[10:11]
	v_add_f64 v[8:9], v[8:9], -v[14:15]
	s_delay_alu instid0(VALU_DEP_2) | instskip(SKIP_1) | instid1(VALU_DEP_3)
	v_add_f64 v[24:25], v[18:19], -v[22:23]
	v_add_f64 v[14:15], v[16:17], -v[22:23]
	v_add_f64 v[16:17], v[12:13], v[8:9]
	s_delay_alu instid0(VALU_DEP_3) | instskip(NEXT) | instid1(VALU_DEP_1)
	v_add_f64 v[10:11], v[10:11], -v[24:25]
	v_add_f64 v[10:11], v[14:15], v[10:11]
	s_delay_alu instid0(VALU_DEP_3) | instskip(NEXT) | instid1(VALU_DEP_2)
	v_add_f64 v[14:15], v[16:17], -v[12:13]
	v_add_f64 v[10:11], v[16:17], v[10:11]
	s_delay_alu instid0(VALU_DEP_2) | instskip(SKIP_1) | instid1(VALU_DEP_3)
	v_add_f64 v[16:17], v[16:17], -v[14:15]
	v_add_f64 v[8:9], v[8:9], -v[14:15]
	v_add_f64 v[20:21], v[18:19], v[10:11]
	s_delay_alu instid0(VALU_DEP_3) | instskip(NEXT) | instid1(VALU_DEP_2)
	v_add_f64 v[12:13], v[12:13], -v[16:17]
	v_add_f64 v[14:15], v[20:21], -v[18:19]
	s_delay_alu instid0(VALU_DEP_2) | instskip(NEXT) | instid1(VALU_DEP_2)
	v_add_f64 v[8:9], v[8:9], v[12:13]
	v_add_f64 v[10:11], v[10:11], -v[14:15]
	s_delay_alu instid0(VALU_DEP_1) | instskip(NEXT) | instid1(VALU_DEP_1)
	v_add_f64 v[8:9], v[8:9], v[10:11]
	v_add_f64 v[8:9], v[20:21], v[8:9]
	s_delay_alu instid0(VALU_DEP_1) | instskip(NEXT) | instid1(VALU_DEP_2)
	v_cndmask_b32_e64 v8, v8, v6, s2
	v_cndmask_b32_e64 v9, v9, v7, s2
	v_cmp_ngt_f64_e64 s2, -1.0, v[6:7]
	s_delay_alu instid0(VALU_DEP_1) | instskip(SKIP_1) | instid1(VALU_DEP_1)
	v_cndmask_b32_e64 v9, 0x7ff80000, v9, s2
	v_cmp_nge_f64_e64 s2, -1.0, v[6:7]
	v_cndmask_b32_e64 v8, 0, v8, s2
	v_cmp_neq_f64_e64 s2, -1.0, v[6:7]
	s_delay_alu instid0(VALU_DEP_1) | instskip(NEXT) | instid1(VALU_DEP_1)
	v_cndmask_b32_e64 v9, 0xfff00000, v9, s2
	v_add_f64 v[48:49], v[4:5], v[8:9]
.LBB8_260:
	s_or_b32 exec_lo, exec_lo, s8
	v_max_f64 v[4:5], v[112:113], v[112:113]
	s_delay_alu instid0(VALU_DEP_2) | instskip(SKIP_2) | instid1(VALU_DEP_3)
	v_max_f64 v[6:7], v[48:49], v[48:49]
	v_cmp_u_f64_e64 s3, v[48:49], v[48:49]
	v_cmp_u_f64_e64 s2, v[112:113], v[112:113]
	v_min_f64 v[8:9], v[6:7], v[4:5]
	v_max_f64 v[6:7], v[6:7], v[4:5]
	s_delay_alu instid0(VALU_DEP_2) | instskip(NEXT) | instid1(VALU_DEP_3)
	v_cndmask_b32_e64 v8, v8, v48, s3
	v_cndmask_b32_e64 v9, v9, v49, s3
	s_delay_alu instid0(VALU_DEP_3) | instskip(NEXT) | instid1(VALU_DEP_4)
	v_cndmask_b32_e64 v7, v7, v49, s3
	v_cndmask_b32_e64 v6, v6, v48, s3
	s_delay_alu instid0(VALU_DEP_4) | instskip(NEXT) | instid1(VALU_DEP_4)
	v_cndmask_b32_e64 v8, v8, v112, s2
	v_cndmask_b32_e64 v9, v9, v113, s2
	s_delay_alu instid0(VALU_DEP_4) | instskip(NEXT) | instid1(VALU_DEP_4)
	v_cndmask_b32_e64 v7, v7, v113, s2
	v_cndmask_b32_e64 v6, v6, v112, s2
	s_delay_alu instid0(VALU_DEP_3) | instskip(NEXT) | instid1(VALU_DEP_2)
	v_cmp_class_f64_e64 s4, v[8:9], 0x1f8
	v_cmp_neq_f64_e64 s3, v[8:9], v[6:7]
	s_delay_alu instid0(VALU_DEP_1) | instskip(NEXT) | instid1(SALU_CYCLE_1)
	s_or_b32 s3, s3, s4
	s_and_saveexec_b32 s10, s3
	s_cbranch_execz .LBB8_262
; %bb.261:
	v_add_f64 v[8:9], v[8:9], -v[6:7]
	s_mov_b32 s4, 0x652b82fe
	s_mov_b32 s5, 0x3ff71547
	;; [unrolled: 1-line block ×10, first 2 shown]
	s_delay_alu instid0(VALU_DEP_1) | instskip(SKIP_3) | instid1(VALU_DEP_2)
	v_mul_f64 v[10:11], v[8:9], s[4:5]
	s_mov_b32 s4, 0xfca7ab0c
	s_mov_b32 s5, 0x3e928af3
	v_cmp_nlt_f64_e64 s3, 0x40900000, v[8:9]
	v_rndne_f64_e32 v[10:11], v[10:11]
	s_delay_alu instid0(VALU_DEP_1) | instskip(SKIP_2) | instid1(VALU_DEP_2)
	v_fma_f64 v[12:13], v[10:11], s[6:7], v[8:9]
	v_cvt_i32_f64_e32 v16, v[10:11]
	s_mov_b32 s7, 0x3fe62e42
	v_fma_f64 v[12:13], v[10:11], s[8:9], v[12:13]
	s_mov_b32 s9, 0x3c7abc9e
	s_delay_alu instid0(VALU_DEP_1) | instskip(SKIP_4) | instid1(VALU_DEP_1)
	v_fma_f64 v[14:15], v[12:13], s[12:13], s[4:5]
	s_mov_b32 s4, 0x623fde64
	s_mov_b32 s5, 0x3ec71dee
	s_mov_b32 s12, 0x6b47b09a
	s_mov_b32 s13, 0x3fc38538
	v_fma_f64 v[14:15], v[12:13], v[14:15], s[4:5]
	s_mov_b32 s4, 0x7c89e6b0
	s_mov_b32 s5, 0x3efa0199
	s_delay_alu instid0(VALU_DEP_1) | instid1(SALU_CYCLE_1)
	v_fma_f64 v[14:15], v[12:13], v[14:15], s[4:5]
	s_mov_b32 s4, 0x14761f6e
	s_mov_b32 s5, 0x3f2a01a0
	s_delay_alu instid0(VALU_DEP_1) | instid1(SALU_CYCLE_1)
	;; [unrolled: 4-line block ×7, first 2 shown]
	v_fma_f64 v[14:15], v[12:13], v[14:15], s[4:5]
	v_cmp_ngt_f64_e64 s4, 0xc090cc00, v[8:9]
	s_mov_b32 s5, 0x3fe55555
	s_delay_alu instid0(VALU_DEP_2) | instskip(NEXT) | instid1(VALU_DEP_1)
	v_fma_f64 v[14:15], v[12:13], v[14:15], 1.0
	v_fma_f64 v[10:11], v[12:13], v[14:15], 1.0
	s_delay_alu instid0(VALU_DEP_1) | instskip(NEXT) | instid1(VALU_DEP_1)
	v_ldexp_f64 v[10:11], v[10:11], v16
	v_cndmask_b32_e64 v11, 0x7ff00000, v11, s3
	s_and_b32 s3, s4, s3
	s_delay_alu instid0(VALU_DEP_2) | instid1(SALU_CYCLE_1)
	v_cndmask_b32_e64 v8, 0, v10, s3
	s_delay_alu instid0(VALU_DEP_2) | instskip(SKIP_1) | instid1(VALU_DEP_1)
	v_cndmask_b32_e64 v9, 0, v11, s4
	s_mov_b32 s4, 0x55555555
	v_add_f64 v[10:11], v[8:9], 1.0
	s_delay_alu instid0(VALU_DEP_1) | instskip(SKIP_2) | instid1(VALU_DEP_3)
	v_frexp_mant_f64_e32 v[12:13], v[10:11]
	v_frexp_exp_i32_f64_e32 v16, v[10:11]
	v_add_f64 v[14:15], v[10:11], -1.0
	v_cmp_gt_f64_e64 s3, s[4:5], v[12:13]
	s_mov_b32 s4, 0x55555780
	s_delay_alu instid0(VALU_DEP_2) | instskip(SKIP_1) | instid1(VALU_DEP_3)
	v_add_f64 v[12:13], v[14:15], -v[10:11]
	v_add_f64 v[14:15], v[8:9], -v[14:15]
	v_subrev_co_ci_u32_e64 v48, s3, 0, v16, s3
	s_delay_alu instid0(VALU_DEP_3) | instskip(SKIP_1) | instid1(VALU_DEP_3)
	v_add_f64 v[12:13], v[12:13], 1.0
	v_cmp_eq_f64_e64 s3, 0x7ff00000, v[8:9]
	v_sub_nc_u32_e32 v18, 0, v48
	s_delay_alu instid0(VALU_DEP_1) | instskip(NEXT) | instid1(VALU_DEP_4)
	v_ldexp_f64 v[10:11], v[10:11], v18
	v_add_f64 v[12:13], v[14:15], v[12:13]
	s_delay_alu instid0(VALU_DEP_2) | instskip(SKIP_1) | instid1(VALU_DEP_3)
	v_add_f64 v[16:17], v[10:11], 1.0
	v_add_f64 v[22:23], v[10:11], -1.0
	v_ldexp_f64 v[12:13], v[12:13], v18
	s_delay_alu instid0(VALU_DEP_3) | instskip(NEXT) | instid1(VALU_DEP_3)
	v_add_f64 v[14:15], v[16:17], -1.0
	v_add_f64 v[24:25], v[22:23], 1.0
	s_delay_alu instid0(VALU_DEP_2) | instskip(NEXT) | instid1(VALU_DEP_2)
	v_add_f64 v[14:15], v[10:11], -v[14:15]
	v_add_f64 v[10:11], v[10:11], -v[24:25]
	s_delay_alu instid0(VALU_DEP_2) | instskip(NEXT) | instid1(VALU_DEP_2)
	v_add_f64 v[14:15], v[12:13], v[14:15]
	v_add_f64 v[10:11], v[12:13], v[10:11]
	s_delay_alu instid0(VALU_DEP_2) | instskip(NEXT) | instid1(VALU_DEP_2)
	v_add_f64 v[18:19], v[16:17], v[14:15]
	v_add_f64 v[24:25], v[22:23], v[10:11]
	s_delay_alu instid0(VALU_DEP_2) | instskip(SKIP_1) | instid1(VALU_DEP_2)
	v_rcp_f64_e32 v[20:21], v[18:19]
	v_add_f64 v[16:17], v[18:19], -v[16:17]
	v_add_f64 v[22:23], v[24:25], -v[22:23]
	s_delay_alu instid0(VALU_DEP_2) | instskip(SKIP_3) | instid1(VALU_DEP_2)
	v_add_f64 v[14:15], v[14:15], -v[16:17]
	s_waitcnt_depctr 0xfff
	v_fma_f64 v[26:27], -v[18:19], v[20:21], 1.0
	v_add_f64 v[10:11], v[10:11], -v[22:23]
	v_fma_f64 v[20:21], v[26:27], v[20:21], v[20:21]
	s_delay_alu instid0(VALU_DEP_1) | instskip(NEXT) | instid1(VALU_DEP_1)
	v_fma_f64 v[12:13], -v[18:19], v[20:21], 1.0
	v_fma_f64 v[12:13], v[12:13], v[20:21], v[20:21]
	s_delay_alu instid0(VALU_DEP_1) | instskip(NEXT) | instid1(VALU_DEP_1)
	v_mul_f64 v[20:21], v[24:25], v[12:13]
	v_mul_f64 v[26:27], v[18:19], v[20:21]
	s_delay_alu instid0(VALU_DEP_1) | instskip(NEXT) | instid1(VALU_DEP_1)
	v_fma_f64 v[16:17], v[20:21], v[18:19], -v[26:27]
	v_fma_f64 v[16:17], v[20:21], v[14:15], v[16:17]
	s_delay_alu instid0(VALU_DEP_1) | instskip(NEXT) | instid1(VALU_DEP_1)
	v_add_f64 v[28:29], v[26:27], v[16:17]
	v_add_f64 v[30:31], v[24:25], -v[28:29]
	v_add_f64 v[22:23], v[28:29], -v[26:27]
	s_delay_alu instid0(VALU_DEP_2) | instskip(NEXT) | instid1(VALU_DEP_2)
	v_add_f64 v[24:25], v[24:25], -v[30:31]
	v_add_f64 v[16:17], v[22:23], -v[16:17]
	s_delay_alu instid0(VALU_DEP_2) | instskip(NEXT) | instid1(VALU_DEP_1)
	v_add_f64 v[24:25], v[24:25], -v[28:29]
	v_add_f64 v[10:11], v[10:11], v[24:25]
	s_delay_alu instid0(VALU_DEP_1) | instskip(NEXT) | instid1(VALU_DEP_1)
	v_add_f64 v[10:11], v[16:17], v[10:11]
	v_add_f64 v[16:17], v[30:31], v[10:11]
	s_delay_alu instid0(VALU_DEP_1) | instskip(SKIP_1) | instid1(VALU_DEP_2)
	v_mul_f64 v[22:23], v[12:13], v[16:17]
	v_add_f64 v[28:29], v[30:31], -v[16:17]
	v_mul_f64 v[24:25], v[18:19], v[22:23]
	s_delay_alu instid0(VALU_DEP_2) | instskip(NEXT) | instid1(VALU_DEP_2)
	v_add_f64 v[10:11], v[10:11], v[28:29]
	v_fma_f64 v[18:19], v[22:23], v[18:19], -v[24:25]
	s_delay_alu instid0(VALU_DEP_1) | instskip(NEXT) | instid1(VALU_DEP_1)
	v_fma_f64 v[14:15], v[22:23], v[14:15], v[18:19]
	v_add_f64 v[18:19], v[24:25], v[14:15]
	s_delay_alu instid0(VALU_DEP_1) | instskip(SKIP_1) | instid1(VALU_DEP_2)
	v_add_f64 v[26:27], v[16:17], -v[18:19]
	v_add_f64 v[24:25], v[18:19], -v[24:25]
	;; [unrolled: 1-line block ×3, first 2 shown]
	s_delay_alu instid0(VALU_DEP_2) | instskip(NEXT) | instid1(VALU_DEP_2)
	v_add_f64 v[14:15], v[24:25], -v[14:15]
	v_add_f64 v[16:17], v[16:17], -v[18:19]
	s_delay_alu instid0(VALU_DEP_1) | instskip(SKIP_1) | instid1(VALU_DEP_2)
	v_add_f64 v[10:11], v[10:11], v[16:17]
	v_add_f64 v[16:17], v[20:21], v[22:23]
	v_add_f64 v[10:11], v[14:15], v[10:11]
	s_delay_alu instid0(VALU_DEP_2) | instskip(NEXT) | instid1(VALU_DEP_2)
	v_add_f64 v[14:15], v[16:17], -v[20:21]
	v_add_f64 v[10:11], v[26:27], v[10:11]
	s_delay_alu instid0(VALU_DEP_2) | instskip(NEXT) | instid1(VALU_DEP_2)
	v_add_f64 v[14:15], v[22:23], -v[14:15]
	v_mul_f64 v[10:11], v[12:13], v[10:11]
	s_delay_alu instid0(VALU_DEP_1) | instskip(NEXT) | instid1(VALU_DEP_1)
	v_add_f64 v[10:11], v[14:15], v[10:11]
	v_add_f64 v[12:13], v[16:17], v[10:11]
	s_delay_alu instid0(VALU_DEP_1) | instskip(NEXT) | instid1(VALU_DEP_1)
	v_mul_f64 v[14:15], v[12:13], v[12:13]
	v_fma_f64 v[18:19], v[14:15], s[14:15], s[12:13]
	s_mov_b32 s12, 0xd7f4df2e
	s_mov_b32 s13, 0x3fc7474d
	v_mul_f64 v[20:21], v[12:13], v[14:15]
	s_delay_alu instid0(VALU_DEP_2)
	v_fma_f64 v[18:19], v[14:15], v[18:19], s[12:13]
	s_mov_b32 s12, 0x16291751
	s_mov_b32 s13, 0x3fcc71c0
	s_delay_alu instid0(VALU_DEP_1) | instid1(SALU_CYCLE_1)
	v_fma_f64 v[18:19], v[14:15], v[18:19], s[12:13]
	s_mov_b32 s12, 0x9b27acf1
	s_mov_b32 s13, 0x3fd24924
	s_delay_alu instid0(VALU_DEP_1) | instid1(SALU_CYCLE_1)
	;; [unrolled: 4-line block ×3, first 2 shown]
	v_fma_f64 v[18:19], v[14:15], v[18:19], s[12:13]
	s_delay_alu instid0(VALU_DEP_1) | instskip(SKIP_2) | instid1(VALU_DEP_3)
	v_fma_f64 v[14:15], v[14:15], v[18:19], s[4:5]
	v_ldexp_f64 v[18:19], v[12:13], 1
	v_add_f64 v[12:13], v[12:13], -v[16:17]
	v_mul_f64 v[14:15], v[20:21], v[14:15]
	v_cvt_f64_i32_e32 v[20:21], v48
	s_delay_alu instid0(VALU_DEP_3) | instskip(NEXT) | instid1(VALU_DEP_3)
	v_add_f64 v[10:11], v[10:11], -v[12:13]
	v_add_f64 v[16:17], v[18:19], v[14:15]
	s_delay_alu instid0(VALU_DEP_3) | instskip(NEXT) | instid1(VALU_DEP_3)
	v_mul_f64 v[22:23], v[20:21], s[6:7]
	v_ldexp_f64 v[10:11], v[10:11], 1
	s_delay_alu instid0(VALU_DEP_3) | instskip(NEXT) | instid1(VALU_DEP_3)
	v_add_f64 v[12:13], v[16:17], -v[18:19]
	v_fma_f64 v[18:19], v[20:21], s[6:7], -v[22:23]
	s_delay_alu instid0(VALU_DEP_2) | instskip(NEXT) | instid1(VALU_DEP_2)
	v_add_f64 v[12:13], v[14:15], -v[12:13]
	v_fma_f64 v[14:15], v[20:21], s[8:9], v[18:19]
	s_delay_alu instid0(VALU_DEP_2) | instskip(NEXT) | instid1(VALU_DEP_2)
	v_add_f64 v[10:11], v[10:11], v[12:13]
	v_add_f64 v[12:13], v[22:23], v[14:15]
	s_delay_alu instid0(VALU_DEP_2) | instskip(NEXT) | instid1(VALU_DEP_2)
	v_add_f64 v[18:19], v[16:17], v[10:11]
	v_add_f64 v[22:23], v[12:13], -v[22:23]
	s_delay_alu instid0(VALU_DEP_2) | instskip(SKIP_1) | instid1(VALU_DEP_3)
	v_add_f64 v[20:21], v[12:13], v[18:19]
	v_add_f64 v[16:17], v[18:19], -v[16:17]
	v_add_f64 v[14:15], v[14:15], -v[22:23]
	s_delay_alu instid0(VALU_DEP_3) | instskip(NEXT) | instid1(VALU_DEP_3)
	v_add_f64 v[24:25], v[20:21], -v[12:13]
	v_add_f64 v[10:11], v[10:11], -v[16:17]
	s_delay_alu instid0(VALU_DEP_2) | instskip(SKIP_1) | instid1(VALU_DEP_3)
	v_add_f64 v[26:27], v[20:21], -v[24:25]
	v_add_f64 v[16:17], v[18:19], -v[24:25]
	v_add_f64 v[18:19], v[14:15], v[10:11]
	s_delay_alu instid0(VALU_DEP_3) | instskip(NEXT) | instid1(VALU_DEP_1)
	v_add_f64 v[12:13], v[12:13], -v[26:27]
	v_add_f64 v[12:13], v[16:17], v[12:13]
	s_delay_alu instid0(VALU_DEP_3) | instskip(NEXT) | instid1(VALU_DEP_2)
	v_add_f64 v[16:17], v[18:19], -v[14:15]
	v_add_f64 v[12:13], v[18:19], v[12:13]
	s_delay_alu instid0(VALU_DEP_2) | instskip(SKIP_1) | instid1(VALU_DEP_3)
	v_add_f64 v[18:19], v[18:19], -v[16:17]
	v_add_f64 v[10:11], v[10:11], -v[16:17]
	v_add_f64 v[22:23], v[20:21], v[12:13]
	s_delay_alu instid0(VALU_DEP_3) | instskip(NEXT) | instid1(VALU_DEP_2)
	v_add_f64 v[14:15], v[14:15], -v[18:19]
	v_add_f64 v[16:17], v[22:23], -v[20:21]
	s_delay_alu instid0(VALU_DEP_2) | instskip(NEXT) | instid1(VALU_DEP_2)
	v_add_f64 v[10:11], v[10:11], v[14:15]
	v_add_f64 v[12:13], v[12:13], -v[16:17]
	s_delay_alu instid0(VALU_DEP_1) | instskip(NEXT) | instid1(VALU_DEP_1)
	v_add_f64 v[10:11], v[10:11], v[12:13]
	v_add_f64 v[10:11], v[22:23], v[10:11]
	s_delay_alu instid0(VALU_DEP_1) | instskip(NEXT) | instid1(VALU_DEP_2)
	v_cndmask_b32_e64 v10, v10, v8, s3
	v_cndmask_b32_e64 v11, v11, v9, s3
	v_cmp_ngt_f64_e64 s3, -1.0, v[8:9]
	s_delay_alu instid0(VALU_DEP_1) | instskip(SKIP_1) | instid1(VALU_DEP_1)
	v_cndmask_b32_e64 v11, 0x7ff80000, v11, s3
	v_cmp_nge_f64_e64 s3, -1.0, v[8:9]
	v_cndmask_b32_e64 v10, 0, v10, s3
	v_cmp_neq_f64_e64 s3, -1.0, v[8:9]
	s_delay_alu instid0(VALU_DEP_1) | instskip(NEXT) | instid1(VALU_DEP_1)
	v_cndmask_b32_e64 v11, 0xfff00000, v11, s3
	v_add_f64 v[48:49], v[6:7], v[10:11]
.LBB8_262:
	s_or_b32 exec_lo, exec_lo, s10
	v_max_f64 v[6:7], v[114:115], v[114:115]
	s_delay_alu instid0(VALU_DEP_2) | instskip(SKIP_2) | instid1(VALU_DEP_3)
	v_max_f64 v[8:9], v[48:49], v[48:49]
	v_cmp_u_f64_e64 s4, v[48:49], v[48:49]
	v_cmp_u_f64_e64 s3, v[114:115], v[114:115]
	v_min_f64 v[10:11], v[8:9], v[6:7]
	v_max_f64 v[8:9], v[8:9], v[6:7]
	s_delay_alu instid0(VALU_DEP_2) | instskip(NEXT) | instid1(VALU_DEP_3)
	v_cndmask_b32_e64 v10, v10, v48, s4
	v_cndmask_b32_e64 v11, v11, v49, s4
	s_delay_alu instid0(VALU_DEP_3) | instskip(NEXT) | instid1(VALU_DEP_4)
	v_cndmask_b32_e64 v9, v9, v49, s4
	v_cndmask_b32_e64 v8, v8, v48, s4
	s_delay_alu instid0(VALU_DEP_4) | instskip(NEXT) | instid1(VALU_DEP_4)
	v_cndmask_b32_e64 v10, v10, v114, s3
	v_cndmask_b32_e64 v11, v11, v115, s3
	s_delay_alu instid0(VALU_DEP_4) | instskip(NEXT) | instid1(VALU_DEP_4)
	v_cndmask_b32_e64 v9, v9, v115, s3
	v_cndmask_b32_e64 v8, v8, v114, s3
	s_delay_alu instid0(VALU_DEP_3) | instskip(NEXT) | instid1(VALU_DEP_2)
	v_cmp_class_f64_e64 s5, v[10:11], 0x1f8
	v_cmp_neq_f64_e64 s4, v[10:11], v[8:9]
	s_delay_alu instid0(VALU_DEP_1) | instskip(NEXT) | instid1(SALU_CYCLE_1)
	s_or_b32 s4, s4, s5
	s_and_saveexec_b32 s10, s4
	s_cbranch_execz .LBB8_264
; %bb.263:
	v_add_f64 v[10:11], v[10:11], -v[8:9]
	s_mov_b32 s4, 0x652b82fe
	s_mov_b32 s5, 0x3ff71547
	;; [unrolled: 1-line block ×10, first 2 shown]
	s_delay_alu instid0(VALU_DEP_1) | instskip(SKIP_2) | instid1(VALU_DEP_1)
	v_mul_f64 v[12:13], v[10:11], s[4:5]
	s_mov_b32 s4, 0xfca7ab0c
	s_mov_b32 s5, 0x3e928af3
	v_rndne_f64_e32 v[12:13], v[12:13]
	s_delay_alu instid0(VALU_DEP_1) | instskip(SKIP_2) | instid1(VALU_DEP_2)
	v_fma_f64 v[14:15], v[12:13], s[6:7], v[10:11]
	v_cvt_i32_f64_e32 v18, v[12:13]
	s_mov_b32 s7, 0x3fe62e42
	v_fma_f64 v[14:15], v[12:13], s[8:9], v[14:15]
	s_mov_b32 s9, 0x3c7abc9e
	s_delay_alu instid0(VALU_DEP_1) | instskip(SKIP_4) | instid1(VALU_DEP_1)
	v_fma_f64 v[16:17], v[14:15], s[12:13], s[4:5]
	s_mov_b32 s4, 0x623fde64
	s_mov_b32 s5, 0x3ec71dee
	;; [unrolled: 1-line block ×4, first 2 shown]
	v_fma_f64 v[16:17], v[14:15], v[16:17], s[4:5]
	s_mov_b32 s4, 0x7c89e6b0
	s_mov_b32 s5, 0x3efa0199
	s_delay_alu instid0(VALU_DEP_1) | instid1(SALU_CYCLE_1)
	v_fma_f64 v[16:17], v[14:15], v[16:17], s[4:5]
	s_mov_b32 s4, 0x14761f6e
	s_mov_b32 s5, 0x3f2a01a0
	s_delay_alu instid0(VALU_DEP_1) | instid1(SALU_CYCLE_1)
	;; [unrolled: 4-line block ×7, first 2 shown]
	v_fma_f64 v[16:17], v[14:15], v[16:17], s[4:5]
	v_cmp_nlt_f64_e64 s4, 0x40900000, v[10:11]
	v_cmp_ngt_f64_e64 s5, 0xc090cc00, v[10:11]
	s_delay_alu instid0(VALU_DEP_3) | instskip(NEXT) | instid1(VALU_DEP_1)
	v_fma_f64 v[16:17], v[14:15], v[16:17], 1.0
	v_fma_f64 v[12:13], v[14:15], v[16:17], 1.0
	s_delay_alu instid0(VALU_DEP_1) | instskip(NEXT) | instid1(VALU_DEP_1)
	v_ldexp_f64 v[12:13], v[12:13], v18
	v_cndmask_b32_e64 v13, 0x7ff00000, v13, s4
	s_and_b32 s4, s5, s4
	s_delay_alu instid0(VALU_DEP_2) | instid1(SALU_CYCLE_1)
	v_cndmask_b32_e64 v10, 0, v12, s4
	s_mov_b32 s4, 0x55555555
	s_delay_alu instid0(VALU_DEP_2) | instskip(SKIP_1) | instid1(VALU_DEP_1)
	v_cndmask_b32_e64 v11, 0, v13, s5
	s_mov_b32 s5, 0x3fe55555
	v_add_f64 v[12:13], v[10:11], 1.0
	s_delay_alu instid0(VALU_DEP_1) | instskip(SKIP_2) | instid1(VALU_DEP_3)
	v_frexp_mant_f64_e32 v[14:15], v[12:13]
	v_frexp_exp_i32_f64_e32 v18, v[12:13]
	v_add_f64 v[16:17], v[12:13], -1.0
	v_cmp_gt_f64_e64 s4, s[4:5], v[14:15]
	s_delay_alu instid0(VALU_DEP_2) | instskip(SKIP_1) | instid1(VALU_DEP_3)
	v_add_f64 v[14:15], v[16:17], -v[12:13]
	v_add_f64 v[16:17], v[10:11], -v[16:17]
	v_subrev_co_ci_u32_e64 v129, s4, 0, v18, s4
	s_delay_alu instid0(VALU_DEP_3) | instskip(SKIP_1) | instid1(VALU_DEP_2)
	v_add_f64 v[14:15], v[14:15], 1.0
	s_mov_b32 s4, 0x55555780
	v_sub_nc_u32_e32 v20, 0, v129
	s_delay_alu instid0(VALU_DEP_1) | instskip(NEXT) | instid1(VALU_DEP_3)
	v_ldexp_f64 v[12:13], v[12:13], v20
	v_add_f64 v[14:15], v[16:17], v[14:15]
	s_delay_alu instid0(VALU_DEP_2) | instskip(SKIP_1) | instid1(VALU_DEP_3)
	v_add_f64 v[18:19], v[12:13], 1.0
	v_add_f64 v[24:25], v[12:13], -1.0
	v_ldexp_f64 v[14:15], v[14:15], v20
	s_delay_alu instid0(VALU_DEP_3) | instskip(NEXT) | instid1(VALU_DEP_3)
	v_add_f64 v[16:17], v[18:19], -1.0
	v_add_f64 v[26:27], v[24:25], 1.0
	s_delay_alu instid0(VALU_DEP_2) | instskip(NEXT) | instid1(VALU_DEP_2)
	v_add_f64 v[16:17], v[12:13], -v[16:17]
	v_add_f64 v[12:13], v[12:13], -v[26:27]
	s_delay_alu instid0(VALU_DEP_2) | instskip(NEXT) | instid1(VALU_DEP_2)
	v_add_f64 v[16:17], v[14:15], v[16:17]
	v_add_f64 v[12:13], v[14:15], v[12:13]
	s_delay_alu instid0(VALU_DEP_2) | instskip(NEXT) | instid1(VALU_DEP_2)
	v_add_f64 v[20:21], v[18:19], v[16:17]
	v_add_f64 v[26:27], v[24:25], v[12:13]
	s_delay_alu instid0(VALU_DEP_2) | instskip(SKIP_1) | instid1(VALU_DEP_2)
	v_rcp_f64_e32 v[22:23], v[20:21]
	v_add_f64 v[18:19], v[20:21], -v[18:19]
	v_add_f64 v[24:25], v[26:27], -v[24:25]
	s_delay_alu instid0(VALU_DEP_2) | instskip(SKIP_3) | instid1(VALU_DEP_2)
	v_add_f64 v[16:17], v[16:17], -v[18:19]
	s_waitcnt_depctr 0xfff
	v_fma_f64 v[28:29], -v[20:21], v[22:23], 1.0
	v_add_f64 v[12:13], v[12:13], -v[24:25]
	v_fma_f64 v[22:23], v[28:29], v[22:23], v[22:23]
	s_delay_alu instid0(VALU_DEP_1) | instskip(NEXT) | instid1(VALU_DEP_1)
	v_fma_f64 v[14:15], -v[20:21], v[22:23], 1.0
	v_fma_f64 v[14:15], v[14:15], v[22:23], v[22:23]
	s_delay_alu instid0(VALU_DEP_1) | instskip(NEXT) | instid1(VALU_DEP_1)
	v_mul_f64 v[22:23], v[26:27], v[14:15]
	v_mul_f64 v[28:29], v[20:21], v[22:23]
	s_delay_alu instid0(VALU_DEP_1) | instskip(NEXT) | instid1(VALU_DEP_1)
	v_fma_f64 v[18:19], v[22:23], v[20:21], -v[28:29]
	v_fma_f64 v[18:19], v[22:23], v[16:17], v[18:19]
	s_delay_alu instid0(VALU_DEP_1) | instskip(NEXT) | instid1(VALU_DEP_1)
	v_add_f64 v[30:31], v[28:29], v[18:19]
	v_add_f64 v[48:49], v[26:27], -v[30:31]
	v_add_f64 v[24:25], v[30:31], -v[28:29]
	s_delay_alu instid0(VALU_DEP_2) | instskip(NEXT) | instid1(VALU_DEP_2)
	v_add_f64 v[26:27], v[26:27], -v[48:49]
	v_add_f64 v[18:19], v[24:25], -v[18:19]
	s_delay_alu instid0(VALU_DEP_2) | instskip(NEXT) | instid1(VALU_DEP_1)
	v_add_f64 v[26:27], v[26:27], -v[30:31]
	v_add_f64 v[12:13], v[12:13], v[26:27]
	s_delay_alu instid0(VALU_DEP_1) | instskip(NEXT) | instid1(VALU_DEP_1)
	v_add_f64 v[12:13], v[18:19], v[12:13]
	v_add_f64 v[18:19], v[48:49], v[12:13]
	s_delay_alu instid0(VALU_DEP_1) | instskip(SKIP_1) | instid1(VALU_DEP_2)
	v_mul_f64 v[24:25], v[14:15], v[18:19]
	v_add_f64 v[30:31], v[48:49], -v[18:19]
	v_mul_f64 v[26:27], v[20:21], v[24:25]
	s_delay_alu instid0(VALU_DEP_2) | instskip(NEXT) | instid1(VALU_DEP_2)
	v_add_f64 v[12:13], v[12:13], v[30:31]
	v_fma_f64 v[20:21], v[24:25], v[20:21], -v[26:27]
	s_delay_alu instid0(VALU_DEP_1) | instskip(NEXT) | instid1(VALU_DEP_1)
	v_fma_f64 v[16:17], v[24:25], v[16:17], v[20:21]
	v_add_f64 v[20:21], v[26:27], v[16:17]
	s_delay_alu instid0(VALU_DEP_1) | instskip(SKIP_1) | instid1(VALU_DEP_2)
	v_add_f64 v[28:29], v[18:19], -v[20:21]
	v_add_f64 v[26:27], v[20:21], -v[26:27]
	;; [unrolled: 1-line block ×3, first 2 shown]
	s_delay_alu instid0(VALU_DEP_2) | instskip(NEXT) | instid1(VALU_DEP_2)
	v_add_f64 v[16:17], v[26:27], -v[16:17]
	v_add_f64 v[18:19], v[18:19], -v[20:21]
	s_delay_alu instid0(VALU_DEP_1) | instskip(SKIP_1) | instid1(VALU_DEP_2)
	v_add_f64 v[12:13], v[12:13], v[18:19]
	v_add_f64 v[18:19], v[22:23], v[24:25]
	;; [unrolled: 1-line block ×3, first 2 shown]
	s_delay_alu instid0(VALU_DEP_2) | instskip(NEXT) | instid1(VALU_DEP_2)
	v_add_f64 v[16:17], v[18:19], -v[22:23]
	v_add_f64 v[12:13], v[28:29], v[12:13]
	s_delay_alu instid0(VALU_DEP_2) | instskip(NEXT) | instid1(VALU_DEP_2)
	v_add_f64 v[16:17], v[24:25], -v[16:17]
	v_mul_f64 v[12:13], v[14:15], v[12:13]
	s_delay_alu instid0(VALU_DEP_1) | instskip(NEXT) | instid1(VALU_DEP_1)
	v_add_f64 v[12:13], v[16:17], v[12:13]
	v_add_f64 v[14:15], v[18:19], v[12:13]
	s_delay_alu instid0(VALU_DEP_1) | instskip(NEXT) | instid1(VALU_DEP_1)
	v_mul_f64 v[16:17], v[14:15], v[14:15]
	v_fma_f64 v[20:21], v[16:17], s[14:15], s[12:13]
	s_mov_b32 s12, 0xd7f4df2e
	s_mov_b32 s13, 0x3fc7474d
	v_mul_f64 v[22:23], v[14:15], v[16:17]
	s_delay_alu instid0(VALU_DEP_2)
	v_fma_f64 v[20:21], v[16:17], v[20:21], s[12:13]
	s_mov_b32 s12, 0x16291751
	s_mov_b32 s13, 0x3fcc71c0
	s_delay_alu instid0(VALU_DEP_1) | instid1(SALU_CYCLE_1)
	v_fma_f64 v[20:21], v[16:17], v[20:21], s[12:13]
	s_mov_b32 s12, 0x9b27acf1
	s_mov_b32 s13, 0x3fd24924
	s_delay_alu instid0(VALU_DEP_1) | instid1(SALU_CYCLE_1)
	;; [unrolled: 4-line block ×3, first 2 shown]
	v_fma_f64 v[20:21], v[16:17], v[20:21], s[12:13]
	s_delay_alu instid0(VALU_DEP_1) | instskip(SKIP_3) | instid1(VALU_DEP_4)
	v_fma_f64 v[16:17], v[16:17], v[20:21], s[4:5]
	v_ldexp_f64 v[20:21], v[14:15], 1
	v_add_f64 v[14:15], v[14:15], -v[18:19]
	v_cmp_eq_f64_e64 s4, 0x7ff00000, v[10:11]
	v_mul_f64 v[16:17], v[22:23], v[16:17]
	v_cvt_f64_i32_e32 v[22:23], v129
	s_delay_alu instid0(VALU_DEP_4) | instskip(NEXT) | instid1(VALU_DEP_3)
	v_add_f64 v[12:13], v[12:13], -v[14:15]
	v_add_f64 v[18:19], v[20:21], v[16:17]
	s_delay_alu instid0(VALU_DEP_3) | instskip(NEXT) | instid1(VALU_DEP_3)
	v_mul_f64 v[24:25], v[22:23], s[6:7]
	v_ldexp_f64 v[12:13], v[12:13], 1
	s_delay_alu instid0(VALU_DEP_3) | instskip(NEXT) | instid1(VALU_DEP_3)
	v_add_f64 v[14:15], v[18:19], -v[20:21]
	v_fma_f64 v[20:21], v[22:23], s[6:7], -v[24:25]
	s_delay_alu instid0(VALU_DEP_2) | instskip(NEXT) | instid1(VALU_DEP_2)
	v_add_f64 v[14:15], v[16:17], -v[14:15]
	v_fma_f64 v[16:17], v[22:23], s[8:9], v[20:21]
	s_delay_alu instid0(VALU_DEP_2) | instskip(NEXT) | instid1(VALU_DEP_2)
	v_add_f64 v[12:13], v[12:13], v[14:15]
	v_add_f64 v[14:15], v[24:25], v[16:17]
	s_delay_alu instid0(VALU_DEP_2) | instskip(NEXT) | instid1(VALU_DEP_2)
	v_add_f64 v[20:21], v[18:19], v[12:13]
	v_add_f64 v[24:25], v[14:15], -v[24:25]
	s_delay_alu instid0(VALU_DEP_2) | instskip(SKIP_1) | instid1(VALU_DEP_3)
	v_add_f64 v[22:23], v[14:15], v[20:21]
	v_add_f64 v[18:19], v[20:21], -v[18:19]
	v_add_f64 v[16:17], v[16:17], -v[24:25]
	s_delay_alu instid0(VALU_DEP_3) | instskip(NEXT) | instid1(VALU_DEP_3)
	v_add_f64 v[26:27], v[22:23], -v[14:15]
	v_add_f64 v[12:13], v[12:13], -v[18:19]
	s_delay_alu instid0(VALU_DEP_2) | instskip(SKIP_1) | instid1(VALU_DEP_3)
	v_add_f64 v[28:29], v[22:23], -v[26:27]
	v_add_f64 v[18:19], v[20:21], -v[26:27]
	v_add_f64 v[20:21], v[16:17], v[12:13]
	s_delay_alu instid0(VALU_DEP_3) | instskip(NEXT) | instid1(VALU_DEP_1)
	v_add_f64 v[14:15], v[14:15], -v[28:29]
	v_add_f64 v[14:15], v[18:19], v[14:15]
	s_delay_alu instid0(VALU_DEP_3) | instskip(NEXT) | instid1(VALU_DEP_2)
	v_add_f64 v[18:19], v[20:21], -v[16:17]
	v_add_f64 v[14:15], v[20:21], v[14:15]
	s_delay_alu instid0(VALU_DEP_2) | instskip(SKIP_1) | instid1(VALU_DEP_3)
	v_add_f64 v[20:21], v[20:21], -v[18:19]
	v_add_f64 v[12:13], v[12:13], -v[18:19]
	v_add_f64 v[24:25], v[22:23], v[14:15]
	s_delay_alu instid0(VALU_DEP_3) | instskip(NEXT) | instid1(VALU_DEP_2)
	v_add_f64 v[16:17], v[16:17], -v[20:21]
	v_add_f64 v[18:19], v[24:25], -v[22:23]
	s_delay_alu instid0(VALU_DEP_2) | instskip(NEXT) | instid1(VALU_DEP_2)
	v_add_f64 v[12:13], v[12:13], v[16:17]
	v_add_f64 v[14:15], v[14:15], -v[18:19]
	s_delay_alu instid0(VALU_DEP_1) | instskip(NEXT) | instid1(VALU_DEP_1)
	v_add_f64 v[12:13], v[12:13], v[14:15]
	v_add_f64 v[12:13], v[24:25], v[12:13]
	s_delay_alu instid0(VALU_DEP_1) | instskip(NEXT) | instid1(VALU_DEP_2)
	v_cndmask_b32_e64 v12, v12, v10, s4
	v_cndmask_b32_e64 v13, v13, v11, s4
	v_cmp_ngt_f64_e64 s4, -1.0, v[10:11]
	s_delay_alu instid0(VALU_DEP_1) | instskip(SKIP_1) | instid1(VALU_DEP_1)
	v_cndmask_b32_e64 v13, 0x7ff80000, v13, s4
	v_cmp_nge_f64_e64 s4, -1.0, v[10:11]
	v_cndmask_b32_e64 v12, 0, v12, s4
	v_cmp_neq_f64_e64 s4, -1.0, v[10:11]
	s_delay_alu instid0(VALU_DEP_1) | instskip(NEXT) | instid1(VALU_DEP_1)
	v_cndmask_b32_e64 v13, 0xfff00000, v13, s4
	v_add_f64 v[48:49], v[8:9], v[12:13]
.LBB8_264:
	s_or_b32 exec_lo, exec_lo, s10
	v_max_f64 v[8:9], v[100:101], v[100:101]
	s_delay_alu instid0(VALU_DEP_2) | instskip(SKIP_2) | instid1(VALU_DEP_3)
	v_max_f64 v[10:11], v[48:49], v[48:49]
	v_cmp_u_f64_e64 s5, v[48:49], v[48:49]
	v_cmp_u_f64_e64 s4, v[100:101], v[100:101]
	v_min_f64 v[12:13], v[10:11], v[8:9]
	v_max_f64 v[10:11], v[10:11], v[8:9]
	s_delay_alu instid0(VALU_DEP_2) | instskip(NEXT) | instid1(VALU_DEP_3)
	v_cndmask_b32_e64 v12, v12, v48, s5
	v_cndmask_b32_e64 v13, v13, v49, s5
	s_delay_alu instid0(VALU_DEP_3) | instskip(NEXT) | instid1(VALU_DEP_4)
	v_cndmask_b32_e64 v11, v11, v49, s5
	v_cndmask_b32_e64 v10, v10, v48, s5
	s_delay_alu instid0(VALU_DEP_4) | instskip(NEXT) | instid1(VALU_DEP_4)
	v_cndmask_b32_e64 v12, v12, v100, s4
	v_cndmask_b32_e64 v13, v13, v101, s4
	s_delay_alu instid0(VALU_DEP_4) | instskip(NEXT) | instid1(VALU_DEP_4)
	v_cndmask_b32_e64 v11, v11, v101, s4
	v_cndmask_b32_e64 v10, v10, v100, s4
	s_delay_alu instid0(VALU_DEP_3) | instskip(NEXT) | instid1(VALU_DEP_2)
	v_cmp_class_f64_e64 s6, v[12:13], 0x1f8
	v_cmp_neq_f64_e64 s5, v[12:13], v[10:11]
	s_delay_alu instid0(VALU_DEP_1) | instskip(NEXT) | instid1(SALU_CYCLE_1)
	s_or_b32 s5, s5, s6
	s_and_saveexec_b32 s12, s5
	s_cbranch_execz .LBB8_266
; %bb.265:
	v_add_f64 v[12:13], v[12:13], -v[10:11]
	s_mov_b32 s6, 0x652b82fe
	s_mov_b32 s7, 0x3ff71547
	;; [unrolled: 1-line block ×10, first 2 shown]
	s_delay_alu instid0(VALU_DEP_1) | instskip(SKIP_3) | instid1(VALU_DEP_2)
	v_mul_f64 v[14:15], v[12:13], s[6:7]
	s_mov_b32 s6, 0xfca7ab0c
	s_mov_b32 s7, 0x3e928af3
	v_cmp_nlt_f64_e64 s5, 0x40900000, v[12:13]
	v_rndne_f64_e32 v[14:15], v[14:15]
	s_delay_alu instid0(VALU_DEP_1) | instskip(SKIP_2) | instid1(VALU_DEP_2)
	v_fma_f64 v[16:17], v[14:15], s[8:9], v[12:13]
	v_cvt_i32_f64_e32 v20, v[14:15]
	s_mov_b32 s9, 0x3fe62e42
	v_fma_f64 v[16:17], v[14:15], s[10:11], v[16:17]
	s_mov_b32 s11, 0x3c7abc9e
	s_delay_alu instid0(VALU_DEP_1) | instskip(SKIP_4) | instid1(VALU_DEP_1)
	v_fma_f64 v[18:19], v[16:17], s[14:15], s[6:7]
	s_mov_b32 s6, 0x623fde64
	s_mov_b32 s7, 0x3ec71dee
	;; [unrolled: 1-line block ×4, first 2 shown]
	v_fma_f64 v[18:19], v[16:17], v[18:19], s[6:7]
	s_mov_b32 s6, 0x7c89e6b0
	s_mov_b32 s7, 0x3efa0199
	s_delay_alu instid0(VALU_DEP_1) | instid1(SALU_CYCLE_1)
	v_fma_f64 v[18:19], v[16:17], v[18:19], s[6:7]
	s_mov_b32 s6, 0x14761f6e
	s_mov_b32 s7, 0x3f2a01a0
	s_delay_alu instid0(VALU_DEP_1) | instid1(SALU_CYCLE_1)
	;; [unrolled: 4-line block ×7, first 2 shown]
	v_fma_f64 v[18:19], v[16:17], v[18:19], s[6:7]
	v_cmp_ngt_f64_e64 s6, 0xc090cc00, v[12:13]
	s_mov_b32 s7, 0x3fe55555
	s_delay_alu instid0(VALU_DEP_2) | instskip(NEXT) | instid1(VALU_DEP_1)
	v_fma_f64 v[18:19], v[16:17], v[18:19], 1.0
	v_fma_f64 v[14:15], v[16:17], v[18:19], 1.0
	s_delay_alu instid0(VALU_DEP_1) | instskip(NEXT) | instid1(VALU_DEP_1)
	v_ldexp_f64 v[14:15], v[14:15], v20
	v_cndmask_b32_e64 v15, 0x7ff00000, v15, s5
	s_and_b32 s5, s6, s5
	s_delay_alu instid0(VALU_DEP_2) | instid1(SALU_CYCLE_1)
	v_cndmask_b32_e64 v12, 0, v14, s5
	s_delay_alu instid0(VALU_DEP_2) | instskip(SKIP_1) | instid1(VALU_DEP_1)
	v_cndmask_b32_e64 v13, 0, v15, s6
	s_mov_b32 s6, 0x55555555
	v_add_f64 v[14:15], v[12:13], 1.0
	s_delay_alu instid0(VALU_DEP_1) | instskip(SKIP_2) | instid1(VALU_DEP_3)
	v_frexp_mant_f64_e32 v[16:17], v[14:15]
	v_frexp_exp_i32_f64_e32 v20, v[14:15]
	v_add_f64 v[18:19], v[14:15], -1.0
	v_cmp_gt_f64_e64 s5, s[6:7], v[16:17]
	s_mov_b32 s6, 0x55555780
	s_delay_alu instid0(VALU_DEP_2) | instskip(SKIP_1) | instid1(VALU_DEP_3)
	v_add_f64 v[16:17], v[18:19], -v[14:15]
	v_add_f64 v[18:19], v[12:13], -v[18:19]
	v_subrev_co_ci_u32_e64 v131, s5, 0, v20, s5
	s_delay_alu instid0(VALU_DEP_3) | instskip(SKIP_1) | instid1(VALU_DEP_3)
	v_add_f64 v[16:17], v[16:17], 1.0
	v_cmp_eq_f64_e64 s5, 0x7ff00000, v[12:13]
	v_sub_nc_u32_e32 v22, 0, v131
	s_delay_alu instid0(VALU_DEP_1) | instskip(NEXT) | instid1(VALU_DEP_4)
	v_ldexp_f64 v[14:15], v[14:15], v22
	v_add_f64 v[16:17], v[18:19], v[16:17]
	s_delay_alu instid0(VALU_DEP_2) | instskip(SKIP_1) | instid1(VALU_DEP_3)
	v_add_f64 v[20:21], v[14:15], 1.0
	v_add_f64 v[26:27], v[14:15], -1.0
	v_ldexp_f64 v[16:17], v[16:17], v22
	s_delay_alu instid0(VALU_DEP_3) | instskip(NEXT) | instid1(VALU_DEP_3)
	v_add_f64 v[18:19], v[20:21], -1.0
	v_add_f64 v[28:29], v[26:27], 1.0
	s_delay_alu instid0(VALU_DEP_2) | instskip(NEXT) | instid1(VALU_DEP_2)
	v_add_f64 v[18:19], v[14:15], -v[18:19]
	v_add_f64 v[14:15], v[14:15], -v[28:29]
	s_delay_alu instid0(VALU_DEP_2) | instskip(NEXT) | instid1(VALU_DEP_2)
	v_add_f64 v[18:19], v[16:17], v[18:19]
	v_add_f64 v[14:15], v[16:17], v[14:15]
	s_delay_alu instid0(VALU_DEP_2) | instskip(NEXT) | instid1(VALU_DEP_2)
	v_add_f64 v[22:23], v[20:21], v[18:19]
	v_add_f64 v[28:29], v[26:27], v[14:15]
	s_delay_alu instid0(VALU_DEP_2) | instskip(SKIP_1) | instid1(VALU_DEP_2)
	v_rcp_f64_e32 v[24:25], v[22:23]
	v_add_f64 v[20:21], v[22:23], -v[20:21]
	v_add_f64 v[26:27], v[28:29], -v[26:27]
	s_delay_alu instid0(VALU_DEP_2) | instskip(SKIP_3) | instid1(VALU_DEP_2)
	v_add_f64 v[18:19], v[18:19], -v[20:21]
	s_waitcnt_depctr 0xfff
	v_fma_f64 v[30:31], -v[22:23], v[24:25], 1.0
	v_add_f64 v[14:15], v[14:15], -v[26:27]
	v_fma_f64 v[24:25], v[30:31], v[24:25], v[24:25]
	s_delay_alu instid0(VALU_DEP_1) | instskip(NEXT) | instid1(VALU_DEP_1)
	v_fma_f64 v[16:17], -v[22:23], v[24:25], 1.0
	v_fma_f64 v[16:17], v[16:17], v[24:25], v[24:25]
	s_delay_alu instid0(VALU_DEP_1) | instskip(NEXT) | instid1(VALU_DEP_1)
	v_mul_f64 v[24:25], v[28:29], v[16:17]
	v_mul_f64 v[30:31], v[22:23], v[24:25]
	s_delay_alu instid0(VALU_DEP_1) | instskip(NEXT) | instid1(VALU_DEP_1)
	v_fma_f64 v[20:21], v[24:25], v[22:23], -v[30:31]
	v_fma_f64 v[20:21], v[24:25], v[18:19], v[20:21]
	s_delay_alu instid0(VALU_DEP_1) | instskip(NEXT) | instid1(VALU_DEP_1)
	v_add_f64 v[48:49], v[30:31], v[20:21]
	v_add_f64 v[129:130], v[28:29], -v[48:49]
	v_add_f64 v[26:27], v[48:49], -v[30:31]
	s_delay_alu instid0(VALU_DEP_2) | instskip(NEXT) | instid1(VALU_DEP_2)
	v_add_f64 v[28:29], v[28:29], -v[129:130]
	v_add_f64 v[20:21], v[26:27], -v[20:21]
	s_delay_alu instid0(VALU_DEP_2) | instskip(NEXT) | instid1(VALU_DEP_1)
	v_add_f64 v[28:29], v[28:29], -v[48:49]
	v_add_f64 v[14:15], v[14:15], v[28:29]
	s_delay_alu instid0(VALU_DEP_1) | instskip(NEXT) | instid1(VALU_DEP_1)
	v_add_f64 v[14:15], v[20:21], v[14:15]
	v_add_f64 v[20:21], v[129:130], v[14:15]
	s_delay_alu instid0(VALU_DEP_1) | instskip(SKIP_1) | instid1(VALU_DEP_2)
	v_mul_f64 v[26:27], v[16:17], v[20:21]
	v_add_f64 v[48:49], v[129:130], -v[20:21]
	v_mul_f64 v[28:29], v[22:23], v[26:27]
	s_delay_alu instid0(VALU_DEP_2) | instskip(NEXT) | instid1(VALU_DEP_2)
	v_add_f64 v[14:15], v[14:15], v[48:49]
	v_fma_f64 v[22:23], v[26:27], v[22:23], -v[28:29]
	s_delay_alu instid0(VALU_DEP_1) | instskip(NEXT) | instid1(VALU_DEP_1)
	v_fma_f64 v[18:19], v[26:27], v[18:19], v[22:23]
	v_add_f64 v[22:23], v[28:29], v[18:19]
	s_delay_alu instid0(VALU_DEP_1) | instskip(SKIP_1) | instid1(VALU_DEP_2)
	v_add_f64 v[30:31], v[20:21], -v[22:23]
	v_add_f64 v[28:29], v[22:23], -v[28:29]
	;; [unrolled: 1-line block ×3, first 2 shown]
	s_delay_alu instid0(VALU_DEP_2) | instskip(NEXT) | instid1(VALU_DEP_2)
	v_add_f64 v[18:19], v[28:29], -v[18:19]
	v_add_f64 v[20:21], v[20:21], -v[22:23]
	s_delay_alu instid0(VALU_DEP_1) | instskip(SKIP_1) | instid1(VALU_DEP_2)
	v_add_f64 v[14:15], v[14:15], v[20:21]
	v_add_f64 v[20:21], v[24:25], v[26:27]
	;; [unrolled: 1-line block ×3, first 2 shown]
	s_delay_alu instid0(VALU_DEP_2) | instskip(NEXT) | instid1(VALU_DEP_2)
	v_add_f64 v[18:19], v[20:21], -v[24:25]
	v_add_f64 v[14:15], v[30:31], v[14:15]
	s_delay_alu instid0(VALU_DEP_2) | instskip(NEXT) | instid1(VALU_DEP_2)
	v_add_f64 v[18:19], v[26:27], -v[18:19]
	v_mul_f64 v[14:15], v[16:17], v[14:15]
	s_delay_alu instid0(VALU_DEP_1) | instskip(NEXT) | instid1(VALU_DEP_1)
	v_add_f64 v[14:15], v[18:19], v[14:15]
	v_add_f64 v[16:17], v[20:21], v[14:15]
	s_delay_alu instid0(VALU_DEP_1) | instskip(NEXT) | instid1(VALU_DEP_1)
	v_mul_f64 v[18:19], v[16:17], v[16:17]
	v_fma_f64 v[22:23], v[18:19], s[18:19], s[14:15]
	s_mov_b32 s14, 0xd7f4df2e
	s_mov_b32 s15, 0x3fc7474d
	v_mul_f64 v[24:25], v[16:17], v[18:19]
	s_delay_alu instid0(VALU_DEP_2)
	v_fma_f64 v[22:23], v[18:19], v[22:23], s[14:15]
	s_mov_b32 s14, 0x16291751
	s_mov_b32 s15, 0x3fcc71c0
	s_delay_alu instid0(VALU_DEP_1) | instid1(SALU_CYCLE_1)
	v_fma_f64 v[22:23], v[18:19], v[22:23], s[14:15]
	s_mov_b32 s14, 0x9b27acf1
	s_mov_b32 s15, 0x3fd24924
	s_delay_alu instid0(VALU_DEP_1) | instid1(SALU_CYCLE_1)
	;; [unrolled: 4-line block ×3, first 2 shown]
	v_fma_f64 v[22:23], v[18:19], v[22:23], s[14:15]
	s_delay_alu instid0(VALU_DEP_1) | instskip(SKIP_2) | instid1(VALU_DEP_3)
	v_fma_f64 v[18:19], v[18:19], v[22:23], s[6:7]
	v_ldexp_f64 v[22:23], v[16:17], 1
	v_add_f64 v[16:17], v[16:17], -v[20:21]
	v_mul_f64 v[18:19], v[24:25], v[18:19]
	v_cvt_f64_i32_e32 v[24:25], v131
	s_delay_alu instid0(VALU_DEP_3) | instskip(NEXT) | instid1(VALU_DEP_3)
	v_add_f64 v[14:15], v[14:15], -v[16:17]
	v_add_f64 v[20:21], v[22:23], v[18:19]
	s_delay_alu instid0(VALU_DEP_3) | instskip(NEXT) | instid1(VALU_DEP_3)
	v_mul_f64 v[26:27], v[24:25], s[8:9]
	v_ldexp_f64 v[14:15], v[14:15], 1
	s_delay_alu instid0(VALU_DEP_3) | instskip(NEXT) | instid1(VALU_DEP_3)
	v_add_f64 v[16:17], v[20:21], -v[22:23]
	v_fma_f64 v[22:23], v[24:25], s[8:9], -v[26:27]
	s_delay_alu instid0(VALU_DEP_2) | instskip(NEXT) | instid1(VALU_DEP_2)
	v_add_f64 v[16:17], v[18:19], -v[16:17]
	v_fma_f64 v[18:19], v[24:25], s[10:11], v[22:23]
	s_delay_alu instid0(VALU_DEP_2) | instskip(NEXT) | instid1(VALU_DEP_2)
	v_add_f64 v[14:15], v[14:15], v[16:17]
	v_add_f64 v[16:17], v[26:27], v[18:19]
	s_delay_alu instid0(VALU_DEP_2) | instskip(NEXT) | instid1(VALU_DEP_2)
	v_add_f64 v[22:23], v[20:21], v[14:15]
	v_add_f64 v[26:27], v[16:17], -v[26:27]
	s_delay_alu instid0(VALU_DEP_2) | instskip(SKIP_1) | instid1(VALU_DEP_3)
	v_add_f64 v[24:25], v[16:17], v[22:23]
	v_add_f64 v[20:21], v[22:23], -v[20:21]
	v_add_f64 v[18:19], v[18:19], -v[26:27]
	s_delay_alu instid0(VALU_DEP_3) | instskip(NEXT) | instid1(VALU_DEP_3)
	v_add_f64 v[28:29], v[24:25], -v[16:17]
	v_add_f64 v[14:15], v[14:15], -v[20:21]
	s_delay_alu instid0(VALU_DEP_2) | instskip(SKIP_1) | instid1(VALU_DEP_3)
	v_add_f64 v[30:31], v[24:25], -v[28:29]
	v_add_f64 v[20:21], v[22:23], -v[28:29]
	v_add_f64 v[22:23], v[18:19], v[14:15]
	s_delay_alu instid0(VALU_DEP_3) | instskip(NEXT) | instid1(VALU_DEP_1)
	v_add_f64 v[16:17], v[16:17], -v[30:31]
	v_add_f64 v[16:17], v[20:21], v[16:17]
	s_delay_alu instid0(VALU_DEP_3) | instskip(NEXT) | instid1(VALU_DEP_2)
	v_add_f64 v[20:21], v[22:23], -v[18:19]
	v_add_f64 v[16:17], v[22:23], v[16:17]
	s_delay_alu instid0(VALU_DEP_2) | instskip(SKIP_1) | instid1(VALU_DEP_3)
	v_add_f64 v[22:23], v[22:23], -v[20:21]
	v_add_f64 v[14:15], v[14:15], -v[20:21]
	v_add_f64 v[26:27], v[24:25], v[16:17]
	s_delay_alu instid0(VALU_DEP_3) | instskip(NEXT) | instid1(VALU_DEP_2)
	v_add_f64 v[18:19], v[18:19], -v[22:23]
	v_add_f64 v[20:21], v[26:27], -v[24:25]
	s_delay_alu instid0(VALU_DEP_2) | instskip(NEXT) | instid1(VALU_DEP_2)
	v_add_f64 v[14:15], v[14:15], v[18:19]
	v_add_f64 v[16:17], v[16:17], -v[20:21]
	s_delay_alu instid0(VALU_DEP_1) | instskip(NEXT) | instid1(VALU_DEP_1)
	v_add_f64 v[14:15], v[14:15], v[16:17]
	v_add_f64 v[14:15], v[26:27], v[14:15]
	s_delay_alu instid0(VALU_DEP_1) | instskip(NEXT) | instid1(VALU_DEP_2)
	v_cndmask_b32_e64 v14, v14, v12, s5
	v_cndmask_b32_e64 v15, v15, v13, s5
	v_cmp_ngt_f64_e64 s5, -1.0, v[12:13]
	s_delay_alu instid0(VALU_DEP_1) | instskip(SKIP_1) | instid1(VALU_DEP_1)
	v_cndmask_b32_e64 v15, 0x7ff80000, v15, s5
	v_cmp_nge_f64_e64 s5, -1.0, v[12:13]
	v_cndmask_b32_e64 v14, 0, v14, s5
	v_cmp_neq_f64_e64 s5, -1.0, v[12:13]
	s_delay_alu instid0(VALU_DEP_1) | instskip(NEXT) | instid1(VALU_DEP_1)
	v_cndmask_b32_e64 v15, 0xfff00000, v15, s5
	v_add_f64 v[48:49], v[10:11], v[14:15]
.LBB8_266:
	s_or_b32 exec_lo, exec_lo, s12
	v_max_f64 v[10:11], v[102:103], v[102:103]
	s_delay_alu instid0(VALU_DEP_2) | instskip(SKIP_2) | instid1(VALU_DEP_3)
	v_max_f64 v[12:13], v[48:49], v[48:49]
	v_cmp_u_f64_e64 s6, v[48:49], v[48:49]
	v_cmp_u_f64_e64 s5, v[102:103], v[102:103]
	v_min_f64 v[14:15], v[12:13], v[10:11]
	v_max_f64 v[12:13], v[12:13], v[10:11]
	s_delay_alu instid0(VALU_DEP_2) | instskip(NEXT) | instid1(VALU_DEP_3)
	v_cndmask_b32_e64 v14, v14, v48, s6
	v_cndmask_b32_e64 v15, v15, v49, s6
	s_delay_alu instid0(VALU_DEP_3) | instskip(NEXT) | instid1(VALU_DEP_4)
	v_cndmask_b32_e64 v13, v13, v49, s6
	v_cndmask_b32_e64 v12, v12, v48, s6
	s_delay_alu instid0(VALU_DEP_4) | instskip(NEXT) | instid1(VALU_DEP_4)
	v_cndmask_b32_e64 v14, v14, v102, s5
	v_cndmask_b32_e64 v15, v15, v103, s5
	s_delay_alu instid0(VALU_DEP_4) | instskip(NEXT) | instid1(VALU_DEP_4)
	v_cndmask_b32_e64 v13, v13, v103, s5
	v_cndmask_b32_e64 v12, v12, v102, s5
	s_delay_alu instid0(VALU_DEP_3) | instskip(NEXT) | instid1(VALU_DEP_2)
	v_cmp_class_f64_e64 s7, v[14:15], 0x1f8
	v_cmp_neq_f64_e64 s6, v[14:15], v[12:13]
	s_delay_alu instid0(VALU_DEP_1) | instskip(NEXT) | instid1(SALU_CYCLE_1)
	s_or_b32 s6, s6, s7
	s_and_saveexec_b32 s12, s6
	s_cbranch_execz .LBB8_268
; %bb.267:
	v_add_f64 v[14:15], v[14:15], -v[12:13]
	s_mov_b32 s6, 0x652b82fe
	s_mov_b32 s7, 0x3ff71547
	;; [unrolled: 1-line block ×10, first 2 shown]
	s_delay_alu instid0(VALU_DEP_1) | instskip(SKIP_2) | instid1(VALU_DEP_1)
	v_mul_f64 v[16:17], v[14:15], s[6:7]
	s_mov_b32 s6, 0xfca7ab0c
	s_mov_b32 s7, 0x3e928af3
	v_rndne_f64_e32 v[16:17], v[16:17]
	s_delay_alu instid0(VALU_DEP_1) | instskip(SKIP_2) | instid1(VALU_DEP_2)
	v_fma_f64 v[18:19], v[16:17], s[8:9], v[14:15]
	v_cvt_i32_f64_e32 v22, v[16:17]
	s_mov_b32 s9, 0x3fe62e42
	v_fma_f64 v[18:19], v[16:17], s[10:11], v[18:19]
	s_mov_b32 s11, 0x3c7abc9e
	s_delay_alu instid0(VALU_DEP_1) | instskip(SKIP_4) | instid1(VALU_DEP_1)
	v_fma_f64 v[20:21], v[18:19], s[14:15], s[6:7]
	s_mov_b32 s6, 0x623fde64
	s_mov_b32 s7, 0x3ec71dee
	;; [unrolled: 1-line block ×4, first 2 shown]
	v_fma_f64 v[20:21], v[18:19], v[20:21], s[6:7]
	s_mov_b32 s6, 0x7c89e6b0
	s_mov_b32 s7, 0x3efa0199
	s_delay_alu instid0(VALU_DEP_1) | instid1(SALU_CYCLE_1)
	v_fma_f64 v[20:21], v[18:19], v[20:21], s[6:7]
	s_mov_b32 s6, 0x14761f6e
	s_mov_b32 s7, 0x3f2a01a0
	s_delay_alu instid0(VALU_DEP_1) | instid1(SALU_CYCLE_1)
	;; [unrolled: 4-line block ×7, first 2 shown]
	v_fma_f64 v[20:21], v[18:19], v[20:21], s[6:7]
	v_cmp_nlt_f64_e64 s6, 0x40900000, v[14:15]
	v_cmp_ngt_f64_e64 s7, 0xc090cc00, v[14:15]
	s_delay_alu instid0(VALU_DEP_3) | instskip(NEXT) | instid1(VALU_DEP_1)
	v_fma_f64 v[20:21], v[18:19], v[20:21], 1.0
	v_fma_f64 v[16:17], v[18:19], v[20:21], 1.0
	s_delay_alu instid0(VALU_DEP_1) | instskip(NEXT) | instid1(VALU_DEP_1)
	v_ldexp_f64 v[16:17], v[16:17], v22
	v_cndmask_b32_e64 v17, 0x7ff00000, v17, s6
	s_and_b32 s6, s7, s6
	s_delay_alu instid0(VALU_DEP_2) | instid1(SALU_CYCLE_1)
	v_cndmask_b32_e64 v14, 0, v16, s6
	s_mov_b32 s6, 0x55555555
	s_delay_alu instid0(VALU_DEP_2) | instskip(SKIP_1) | instid1(VALU_DEP_1)
	v_cndmask_b32_e64 v15, 0, v17, s7
	s_mov_b32 s7, 0x3fe55555
	v_add_f64 v[16:17], v[14:15], 1.0
	s_delay_alu instid0(VALU_DEP_1) | instskip(SKIP_2) | instid1(VALU_DEP_3)
	v_frexp_mant_f64_e32 v[18:19], v[16:17]
	v_frexp_exp_i32_f64_e32 v22, v[16:17]
	v_add_f64 v[20:21], v[16:17], -1.0
	v_cmp_gt_f64_e64 s6, s[6:7], v[18:19]
	s_delay_alu instid0(VALU_DEP_2) | instskip(SKIP_1) | instid1(VALU_DEP_3)
	v_add_f64 v[18:19], v[20:21], -v[16:17]
	v_add_f64 v[20:21], v[14:15], -v[20:21]
	v_subrev_co_ci_u32_e64 v133, s6, 0, v22, s6
	s_delay_alu instid0(VALU_DEP_3) | instskip(SKIP_1) | instid1(VALU_DEP_2)
	v_add_f64 v[18:19], v[18:19], 1.0
	s_mov_b32 s6, 0x55555780
	v_sub_nc_u32_e32 v24, 0, v133
	s_delay_alu instid0(VALU_DEP_1) | instskip(NEXT) | instid1(VALU_DEP_3)
	v_ldexp_f64 v[16:17], v[16:17], v24
	v_add_f64 v[18:19], v[20:21], v[18:19]
	s_delay_alu instid0(VALU_DEP_2) | instskip(SKIP_1) | instid1(VALU_DEP_3)
	v_add_f64 v[22:23], v[16:17], 1.0
	v_add_f64 v[28:29], v[16:17], -1.0
	v_ldexp_f64 v[18:19], v[18:19], v24
	s_delay_alu instid0(VALU_DEP_3) | instskip(NEXT) | instid1(VALU_DEP_3)
	v_add_f64 v[20:21], v[22:23], -1.0
	v_add_f64 v[30:31], v[28:29], 1.0
	s_delay_alu instid0(VALU_DEP_2) | instskip(NEXT) | instid1(VALU_DEP_2)
	v_add_f64 v[20:21], v[16:17], -v[20:21]
	v_add_f64 v[16:17], v[16:17], -v[30:31]
	s_delay_alu instid0(VALU_DEP_2) | instskip(NEXT) | instid1(VALU_DEP_2)
	v_add_f64 v[20:21], v[18:19], v[20:21]
	v_add_f64 v[16:17], v[18:19], v[16:17]
	s_delay_alu instid0(VALU_DEP_2) | instskip(NEXT) | instid1(VALU_DEP_2)
	v_add_f64 v[24:25], v[22:23], v[20:21]
	v_add_f64 v[30:31], v[28:29], v[16:17]
	s_delay_alu instid0(VALU_DEP_2) | instskip(SKIP_1) | instid1(VALU_DEP_2)
	v_rcp_f64_e32 v[26:27], v[24:25]
	v_add_f64 v[22:23], v[24:25], -v[22:23]
	v_add_f64 v[28:29], v[30:31], -v[28:29]
	s_delay_alu instid0(VALU_DEP_2) | instskip(SKIP_3) | instid1(VALU_DEP_2)
	v_add_f64 v[20:21], v[20:21], -v[22:23]
	s_waitcnt_depctr 0xfff
	v_fma_f64 v[48:49], -v[24:25], v[26:27], 1.0
	v_add_f64 v[16:17], v[16:17], -v[28:29]
	v_fma_f64 v[26:27], v[48:49], v[26:27], v[26:27]
	s_delay_alu instid0(VALU_DEP_1) | instskip(NEXT) | instid1(VALU_DEP_1)
	v_fma_f64 v[18:19], -v[24:25], v[26:27], 1.0
	v_fma_f64 v[18:19], v[18:19], v[26:27], v[26:27]
	s_delay_alu instid0(VALU_DEP_1) | instskip(NEXT) | instid1(VALU_DEP_1)
	v_mul_f64 v[26:27], v[30:31], v[18:19]
	v_mul_f64 v[48:49], v[24:25], v[26:27]
	s_delay_alu instid0(VALU_DEP_1) | instskip(NEXT) | instid1(VALU_DEP_1)
	v_fma_f64 v[22:23], v[26:27], v[24:25], -v[48:49]
	v_fma_f64 v[22:23], v[26:27], v[20:21], v[22:23]
	s_delay_alu instid0(VALU_DEP_1) | instskip(NEXT) | instid1(VALU_DEP_1)
	v_add_f64 v[129:130], v[48:49], v[22:23]
	v_add_f64 v[131:132], v[30:31], -v[129:130]
	v_add_f64 v[28:29], v[129:130], -v[48:49]
	s_delay_alu instid0(VALU_DEP_2) | instskip(NEXT) | instid1(VALU_DEP_2)
	v_add_f64 v[30:31], v[30:31], -v[131:132]
	v_add_f64 v[22:23], v[28:29], -v[22:23]
	s_delay_alu instid0(VALU_DEP_2) | instskip(NEXT) | instid1(VALU_DEP_1)
	v_add_f64 v[30:31], v[30:31], -v[129:130]
	v_add_f64 v[16:17], v[16:17], v[30:31]
	s_delay_alu instid0(VALU_DEP_1) | instskip(NEXT) | instid1(VALU_DEP_1)
	v_add_f64 v[16:17], v[22:23], v[16:17]
	v_add_f64 v[22:23], v[131:132], v[16:17]
	s_delay_alu instid0(VALU_DEP_1) | instskip(SKIP_1) | instid1(VALU_DEP_2)
	v_mul_f64 v[28:29], v[18:19], v[22:23]
	v_add_f64 v[129:130], v[131:132], -v[22:23]
	v_mul_f64 v[30:31], v[24:25], v[28:29]
	s_delay_alu instid0(VALU_DEP_2) | instskip(NEXT) | instid1(VALU_DEP_2)
	v_add_f64 v[16:17], v[16:17], v[129:130]
	v_fma_f64 v[24:25], v[28:29], v[24:25], -v[30:31]
	s_delay_alu instid0(VALU_DEP_1) | instskip(NEXT) | instid1(VALU_DEP_1)
	v_fma_f64 v[20:21], v[28:29], v[20:21], v[24:25]
	v_add_f64 v[24:25], v[30:31], v[20:21]
	s_delay_alu instid0(VALU_DEP_1) | instskip(SKIP_1) | instid1(VALU_DEP_2)
	v_add_f64 v[48:49], v[22:23], -v[24:25]
	v_add_f64 v[30:31], v[24:25], -v[30:31]
	;; [unrolled: 1-line block ×3, first 2 shown]
	s_delay_alu instid0(VALU_DEP_2) | instskip(NEXT) | instid1(VALU_DEP_2)
	v_add_f64 v[20:21], v[30:31], -v[20:21]
	v_add_f64 v[22:23], v[22:23], -v[24:25]
	s_delay_alu instid0(VALU_DEP_1) | instskip(SKIP_1) | instid1(VALU_DEP_2)
	v_add_f64 v[16:17], v[16:17], v[22:23]
	v_add_f64 v[22:23], v[26:27], v[28:29]
	;; [unrolled: 1-line block ×3, first 2 shown]
	s_delay_alu instid0(VALU_DEP_2) | instskip(NEXT) | instid1(VALU_DEP_2)
	v_add_f64 v[20:21], v[22:23], -v[26:27]
	v_add_f64 v[16:17], v[48:49], v[16:17]
	s_delay_alu instid0(VALU_DEP_2) | instskip(NEXT) | instid1(VALU_DEP_2)
	v_add_f64 v[20:21], v[28:29], -v[20:21]
	v_mul_f64 v[16:17], v[18:19], v[16:17]
	s_delay_alu instid0(VALU_DEP_1) | instskip(NEXT) | instid1(VALU_DEP_1)
	v_add_f64 v[16:17], v[20:21], v[16:17]
	v_add_f64 v[18:19], v[22:23], v[16:17]
	s_delay_alu instid0(VALU_DEP_1) | instskip(NEXT) | instid1(VALU_DEP_1)
	v_mul_f64 v[20:21], v[18:19], v[18:19]
	v_fma_f64 v[24:25], v[20:21], s[18:19], s[14:15]
	s_mov_b32 s14, 0xd7f4df2e
	s_mov_b32 s15, 0x3fc7474d
	v_mul_f64 v[26:27], v[18:19], v[20:21]
	s_delay_alu instid0(VALU_DEP_2)
	v_fma_f64 v[24:25], v[20:21], v[24:25], s[14:15]
	s_mov_b32 s14, 0x16291751
	s_mov_b32 s15, 0x3fcc71c0
	s_delay_alu instid0(VALU_DEP_1) | instid1(SALU_CYCLE_1)
	v_fma_f64 v[24:25], v[20:21], v[24:25], s[14:15]
	s_mov_b32 s14, 0x9b27acf1
	s_mov_b32 s15, 0x3fd24924
	s_delay_alu instid0(VALU_DEP_1) | instid1(SALU_CYCLE_1)
	;; [unrolled: 4-line block ×3, first 2 shown]
	v_fma_f64 v[24:25], v[20:21], v[24:25], s[14:15]
	s_delay_alu instid0(VALU_DEP_1) | instskip(SKIP_3) | instid1(VALU_DEP_4)
	v_fma_f64 v[20:21], v[20:21], v[24:25], s[6:7]
	v_ldexp_f64 v[24:25], v[18:19], 1
	v_add_f64 v[18:19], v[18:19], -v[22:23]
	v_cmp_eq_f64_e64 s6, 0x7ff00000, v[14:15]
	v_mul_f64 v[20:21], v[26:27], v[20:21]
	v_cvt_f64_i32_e32 v[26:27], v133
	s_delay_alu instid0(VALU_DEP_4) | instskip(NEXT) | instid1(VALU_DEP_3)
	v_add_f64 v[16:17], v[16:17], -v[18:19]
	v_add_f64 v[22:23], v[24:25], v[20:21]
	s_delay_alu instid0(VALU_DEP_3) | instskip(NEXT) | instid1(VALU_DEP_3)
	v_mul_f64 v[28:29], v[26:27], s[8:9]
	v_ldexp_f64 v[16:17], v[16:17], 1
	s_delay_alu instid0(VALU_DEP_3) | instskip(NEXT) | instid1(VALU_DEP_3)
	v_add_f64 v[18:19], v[22:23], -v[24:25]
	v_fma_f64 v[24:25], v[26:27], s[8:9], -v[28:29]
	s_delay_alu instid0(VALU_DEP_2) | instskip(NEXT) | instid1(VALU_DEP_2)
	v_add_f64 v[18:19], v[20:21], -v[18:19]
	v_fma_f64 v[20:21], v[26:27], s[10:11], v[24:25]
	s_delay_alu instid0(VALU_DEP_2) | instskip(NEXT) | instid1(VALU_DEP_2)
	v_add_f64 v[16:17], v[16:17], v[18:19]
	v_add_f64 v[18:19], v[28:29], v[20:21]
	s_delay_alu instid0(VALU_DEP_2) | instskip(NEXT) | instid1(VALU_DEP_2)
	v_add_f64 v[24:25], v[22:23], v[16:17]
	v_add_f64 v[28:29], v[18:19], -v[28:29]
	s_delay_alu instid0(VALU_DEP_2) | instskip(SKIP_1) | instid1(VALU_DEP_3)
	v_add_f64 v[26:27], v[18:19], v[24:25]
	v_add_f64 v[22:23], v[24:25], -v[22:23]
	v_add_f64 v[20:21], v[20:21], -v[28:29]
	s_delay_alu instid0(VALU_DEP_3) | instskip(NEXT) | instid1(VALU_DEP_3)
	v_add_f64 v[30:31], v[26:27], -v[18:19]
	v_add_f64 v[16:17], v[16:17], -v[22:23]
	s_delay_alu instid0(VALU_DEP_2) | instskip(SKIP_1) | instid1(VALU_DEP_3)
	v_add_f64 v[48:49], v[26:27], -v[30:31]
	v_add_f64 v[22:23], v[24:25], -v[30:31]
	v_add_f64 v[24:25], v[20:21], v[16:17]
	s_delay_alu instid0(VALU_DEP_3) | instskip(NEXT) | instid1(VALU_DEP_1)
	v_add_f64 v[18:19], v[18:19], -v[48:49]
	v_add_f64 v[18:19], v[22:23], v[18:19]
	s_delay_alu instid0(VALU_DEP_3) | instskip(NEXT) | instid1(VALU_DEP_2)
	v_add_f64 v[22:23], v[24:25], -v[20:21]
	v_add_f64 v[18:19], v[24:25], v[18:19]
	s_delay_alu instid0(VALU_DEP_2) | instskip(SKIP_1) | instid1(VALU_DEP_3)
	v_add_f64 v[24:25], v[24:25], -v[22:23]
	v_add_f64 v[16:17], v[16:17], -v[22:23]
	v_add_f64 v[28:29], v[26:27], v[18:19]
	s_delay_alu instid0(VALU_DEP_3) | instskip(NEXT) | instid1(VALU_DEP_2)
	v_add_f64 v[20:21], v[20:21], -v[24:25]
	v_add_f64 v[22:23], v[28:29], -v[26:27]
	s_delay_alu instid0(VALU_DEP_2) | instskip(NEXT) | instid1(VALU_DEP_2)
	v_add_f64 v[16:17], v[16:17], v[20:21]
	v_add_f64 v[18:19], v[18:19], -v[22:23]
	s_delay_alu instid0(VALU_DEP_1) | instskip(NEXT) | instid1(VALU_DEP_1)
	v_add_f64 v[16:17], v[16:17], v[18:19]
	v_add_f64 v[16:17], v[28:29], v[16:17]
	s_delay_alu instid0(VALU_DEP_1) | instskip(NEXT) | instid1(VALU_DEP_2)
	v_cndmask_b32_e64 v16, v16, v14, s6
	v_cndmask_b32_e64 v17, v17, v15, s6
	v_cmp_ngt_f64_e64 s6, -1.0, v[14:15]
	s_delay_alu instid0(VALU_DEP_1) | instskip(SKIP_1) | instid1(VALU_DEP_1)
	v_cndmask_b32_e64 v17, 0x7ff80000, v17, s6
	v_cmp_nge_f64_e64 s6, -1.0, v[14:15]
	v_cndmask_b32_e64 v16, 0, v16, s6
	v_cmp_neq_f64_e64 s6, -1.0, v[14:15]
	s_delay_alu instid0(VALU_DEP_1) | instskip(NEXT) | instid1(VALU_DEP_1)
	v_cndmask_b32_e64 v17, 0xfff00000, v17, s6
	v_add_f64 v[48:49], v[12:13], v[16:17]
.LBB8_268:
	s_or_b32 exec_lo, exec_lo, s12
	v_max_f64 v[12:13], v[96:97], v[96:97]
	s_delay_alu instid0(VALU_DEP_2) | instskip(SKIP_2) | instid1(VALU_DEP_3)
	v_max_f64 v[14:15], v[48:49], v[48:49]
	v_cmp_u_f64_e64 s7, v[48:49], v[48:49]
	v_cmp_u_f64_e64 s6, v[96:97], v[96:97]
	v_min_f64 v[16:17], v[14:15], v[12:13]
	v_max_f64 v[14:15], v[14:15], v[12:13]
	s_delay_alu instid0(VALU_DEP_2) | instskip(NEXT) | instid1(VALU_DEP_3)
	v_cndmask_b32_e64 v16, v16, v48, s7
	v_cndmask_b32_e64 v17, v17, v49, s7
	s_delay_alu instid0(VALU_DEP_3) | instskip(NEXT) | instid1(VALU_DEP_4)
	v_cndmask_b32_e64 v15, v15, v49, s7
	v_cndmask_b32_e64 v14, v14, v48, s7
	s_delay_alu instid0(VALU_DEP_4) | instskip(NEXT) | instid1(VALU_DEP_4)
	v_cndmask_b32_e64 v16, v16, v96, s6
	v_cndmask_b32_e64 v17, v17, v97, s6
	s_delay_alu instid0(VALU_DEP_4) | instskip(NEXT) | instid1(VALU_DEP_4)
	v_cndmask_b32_e64 v15, v15, v97, s6
	v_cndmask_b32_e64 v14, v14, v96, s6
	s_delay_alu instid0(VALU_DEP_3) | instskip(NEXT) | instid1(VALU_DEP_2)
	v_cmp_class_f64_e64 s8, v[16:17], 0x1f8
	v_cmp_neq_f64_e64 s7, v[16:17], v[14:15]
	s_delay_alu instid0(VALU_DEP_1) | instskip(NEXT) | instid1(SALU_CYCLE_1)
	s_or_b32 s7, s7, s8
	s_and_saveexec_b32 s14, s7
	s_cbranch_execz .LBB8_270
; %bb.269:
	v_add_f64 v[16:17], v[16:17], -v[14:15]
	s_mov_b32 s8, 0x652b82fe
	s_mov_b32 s9, 0x3ff71547
	;; [unrolled: 1-line block ×10, first 2 shown]
	s_delay_alu instid0(VALU_DEP_1) | instskip(SKIP_3) | instid1(VALU_DEP_2)
	v_mul_f64 v[18:19], v[16:17], s[8:9]
	s_mov_b32 s8, 0xfca7ab0c
	s_mov_b32 s9, 0x3e928af3
	v_cmp_nlt_f64_e64 s7, 0x40900000, v[16:17]
	v_rndne_f64_e32 v[18:19], v[18:19]
	s_delay_alu instid0(VALU_DEP_1) | instskip(SKIP_2) | instid1(VALU_DEP_2)
	v_fma_f64 v[20:21], v[18:19], s[10:11], v[16:17]
	v_cvt_i32_f64_e32 v24, v[18:19]
	s_mov_b32 s11, 0x3fe62e42
	v_fma_f64 v[20:21], v[18:19], s[12:13], v[20:21]
	s_mov_b32 s13, 0x3c7abc9e
	s_delay_alu instid0(VALU_DEP_1) | instskip(SKIP_4) | instid1(VALU_DEP_1)
	v_fma_f64 v[22:23], v[20:21], s[18:19], s[8:9]
	s_mov_b32 s8, 0x623fde64
	s_mov_b32 s9, 0x3ec71dee
	;; [unrolled: 1-line block ×4, first 2 shown]
	v_fma_f64 v[22:23], v[20:21], v[22:23], s[8:9]
	s_mov_b32 s8, 0x7c89e6b0
	s_mov_b32 s9, 0x3efa0199
	s_delay_alu instid0(VALU_DEP_1) | instid1(SALU_CYCLE_1)
	v_fma_f64 v[22:23], v[20:21], v[22:23], s[8:9]
	s_mov_b32 s8, 0x14761f6e
	s_mov_b32 s9, 0x3f2a01a0
	s_delay_alu instid0(VALU_DEP_1) | instid1(SALU_CYCLE_1)
	;; [unrolled: 4-line block ×7, first 2 shown]
	v_fma_f64 v[22:23], v[20:21], v[22:23], s[8:9]
	v_cmp_ngt_f64_e64 s8, 0xc090cc00, v[16:17]
	s_mov_b32 s9, 0x3fe55555
	s_delay_alu instid0(VALU_DEP_2) | instskip(NEXT) | instid1(VALU_DEP_1)
	v_fma_f64 v[22:23], v[20:21], v[22:23], 1.0
	v_fma_f64 v[18:19], v[20:21], v[22:23], 1.0
	s_delay_alu instid0(VALU_DEP_1) | instskip(NEXT) | instid1(VALU_DEP_1)
	v_ldexp_f64 v[18:19], v[18:19], v24
	v_cndmask_b32_e64 v19, 0x7ff00000, v19, s7
	s_and_b32 s7, s8, s7
	s_delay_alu instid0(VALU_DEP_2) | instid1(SALU_CYCLE_1)
	v_cndmask_b32_e64 v16, 0, v18, s7
	s_delay_alu instid0(VALU_DEP_2) | instskip(SKIP_1) | instid1(VALU_DEP_1)
	v_cndmask_b32_e64 v17, 0, v19, s8
	s_mov_b32 s8, 0x55555555
	v_add_f64 v[18:19], v[16:17], 1.0
	s_delay_alu instid0(VALU_DEP_1) | instskip(SKIP_2) | instid1(VALU_DEP_3)
	v_frexp_mant_f64_e32 v[20:21], v[18:19]
	v_frexp_exp_i32_f64_e32 v24, v[18:19]
	v_add_f64 v[22:23], v[18:19], -1.0
	v_cmp_gt_f64_e64 s7, s[8:9], v[20:21]
	s_mov_b32 s8, 0x55555780
	s_delay_alu instid0(VALU_DEP_2) | instskip(SKIP_1) | instid1(VALU_DEP_3)
	v_add_f64 v[20:21], v[22:23], -v[18:19]
	v_add_f64 v[22:23], v[16:17], -v[22:23]
	v_subrev_co_ci_u32_e64 v144, s7, 0, v24, s7
	s_delay_alu instid0(VALU_DEP_3) | instskip(SKIP_1) | instid1(VALU_DEP_3)
	v_add_f64 v[20:21], v[20:21], 1.0
	v_cmp_eq_f64_e64 s7, 0x7ff00000, v[16:17]
	v_sub_nc_u32_e32 v26, 0, v144
	s_delay_alu instid0(VALU_DEP_1) | instskip(NEXT) | instid1(VALU_DEP_4)
	v_ldexp_f64 v[18:19], v[18:19], v26
	v_add_f64 v[20:21], v[22:23], v[20:21]
	s_delay_alu instid0(VALU_DEP_2) | instskip(SKIP_1) | instid1(VALU_DEP_3)
	v_add_f64 v[24:25], v[18:19], 1.0
	v_add_f64 v[30:31], v[18:19], -1.0
	v_ldexp_f64 v[20:21], v[20:21], v26
	s_delay_alu instid0(VALU_DEP_3) | instskip(NEXT) | instid1(VALU_DEP_3)
	v_add_f64 v[22:23], v[24:25], -1.0
	v_add_f64 v[48:49], v[30:31], 1.0
	s_delay_alu instid0(VALU_DEP_2) | instskip(NEXT) | instid1(VALU_DEP_2)
	v_add_f64 v[22:23], v[18:19], -v[22:23]
	v_add_f64 v[18:19], v[18:19], -v[48:49]
	s_delay_alu instid0(VALU_DEP_2) | instskip(NEXT) | instid1(VALU_DEP_2)
	v_add_f64 v[22:23], v[20:21], v[22:23]
	v_add_f64 v[18:19], v[20:21], v[18:19]
	s_delay_alu instid0(VALU_DEP_2) | instskip(NEXT) | instid1(VALU_DEP_2)
	v_add_f64 v[26:27], v[24:25], v[22:23]
	v_add_f64 v[48:49], v[30:31], v[18:19]
	s_delay_alu instid0(VALU_DEP_2) | instskip(SKIP_1) | instid1(VALU_DEP_2)
	v_rcp_f64_e32 v[28:29], v[26:27]
	v_add_f64 v[24:25], v[26:27], -v[24:25]
	v_add_f64 v[30:31], v[48:49], -v[30:31]
	s_delay_alu instid0(VALU_DEP_2) | instskip(SKIP_3) | instid1(VALU_DEP_2)
	v_add_f64 v[22:23], v[22:23], -v[24:25]
	s_waitcnt_depctr 0xfff
	v_fma_f64 v[129:130], -v[26:27], v[28:29], 1.0
	v_add_f64 v[18:19], v[18:19], -v[30:31]
	v_fma_f64 v[28:29], v[129:130], v[28:29], v[28:29]
	s_delay_alu instid0(VALU_DEP_1) | instskip(NEXT) | instid1(VALU_DEP_1)
	v_fma_f64 v[20:21], -v[26:27], v[28:29], 1.0
	v_fma_f64 v[20:21], v[20:21], v[28:29], v[28:29]
	s_delay_alu instid0(VALU_DEP_1) | instskip(NEXT) | instid1(VALU_DEP_1)
	v_mul_f64 v[28:29], v[48:49], v[20:21]
	v_mul_f64 v[129:130], v[26:27], v[28:29]
	s_delay_alu instid0(VALU_DEP_1) | instskip(NEXT) | instid1(VALU_DEP_1)
	v_fma_f64 v[24:25], v[28:29], v[26:27], -v[129:130]
	v_fma_f64 v[24:25], v[28:29], v[22:23], v[24:25]
	s_delay_alu instid0(VALU_DEP_1) | instskip(NEXT) | instid1(VALU_DEP_1)
	v_add_f64 v[131:132], v[129:130], v[24:25]
	v_add_f64 v[133:134], v[48:49], -v[131:132]
	v_add_f64 v[30:31], v[131:132], -v[129:130]
	s_delay_alu instid0(VALU_DEP_2) | instskip(NEXT) | instid1(VALU_DEP_2)
	v_add_f64 v[48:49], v[48:49], -v[133:134]
	v_add_f64 v[24:25], v[30:31], -v[24:25]
	s_delay_alu instid0(VALU_DEP_2) | instskip(NEXT) | instid1(VALU_DEP_1)
	v_add_f64 v[48:49], v[48:49], -v[131:132]
	v_add_f64 v[18:19], v[18:19], v[48:49]
	s_delay_alu instid0(VALU_DEP_1) | instskip(NEXT) | instid1(VALU_DEP_1)
	v_add_f64 v[18:19], v[24:25], v[18:19]
	v_add_f64 v[24:25], v[133:134], v[18:19]
	s_delay_alu instid0(VALU_DEP_1) | instskip(SKIP_1) | instid1(VALU_DEP_2)
	v_mul_f64 v[30:31], v[20:21], v[24:25]
	v_add_f64 v[131:132], v[133:134], -v[24:25]
	v_mul_f64 v[48:49], v[26:27], v[30:31]
	s_delay_alu instid0(VALU_DEP_2) | instskip(NEXT) | instid1(VALU_DEP_2)
	v_add_f64 v[18:19], v[18:19], v[131:132]
	v_fma_f64 v[26:27], v[30:31], v[26:27], -v[48:49]
	s_delay_alu instid0(VALU_DEP_1) | instskip(NEXT) | instid1(VALU_DEP_1)
	v_fma_f64 v[22:23], v[30:31], v[22:23], v[26:27]
	v_add_f64 v[26:27], v[48:49], v[22:23]
	s_delay_alu instid0(VALU_DEP_1) | instskip(SKIP_1) | instid1(VALU_DEP_2)
	v_add_f64 v[129:130], v[24:25], -v[26:27]
	v_add_f64 v[48:49], v[26:27], -v[48:49]
	;; [unrolled: 1-line block ×3, first 2 shown]
	s_delay_alu instid0(VALU_DEP_2) | instskip(NEXT) | instid1(VALU_DEP_2)
	v_add_f64 v[22:23], v[48:49], -v[22:23]
	v_add_f64 v[24:25], v[24:25], -v[26:27]
	s_delay_alu instid0(VALU_DEP_1) | instskip(SKIP_1) | instid1(VALU_DEP_2)
	v_add_f64 v[18:19], v[18:19], v[24:25]
	v_add_f64 v[24:25], v[28:29], v[30:31]
	;; [unrolled: 1-line block ×3, first 2 shown]
	s_delay_alu instid0(VALU_DEP_2) | instskip(NEXT) | instid1(VALU_DEP_2)
	v_add_f64 v[22:23], v[24:25], -v[28:29]
	v_add_f64 v[18:19], v[129:130], v[18:19]
	s_delay_alu instid0(VALU_DEP_2) | instskip(NEXT) | instid1(VALU_DEP_2)
	v_add_f64 v[22:23], v[30:31], -v[22:23]
	v_mul_f64 v[18:19], v[20:21], v[18:19]
	s_delay_alu instid0(VALU_DEP_1) | instskip(NEXT) | instid1(VALU_DEP_1)
	v_add_f64 v[18:19], v[22:23], v[18:19]
	v_add_f64 v[20:21], v[24:25], v[18:19]
	s_delay_alu instid0(VALU_DEP_1) | instskip(NEXT) | instid1(VALU_DEP_1)
	v_mul_f64 v[22:23], v[20:21], v[20:21]
	v_fma_f64 v[26:27], v[22:23], s[20:21], s[18:19]
	s_mov_b32 s18, 0xd7f4df2e
	s_mov_b32 s19, 0x3fc7474d
	v_mul_f64 v[28:29], v[20:21], v[22:23]
	s_delay_alu instid0(VALU_DEP_2)
	v_fma_f64 v[26:27], v[22:23], v[26:27], s[18:19]
	s_mov_b32 s18, 0x16291751
	s_mov_b32 s19, 0x3fcc71c0
	s_delay_alu instid0(VALU_DEP_1) | instid1(SALU_CYCLE_1)
	v_fma_f64 v[26:27], v[22:23], v[26:27], s[18:19]
	s_mov_b32 s18, 0x9b27acf1
	s_mov_b32 s19, 0x3fd24924
	s_delay_alu instid0(VALU_DEP_1) | instid1(SALU_CYCLE_1)
	;; [unrolled: 4-line block ×3, first 2 shown]
	v_fma_f64 v[26:27], v[22:23], v[26:27], s[18:19]
	s_delay_alu instid0(VALU_DEP_1) | instskip(SKIP_2) | instid1(VALU_DEP_3)
	v_fma_f64 v[22:23], v[22:23], v[26:27], s[8:9]
	v_ldexp_f64 v[26:27], v[20:21], 1
	v_add_f64 v[20:21], v[20:21], -v[24:25]
	v_mul_f64 v[22:23], v[28:29], v[22:23]
	v_cvt_f64_i32_e32 v[28:29], v144
	s_delay_alu instid0(VALU_DEP_3) | instskip(NEXT) | instid1(VALU_DEP_3)
	v_add_f64 v[18:19], v[18:19], -v[20:21]
	v_add_f64 v[24:25], v[26:27], v[22:23]
	s_delay_alu instid0(VALU_DEP_3) | instskip(NEXT) | instid1(VALU_DEP_3)
	v_mul_f64 v[30:31], v[28:29], s[10:11]
	v_ldexp_f64 v[18:19], v[18:19], 1
	s_delay_alu instid0(VALU_DEP_3) | instskip(NEXT) | instid1(VALU_DEP_3)
	v_add_f64 v[20:21], v[24:25], -v[26:27]
	v_fma_f64 v[26:27], v[28:29], s[10:11], -v[30:31]
	s_delay_alu instid0(VALU_DEP_2) | instskip(NEXT) | instid1(VALU_DEP_2)
	v_add_f64 v[20:21], v[22:23], -v[20:21]
	v_fma_f64 v[22:23], v[28:29], s[12:13], v[26:27]
	s_delay_alu instid0(VALU_DEP_2) | instskip(NEXT) | instid1(VALU_DEP_2)
	v_add_f64 v[18:19], v[18:19], v[20:21]
	v_add_f64 v[20:21], v[30:31], v[22:23]
	s_delay_alu instid0(VALU_DEP_2) | instskip(NEXT) | instid1(VALU_DEP_2)
	v_add_f64 v[26:27], v[24:25], v[18:19]
	v_add_f64 v[30:31], v[20:21], -v[30:31]
	s_delay_alu instid0(VALU_DEP_2) | instskip(SKIP_1) | instid1(VALU_DEP_3)
	v_add_f64 v[28:29], v[20:21], v[26:27]
	v_add_f64 v[24:25], v[26:27], -v[24:25]
	v_add_f64 v[22:23], v[22:23], -v[30:31]
	s_delay_alu instid0(VALU_DEP_3) | instskip(NEXT) | instid1(VALU_DEP_3)
	v_add_f64 v[48:49], v[28:29], -v[20:21]
	v_add_f64 v[18:19], v[18:19], -v[24:25]
	s_delay_alu instid0(VALU_DEP_2) | instskip(SKIP_1) | instid1(VALU_DEP_3)
	v_add_f64 v[129:130], v[28:29], -v[48:49]
	v_add_f64 v[24:25], v[26:27], -v[48:49]
	v_add_f64 v[26:27], v[22:23], v[18:19]
	s_delay_alu instid0(VALU_DEP_3) | instskip(NEXT) | instid1(VALU_DEP_1)
	v_add_f64 v[20:21], v[20:21], -v[129:130]
	v_add_f64 v[20:21], v[24:25], v[20:21]
	s_delay_alu instid0(VALU_DEP_3) | instskip(NEXT) | instid1(VALU_DEP_2)
	v_add_f64 v[24:25], v[26:27], -v[22:23]
	v_add_f64 v[20:21], v[26:27], v[20:21]
	s_delay_alu instid0(VALU_DEP_2) | instskip(SKIP_1) | instid1(VALU_DEP_3)
	v_add_f64 v[26:27], v[26:27], -v[24:25]
	v_add_f64 v[18:19], v[18:19], -v[24:25]
	v_add_f64 v[30:31], v[28:29], v[20:21]
	s_delay_alu instid0(VALU_DEP_3) | instskip(NEXT) | instid1(VALU_DEP_2)
	v_add_f64 v[22:23], v[22:23], -v[26:27]
	v_add_f64 v[24:25], v[30:31], -v[28:29]
	s_delay_alu instid0(VALU_DEP_2) | instskip(NEXT) | instid1(VALU_DEP_2)
	v_add_f64 v[18:19], v[18:19], v[22:23]
	v_add_f64 v[20:21], v[20:21], -v[24:25]
	s_delay_alu instid0(VALU_DEP_1) | instskip(NEXT) | instid1(VALU_DEP_1)
	v_add_f64 v[18:19], v[18:19], v[20:21]
	v_add_f64 v[18:19], v[30:31], v[18:19]
	s_delay_alu instid0(VALU_DEP_1) | instskip(NEXT) | instid1(VALU_DEP_2)
	v_cndmask_b32_e64 v18, v18, v16, s7
	v_cndmask_b32_e64 v19, v19, v17, s7
	v_cmp_ngt_f64_e64 s7, -1.0, v[16:17]
	s_delay_alu instid0(VALU_DEP_1) | instskip(SKIP_1) | instid1(VALU_DEP_1)
	v_cndmask_b32_e64 v19, 0x7ff80000, v19, s7
	v_cmp_nge_f64_e64 s7, -1.0, v[16:17]
	v_cndmask_b32_e64 v18, 0, v18, s7
	v_cmp_neq_f64_e64 s7, -1.0, v[16:17]
	s_delay_alu instid0(VALU_DEP_1) | instskip(NEXT) | instid1(VALU_DEP_1)
	v_cndmask_b32_e64 v19, 0xfff00000, v19, s7
	v_add_f64 v[48:49], v[14:15], v[18:19]
.LBB8_270:
	s_or_b32 exec_lo, exec_lo, s14
	v_max_f64 v[14:15], v[98:99], v[98:99]
	s_delay_alu instid0(VALU_DEP_2) | instskip(SKIP_2) | instid1(VALU_DEP_3)
	v_max_f64 v[16:17], v[48:49], v[48:49]
	v_cmp_u_f64_e64 s8, v[48:49], v[48:49]
	v_cmp_u_f64_e64 s7, v[98:99], v[98:99]
	v_min_f64 v[18:19], v[16:17], v[14:15]
	v_max_f64 v[16:17], v[16:17], v[14:15]
	s_delay_alu instid0(VALU_DEP_2) | instskip(NEXT) | instid1(VALU_DEP_3)
	v_cndmask_b32_e64 v18, v18, v48, s8
	v_cndmask_b32_e64 v19, v19, v49, s8
	s_delay_alu instid0(VALU_DEP_3) | instskip(NEXT) | instid1(VALU_DEP_4)
	v_cndmask_b32_e64 v17, v17, v49, s8
	v_cndmask_b32_e64 v16, v16, v48, s8
	s_delay_alu instid0(VALU_DEP_4) | instskip(NEXT) | instid1(VALU_DEP_4)
	v_cndmask_b32_e64 v18, v18, v98, s7
	v_cndmask_b32_e64 v19, v19, v99, s7
	s_delay_alu instid0(VALU_DEP_4) | instskip(NEXT) | instid1(VALU_DEP_4)
	v_cndmask_b32_e64 v17, v17, v99, s7
	v_cndmask_b32_e64 v16, v16, v98, s7
	s_delay_alu instid0(VALU_DEP_3) | instskip(NEXT) | instid1(VALU_DEP_2)
	v_cmp_class_f64_e64 s9, v[18:19], 0x1f8
	v_cmp_neq_f64_e64 s8, v[18:19], v[16:17]
	s_delay_alu instid0(VALU_DEP_1) | instskip(NEXT) | instid1(SALU_CYCLE_1)
	s_or_b32 s8, s8, s9
	s_and_saveexec_b32 s14, s8
	s_cbranch_execz .LBB8_272
; %bb.271:
	v_add_f64 v[18:19], v[18:19], -v[16:17]
	s_mov_b32 s8, 0x652b82fe
	s_mov_b32 s9, 0x3ff71547
	;; [unrolled: 1-line block ×10, first 2 shown]
	s_delay_alu instid0(VALU_DEP_1) | instskip(SKIP_2) | instid1(VALU_DEP_1)
	v_mul_f64 v[20:21], v[18:19], s[8:9]
	s_mov_b32 s8, 0xfca7ab0c
	s_mov_b32 s9, 0x3e928af3
	v_rndne_f64_e32 v[20:21], v[20:21]
	s_delay_alu instid0(VALU_DEP_1) | instskip(SKIP_2) | instid1(VALU_DEP_2)
	v_fma_f64 v[22:23], v[20:21], s[10:11], v[18:19]
	v_cvt_i32_f64_e32 v26, v[20:21]
	s_mov_b32 s11, 0x3fe62e42
	v_fma_f64 v[22:23], v[20:21], s[12:13], v[22:23]
	s_mov_b32 s13, 0x3c7abc9e
	s_delay_alu instid0(VALU_DEP_1) | instskip(SKIP_4) | instid1(VALU_DEP_1)
	v_fma_f64 v[24:25], v[22:23], s[18:19], s[8:9]
	s_mov_b32 s8, 0x623fde64
	s_mov_b32 s9, 0x3ec71dee
	;; [unrolled: 1-line block ×4, first 2 shown]
	v_fma_f64 v[24:25], v[22:23], v[24:25], s[8:9]
	s_mov_b32 s8, 0x7c89e6b0
	s_mov_b32 s9, 0x3efa0199
	s_delay_alu instid0(VALU_DEP_1) | instid1(SALU_CYCLE_1)
	v_fma_f64 v[24:25], v[22:23], v[24:25], s[8:9]
	s_mov_b32 s8, 0x14761f6e
	s_mov_b32 s9, 0x3f2a01a0
	s_delay_alu instid0(VALU_DEP_1) | instid1(SALU_CYCLE_1)
	;; [unrolled: 4-line block ×7, first 2 shown]
	v_fma_f64 v[24:25], v[22:23], v[24:25], s[8:9]
	v_cmp_nlt_f64_e64 s8, 0x40900000, v[18:19]
	v_cmp_ngt_f64_e64 s9, 0xc090cc00, v[18:19]
	s_delay_alu instid0(VALU_DEP_3) | instskip(NEXT) | instid1(VALU_DEP_1)
	v_fma_f64 v[24:25], v[22:23], v[24:25], 1.0
	v_fma_f64 v[20:21], v[22:23], v[24:25], 1.0
	s_delay_alu instid0(VALU_DEP_1) | instskip(NEXT) | instid1(VALU_DEP_1)
	v_ldexp_f64 v[20:21], v[20:21], v26
	v_cndmask_b32_e64 v21, 0x7ff00000, v21, s8
	s_and_b32 s8, s9, s8
	s_delay_alu instid0(VALU_DEP_2) | instid1(SALU_CYCLE_1)
	v_cndmask_b32_e64 v18, 0, v20, s8
	s_mov_b32 s8, 0x55555555
	s_delay_alu instid0(VALU_DEP_2) | instskip(SKIP_1) | instid1(VALU_DEP_1)
	v_cndmask_b32_e64 v19, 0, v21, s9
	s_mov_b32 s9, 0x3fe55555
	v_add_f64 v[20:21], v[18:19], 1.0
	s_delay_alu instid0(VALU_DEP_1) | instskip(SKIP_2) | instid1(VALU_DEP_3)
	v_frexp_mant_f64_e32 v[22:23], v[20:21]
	v_frexp_exp_i32_f64_e32 v26, v[20:21]
	v_add_f64 v[24:25], v[20:21], -1.0
	v_cmp_gt_f64_e64 s8, s[8:9], v[22:23]
	s_delay_alu instid0(VALU_DEP_2) | instskip(SKIP_1) | instid1(VALU_DEP_3)
	v_add_f64 v[22:23], v[24:25], -v[20:21]
	v_add_f64 v[24:25], v[18:19], -v[24:25]
	v_subrev_co_ci_u32_e64 v146, s8, 0, v26, s8
	s_delay_alu instid0(VALU_DEP_3) | instskip(SKIP_1) | instid1(VALU_DEP_2)
	v_add_f64 v[22:23], v[22:23], 1.0
	s_mov_b32 s8, 0x55555780
	v_sub_nc_u32_e32 v28, 0, v146
	s_delay_alu instid0(VALU_DEP_1) | instskip(NEXT) | instid1(VALU_DEP_3)
	v_ldexp_f64 v[20:21], v[20:21], v28
	v_add_f64 v[22:23], v[24:25], v[22:23]
	s_delay_alu instid0(VALU_DEP_2) | instskip(SKIP_1) | instid1(VALU_DEP_3)
	v_add_f64 v[26:27], v[20:21], 1.0
	v_add_f64 v[48:49], v[20:21], -1.0
	v_ldexp_f64 v[22:23], v[22:23], v28
	s_delay_alu instid0(VALU_DEP_3) | instskip(NEXT) | instid1(VALU_DEP_3)
	v_add_f64 v[24:25], v[26:27], -1.0
	v_add_f64 v[129:130], v[48:49], 1.0
	s_delay_alu instid0(VALU_DEP_2) | instskip(NEXT) | instid1(VALU_DEP_2)
	v_add_f64 v[24:25], v[20:21], -v[24:25]
	v_add_f64 v[20:21], v[20:21], -v[129:130]
	s_delay_alu instid0(VALU_DEP_2) | instskip(NEXT) | instid1(VALU_DEP_2)
	v_add_f64 v[24:25], v[22:23], v[24:25]
	v_add_f64 v[20:21], v[22:23], v[20:21]
	s_delay_alu instid0(VALU_DEP_2) | instskip(NEXT) | instid1(VALU_DEP_2)
	v_add_f64 v[28:29], v[26:27], v[24:25]
	v_add_f64 v[129:130], v[48:49], v[20:21]
	s_delay_alu instid0(VALU_DEP_2) | instskip(SKIP_1) | instid1(VALU_DEP_2)
	v_rcp_f64_e32 v[30:31], v[28:29]
	v_add_f64 v[26:27], v[28:29], -v[26:27]
	v_add_f64 v[48:49], v[129:130], -v[48:49]
	s_delay_alu instid0(VALU_DEP_2) | instskip(SKIP_3) | instid1(VALU_DEP_2)
	v_add_f64 v[24:25], v[24:25], -v[26:27]
	s_waitcnt_depctr 0xfff
	v_fma_f64 v[131:132], -v[28:29], v[30:31], 1.0
	v_add_f64 v[20:21], v[20:21], -v[48:49]
	v_fma_f64 v[30:31], v[131:132], v[30:31], v[30:31]
	s_delay_alu instid0(VALU_DEP_1) | instskip(NEXT) | instid1(VALU_DEP_1)
	v_fma_f64 v[22:23], -v[28:29], v[30:31], 1.0
	v_fma_f64 v[22:23], v[22:23], v[30:31], v[30:31]
	s_delay_alu instid0(VALU_DEP_1) | instskip(NEXT) | instid1(VALU_DEP_1)
	v_mul_f64 v[30:31], v[129:130], v[22:23]
	v_mul_f64 v[131:132], v[28:29], v[30:31]
	s_delay_alu instid0(VALU_DEP_1) | instskip(NEXT) | instid1(VALU_DEP_1)
	v_fma_f64 v[26:27], v[30:31], v[28:29], -v[131:132]
	v_fma_f64 v[26:27], v[30:31], v[24:25], v[26:27]
	s_delay_alu instid0(VALU_DEP_1) | instskip(NEXT) | instid1(VALU_DEP_1)
	v_add_f64 v[133:134], v[131:132], v[26:27]
	v_add_f64 v[144:145], v[129:130], -v[133:134]
	v_add_f64 v[48:49], v[133:134], -v[131:132]
	s_delay_alu instid0(VALU_DEP_2) | instskip(NEXT) | instid1(VALU_DEP_2)
	v_add_f64 v[129:130], v[129:130], -v[144:145]
	v_add_f64 v[26:27], v[48:49], -v[26:27]
	s_delay_alu instid0(VALU_DEP_2) | instskip(NEXT) | instid1(VALU_DEP_1)
	v_add_f64 v[129:130], v[129:130], -v[133:134]
	v_add_f64 v[20:21], v[20:21], v[129:130]
	s_delay_alu instid0(VALU_DEP_1) | instskip(NEXT) | instid1(VALU_DEP_1)
	v_add_f64 v[20:21], v[26:27], v[20:21]
	v_add_f64 v[26:27], v[144:145], v[20:21]
	s_delay_alu instid0(VALU_DEP_1) | instskip(SKIP_1) | instid1(VALU_DEP_2)
	v_mul_f64 v[48:49], v[22:23], v[26:27]
	v_add_f64 v[133:134], v[144:145], -v[26:27]
	v_mul_f64 v[129:130], v[28:29], v[48:49]
	s_delay_alu instid0(VALU_DEP_2) | instskip(NEXT) | instid1(VALU_DEP_2)
	v_add_f64 v[20:21], v[20:21], v[133:134]
	v_fma_f64 v[28:29], v[48:49], v[28:29], -v[129:130]
	s_delay_alu instid0(VALU_DEP_1) | instskip(NEXT) | instid1(VALU_DEP_1)
	v_fma_f64 v[24:25], v[48:49], v[24:25], v[28:29]
	v_add_f64 v[28:29], v[129:130], v[24:25]
	s_delay_alu instid0(VALU_DEP_1) | instskip(SKIP_1) | instid1(VALU_DEP_2)
	v_add_f64 v[131:132], v[26:27], -v[28:29]
	v_add_f64 v[129:130], v[28:29], -v[129:130]
	;; [unrolled: 1-line block ×3, first 2 shown]
	s_delay_alu instid0(VALU_DEP_2) | instskip(NEXT) | instid1(VALU_DEP_2)
	v_add_f64 v[24:25], v[129:130], -v[24:25]
	v_add_f64 v[26:27], v[26:27], -v[28:29]
	s_delay_alu instid0(VALU_DEP_1) | instskip(SKIP_1) | instid1(VALU_DEP_2)
	v_add_f64 v[20:21], v[20:21], v[26:27]
	v_add_f64 v[26:27], v[30:31], v[48:49]
	;; [unrolled: 1-line block ×3, first 2 shown]
	s_delay_alu instid0(VALU_DEP_2) | instskip(NEXT) | instid1(VALU_DEP_2)
	v_add_f64 v[24:25], v[26:27], -v[30:31]
	v_add_f64 v[20:21], v[131:132], v[20:21]
	s_delay_alu instid0(VALU_DEP_2) | instskip(NEXT) | instid1(VALU_DEP_2)
	v_add_f64 v[24:25], v[48:49], -v[24:25]
	v_mul_f64 v[20:21], v[22:23], v[20:21]
	s_delay_alu instid0(VALU_DEP_1) | instskip(NEXT) | instid1(VALU_DEP_1)
	v_add_f64 v[20:21], v[24:25], v[20:21]
	v_add_f64 v[22:23], v[26:27], v[20:21]
	s_delay_alu instid0(VALU_DEP_1) | instskip(NEXT) | instid1(VALU_DEP_1)
	v_mul_f64 v[24:25], v[22:23], v[22:23]
	v_fma_f64 v[28:29], v[24:25], s[20:21], s[18:19]
	s_mov_b32 s18, 0xd7f4df2e
	s_mov_b32 s19, 0x3fc7474d
	v_mul_f64 v[30:31], v[22:23], v[24:25]
	s_delay_alu instid0(VALU_DEP_2)
	v_fma_f64 v[28:29], v[24:25], v[28:29], s[18:19]
	s_mov_b32 s18, 0x16291751
	s_mov_b32 s19, 0x3fcc71c0
	s_delay_alu instid0(VALU_DEP_1) | instid1(SALU_CYCLE_1)
	v_fma_f64 v[28:29], v[24:25], v[28:29], s[18:19]
	s_mov_b32 s18, 0x9b27acf1
	s_mov_b32 s19, 0x3fd24924
	s_delay_alu instid0(VALU_DEP_1) | instid1(SALU_CYCLE_1)
	;; [unrolled: 4-line block ×3, first 2 shown]
	v_fma_f64 v[28:29], v[24:25], v[28:29], s[18:19]
	s_delay_alu instid0(VALU_DEP_1) | instskip(SKIP_3) | instid1(VALU_DEP_4)
	v_fma_f64 v[24:25], v[24:25], v[28:29], s[8:9]
	v_ldexp_f64 v[28:29], v[22:23], 1
	v_add_f64 v[22:23], v[22:23], -v[26:27]
	v_cmp_eq_f64_e64 s8, 0x7ff00000, v[18:19]
	v_mul_f64 v[24:25], v[30:31], v[24:25]
	v_cvt_f64_i32_e32 v[30:31], v146
	s_delay_alu instid0(VALU_DEP_4) | instskip(NEXT) | instid1(VALU_DEP_3)
	v_add_f64 v[20:21], v[20:21], -v[22:23]
	v_add_f64 v[26:27], v[28:29], v[24:25]
	s_delay_alu instid0(VALU_DEP_3) | instskip(NEXT) | instid1(VALU_DEP_3)
	v_mul_f64 v[48:49], v[30:31], s[10:11]
	v_ldexp_f64 v[20:21], v[20:21], 1
	s_delay_alu instid0(VALU_DEP_3) | instskip(NEXT) | instid1(VALU_DEP_3)
	v_add_f64 v[22:23], v[26:27], -v[28:29]
	v_fma_f64 v[28:29], v[30:31], s[10:11], -v[48:49]
	s_delay_alu instid0(VALU_DEP_2) | instskip(NEXT) | instid1(VALU_DEP_2)
	v_add_f64 v[22:23], v[24:25], -v[22:23]
	v_fma_f64 v[24:25], v[30:31], s[12:13], v[28:29]
	s_delay_alu instid0(VALU_DEP_2) | instskip(NEXT) | instid1(VALU_DEP_2)
	v_add_f64 v[20:21], v[20:21], v[22:23]
	v_add_f64 v[22:23], v[48:49], v[24:25]
	s_delay_alu instid0(VALU_DEP_2) | instskip(NEXT) | instid1(VALU_DEP_2)
	v_add_f64 v[28:29], v[26:27], v[20:21]
	v_add_f64 v[48:49], v[22:23], -v[48:49]
	s_delay_alu instid0(VALU_DEP_2) | instskip(SKIP_1) | instid1(VALU_DEP_3)
	v_add_f64 v[30:31], v[22:23], v[28:29]
	v_add_f64 v[26:27], v[28:29], -v[26:27]
	v_add_f64 v[24:25], v[24:25], -v[48:49]
	s_delay_alu instid0(VALU_DEP_3) | instskip(NEXT) | instid1(VALU_DEP_3)
	v_add_f64 v[129:130], v[30:31], -v[22:23]
	v_add_f64 v[20:21], v[20:21], -v[26:27]
	s_delay_alu instid0(VALU_DEP_2) | instskip(SKIP_1) | instid1(VALU_DEP_3)
	v_add_f64 v[131:132], v[30:31], -v[129:130]
	v_add_f64 v[26:27], v[28:29], -v[129:130]
	v_add_f64 v[28:29], v[24:25], v[20:21]
	s_delay_alu instid0(VALU_DEP_3) | instskip(NEXT) | instid1(VALU_DEP_1)
	v_add_f64 v[22:23], v[22:23], -v[131:132]
	v_add_f64 v[22:23], v[26:27], v[22:23]
	s_delay_alu instid0(VALU_DEP_3) | instskip(NEXT) | instid1(VALU_DEP_2)
	v_add_f64 v[26:27], v[28:29], -v[24:25]
	v_add_f64 v[22:23], v[28:29], v[22:23]
	s_delay_alu instid0(VALU_DEP_2) | instskip(SKIP_1) | instid1(VALU_DEP_3)
	v_add_f64 v[28:29], v[28:29], -v[26:27]
	v_add_f64 v[20:21], v[20:21], -v[26:27]
	v_add_f64 v[48:49], v[30:31], v[22:23]
	s_delay_alu instid0(VALU_DEP_3) | instskip(NEXT) | instid1(VALU_DEP_2)
	v_add_f64 v[24:25], v[24:25], -v[28:29]
	v_add_f64 v[26:27], v[48:49], -v[30:31]
	s_delay_alu instid0(VALU_DEP_2) | instskip(NEXT) | instid1(VALU_DEP_2)
	v_add_f64 v[20:21], v[20:21], v[24:25]
	v_add_f64 v[22:23], v[22:23], -v[26:27]
	s_delay_alu instid0(VALU_DEP_1) | instskip(NEXT) | instid1(VALU_DEP_1)
	v_add_f64 v[20:21], v[20:21], v[22:23]
	v_add_f64 v[20:21], v[48:49], v[20:21]
	s_delay_alu instid0(VALU_DEP_1) | instskip(NEXT) | instid1(VALU_DEP_2)
	v_cndmask_b32_e64 v20, v20, v18, s8
	v_cndmask_b32_e64 v21, v21, v19, s8
	v_cmp_ngt_f64_e64 s8, -1.0, v[18:19]
	s_delay_alu instid0(VALU_DEP_1) | instskip(SKIP_1) | instid1(VALU_DEP_1)
	v_cndmask_b32_e64 v21, 0x7ff80000, v21, s8
	v_cmp_nge_f64_e64 s8, -1.0, v[18:19]
	v_cndmask_b32_e64 v20, 0, v20, s8
	v_cmp_neq_f64_e64 s8, -1.0, v[18:19]
	s_delay_alu instid0(VALU_DEP_1) | instskip(NEXT) | instid1(VALU_DEP_1)
	v_cndmask_b32_e64 v21, 0xfff00000, v21, s8
	v_add_f64 v[48:49], v[16:17], v[20:21]
.LBB8_272:
	s_or_b32 exec_lo, exec_lo, s14
	v_max_f64 v[16:17], v[84:85], v[84:85]
	s_delay_alu instid0(VALU_DEP_2) | instskip(SKIP_2) | instid1(VALU_DEP_3)
	v_max_f64 v[18:19], v[48:49], v[48:49]
	v_cmp_u_f64_e64 s9, v[48:49], v[48:49]
	v_cmp_u_f64_e64 s8, v[84:85], v[84:85]
	v_min_f64 v[20:21], v[18:19], v[16:17]
	v_max_f64 v[18:19], v[18:19], v[16:17]
	s_delay_alu instid0(VALU_DEP_2) | instskip(NEXT) | instid1(VALU_DEP_3)
	v_cndmask_b32_e64 v20, v20, v48, s9
	v_cndmask_b32_e64 v21, v21, v49, s9
	s_delay_alu instid0(VALU_DEP_3) | instskip(NEXT) | instid1(VALU_DEP_4)
	v_cndmask_b32_e64 v19, v19, v49, s9
	v_cndmask_b32_e64 v18, v18, v48, s9
	s_delay_alu instid0(VALU_DEP_4) | instskip(NEXT) | instid1(VALU_DEP_4)
	v_cndmask_b32_e64 v20, v20, v84, s8
	v_cndmask_b32_e64 v21, v21, v85, s8
	s_delay_alu instid0(VALU_DEP_4) | instskip(NEXT) | instid1(VALU_DEP_4)
	v_cndmask_b32_e64 v19, v19, v85, s8
	v_cndmask_b32_e64 v18, v18, v84, s8
	s_delay_alu instid0(VALU_DEP_3) | instskip(NEXT) | instid1(VALU_DEP_2)
	v_cmp_class_f64_e64 s10, v[20:21], 0x1f8
	v_cmp_neq_f64_e64 s9, v[20:21], v[18:19]
	s_delay_alu instid0(VALU_DEP_1) | instskip(NEXT) | instid1(SALU_CYCLE_1)
	s_or_b32 s9, s9, s10
	s_and_saveexec_b32 s17, s9
	s_cbranch_execz .LBB8_274
; %bb.273:
	v_add_f64 v[20:21], v[20:21], -v[18:19]
	s_mov_b32 s10, 0x652b82fe
	s_mov_b32 s11, 0x3ff71547
	;; [unrolled: 1-line block ×10, first 2 shown]
	s_delay_alu instid0(VALU_DEP_1) | instskip(SKIP_3) | instid1(VALU_DEP_2)
	v_mul_f64 v[22:23], v[20:21], s[10:11]
	s_mov_b32 s10, 0xfca7ab0c
	s_mov_b32 s11, 0x3e928af3
	v_cmp_nlt_f64_e64 s9, 0x40900000, v[20:21]
	v_rndne_f64_e32 v[22:23], v[22:23]
	s_delay_alu instid0(VALU_DEP_1) | instskip(SKIP_2) | instid1(VALU_DEP_2)
	v_fma_f64 v[24:25], v[22:23], s[12:13], v[20:21]
	v_cvt_i32_f64_e32 v28, v[22:23]
	s_mov_b32 s13, 0x3fe62e42
	v_fma_f64 v[24:25], v[22:23], s[14:15], v[24:25]
	s_mov_b32 s15, 0x3c7abc9e
	s_delay_alu instid0(VALU_DEP_1) | instskip(SKIP_4) | instid1(VALU_DEP_1)
	v_fma_f64 v[26:27], v[24:25], s[18:19], s[10:11]
	s_mov_b32 s10, 0x623fde64
	s_mov_b32 s11, 0x3ec71dee
	;; [unrolled: 1-line block ×4, first 2 shown]
	v_fma_f64 v[26:27], v[24:25], v[26:27], s[10:11]
	s_mov_b32 s10, 0x7c89e6b0
	s_mov_b32 s11, 0x3efa0199
	s_delay_alu instid0(VALU_DEP_1) | instid1(SALU_CYCLE_1)
	v_fma_f64 v[26:27], v[24:25], v[26:27], s[10:11]
	s_mov_b32 s10, 0x14761f6e
	s_mov_b32 s11, 0x3f2a01a0
	s_delay_alu instid0(VALU_DEP_1) | instid1(SALU_CYCLE_1)
	;; [unrolled: 4-line block ×7, first 2 shown]
	v_fma_f64 v[26:27], v[24:25], v[26:27], s[10:11]
	v_cmp_ngt_f64_e64 s10, 0xc090cc00, v[20:21]
	s_mov_b32 s11, 0x3fe55555
	s_delay_alu instid0(VALU_DEP_2) | instskip(NEXT) | instid1(VALU_DEP_1)
	v_fma_f64 v[26:27], v[24:25], v[26:27], 1.0
	v_fma_f64 v[22:23], v[24:25], v[26:27], 1.0
	s_delay_alu instid0(VALU_DEP_1) | instskip(NEXT) | instid1(VALU_DEP_1)
	v_ldexp_f64 v[22:23], v[22:23], v28
	v_cndmask_b32_e64 v23, 0x7ff00000, v23, s9
	s_and_b32 s9, s10, s9
	s_delay_alu instid0(VALU_DEP_2) | instid1(SALU_CYCLE_1)
	v_cndmask_b32_e64 v20, 0, v22, s9
	s_delay_alu instid0(VALU_DEP_2) | instskip(SKIP_1) | instid1(VALU_DEP_1)
	v_cndmask_b32_e64 v21, 0, v23, s10
	s_mov_b32 s10, 0x55555555
	v_add_f64 v[22:23], v[20:21], 1.0
	s_delay_alu instid0(VALU_DEP_1) | instskip(SKIP_2) | instid1(VALU_DEP_3)
	v_frexp_mant_f64_e32 v[24:25], v[22:23]
	v_frexp_exp_i32_f64_e32 v28, v[22:23]
	v_add_f64 v[26:27], v[22:23], -1.0
	v_cmp_gt_f64_e64 s9, s[10:11], v[24:25]
	s_mov_b32 s10, 0x55555780
	s_delay_alu instid0(VALU_DEP_2) | instskip(SKIP_1) | instid1(VALU_DEP_3)
	v_add_f64 v[24:25], v[26:27], -v[22:23]
	v_add_f64 v[26:27], v[20:21], -v[26:27]
	v_subrev_co_ci_u32_e64 v148, s9, 0, v28, s9
	s_delay_alu instid0(VALU_DEP_3) | instskip(SKIP_1) | instid1(VALU_DEP_3)
	v_add_f64 v[24:25], v[24:25], 1.0
	v_cmp_eq_f64_e64 s9, 0x7ff00000, v[20:21]
	v_sub_nc_u32_e32 v30, 0, v148
	s_delay_alu instid0(VALU_DEP_1) | instskip(NEXT) | instid1(VALU_DEP_4)
	v_ldexp_f64 v[22:23], v[22:23], v30
	v_add_f64 v[24:25], v[26:27], v[24:25]
	s_delay_alu instid0(VALU_DEP_2) | instskip(SKIP_1) | instid1(VALU_DEP_3)
	v_add_f64 v[28:29], v[22:23], 1.0
	v_add_f64 v[129:130], v[22:23], -1.0
	v_ldexp_f64 v[24:25], v[24:25], v30
	s_delay_alu instid0(VALU_DEP_3) | instskip(NEXT) | instid1(VALU_DEP_3)
	v_add_f64 v[26:27], v[28:29], -1.0
	v_add_f64 v[131:132], v[129:130], 1.0
	s_delay_alu instid0(VALU_DEP_2) | instskip(NEXT) | instid1(VALU_DEP_2)
	v_add_f64 v[26:27], v[22:23], -v[26:27]
	v_add_f64 v[22:23], v[22:23], -v[131:132]
	s_delay_alu instid0(VALU_DEP_2) | instskip(NEXT) | instid1(VALU_DEP_2)
	v_add_f64 v[26:27], v[24:25], v[26:27]
	v_add_f64 v[22:23], v[24:25], v[22:23]
	s_delay_alu instid0(VALU_DEP_2) | instskip(NEXT) | instid1(VALU_DEP_2)
	v_add_f64 v[30:31], v[28:29], v[26:27]
	v_add_f64 v[131:132], v[129:130], v[22:23]
	s_delay_alu instid0(VALU_DEP_2) | instskip(SKIP_1) | instid1(VALU_DEP_2)
	v_rcp_f64_e32 v[48:49], v[30:31]
	v_add_f64 v[28:29], v[30:31], -v[28:29]
	v_add_f64 v[129:130], v[131:132], -v[129:130]
	s_delay_alu instid0(VALU_DEP_2) | instskip(SKIP_3) | instid1(VALU_DEP_2)
	v_add_f64 v[26:27], v[26:27], -v[28:29]
	s_waitcnt_depctr 0xfff
	v_fma_f64 v[133:134], -v[30:31], v[48:49], 1.0
	v_add_f64 v[22:23], v[22:23], -v[129:130]
	v_fma_f64 v[48:49], v[133:134], v[48:49], v[48:49]
	s_delay_alu instid0(VALU_DEP_1) | instskip(NEXT) | instid1(VALU_DEP_1)
	v_fma_f64 v[24:25], -v[30:31], v[48:49], 1.0
	v_fma_f64 v[24:25], v[24:25], v[48:49], v[48:49]
	s_delay_alu instid0(VALU_DEP_1) | instskip(NEXT) | instid1(VALU_DEP_1)
	v_mul_f64 v[48:49], v[131:132], v[24:25]
	v_mul_f64 v[133:134], v[30:31], v[48:49]
	s_delay_alu instid0(VALU_DEP_1) | instskip(NEXT) | instid1(VALU_DEP_1)
	v_fma_f64 v[28:29], v[48:49], v[30:31], -v[133:134]
	v_fma_f64 v[28:29], v[48:49], v[26:27], v[28:29]
	s_delay_alu instid0(VALU_DEP_1) | instskip(NEXT) | instid1(VALU_DEP_1)
	v_add_f64 v[144:145], v[133:134], v[28:29]
	v_add_f64 v[146:147], v[131:132], -v[144:145]
	v_add_f64 v[129:130], v[144:145], -v[133:134]
	s_delay_alu instid0(VALU_DEP_2) | instskip(NEXT) | instid1(VALU_DEP_2)
	v_add_f64 v[131:132], v[131:132], -v[146:147]
	v_add_f64 v[28:29], v[129:130], -v[28:29]
	s_delay_alu instid0(VALU_DEP_2) | instskip(NEXT) | instid1(VALU_DEP_1)
	v_add_f64 v[131:132], v[131:132], -v[144:145]
	v_add_f64 v[22:23], v[22:23], v[131:132]
	s_delay_alu instid0(VALU_DEP_1) | instskip(NEXT) | instid1(VALU_DEP_1)
	v_add_f64 v[22:23], v[28:29], v[22:23]
	v_add_f64 v[28:29], v[146:147], v[22:23]
	s_delay_alu instid0(VALU_DEP_1) | instskip(SKIP_1) | instid1(VALU_DEP_2)
	v_mul_f64 v[129:130], v[24:25], v[28:29]
	v_add_f64 v[144:145], v[146:147], -v[28:29]
	v_mul_f64 v[131:132], v[30:31], v[129:130]
	s_delay_alu instid0(VALU_DEP_2) | instskip(NEXT) | instid1(VALU_DEP_2)
	v_add_f64 v[22:23], v[22:23], v[144:145]
	v_fma_f64 v[30:31], v[129:130], v[30:31], -v[131:132]
	s_delay_alu instid0(VALU_DEP_1) | instskip(NEXT) | instid1(VALU_DEP_1)
	v_fma_f64 v[26:27], v[129:130], v[26:27], v[30:31]
	v_add_f64 v[30:31], v[131:132], v[26:27]
	s_delay_alu instid0(VALU_DEP_1) | instskip(SKIP_1) | instid1(VALU_DEP_2)
	v_add_f64 v[133:134], v[28:29], -v[30:31]
	v_add_f64 v[131:132], v[30:31], -v[131:132]
	;; [unrolled: 1-line block ×3, first 2 shown]
	s_delay_alu instid0(VALU_DEP_2) | instskip(NEXT) | instid1(VALU_DEP_2)
	v_add_f64 v[26:27], v[131:132], -v[26:27]
	v_add_f64 v[28:29], v[28:29], -v[30:31]
	s_delay_alu instid0(VALU_DEP_1) | instskip(SKIP_1) | instid1(VALU_DEP_2)
	v_add_f64 v[22:23], v[22:23], v[28:29]
	v_add_f64 v[28:29], v[48:49], v[129:130]
	;; [unrolled: 1-line block ×3, first 2 shown]
	s_delay_alu instid0(VALU_DEP_2) | instskip(NEXT) | instid1(VALU_DEP_2)
	v_add_f64 v[26:27], v[28:29], -v[48:49]
	v_add_f64 v[22:23], v[133:134], v[22:23]
	s_delay_alu instid0(VALU_DEP_2) | instskip(NEXT) | instid1(VALU_DEP_2)
	v_add_f64 v[26:27], v[129:130], -v[26:27]
	v_mul_f64 v[22:23], v[24:25], v[22:23]
	s_delay_alu instid0(VALU_DEP_1) | instskip(NEXT) | instid1(VALU_DEP_1)
	v_add_f64 v[22:23], v[26:27], v[22:23]
	v_add_f64 v[24:25], v[28:29], v[22:23]
	s_delay_alu instid0(VALU_DEP_1) | instskip(NEXT) | instid1(VALU_DEP_1)
	v_mul_f64 v[26:27], v[24:25], v[24:25]
	v_fma_f64 v[30:31], v[26:27], s[20:21], s[18:19]
	s_mov_b32 s18, 0xd7f4df2e
	s_mov_b32 s19, 0x3fc7474d
	v_mul_f64 v[48:49], v[24:25], v[26:27]
	s_delay_alu instid0(VALU_DEP_2)
	v_fma_f64 v[30:31], v[26:27], v[30:31], s[18:19]
	s_mov_b32 s18, 0x16291751
	s_mov_b32 s19, 0x3fcc71c0
	s_delay_alu instid0(VALU_DEP_1) | instid1(SALU_CYCLE_1)
	v_fma_f64 v[30:31], v[26:27], v[30:31], s[18:19]
	s_mov_b32 s18, 0x9b27acf1
	s_mov_b32 s19, 0x3fd24924
	s_delay_alu instid0(VALU_DEP_1) | instid1(SALU_CYCLE_1)
	;; [unrolled: 4-line block ×3, first 2 shown]
	v_fma_f64 v[30:31], v[26:27], v[30:31], s[18:19]
	s_delay_alu instid0(VALU_DEP_1) | instskip(SKIP_2) | instid1(VALU_DEP_3)
	v_fma_f64 v[26:27], v[26:27], v[30:31], s[10:11]
	v_ldexp_f64 v[30:31], v[24:25], 1
	v_add_f64 v[24:25], v[24:25], -v[28:29]
	v_mul_f64 v[26:27], v[48:49], v[26:27]
	v_cvt_f64_i32_e32 v[48:49], v148
	s_delay_alu instid0(VALU_DEP_3) | instskip(NEXT) | instid1(VALU_DEP_3)
	v_add_f64 v[22:23], v[22:23], -v[24:25]
	v_add_f64 v[28:29], v[30:31], v[26:27]
	s_delay_alu instid0(VALU_DEP_3) | instskip(NEXT) | instid1(VALU_DEP_3)
	v_mul_f64 v[129:130], v[48:49], s[12:13]
	v_ldexp_f64 v[22:23], v[22:23], 1
	s_delay_alu instid0(VALU_DEP_3) | instskip(NEXT) | instid1(VALU_DEP_3)
	v_add_f64 v[24:25], v[28:29], -v[30:31]
	v_fma_f64 v[30:31], v[48:49], s[12:13], -v[129:130]
	s_delay_alu instid0(VALU_DEP_2) | instskip(NEXT) | instid1(VALU_DEP_2)
	v_add_f64 v[24:25], v[26:27], -v[24:25]
	v_fma_f64 v[26:27], v[48:49], s[14:15], v[30:31]
	s_delay_alu instid0(VALU_DEP_2) | instskip(NEXT) | instid1(VALU_DEP_2)
	v_add_f64 v[22:23], v[22:23], v[24:25]
	v_add_f64 v[24:25], v[129:130], v[26:27]
	s_delay_alu instid0(VALU_DEP_2) | instskip(NEXT) | instid1(VALU_DEP_2)
	v_add_f64 v[30:31], v[28:29], v[22:23]
	v_add_f64 v[129:130], v[24:25], -v[129:130]
	s_delay_alu instid0(VALU_DEP_2) | instskip(SKIP_1) | instid1(VALU_DEP_3)
	v_add_f64 v[48:49], v[24:25], v[30:31]
	v_add_f64 v[28:29], v[30:31], -v[28:29]
	v_add_f64 v[26:27], v[26:27], -v[129:130]
	s_delay_alu instid0(VALU_DEP_3) | instskip(NEXT) | instid1(VALU_DEP_3)
	v_add_f64 v[131:132], v[48:49], -v[24:25]
	v_add_f64 v[22:23], v[22:23], -v[28:29]
	s_delay_alu instid0(VALU_DEP_2) | instskip(SKIP_1) | instid1(VALU_DEP_3)
	v_add_f64 v[133:134], v[48:49], -v[131:132]
	v_add_f64 v[28:29], v[30:31], -v[131:132]
	v_add_f64 v[30:31], v[26:27], v[22:23]
	s_delay_alu instid0(VALU_DEP_3) | instskip(NEXT) | instid1(VALU_DEP_1)
	v_add_f64 v[24:25], v[24:25], -v[133:134]
	v_add_f64 v[24:25], v[28:29], v[24:25]
	s_delay_alu instid0(VALU_DEP_3) | instskip(NEXT) | instid1(VALU_DEP_2)
	v_add_f64 v[28:29], v[30:31], -v[26:27]
	v_add_f64 v[24:25], v[30:31], v[24:25]
	s_delay_alu instid0(VALU_DEP_2) | instskip(SKIP_1) | instid1(VALU_DEP_3)
	v_add_f64 v[30:31], v[30:31], -v[28:29]
	v_add_f64 v[22:23], v[22:23], -v[28:29]
	v_add_f64 v[129:130], v[48:49], v[24:25]
	s_delay_alu instid0(VALU_DEP_3) | instskip(NEXT) | instid1(VALU_DEP_2)
	v_add_f64 v[26:27], v[26:27], -v[30:31]
	v_add_f64 v[28:29], v[129:130], -v[48:49]
	s_delay_alu instid0(VALU_DEP_2) | instskip(NEXT) | instid1(VALU_DEP_2)
	v_add_f64 v[22:23], v[22:23], v[26:27]
	v_add_f64 v[24:25], v[24:25], -v[28:29]
	s_delay_alu instid0(VALU_DEP_1) | instskip(NEXT) | instid1(VALU_DEP_1)
	v_add_f64 v[22:23], v[22:23], v[24:25]
	v_add_f64 v[22:23], v[129:130], v[22:23]
	s_delay_alu instid0(VALU_DEP_1) | instskip(NEXT) | instid1(VALU_DEP_2)
	v_cndmask_b32_e64 v22, v22, v20, s9
	v_cndmask_b32_e64 v23, v23, v21, s9
	v_cmp_ngt_f64_e64 s9, -1.0, v[20:21]
	s_delay_alu instid0(VALU_DEP_1) | instskip(SKIP_1) | instid1(VALU_DEP_1)
	v_cndmask_b32_e64 v23, 0x7ff80000, v23, s9
	v_cmp_nge_f64_e64 s9, -1.0, v[20:21]
	v_cndmask_b32_e64 v22, 0, v22, s9
	v_cmp_neq_f64_e64 s9, -1.0, v[20:21]
	s_delay_alu instid0(VALU_DEP_1) | instskip(NEXT) | instid1(VALU_DEP_1)
	v_cndmask_b32_e64 v23, 0xfff00000, v23, s9
	v_add_f64 v[48:49], v[18:19], v[22:23]
.LBB8_274:
	s_or_b32 exec_lo, exec_lo, s17
	v_max_f64 v[18:19], v[86:87], v[86:87]
	s_delay_alu instid0(VALU_DEP_2) | instskip(SKIP_2) | instid1(VALU_DEP_3)
	v_max_f64 v[20:21], v[48:49], v[48:49]
	v_cmp_u_f64_e64 s10, v[48:49], v[48:49]
	v_cmp_u_f64_e64 s9, v[86:87], v[86:87]
	v_min_f64 v[22:23], v[20:21], v[18:19]
	v_max_f64 v[20:21], v[20:21], v[18:19]
	s_delay_alu instid0(VALU_DEP_2) | instskip(NEXT) | instid1(VALU_DEP_3)
	v_cndmask_b32_e64 v22, v22, v48, s10
	v_cndmask_b32_e64 v23, v23, v49, s10
	s_delay_alu instid0(VALU_DEP_3) | instskip(NEXT) | instid1(VALU_DEP_4)
	v_cndmask_b32_e64 v21, v21, v49, s10
	v_cndmask_b32_e64 v20, v20, v48, s10
	s_delay_alu instid0(VALU_DEP_4) | instskip(NEXT) | instid1(VALU_DEP_4)
	v_cndmask_b32_e64 v22, v22, v86, s9
	v_cndmask_b32_e64 v23, v23, v87, s9
	s_delay_alu instid0(VALU_DEP_4) | instskip(NEXT) | instid1(VALU_DEP_4)
	v_cndmask_b32_e64 v21, v21, v87, s9
	v_cndmask_b32_e64 v20, v20, v86, s9
	s_delay_alu instid0(VALU_DEP_3) | instskip(NEXT) | instid1(VALU_DEP_2)
	v_cmp_class_f64_e64 s11, v[22:23], 0x1f8
	v_cmp_neq_f64_e64 s10, v[22:23], v[20:21]
	s_delay_alu instid0(VALU_DEP_1) | instskip(NEXT) | instid1(SALU_CYCLE_1)
	s_or_b32 s10, s10, s11
	s_and_saveexec_b32 s17, s10
	s_cbranch_execz .LBB8_276
; %bb.275:
	v_add_f64 v[22:23], v[22:23], -v[20:21]
	s_mov_b32 s10, 0x652b82fe
	s_mov_b32 s11, 0x3ff71547
	;; [unrolled: 1-line block ×10, first 2 shown]
	s_delay_alu instid0(VALU_DEP_1) | instskip(SKIP_2) | instid1(VALU_DEP_1)
	v_mul_f64 v[24:25], v[22:23], s[10:11]
	s_mov_b32 s10, 0xfca7ab0c
	s_mov_b32 s11, 0x3e928af3
	v_rndne_f64_e32 v[24:25], v[24:25]
	s_delay_alu instid0(VALU_DEP_1) | instskip(SKIP_2) | instid1(VALU_DEP_2)
	v_fma_f64 v[26:27], v[24:25], s[12:13], v[22:23]
	v_cvt_i32_f64_e32 v30, v[24:25]
	s_mov_b32 s13, 0x3fe62e42
	v_fma_f64 v[26:27], v[24:25], s[14:15], v[26:27]
	s_mov_b32 s15, 0x3c7abc9e
	s_delay_alu instid0(VALU_DEP_1) | instskip(SKIP_4) | instid1(VALU_DEP_1)
	v_fma_f64 v[28:29], v[26:27], s[18:19], s[10:11]
	s_mov_b32 s10, 0x623fde64
	s_mov_b32 s11, 0x3ec71dee
	;; [unrolled: 1-line block ×4, first 2 shown]
	v_fma_f64 v[28:29], v[26:27], v[28:29], s[10:11]
	s_mov_b32 s10, 0x7c89e6b0
	s_mov_b32 s11, 0x3efa0199
	s_delay_alu instid0(VALU_DEP_1) | instid1(SALU_CYCLE_1)
	v_fma_f64 v[28:29], v[26:27], v[28:29], s[10:11]
	s_mov_b32 s10, 0x14761f6e
	s_mov_b32 s11, 0x3f2a01a0
	s_delay_alu instid0(VALU_DEP_1) | instid1(SALU_CYCLE_1)
	;; [unrolled: 4-line block ×7, first 2 shown]
	v_fma_f64 v[28:29], v[26:27], v[28:29], s[10:11]
	v_cmp_nlt_f64_e64 s10, 0x40900000, v[22:23]
	v_cmp_ngt_f64_e64 s11, 0xc090cc00, v[22:23]
	s_delay_alu instid0(VALU_DEP_3) | instskip(NEXT) | instid1(VALU_DEP_1)
	v_fma_f64 v[28:29], v[26:27], v[28:29], 1.0
	v_fma_f64 v[24:25], v[26:27], v[28:29], 1.0
	s_delay_alu instid0(VALU_DEP_1) | instskip(NEXT) | instid1(VALU_DEP_1)
	v_ldexp_f64 v[24:25], v[24:25], v30
	v_cndmask_b32_e64 v25, 0x7ff00000, v25, s10
	s_and_b32 s10, s11, s10
	s_delay_alu instid0(VALU_DEP_2) | instid1(SALU_CYCLE_1)
	v_cndmask_b32_e64 v22, 0, v24, s10
	s_mov_b32 s10, 0x55555555
	s_delay_alu instid0(VALU_DEP_2) | instskip(SKIP_1) | instid1(VALU_DEP_1)
	v_cndmask_b32_e64 v23, 0, v25, s11
	s_mov_b32 s11, 0x3fe55555
	v_add_f64 v[24:25], v[22:23], 1.0
	s_delay_alu instid0(VALU_DEP_1) | instskip(SKIP_2) | instid1(VALU_DEP_3)
	v_frexp_mant_f64_e32 v[26:27], v[24:25]
	v_frexp_exp_i32_f64_e32 v30, v[24:25]
	v_add_f64 v[28:29], v[24:25], -1.0
	v_cmp_gt_f64_e64 s10, s[10:11], v[26:27]
	s_delay_alu instid0(VALU_DEP_2) | instskip(SKIP_1) | instid1(VALU_DEP_3)
	v_add_f64 v[26:27], v[28:29], -v[24:25]
	v_add_f64 v[28:29], v[22:23], -v[28:29]
	v_subrev_co_ci_u32_e64 v150, s10, 0, v30, s10
	s_delay_alu instid0(VALU_DEP_3) | instskip(SKIP_1) | instid1(VALU_DEP_2)
	v_add_f64 v[26:27], v[26:27], 1.0
	s_mov_b32 s10, 0x55555780
	v_sub_nc_u32_e32 v48, 0, v150
	s_delay_alu instid0(VALU_DEP_1) | instskip(NEXT) | instid1(VALU_DEP_3)
	v_ldexp_f64 v[24:25], v[24:25], v48
	v_add_f64 v[26:27], v[28:29], v[26:27]
	s_delay_alu instid0(VALU_DEP_2) | instskip(SKIP_1) | instid1(VALU_DEP_3)
	v_add_f64 v[30:31], v[24:25], 1.0
	v_add_f64 v[131:132], v[24:25], -1.0
	v_ldexp_f64 v[26:27], v[26:27], v48
	s_delay_alu instid0(VALU_DEP_3) | instskip(NEXT) | instid1(VALU_DEP_3)
	v_add_f64 v[28:29], v[30:31], -1.0
	v_add_f64 v[133:134], v[131:132], 1.0
	s_delay_alu instid0(VALU_DEP_2) | instskip(NEXT) | instid1(VALU_DEP_2)
	v_add_f64 v[28:29], v[24:25], -v[28:29]
	v_add_f64 v[24:25], v[24:25], -v[133:134]
	s_delay_alu instid0(VALU_DEP_2) | instskip(NEXT) | instid1(VALU_DEP_2)
	v_add_f64 v[28:29], v[26:27], v[28:29]
	v_add_f64 v[24:25], v[26:27], v[24:25]
	s_delay_alu instid0(VALU_DEP_2) | instskip(NEXT) | instid1(VALU_DEP_2)
	v_add_f64 v[48:49], v[30:31], v[28:29]
	v_add_f64 v[133:134], v[131:132], v[24:25]
	s_delay_alu instid0(VALU_DEP_2) | instskip(SKIP_1) | instid1(VALU_DEP_2)
	v_rcp_f64_e32 v[129:130], v[48:49]
	v_add_f64 v[30:31], v[48:49], -v[30:31]
	v_add_f64 v[131:132], v[133:134], -v[131:132]
	s_delay_alu instid0(VALU_DEP_2) | instskip(SKIP_3) | instid1(VALU_DEP_2)
	v_add_f64 v[28:29], v[28:29], -v[30:31]
	s_waitcnt_depctr 0xfff
	v_fma_f64 v[144:145], -v[48:49], v[129:130], 1.0
	v_add_f64 v[24:25], v[24:25], -v[131:132]
	v_fma_f64 v[129:130], v[144:145], v[129:130], v[129:130]
	s_delay_alu instid0(VALU_DEP_1) | instskip(NEXT) | instid1(VALU_DEP_1)
	v_fma_f64 v[26:27], -v[48:49], v[129:130], 1.0
	v_fma_f64 v[26:27], v[26:27], v[129:130], v[129:130]
	s_delay_alu instid0(VALU_DEP_1) | instskip(NEXT) | instid1(VALU_DEP_1)
	v_mul_f64 v[129:130], v[133:134], v[26:27]
	v_mul_f64 v[144:145], v[48:49], v[129:130]
	s_delay_alu instid0(VALU_DEP_1) | instskip(NEXT) | instid1(VALU_DEP_1)
	v_fma_f64 v[30:31], v[129:130], v[48:49], -v[144:145]
	v_fma_f64 v[30:31], v[129:130], v[28:29], v[30:31]
	s_delay_alu instid0(VALU_DEP_1) | instskip(NEXT) | instid1(VALU_DEP_1)
	v_add_f64 v[146:147], v[144:145], v[30:31]
	v_add_f64 v[148:149], v[133:134], -v[146:147]
	v_add_f64 v[131:132], v[146:147], -v[144:145]
	s_delay_alu instid0(VALU_DEP_2) | instskip(NEXT) | instid1(VALU_DEP_2)
	v_add_f64 v[133:134], v[133:134], -v[148:149]
	v_add_f64 v[30:31], v[131:132], -v[30:31]
	s_delay_alu instid0(VALU_DEP_2) | instskip(NEXT) | instid1(VALU_DEP_1)
	v_add_f64 v[133:134], v[133:134], -v[146:147]
	v_add_f64 v[24:25], v[24:25], v[133:134]
	s_delay_alu instid0(VALU_DEP_1) | instskip(NEXT) | instid1(VALU_DEP_1)
	v_add_f64 v[24:25], v[30:31], v[24:25]
	v_add_f64 v[30:31], v[148:149], v[24:25]
	s_delay_alu instid0(VALU_DEP_1) | instskip(SKIP_1) | instid1(VALU_DEP_2)
	v_mul_f64 v[131:132], v[26:27], v[30:31]
	v_add_f64 v[146:147], v[148:149], -v[30:31]
	v_mul_f64 v[133:134], v[48:49], v[131:132]
	s_delay_alu instid0(VALU_DEP_2) | instskip(NEXT) | instid1(VALU_DEP_2)
	v_add_f64 v[24:25], v[24:25], v[146:147]
	v_fma_f64 v[48:49], v[131:132], v[48:49], -v[133:134]
	s_delay_alu instid0(VALU_DEP_1) | instskip(NEXT) | instid1(VALU_DEP_1)
	v_fma_f64 v[28:29], v[131:132], v[28:29], v[48:49]
	v_add_f64 v[48:49], v[133:134], v[28:29]
	s_delay_alu instid0(VALU_DEP_1) | instskip(SKIP_1) | instid1(VALU_DEP_2)
	v_add_f64 v[144:145], v[30:31], -v[48:49]
	v_add_f64 v[133:134], v[48:49], -v[133:134]
	;; [unrolled: 1-line block ×3, first 2 shown]
	s_delay_alu instid0(VALU_DEP_2) | instskip(NEXT) | instid1(VALU_DEP_2)
	v_add_f64 v[28:29], v[133:134], -v[28:29]
	v_add_f64 v[30:31], v[30:31], -v[48:49]
	s_delay_alu instid0(VALU_DEP_1) | instskip(SKIP_1) | instid1(VALU_DEP_2)
	v_add_f64 v[24:25], v[24:25], v[30:31]
	v_add_f64 v[30:31], v[129:130], v[131:132]
	;; [unrolled: 1-line block ×3, first 2 shown]
	s_delay_alu instid0(VALU_DEP_2) | instskip(NEXT) | instid1(VALU_DEP_2)
	v_add_f64 v[28:29], v[30:31], -v[129:130]
	v_add_f64 v[24:25], v[144:145], v[24:25]
	s_delay_alu instid0(VALU_DEP_2) | instskip(NEXT) | instid1(VALU_DEP_2)
	v_add_f64 v[28:29], v[131:132], -v[28:29]
	v_mul_f64 v[24:25], v[26:27], v[24:25]
	s_delay_alu instid0(VALU_DEP_1) | instskip(NEXT) | instid1(VALU_DEP_1)
	v_add_f64 v[24:25], v[28:29], v[24:25]
	v_add_f64 v[26:27], v[30:31], v[24:25]
	s_delay_alu instid0(VALU_DEP_1) | instskip(NEXT) | instid1(VALU_DEP_1)
	v_mul_f64 v[28:29], v[26:27], v[26:27]
	v_fma_f64 v[48:49], v[28:29], s[20:21], s[18:19]
	s_mov_b32 s18, 0xd7f4df2e
	s_mov_b32 s19, 0x3fc7474d
	v_mul_f64 v[129:130], v[26:27], v[28:29]
	s_delay_alu instid0(VALU_DEP_2)
	v_fma_f64 v[48:49], v[28:29], v[48:49], s[18:19]
	s_mov_b32 s18, 0x16291751
	s_mov_b32 s19, 0x3fcc71c0
	s_delay_alu instid0(VALU_DEP_1) | instid1(SALU_CYCLE_1)
	v_fma_f64 v[48:49], v[28:29], v[48:49], s[18:19]
	s_mov_b32 s18, 0x9b27acf1
	s_mov_b32 s19, 0x3fd24924
	s_delay_alu instid0(VALU_DEP_1) | instid1(SALU_CYCLE_1)
	;; [unrolled: 4-line block ×3, first 2 shown]
	v_fma_f64 v[48:49], v[28:29], v[48:49], s[18:19]
	s_delay_alu instid0(VALU_DEP_1) | instskip(SKIP_3) | instid1(VALU_DEP_4)
	v_fma_f64 v[28:29], v[28:29], v[48:49], s[10:11]
	v_ldexp_f64 v[48:49], v[26:27], 1
	v_add_f64 v[26:27], v[26:27], -v[30:31]
	v_cmp_eq_f64_e64 s10, 0x7ff00000, v[22:23]
	v_mul_f64 v[28:29], v[129:130], v[28:29]
	v_cvt_f64_i32_e32 v[129:130], v150
	s_delay_alu instid0(VALU_DEP_4) | instskip(NEXT) | instid1(VALU_DEP_3)
	v_add_f64 v[24:25], v[24:25], -v[26:27]
	v_add_f64 v[30:31], v[48:49], v[28:29]
	s_delay_alu instid0(VALU_DEP_3) | instskip(NEXT) | instid1(VALU_DEP_3)
	v_mul_f64 v[131:132], v[129:130], s[12:13]
	v_ldexp_f64 v[24:25], v[24:25], 1
	s_delay_alu instid0(VALU_DEP_3) | instskip(NEXT) | instid1(VALU_DEP_3)
	v_add_f64 v[26:27], v[30:31], -v[48:49]
	v_fma_f64 v[48:49], v[129:130], s[12:13], -v[131:132]
	s_delay_alu instid0(VALU_DEP_2) | instskip(NEXT) | instid1(VALU_DEP_2)
	v_add_f64 v[26:27], v[28:29], -v[26:27]
	v_fma_f64 v[28:29], v[129:130], s[14:15], v[48:49]
	s_delay_alu instid0(VALU_DEP_2) | instskip(NEXT) | instid1(VALU_DEP_2)
	v_add_f64 v[24:25], v[24:25], v[26:27]
	v_add_f64 v[26:27], v[131:132], v[28:29]
	s_delay_alu instid0(VALU_DEP_2) | instskip(NEXT) | instid1(VALU_DEP_2)
	v_add_f64 v[48:49], v[30:31], v[24:25]
	v_add_f64 v[131:132], v[26:27], -v[131:132]
	s_delay_alu instid0(VALU_DEP_2) | instskip(SKIP_1) | instid1(VALU_DEP_3)
	v_add_f64 v[129:130], v[26:27], v[48:49]
	v_add_f64 v[30:31], v[48:49], -v[30:31]
	v_add_f64 v[28:29], v[28:29], -v[131:132]
	s_delay_alu instid0(VALU_DEP_3) | instskip(NEXT) | instid1(VALU_DEP_3)
	v_add_f64 v[133:134], v[129:130], -v[26:27]
	v_add_f64 v[24:25], v[24:25], -v[30:31]
	s_delay_alu instid0(VALU_DEP_2) | instskip(SKIP_1) | instid1(VALU_DEP_3)
	v_add_f64 v[144:145], v[129:130], -v[133:134]
	v_add_f64 v[30:31], v[48:49], -v[133:134]
	v_add_f64 v[48:49], v[28:29], v[24:25]
	s_delay_alu instid0(VALU_DEP_3) | instskip(NEXT) | instid1(VALU_DEP_1)
	v_add_f64 v[26:27], v[26:27], -v[144:145]
	v_add_f64 v[26:27], v[30:31], v[26:27]
	s_delay_alu instid0(VALU_DEP_3) | instskip(NEXT) | instid1(VALU_DEP_2)
	v_add_f64 v[30:31], v[48:49], -v[28:29]
	v_add_f64 v[26:27], v[48:49], v[26:27]
	s_delay_alu instid0(VALU_DEP_2) | instskip(SKIP_1) | instid1(VALU_DEP_3)
	v_add_f64 v[48:49], v[48:49], -v[30:31]
	v_add_f64 v[24:25], v[24:25], -v[30:31]
	v_add_f64 v[131:132], v[129:130], v[26:27]
	s_delay_alu instid0(VALU_DEP_3) | instskip(NEXT) | instid1(VALU_DEP_2)
	v_add_f64 v[28:29], v[28:29], -v[48:49]
	v_add_f64 v[30:31], v[131:132], -v[129:130]
	s_delay_alu instid0(VALU_DEP_2) | instskip(NEXT) | instid1(VALU_DEP_2)
	v_add_f64 v[24:25], v[24:25], v[28:29]
	v_add_f64 v[26:27], v[26:27], -v[30:31]
	s_delay_alu instid0(VALU_DEP_1) | instskip(NEXT) | instid1(VALU_DEP_1)
	v_add_f64 v[24:25], v[24:25], v[26:27]
	v_add_f64 v[24:25], v[131:132], v[24:25]
	s_delay_alu instid0(VALU_DEP_1) | instskip(NEXT) | instid1(VALU_DEP_2)
	v_cndmask_b32_e64 v24, v24, v22, s10
	v_cndmask_b32_e64 v25, v25, v23, s10
	v_cmp_ngt_f64_e64 s10, -1.0, v[22:23]
	s_delay_alu instid0(VALU_DEP_1) | instskip(SKIP_1) | instid1(VALU_DEP_1)
	v_cndmask_b32_e64 v25, 0x7ff80000, v25, s10
	v_cmp_nge_f64_e64 s10, -1.0, v[22:23]
	v_cndmask_b32_e64 v24, 0, v24, s10
	v_cmp_neq_f64_e64 s10, -1.0, v[22:23]
	s_delay_alu instid0(VALU_DEP_1) | instskip(NEXT) | instid1(VALU_DEP_1)
	v_cndmask_b32_e64 v25, 0xfff00000, v25, s10
	v_add_f64 v[48:49], v[20:21], v[24:25]
.LBB8_276:
	s_or_b32 exec_lo, exec_lo, s17
	v_max_f64 v[20:21], v[80:81], v[80:81]
	s_delay_alu instid0(VALU_DEP_2) | instskip(SKIP_2) | instid1(VALU_DEP_3)
	v_max_f64 v[22:23], v[48:49], v[48:49]
	v_cmp_u_f64_e64 s11, v[48:49], v[48:49]
	v_cmp_u_f64_e64 s10, v[80:81], v[80:81]
	v_min_f64 v[24:25], v[22:23], v[20:21]
	v_max_f64 v[22:23], v[22:23], v[20:21]
	s_delay_alu instid0(VALU_DEP_2) | instskip(NEXT) | instid1(VALU_DEP_3)
	v_cndmask_b32_e64 v24, v24, v48, s11
	v_cndmask_b32_e64 v25, v25, v49, s11
	s_delay_alu instid0(VALU_DEP_3) | instskip(NEXT) | instid1(VALU_DEP_4)
	v_cndmask_b32_e64 v23, v23, v49, s11
	v_cndmask_b32_e64 v22, v22, v48, s11
	s_delay_alu instid0(VALU_DEP_4) | instskip(NEXT) | instid1(VALU_DEP_4)
	v_cndmask_b32_e64 v24, v24, v80, s10
	v_cndmask_b32_e64 v25, v25, v81, s10
	s_delay_alu instid0(VALU_DEP_4) | instskip(NEXT) | instid1(VALU_DEP_4)
	v_cndmask_b32_e64 v23, v23, v81, s10
	v_cndmask_b32_e64 v22, v22, v80, s10
	s_delay_alu instid0(VALU_DEP_3) | instskip(NEXT) | instid1(VALU_DEP_2)
	v_cmp_class_f64_e64 s12, v[24:25], 0x1f8
	v_cmp_neq_f64_e64 s11, v[24:25], v[22:23]
	s_delay_alu instid0(VALU_DEP_1) | instskip(NEXT) | instid1(SALU_CYCLE_1)
	s_or_b32 s11, s11, s12
	s_and_saveexec_b32 s17, s11
	s_cbranch_execz .LBB8_278
; %bb.277:
	v_add_f64 v[24:25], v[24:25], -v[22:23]
	s_mov_b32 s12, 0x652b82fe
	s_mov_b32 s13, 0x3ff71547
	;; [unrolled: 1-line block ×10, first 2 shown]
	s_delay_alu instid0(VALU_DEP_1) | instskip(SKIP_3) | instid1(VALU_DEP_2)
	v_mul_f64 v[26:27], v[24:25], s[12:13]
	s_mov_b32 s12, 0xfca7ab0c
	s_mov_b32 s13, 0x3e928af3
	v_cmp_nlt_f64_e64 s11, 0x40900000, v[24:25]
	v_rndne_f64_e32 v[26:27], v[26:27]
	s_delay_alu instid0(VALU_DEP_1) | instskip(SKIP_2) | instid1(VALU_DEP_2)
	v_fma_f64 v[28:29], v[26:27], s[14:15], v[24:25]
	v_cvt_i32_f64_e32 v48, v[26:27]
	s_mov_b32 s15, 0x3fe62e42
	v_fma_f64 v[28:29], v[26:27], s[18:19], v[28:29]
	s_mov_b32 s19, 0x3c7abc9e
	s_delay_alu instid0(VALU_DEP_1) | instskip(SKIP_4) | instid1(VALU_DEP_1)
	v_fma_f64 v[30:31], v[28:29], s[20:21], s[12:13]
	s_mov_b32 s12, 0x623fde64
	s_mov_b32 s13, 0x3ec71dee
	s_mov_b32 s20, 0x6b47b09a
	s_mov_b32 s21, 0x3fc38538
	v_fma_f64 v[30:31], v[28:29], v[30:31], s[12:13]
	s_mov_b32 s12, 0x7c89e6b0
	s_mov_b32 s13, 0x3efa0199
	s_delay_alu instid0(VALU_DEP_1) | instid1(SALU_CYCLE_1)
	v_fma_f64 v[30:31], v[28:29], v[30:31], s[12:13]
	s_mov_b32 s12, 0x14761f6e
	s_mov_b32 s13, 0x3f2a01a0
	s_delay_alu instid0(VALU_DEP_1) | instid1(SALU_CYCLE_1)
	;; [unrolled: 4-line block ×7, first 2 shown]
	v_fma_f64 v[30:31], v[28:29], v[30:31], s[12:13]
	v_cmp_ngt_f64_e64 s12, 0xc090cc00, v[24:25]
	s_mov_b32 s13, 0x3fe55555
	s_delay_alu instid0(VALU_DEP_2) | instskip(NEXT) | instid1(VALU_DEP_1)
	v_fma_f64 v[30:31], v[28:29], v[30:31], 1.0
	v_fma_f64 v[26:27], v[28:29], v[30:31], 1.0
	s_delay_alu instid0(VALU_DEP_1) | instskip(NEXT) | instid1(VALU_DEP_1)
	v_ldexp_f64 v[26:27], v[26:27], v48
	v_cndmask_b32_e64 v27, 0x7ff00000, v27, s11
	s_and_b32 s11, s12, s11
	s_delay_alu instid0(VALU_DEP_2) | instid1(SALU_CYCLE_1)
	v_cndmask_b32_e64 v24, 0, v26, s11
	s_delay_alu instid0(VALU_DEP_2) | instskip(SKIP_1) | instid1(VALU_DEP_1)
	v_cndmask_b32_e64 v25, 0, v27, s12
	s_mov_b32 s12, 0x55555555
	v_add_f64 v[26:27], v[24:25], 1.0
	s_delay_alu instid0(VALU_DEP_1) | instskip(SKIP_2) | instid1(VALU_DEP_3)
	v_frexp_mant_f64_e32 v[28:29], v[26:27]
	v_frexp_exp_i32_f64_e32 v48, v[26:27]
	v_add_f64 v[30:31], v[26:27], -1.0
	v_cmp_gt_f64_e64 s11, s[12:13], v[28:29]
	s_mov_b32 s12, 0x55555780
	s_delay_alu instid0(VALU_DEP_2) | instskip(SKIP_1) | instid1(VALU_DEP_3)
	v_add_f64 v[28:29], v[30:31], -v[26:27]
	v_add_f64 v[30:31], v[24:25], -v[30:31]
	v_subrev_co_ci_u32_e64 v160, s11, 0, v48, s11
	s_delay_alu instid0(VALU_DEP_3) | instskip(SKIP_1) | instid1(VALU_DEP_3)
	v_add_f64 v[28:29], v[28:29], 1.0
	v_cmp_eq_f64_e64 s11, 0x7ff00000, v[24:25]
	v_sub_nc_u32_e32 v129, 0, v160
	s_delay_alu instid0(VALU_DEP_1) | instskip(NEXT) | instid1(VALU_DEP_4)
	v_ldexp_f64 v[26:27], v[26:27], v129
	v_add_f64 v[28:29], v[30:31], v[28:29]
	s_delay_alu instid0(VALU_DEP_2) | instskip(SKIP_1) | instid1(VALU_DEP_3)
	v_add_f64 v[48:49], v[26:27], 1.0
	v_add_f64 v[133:134], v[26:27], -1.0
	v_ldexp_f64 v[28:29], v[28:29], v129
	s_delay_alu instid0(VALU_DEP_3) | instskip(NEXT) | instid1(VALU_DEP_3)
	v_add_f64 v[30:31], v[48:49], -1.0
	v_add_f64 v[144:145], v[133:134], 1.0
	s_delay_alu instid0(VALU_DEP_2) | instskip(NEXT) | instid1(VALU_DEP_2)
	v_add_f64 v[30:31], v[26:27], -v[30:31]
	v_add_f64 v[26:27], v[26:27], -v[144:145]
	s_delay_alu instid0(VALU_DEP_2) | instskip(NEXT) | instid1(VALU_DEP_2)
	v_add_f64 v[30:31], v[28:29], v[30:31]
	v_add_f64 v[26:27], v[28:29], v[26:27]
	s_delay_alu instid0(VALU_DEP_2) | instskip(NEXT) | instid1(VALU_DEP_2)
	v_add_f64 v[129:130], v[48:49], v[30:31]
	v_add_f64 v[144:145], v[133:134], v[26:27]
	s_delay_alu instid0(VALU_DEP_2) | instskip(SKIP_1) | instid1(VALU_DEP_2)
	v_rcp_f64_e32 v[131:132], v[129:130]
	v_add_f64 v[48:49], v[129:130], -v[48:49]
	v_add_f64 v[133:134], v[144:145], -v[133:134]
	s_delay_alu instid0(VALU_DEP_2) | instskip(SKIP_3) | instid1(VALU_DEP_2)
	v_add_f64 v[30:31], v[30:31], -v[48:49]
	s_waitcnt_depctr 0xfff
	v_fma_f64 v[146:147], -v[129:130], v[131:132], 1.0
	v_add_f64 v[26:27], v[26:27], -v[133:134]
	v_fma_f64 v[131:132], v[146:147], v[131:132], v[131:132]
	s_delay_alu instid0(VALU_DEP_1) | instskip(NEXT) | instid1(VALU_DEP_1)
	v_fma_f64 v[28:29], -v[129:130], v[131:132], 1.0
	v_fma_f64 v[28:29], v[28:29], v[131:132], v[131:132]
	s_delay_alu instid0(VALU_DEP_1) | instskip(NEXT) | instid1(VALU_DEP_1)
	v_mul_f64 v[131:132], v[144:145], v[28:29]
	v_mul_f64 v[146:147], v[129:130], v[131:132]
	s_delay_alu instid0(VALU_DEP_1) | instskip(NEXT) | instid1(VALU_DEP_1)
	v_fma_f64 v[48:49], v[131:132], v[129:130], -v[146:147]
	v_fma_f64 v[48:49], v[131:132], v[30:31], v[48:49]
	s_delay_alu instid0(VALU_DEP_1) | instskip(NEXT) | instid1(VALU_DEP_1)
	v_add_f64 v[148:149], v[146:147], v[48:49]
	v_add_f64 v[150:151], v[144:145], -v[148:149]
	v_add_f64 v[133:134], v[148:149], -v[146:147]
	s_delay_alu instid0(VALU_DEP_2) | instskip(NEXT) | instid1(VALU_DEP_2)
	v_add_f64 v[144:145], v[144:145], -v[150:151]
	v_add_f64 v[48:49], v[133:134], -v[48:49]
	s_delay_alu instid0(VALU_DEP_2) | instskip(NEXT) | instid1(VALU_DEP_1)
	v_add_f64 v[144:145], v[144:145], -v[148:149]
	v_add_f64 v[26:27], v[26:27], v[144:145]
	s_delay_alu instid0(VALU_DEP_1) | instskip(NEXT) | instid1(VALU_DEP_1)
	v_add_f64 v[26:27], v[48:49], v[26:27]
	v_add_f64 v[48:49], v[150:151], v[26:27]
	s_delay_alu instid0(VALU_DEP_1) | instskip(SKIP_1) | instid1(VALU_DEP_2)
	v_mul_f64 v[133:134], v[28:29], v[48:49]
	v_add_f64 v[148:149], v[150:151], -v[48:49]
	v_mul_f64 v[144:145], v[129:130], v[133:134]
	s_delay_alu instid0(VALU_DEP_2) | instskip(NEXT) | instid1(VALU_DEP_2)
	v_add_f64 v[26:27], v[26:27], v[148:149]
	v_fma_f64 v[129:130], v[133:134], v[129:130], -v[144:145]
	s_delay_alu instid0(VALU_DEP_1) | instskip(NEXT) | instid1(VALU_DEP_1)
	v_fma_f64 v[30:31], v[133:134], v[30:31], v[129:130]
	v_add_f64 v[129:130], v[144:145], v[30:31]
	s_delay_alu instid0(VALU_DEP_1) | instskip(SKIP_1) | instid1(VALU_DEP_2)
	v_add_f64 v[146:147], v[48:49], -v[129:130]
	v_add_f64 v[144:145], v[129:130], -v[144:145]
	;; [unrolled: 1-line block ×3, first 2 shown]
	s_delay_alu instid0(VALU_DEP_2) | instskip(NEXT) | instid1(VALU_DEP_2)
	v_add_f64 v[30:31], v[144:145], -v[30:31]
	v_add_f64 v[48:49], v[48:49], -v[129:130]
	s_delay_alu instid0(VALU_DEP_1) | instskip(SKIP_1) | instid1(VALU_DEP_2)
	v_add_f64 v[26:27], v[26:27], v[48:49]
	v_add_f64 v[48:49], v[131:132], v[133:134]
	v_add_f64 v[26:27], v[30:31], v[26:27]
	s_delay_alu instid0(VALU_DEP_2) | instskip(NEXT) | instid1(VALU_DEP_2)
	v_add_f64 v[30:31], v[48:49], -v[131:132]
	v_add_f64 v[26:27], v[146:147], v[26:27]
	s_delay_alu instid0(VALU_DEP_2) | instskip(NEXT) | instid1(VALU_DEP_2)
	v_add_f64 v[30:31], v[133:134], -v[30:31]
	v_mul_f64 v[26:27], v[28:29], v[26:27]
	s_delay_alu instid0(VALU_DEP_1) | instskip(NEXT) | instid1(VALU_DEP_1)
	v_add_f64 v[26:27], v[30:31], v[26:27]
	v_add_f64 v[28:29], v[48:49], v[26:27]
	s_delay_alu instid0(VALU_DEP_1) | instskip(NEXT) | instid1(VALU_DEP_1)
	v_mul_f64 v[30:31], v[28:29], v[28:29]
	v_fma_f64 v[129:130], v[30:31], s[24:25], s[20:21]
	s_mov_b32 s20, 0xd7f4df2e
	s_mov_b32 s21, 0x3fc7474d
	v_mul_f64 v[131:132], v[28:29], v[30:31]
	s_delay_alu instid0(VALU_DEP_2)
	v_fma_f64 v[129:130], v[30:31], v[129:130], s[20:21]
	s_mov_b32 s20, 0x16291751
	s_mov_b32 s21, 0x3fcc71c0
	s_delay_alu instid0(VALU_DEP_1) | instid1(SALU_CYCLE_1)
	v_fma_f64 v[129:130], v[30:31], v[129:130], s[20:21]
	s_mov_b32 s20, 0x9b27acf1
	s_mov_b32 s21, 0x3fd24924
	s_delay_alu instid0(VALU_DEP_1) | instid1(SALU_CYCLE_1)
	;; [unrolled: 4-line block ×3, first 2 shown]
	v_fma_f64 v[129:130], v[30:31], v[129:130], s[20:21]
	s_delay_alu instid0(VALU_DEP_1) | instskip(SKIP_2) | instid1(VALU_DEP_3)
	v_fma_f64 v[30:31], v[30:31], v[129:130], s[12:13]
	v_ldexp_f64 v[129:130], v[28:29], 1
	v_add_f64 v[28:29], v[28:29], -v[48:49]
	v_mul_f64 v[30:31], v[131:132], v[30:31]
	v_cvt_f64_i32_e32 v[131:132], v160
	s_delay_alu instid0(VALU_DEP_3) | instskip(NEXT) | instid1(VALU_DEP_3)
	v_add_f64 v[26:27], v[26:27], -v[28:29]
	v_add_f64 v[48:49], v[129:130], v[30:31]
	s_delay_alu instid0(VALU_DEP_3) | instskip(NEXT) | instid1(VALU_DEP_3)
	v_mul_f64 v[133:134], v[131:132], s[14:15]
	v_ldexp_f64 v[26:27], v[26:27], 1
	s_delay_alu instid0(VALU_DEP_3) | instskip(NEXT) | instid1(VALU_DEP_3)
	v_add_f64 v[28:29], v[48:49], -v[129:130]
	v_fma_f64 v[129:130], v[131:132], s[14:15], -v[133:134]
	s_delay_alu instid0(VALU_DEP_2) | instskip(NEXT) | instid1(VALU_DEP_2)
	v_add_f64 v[28:29], v[30:31], -v[28:29]
	v_fma_f64 v[30:31], v[131:132], s[18:19], v[129:130]
	s_delay_alu instid0(VALU_DEP_2) | instskip(NEXT) | instid1(VALU_DEP_2)
	v_add_f64 v[26:27], v[26:27], v[28:29]
	v_add_f64 v[28:29], v[133:134], v[30:31]
	s_delay_alu instid0(VALU_DEP_2) | instskip(NEXT) | instid1(VALU_DEP_2)
	v_add_f64 v[129:130], v[48:49], v[26:27]
	v_add_f64 v[133:134], v[28:29], -v[133:134]
	s_delay_alu instid0(VALU_DEP_2) | instskip(SKIP_1) | instid1(VALU_DEP_3)
	v_add_f64 v[131:132], v[28:29], v[129:130]
	v_add_f64 v[48:49], v[129:130], -v[48:49]
	v_add_f64 v[30:31], v[30:31], -v[133:134]
	s_delay_alu instid0(VALU_DEP_3) | instskip(NEXT) | instid1(VALU_DEP_3)
	v_add_f64 v[144:145], v[131:132], -v[28:29]
	v_add_f64 v[26:27], v[26:27], -v[48:49]
	s_delay_alu instid0(VALU_DEP_2) | instskip(SKIP_1) | instid1(VALU_DEP_3)
	v_add_f64 v[146:147], v[131:132], -v[144:145]
	v_add_f64 v[48:49], v[129:130], -v[144:145]
	v_add_f64 v[129:130], v[30:31], v[26:27]
	s_delay_alu instid0(VALU_DEP_3) | instskip(NEXT) | instid1(VALU_DEP_1)
	v_add_f64 v[28:29], v[28:29], -v[146:147]
	v_add_f64 v[28:29], v[48:49], v[28:29]
	s_delay_alu instid0(VALU_DEP_3) | instskip(NEXT) | instid1(VALU_DEP_2)
	v_add_f64 v[48:49], v[129:130], -v[30:31]
	v_add_f64 v[28:29], v[129:130], v[28:29]
	s_delay_alu instid0(VALU_DEP_2) | instskip(SKIP_1) | instid1(VALU_DEP_3)
	v_add_f64 v[129:130], v[129:130], -v[48:49]
	v_add_f64 v[26:27], v[26:27], -v[48:49]
	v_add_f64 v[133:134], v[131:132], v[28:29]
	s_delay_alu instid0(VALU_DEP_3) | instskip(NEXT) | instid1(VALU_DEP_2)
	v_add_f64 v[30:31], v[30:31], -v[129:130]
	v_add_f64 v[48:49], v[133:134], -v[131:132]
	s_delay_alu instid0(VALU_DEP_2) | instskip(NEXT) | instid1(VALU_DEP_2)
	v_add_f64 v[26:27], v[26:27], v[30:31]
	v_add_f64 v[28:29], v[28:29], -v[48:49]
	s_delay_alu instid0(VALU_DEP_1) | instskip(NEXT) | instid1(VALU_DEP_1)
	v_add_f64 v[26:27], v[26:27], v[28:29]
	v_add_f64 v[26:27], v[133:134], v[26:27]
	s_delay_alu instid0(VALU_DEP_1) | instskip(NEXT) | instid1(VALU_DEP_2)
	v_cndmask_b32_e64 v26, v26, v24, s11
	v_cndmask_b32_e64 v27, v27, v25, s11
	v_cmp_ngt_f64_e64 s11, -1.0, v[24:25]
	s_delay_alu instid0(VALU_DEP_1) | instskip(SKIP_1) | instid1(VALU_DEP_1)
	v_cndmask_b32_e64 v27, 0x7ff80000, v27, s11
	v_cmp_nge_f64_e64 s11, -1.0, v[24:25]
	v_cndmask_b32_e64 v26, 0, v26, s11
	v_cmp_neq_f64_e64 s11, -1.0, v[24:25]
	s_delay_alu instid0(VALU_DEP_1) | instskip(NEXT) | instid1(VALU_DEP_1)
	v_cndmask_b32_e64 v27, 0xfff00000, v27, s11
	v_add_f64 v[48:49], v[22:23], v[26:27]
.LBB8_278:
	s_or_b32 exec_lo, exec_lo, s17
	v_max_f64 v[22:23], v[82:83], v[82:83]
	s_delay_alu instid0(VALU_DEP_2) | instskip(SKIP_2) | instid1(VALU_DEP_3)
	v_max_f64 v[24:25], v[48:49], v[48:49]
	v_cmp_u_f64_e64 s12, v[48:49], v[48:49]
	v_cmp_u_f64_e64 s11, v[82:83], v[82:83]
	v_min_f64 v[26:27], v[24:25], v[22:23]
	v_max_f64 v[24:25], v[24:25], v[22:23]
	s_delay_alu instid0(VALU_DEP_2) | instskip(NEXT) | instid1(VALU_DEP_3)
	v_cndmask_b32_e64 v26, v26, v48, s12
	v_cndmask_b32_e64 v27, v27, v49, s12
	s_delay_alu instid0(VALU_DEP_3) | instskip(NEXT) | instid1(VALU_DEP_4)
	v_cndmask_b32_e64 v25, v25, v49, s12
	v_cndmask_b32_e64 v24, v24, v48, s12
	s_delay_alu instid0(VALU_DEP_4) | instskip(NEXT) | instid1(VALU_DEP_4)
	v_cndmask_b32_e64 v26, v26, v82, s11
	v_cndmask_b32_e64 v27, v27, v83, s11
	s_delay_alu instid0(VALU_DEP_4) | instskip(NEXT) | instid1(VALU_DEP_4)
	v_cndmask_b32_e64 v25, v25, v83, s11
	v_cndmask_b32_e64 v24, v24, v82, s11
	s_delay_alu instid0(VALU_DEP_3) | instskip(NEXT) | instid1(VALU_DEP_2)
	v_cmp_class_f64_e64 s13, v[26:27], 0x1f8
	v_cmp_neq_f64_e64 s12, v[26:27], v[24:25]
	s_delay_alu instid0(VALU_DEP_1) | instskip(NEXT) | instid1(SALU_CYCLE_1)
	s_or_b32 s12, s12, s13
	s_and_saveexec_b32 s17, s12
	s_cbranch_execz .LBB8_280
; %bb.279:
	v_add_f64 v[26:27], v[26:27], -v[24:25]
	s_mov_b32 s12, 0x652b82fe
	s_mov_b32 s13, 0x3ff71547
	;; [unrolled: 1-line block ×10, first 2 shown]
	s_delay_alu instid0(VALU_DEP_1) | instskip(SKIP_2) | instid1(VALU_DEP_1)
	v_mul_f64 v[28:29], v[26:27], s[12:13]
	s_mov_b32 s12, 0xfca7ab0c
	s_mov_b32 s13, 0x3e928af3
	v_rndne_f64_e32 v[28:29], v[28:29]
	s_delay_alu instid0(VALU_DEP_1) | instskip(SKIP_2) | instid1(VALU_DEP_2)
	v_fma_f64 v[30:31], v[28:29], s[14:15], v[26:27]
	v_cvt_i32_f64_e32 v129, v[28:29]
	s_mov_b32 s15, 0x3fe62e42
	v_fma_f64 v[30:31], v[28:29], s[18:19], v[30:31]
	s_mov_b32 s19, 0x3c7abc9e
	s_delay_alu instid0(VALU_DEP_1) | instskip(SKIP_4) | instid1(VALU_DEP_1)
	v_fma_f64 v[48:49], v[30:31], s[20:21], s[12:13]
	s_mov_b32 s12, 0x623fde64
	s_mov_b32 s13, 0x3ec71dee
	s_mov_b32 s20, 0x6b47b09a
	s_mov_b32 s21, 0x3fc38538
	v_fma_f64 v[48:49], v[30:31], v[48:49], s[12:13]
	s_mov_b32 s12, 0x7c89e6b0
	s_mov_b32 s13, 0x3efa0199
	s_delay_alu instid0(VALU_DEP_1) | instid1(SALU_CYCLE_1)
	v_fma_f64 v[48:49], v[30:31], v[48:49], s[12:13]
	s_mov_b32 s12, 0x14761f6e
	s_mov_b32 s13, 0x3f2a01a0
	s_delay_alu instid0(VALU_DEP_1) | instid1(SALU_CYCLE_1)
	;; [unrolled: 4-line block ×7, first 2 shown]
	v_fma_f64 v[48:49], v[30:31], v[48:49], s[12:13]
	v_cmp_nlt_f64_e64 s12, 0x40900000, v[26:27]
	v_cmp_ngt_f64_e64 s13, 0xc090cc00, v[26:27]
	s_delay_alu instid0(VALU_DEP_3) | instskip(NEXT) | instid1(VALU_DEP_1)
	v_fma_f64 v[48:49], v[30:31], v[48:49], 1.0
	v_fma_f64 v[28:29], v[30:31], v[48:49], 1.0
	s_delay_alu instid0(VALU_DEP_1) | instskip(NEXT) | instid1(VALU_DEP_1)
	v_ldexp_f64 v[28:29], v[28:29], v129
	v_cndmask_b32_e64 v29, 0x7ff00000, v29, s12
	s_and_b32 s12, s13, s12
	s_delay_alu instid0(VALU_DEP_2) | instid1(SALU_CYCLE_1)
	v_cndmask_b32_e64 v26, 0, v28, s12
	s_mov_b32 s12, 0x55555555
	s_delay_alu instid0(VALU_DEP_2) | instskip(SKIP_1) | instid1(VALU_DEP_1)
	v_cndmask_b32_e64 v27, 0, v29, s13
	s_mov_b32 s13, 0x3fe55555
	v_add_f64 v[28:29], v[26:27], 1.0
	s_delay_alu instid0(VALU_DEP_1) | instskip(SKIP_2) | instid1(VALU_DEP_3)
	v_frexp_mant_f64_e32 v[30:31], v[28:29]
	v_frexp_exp_i32_f64_e32 v129, v[28:29]
	v_add_f64 v[48:49], v[28:29], -1.0
	v_cmp_gt_f64_e64 s12, s[12:13], v[30:31]
	s_delay_alu instid0(VALU_DEP_2) | instskip(SKIP_1) | instid1(VALU_DEP_3)
	v_add_f64 v[30:31], v[48:49], -v[28:29]
	v_add_f64 v[48:49], v[26:27], -v[48:49]
	v_subrev_co_ci_u32_e64 v162, s12, 0, v129, s12
	s_delay_alu instid0(VALU_DEP_3) | instskip(SKIP_1) | instid1(VALU_DEP_2)
	v_add_f64 v[30:31], v[30:31], 1.0
	s_mov_b32 s12, 0x55555780
	v_sub_nc_u32_e32 v131, 0, v162
	s_delay_alu instid0(VALU_DEP_1) | instskip(NEXT) | instid1(VALU_DEP_3)
	v_ldexp_f64 v[28:29], v[28:29], v131
	v_add_f64 v[30:31], v[48:49], v[30:31]
	s_delay_alu instid0(VALU_DEP_2) | instskip(SKIP_1) | instid1(VALU_DEP_3)
	v_add_f64 v[129:130], v[28:29], 1.0
	v_add_f64 v[144:145], v[28:29], -1.0
	v_ldexp_f64 v[30:31], v[30:31], v131
	s_delay_alu instid0(VALU_DEP_3) | instskip(NEXT) | instid1(VALU_DEP_3)
	v_add_f64 v[48:49], v[129:130], -1.0
	v_add_f64 v[146:147], v[144:145], 1.0
	s_delay_alu instid0(VALU_DEP_2) | instskip(NEXT) | instid1(VALU_DEP_2)
	v_add_f64 v[48:49], v[28:29], -v[48:49]
	v_add_f64 v[28:29], v[28:29], -v[146:147]
	s_delay_alu instid0(VALU_DEP_2) | instskip(NEXT) | instid1(VALU_DEP_2)
	v_add_f64 v[48:49], v[30:31], v[48:49]
	v_add_f64 v[28:29], v[30:31], v[28:29]
	s_delay_alu instid0(VALU_DEP_2) | instskip(NEXT) | instid1(VALU_DEP_2)
	v_add_f64 v[131:132], v[129:130], v[48:49]
	v_add_f64 v[146:147], v[144:145], v[28:29]
	s_delay_alu instid0(VALU_DEP_2) | instskip(SKIP_1) | instid1(VALU_DEP_2)
	v_rcp_f64_e32 v[133:134], v[131:132]
	v_add_f64 v[129:130], v[131:132], -v[129:130]
	v_add_f64 v[144:145], v[146:147], -v[144:145]
	s_delay_alu instid0(VALU_DEP_2) | instskip(SKIP_3) | instid1(VALU_DEP_2)
	v_add_f64 v[48:49], v[48:49], -v[129:130]
	s_waitcnt_depctr 0xfff
	v_fma_f64 v[148:149], -v[131:132], v[133:134], 1.0
	v_add_f64 v[28:29], v[28:29], -v[144:145]
	v_fma_f64 v[133:134], v[148:149], v[133:134], v[133:134]
	s_delay_alu instid0(VALU_DEP_1) | instskip(NEXT) | instid1(VALU_DEP_1)
	v_fma_f64 v[30:31], -v[131:132], v[133:134], 1.0
	v_fma_f64 v[30:31], v[30:31], v[133:134], v[133:134]
	s_delay_alu instid0(VALU_DEP_1) | instskip(NEXT) | instid1(VALU_DEP_1)
	v_mul_f64 v[133:134], v[146:147], v[30:31]
	v_mul_f64 v[148:149], v[131:132], v[133:134]
	s_delay_alu instid0(VALU_DEP_1) | instskip(NEXT) | instid1(VALU_DEP_1)
	v_fma_f64 v[129:130], v[133:134], v[131:132], -v[148:149]
	v_fma_f64 v[129:130], v[133:134], v[48:49], v[129:130]
	s_delay_alu instid0(VALU_DEP_1) | instskip(NEXT) | instid1(VALU_DEP_1)
	v_add_f64 v[150:151], v[148:149], v[129:130]
	v_add_f64 v[160:161], v[146:147], -v[150:151]
	v_add_f64 v[144:145], v[150:151], -v[148:149]
	s_delay_alu instid0(VALU_DEP_2) | instskip(NEXT) | instid1(VALU_DEP_2)
	v_add_f64 v[146:147], v[146:147], -v[160:161]
	v_add_f64 v[129:130], v[144:145], -v[129:130]
	s_delay_alu instid0(VALU_DEP_2) | instskip(NEXT) | instid1(VALU_DEP_1)
	v_add_f64 v[146:147], v[146:147], -v[150:151]
	v_add_f64 v[28:29], v[28:29], v[146:147]
	s_delay_alu instid0(VALU_DEP_1) | instskip(NEXT) | instid1(VALU_DEP_1)
	v_add_f64 v[28:29], v[129:130], v[28:29]
	v_add_f64 v[129:130], v[160:161], v[28:29]
	s_delay_alu instid0(VALU_DEP_1) | instskip(SKIP_1) | instid1(VALU_DEP_2)
	v_mul_f64 v[144:145], v[30:31], v[129:130]
	v_add_f64 v[150:151], v[160:161], -v[129:130]
	v_mul_f64 v[146:147], v[131:132], v[144:145]
	s_delay_alu instid0(VALU_DEP_2) | instskip(NEXT) | instid1(VALU_DEP_2)
	v_add_f64 v[28:29], v[28:29], v[150:151]
	v_fma_f64 v[131:132], v[144:145], v[131:132], -v[146:147]
	s_delay_alu instid0(VALU_DEP_1) | instskip(NEXT) | instid1(VALU_DEP_1)
	v_fma_f64 v[48:49], v[144:145], v[48:49], v[131:132]
	v_add_f64 v[131:132], v[146:147], v[48:49]
	s_delay_alu instid0(VALU_DEP_1) | instskip(SKIP_1) | instid1(VALU_DEP_2)
	v_add_f64 v[148:149], v[129:130], -v[131:132]
	v_add_f64 v[146:147], v[131:132], -v[146:147]
	;; [unrolled: 1-line block ×3, first 2 shown]
	s_delay_alu instid0(VALU_DEP_2) | instskip(NEXT) | instid1(VALU_DEP_2)
	v_add_f64 v[48:49], v[146:147], -v[48:49]
	v_add_f64 v[129:130], v[129:130], -v[131:132]
	s_delay_alu instid0(VALU_DEP_1) | instskip(SKIP_1) | instid1(VALU_DEP_2)
	v_add_f64 v[28:29], v[28:29], v[129:130]
	v_add_f64 v[129:130], v[133:134], v[144:145]
	;; [unrolled: 1-line block ×3, first 2 shown]
	s_delay_alu instid0(VALU_DEP_2) | instskip(NEXT) | instid1(VALU_DEP_2)
	v_add_f64 v[48:49], v[129:130], -v[133:134]
	v_add_f64 v[28:29], v[148:149], v[28:29]
	s_delay_alu instid0(VALU_DEP_2) | instskip(NEXT) | instid1(VALU_DEP_2)
	v_add_f64 v[48:49], v[144:145], -v[48:49]
	v_mul_f64 v[28:29], v[30:31], v[28:29]
	s_delay_alu instid0(VALU_DEP_1) | instskip(NEXT) | instid1(VALU_DEP_1)
	v_add_f64 v[28:29], v[48:49], v[28:29]
	v_add_f64 v[30:31], v[129:130], v[28:29]
	s_delay_alu instid0(VALU_DEP_1) | instskip(NEXT) | instid1(VALU_DEP_1)
	v_mul_f64 v[48:49], v[30:31], v[30:31]
	v_fma_f64 v[131:132], v[48:49], s[24:25], s[20:21]
	s_mov_b32 s20, 0xd7f4df2e
	s_mov_b32 s21, 0x3fc7474d
	v_mul_f64 v[133:134], v[30:31], v[48:49]
	s_delay_alu instid0(VALU_DEP_2)
	v_fma_f64 v[131:132], v[48:49], v[131:132], s[20:21]
	s_mov_b32 s20, 0x16291751
	s_mov_b32 s21, 0x3fcc71c0
	s_delay_alu instid0(VALU_DEP_1) | instid1(SALU_CYCLE_1)
	v_fma_f64 v[131:132], v[48:49], v[131:132], s[20:21]
	s_mov_b32 s20, 0x9b27acf1
	s_mov_b32 s21, 0x3fd24924
	s_delay_alu instid0(VALU_DEP_1) | instid1(SALU_CYCLE_1)
	;; [unrolled: 4-line block ×3, first 2 shown]
	v_fma_f64 v[131:132], v[48:49], v[131:132], s[20:21]
	s_delay_alu instid0(VALU_DEP_1) | instskip(SKIP_3) | instid1(VALU_DEP_4)
	v_fma_f64 v[48:49], v[48:49], v[131:132], s[12:13]
	v_ldexp_f64 v[131:132], v[30:31], 1
	v_add_f64 v[30:31], v[30:31], -v[129:130]
	v_cmp_eq_f64_e64 s12, 0x7ff00000, v[26:27]
	v_mul_f64 v[48:49], v[133:134], v[48:49]
	v_cvt_f64_i32_e32 v[133:134], v162
	s_delay_alu instid0(VALU_DEP_4) | instskip(NEXT) | instid1(VALU_DEP_3)
	v_add_f64 v[28:29], v[28:29], -v[30:31]
	v_add_f64 v[129:130], v[131:132], v[48:49]
	s_delay_alu instid0(VALU_DEP_3) | instskip(NEXT) | instid1(VALU_DEP_3)
	v_mul_f64 v[144:145], v[133:134], s[14:15]
	v_ldexp_f64 v[28:29], v[28:29], 1
	s_delay_alu instid0(VALU_DEP_3) | instskip(NEXT) | instid1(VALU_DEP_3)
	v_add_f64 v[30:31], v[129:130], -v[131:132]
	v_fma_f64 v[131:132], v[133:134], s[14:15], -v[144:145]
	s_delay_alu instid0(VALU_DEP_2) | instskip(NEXT) | instid1(VALU_DEP_2)
	v_add_f64 v[30:31], v[48:49], -v[30:31]
	v_fma_f64 v[48:49], v[133:134], s[18:19], v[131:132]
	s_delay_alu instid0(VALU_DEP_2) | instskip(NEXT) | instid1(VALU_DEP_2)
	v_add_f64 v[28:29], v[28:29], v[30:31]
	v_add_f64 v[30:31], v[144:145], v[48:49]
	s_delay_alu instid0(VALU_DEP_2) | instskip(NEXT) | instid1(VALU_DEP_2)
	v_add_f64 v[131:132], v[129:130], v[28:29]
	v_add_f64 v[144:145], v[30:31], -v[144:145]
	s_delay_alu instid0(VALU_DEP_2) | instskip(SKIP_1) | instid1(VALU_DEP_3)
	v_add_f64 v[133:134], v[30:31], v[131:132]
	v_add_f64 v[129:130], v[131:132], -v[129:130]
	v_add_f64 v[48:49], v[48:49], -v[144:145]
	s_delay_alu instid0(VALU_DEP_3) | instskip(NEXT) | instid1(VALU_DEP_3)
	v_add_f64 v[146:147], v[133:134], -v[30:31]
	v_add_f64 v[28:29], v[28:29], -v[129:130]
	s_delay_alu instid0(VALU_DEP_2) | instskip(SKIP_1) | instid1(VALU_DEP_3)
	v_add_f64 v[148:149], v[133:134], -v[146:147]
	v_add_f64 v[129:130], v[131:132], -v[146:147]
	v_add_f64 v[131:132], v[48:49], v[28:29]
	s_delay_alu instid0(VALU_DEP_3) | instskip(NEXT) | instid1(VALU_DEP_1)
	v_add_f64 v[30:31], v[30:31], -v[148:149]
	v_add_f64 v[30:31], v[129:130], v[30:31]
	s_delay_alu instid0(VALU_DEP_3) | instskip(NEXT) | instid1(VALU_DEP_2)
	v_add_f64 v[129:130], v[131:132], -v[48:49]
	v_add_f64 v[30:31], v[131:132], v[30:31]
	s_delay_alu instid0(VALU_DEP_2) | instskip(SKIP_1) | instid1(VALU_DEP_3)
	v_add_f64 v[131:132], v[131:132], -v[129:130]
	v_add_f64 v[28:29], v[28:29], -v[129:130]
	v_add_f64 v[144:145], v[133:134], v[30:31]
	s_delay_alu instid0(VALU_DEP_3) | instskip(NEXT) | instid1(VALU_DEP_2)
	v_add_f64 v[48:49], v[48:49], -v[131:132]
	v_add_f64 v[129:130], v[144:145], -v[133:134]
	s_delay_alu instid0(VALU_DEP_2) | instskip(NEXT) | instid1(VALU_DEP_2)
	v_add_f64 v[28:29], v[28:29], v[48:49]
	v_add_f64 v[30:31], v[30:31], -v[129:130]
	s_delay_alu instid0(VALU_DEP_1) | instskip(NEXT) | instid1(VALU_DEP_1)
	v_add_f64 v[28:29], v[28:29], v[30:31]
	v_add_f64 v[28:29], v[144:145], v[28:29]
	s_delay_alu instid0(VALU_DEP_1) | instskip(NEXT) | instid1(VALU_DEP_2)
	v_cndmask_b32_e64 v28, v28, v26, s12
	v_cndmask_b32_e64 v29, v29, v27, s12
	v_cmp_ngt_f64_e64 s12, -1.0, v[26:27]
	s_delay_alu instid0(VALU_DEP_1) | instskip(SKIP_1) | instid1(VALU_DEP_1)
	v_cndmask_b32_e64 v29, 0x7ff80000, v29, s12
	v_cmp_nge_f64_e64 s12, -1.0, v[26:27]
	v_cndmask_b32_e64 v28, 0, v28, s12
	v_cmp_neq_f64_e64 s12, -1.0, v[26:27]
	s_delay_alu instid0(VALU_DEP_1) | instskip(NEXT) | instid1(VALU_DEP_1)
	v_cndmask_b32_e64 v29, 0xfff00000, v29, s12
	v_add_f64 v[48:49], v[24:25], v[28:29]
.LBB8_280:
	s_or_b32 exec_lo, exec_lo, s17
	v_max_f64 v[24:25], v[68:69], v[68:69]
	s_delay_alu instid0(VALU_DEP_2) | instskip(SKIP_2) | instid1(VALU_DEP_3)
	v_max_f64 v[26:27], v[48:49], v[48:49]
	v_cmp_u_f64_e64 s13, v[48:49], v[48:49]
	v_cmp_u_f64_e64 s12, v[68:69], v[68:69]
	v_min_f64 v[28:29], v[26:27], v[24:25]
	v_max_f64 v[26:27], v[26:27], v[24:25]
	s_delay_alu instid0(VALU_DEP_2) | instskip(NEXT) | instid1(VALU_DEP_3)
	v_cndmask_b32_e64 v28, v28, v48, s13
	v_cndmask_b32_e64 v29, v29, v49, s13
	s_delay_alu instid0(VALU_DEP_3) | instskip(NEXT) | instid1(VALU_DEP_4)
	v_cndmask_b32_e64 v27, v27, v49, s13
	v_cndmask_b32_e64 v26, v26, v48, s13
	s_delay_alu instid0(VALU_DEP_4) | instskip(NEXT) | instid1(VALU_DEP_4)
	v_cndmask_b32_e64 v28, v28, v68, s12
	v_cndmask_b32_e64 v29, v29, v69, s12
	s_delay_alu instid0(VALU_DEP_4) | instskip(NEXT) | instid1(VALU_DEP_4)
	v_cndmask_b32_e64 v27, v27, v69, s12
	v_cndmask_b32_e64 v26, v26, v68, s12
	s_delay_alu instid0(VALU_DEP_3) | instskip(NEXT) | instid1(VALU_DEP_2)
	v_cmp_class_f64_e64 s14, v[28:29], 0x1f8
	v_cmp_neq_f64_e64 s13, v[28:29], v[26:27]
	s_delay_alu instid0(VALU_DEP_1) | instskip(NEXT) | instid1(SALU_CYCLE_1)
	s_or_b32 s13, s13, s14
	s_and_saveexec_b32 s17, s13
	s_cbranch_execz .LBB8_282
; %bb.281:
	v_add_f64 v[28:29], v[28:29], -v[26:27]
	s_mov_b32 s14, 0x652b82fe
	s_mov_b32 s15, 0x3ff71547
	;; [unrolled: 1-line block ×10, first 2 shown]
	s_delay_alu instid0(VALU_DEP_1) | instskip(SKIP_3) | instid1(VALU_DEP_2)
	v_mul_f64 v[30:31], v[28:29], s[14:15]
	s_mov_b32 s14, 0xfca7ab0c
	s_mov_b32 s15, 0x3e928af3
	v_cmp_nlt_f64_e64 s13, 0x40900000, v[28:29]
	v_rndne_f64_e32 v[30:31], v[30:31]
	s_delay_alu instid0(VALU_DEP_1) | instskip(SKIP_1) | instid1(VALU_DEP_1)
	v_fma_f64 v[48:49], v[30:31], s[18:19], v[28:29]
	s_mov_b32 s19, 0x3fe62e42
	v_fma_f64 v[48:49], v[30:31], s[20:21], v[48:49]
	v_cvt_i32_f64_e32 v30, v[30:31]
	s_mov_b32 s21, 0x3c7abc9e
	s_delay_alu instid0(VALU_DEP_2) | instskip(SKIP_4) | instid1(VALU_DEP_1)
	v_fma_f64 v[129:130], v[48:49], s[24:25], s[14:15]
	s_mov_b32 s14, 0x623fde64
	s_mov_b32 s15, 0x3ec71dee
	;; [unrolled: 1-line block ×4, first 2 shown]
	v_fma_f64 v[129:130], v[48:49], v[129:130], s[14:15]
	s_mov_b32 s14, 0x7c89e6b0
	s_mov_b32 s15, 0x3efa0199
	s_delay_alu instid0(VALU_DEP_1) | instid1(SALU_CYCLE_1)
	v_fma_f64 v[129:130], v[48:49], v[129:130], s[14:15]
	s_mov_b32 s14, 0x14761f6e
	s_mov_b32 s15, 0x3f2a01a0
	s_delay_alu instid0(VALU_DEP_1) | instid1(SALU_CYCLE_1)
	v_fma_f64 v[129:130], v[48:49], v[129:130], s[14:15]
	s_mov_b32 s14, 0x1852b7b0
	s_mov_b32 s15, 0x3f56c16c
	s_delay_alu instid0(VALU_DEP_1) | instid1(SALU_CYCLE_1)
	v_fma_f64 v[129:130], v[48:49], v[129:130], s[14:15]
	s_mov_b32 s14, 0x11122322
	s_mov_b32 s15, 0x3f811111
	s_delay_alu instid0(VALU_DEP_1) | instid1(SALU_CYCLE_1)
	v_fma_f64 v[129:130], v[48:49], v[129:130], s[14:15]
	s_mov_b32 s14, 0x555502a1
	s_mov_b32 s15, 0x3fa55555
	s_delay_alu instid0(VALU_DEP_1) | instid1(SALU_CYCLE_1)
	v_fma_f64 v[129:130], v[48:49], v[129:130], s[14:15]
	s_mov_b32 s14, 0x55555511
	s_mov_b32 s15, 0x3fc55555
	s_delay_alu instid0(VALU_DEP_1) | instid1(SALU_CYCLE_1)
	v_fma_f64 v[129:130], v[48:49], v[129:130], s[14:15]
	s_mov_b32 s14, 11
	s_mov_b32 s15, 0x3fe00000
	s_delay_alu instid0(VALU_DEP_1) | instid1(SALU_CYCLE_1)
	v_fma_f64 v[129:130], v[48:49], v[129:130], s[14:15]
	v_cmp_ngt_f64_e64 s14, 0xc090cc00, v[28:29]
	s_mov_b32 s15, 0x3fe55555
	s_delay_alu instid0(VALU_DEP_2) | instskip(NEXT) | instid1(VALU_DEP_1)
	v_fma_f64 v[129:130], v[48:49], v[129:130], 1.0
	v_fma_f64 v[48:49], v[48:49], v[129:130], 1.0
	s_delay_alu instid0(VALU_DEP_1) | instskip(NEXT) | instid1(VALU_DEP_1)
	v_ldexp_f64 v[30:31], v[48:49], v30
	v_cndmask_b32_e64 v31, 0x7ff00000, v31, s13
	s_and_b32 s13, s14, s13
	s_delay_alu instid0(VALU_DEP_2) | instid1(SALU_CYCLE_1)
	v_cndmask_b32_e64 v28, 0, v30, s13
	s_delay_alu instid0(VALU_DEP_2) | instskip(SKIP_1) | instid1(VALU_DEP_1)
	v_cndmask_b32_e64 v29, 0, v31, s14
	s_mov_b32 s14, 0x55555555
	v_add_f64 v[30:31], v[28:29], 1.0
	s_delay_alu instid0(VALU_DEP_1) | instskip(SKIP_1) | instid1(VALU_DEP_2)
	v_add_f64 v[48:49], v[30:31], -1.0
	v_frexp_exp_i32_f64_e32 v131, v[30:31]
	v_add_f64 v[129:130], v[48:49], -v[30:31]
	v_add_f64 v[48:49], v[28:29], -v[48:49]
	s_delay_alu instid0(VALU_DEP_2) | instskip(NEXT) | instid1(VALU_DEP_1)
	v_add_f64 v[129:130], v[129:130], 1.0
	v_add_f64 v[48:49], v[48:49], v[129:130]
	v_frexp_mant_f64_e32 v[129:130], v[30:31]
	s_delay_alu instid0(VALU_DEP_1) | instskip(SKIP_1) | instid1(VALU_DEP_1)
	v_cmp_gt_f64_e64 s13, s[14:15], v[129:130]
	s_mov_b32 s14, 0x55555780
	v_subrev_co_ci_u32_e64 v162, s13, 0, v131, s13
	v_cmp_eq_f64_e64 s13, 0x7ff00000, v[28:29]
	s_delay_alu instid0(VALU_DEP_2) | instskip(NEXT) | instid1(VALU_DEP_1)
	v_sub_nc_u32_e32 v129, 0, v162
	v_ldexp_f64 v[30:31], v[30:31], v129
	v_ldexp_f64 v[48:49], v[48:49], v129
	s_delay_alu instid0(VALU_DEP_2) | instskip(NEXT) | instid1(VALU_DEP_1)
	v_add_f64 v[129:130], v[30:31], -1.0
	v_add_f64 v[131:132], v[129:130], 1.0
	s_delay_alu instid0(VALU_DEP_1) | instskip(NEXT) | instid1(VALU_DEP_1)
	v_add_f64 v[131:132], v[30:31], -v[131:132]
	v_add_f64 v[131:132], v[48:49], v[131:132]
	s_delay_alu instid0(VALU_DEP_1) | instskip(NEXT) | instid1(VALU_DEP_1)
	v_add_f64 v[133:134], v[129:130], v[131:132]
	v_add_f64 v[129:130], v[133:134], -v[129:130]
	s_delay_alu instid0(VALU_DEP_1) | instskip(SKIP_1) | instid1(VALU_DEP_1)
	v_add_f64 v[129:130], v[131:132], -v[129:130]
	v_add_f64 v[131:132], v[30:31], 1.0
	v_add_f64 v[144:145], v[131:132], -1.0
	s_delay_alu instid0(VALU_DEP_1) | instskip(NEXT) | instid1(VALU_DEP_1)
	v_add_f64 v[30:31], v[30:31], -v[144:145]
	v_add_f64 v[30:31], v[48:49], v[30:31]
	s_delay_alu instid0(VALU_DEP_1) | instskip(NEXT) | instid1(VALU_DEP_1)
	v_add_f64 v[48:49], v[131:132], v[30:31]
	v_add_f64 v[131:132], v[48:49], -v[131:132]
	s_delay_alu instid0(VALU_DEP_1) | instskip(SKIP_3) | instid1(VALU_DEP_1)
	v_add_f64 v[30:31], v[30:31], -v[131:132]
	v_rcp_f64_e32 v[131:132], v[48:49]
	s_waitcnt_depctr 0xfff
	v_fma_f64 v[144:145], -v[48:49], v[131:132], 1.0
	v_fma_f64 v[131:132], v[144:145], v[131:132], v[131:132]
	s_delay_alu instid0(VALU_DEP_1) | instskip(NEXT) | instid1(VALU_DEP_1)
	v_fma_f64 v[144:145], -v[48:49], v[131:132], 1.0
	v_fma_f64 v[131:132], v[144:145], v[131:132], v[131:132]
	s_delay_alu instid0(VALU_DEP_1) | instskip(NEXT) | instid1(VALU_DEP_1)
	v_mul_f64 v[144:145], v[133:134], v[131:132]
	v_mul_f64 v[146:147], v[48:49], v[144:145]
	s_delay_alu instid0(VALU_DEP_1) | instskip(NEXT) | instid1(VALU_DEP_1)
	v_fma_f64 v[148:149], v[144:145], v[48:49], -v[146:147]
	v_fma_f64 v[148:149], v[144:145], v[30:31], v[148:149]
	s_delay_alu instid0(VALU_DEP_1) | instskip(NEXT) | instid1(VALU_DEP_1)
	v_add_f64 v[150:151], v[146:147], v[148:149]
	v_add_f64 v[160:161], v[133:134], -v[150:151]
	v_add_f64 v[146:147], v[150:151], -v[146:147]
	s_delay_alu instid0(VALU_DEP_2) | instskip(NEXT) | instid1(VALU_DEP_1)
	v_add_f64 v[133:134], v[133:134], -v[160:161]
	v_add_f64 v[133:134], v[133:134], -v[150:151]
	s_delay_alu instid0(VALU_DEP_1) | instskip(NEXT) | instid1(VALU_DEP_4)
	v_add_f64 v[129:130], v[129:130], v[133:134]
	v_add_f64 v[133:134], v[146:147], -v[148:149]
	s_delay_alu instid0(VALU_DEP_1) | instskip(NEXT) | instid1(VALU_DEP_1)
	v_add_f64 v[129:130], v[133:134], v[129:130]
	v_add_f64 v[133:134], v[160:161], v[129:130]
	s_delay_alu instid0(VALU_DEP_1) | instskip(NEXT) | instid1(VALU_DEP_1)
	v_add_f64 v[146:147], v[160:161], -v[133:134]
	v_add_f64 v[129:130], v[129:130], v[146:147]
	v_mul_f64 v[146:147], v[131:132], v[133:134]
	s_delay_alu instid0(VALU_DEP_1) | instskip(NEXT) | instid1(VALU_DEP_1)
	v_mul_f64 v[148:149], v[48:49], v[146:147]
	v_fma_f64 v[48:49], v[146:147], v[48:49], -v[148:149]
	s_delay_alu instid0(VALU_DEP_1) | instskip(NEXT) | instid1(VALU_DEP_1)
	v_fma_f64 v[30:31], v[146:147], v[30:31], v[48:49]
	v_add_f64 v[48:49], v[148:149], v[30:31]
	s_delay_alu instid0(VALU_DEP_1) | instskip(SKIP_1) | instid1(VALU_DEP_2)
	v_add_f64 v[150:151], v[133:134], -v[48:49]
	v_add_f64 v[148:149], v[48:49], -v[148:149]
	;; [unrolled: 1-line block ×3, first 2 shown]
	s_delay_alu instid0(VALU_DEP_2) | instskip(NEXT) | instid1(VALU_DEP_2)
	v_add_f64 v[30:31], v[148:149], -v[30:31]
	v_add_f64 v[48:49], v[133:134], -v[48:49]
	v_cvt_f64_i32_e32 v[133:134], v162
	s_delay_alu instid0(VALU_DEP_2) | instskip(NEXT) | instid1(VALU_DEP_1)
	v_add_f64 v[48:49], v[129:130], v[48:49]
	v_add_f64 v[30:31], v[30:31], v[48:49]
	;; [unrolled: 1-line block ×3, first 2 shown]
	s_delay_alu instid0(VALU_DEP_2) | instskip(NEXT) | instid1(VALU_DEP_2)
	v_add_f64 v[30:31], v[150:151], v[30:31]
	v_add_f64 v[129:130], v[48:49], -v[144:145]
	v_mul_f64 v[144:145], v[133:134], s[18:19]
	s_delay_alu instid0(VALU_DEP_3) | instskip(NEXT) | instid1(VALU_DEP_3)
	v_mul_f64 v[30:31], v[131:132], v[30:31]
	v_add_f64 v[129:130], v[146:147], -v[129:130]
	s_delay_alu instid0(VALU_DEP_3) | instskip(NEXT) | instid1(VALU_DEP_2)
	v_fma_f64 v[146:147], v[133:134], s[18:19], -v[144:145]
	v_add_f64 v[30:31], v[129:130], v[30:31]
	s_delay_alu instid0(VALU_DEP_2) | instskip(NEXT) | instid1(VALU_DEP_2)
	v_fma_f64 v[133:134], v[133:134], s[20:21], v[146:147]
	v_add_f64 v[129:130], v[48:49], v[30:31]
	s_delay_alu instid0(VALU_DEP_2) | instskip(NEXT) | instid1(VALU_DEP_2)
	v_add_f64 v[146:147], v[144:145], v[133:134]
	v_add_f64 v[48:49], v[129:130], -v[48:49]
	s_delay_alu instid0(VALU_DEP_2) | instskip(NEXT) | instid1(VALU_DEP_2)
	v_add_f64 v[144:145], v[146:147], -v[144:145]
	v_add_f64 v[30:31], v[30:31], -v[48:49]
	v_mul_f64 v[48:49], v[129:130], v[129:130]
	s_delay_alu instid0(VALU_DEP_3) | instskip(SKIP_1) | instid1(VALU_DEP_4)
	v_add_f64 v[133:134], v[133:134], -v[144:145]
	v_ldexp_f64 v[144:145], v[129:130], 1
	v_ldexp_f64 v[30:31], v[30:31], 1
	s_delay_alu instid0(VALU_DEP_4)
	v_fma_f64 v[131:132], v[48:49], s[26:27], s[24:25]
	s_mov_b32 s24, 0xd7f4df2e
	s_mov_b32 s25, 0x3fc7474d
	s_delay_alu instid0(VALU_DEP_1) | instid1(SALU_CYCLE_1)
	v_fma_f64 v[131:132], v[48:49], v[131:132], s[24:25]
	s_mov_b32 s24, 0x16291751
	s_mov_b32 s25, 0x3fcc71c0
	s_delay_alu instid0(VALU_DEP_1) | instid1(SALU_CYCLE_1)
	;; [unrolled: 4-line block ×4, first 2 shown]
	v_fma_f64 v[131:132], v[48:49], v[131:132], s[24:25]
	s_delay_alu instid0(VALU_DEP_1) | instskip(SKIP_1) | instid1(VALU_DEP_1)
	v_fma_f64 v[131:132], v[48:49], v[131:132], s[14:15]
	v_mul_f64 v[48:49], v[129:130], v[48:49]
	v_mul_f64 v[48:49], v[48:49], v[131:132]
	s_delay_alu instid0(VALU_DEP_1) | instskip(NEXT) | instid1(VALU_DEP_1)
	v_add_f64 v[129:130], v[144:145], v[48:49]
	v_add_f64 v[131:132], v[129:130], -v[144:145]
	s_delay_alu instid0(VALU_DEP_1) | instskip(NEXT) | instid1(VALU_DEP_1)
	v_add_f64 v[48:49], v[48:49], -v[131:132]
	v_add_f64 v[30:31], v[30:31], v[48:49]
	s_delay_alu instid0(VALU_DEP_1) | instskip(NEXT) | instid1(VALU_DEP_1)
	v_add_f64 v[48:49], v[129:130], v[30:31]
	v_add_f64 v[129:130], v[48:49], -v[129:130]
	s_delay_alu instid0(VALU_DEP_1) | instskip(SKIP_1) | instid1(VALU_DEP_1)
	v_add_f64 v[30:31], v[30:31], -v[129:130]
	v_add_f64 v[129:130], v[146:147], v[48:49]
	v_add_f64 v[131:132], v[129:130], -v[146:147]
	s_delay_alu instid0(VALU_DEP_1) | instskip(SKIP_2) | instid1(VALU_DEP_3)
	v_add_f64 v[144:145], v[129:130], -v[131:132]
	v_add_f64 v[48:49], v[48:49], -v[131:132]
	v_add_f64 v[131:132], v[133:134], v[30:31]
	v_add_f64 v[144:145], v[146:147], -v[144:145]
	s_delay_alu instid0(VALU_DEP_1) | instskip(NEXT) | instid1(VALU_DEP_3)
	v_add_f64 v[48:49], v[48:49], v[144:145]
	v_add_f64 v[144:145], v[131:132], -v[133:134]
	s_delay_alu instid0(VALU_DEP_2) | instskip(NEXT) | instid1(VALU_DEP_2)
	v_add_f64 v[48:49], v[131:132], v[48:49]
	v_add_f64 v[146:147], v[131:132], -v[144:145]
	v_add_f64 v[30:31], v[30:31], -v[144:145]
	s_delay_alu instid0(VALU_DEP_3) | instskip(NEXT) | instid1(VALU_DEP_3)
	v_add_f64 v[131:132], v[129:130], v[48:49]
	v_add_f64 v[133:134], v[133:134], -v[146:147]
	s_delay_alu instid0(VALU_DEP_2) | instskip(NEXT) | instid1(VALU_DEP_2)
	v_add_f64 v[129:130], v[131:132], -v[129:130]
	v_add_f64 v[30:31], v[30:31], v[133:134]
	s_delay_alu instid0(VALU_DEP_2) | instskip(NEXT) | instid1(VALU_DEP_1)
	v_add_f64 v[48:49], v[48:49], -v[129:130]
	v_add_f64 v[30:31], v[30:31], v[48:49]
	s_delay_alu instid0(VALU_DEP_1) | instskip(NEXT) | instid1(VALU_DEP_1)
	v_add_f64 v[30:31], v[131:132], v[30:31]
	v_cndmask_b32_e64 v30, v30, v28, s13
	s_delay_alu instid0(VALU_DEP_2) | instskip(SKIP_1) | instid1(VALU_DEP_1)
	v_cndmask_b32_e64 v31, v31, v29, s13
	v_cmp_ngt_f64_e64 s13, -1.0, v[28:29]
	v_cndmask_b32_e64 v31, 0x7ff80000, v31, s13
	v_cmp_nge_f64_e64 s13, -1.0, v[28:29]
	s_delay_alu instid0(VALU_DEP_1) | instskip(SKIP_1) | instid1(VALU_DEP_1)
	v_cndmask_b32_e64 v30, 0, v30, s13
	v_cmp_neq_f64_e64 s13, -1.0, v[28:29]
	v_cndmask_b32_e64 v31, 0xfff00000, v31, s13
	s_delay_alu instid0(VALU_DEP_1)
	v_add_f64 v[48:49], v[26:27], v[30:31]
.LBB8_282:
	s_or_b32 exec_lo, exec_lo, s17
	v_max_f64 v[26:27], v[70:71], v[70:71]
	s_delay_alu instid0(VALU_DEP_2) | instskip(SKIP_2) | instid1(VALU_DEP_3)
	v_max_f64 v[28:29], v[48:49], v[48:49]
	v_cmp_u_f64_e64 s14, v[48:49], v[48:49]
	v_cmp_u_f64_e64 s13, v[70:71], v[70:71]
	v_min_f64 v[30:31], v[28:29], v[26:27]
	v_max_f64 v[28:29], v[28:29], v[26:27]
	s_delay_alu instid0(VALU_DEP_2) | instskip(NEXT) | instid1(VALU_DEP_3)
	v_cndmask_b32_e64 v30, v30, v48, s14
	v_cndmask_b32_e64 v31, v31, v49, s14
	s_delay_alu instid0(VALU_DEP_3) | instskip(NEXT) | instid1(VALU_DEP_4)
	v_cndmask_b32_e64 v29, v29, v49, s14
	v_cndmask_b32_e64 v28, v28, v48, s14
	s_delay_alu instid0(VALU_DEP_4) | instskip(NEXT) | instid1(VALU_DEP_4)
	v_cndmask_b32_e64 v30, v30, v70, s13
	v_cndmask_b32_e64 v31, v31, v71, s13
	s_delay_alu instid0(VALU_DEP_4) | instskip(NEXT) | instid1(VALU_DEP_4)
	v_cndmask_b32_e64 v29, v29, v71, s13
	v_cndmask_b32_e64 v28, v28, v70, s13
	s_delay_alu instid0(VALU_DEP_3) | instskip(NEXT) | instid1(VALU_DEP_2)
	v_cmp_class_f64_e64 s15, v[30:31], 0x1f8
	v_cmp_neq_f64_e64 s14, v[30:31], v[28:29]
	s_delay_alu instid0(VALU_DEP_1) | instskip(NEXT) | instid1(SALU_CYCLE_1)
	s_or_b32 s14, s14, s15
	s_and_saveexec_b32 s17, s14
	s_cbranch_execz .LBB8_284
; %bb.283:
	v_add_f64 v[30:31], v[30:31], -v[28:29]
	s_mov_b32 s14, 0x652b82fe
	s_mov_b32 s15, 0x3ff71547
	;; [unrolled: 1-line block ×10, first 2 shown]
	s_delay_alu instid0(VALU_DEP_1) | instskip(SKIP_2) | instid1(VALU_DEP_1)
	v_mul_f64 v[48:49], v[30:31], s[14:15]
	s_mov_b32 s14, 0xfca7ab0c
	s_mov_b32 s15, 0x3e928af3
	v_rndne_f64_e32 v[48:49], v[48:49]
	s_delay_alu instid0(VALU_DEP_1) | instskip(SKIP_2) | instid1(VALU_DEP_2)
	v_fma_f64 v[129:130], v[48:49], s[18:19], v[30:31]
	v_cvt_i32_f64_e32 v133, v[48:49]
	s_mov_b32 s19, 0x3fe62e42
	v_fma_f64 v[129:130], v[48:49], s[20:21], v[129:130]
	s_mov_b32 s21, 0x3c7abc9e
	s_delay_alu instid0(VALU_DEP_1) | instskip(SKIP_4) | instid1(VALU_DEP_1)
	v_fma_f64 v[131:132], v[129:130], s[24:25], s[14:15]
	s_mov_b32 s14, 0x623fde64
	s_mov_b32 s15, 0x3ec71dee
	s_mov_b32 s24, 0x6b47b09a
	s_mov_b32 s25, 0x3fc38538
	v_fma_f64 v[131:132], v[129:130], v[131:132], s[14:15]
	s_mov_b32 s14, 0x7c89e6b0
	s_mov_b32 s15, 0x3efa0199
	s_delay_alu instid0(VALU_DEP_1) | instid1(SALU_CYCLE_1)
	v_fma_f64 v[131:132], v[129:130], v[131:132], s[14:15]
	s_mov_b32 s14, 0x14761f6e
	s_mov_b32 s15, 0x3f2a01a0
	s_delay_alu instid0(VALU_DEP_1) | instid1(SALU_CYCLE_1)
	;; [unrolled: 4-line block ×7, first 2 shown]
	v_fma_f64 v[131:132], v[129:130], v[131:132], s[14:15]
	v_cmp_nlt_f64_e64 s14, 0x40900000, v[30:31]
	v_cmp_ngt_f64_e64 s15, 0xc090cc00, v[30:31]
	s_delay_alu instid0(VALU_DEP_3) | instskip(NEXT) | instid1(VALU_DEP_1)
	v_fma_f64 v[131:132], v[129:130], v[131:132], 1.0
	v_fma_f64 v[48:49], v[129:130], v[131:132], 1.0
	s_delay_alu instid0(VALU_DEP_1) | instskip(NEXT) | instid1(VALU_DEP_1)
	v_ldexp_f64 v[48:49], v[48:49], v133
	v_cndmask_b32_e64 v49, 0x7ff00000, v49, s14
	s_and_b32 s14, s15, s14
	s_delay_alu instid0(VALU_DEP_2) | instid1(SALU_CYCLE_1)
	v_cndmask_b32_e64 v30, 0, v48, s14
	s_mov_b32 s14, 0x55555555
	s_delay_alu instid0(VALU_DEP_2) | instskip(SKIP_1) | instid1(VALU_DEP_1)
	v_cndmask_b32_e64 v31, 0, v49, s15
	s_mov_b32 s15, 0x3fe55555
	v_add_f64 v[48:49], v[30:31], 1.0
	s_delay_alu instid0(VALU_DEP_1) | instskip(SKIP_2) | instid1(VALU_DEP_3)
	v_frexp_mant_f64_e32 v[129:130], v[48:49]
	v_frexp_exp_i32_f64_e32 v133, v[48:49]
	v_add_f64 v[131:132], v[48:49], -1.0
	v_cmp_gt_f64_e64 s14, s[14:15], v[129:130]
	s_delay_alu instid0(VALU_DEP_2) | instskip(SKIP_1) | instid1(VALU_DEP_3)
	v_add_f64 v[129:130], v[131:132], -v[48:49]
	v_add_f64 v[131:132], v[30:31], -v[131:132]
	v_subrev_co_ci_u32_e64 v166, s14, 0, v133, s14
	s_delay_alu instid0(VALU_DEP_3) | instskip(SKIP_1) | instid1(VALU_DEP_2)
	v_add_f64 v[129:130], v[129:130], 1.0
	s_mov_b32 s14, 0x55555780
	v_sub_nc_u32_e32 v144, 0, v166
	s_delay_alu instid0(VALU_DEP_1) | instskip(NEXT) | instid1(VALU_DEP_3)
	v_ldexp_f64 v[48:49], v[48:49], v144
	v_add_f64 v[129:130], v[131:132], v[129:130]
	s_delay_alu instid0(VALU_DEP_2) | instskip(SKIP_1) | instid1(VALU_DEP_3)
	v_add_f64 v[133:134], v[48:49], 1.0
	v_add_f64 v[148:149], v[48:49], -1.0
	v_ldexp_f64 v[129:130], v[129:130], v144
	s_delay_alu instid0(VALU_DEP_3) | instskip(NEXT) | instid1(VALU_DEP_3)
	v_add_f64 v[131:132], v[133:134], -1.0
	v_add_f64 v[150:151], v[148:149], 1.0
	s_delay_alu instid0(VALU_DEP_2) | instskip(NEXT) | instid1(VALU_DEP_2)
	v_add_f64 v[131:132], v[48:49], -v[131:132]
	v_add_f64 v[48:49], v[48:49], -v[150:151]
	s_delay_alu instid0(VALU_DEP_2) | instskip(NEXT) | instid1(VALU_DEP_2)
	v_add_f64 v[131:132], v[129:130], v[131:132]
	v_add_f64 v[48:49], v[129:130], v[48:49]
	s_delay_alu instid0(VALU_DEP_2) | instskip(NEXT) | instid1(VALU_DEP_2)
	v_add_f64 v[144:145], v[133:134], v[131:132]
	v_add_f64 v[150:151], v[148:149], v[48:49]
	s_delay_alu instid0(VALU_DEP_2) | instskip(SKIP_1) | instid1(VALU_DEP_2)
	v_rcp_f64_e32 v[146:147], v[144:145]
	v_add_f64 v[133:134], v[144:145], -v[133:134]
	v_add_f64 v[148:149], v[150:151], -v[148:149]
	s_delay_alu instid0(VALU_DEP_2) | instskip(SKIP_3) | instid1(VALU_DEP_2)
	v_add_f64 v[131:132], v[131:132], -v[133:134]
	s_waitcnt_depctr 0xfff
	v_fma_f64 v[160:161], -v[144:145], v[146:147], 1.0
	v_add_f64 v[48:49], v[48:49], -v[148:149]
	v_fma_f64 v[146:147], v[160:161], v[146:147], v[146:147]
	s_delay_alu instid0(VALU_DEP_1) | instskip(NEXT) | instid1(VALU_DEP_1)
	v_fma_f64 v[129:130], -v[144:145], v[146:147], 1.0
	v_fma_f64 v[129:130], v[129:130], v[146:147], v[146:147]
	s_delay_alu instid0(VALU_DEP_1) | instskip(NEXT) | instid1(VALU_DEP_1)
	v_mul_f64 v[146:147], v[150:151], v[129:130]
	v_mul_f64 v[160:161], v[144:145], v[146:147]
	s_delay_alu instid0(VALU_DEP_1) | instskip(NEXT) | instid1(VALU_DEP_1)
	v_fma_f64 v[133:134], v[146:147], v[144:145], -v[160:161]
	v_fma_f64 v[133:134], v[146:147], v[131:132], v[133:134]
	s_delay_alu instid0(VALU_DEP_1) | instskip(NEXT) | instid1(VALU_DEP_1)
	v_add_f64 v[162:163], v[160:161], v[133:134]
	v_add_f64 v[164:165], v[150:151], -v[162:163]
	v_add_f64 v[148:149], v[162:163], -v[160:161]
	s_delay_alu instid0(VALU_DEP_2) | instskip(NEXT) | instid1(VALU_DEP_2)
	v_add_f64 v[150:151], v[150:151], -v[164:165]
	v_add_f64 v[133:134], v[148:149], -v[133:134]
	s_delay_alu instid0(VALU_DEP_2) | instskip(NEXT) | instid1(VALU_DEP_1)
	v_add_f64 v[150:151], v[150:151], -v[162:163]
	v_add_f64 v[48:49], v[48:49], v[150:151]
	s_delay_alu instid0(VALU_DEP_1) | instskip(NEXT) | instid1(VALU_DEP_1)
	v_add_f64 v[48:49], v[133:134], v[48:49]
	v_add_f64 v[133:134], v[164:165], v[48:49]
	s_delay_alu instid0(VALU_DEP_1) | instskip(SKIP_1) | instid1(VALU_DEP_2)
	v_mul_f64 v[148:149], v[129:130], v[133:134]
	v_add_f64 v[162:163], v[164:165], -v[133:134]
	v_mul_f64 v[150:151], v[144:145], v[148:149]
	s_delay_alu instid0(VALU_DEP_2) | instskip(NEXT) | instid1(VALU_DEP_2)
	v_add_f64 v[48:49], v[48:49], v[162:163]
	v_fma_f64 v[144:145], v[148:149], v[144:145], -v[150:151]
	s_delay_alu instid0(VALU_DEP_1) | instskip(NEXT) | instid1(VALU_DEP_1)
	v_fma_f64 v[131:132], v[148:149], v[131:132], v[144:145]
	v_add_f64 v[144:145], v[150:151], v[131:132]
	s_delay_alu instid0(VALU_DEP_1) | instskip(SKIP_1) | instid1(VALU_DEP_2)
	v_add_f64 v[160:161], v[133:134], -v[144:145]
	v_add_f64 v[150:151], v[144:145], -v[150:151]
	;; [unrolled: 1-line block ×3, first 2 shown]
	s_delay_alu instid0(VALU_DEP_2) | instskip(NEXT) | instid1(VALU_DEP_2)
	v_add_f64 v[131:132], v[150:151], -v[131:132]
	v_add_f64 v[133:134], v[133:134], -v[144:145]
	s_delay_alu instid0(VALU_DEP_1) | instskip(SKIP_1) | instid1(VALU_DEP_2)
	v_add_f64 v[48:49], v[48:49], v[133:134]
	v_add_f64 v[133:134], v[146:147], v[148:149]
	;; [unrolled: 1-line block ×3, first 2 shown]
	s_delay_alu instid0(VALU_DEP_2) | instskip(NEXT) | instid1(VALU_DEP_2)
	v_add_f64 v[131:132], v[133:134], -v[146:147]
	v_add_f64 v[48:49], v[160:161], v[48:49]
	s_delay_alu instid0(VALU_DEP_2) | instskip(NEXT) | instid1(VALU_DEP_2)
	v_add_f64 v[131:132], v[148:149], -v[131:132]
	v_mul_f64 v[48:49], v[129:130], v[48:49]
	s_delay_alu instid0(VALU_DEP_1) | instskip(NEXT) | instid1(VALU_DEP_1)
	v_add_f64 v[48:49], v[131:132], v[48:49]
	v_add_f64 v[129:130], v[133:134], v[48:49]
	s_delay_alu instid0(VALU_DEP_1) | instskip(NEXT) | instid1(VALU_DEP_1)
	v_mul_f64 v[131:132], v[129:130], v[129:130]
	v_fma_f64 v[144:145], v[131:132], s[26:27], s[24:25]
	s_mov_b32 s24, 0xd7f4df2e
	s_mov_b32 s25, 0x3fc7474d
	v_mul_f64 v[146:147], v[129:130], v[131:132]
	s_delay_alu instid0(VALU_DEP_2)
	v_fma_f64 v[144:145], v[131:132], v[144:145], s[24:25]
	s_mov_b32 s24, 0x16291751
	s_mov_b32 s25, 0x3fcc71c0
	s_delay_alu instid0(VALU_DEP_1) | instid1(SALU_CYCLE_1)
	v_fma_f64 v[144:145], v[131:132], v[144:145], s[24:25]
	s_mov_b32 s24, 0x9b27acf1
	s_mov_b32 s25, 0x3fd24924
	s_delay_alu instid0(VALU_DEP_1) | instid1(SALU_CYCLE_1)
	;; [unrolled: 4-line block ×3, first 2 shown]
	v_fma_f64 v[144:145], v[131:132], v[144:145], s[24:25]
	s_delay_alu instid0(VALU_DEP_1) | instskip(SKIP_3) | instid1(VALU_DEP_4)
	v_fma_f64 v[131:132], v[131:132], v[144:145], s[14:15]
	v_ldexp_f64 v[144:145], v[129:130], 1
	v_add_f64 v[129:130], v[129:130], -v[133:134]
	v_cmp_eq_f64_e64 s14, 0x7ff00000, v[30:31]
	v_mul_f64 v[131:132], v[146:147], v[131:132]
	v_cvt_f64_i32_e32 v[146:147], v166
	s_delay_alu instid0(VALU_DEP_4) | instskip(NEXT) | instid1(VALU_DEP_3)
	v_add_f64 v[48:49], v[48:49], -v[129:130]
	v_add_f64 v[133:134], v[144:145], v[131:132]
	s_delay_alu instid0(VALU_DEP_3) | instskip(NEXT) | instid1(VALU_DEP_3)
	v_mul_f64 v[148:149], v[146:147], s[18:19]
	v_ldexp_f64 v[48:49], v[48:49], 1
	s_delay_alu instid0(VALU_DEP_3) | instskip(NEXT) | instid1(VALU_DEP_3)
	v_add_f64 v[129:130], v[133:134], -v[144:145]
	v_fma_f64 v[144:145], v[146:147], s[18:19], -v[148:149]
	s_delay_alu instid0(VALU_DEP_2) | instskip(NEXT) | instid1(VALU_DEP_2)
	v_add_f64 v[129:130], v[131:132], -v[129:130]
	v_fma_f64 v[131:132], v[146:147], s[20:21], v[144:145]
	s_delay_alu instid0(VALU_DEP_2) | instskip(NEXT) | instid1(VALU_DEP_2)
	v_add_f64 v[48:49], v[48:49], v[129:130]
	v_add_f64 v[129:130], v[148:149], v[131:132]
	s_delay_alu instid0(VALU_DEP_2) | instskip(NEXT) | instid1(VALU_DEP_2)
	v_add_f64 v[144:145], v[133:134], v[48:49]
	v_add_f64 v[148:149], v[129:130], -v[148:149]
	s_delay_alu instid0(VALU_DEP_2) | instskip(SKIP_1) | instid1(VALU_DEP_3)
	v_add_f64 v[146:147], v[129:130], v[144:145]
	v_add_f64 v[133:134], v[144:145], -v[133:134]
	v_add_f64 v[131:132], v[131:132], -v[148:149]
	s_delay_alu instid0(VALU_DEP_3) | instskip(NEXT) | instid1(VALU_DEP_3)
	v_add_f64 v[150:151], v[146:147], -v[129:130]
	v_add_f64 v[48:49], v[48:49], -v[133:134]
	s_delay_alu instid0(VALU_DEP_2) | instskip(SKIP_1) | instid1(VALU_DEP_3)
	v_add_f64 v[160:161], v[146:147], -v[150:151]
	v_add_f64 v[133:134], v[144:145], -v[150:151]
	v_add_f64 v[144:145], v[131:132], v[48:49]
	s_delay_alu instid0(VALU_DEP_3) | instskip(NEXT) | instid1(VALU_DEP_1)
	v_add_f64 v[129:130], v[129:130], -v[160:161]
	v_add_f64 v[129:130], v[133:134], v[129:130]
	s_delay_alu instid0(VALU_DEP_3) | instskip(NEXT) | instid1(VALU_DEP_2)
	v_add_f64 v[133:134], v[144:145], -v[131:132]
	v_add_f64 v[129:130], v[144:145], v[129:130]
	s_delay_alu instid0(VALU_DEP_2) | instskip(SKIP_1) | instid1(VALU_DEP_3)
	v_add_f64 v[144:145], v[144:145], -v[133:134]
	v_add_f64 v[48:49], v[48:49], -v[133:134]
	v_add_f64 v[148:149], v[146:147], v[129:130]
	s_delay_alu instid0(VALU_DEP_3) | instskip(NEXT) | instid1(VALU_DEP_2)
	v_add_f64 v[131:132], v[131:132], -v[144:145]
	v_add_f64 v[133:134], v[148:149], -v[146:147]
	s_delay_alu instid0(VALU_DEP_2) | instskip(NEXT) | instid1(VALU_DEP_2)
	v_add_f64 v[48:49], v[48:49], v[131:132]
	v_add_f64 v[129:130], v[129:130], -v[133:134]
	s_delay_alu instid0(VALU_DEP_1) | instskip(NEXT) | instid1(VALU_DEP_1)
	v_add_f64 v[48:49], v[48:49], v[129:130]
	v_add_f64 v[48:49], v[148:149], v[48:49]
	s_delay_alu instid0(VALU_DEP_1) | instskip(NEXT) | instid1(VALU_DEP_2)
	v_cndmask_b32_e64 v48, v48, v30, s14
	v_cndmask_b32_e64 v49, v49, v31, s14
	v_cmp_ngt_f64_e64 s14, -1.0, v[30:31]
	s_delay_alu instid0(VALU_DEP_1) | instskip(SKIP_1) | instid1(VALU_DEP_1)
	v_cndmask_b32_e64 v49, 0x7ff80000, v49, s14
	v_cmp_nge_f64_e64 s14, -1.0, v[30:31]
	v_cndmask_b32_e64 v48, 0, v48, s14
	v_cmp_neq_f64_e64 s14, -1.0, v[30:31]
	s_delay_alu instid0(VALU_DEP_1) | instskip(NEXT) | instid1(VALU_DEP_1)
	v_cndmask_b32_e64 v49, 0xfff00000, v49, s14
	v_add_f64 v[48:49], v[28:29], v[48:49]
.LBB8_284:
	s_or_b32 exec_lo, exec_lo, s17
	v_max_f64 v[28:29], v[64:65], v[64:65]
	s_delay_alu instid0(VALU_DEP_2) | instskip(SKIP_2) | instid1(VALU_DEP_3)
	v_max_f64 v[30:31], v[48:49], v[48:49]
	v_cmp_u_f64_e64 s15, v[48:49], v[48:49]
	v_cmp_u_f64_e64 s14, v[64:65], v[64:65]
	v_min_f64 v[129:130], v[30:31], v[28:29]
	v_max_f64 v[30:31], v[30:31], v[28:29]
	s_delay_alu instid0(VALU_DEP_2) | instskip(NEXT) | instid1(VALU_DEP_3)
	v_cndmask_b32_e64 v129, v129, v48, s15
	v_cndmask_b32_e64 v130, v130, v49, s15
	s_delay_alu instid0(VALU_DEP_3) | instskip(NEXT) | instid1(VALU_DEP_4)
	v_cndmask_b32_e64 v31, v31, v49, s15
	v_cndmask_b32_e64 v30, v30, v48, s15
	s_delay_alu instid0(VALU_DEP_4) | instskip(NEXT) | instid1(VALU_DEP_4)
	v_cndmask_b32_e64 v129, v129, v64, s14
	v_cndmask_b32_e64 v130, v130, v65, s14
	s_delay_alu instid0(VALU_DEP_4) | instskip(NEXT) | instid1(VALU_DEP_4)
	v_cndmask_b32_e64 v31, v31, v65, s14
	v_cndmask_b32_e64 v30, v30, v64, s14
	s_delay_alu instid0(VALU_DEP_3) | instskip(NEXT) | instid1(VALU_DEP_2)
	v_cmp_class_f64_e64 s17, v[129:130], 0x1f8
	v_cmp_neq_f64_e64 s15, v[129:130], v[30:31]
	s_delay_alu instid0(VALU_DEP_1) | instskip(NEXT) | instid1(SALU_CYCLE_1)
	s_or_b32 s15, s15, s17
	s_and_saveexec_b32 s26, s15
	s_cbranch_execz .LBB8_286
; %bb.285:
	v_add_f64 v[48:49], v[129:130], -v[30:31]
	s_mov_b32 s18, 0x652b82fe
	s_mov_b32 s19, 0x3ff71547
	;; [unrolled: 1-line block ×10, first 2 shown]
	s_delay_alu instid0(VALU_DEP_1) | instskip(SKIP_4) | instid1(VALU_DEP_3)
	v_mul_f64 v[129:130], v[48:49], s[18:19]
	s_mov_b32 s19, 0xbfe62e42
	s_mov_b32 s18, 0xfefa39ef
	v_cmp_nlt_f64_e64 s15, 0x40900000, v[48:49]
	v_cmp_ngt_f64_e64 s17, 0xc090cc00, v[48:49]
	v_rndne_f64_e32 v[129:130], v[129:130]
	s_delay_alu instid0(VALU_DEP_1) | instskip(SKIP_2) | instid1(VALU_DEP_2)
	v_fma_f64 v[131:132], v[129:130], s[18:19], v[48:49]
	v_cvt_i32_f64_e32 v144, v[129:130]
	s_mov_b32 s19, 0x3fe62e42
	v_fma_f64 v[131:132], v[129:130], s[20:21], v[131:132]
	s_mov_b32 s21, 0x3c7abc9e
	s_delay_alu instid0(VALU_DEP_1) | instskip(SKIP_4) | instid1(VALU_DEP_1)
	v_fma_f64 v[133:134], v[131:132], s[28:29], s[24:25]
	s_mov_b32 s24, 0x623fde64
	s_mov_b32 s25, 0x3ec71dee
	;; [unrolled: 1-line block ×4, first 2 shown]
	v_fma_f64 v[133:134], v[131:132], v[133:134], s[24:25]
	s_mov_b32 s24, 0x7c89e6b0
	s_mov_b32 s25, 0x3efa0199
	s_delay_alu instid0(VALU_DEP_1) | instid1(SALU_CYCLE_1)
	v_fma_f64 v[133:134], v[131:132], v[133:134], s[24:25]
	s_mov_b32 s24, 0x14761f6e
	s_mov_b32 s25, 0x3f2a01a0
	s_delay_alu instid0(VALU_DEP_1) | instid1(SALU_CYCLE_1)
	;; [unrolled: 4-line block ×7, first 2 shown]
	v_fma_f64 v[133:134], v[131:132], v[133:134], s[24:25]
	s_mov_b32 s25, 0x3fe55555
	s_mov_b32 s24, 0x55555555
	s_delay_alu instid0(VALU_DEP_1) | instskip(NEXT) | instid1(VALU_DEP_1)
	v_fma_f64 v[133:134], v[131:132], v[133:134], 1.0
	v_fma_f64 v[129:130], v[131:132], v[133:134], 1.0
	s_delay_alu instid0(VALU_DEP_1) | instskip(NEXT) | instid1(VALU_DEP_1)
	v_ldexp_f64 v[129:130], v[129:130], v144
	v_cndmask_b32_e64 v130, 0x7ff00000, v130, s15
	s_and_b32 s15, s17, s15
	s_delay_alu instid0(VALU_DEP_2) | instid1(SALU_CYCLE_1)
	v_cndmask_b32_e64 v48, 0, v129, s15
	s_delay_alu instid0(VALU_DEP_2) | instskip(NEXT) | instid1(VALU_DEP_1)
	v_cndmask_b32_e64 v49, 0, v130, s17
	v_add_f64 v[129:130], v[48:49], 1.0
	s_delay_alu instid0(VALU_DEP_1) | instskip(SKIP_2) | instid1(VALU_DEP_3)
	v_frexp_mant_f64_e32 v[131:132], v[129:130]
	v_frexp_exp_i32_f64_e32 v144, v[129:130]
	v_add_f64 v[133:134], v[129:130], -1.0
	v_cmp_gt_f64_e64 s15, s[24:25], v[131:132]
	s_mov_b32 s24, 0x55555780
	s_delay_alu instid0(VALU_DEP_2) | instskip(SKIP_1) | instid1(VALU_DEP_3)
	v_add_f64 v[131:132], v[133:134], -v[129:130]
	v_add_f64 v[133:134], v[48:49], -v[133:134]
	v_subrev_co_ci_u32_e64 v166, s15, 0, v144, s15
	s_delay_alu instid0(VALU_DEP_3) | instskip(SKIP_1) | instid1(VALU_DEP_3)
	v_add_f64 v[131:132], v[131:132], 1.0
	v_cmp_eq_f64_e64 s15, 0x7ff00000, v[48:49]
	v_sub_nc_u32_e32 v146, 0, v166
	s_delay_alu instid0(VALU_DEP_1) | instskip(NEXT) | instid1(VALU_DEP_4)
	v_ldexp_f64 v[129:130], v[129:130], v146
	v_add_f64 v[131:132], v[133:134], v[131:132]
	s_delay_alu instid0(VALU_DEP_2) | instskip(SKIP_1) | instid1(VALU_DEP_3)
	v_add_f64 v[144:145], v[129:130], 1.0
	v_add_f64 v[150:151], v[129:130], -1.0
	v_ldexp_f64 v[131:132], v[131:132], v146
	s_delay_alu instid0(VALU_DEP_3) | instskip(NEXT) | instid1(VALU_DEP_3)
	v_add_f64 v[133:134], v[144:145], -1.0
	v_add_f64 v[160:161], v[150:151], 1.0
	s_delay_alu instid0(VALU_DEP_2) | instskip(NEXT) | instid1(VALU_DEP_2)
	v_add_f64 v[133:134], v[129:130], -v[133:134]
	v_add_f64 v[129:130], v[129:130], -v[160:161]
	s_delay_alu instid0(VALU_DEP_2) | instskip(NEXT) | instid1(VALU_DEP_2)
	v_add_f64 v[133:134], v[131:132], v[133:134]
	v_add_f64 v[129:130], v[131:132], v[129:130]
	s_delay_alu instid0(VALU_DEP_2) | instskip(NEXT) | instid1(VALU_DEP_2)
	v_add_f64 v[146:147], v[144:145], v[133:134]
	v_add_f64 v[160:161], v[150:151], v[129:130]
	s_delay_alu instid0(VALU_DEP_2) | instskip(SKIP_1) | instid1(VALU_DEP_2)
	v_rcp_f64_e32 v[148:149], v[146:147]
	v_add_f64 v[144:145], v[146:147], -v[144:145]
	v_add_f64 v[150:151], v[160:161], -v[150:151]
	s_delay_alu instid0(VALU_DEP_2) | instskip(SKIP_3) | instid1(VALU_DEP_2)
	v_add_f64 v[133:134], v[133:134], -v[144:145]
	s_waitcnt_depctr 0xfff
	v_fma_f64 v[162:163], -v[146:147], v[148:149], 1.0
	v_add_f64 v[129:130], v[129:130], -v[150:151]
	v_fma_f64 v[148:149], v[162:163], v[148:149], v[148:149]
	s_delay_alu instid0(VALU_DEP_1) | instskip(NEXT) | instid1(VALU_DEP_1)
	v_fma_f64 v[131:132], -v[146:147], v[148:149], 1.0
	v_fma_f64 v[131:132], v[131:132], v[148:149], v[148:149]
	s_delay_alu instid0(VALU_DEP_1) | instskip(NEXT) | instid1(VALU_DEP_1)
	v_mul_f64 v[148:149], v[160:161], v[131:132]
	v_mul_f64 v[162:163], v[146:147], v[148:149]
	s_delay_alu instid0(VALU_DEP_1) | instskip(NEXT) | instid1(VALU_DEP_1)
	v_fma_f64 v[144:145], v[148:149], v[146:147], -v[162:163]
	v_fma_f64 v[144:145], v[148:149], v[133:134], v[144:145]
	s_delay_alu instid0(VALU_DEP_1) | instskip(NEXT) | instid1(VALU_DEP_1)
	v_add_f64 v[164:165], v[162:163], v[144:145]
	v_add_f64 v[209:210], v[160:161], -v[164:165]
	v_add_f64 v[150:151], v[164:165], -v[162:163]
	s_delay_alu instid0(VALU_DEP_2) | instskip(NEXT) | instid1(VALU_DEP_2)
	v_add_f64 v[160:161], v[160:161], -v[209:210]
	v_add_f64 v[144:145], v[150:151], -v[144:145]
	s_delay_alu instid0(VALU_DEP_2) | instskip(NEXT) | instid1(VALU_DEP_1)
	v_add_f64 v[160:161], v[160:161], -v[164:165]
	v_add_f64 v[129:130], v[129:130], v[160:161]
	s_delay_alu instid0(VALU_DEP_1) | instskip(NEXT) | instid1(VALU_DEP_1)
	v_add_f64 v[129:130], v[144:145], v[129:130]
	v_add_f64 v[144:145], v[209:210], v[129:130]
	s_delay_alu instid0(VALU_DEP_1) | instskip(SKIP_1) | instid1(VALU_DEP_2)
	v_mul_f64 v[150:151], v[131:132], v[144:145]
	v_add_f64 v[164:165], v[209:210], -v[144:145]
	v_mul_f64 v[160:161], v[146:147], v[150:151]
	s_delay_alu instid0(VALU_DEP_2) | instskip(NEXT) | instid1(VALU_DEP_2)
	v_add_f64 v[129:130], v[129:130], v[164:165]
	v_fma_f64 v[146:147], v[150:151], v[146:147], -v[160:161]
	s_delay_alu instid0(VALU_DEP_1) | instskip(NEXT) | instid1(VALU_DEP_1)
	v_fma_f64 v[133:134], v[150:151], v[133:134], v[146:147]
	v_add_f64 v[146:147], v[160:161], v[133:134]
	s_delay_alu instid0(VALU_DEP_1) | instskip(SKIP_1) | instid1(VALU_DEP_2)
	v_add_f64 v[162:163], v[144:145], -v[146:147]
	v_add_f64 v[160:161], v[146:147], -v[160:161]
	;; [unrolled: 1-line block ×3, first 2 shown]
	s_delay_alu instid0(VALU_DEP_2) | instskip(NEXT) | instid1(VALU_DEP_2)
	v_add_f64 v[133:134], v[160:161], -v[133:134]
	v_add_f64 v[144:145], v[144:145], -v[146:147]
	s_delay_alu instid0(VALU_DEP_1) | instskip(SKIP_1) | instid1(VALU_DEP_2)
	v_add_f64 v[129:130], v[129:130], v[144:145]
	v_add_f64 v[144:145], v[148:149], v[150:151]
	;; [unrolled: 1-line block ×3, first 2 shown]
	s_delay_alu instid0(VALU_DEP_2) | instskip(NEXT) | instid1(VALU_DEP_2)
	v_add_f64 v[133:134], v[144:145], -v[148:149]
	v_add_f64 v[129:130], v[162:163], v[129:130]
	s_delay_alu instid0(VALU_DEP_2) | instskip(NEXT) | instid1(VALU_DEP_2)
	v_add_f64 v[133:134], v[150:151], -v[133:134]
	v_mul_f64 v[129:130], v[131:132], v[129:130]
	s_delay_alu instid0(VALU_DEP_1) | instskip(NEXT) | instid1(VALU_DEP_1)
	v_add_f64 v[129:130], v[133:134], v[129:130]
	v_add_f64 v[131:132], v[144:145], v[129:130]
	s_delay_alu instid0(VALU_DEP_1) | instskip(NEXT) | instid1(VALU_DEP_1)
	v_mul_f64 v[133:134], v[131:132], v[131:132]
	v_fma_f64 v[146:147], v[133:134], s[30:31], s[28:29]
	s_mov_b32 s28, 0xd7f4df2e
	s_mov_b32 s29, 0x3fc7474d
	v_mul_f64 v[148:149], v[131:132], v[133:134]
	s_delay_alu instid0(VALU_DEP_2)
	v_fma_f64 v[146:147], v[133:134], v[146:147], s[28:29]
	s_mov_b32 s28, 0x16291751
	s_mov_b32 s29, 0x3fcc71c0
	s_delay_alu instid0(VALU_DEP_1) | instid1(SALU_CYCLE_1)
	v_fma_f64 v[146:147], v[133:134], v[146:147], s[28:29]
	s_mov_b32 s28, 0x9b27acf1
	s_mov_b32 s29, 0x3fd24924
	s_delay_alu instid0(VALU_DEP_1) | instid1(SALU_CYCLE_1)
	;; [unrolled: 4-line block ×3, first 2 shown]
	v_fma_f64 v[146:147], v[133:134], v[146:147], s[28:29]
	s_delay_alu instid0(VALU_DEP_1) | instskip(SKIP_2) | instid1(VALU_DEP_3)
	v_fma_f64 v[133:134], v[133:134], v[146:147], s[24:25]
	v_ldexp_f64 v[146:147], v[131:132], 1
	v_add_f64 v[131:132], v[131:132], -v[144:145]
	v_mul_f64 v[133:134], v[148:149], v[133:134]
	v_cvt_f64_i32_e32 v[148:149], v166
	s_delay_alu instid0(VALU_DEP_3) | instskip(NEXT) | instid1(VALU_DEP_3)
	v_add_f64 v[129:130], v[129:130], -v[131:132]
	v_add_f64 v[144:145], v[146:147], v[133:134]
	s_delay_alu instid0(VALU_DEP_3) | instskip(NEXT) | instid1(VALU_DEP_3)
	v_mul_f64 v[150:151], v[148:149], s[18:19]
	v_ldexp_f64 v[129:130], v[129:130], 1
	s_delay_alu instid0(VALU_DEP_3) | instskip(NEXT) | instid1(VALU_DEP_3)
	v_add_f64 v[131:132], v[144:145], -v[146:147]
	v_fma_f64 v[146:147], v[148:149], s[18:19], -v[150:151]
	s_delay_alu instid0(VALU_DEP_2) | instskip(NEXT) | instid1(VALU_DEP_2)
	v_add_f64 v[131:132], v[133:134], -v[131:132]
	v_fma_f64 v[133:134], v[148:149], s[20:21], v[146:147]
	s_delay_alu instid0(VALU_DEP_2) | instskip(NEXT) | instid1(VALU_DEP_2)
	v_add_f64 v[129:130], v[129:130], v[131:132]
	v_add_f64 v[131:132], v[150:151], v[133:134]
	s_delay_alu instid0(VALU_DEP_2) | instskip(NEXT) | instid1(VALU_DEP_2)
	v_add_f64 v[146:147], v[144:145], v[129:130]
	v_add_f64 v[150:151], v[131:132], -v[150:151]
	s_delay_alu instid0(VALU_DEP_2) | instskip(SKIP_1) | instid1(VALU_DEP_3)
	v_add_f64 v[148:149], v[131:132], v[146:147]
	v_add_f64 v[144:145], v[146:147], -v[144:145]
	v_add_f64 v[133:134], v[133:134], -v[150:151]
	s_delay_alu instid0(VALU_DEP_3) | instskip(NEXT) | instid1(VALU_DEP_3)
	v_add_f64 v[160:161], v[148:149], -v[131:132]
	v_add_f64 v[129:130], v[129:130], -v[144:145]
	s_delay_alu instid0(VALU_DEP_2) | instskip(SKIP_1) | instid1(VALU_DEP_3)
	v_add_f64 v[162:163], v[148:149], -v[160:161]
	v_add_f64 v[144:145], v[146:147], -v[160:161]
	v_add_f64 v[146:147], v[133:134], v[129:130]
	s_delay_alu instid0(VALU_DEP_3) | instskip(NEXT) | instid1(VALU_DEP_1)
	v_add_f64 v[131:132], v[131:132], -v[162:163]
	v_add_f64 v[131:132], v[144:145], v[131:132]
	s_delay_alu instid0(VALU_DEP_3) | instskip(NEXT) | instid1(VALU_DEP_2)
	v_add_f64 v[144:145], v[146:147], -v[133:134]
	v_add_f64 v[131:132], v[146:147], v[131:132]
	s_delay_alu instid0(VALU_DEP_2) | instskip(SKIP_1) | instid1(VALU_DEP_3)
	v_add_f64 v[146:147], v[146:147], -v[144:145]
	v_add_f64 v[129:130], v[129:130], -v[144:145]
	v_add_f64 v[150:151], v[148:149], v[131:132]
	s_delay_alu instid0(VALU_DEP_3) | instskip(NEXT) | instid1(VALU_DEP_2)
	v_add_f64 v[133:134], v[133:134], -v[146:147]
	v_add_f64 v[144:145], v[150:151], -v[148:149]
	s_delay_alu instid0(VALU_DEP_2) | instskip(NEXT) | instid1(VALU_DEP_2)
	v_add_f64 v[129:130], v[129:130], v[133:134]
	v_add_f64 v[131:132], v[131:132], -v[144:145]
	s_delay_alu instid0(VALU_DEP_1) | instskip(NEXT) | instid1(VALU_DEP_1)
	v_add_f64 v[129:130], v[129:130], v[131:132]
	v_add_f64 v[129:130], v[150:151], v[129:130]
	s_delay_alu instid0(VALU_DEP_1) | instskip(NEXT) | instid1(VALU_DEP_2)
	v_cndmask_b32_e64 v129, v129, v48, s15
	v_cndmask_b32_e64 v130, v130, v49, s15
	v_cmp_ngt_f64_e64 s15, -1.0, v[48:49]
	s_delay_alu instid0(VALU_DEP_1) | instskip(SKIP_1) | instid1(VALU_DEP_1)
	v_cndmask_b32_e64 v130, 0x7ff80000, v130, s15
	v_cmp_nge_f64_e64 s15, -1.0, v[48:49]
	v_cndmask_b32_e64 v129, 0, v129, s15
	v_cmp_neq_f64_e64 s15, -1.0, v[48:49]
	s_delay_alu instid0(VALU_DEP_1) | instskip(NEXT) | instid1(VALU_DEP_1)
	v_cndmask_b32_e64 v130, 0xfff00000, v130, s15
	v_add_f64 v[48:49], v[30:31], v[129:130]
.LBB8_286:
	s_or_b32 exec_lo, exec_lo, s26
	v_max_f64 v[30:31], v[66:67], v[66:67]
	s_delay_alu instid0(VALU_DEP_2) | instskip(SKIP_2) | instid1(VALU_DEP_3)
	v_max_f64 v[129:130], v[48:49], v[48:49]
	v_cmp_u_f64_e64 s17, v[48:49], v[48:49]
	v_cmp_u_f64_e64 s15, v[66:67], v[66:67]
	v_min_f64 v[131:132], v[129:130], v[30:31]
	v_max_f64 v[129:130], v[129:130], v[30:31]
	s_delay_alu instid0(VALU_DEP_2) | instskip(NEXT) | instid1(VALU_DEP_3)
	v_cndmask_b32_e64 v131, v131, v48, s17
	v_cndmask_b32_e64 v132, v132, v49, s17
	s_delay_alu instid0(VALU_DEP_3) | instskip(NEXT) | instid1(VALU_DEP_4)
	v_cndmask_b32_e64 v130, v130, v49, s17
	v_cndmask_b32_e64 v129, v129, v48, s17
	s_delay_alu instid0(VALU_DEP_4) | instskip(NEXT) | instid1(VALU_DEP_4)
	v_cndmask_b32_e64 v131, v131, v66, s15
	v_cndmask_b32_e64 v132, v132, v67, s15
	s_delay_alu instid0(VALU_DEP_4) | instskip(NEXT) | instid1(VALU_DEP_4)
	v_cndmask_b32_e64 v130, v130, v67, s15
	v_cndmask_b32_e64 v129, v129, v66, s15
	s_delay_alu instid0(VALU_DEP_3) | instskip(NEXT) | instid1(VALU_DEP_2)
	v_cmp_class_f64_e64 s18, v[131:132], 0x1f8
	v_cmp_neq_f64_e64 s17, v[131:132], v[129:130]
	s_delay_alu instid0(VALU_DEP_1) | instskip(NEXT) | instid1(SALU_CYCLE_1)
	s_or_b32 s17, s17, s18
	s_and_saveexec_b32 s26, s17
	s_cbranch_execz .LBB8_288
; %bb.287:
	v_add_f64 v[48:49], v[131:132], -v[129:130]
	s_mov_b32 s18, 0x652b82fe
	s_mov_b32 s19, 0x3ff71547
	;; [unrolled: 1-line block ×10, first 2 shown]
	s_delay_alu instid0(VALU_DEP_1) | instskip(SKIP_3) | instid1(VALU_DEP_2)
	v_mul_f64 v[131:132], v[48:49], s[18:19]
	s_mov_b32 s18, 0xfca7ab0c
	s_mov_b32 s19, 0x3e928af3
	v_cmp_nlt_f64_e64 s17, 0x40900000, v[48:49]
	v_rndne_f64_e32 v[131:132], v[131:132]
	s_delay_alu instid0(VALU_DEP_1) | instskip(SKIP_2) | instid1(VALU_DEP_2)
	v_fma_f64 v[133:134], v[131:132], s[20:21], v[48:49]
	v_cvt_i32_f64_e32 v146, v[131:132]
	s_mov_b32 s21, 0x3fe62e42
	v_fma_f64 v[133:134], v[131:132], s[24:25], v[133:134]
	s_mov_b32 s25, 0x3c7abc9e
	s_delay_alu instid0(VALU_DEP_1) | instskip(SKIP_4) | instid1(VALU_DEP_1)
	v_fma_f64 v[144:145], v[133:134], s[28:29], s[18:19]
	s_mov_b32 s18, 0x623fde64
	s_mov_b32 s19, 0x3ec71dee
	;; [unrolled: 1-line block ×4, first 2 shown]
	v_fma_f64 v[144:145], v[133:134], v[144:145], s[18:19]
	s_mov_b32 s18, 0x7c89e6b0
	s_mov_b32 s19, 0x3efa0199
	s_delay_alu instid0(VALU_DEP_1) | instid1(SALU_CYCLE_1)
	v_fma_f64 v[144:145], v[133:134], v[144:145], s[18:19]
	s_mov_b32 s18, 0x14761f6e
	s_mov_b32 s19, 0x3f2a01a0
	s_delay_alu instid0(VALU_DEP_1) | instid1(SALU_CYCLE_1)
	;; [unrolled: 4-line block ×7, first 2 shown]
	v_fma_f64 v[144:145], v[133:134], v[144:145], s[18:19]
	v_cmp_ngt_f64_e64 s18, 0xc090cc00, v[48:49]
	s_mov_b32 s19, 0x3fe55555
	s_delay_alu instid0(VALU_DEP_2) | instskip(NEXT) | instid1(VALU_DEP_1)
	v_fma_f64 v[144:145], v[133:134], v[144:145], 1.0
	v_fma_f64 v[131:132], v[133:134], v[144:145], 1.0
	s_delay_alu instid0(VALU_DEP_1) | instskip(NEXT) | instid1(VALU_DEP_1)
	v_ldexp_f64 v[131:132], v[131:132], v146
	v_cndmask_b32_e64 v132, 0x7ff00000, v132, s17
	s_and_b32 s17, s18, s17
	s_delay_alu instid0(VALU_DEP_2) | instid1(SALU_CYCLE_1)
	v_cndmask_b32_e64 v48, 0, v131, s17
	s_delay_alu instid0(VALU_DEP_2) | instskip(SKIP_1) | instid1(VALU_DEP_1)
	v_cndmask_b32_e64 v49, 0, v132, s18
	s_mov_b32 s18, 0x55555555
	v_add_f64 v[131:132], v[48:49], 1.0
	s_delay_alu instid0(VALU_DEP_1) | instskip(SKIP_2) | instid1(VALU_DEP_3)
	v_frexp_mant_f64_e32 v[133:134], v[131:132]
	v_frexp_exp_i32_f64_e32 v146, v[131:132]
	v_add_f64 v[144:145], v[131:132], -1.0
	v_cmp_gt_f64_e64 s17, s[18:19], v[133:134]
	s_mov_b32 s18, 0x55555780
	s_delay_alu instid0(VALU_DEP_2) | instskip(SKIP_1) | instid1(VALU_DEP_3)
	v_add_f64 v[133:134], v[144:145], -v[131:132]
	v_add_f64 v[144:145], v[48:49], -v[144:145]
	v_subrev_co_ci_u32_e64 v166, s17, 0, v146, s17
	s_delay_alu instid0(VALU_DEP_3) | instskip(SKIP_1) | instid1(VALU_DEP_3)
	v_add_f64 v[133:134], v[133:134], 1.0
	v_cmp_eq_f64_e64 s17, 0x7ff00000, v[48:49]
	v_sub_nc_u32_e32 v148, 0, v166
	s_delay_alu instid0(VALU_DEP_1) | instskip(NEXT) | instid1(VALU_DEP_4)
	v_ldexp_f64 v[131:132], v[131:132], v148
	v_add_f64 v[133:134], v[144:145], v[133:134]
	s_delay_alu instid0(VALU_DEP_2) | instskip(SKIP_1) | instid1(VALU_DEP_3)
	v_add_f64 v[146:147], v[131:132], 1.0
	v_add_f64 v[160:161], v[131:132], -1.0
	v_ldexp_f64 v[133:134], v[133:134], v148
	s_delay_alu instid0(VALU_DEP_3) | instskip(NEXT) | instid1(VALU_DEP_3)
	v_add_f64 v[144:145], v[146:147], -1.0
	v_add_f64 v[162:163], v[160:161], 1.0
	s_delay_alu instid0(VALU_DEP_2) | instskip(NEXT) | instid1(VALU_DEP_2)
	v_add_f64 v[144:145], v[131:132], -v[144:145]
	v_add_f64 v[131:132], v[131:132], -v[162:163]
	s_delay_alu instid0(VALU_DEP_2) | instskip(NEXT) | instid1(VALU_DEP_2)
	v_add_f64 v[144:145], v[133:134], v[144:145]
	v_add_f64 v[131:132], v[133:134], v[131:132]
	s_delay_alu instid0(VALU_DEP_2) | instskip(NEXT) | instid1(VALU_DEP_2)
	v_add_f64 v[148:149], v[146:147], v[144:145]
	v_add_f64 v[162:163], v[160:161], v[131:132]
	s_delay_alu instid0(VALU_DEP_2) | instskip(SKIP_1) | instid1(VALU_DEP_2)
	v_rcp_f64_e32 v[150:151], v[148:149]
	v_add_f64 v[146:147], v[148:149], -v[146:147]
	v_add_f64 v[160:161], v[162:163], -v[160:161]
	s_delay_alu instid0(VALU_DEP_2) | instskip(SKIP_3) | instid1(VALU_DEP_2)
	v_add_f64 v[144:145], v[144:145], -v[146:147]
	s_waitcnt_depctr 0xfff
	v_fma_f64 v[164:165], -v[148:149], v[150:151], 1.0
	v_add_f64 v[131:132], v[131:132], -v[160:161]
	v_fma_f64 v[150:151], v[164:165], v[150:151], v[150:151]
	s_delay_alu instid0(VALU_DEP_1) | instskip(NEXT) | instid1(VALU_DEP_1)
	v_fma_f64 v[133:134], -v[148:149], v[150:151], 1.0
	v_fma_f64 v[133:134], v[133:134], v[150:151], v[150:151]
	s_delay_alu instid0(VALU_DEP_1) | instskip(NEXT) | instid1(VALU_DEP_1)
	v_mul_f64 v[150:151], v[162:163], v[133:134]
	v_mul_f64 v[164:165], v[148:149], v[150:151]
	s_delay_alu instid0(VALU_DEP_1) | instskip(NEXT) | instid1(VALU_DEP_1)
	v_fma_f64 v[146:147], v[150:151], v[148:149], -v[164:165]
	v_fma_f64 v[146:147], v[150:151], v[144:145], v[146:147]
	s_delay_alu instid0(VALU_DEP_1) | instskip(NEXT) | instid1(VALU_DEP_1)
	v_add_f64 v[209:210], v[164:165], v[146:147]
	v_add_f64 v[211:212], v[162:163], -v[209:210]
	v_add_f64 v[160:161], v[209:210], -v[164:165]
	s_delay_alu instid0(VALU_DEP_2) | instskip(NEXT) | instid1(VALU_DEP_2)
	v_add_f64 v[162:163], v[162:163], -v[211:212]
	v_add_f64 v[146:147], v[160:161], -v[146:147]
	s_delay_alu instid0(VALU_DEP_2) | instskip(NEXT) | instid1(VALU_DEP_1)
	v_add_f64 v[162:163], v[162:163], -v[209:210]
	v_add_f64 v[131:132], v[131:132], v[162:163]
	s_delay_alu instid0(VALU_DEP_1) | instskip(NEXT) | instid1(VALU_DEP_1)
	v_add_f64 v[131:132], v[146:147], v[131:132]
	v_add_f64 v[146:147], v[211:212], v[131:132]
	s_delay_alu instid0(VALU_DEP_1) | instskip(SKIP_1) | instid1(VALU_DEP_2)
	v_mul_f64 v[160:161], v[133:134], v[146:147]
	v_add_f64 v[209:210], v[211:212], -v[146:147]
	v_mul_f64 v[162:163], v[148:149], v[160:161]
	s_delay_alu instid0(VALU_DEP_2) | instskip(NEXT) | instid1(VALU_DEP_2)
	v_add_f64 v[131:132], v[131:132], v[209:210]
	v_fma_f64 v[148:149], v[160:161], v[148:149], -v[162:163]
	s_delay_alu instid0(VALU_DEP_1) | instskip(NEXT) | instid1(VALU_DEP_1)
	v_fma_f64 v[144:145], v[160:161], v[144:145], v[148:149]
	v_add_f64 v[148:149], v[162:163], v[144:145]
	s_delay_alu instid0(VALU_DEP_1) | instskip(SKIP_1) | instid1(VALU_DEP_2)
	v_add_f64 v[164:165], v[146:147], -v[148:149]
	v_add_f64 v[162:163], v[148:149], -v[162:163]
	;; [unrolled: 1-line block ×3, first 2 shown]
	s_delay_alu instid0(VALU_DEP_2) | instskip(NEXT) | instid1(VALU_DEP_2)
	v_add_f64 v[144:145], v[162:163], -v[144:145]
	v_add_f64 v[146:147], v[146:147], -v[148:149]
	s_delay_alu instid0(VALU_DEP_1) | instskip(SKIP_1) | instid1(VALU_DEP_2)
	v_add_f64 v[131:132], v[131:132], v[146:147]
	v_add_f64 v[146:147], v[150:151], v[160:161]
	;; [unrolled: 1-line block ×3, first 2 shown]
	s_delay_alu instid0(VALU_DEP_2) | instskip(NEXT) | instid1(VALU_DEP_2)
	v_add_f64 v[144:145], v[146:147], -v[150:151]
	v_add_f64 v[131:132], v[164:165], v[131:132]
	s_delay_alu instid0(VALU_DEP_2) | instskip(NEXT) | instid1(VALU_DEP_2)
	v_add_f64 v[144:145], v[160:161], -v[144:145]
	v_mul_f64 v[131:132], v[133:134], v[131:132]
	s_delay_alu instid0(VALU_DEP_1) | instskip(NEXT) | instid1(VALU_DEP_1)
	v_add_f64 v[131:132], v[144:145], v[131:132]
	v_add_f64 v[133:134], v[146:147], v[131:132]
	s_delay_alu instid0(VALU_DEP_1) | instskip(NEXT) | instid1(VALU_DEP_1)
	v_mul_f64 v[144:145], v[133:134], v[133:134]
	v_fma_f64 v[148:149], v[144:145], s[30:31], s[28:29]
	s_mov_b32 s28, 0xd7f4df2e
	s_mov_b32 s29, 0x3fc7474d
	v_mul_f64 v[150:151], v[133:134], v[144:145]
	s_delay_alu instid0(VALU_DEP_2)
	v_fma_f64 v[148:149], v[144:145], v[148:149], s[28:29]
	s_mov_b32 s28, 0x16291751
	s_mov_b32 s29, 0x3fcc71c0
	s_delay_alu instid0(VALU_DEP_1) | instid1(SALU_CYCLE_1)
	v_fma_f64 v[148:149], v[144:145], v[148:149], s[28:29]
	s_mov_b32 s28, 0x9b27acf1
	s_mov_b32 s29, 0x3fd24924
	s_delay_alu instid0(VALU_DEP_1) | instid1(SALU_CYCLE_1)
	;; [unrolled: 4-line block ×3, first 2 shown]
	v_fma_f64 v[148:149], v[144:145], v[148:149], s[28:29]
	s_delay_alu instid0(VALU_DEP_1) | instskip(SKIP_2) | instid1(VALU_DEP_3)
	v_fma_f64 v[144:145], v[144:145], v[148:149], s[18:19]
	v_ldexp_f64 v[148:149], v[133:134], 1
	v_add_f64 v[133:134], v[133:134], -v[146:147]
	v_mul_f64 v[144:145], v[150:151], v[144:145]
	v_cvt_f64_i32_e32 v[150:151], v166
	s_delay_alu instid0(VALU_DEP_3) | instskip(NEXT) | instid1(VALU_DEP_3)
	v_add_f64 v[131:132], v[131:132], -v[133:134]
	v_add_f64 v[146:147], v[148:149], v[144:145]
	s_delay_alu instid0(VALU_DEP_3) | instskip(NEXT) | instid1(VALU_DEP_3)
	v_mul_f64 v[160:161], v[150:151], s[20:21]
	v_ldexp_f64 v[131:132], v[131:132], 1
	s_delay_alu instid0(VALU_DEP_3) | instskip(NEXT) | instid1(VALU_DEP_3)
	v_add_f64 v[133:134], v[146:147], -v[148:149]
	v_fma_f64 v[148:149], v[150:151], s[20:21], -v[160:161]
	s_delay_alu instid0(VALU_DEP_2) | instskip(NEXT) | instid1(VALU_DEP_2)
	v_add_f64 v[133:134], v[144:145], -v[133:134]
	v_fma_f64 v[144:145], v[150:151], s[24:25], v[148:149]
	s_delay_alu instid0(VALU_DEP_2) | instskip(NEXT) | instid1(VALU_DEP_2)
	v_add_f64 v[131:132], v[131:132], v[133:134]
	v_add_f64 v[133:134], v[160:161], v[144:145]
	s_delay_alu instid0(VALU_DEP_2) | instskip(NEXT) | instid1(VALU_DEP_2)
	v_add_f64 v[148:149], v[146:147], v[131:132]
	v_add_f64 v[160:161], v[133:134], -v[160:161]
	s_delay_alu instid0(VALU_DEP_2) | instskip(SKIP_1) | instid1(VALU_DEP_3)
	v_add_f64 v[150:151], v[133:134], v[148:149]
	v_add_f64 v[146:147], v[148:149], -v[146:147]
	v_add_f64 v[144:145], v[144:145], -v[160:161]
	s_delay_alu instid0(VALU_DEP_3) | instskip(NEXT) | instid1(VALU_DEP_3)
	v_add_f64 v[162:163], v[150:151], -v[133:134]
	v_add_f64 v[131:132], v[131:132], -v[146:147]
	s_delay_alu instid0(VALU_DEP_2) | instskip(SKIP_1) | instid1(VALU_DEP_3)
	v_add_f64 v[164:165], v[150:151], -v[162:163]
	v_add_f64 v[146:147], v[148:149], -v[162:163]
	v_add_f64 v[148:149], v[144:145], v[131:132]
	s_delay_alu instid0(VALU_DEP_3) | instskip(NEXT) | instid1(VALU_DEP_1)
	v_add_f64 v[133:134], v[133:134], -v[164:165]
	v_add_f64 v[133:134], v[146:147], v[133:134]
	s_delay_alu instid0(VALU_DEP_3) | instskip(NEXT) | instid1(VALU_DEP_2)
	v_add_f64 v[146:147], v[148:149], -v[144:145]
	v_add_f64 v[133:134], v[148:149], v[133:134]
	s_delay_alu instid0(VALU_DEP_2) | instskip(SKIP_1) | instid1(VALU_DEP_3)
	v_add_f64 v[148:149], v[148:149], -v[146:147]
	v_add_f64 v[131:132], v[131:132], -v[146:147]
	v_add_f64 v[160:161], v[150:151], v[133:134]
	s_delay_alu instid0(VALU_DEP_3) | instskip(NEXT) | instid1(VALU_DEP_2)
	v_add_f64 v[144:145], v[144:145], -v[148:149]
	v_add_f64 v[146:147], v[160:161], -v[150:151]
	s_delay_alu instid0(VALU_DEP_2) | instskip(NEXT) | instid1(VALU_DEP_2)
	v_add_f64 v[131:132], v[131:132], v[144:145]
	v_add_f64 v[133:134], v[133:134], -v[146:147]
	s_delay_alu instid0(VALU_DEP_1) | instskip(NEXT) | instid1(VALU_DEP_1)
	v_add_f64 v[131:132], v[131:132], v[133:134]
	v_add_f64 v[131:132], v[160:161], v[131:132]
	s_delay_alu instid0(VALU_DEP_1) | instskip(NEXT) | instid1(VALU_DEP_2)
	v_cndmask_b32_e64 v131, v131, v48, s17
	v_cndmask_b32_e64 v132, v132, v49, s17
	v_cmp_ngt_f64_e64 s17, -1.0, v[48:49]
	s_delay_alu instid0(VALU_DEP_1) | instskip(SKIP_1) | instid1(VALU_DEP_1)
	v_cndmask_b32_e64 v132, 0x7ff80000, v132, s17
	v_cmp_nge_f64_e64 s17, -1.0, v[48:49]
	v_cndmask_b32_e64 v131, 0, v131, s17
	v_cmp_neq_f64_e64 s17, -1.0, v[48:49]
	s_delay_alu instid0(VALU_DEP_1) | instskip(NEXT) | instid1(VALU_DEP_1)
	v_cndmask_b32_e64 v132, 0xfff00000, v132, s17
	v_add_f64 v[48:49], v[129:130], v[131:132]
.LBB8_288:
	s_or_b32 exec_lo, exec_lo, s26
	v_mbcnt_lo_u32_b32 v144, -1, 0
	s_delay_alu instid0(VALU_DEP_2) | instskip(NEXT) | instid1(VALU_DEP_3)
	v_mov_b32_dpp v129, v48 row_shr:1 row_mask:0xf bank_mask:0xf
	v_mov_b32_dpp v130, v49 row_shr:1 row_mask:0xf bank_mask:0xf
	v_mov_b32_e32 v131, v48
	s_mov_b32 s26, exec_lo
	v_dual_mov_b32 v132, v49 :: v_dual_and_b32 v133, 15, v144
	s_delay_alu instid0(VALU_DEP_1)
	v_cmpx_ne_u32_e32 0, v133
	s_cbranch_execz .LBB8_292
; %bb.289:
	v_max_f64 v[131:132], v[129:130], v[129:130]
	v_max_f64 v[145:146], v[48:49], v[48:49]
	v_cmp_u_f64_e64 s17, v[129:130], v[129:130]
	v_cmp_u_f64_e64 s18, v[48:49], v[48:49]
	s_delay_alu instid0(VALU_DEP_3) | instskip(SKIP_1) | instid1(VALU_DEP_2)
	v_min_f64 v[147:148], v[131:132], v[145:146]
	v_max_f64 v[131:132], v[131:132], v[145:146]
	v_cndmask_b32_e64 v134, v147, v129, s17
	s_delay_alu instid0(VALU_DEP_3) | instskip(NEXT) | instid1(VALU_DEP_3)
	v_cndmask_b32_e64 v145, v148, v130, s17
	v_cndmask_b32_e64 v146, v132, v130, s17
	s_delay_alu instid0(VALU_DEP_4) | instskip(NEXT) | instid1(VALU_DEP_4)
	v_cndmask_b32_e64 v147, v131, v129, s17
	v_cndmask_b32_e64 v131, v134, v48, s18
	s_delay_alu instid0(VALU_DEP_4) | instskip(NEXT) | instid1(VALU_DEP_4)
	v_cndmask_b32_e64 v132, v145, v49, s18
	v_cndmask_b32_e64 v49, v146, v49, s18
	s_delay_alu instid0(VALU_DEP_4) | instskip(NEXT) | instid1(VALU_DEP_3)
	v_cndmask_b32_e64 v48, v147, v48, s18
	v_cmp_class_f64_e64 s18, v[131:132], 0x1f8
	s_delay_alu instid0(VALU_DEP_2) | instskip(NEXT) | instid1(VALU_DEP_1)
	v_cmp_neq_f64_e64 s17, v[131:132], v[48:49]
	s_or_b32 s17, s17, s18
	s_delay_alu instid0(SALU_CYCLE_1)
	s_and_saveexec_b32 s27, s17
	s_cbranch_execz .LBB8_291
; %bb.290:
	v_add_f64 v[129:130], v[131:132], -v[48:49]
	s_mov_b32 s18, 0x652b82fe
	s_mov_b32 s19, 0x3ff71547
	s_mov_b32 s21, 0xbfe62e42
	s_mov_b32 s20, 0xfefa39ef
	s_mov_b32 s25, 0xbc7abc9e
	s_mov_b32 s24, 0x3b39803f
	s_mov_b32 s28, 0x6a5dcb37
	s_mov_b32 s29, 0x3e5ade15
	s_mov_b32 s30, 0xbf559e2b
	s_mov_b32 s31, 0x3fc3ab76
	s_delay_alu instid0(VALU_DEP_1) | instskip(SKIP_3) | instid1(VALU_DEP_2)
	v_mul_f64 v[131:132], v[129:130], s[18:19]
	s_mov_b32 s18, 0xfca7ab0c
	s_mov_b32 s19, 0x3e928af3
	v_cmp_nlt_f64_e64 s17, 0x40900000, v[129:130]
	v_rndne_f64_e32 v[131:132], v[131:132]
	s_delay_alu instid0(VALU_DEP_1) | instskip(SKIP_2) | instid1(VALU_DEP_2)
	v_fma_f64 v[145:146], v[131:132], s[20:21], v[129:130]
	v_cvt_i32_f64_e32 v134, v[131:132]
	s_mov_b32 s21, 0x3fe62e42
	v_fma_f64 v[145:146], v[131:132], s[24:25], v[145:146]
	s_mov_b32 s25, 0x3c7abc9e
	s_delay_alu instid0(VALU_DEP_1) | instskip(SKIP_4) | instid1(VALU_DEP_1)
	v_fma_f64 v[147:148], v[145:146], s[28:29], s[18:19]
	s_mov_b32 s18, 0x623fde64
	s_mov_b32 s19, 0x3ec71dee
	;; [unrolled: 1-line block ×4, first 2 shown]
	v_fma_f64 v[147:148], v[145:146], v[147:148], s[18:19]
	s_mov_b32 s18, 0x7c89e6b0
	s_mov_b32 s19, 0x3efa0199
	s_delay_alu instid0(VALU_DEP_1) | instid1(SALU_CYCLE_1)
	v_fma_f64 v[147:148], v[145:146], v[147:148], s[18:19]
	s_mov_b32 s18, 0x14761f6e
	s_mov_b32 s19, 0x3f2a01a0
	s_delay_alu instid0(VALU_DEP_1) | instid1(SALU_CYCLE_1)
	;; [unrolled: 4-line block ×7, first 2 shown]
	v_fma_f64 v[147:148], v[145:146], v[147:148], s[18:19]
	v_cmp_ngt_f64_e64 s18, 0xc090cc00, v[129:130]
	s_mov_b32 s19, 0x3fe55555
	s_delay_alu instid0(VALU_DEP_2) | instskip(NEXT) | instid1(VALU_DEP_1)
	v_fma_f64 v[147:148], v[145:146], v[147:148], 1.0
	v_fma_f64 v[131:132], v[145:146], v[147:148], 1.0
	s_delay_alu instid0(VALU_DEP_1) | instskip(NEXT) | instid1(VALU_DEP_1)
	v_ldexp_f64 v[131:132], v[131:132], v134
	v_cndmask_b32_e64 v132, 0x7ff00000, v132, s17
	s_and_b32 s17, s18, s17
	s_delay_alu instid0(VALU_DEP_2) | instid1(SALU_CYCLE_1)
	v_cndmask_b32_e64 v129, 0, v131, s17
	s_delay_alu instid0(VALU_DEP_2) | instskip(SKIP_1) | instid1(VALU_DEP_1)
	v_cndmask_b32_e64 v130, 0, v132, s18
	s_mov_b32 s18, 0x55555555
	v_add_f64 v[131:132], v[129:130], 1.0
	s_delay_alu instid0(VALU_DEP_1) | instskip(SKIP_2) | instid1(VALU_DEP_3)
	v_frexp_mant_f64_e32 v[145:146], v[131:132]
	v_frexp_exp_i32_f64_e32 v134, v[131:132]
	v_add_f64 v[147:148], v[131:132], -1.0
	v_cmp_gt_f64_e64 s17, s[18:19], v[145:146]
	s_mov_b32 s18, 0x55555780
	s_delay_alu instid0(VALU_DEP_2) | instskip(SKIP_1) | instid1(VALU_DEP_3)
	v_add_f64 v[145:146], v[147:148], -v[131:132]
	v_add_f64 v[147:148], v[129:130], -v[147:148]
	v_subrev_co_ci_u32_e64 v134, s17, 0, v134, s17
	s_delay_alu instid0(VALU_DEP_3) | instskip(SKIP_1) | instid1(VALU_DEP_3)
	v_add_f64 v[145:146], v[145:146], 1.0
	v_cmp_eq_f64_e64 s17, 0x7ff00000, v[129:130]
	v_sub_nc_u32_e32 v151, 0, v134
	s_delay_alu instid0(VALU_DEP_1) | instskip(NEXT) | instid1(VALU_DEP_4)
	v_ldexp_f64 v[131:132], v[131:132], v151
	v_add_f64 v[145:146], v[147:148], v[145:146]
	s_delay_alu instid0(VALU_DEP_2) | instskip(SKIP_1) | instid1(VALU_DEP_3)
	v_add_f64 v[149:150], v[131:132], 1.0
	v_add_f64 v[164:165], v[131:132], -1.0
	v_ldexp_f64 v[145:146], v[145:146], v151
	s_delay_alu instid0(VALU_DEP_3) | instskip(NEXT) | instid1(VALU_DEP_3)
	v_add_f64 v[147:148], v[149:150], -1.0
	v_add_f64 v[209:210], v[164:165], 1.0
	s_delay_alu instid0(VALU_DEP_2) | instskip(NEXT) | instid1(VALU_DEP_2)
	v_add_f64 v[147:148], v[131:132], -v[147:148]
	v_add_f64 v[131:132], v[131:132], -v[209:210]
	s_delay_alu instid0(VALU_DEP_2) | instskip(NEXT) | instid1(VALU_DEP_2)
	v_add_f64 v[147:148], v[145:146], v[147:148]
	v_add_f64 v[131:132], v[145:146], v[131:132]
	s_delay_alu instid0(VALU_DEP_2) | instskip(NEXT) | instid1(VALU_DEP_2)
	v_add_f64 v[160:161], v[149:150], v[147:148]
	v_add_f64 v[209:210], v[164:165], v[131:132]
	s_delay_alu instid0(VALU_DEP_2) | instskip(SKIP_1) | instid1(VALU_DEP_2)
	v_rcp_f64_e32 v[162:163], v[160:161]
	v_add_f64 v[149:150], v[160:161], -v[149:150]
	v_add_f64 v[164:165], v[209:210], -v[164:165]
	s_delay_alu instid0(VALU_DEP_2) | instskip(SKIP_3) | instid1(VALU_DEP_2)
	v_add_f64 v[147:148], v[147:148], -v[149:150]
	s_waitcnt_depctr 0xfff
	v_fma_f64 v[211:212], -v[160:161], v[162:163], 1.0
	v_add_f64 v[131:132], v[131:132], -v[164:165]
	v_fma_f64 v[162:163], v[211:212], v[162:163], v[162:163]
	s_delay_alu instid0(VALU_DEP_1) | instskip(NEXT) | instid1(VALU_DEP_1)
	v_fma_f64 v[145:146], -v[160:161], v[162:163], 1.0
	v_fma_f64 v[145:146], v[145:146], v[162:163], v[162:163]
	s_delay_alu instid0(VALU_DEP_1) | instskip(NEXT) | instid1(VALU_DEP_1)
	v_mul_f64 v[162:163], v[209:210], v[145:146]
	v_mul_f64 v[211:212], v[160:161], v[162:163]
	s_delay_alu instid0(VALU_DEP_1) | instskip(NEXT) | instid1(VALU_DEP_1)
	v_fma_f64 v[149:150], v[162:163], v[160:161], -v[211:212]
	v_fma_f64 v[149:150], v[162:163], v[147:148], v[149:150]
	s_delay_alu instid0(VALU_DEP_1) | instskip(NEXT) | instid1(VALU_DEP_1)
	v_add_f64 v[213:214], v[211:212], v[149:150]
	v_add_f64 v[224:225], v[209:210], -v[213:214]
	v_add_f64 v[164:165], v[213:214], -v[211:212]
	s_delay_alu instid0(VALU_DEP_2) | instskip(NEXT) | instid1(VALU_DEP_2)
	v_add_f64 v[209:210], v[209:210], -v[224:225]
	v_add_f64 v[149:150], v[164:165], -v[149:150]
	s_delay_alu instid0(VALU_DEP_2) | instskip(NEXT) | instid1(VALU_DEP_1)
	v_add_f64 v[209:210], v[209:210], -v[213:214]
	v_add_f64 v[131:132], v[131:132], v[209:210]
	s_delay_alu instid0(VALU_DEP_1) | instskip(NEXT) | instid1(VALU_DEP_1)
	v_add_f64 v[131:132], v[149:150], v[131:132]
	v_add_f64 v[149:150], v[224:225], v[131:132]
	s_delay_alu instid0(VALU_DEP_1) | instskip(SKIP_1) | instid1(VALU_DEP_2)
	v_mul_f64 v[164:165], v[145:146], v[149:150]
	v_add_f64 v[213:214], v[224:225], -v[149:150]
	v_mul_f64 v[209:210], v[160:161], v[164:165]
	s_delay_alu instid0(VALU_DEP_2) | instskip(NEXT) | instid1(VALU_DEP_2)
	v_add_f64 v[131:132], v[131:132], v[213:214]
	v_fma_f64 v[160:161], v[164:165], v[160:161], -v[209:210]
	s_delay_alu instid0(VALU_DEP_1) | instskip(NEXT) | instid1(VALU_DEP_1)
	v_fma_f64 v[147:148], v[164:165], v[147:148], v[160:161]
	v_add_f64 v[160:161], v[209:210], v[147:148]
	s_delay_alu instid0(VALU_DEP_1) | instskip(SKIP_1) | instid1(VALU_DEP_2)
	v_add_f64 v[211:212], v[149:150], -v[160:161]
	v_add_f64 v[209:210], v[160:161], -v[209:210]
	v_add_f64 v[149:150], v[149:150], -v[211:212]
	s_delay_alu instid0(VALU_DEP_2) | instskip(NEXT) | instid1(VALU_DEP_2)
	v_add_f64 v[147:148], v[209:210], -v[147:148]
	v_add_f64 v[149:150], v[149:150], -v[160:161]
	s_delay_alu instid0(VALU_DEP_1) | instskip(SKIP_1) | instid1(VALU_DEP_2)
	v_add_f64 v[131:132], v[131:132], v[149:150]
	v_add_f64 v[149:150], v[162:163], v[164:165]
	;; [unrolled: 1-line block ×3, first 2 shown]
	s_delay_alu instid0(VALU_DEP_2) | instskip(NEXT) | instid1(VALU_DEP_2)
	v_add_f64 v[147:148], v[149:150], -v[162:163]
	v_add_f64 v[131:132], v[211:212], v[131:132]
	s_delay_alu instid0(VALU_DEP_2) | instskip(NEXT) | instid1(VALU_DEP_2)
	v_add_f64 v[147:148], v[164:165], -v[147:148]
	v_mul_f64 v[131:132], v[145:146], v[131:132]
	s_delay_alu instid0(VALU_DEP_1) | instskip(NEXT) | instid1(VALU_DEP_1)
	v_add_f64 v[131:132], v[147:148], v[131:132]
	v_add_f64 v[145:146], v[149:150], v[131:132]
	s_delay_alu instid0(VALU_DEP_1) | instskip(NEXT) | instid1(VALU_DEP_1)
	v_mul_f64 v[147:148], v[145:146], v[145:146]
	v_fma_f64 v[160:161], v[147:148], s[30:31], s[28:29]
	s_mov_b32 s28, 0xd7f4df2e
	s_mov_b32 s29, 0x3fc7474d
	v_mul_f64 v[162:163], v[145:146], v[147:148]
	s_delay_alu instid0(VALU_DEP_2)
	v_fma_f64 v[160:161], v[147:148], v[160:161], s[28:29]
	s_mov_b32 s28, 0x16291751
	s_mov_b32 s29, 0x3fcc71c0
	s_delay_alu instid0(VALU_DEP_1) | instid1(SALU_CYCLE_1)
	v_fma_f64 v[160:161], v[147:148], v[160:161], s[28:29]
	s_mov_b32 s28, 0x9b27acf1
	s_mov_b32 s29, 0x3fd24924
	s_delay_alu instid0(VALU_DEP_1) | instid1(SALU_CYCLE_1)
	;; [unrolled: 4-line block ×3, first 2 shown]
	v_fma_f64 v[160:161], v[147:148], v[160:161], s[28:29]
	s_delay_alu instid0(VALU_DEP_1) | instskip(SKIP_2) | instid1(VALU_DEP_3)
	v_fma_f64 v[147:148], v[147:148], v[160:161], s[18:19]
	v_ldexp_f64 v[160:161], v[145:146], 1
	v_add_f64 v[145:146], v[145:146], -v[149:150]
	v_mul_f64 v[147:148], v[162:163], v[147:148]
	v_cvt_f64_i32_e32 v[162:163], v134
	s_delay_alu instid0(VALU_DEP_3) | instskip(NEXT) | instid1(VALU_DEP_3)
	v_add_f64 v[131:132], v[131:132], -v[145:146]
	v_add_f64 v[149:150], v[160:161], v[147:148]
	s_delay_alu instid0(VALU_DEP_3) | instskip(NEXT) | instid1(VALU_DEP_3)
	v_mul_f64 v[164:165], v[162:163], s[20:21]
	v_ldexp_f64 v[131:132], v[131:132], 1
	s_delay_alu instid0(VALU_DEP_3) | instskip(NEXT) | instid1(VALU_DEP_3)
	v_add_f64 v[145:146], v[149:150], -v[160:161]
	v_fma_f64 v[160:161], v[162:163], s[20:21], -v[164:165]
	s_delay_alu instid0(VALU_DEP_2) | instskip(NEXT) | instid1(VALU_DEP_2)
	v_add_f64 v[145:146], v[147:148], -v[145:146]
	v_fma_f64 v[147:148], v[162:163], s[24:25], v[160:161]
	s_delay_alu instid0(VALU_DEP_2) | instskip(NEXT) | instid1(VALU_DEP_2)
	v_add_f64 v[131:132], v[131:132], v[145:146]
	v_add_f64 v[145:146], v[164:165], v[147:148]
	s_delay_alu instid0(VALU_DEP_2) | instskip(NEXT) | instid1(VALU_DEP_2)
	v_add_f64 v[160:161], v[149:150], v[131:132]
	v_add_f64 v[164:165], v[145:146], -v[164:165]
	s_delay_alu instid0(VALU_DEP_2) | instskip(SKIP_1) | instid1(VALU_DEP_3)
	v_add_f64 v[162:163], v[145:146], v[160:161]
	v_add_f64 v[149:150], v[160:161], -v[149:150]
	v_add_f64 v[147:148], v[147:148], -v[164:165]
	s_delay_alu instid0(VALU_DEP_3) | instskip(NEXT) | instid1(VALU_DEP_3)
	v_add_f64 v[209:210], v[162:163], -v[145:146]
	v_add_f64 v[131:132], v[131:132], -v[149:150]
	s_delay_alu instid0(VALU_DEP_2) | instskip(SKIP_1) | instid1(VALU_DEP_3)
	v_add_f64 v[211:212], v[162:163], -v[209:210]
	v_add_f64 v[149:150], v[160:161], -v[209:210]
	v_add_f64 v[160:161], v[147:148], v[131:132]
	s_delay_alu instid0(VALU_DEP_3) | instskip(NEXT) | instid1(VALU_DEP_1)
	v_add_f64 v[145:146], v[145:146], -v[211:212]
	v_add_f64 v[145:146], v[149:150], v[145:146]
	s_delay_alu instid0(VALU_DEP_3) | instskip(NEXT) | instid1(VALU_DEP_2)
	v_add_f64 v[149:150], v[160:161], -v[147:148]
	v_add_f64 v[145:146], v[160:161], v[145:146]
	s_delay_alu instid0(VALU_DEP_2) | instskip(SKIP_1) | instid1(VALU_DEP_3)
	v_add_f64 v[160:161], v[160:161], -v[149:150]
	v_add_f64 v[131:132], v[131:132], -v[149:150]
	v_add_f64 v[164:165], v[162:163], v[145:146]
	s_delay_alu instid0(VALU_DEP_3) | instskip(NEXT) | instid1(VALU_DEP_2)
	v_add_f64 v[147:148], v[147:148], -v[160:161]
	v_add_f64 v[149:150], v[164:165], -v[162:163]
	s_delay_alu instid0(VALU_DEP_2) | instskip(NEXT) | instid1(VALU_DEP_2)
	v_add_f64 v[131:132], v[131:132], v[147:148]
	v_add_f64 v[145:146], v[145:146], -v[149:150]
	s_delay_alu instid0(VALU_DEP_1) | instskip(NEXT) | instid1(VALU_DEP_1)
	v_add_f64 v[131:132], v[131:132], v[145:146]
	v_add_f64 v[131:132], v[164:165], v[131:132]
	s_delay_alu instid0(VALU_DEP_1) | instskip(NEXT) | instid1(VALU_DEP_2)
	v_cndmask_b32_e64 v131, v131, v129, s17
	v_cndmask_b32_e64 v132, v132, v130, s17
	v_cmp_ngt_f64_e64 s17, -1.0, v[129:130]
	s_delay_alu instid0(VALU_DEP_1) | instskip(SKIP_1) | instid1(VALU_DEP_1)
	v_cndmask_b32_e64 v132, 0x7ff80000, v132, s17
	v_cmp_nge_f64_e64 s17, -1.0, v[129:130]
	v_cndmask_b32_e64 v131, 0, v131, s17
	v_cmp_neq_f64_e64 s17, -1.0, v[129:130]
	s_delay_alu instid0(VALU_DEP_1) | instskip(NEXT) | instid1(VALU_DEP_1)
	v_cndmask_b32_e64 v132, 0xfff00000, v132, s17
	v_add_f64 v[129:130], v[48:49], v[131:132]
.LBB8_291:
	s_or_b32 exec_lo, exec_lo, s27
	s_delay_alu instid0(VALU_DEP_1)
	v_dual_mov_b32 v131, v129 :: v_dual_mov_b32 v132, v130
	v_dual_mov_b32 v48, v129 :: v_dual_mov_b32 v49, v130
.LBB8_292:
	s_or_b32 exec_lo, exec_lo, s26
	s_delay_alu instid0(VALU_DEP_2) | instskip(NEXT) | instid1(VALU_DEP_3)
	v_mov_b32_dpp v129, v131 row_shr:2 row_mask:0xf bank_mask:0xf
	v_mov_b32_dpp v130, v132 row_shr:2 row_mask:0xf bank_mask:0xf
	s_mov_b32 s26, exec_lo
	v_cmpx_lt_u32_e32 1, v133
	s_cbranch_execz .LBB8_296
; %bb.293:
	s_delay_alu instid0(VALU_DEP_2) | instskip(SKIP_3) | instid1(VALU_DEP_3)
	v_max_f64 v[131:132], v[129:130], v[129:130]
	v_max_f64 v[145:146], v[48:49], v[48:49]
	v_cmp_u_f64_e64 s17, v[129:130], v[129:130]
	v_cmp_u_f64_e64 s18, v[48:49], v[48:49]
	v_min_f64 v[147:148], v[131:132], v[145:146]
	v_max_f64 v[131:132], v[131:132], v[145:146]
	s_delay_alu instid0(VALU_DEP_2) | instskip(NEXT) | instid1(VALU_DEP_3)
	v_cndmask_b32_e64 v134, v147, v129, s17
	v_cndmask_b32_e64 v145, v148, v130, s17
	s_delay_alu instid0(VALU_DEP_3) | instskip(NEXT) | instid1(VALU_DEP_4)
	v_cndmask_b32_e64 v146, v132, v130, s17
	v_cndmask_b32_e64 v147, v131, v129, s17
	s_delay_alu instid0(VALU_DEP_4) | instskip(NEXT) | instid1(VALU_DEP_4)
	v_cndmask_b32_e64 v131, v134, v48, s18
	v_cndmask_b32_e64 v132, v145, v49, s18
	s_delay_alu instid0(VALU_DEP_4) | instskip(NEXT) | instid1(VALU_DEP_4)
	v_cndmask_b32_e64 v49, v146, v49, s18
	v_cndmask_b32_e64 v48, v147, v48, s18
	s_delay_alu instid0(VALU_DEP_3) | instskip(NEXT) | instid1(VALU_DEP_2)
	v_cmp_class_f64_e64 s18, v[131:132], 0x1f8
	v_cmp_neq_f64_e64 s17, v[131:132], v[48:49]
	s_delay_alu instid0(VALU_DEP_1) | instskip(NEXT) | instid1(SALU_CYCLE_1)
	s_or_b32 s17, s17, s18
	s_and_saveexec_b32 s27, s17
	s_cbranch_execz .LBB8_295
; %bb.294:
	v_add_f64 v[129:130], v[131:132], -v[48:49]
	s_mov_b32 s18, 0x652b82fe
	s_mov_b32 s19, 0x3ff71547
	;; [unrolled: 1-line block ×10, first 2 shown]
	s_delay_alu instid0(VALU_DEP_1) | instskip(SKIP_3) | instid1(VALU_DEP_2)
	v_mul_f64 v[131:132], v[129:130], s[18:19]
	s_mov_b32 s18, 0xfca7ab0c
	s_mov_b32 s19, 0x3e928af3
	v_cmp_nlt_f64_e64 s17, 0x40900000, v[129:130]
	v_rndne_f64_e32 v[131:132], v[131:132]
	s_delay_alu instid0(VALU_DEP_1) | instskip(SKIP_2) | instid1(VALU_DEP_2)
	v_fma_f64 v[145:146], v[131:132], s[20:21], v[129:130]
	v_cvt_i32_f64_e32 v134, v[131:132]
	s_mov_b32 s21, 0x3fe62e42
	v_fma_f64 v[145:146], v[131:132], s[24:25], v[145:146]
	s_mov_b32 s25, 0x3c7abc9e
	s_delay_alu instid0(VALU_DEP_1) | instskip(SKIP_4) | instid1(VALU_DEP_1)
	v_fma_f64 v[147:148], v[145:146], s[28:29], s[18:19]
	s_mov_b32 s18, 0x623fde64
	s_mov_b32 s19, 0x3ec71dee
	;; [unrolled: 1-line block ×4, first 2 shown]
	v_fma_f64 v[147:148], v[145:146], v[147:148], s[18:19]
	s_mov_b32 s18, 0x7c89e6b0
	s_mov_b32 s19, 0x3efa0199
	s_delay_alu instid0(VALU_DEP_1) | instid1(SALU_CYCLE_1)
	v_fma_f64 v[147:148], v[145:146], v[147:148], s[18:19]
	s_mov_b32 s18, 0x14761f6e
	s_mov_b32 s19, 0x3f2a01a0
	s_delay_alu instid0(VALU_DEP_1) | instid1(SALU_CYCLE_1)
	;; [unrolled: 4-line block ×7, first 2 shown]
	v_fma_f64 v[147:148], v[145:146], v[147:148], s[18:19]
	v_cmp_ngt_f64_e64 s18, 0xc090cc00, v[129:130]
	s_mov_b32 s19, 0x3fe55555
	s_delay_alu instid0(VALU_DEP_2) | instskip(NEXT) | instid1(VALU_DEP_1)
	v_fma_f64 v[147:148], v[145:146], v[147:148], 1.0
	v_fma_f64 v[131:132], v[145:146], v[147:148], 1.0
	s_delay_alu instid0(VALU_DEP_1) | instskip(NEXT) | instid1(VALU_DEP_1)
	v_ldexp_f64 v[131:132], v[131:132], v134
	v_cndmask_b32_e64 v132, 0x7ff00000, v132, s17
	s_and_b32 s17, s18, s17
	s_delay_alu instid0(VALU_DEP_2) | instid1(SALU_CYCLE_1)
	v_cndmask_b32_e64 v129, 0, v131, s17
	s_delay_alu instid0(VALU_DEP_2) | instskip(SKIP_1) | instid1(VALU_DEP_1)
	v_cndmask_b32_e64 v130, 0, v132, s18
	s_mov_b32 s18, 0x55555555
	v_add_f64 v[131:132], v[129:130], 1.0
	s_delay_alu instid0(VALU_DEP_1) | instskip(SKIP_2) | instid1(VALU_DEP_3)
	v_frexp_mant_f64_e32 v[145:146], v[131:132]
	v_frexp_exp_i32_f64_e32 v134, v[131:132]
	v_add_f64 v[147:148], v[131:132], -1.0
	v_cmp_gt_f64_e64 s17, s[18:19], v[145:146]
	s_mov_b32 s18, 0x55555780
	s_delay_alu instid0(VALU_DEP_2) | instskip(SKIP_1) | instid1(VALU_DEP_3)
	v_add_f64 v[145:146], v[147:148], -v[131:132]
	v_add_f64 v[147:148], v[129:130], -v[147:148]
	v_subrev_co_ci_u32_e64 v134, s17, 0, v134, s17
	s_delay_alu instid0(VALU_DEP_3) | instskip(SKIP_1) | instid1(VALU_DEP_3)
	v_add_f64 v[145:146], v[145:146], 1.0
	v_cmp_eq_f64_e64 s17, 0x7ff00000, v[129:130]
	v_sub_nc_u32_e32 v151, 0, v134
	s_delay_alu instid0(VALU_DEP_1) | instskip(NEXT) | instid1(VALU_DEP_4)
	v_ldexp_f64 v[131:132], v[131:132], v151
	v_add_f64 v[145:146], v[147:148], v[145:146]
	s_delay_alu instid0(VALU_DEP_2) | instskip(SKIP_1) | instid1(VALU_DEP_3)
	v_add_f64 v[149:150], v[131:132], 1.0
	v_add_f64 v[164:165], v[131:132], -1.0
	v_ldexp_f64 v[145:146], v[145:146], v151
	s_delay_alu instid0(VALU_DEP_3) | instskip(NEXT) | instid1(VALU_DEP_3)
	v_add_f64 v[147:148], v[149:150], -1.0
	v_add_f64 v[209:210], v[164:165], 1.0
	s_delay_alu instid0(VALU_DEP_2) | instskip(NEXT) | instid1(VALU_DEP_2)
	v_add_f64 v[147:148], v[131:132], -v[147:148]
	v_add_f64 v[131:132], v[131:132], -v[209:210]
	s_delay_alu instid0(VALU_DEP_2) | instskip(NEXT) | instid1(VALU_DEP_2)
	v_add_f64 v[147:148], v[145:146], v[147:148]
	v_add_f64 v[131:132], v[145:146], v[131:132]
	s_delay_alu instid0(VALU_DEP_2) | instskip(NEXT) | instid1(VALU_DEP_2)
	v_add_f64 v[160:161], v[149:150], v[147:148]
	v_add_f64 v[209:210], v[164:165], v[131:132]
	s_delay_alu instid0(VALU_DEP_2) | instskip(SKIP_1) | instid1(VALU_DEP_2)
	v_rcp_f64_e32 v[162:163], v[160:161]
	v_add_f64 v[149:150], v[160:161], -v[149:150]
	v_add_f64 v[164:165], v[209:210], -v[164:165]
	s_delay_alu instid0(VALU_DEP_2) | instskip(SKIP_3) | instid1(VALU_DEP_2)
	v_add_f64 v[147:148], v[147:148], -v[149:150]
	s_waitcnt_depctr 0xfff
	v_fma_f64 v[211:212], -v[160:161], v[162:163], 1.0
	v_add_f64 v[131:132], v[131:132], -v[164:165]
	v_fma_f64 v[162:163], v[211:212], v[162:163], v[162:163]
	s_delay_alu instid0(VALU_DEP_1) | instskip(NEXT) | instid1(VALU_DEP_1)
	v_fma_f64 v[145:146], -v[160:161], v[162:163], 1.0
	v_fma_f64 v[145:146], v[145:146], v[162:163], v[162:163]
	s_delay_alu instid0(VALU_DEP_1) | instskip(NEXT) | instid1(VALU_DEP_1)
	v_mul_f64 v[162:163], v[209:210], v[145:146]
	v_mul_f64 v[211:212], v[160:161], v[162:163]
	s_delay_alu instid0(VALU_DEP_1) | instskip(NEXT) | instid1(VALU_DEP_1)
	v_fma_f64 v[149:150], v[162:163], v[160:161], -v[211:212]
	v_fma_f64 v[149:150], v[162:163], v[147:148], v[149:150]
	s_delay_alu instid0(VALU_DEP_1) | instskip(NEXT) | instid1(VALU_DEP_1)
	v_add_f64 v[213:214], v[211:212], v[149:150]
	v_add_f64 v[224:225], v[209:210], -v[213:214]
	v_add_f64 v[164:165], v[213:214], -v[211:212]
	s_delay_alu instid0(VALU_DEP_2) | instskip(NEXT) | instid1(VALU_DEP_2)
	v_add_f64 v[209:210], v[209:210], -v[224:225]
	v_add_f64 v[149:150], v[164:165], -v[149:150]
	s_delay_alu instid0(VALU_DEP_2) | instskip(NEXT) | instid1(VALU_DEP_1)
	v_add_f64 v[209:210], v[209:210], -v[213:214]
	v_add_f64 v[131:132], v[131:132], v[209:210]
	s_delay_alu instid0(VALU_DEP_1) | instskip(NEXT) | instid1(VALU_DEP_1)
	v_add_f64 v[131:132], v[149:150], v[131:132]
	v_add_f64 v[149:150], v[224:225], v[131:132]
	s_delay_alu instid0(VALU_DEP_1) | instskip(SKIP_1) | instid1(VALU_DEP_2)
	v_mul_f64 v[164:165], v[145:146], v[149:150]
	v_add_f64 v[213:214], v[224:225], -v[149:150]
	v_mul_f64 v[209:210], v[160:161], v[164:165]
	s_delay_alu instid0(VALU_DEP_2) | instskip(NEXT) | instid1(VALU_DEP_2)
	v_add_f64 v[131:132], v[131:132], v[213:214]
	v_fma_f64 v[160:161], v[164:165], v[160:161], -v[209:210]
	s_delay_alu instid0(VALU_DEP_1) | instskip(NEXT) | instid1(VALU_DEP_1)
	v_fma_f64 v[147:148], v[164:165], v[147:148], v[160:161]
	v_add_f64 v[160:161], v[209:210], v[147:148]
	s_delay_alu instid0(VALU_DEP_1) | instskip(SKIP_1) | instid1(VALU_DEP_2)
	v_add_f64 v[211:212], v[149:150], -v[160:161]
	v_add_f64 v[209:210], v[160:161], -v[209:210]
	;; [unrolled: 1-line block ×3, first 2 shown]
	s_delay_alu instid0(VALU_DEP_2) | instskip(NEXT) | instid1(VALU_DEP_2)
	v_add_f64 v[147:148], v[209:210], -v[147:148]
	v_add_f64 v[149:150], v[149:150], -v[160:161]
	s_delay_alu instid0(VALU_DEP_1) | instskip(SKIP_1) | instid1(VALU_DEP_2)
	v_add_f64 v[131:132], v[131:132], v[149:150]
	v_add_f64 v[149:150], v[162:163], v[164:165]
	;; [unrolled: 1-line block ×3, first 2 shown]
	s_delay_alu instid0(VALU_DEP_2) | instskip(NEXT) | instid1(VALU_DEP_2)
	v_add_f64 v[147:148], v[149:150], -v[162:163]
	v_add_f64 v[131:132], v[211:212], v[131:132]
	s_delay_alu instid0(VALU_DEP_2) | instskip(NEXT) | instid1(VALU_DEP_2)
	v_add_f64 v[147:148], v[164:165], -v[147:148]
	v_mul_f64 v[131:132], v[145:146], v[131:132]
	s_delay_alu instid0(VALU_DEP_1) | instskip(NEXT) | instid1(VALU_DEP_1)
	v_add_f64 v[131:132], v[147:148], v[131:132]
	v_add_f64 v[145:146], v[149:150], v[131:132]
	s_delay_alu instid0(VALU_DEP_1) | instskip(NEXT) | instid1(VALU_DEP_1)
	v_mul_f64 v[147:148], v[145:146], v[145:146]
	v_fma_f64 v[160:161], v[147:148], s[30:31], s[28:29]
	s_mov_b32 s28, 0xd7f4df2e
	s_mov_b32 s29, 0x3fc7474d
	v_mul_f64 v[162:163], v[145:146], v[147:148]
	s_delay_alu instid0(VALU_DEP_2)
	v_fma_f64 v[160:161], v[147:148], v[160:161], s[28:29]
	s_mov_b32 s28, 0x16291751
	s_mov_b32 s29, 0x3fcc71c0
	s_delay_alu instid0(VALU_DEP_1) | instid1(SALU_CYCLE_1)
	v_fma_f64 v[160:161], v[147:148], v[160:161], s[28:29]
	s_mov_b32 s28, 0x9b27acf1
	s_mov_b32 s29, 0x3fd24924
	s_delay_alu instid0(VALU_DEP_1) | instid1(SALU_CYCLE_1)
	;; [unrolled: 4-line block ×3, first 2 shown]
	v_fma_f64 v[160:161], v[147:148], v[160:161], s[28:29]
	s_delay_alu instid0(VALU_DEP_1) | instskip(SKIP_2) | instid1(VALU_DEP_3)
	v_fma_f64 v[147:148], v[147:148], v[160:161], s[18:19]
	v_ldexp_f64 v[160:161], v[145:146], 1
	v_add_f64 v[145:146], v[145:146], -v[149:150]
	v_mul_f64 v[147:148], v[162:163], v[147:148]
	v_cvt_f64_i32_e32 v[162:163], v134
	s_delay_alu instid0(VALU_DEP_3) | instskip(NEXT) | instid1(VALU_DEP_3)
	v_add_f64 v[131:132], v[131:132], -v[145:146]
	v_add_f64 v[149:150], v[160:161], v[147:148]
	s_delay_alu instid0(VALU_DEP_3) | instskip(NEXT) | instid1(VALU_DEP_3)
	v_mul_f64 v[164:165], v[162:163], s[20:21]
	v_ldexp_f64 v[131:132], v[131:132], 1
	s_delay_alu instid0(VALU_DEP_3) | instskip(NEXT) | instid1(VALU_DEP_3)
	v_add_f64 v[145:146], v[149:150], -v[160:161]
	v_fma_f64 v[160:161], v[162:163], s[20:21], -v[164:165]
	s_delay_alu instid0(VALU_DEP_2) | instskip(NEXT) | instid1(VALU_DEP_2)
	v_add_f64 v[145:146], v[147:148], -v[145:146]
	v_fma_f64 v[147:148], v[162:163], s[24:25], v[160:161]
	s_delay_alu instid0(VALU_DEP_2) | instskip(NEXT) | instid1(VALU_DEP_2)
	v_add_f64 v[131:132], v[131:132], v[145:146]
	v_add_f64 v[145:146], v[164:165], v[147:148]
	s_delay_alu instid0(VALU_DEP_2) | instskip(NEXT) | instid1(VALU_DEP_2)
	v_add_f64 v[160:161], v[149:150], v[131:132]
	v_add_f64 v[164:165], v[145:146], -v[164:165]
	s_delay_alu instid0(VALU_DEP_2) | instskip(SKIP_1) | instid1(VALU_DEP_3)
	v_add_f64 v[162:163], v[145:146], v[160:161]
	v_add_f64 v[149:150], v[160:161], -v[149:150]
	v_add_f64 v[147:148], v[147:148], -v[164:165]
	s_delay_alu instid0(VALU_DEP_3) | instskip(NEXT) | instid1(VALU_DEP_3)
	v_add_f64 v[209:210], v[162:163], -v[145:146]
	v_add_f64 v[131:132], v[131:132], -v[149:150]
	s_delay_alu instid0(VALU_DEP_2) | instskip(SKIP_1) | instid1(VALU_DEP_3)
	v_add_f64 v[211:212], v[162:163], -v[209:210]
	v_add_f64 v[149:150], v[160:161], -v[209:210]
	v_add_f64 v[160:161], v[147:148], v[131:132]
	s_delay_alu instid0(VALU_DEP_3) | instskip(NEXT) | instid1(VALU_DEP_1)
	v_add_f64 v[145:146], v[145:146], -v[211:212]
	v_add_f64 v[145:146], v[149:150], v[145:146]
	s_delay_alu instid0(VALU_DEP_3) | instskip(NEXT) | instid1(VALU_DEP_2)
	v_add_f64 v[149:150], v[160:161], -v[147:148]
	v_add_f64 v[145:146], v[160:161], v[145:146]
	s_delay_alu instid0(VALU_DEP_2) | instskip(SKIP_1) | instid1(VALU_DEP_3)
	v_add_f64 v[160:161], v[160:161], -v[149:150]
	v_add_f64 v[131:132], v[131:132], -v[149:150]
	v_add_f64 v[164:165], v[162:163], v[145:146]
	s_delay_alu instid0(VALU_DEP_3) | instskip(NEXT) | instid1(VALU_DEP_2)
	v_add_f64 v[147:148], v[147:148], -v[160:161]
	v_add_f64 v[149:150], v[164:165], -v[162:163]
	s_delay_alu instid0(VALU_DEP_2) | instskip(NEXT) | instid1(VALU_DEP_2)
	v_add_f64 v[131:132], v[131:132], v[147:148]
	v_add_f64 v[145:146], v[145:146], -v[149:150]
	s_delay_alu instid0(VALU_DEP_1) | instskip(NEXT) | instid1(VALU_DEP_1)
	v_add_f64 v[131:132], v[131:132], v[145:146]
	v_add_f64 v[131:132], v[164:165], v[131:132]
	s_delay_alu instid0(VALU_DEP_1) | instskip(NEXT) | instid1(VALU_DEP_2)
	v_cndmask_b32_e64 v131, v131, v129, s17
	v_cndmask_b32_e64 v132, v132, v130, s17
	v_cmp_ngt_f64_e64 s17, -1.0, v[129:130]
	s_delay_alu instid0(VALU_DEP_1) | instskip(SKIP_1) | instid1(VALU_DEP_1)
	v_cndmask_b32_e64 v132, 0x7ff80000, v132, s17
	v_cmp_nge_f64_e64 s17, -1.0, v[129:130]
	v_cndmask_b32_e64 v131, 0, v131, s17
	v_cmp_neq_f64_e64 s17, -1.0, v[129:130]
	s_delay_alu instid0(VALU_DEP_1) | instskip(NEXT) | instid1(VALU_DEP_1)
	v_cndmask_b32_e64 v132, 0xfff00000, v132, s17
	v_add_f64 v[129:130], v[48:49], v[131:132]
.LBB8_295:
	s_or_b32 exec_lo, exec_lo, s27
	s_delay_alu instid0(VALU_DEP_1)
	v_dual_mov_b32 v48, v129 :: v_dual_mov_b32 v49, v130
	v_dual_mov_b32 v131, v129 :: v_dual_mov_b32 v132, v130
.LBB8_296:
	s_or_b32 exec_lo, exec_lo, s26
	s_delay_alu instid0(VALU_DEP_1) | instskip(NEXT) | instid1(VALU_DEP_2)
	v_mov_b32_dpp v129, v131 row_shr:4 row_mask:0xf bank_mask:0xf
	v_mov_b32_dpp v130, v132 row_shr:4 row_mask:0xf bank_mask:0xf
	s_mov_b32 s26, exec_lo
	v_cmpx_lt_u32_e32 3, v133
	s_cbranch_execz .LBB8_300
; %bb.297:
	s_delay_alu instid0(VALU_DEP_2) | instskip(SKIP_3) | instid1(VALU_DEP_3)
	v_max_f64 v[131:132], v[129:130], v[129:130]
	v_max_f64 v[145:146], v[48:49], v[48:49]
	v_cmp_u_f64_e64 s17, v[129:130], v[129:130]
	v_cmp_u_f64_e64 s18, v[48:49], v[48:49]
	v_min_f64 v[147:148], v[131:132], v[145:146]
	v_max_f64 v[131:132], v[131:132], v[145:146]
	s_delay_alu instid0(VALU_DEP_2) | instskip(NEXT) | instid1(VALU_DEP_3)
	v_cndmask_b32_e64 v134, v147, v129, s17
	v_cndmask_b32_e64 v145, v148, v130, s17
	s_delay_alu instid0(VALU_DEP_3) | instskip(NEXT) | instid1(VALU_DEP_4)
	v_cndmask_b32_e64 v146, v132, v130, s17
	v_cndmask_b32_e64 v147, v131, v129, s17
	s_delay_alu instid0(VALU_DEP_4) | instskip(NEXT) | instid1(VALU_DEP_4)
	v_cndmask_b32_e64 v131, v134, v48, s18
	v_cndmask_b32_e64 v132, v145, v49, s18
	s_delay_alu instid0(VALU_DEP_4) | instskip(NEXT) | instid1(VALU_DEP_4)
	v_cndmask_b32_e64 v49, v146, v49, s18
	v_cndmask_b32_e64 v48, v147, v48, s18
	s_delay_alu instid0(VALU_DEP_3) | instskip(NEXT) | instid1(VALU_DEP_2)
	v_cmp_class_f64_e64 s18, v[131:132], 0x1f8
	v_cmp_neq_f64_e64 s17, v[131:132], v[48:49]
	s_delay_alu instid0(VALU_DEP_1) | instskip(NEXT) | instid1(SALU_CYCLE_1)
	s_or_b32 s17, s17, s18
	s_and_saveexec_b32 s27, s17
	s_cbranch_execz .LBB8_299
; %bb.298:
	v_add_f64 v[129:130], v[131:132], -v[48:49]
	s_mov_b32 s18, 0x652b82fe
	s_mov_b32 s19, 0x3ff71547
	;; [unrolled: 1-line block ×10, first 2 shown]
	s_delay_alu instid0(VALU_DEP_1) | instskip(SKIP_3) | instid1(VALU_DEP_2)
	v_mul_f64 v[131:132], v[129:130], s[18:19]
	s_mov_b32 s18, 0xfca7ab0c
	s_mov_b32 s19, 0x3e928af3
	v_cmp_nlt_f64_e64 s17, 0x40900000, v[129:130]
	v_rndne_f64_e32 v[131:132], v[131:132]
	s_delay_alu instid0(VALU_DEP_1) | instskip(SKIP_2) | instid1(VALU_DEP_2)
	v_fma_f64 v[145:146], v[131:132], s[20:21], v[129:130]
	v_cvt_i32_f64_e32 v134, v[131:132]
	s_mov_b32 s21, 0x3fe62e42
	v_fma_f64 v[145:146], v[131:132], s[24:25], v[145:146]
	s_mov_b32 s25, 0x3c7abc9e
	s_delay_alu instid0(VALU_DEP_1) | instskip(SKIP_4) | instid1(VALU_DEP_1)
	v_fma_f64 v[147:148], v[145:146], s[28:29], s[18:19]
	s_mov_b32 s18, 0x623fde64
	s_mov_b32 s19, 0x3ec71dee
	;; [unrolled: 1-line block ×4, first 2 shown]
	v_fma_f64 v[147:148], v[145:146], v[147:148], s[18:19]
	s_mov_b32 s18, 0x7c89e6b0
	s_mov_b32 s19, 0x3efa0199
	s_delay_alu instid0(VALU_DEP_1) | instid1(SALU_CYCLE_1)
	v_fma_f64 v[147:148], v[145:146], v[147:148], s[18:19]
	s_mov_b32 s18, 0x14761f6e
	s_mov_b32 s19, 0x3f2a01a0
	s_delay_alu instid0(VALU_DEP_1) | instid1(SALU_CYCLE_1)
	;; [unrolled: 4-line block ×7, first 2 shown]
	v_fma_f64 v[147:148], v[145:146], v[147:148], s[18:19]
	v_cmp_ngt_f64_e64 s18, 0xc090cc00, v[129:130]
	s_mov_b32 s19, 0x3fe55555
	s_delay_alu instid0(VALU_DEP_2) | instskip(NEXT) | instid1(VALU_DEP_1)
	v_fma_f64 v[147:148], v[145:146], v[147:148], 1.0
	v_fma_f64 v[131:132], v[145:146], v[147:148], 1.0
	s_delay_alu instid0(VALU_DEP_1) | instskip(NEXT) | instid1(VALU_DEP_1)
	v_ldexp_f64 v[131:132], v[131:132], v134
	v_cndmask_b32_e64 v132, 0x7ff00000, v132, s17
	s_and_b32 s17, s18, s17
	s_delay_alu instid0(VALU_DEP_2) | instid1(SALU_CYCLE_1)
	v_cndmask_b32_e64 v129, 0, v131, s17
	s_delay_alu instid0(VALU_DEP_2) | instskip(SKIP_1) | instid1(VALU_DEP_1)
	v_cndmask_b32_e64 v130, 0, v132, s18
	s_mov_b32 s18, 0x55555555
	v_add_f64 v[131:132], v[129:130], 1.0
	s_delay_alu instid0(VALU_DEP_1) | instskip(SKIP_2) | instid1(VALU_DEP_3)
	v_frexp_mant_f64_e32 v[145:146], v[131:132]
	v_frexp_exp_i32_f64_e32 v134, v[131:132]
	v_add_f64 v[147:148], v[131:132], -1.0
	v_cmp_gt_f64_e64 s17, s[18:19], v[145:146]
	s_mov_b32 s18, 0x55555780
	s_delay_alu instid0(VALU_DEP_2) | instskip(SKIP_1) | instid1(VALU_DEP_3)
	v_add_f64 v[145:146], v[147:148], -v[131:132]
	v_add_f64 v[147:148], v[129:130], -v[147:148]
	v_subrev_co_ci_u32_e64 v134, s17, 0, v134, s17
	s_delay_alu instid0(VALU_DEP_3) | instskip(SKIP_1) | instid1(VALU_DEP_3)
	v_add_f64 v[145:146], v[145:146], 1.0
	v_cmp_eq_f64_e64 s17, 0x7ff00000, v[129:130]
	v_sub_nc_u32_e32 v151, 0, v134
	s_delay_alu instid0(VALU_DEP_1) | instskip(NEXT) | instid1(VALU_DEP_4)
	v_ldexp_f64 v[131:132], v[131:132], v151
	v_add_f64 v[145:146], v[147:148], v[145:146]
	s_delay_alu instid0(VALU_DEP_2) | instskip(SKIP_1) | instid1(VALU_DEP_3)
	v_add_f64 v[149:150], v[131:132], 1.0
	v_add_f64 v[164:165], v[131:132], -1.0
	v_ldexp_f64 v[145:146], v[145:146], v151
	s_delay_alu instid0(VALU_DEP_3) | instskip(NEXT) | instid1(VALU_DEP_3)
	v_add_f64 v[147:148], v[149:150], -1.0
	v_add_f64 v[209:210], v[164:165], 1.0
	s_delay_alu instid0(VALU_DEP_2) | instskip(NEXT) | instid1(VALU_DEP_2)
	v_add_f64 v[147:148], v[131:132], -v[147:148]
	v_add_f64 v[131:132], v[131:132], -v[209:210]
	s_delay_alu instid0(VALU_DEP_2) | instskip(NEXT) | instid1(VALU_DEP_2)
	v_add_f64 v[147:148], v[145:146], v[147:148]
	v_add_f64 v[131:132], v[145:146], v[131:132]
	s_delay_alu instid0(VALU_DEP_2) | instskip(NEXT) | instid1(VALU_DEP_2)
	v_add_f64 v[160:161], v[149:150], v[147:148]
	v_add_f64 v[209:210], v[164:165], v[131:132]
	s_delay_alu instid0(VALU_DEP_2) | instskip(SKIP_1) | instid1(VALU_DEP_2)
	v_rcp_f64_e32 v[162:163], v[160:161]
	v_add_f64 v[149:150], v[160:161], -v[149:150]
	v_add_f64 v[164:165], v[209:210], -v[164:165]
	s_delay_alu instid0(VALU_DEP_2) | instskip(SKIP_3) | instid1(VALU_DEP_2)
	v_add_f64 v[147:148], v[147:148], -v[149:150]
	s_waitcnt_depctr 0xfff
	v_fma_f64 v[211:212], -v[160:161], v[162:163], 1.0
	v_add_f64 v[131:132], v[131:132], -v[164:165]
	v_fma_f64 v[162:163], v[211:212], v[162:163], v[162:163]
	s_delay_alu instid0(VALU_DEP_1) | instskip(NEXT) | instid1(VALU_DEP_1)
	v_fma_f64 v[145:146], -v[160:161], v[162:163], 1.0
	v_fma_f64 v[145:146], v[145:146], v[162:163], v[162:163]
	s_delay_alu instid0(VALU_DEP_1) | instskip(NEXT) | instid1(VALU_DEP_1)
	v_mul_f64 v[162:163], v[209:210], v[145:146]
	v_mul_f64 v[211:212], v[160:161], v[162:163]
	s_delay_alu instid0(VALU_DEP_1) | instskip(NEXT) | instid1(VALU_DEP_1)
	v_fma_f64 v[149:150], v[162:163], v[160:161], -v[211:212]
	v_fma_f64 v[149:150], v[162:163], v[147:148], v[149:150]
	s_delay_alu instid0(VALU_DEP_1) | instskip(NEXT) | instid1(VALU_DEP_1)
	v_add_f64 v[213:214], v[211:212], v[149:150]
	v_add_f64 v[224:225], v[209:210], -v[213:214]
	v_add_f64 v[164:165], v[213:214], -v[211:212]
	s_delay_alu instid0(VALU_DEP_2) | instskip(NEXT) | instid1(VALU_DEP_2)
	v_add_f64 v[209:210], v[209:210], -v[224:225]
	v_add_f64 v[149:150], v[164:165], -v[149:150]
	s_delay_alu instid0(VALU_DEP_2) | instskip(NEXT) | instid1(VALU_DEP_1)
	v_add_f64 v[209:210], v[209:210], -v[213:214]
	v_add_f64 v[131:132], v[131:132], v[209:210]
	s_delay_alu instid0(VALU_DEP_1) | instskip(NEXT) | instid1(VALU_DEP_1)
	v_add_f64 v[131:132], v[149:150], v[131:132]
	v_add_f64 v[149:150], v[224:225], v[131:132]
	s_delay_alu instid0(VALU_DEP_1) | instskip(SKIP_1) | instid1(VALU_DEP_2)
	v_mul_f64 v[164:165], v[145:146], v[149:150]
	v_add_f64 v[213:214], v[224:225], -v[149:150]
	v_mul_f64 v[209:210], v[160:161], v[164:165]
	s_delay_alu instid0(VALU_DEP_2) | instskip(NEXT) | instid1(VALU_DEP_2)
	v_add_f64 v[131:132], v[131:132], v[213:214]
	v_fma_f64 v[160:161], v[164:165], v[160:161], -v[209:210]
	s_delay_alu instid0(VALU_DEP_1) | instskip(NEXT) | instid1(VALU_DEP_1)
	v_fma_f64 v[147:148], v[164:165], v[147:148], v[160:161]
	v_add_f64 v[160:161], v[209:210], v[147:148]
	s_delay_alu instid0(VALU_DEP_1) | instskip(SKIP_1) | instid1(VALU_DEP_2)
	v_add_f64 v[211:212], v[149:150], -v[160:161]
	v_add_f64 v[209:210], v[160:161], -v[209:210]
	;; [unrolled: 1-line block ×3, first 2 shown]
	s_delay_alu instid0(VALU_DEP_2) | instskip(NEXT) | instid1(VALU_DEP_2)
	v_add_f64 v[147:148], v[209:210], -v[147:148]
	v_add_f64 v[149:150], v[149:150], -v[160:161]
	s_delay_alu instid0(VALU_DEP_1) | instskip(SKIP_1) | instid1(VALU_DEP_2)
	v_add_f64 v[131:132], v[131:132], v[149:150]
	v_add_f64 v[149:150], v[162:163], v[164:165]
	v_add_f64 v[131:132], v[147:148], v[131:132]
	s_delay_alu instid0(VALU_DEP_2) | instskip(NEXT) | instid1(VALU_DEP_2)
	v_add_f64 v[147:148], v[149:150], -v[162:163]
	v_add_f64 v[131:132], v[211:212], v[131:132]
	s_delay_alu instid0(VALU_DEP_2) | instskip(NEXT) | instid1(VALU_DEP_2)
	v_add_f64 v[147:148], v[164:165], -v[147:148]
	v_mul_f64 v[131:132], v[145:146], v[131:132]
	s_delay_alu instid0(VALU_DEP_1) | instskip(NEXT) | instid1(VALU_DEP_1)
	v_add_f64 v[131:132], v[147:148], v[131:132]
	v_add_f64 v[145:146], v[149:150], v[131:132]
	s_delay_alu instid0(VALU_DEP_1) | instskip(NEXT) | instid1(VALU_DEP_1)
	v_mul_f64 v[147:148], v[145:146], v[145:146]
	v_fma_f64 v[160:161], v[147:148], s[30:31], s[28:29]
	s_mov_b32 s28, 0xd7f4df2e
	s_mov_b32 s29, 0x3fc7474d
	v_mul_f64 v[162:163], v[145:146], v[147:148]
	s_delay_alu instid0(VALU_DEP_2)
	v_fma_f64 v[160:161], v[147:148], v[160:161], s[28:29]
	s_mov_b32 s28, 0x16291751
	s_mov_b32 s29, 0x3fcc71c0
	s_delay_alu instid0(VALU_DEP_1) | instid1(SALU_CYCLE_1)
	v_fma_f64 v[160:161], v[147:148], v[160:161], s[28:29]
	s_mov_b32 s28, 0x9b27acf1
	s_mov_b32 s29, 0x3fd24924
	s_delay_alu instid0(VALU_DEP_1) | instid1(SALU_CYCLE_1)
	;; [unrolled: 4-line block ×3, first 2 shown]
	v_fma_f64 v[160:161], v[147:148], v[160:161], s[28:29]
	s_delay_alu instid0(VALU_DEP_1) | instskip(SKIP_2) | instid1(VALU_DEP_3)
	v_fma_f64 v[147:148], v[147:148], v[160:161], s[18:19]
	v_ldexp_f64 v[160:161], v[145:146], 1
	v_add_f64 v[145:146], v[145:146], -v[149:150]
	v_mul_f64 v[147:148], v[162:163], v[147:148]
	v_cvt_f64_i32_e32 v[162:163], v134
	s_delay_alu instid0(VALU_DEP_3) | instskip(NEXT) | instid1(VALU_DEP_3)
	v_add_f64 v[131:132], v[131:132], -v[145:146]
	v_add_f64 v[149:150], v[160:161], v[147:148]
	s_delay_alu instid0(VALU_DEP_3) | instskip(NEXT) | instid1(VALU_DEP_3)
	v_mul_f64 v[164:165], v[162:163], s[20:21]
	v_ldexp_f64 v[131:132], v[131:132], 1
	s_delay_alu instid0(VALU_DEP_3) | instskip(NEXT) | instid1(VALU_DEP_3)
	v_add_f64 v[145:146], v[149:150], -v[160:161]
	v_fma_f64 v[160:161], v[162:163], s[20:21], -v[164:165]
	s_delay_alu instid0(VALU_DEP_2) | instskip(NEXT) | instid1(VALU_DEP_2)
	v_add_f64 v[145:146], v[147:148], -v[145:146]
	v_fma_f64 v[147:148], v[162:163], s[24:25], v[160:161]
	s_delay_alu instid0(VALU_DEP_2) | instskip(NEXT) | instid1(VALU_DEP_2)
	v_add_f64 v[131:132], v[131:132], v[145:146]
	v_add_f64 v[145:146], v[164:165], v[147:148]
	s_delay_alu instid0(VALU_DEP_2) | instskip(NEXT) | instid1(VALU_DEP_2)
	v_add_f64 v[160:161], v[149:150], v[131:132]
	v_add_f64 v[164:165], v[145:146], -v[164:165]
	s_delay_alu instid0(VALU_DEP_2) | instskip(SKIP_1) | instid1(VALU_DEP_3)
	v_add_f64 v[162:163], v[145:146], v[160:161]
	v_add_f64 v[149:150], v[160:161], -v[149:150]
	v_add_f64 v[147:148], v[147:148], -v[164:165]
	s_delay_alu instid0(VALU_DEP_3) | instskip(NEXT) | instid1(VALU_DEP_3)
	v_add_f64 v[209:210], v[162:163], -v[145:146]
	v_add_f64 v[131:132], v[131:132], -v[149:150]
	s_delay_alu instid0(VALU_DEP_2) | instskip(SKIP_1) | instid1(VALU_DEP_3)
	v_add_f64 v[211:212], v[162:163], -v[209:210]
	v_add_f64 v[149:150], v[160:161], -v[209:210]
	v_add_f64 v[160:161], v[147:148], v[131:132]
	s_delay_alu instid0(VALU_DEP_3) | instskip(NEXT) | instid1(VALU_DEP_1)
	v_add_f64 v[145:146], v[145:146], -v[211:212]
	v_add_f64 v[145:146], v[149:150], v[145:146]
	s_delay_alu instid0(VALU_DEP_3) | instskip(NEXT) | instid1(VALU_DEP_2)
	v_add_f64 v[149:150], v[160:161], -v[147:148]
	v_add_f64 v[145:146], v[160:161], v[145:146]
	s_delay_alu instid0(VALU_DEP_2) | instskip(SKIP_1) | instid1(VALU_DEP_3)
	v_add_f64 v[160:161], v[160:161], -v[149:150]
	v_add_f64 v[131:132], v[131:132], -v[149:150]
	v_add_f64 v[164:165], v[162:163], v[145:146]
	s_delay_alu instid0(VALU_DEP_3) | instskip(NEXT) | instid1(VALU_DEP_2)
	v_add_f64 v[147:148], v[147:148], -v[160:161]
	v_add_f64 v[149:150], v[164:165], -v[162:163]
	s_delay_alu instid0(VALU_DEP_2) | instskip(NEXT) | instid1(VALU_DEP_2)
	v_add_f64 v[131:132], v[131:132], v[147:148]
	v_add_f64 v[145:146], v[145:146], -v[149:150]
	s_delay_alu instid0(VALU_DEP_1) | instskip(NEXT) | instid1(VALU_DEP_1)
	v_add_f64 v[131:132], v[131:132], v[145:146]
	v_add_f64 v[131:132], v[164:165], v[131:132]
	s_delay_alu instid0(VALU_DEP_1) | instskip(NEXT) | instid1(VALU_DEP_2)
	v_cndmask_b32_e64 v131, v131, v129, s17
	v_cndmask_b32_e64 v132, v132, v130, s17
	v_cmp_ngt_f64_e64 s17, -1.0, v[129:130]
	s_delay_alu instid0(VALU_DEP_1) | instskip(SKIP_1) | instid1(VALU_DEP_1)
	v_cndmask_b32_e64 v132, 0x7ff80000, v132, s17
	v_cmp_nge_f64_e64 s17, -1.0, v[129:130]
	v_cndmask_b32_e64 v131, 0, v131, s17
	v_cmp_neq_f64_e64 s17, -1.0, v[129:130]
	s_delay_alu instid0(VALU_DEP_1) | instskip(NEXT) | instid1(VALU_DEP_1)
	v_cndmask_b32_e64 v132, 0xfff00000, v132, s17
	v_add_f64 v[129:130], v[48:49], v[131:132]
.LBB8_299:
	s_or_b32 exec_lo, exec_lo, s27
	s_delay_alu instid0(VALU_DEP_1)
	v_dual_mov_b32 v48, v129 :: v_dual_mov_b32 v49, v130
	v_dual_mov_b32 v131, v129 :: v_dual_mov_b32 v132, v130
.LBB8_300:
	s_or_b32 exec_lo, exec_lo, s26
	s_delay_alu instid0(VALU_DEP_1) | instskip(NEXT) | instid1(VALU_DEP_2)
	v_mov_b32_dpp v129, v131 row_shr:8 row_mask:0xf bank_mask:0xf
	v_mov_b32_dpp v130, v132 row_shr:8 row_mask:0xf bank_mask:0xf
	s_mov_b32 s26, exec_lo
	v_cmpx_lt_u32_e32 7, v133
	s_cbranch_execz .LBB8_304
; %bb.301:
	s_delay_alu instid0(VALU_DEP_2) | instskip(SKIP_3) | instid1(VALU_DEP_3)
	v_max_f64 v[131:132], v[129:130], v[129:130]
	v_max_f64 v[133:134], v[48:49], v[48:49]
	v_cmp_u_f64_e64 s17, v[129:130], v[129:130]
	v_cmp_u_f64_e64 s18, v[48:49], v[48:49]
	v_min_f64 v[145:146], v[131:132], v[133:134]
	v_max_f64 v[131:132], v[131:132], v[133:134]
	s_delay_alu instid0(VALU_DEP_2) | instskip(NEXT) | instid1(VALU_DEP_3)
	v_cndmask_b32_e64 v133, v145, v129, s17
	v_cndmask_b32_e64 v134, v146, v130, s17
	s_delay_alu instid0(VALU_DEP_3) | instskip(NEXT) | instid1(VALU_DEP_4)
	v_cndmask_b32_e64 v145, v132, v130, s17
	v_cndmask_b32_e64 v146, v131, v129, s17
	s_delay_alu instid0(VALU_DEP_4) | instskip(NEXT) | instid1(VALU_DEP_4)
	v_cndmask_b32_e64 v131, v133, v48, s18
	v_cndmask_b32_e64 v132, v134, v49, s18
	s_delay_alu instid0(VALU_DEP_4) | instskip(NEXT) | instid1(VALU_DEP_4)
	v_cndmask_b32_e64 v49, v145, v49, s18
	v_cndmask_b32_e64 v48, v146, v48, s18
	s_delay_alu instid0(VALU_DEP_3) | instskip(NEXT) | instid1(VALU_DEP_2)
	v_cmp_class_f64_e64 s18, v[131:132], 0x1f8
	v_cmp_neq_f64_e64 s17, v[131:132], v[48:49]
	s_delay_alu instid0(VALU_DEP_1) | instskip(NEXT) | instid1(SALU_CYCLE_1)
	s_or_b32 s17, s17, s18
	s_and_saveexec_b32 s27, s17
	s_cbranch_execz .LBB8_303
; %bb.302:
	v_add_f64 v[129:130], v[131:132], -v[48:49]
	s_mov_b32 s18, 0x652b82fe
	s_mov_b32 s19, 0x3ff71547
	;; [unrolled: 1-line block ×10, first 2 shown]
	s_delay_alu instid0(VALU_DEP_1) | instskip(SKIP_3) | instid1(VALU_DEP_2)
	v_mul_f64 v[131:132], v[129:130], s[18:19]
	s_mov_b32 s18, 0xfca7ab0c
	s_mov_b32 s19, 0x3e928af3
	v_cmp_nlt_f64_e64 s17, 0x40900000, v[129:130]
	v_rndne_f64_e32 v[131:132], v[131:132]
	s_delay_alu instid0(VALU_DEP_1) | instskip(SKIP_2) | instid1(VALU_DEP_2)
	v_fma_f64 v[133:134], v[131:132], s[20:21], v[129:130]
	v_cvt_i32_f64_e32 v147, v[131:132]
	s_mov_b32 s21, 0x3fe62e42
	v_fma_f64 v[133:134], v[131:132], s[24:25], v[133:134]
	s_mov_b32 s25, 0x3c7abc9e
	s_delay_alu instid0(VALU_DEP_1) | instskip(SKIP_4) | instid1(VALU_DEP_1)
	v_fma_f64 v[145:146], v[133:134], s[28:29], s[18:19]
	s_mov_b32 s18, 0x623fde64
	s_mov_b32 s19, 0x3ec71dee
	;; [unrolled: 1-line block ×4, first 2 shown]
	v_fma_f64 v[145:146], v[133:134], v[145:146], s[18:19]
	s_mov_b32 s18, 0x7c89e6b0
	s_mov_b32 s19, 0x3efa0199
	s_delay_alu instid0(VALU_DEP_1) | instid1(SALU_CYCLE_1)
	v_fma_f64 v[145:146], v[133:134], v[145:146], s[18:19]
	s_mov_b32 s18, 0x14761f6e
	s_mov_b32 s19, 0x3f2a01a0
	s_delay_alu instid0(VALU_DEP_1) | instid1(SALU_CYCLE_1)
	;; [unrolled: 4-line block ×7, first 2 shown]
	v_fma_f64 v[145:146], v[133:134], v[145:146], s[18:19]
	v_cmp_ngt_f64_e64 s18, 0xc090cc00, v[129:130]
	s_mov_b32 s19, 0x3fe55555
	s_delay_alu instid0(VALU_DEP_2) | instskip(NEXT) | instid1(VALU_DEP_1)
	v_fma_f64 v[145:146], v[133:134], v[145:146], 1.0
	v_fma_f64 v[131:132], v[133:134], v[145:146], 1.0
	s_delay_alu instid0(VALU_DEP_1) | instskip(NEXT) | instid1(VALU_DEP_1)
	v_ldexp_f64 v[131:132], v[131:132], v147
	v_cndmask_b32_e64 v132, 0x7ff00000, v132, s17
	s_and_b32 s17, s18, s17
	s_delay_alu instid0(VALU_DEP_2) | instid1(SALU_CYCLE_1)
	v_cndmask_b32_e64 v129, 0, v131, s17
	s_delay_alu instid0(VALU_DEP_2) | instskip(SKIP_1) | instid1(VALU_DEP_1)
	v_cndmask_b32_e64 v130, 0, v132, s18
	s_mov_b32 s18, 0x55555555
	v_add_f64 v[131:132], v[129:130], 1.0
	s_delay_alu instid0(VALU_DEP_1) | instskip(SKIP_2) | instid1(VALU_DEP_3)
	v_frexp_mant_f64_e32 v[133:134], v[131:132]
	v_frexp_exp_i32_f64_e32 v147, v[131:132]
	v_add_f64 v[145:146], v[131:132], -1.0
	v_cmp_gt_f64_e64 s17, s[18:19], v[133:134]
	s_mov_b32 s18, 0x55555780
	s_delay_alu instid0(VALU_DEP_2) | instskip(SKIP_1) | instid1(VALU_DEP_3)
	v_add_f64 v[133:134], v[145:146], -v[131:132]
	v_add_f64 v[145:146], v[129:130], -v[145:146]
	v_subrev_co_ci_u32_e64 v151, s17, 0, v147, s17
	s_delay_alu instid0(VALU_DEP_3) | instskip(SKIP_1) | instid1(VALU_DEP_3)
	v_add_f64 v[133:134], v[133:134], 1.0
	v_cmp_eq_f64_e64 s17, 0x7ff00000, v[129:130]
	v_sub_nc_u32_e32 v149, 0, v151
	s_delay_alu instid0(VALU_DEP_1) | instskip(NEXT) | instid1(VALU_DEP_4)
	v_ldexp_f64 v[131:132], v[131:132], v149
	v_add_f64 v[133:134], v[145:146], v[133:134]
	s_delay_alu instid0(VALU_DEP_2) | instskip(SKIP_1) | instid1(VALU_DEP_3)
	v_add_f64 v[147:148], v[131:132], 1.0
	v_add_f64 v[162:163], v[131:132], -1.0
	v_ldexp_f64 v[133:134], v[133:134], v149
	s_delay_alu instid0(VALU_DEP_3) | instskip(NEXT) | instid1(VALU_DEP_3)
	v_add_f64 v[145:146], v[147:148], -1.0
	v_add_f64 v[164:165], v[162:163], 1.0
	s_delay_alu instid0(VALU_DEP_2) | instskip(NEXT) | instid1(VALU_DEP_2)
	v_add_f64 v[145:146], v[131:132], -v[145:146]
	v_add_f64 v[131:132], v[131:132], -v[164:165]
	s_delay_alu instid0(VALU_DEP_2) | instskip(NEXT) | instid1(VALU_DEP_2)
	v_add_f64 v[145:146], v[133:134], v[145:146]
	v_add_f64 v[131:132], v[133:134], v[131:132]
	s_delay_alu instid0(VALU_DEP_2) | instskip(NEXT) | instid1(VALU_DEP_2)
	v_add_f64 v[149:150], v[147:148], v[145:146]
	v_add_f64 v[164:165], v[162:163], v[131:132]
	s_delay_alu instid0(VALU_DEP_2) | instskip(SKIP_1) | instid1(VALU_DEP_2)
	v_rcp_f64_e32 v[160:161], v[149:150]
	v_add_f64 v[147:148], v[149:150], -v[147:148]
	v_add_f64 v[162:163], v[164:165], -v[162:163]
	s_delay_alu instid0(VALU_DEP_2) | instskip(SKIP_3) | instid1(VALU_DEP_2)
	v_add_f64 v[145:146], v[145:146], -v[147:148]
	s_waitcnt_depctr 0xfff
	v_fma_f64 v[209:210], -v[149:150], v[160:161], 1.0
	v_add_f64 v[131:132], v[131:132], -v[162:163]
	v_fma_f64 v[160:161], v[209:210], v[160:161], v[160:161]
	s_delay_alu instid0(VALU_DEP_1) | instskip(NEXT) | instid1(VALU_DEP_1)
	v_fma_f64 v[133:134], -v[149:150], v[160:161], 1.0
	v_fma_f64 v[133:134], v[133:134], v[160:161], v[160:161]
	s_delay_alu instid0(VALU_DEP_1) | instskip(NEXT) | instid1(VALU_DEP_1)
	v_mul_f64 v[160:161], v[164:165], v[133:134]
	v_mul_f64 v[209:210], v[149:150], v[160:161]
	s_delay_alu instid0(VALU_DEP_1) | instskip(NEXT) | instid1(VALU_DEP_1)
	v_fma_f64 v[147:148], v[160:161], v[149:150], -v[209:210]
	v_fma_f64 v[147:148], v[160:161], v[145:146], v[147:148]
	s_delay_alu instid0(VALU_DEP_1) | instskip(NEXT) | instid1(VALU_DEP_1)
	v_add_f64 v[211:212], v[209:210], v[147:148]
	v_add_f64 v[213:214], v[164:165], -v[211:212]
	v_add_f64 v[162:163], v[211:212], -v[209:210]
	s_delay_alu instid0(VALU_DEP_2) | instskip(NEXT) | instid1(VALU_DEP_2)
	v_add_f64 v[164:165], v[164:165], -v[213:214]
	v_add_f64 v[147:148], v[162:163], -v[147:148]
	s_delay_alu instid0(VALU_DEP_2) | instskip(NEXT) | instid1(VALU_DEP_1)
	v_add_f64 v[164:165], v[164:165], -v[211:212]
	v_add_f64 v[131:132], v[131:132], v[164:165]
	s_delay_alu instid0(VALU_DEP_1) | instskip(NEXT) | instid1(VALU_DEP_1)
	v_add_f64 v[131:132], v[147:148], v[131:132]
	v_add_f64 v[147:148], v[213:214], v[131:132]
	s_delay_alu instid0(VALU_DEP_1) | instskip(SKIP_1) | instid1(VALU_DEP_2)
	v_mul_f64 v[162:163], v[133:134], v[147:148]
	v_add_f64 v[211:212], v[213:214], -v[147:148]
	v_mul_f64 v[164:165], v[149:150], v[162:163]
	s_delay_alu instid0(VALU_DEP_2) | instskip(NEXT) | instid1(VALU_DEP_2)
	v_add_f64 v[131:132], v[131:132], v[211:212]
	v_fma_f64 v[149:150], v[162:163], v[149:150], -v[164:165]
	s_delay_alu instid0(VALU_DEP_1) | instskip(NEXT) | instid1(VALU_DEP_1)
	v_fma_f64 v[145:146], v[162:163], v[145:146], v[149:150]
	v_add_f64 v[149:150], v[164:165], v[145:146]
	s_delay_alu instid0(VALU_DEP_1) | instskip(SKIP_1) | instid1(VALU_DEP_2)
	v_add_f64 v[209:210], v[147:148], -v[149:150]
	v_add_f64 v[164:165], v[149:150], -v[164:165]
	v_add_f64 v[147:148], v[147:148], -v[209:210]
	s_delay_alu instid0(VALU_DEP_2) | instskip(NEXT) | instid1(VALU_DEP_2)
	v_add_f64 v[145:146], v[164:165], -v[145:146]
	v_add_f64 v[147:148], v[147:148], -v[149:150]
	s_delay_alu instid0(VALU_DEP_1) | instskip(SKIP_1) | instid1(VALU_DEP_2)
	v_add_f64 v[131:132], v[131:132], v[147:148]
	v_add_f64 v[147:148], v[160:161], v[162:163]
	;; [unrolled: 1-line block ×3, first 2 shown]
	s_delay_alu instid0(VALU_DEP_2) | instskip(NEXT) | instid1(VALU_DEP_2)
	v_add_f64 v[145:146], v[147:148], -v[160:161]
	v_add_f64 v[131:132], v[209:210], v[131:132]
	s_delay_alu instid0(VALU_DEP_2) | instskip(NEXT) | instid1(VALU_DEP_2)
	v_add_f64 v[145:146], v[162:163], -v[145:146]
	v_mul_f64 v[131:132], v[133:134], v[131:132]
	s_delay_alu instid0(VALU_DEP_1) | instskip(NEXT) | instid1(VALU_DEP_1)
	v_add_f64 v[131:132], v[145:146], v[131:132]
	v_add_f64 v[133:134], v[147:148], v[131:132]
	s_delay_alu instid0(VALU_DEP_1) | instskip(NEXT) | instid1(VALU_DEP_1)
	v_mul_f64 v[145:146], v[133:134], v[133:134]
	v_fma_f64 v[149:150], v[145:146], s[30:31], s[28:29]
	s_mov_b32 s28, 0xd7f4df2e
	s_mov_b32 s29, 0x3fc7474d
	v_mul_f64 v[160:161], v[133:134], v[145:146]
	s_delay_alu instid0(VALU_DEP_2)
	v_fma_f64 v[149:150], v[145:146], v[149:150], s[28:29]
	s_mov_b32 s28, 0x16291751
	s_mov_b32 s29, 0x3fcc71c0
	s_delay_alu instid0(VALU_DEP_1) | instid1(SALU_CYCLE_1)
	v_fma_f64 v[149:150], v[145:146], v[149:150], s[28:29]
	s_mov_b32 s28, 0x9b27acf1
	s_mov_b32 s29, 0x3fd24924
	s_delay_alu instid0(VALU_DEP_1) | instid1(SALU_CYCLE_1)
	;; [unrolled: 4-line block ×3, first 2 shown]
	v_fma_f64 v[149:150], v[145:146], v[149:150], s[28:29]
	s_delay_alu instid0(VALU_DEP_1) | instskip(SKIP_2) | instid1(VALU_DEP_3)
	v_fma_f64 v[145:146], v[145:146], v[149:150], s[18:19]
	v_ldexp_f64 v[149:150], v[133:134], 1
	v_add_f64 v[133:134], v[133:134], -v[147:148]
	v_mul_f64 v[145:146], v[160:161], v[145:146]
	v_cvt_f64_i32_e32 v[160:161], v151
	s_delay_alu instid0(VALU_DEP_3) | instskip(NEXT) | instid1(VALU_DEP_3)
	v_add_f64 v[131:132], v[131:132], -v[133:134]
	v_add_f64 v[147:148], v[149:150], v[145:146]
	s_delay_alu instid0(VALU_DEP_3) | instskip(NEXT) | instid1(VALU_DEP_3)
	v_mul_f64 v[162:163], v[160:161], s[20:21]
	v_ldexp_f64 v[131:132], v[131:132], 1
	s_delay_alu instid0(VALU_DEP_3) | instskip(NEXT) | instid1(VALU_DEP_3)
	v_add_f64 v[133:134], v[147:148], -v[149:150]
	v_fma_f64 v[149:150], v[160:161], s[20:21], -v[162:163]
	s_delay_alu instid0(VALU_DEP_2) | instskip(NEXT) | instid1(VALU_DEP_2)
	v_add_f64 v[133:134], v[145:146], -v[133:134]
	v_fma_f64 v[145:146], v[160:161], s[24:25], v[149:150]
	s_delay_alu instid0(VALU_DEP_2) | instskip(NEXT) | instid1(VALU_DEP_2)
	v_add_f64 v[131:132], v[131:132], v[133:134]
	v_add_f64 v[133:134], v[162:163], v[145:146]
	s_delay_alu instid0(VALU_DEP_2) | instskip(NEXT) | instid1(VALU_DEP_2)
	v_add_f64 v[149:150], v[147:148], v[131:132]
	v_add_f64 v[162:163], v[133:134], -v[162:163]
	s_delay_alu instid0(VALU_DEP_2) | instskip(SKIP_1) | instid1(VALU_DEP_3)
	v_add_f64 v[160:161], v[133:134], v[149:150]
	v_add_f64 v[147:148], v[149:150], -v[147:148]
	v_add_f64 v[145:146], v[145:146], -v[162:163]
	s_delay_alu instid0(VALU_DEP_3) | instskip(NEXT) | instid1(VALU_DEP_3)
	v_add_f64 v[164:165], v[160:161], -v[133:134]
	v_add_f64 v[131:132], v[131:132], -v[147:148]
	s_delay_alu instid0(VALU_DEP_2) | instskip(SKIP_1) | instid1(VALU_DEP_3)
	v_add_f64 v[209:210], v[160:161], -v[164:165]
	v_add_f64 v[147:148], v[149:150], -v[164:165]
	v_add_f64 v[149:150], v[145:146], v[131:132]
	s_delay_alu instid0(VALU_DEP_3) | instskip(NEXT) | instid1(VALU_DEP_1)
	v_add_f64 v[133:134], v[133:134], -v[209:210]
	v_add_f64 v[133:134], v[147:148], v[133:134]
	s_delay_alu instid0(VALU_DEP_3) | instskip(NEXT) | instid1(VALU_DEP_2)
	v_add_f64 v[147:148], v[149:150], -v[145:146]
	v_add_f64 v[133:134], v[149:150], v[133:134]
	s_delay_alu instid0(VALU_DEP_2) | instskip(SKIP_1) | instid1(VALU_DEP_3)
	v_add_f64 v[149:150], v[149:150], -v[147:148]
	v_add_f64 v[131:132], v[131:132], -v[147:148]
	v_add_f64 v[162:163], v[160:161], v[133:134]
	s_delay_alu instid0(VALU_DEP_3) | instskip(NEXT) | instid1(VALU_DEP_2)
	v_add_f64 v[145:146], v[145:146], -v[149:150]
	v_add_f64 v[147:148], v[162:163], -v[160:161]
	s_delay_alu instid0(VALU_DEP_2) | instskip(NEXT) | instid1(VALU_DEP_2)
	v_add_f64 v[131:132], v[131:132], v[145:146]
	v_add_f64 v[133:134], v[133:134], -v[147:148]
	s_delay_alu instid0(VALU_DEP_1) | instskip(NEXT) | instid1(VALU_DEP_1)
	v_add_f64 v[131:132], v[131:132], v[133:134]
	v_add_f64 v[131:132], v[162:163], v[131:132]
	s_delay_alu instid0(VALU_DEP_1) | instskip(NEXT) | instid1(VALU_DEP_2)
	v_cndmask_b32_e64 v131, v131, v129, s17
	v_cndmask_b32_e64 v132, v132, v130, s17
	v_cmp_ngt_f64_e64 s17, -1.0, v[129:130]
	s_delay_alu instid0(VALU_DEP_1) | instskip(SKIP_1) | instid1(VALU_DEP_1)
	v_cndmask_b32_e64 v132, 0x7ff80000, v132, s17
	v_cmp_nge_f64_e64 s17, -1.0, v[129:130]
	v_cndmask_b32_e64 v131, 0, v131, s17
	v_cmp_neq_f64_e64 s17, -1.0, v[129:130]
	s_delay_alu instid0(VALU_DEP_1) | instskip(NEXT) | instid1(VALU_DEP_1)
	v_cndmask_b32_e64 v132, 0xfff00000, v132, s17
	v_add_f64 v[129:130], v[48:49], v[131:132]
.LBB8_303:
	s_or_b32 exec_lo, exec_lo, s27
	s_delay_alu instid0(VALU_DEP_1)
	v_dual_mov_b32 v131, v129 :: v_dual_mov_b32 v132, v130
	v_dual_mov_b32 v48, v129 :: v_dual_mov_b32 v49, v130
.LBB8_304:
	s_or_b32 exec_lo, exec_lo, s26
	ds_swizzle_b32 v129, v131 offset:swizzle(BROADCAST,32,15)
	ds_swizzle_b32 v130, v132 offset:swizzle(BROADCAST,32,15)
	v_and_b32_e32 v131, 16, v144
	s_mov_b32 s26, exec_lo
	s_delay_alu instid0(VALU_DEP_1)
	v_cmpx_ne_u32_e32 0, v131
	s_cbranch_execz .LBB8_308
; %bb.305:
	s_waitcnt lgkmcnt(0)
	v_max_f64 v[131:132], v[129:130], v[129:130]
	v_max_f64 v[133:134], v[48:49], v[48:49]
	v_cmp_u_f64_e64 s17, v[129:130], v[129:130]
	v_cmp_u_f64_e64 s18, v[48:49], v[48:49]
	s_delay_alu instid0(VALU_DEP_3) | instskip(SKIP_1) | instid1(VALU_DEP_2)
	v_min_f64 v[145:146], v[131:132], v[133:134]
	v_max_f64 v[131:132], v[131:132], v[133:134]
	v_cndmask_b32_e64 v133, v145, v129, s17
	s_delay_alu instid0(VALU_DEP_3) | instskip(NEXT) | instid1(VALU_DEP_3)
	v_cndmask_b32_e64 v134, v146, v130, s17
	v_cndmask_b32_e64 v145, v132, v130, s17
	s_delay_alu instid0(VALU_DEP_4) | instskip(NEXT) | instid1(VALU_DEP_4)
	v_cndmask_b32_e64 v146, v131, v129, s17
	v_cndmask_b32_e64 v131, v133, v48, s18
	s_delay_alu instid0(VALU_DEP_4) | instskip(NEXT) | instid1(VALU_DEP_4)
	v_cndmask_b32_e64 v132, v134, v49, s18
	v_cndmask_b32_e64 v49, v145, v49, s18
	s_delay_alu instid0(VALU_DEP_4) | instskip(NEXT) | instid1(VALU_DEP_3)
	v_cndmask_b32_e64 v48, v146, v48, s18
	v_cmp_class_f64_e64 s18, v[131:132], 0x1f8
	s_delay_alu instid0(VALU_DEP_2) | instskip(NEXT) | instid1(VALU_DEP_1)
	v_cmp_neq_f64_e64 s17, v[131:132], v[48:49]
	s_or_b32 s17, s17, s18
	s_delay_alu instid0(SALU_CYCLE_1)
	s_and_saveexec_b32 s27, s17
	s_cbranch_execz .LBB8_307
; %bb.306:
	v_add_f64 v[129:130], v[131:132], -v[48:49]
	s_mov_b32 s18, 0x652b82fe
	s_mov_b32 s19, 0x3ff71547
	;; [unrolled: 1-line block ×10, first 2 shown]
	s_delay_alu instid0(VALU_DEP_1) | instskip(SKIP_3) | instid1(VALU_DEP_2)
	v_mul_f64 v[131:132], v[129:130], s[18:19]
	s_mov_b32 s18, 0xfca7ab0c
	s_mov_b32 s19, 0x3e928af3
	v_cmp_nlt_f64_e64 s17, 0x40900000, v[129:130]
	v_rndne_f64_e32 v[131:132], v[131:132]
	s_delay_alu instid0(VALU_DEP_1) | instskip(SKIP_2) | instid1(VALU_DEP_2)
	v_fma_f64 v[133:134], v[131:132], s[20:21], v[129:130]
	v_cvt_i32_f64_e32 v147, v[131:132]
	s_mov_b32 s21, 0x3fe62e42
	v_fma_f64 v[133:134], v[131:132], s[24:25], v[133:134]
	s_mov_b32 s25, 0x3c7abc9e
	s_delay_alu instid0(VALU_DEP_1) | instskip(SKIP_4) | instid1(VALU_DEP_1)
	v_fma_f64 v[145:146], v[133:134], s[28:29], s[18:19]
	s_mov_b32 s18, 0x623fde64
	s_mov_b32 s19, 0x3ec71dee
	;; [unrolled: 1-line block ×4, first 2 shown]
	v_fma_f64 v[145:146], v[133:134], v[145:146], s[18:19]
	s_mov_b32 s18, 0x7c89e6b0
	s_mov_b32 s19, 0x3efa0199
	s_delay_alu instid0(VALU_DEP_1) | instid1(SALU_CYCLE_1)
	v_fma_f64 v[145:146], v[133:134], v[145:146], s[18:19]
	s_mov_b32 s18, 0x14761f6e
	s_mov_b32 s19, 0x3f2a01a0
	s_delay_alu instid0(VALU_DEP_1) | instid1(SALU_CYCLE_1)
	;; [unrolled: 4-line block ×7, first 2 shown]
	v_fma_f64 v[145:146], v[133:134], v[145:146], s[18:19]
	v_cmp_ngt_f64_e64 s18, 0xc090cc00, v[129:130]
	s_mov_b32 s19, 0x3fe55555
	s_delay_alu instid0(VALU_DEP_2) | instskip(NEXT) | instid1(VALU_DEP_1)
	v_fma_f64 v[145:146], v[133:134], v[145:146], 1.0
	v_fma_f64 v[131:132], v[133:134], v[145:146], 1.0
	s_delay_alu instid0(VALU_DEP_1) | instskip(NEXT) | instid1(VALU_DEP_1)
	v_ldexp_f64 v[131:132], v[131:132], v147
	v_cndmask_b32_e64 v132, 0x7ff00000, v132, s17
	s_and_b32 s17, s18, s17
	s_delay_alu instid0(VALU_DEP_2) | instid1(SALU_CYCLE_1)
	v_cndmask_b32_e64 v129, 0, v131, s17
	s_delay_alu instid0(VALU_DEP_2) | instskip(SKIP_1) | instid1(VALU_DEP_1)
	v_cndmask_b32_e64 v130, 0, v132, s18
	s_mov_b32 s18, 0x55555555
	v_add_f64 v[131:132], v[129:130], 1.0
	s_delay_alu instid0(VALU_DEP_1) | instskip(SKIP_2) | instid1(VALU_DEP_3)
	v_frexp_mant_f64_e32 v[133:134], v[131:132]
	v_frexp_exp_i32_f64_e32 v147, v[131:132]
	v_add_f64 v[145:146], v[131:132], -1.0
	v_cmp_gt_f64_e64 s17, s[18:19], v[133:134]
	s_mov_b32 s18, 0x55555780
	s_delay_alu instid0(VALU_DEP_2) | instskip(SKIP_1) | instid1(VALU_DEP_3)
	v_add_f64 v[133:134], v[145:146], -v[131:132]
	v_add_f64 v[145:146], v[129:130], -v[145:146]
	v_subrev_co_ci_u32_e64 v151, s17, 0, v147, s17
	s_delay_alu instid0(VALU_DEP_3) | instskip(SKIP_1) | instid1(VALU_DEP_3)
	v_add_f64 v[133:134], v[133:134], 1.0
	v_cmp_eq_f64_e64 s17, 0x7ff00000, v[129:130]
	v_sub_nc_u32_e32 v149, 0, v151
	s_delay_alu instid0(VALU_DEP_1) | instskip(NEXT) | instid1(VALU_DEP_4)
	v_ldexp_f64 v[131:132], v[131:132], v149
	v_add_f64 v[133:134], v[145:146], v[133:134]
	s_delay_alu instid0(VALU_DEP_2) | instskip(SKIP_1) | instid1(VALU_DEP_3)
	v_add_f64 v[147:148], v[131:132], 1.0
	v_add_f64 v[162:163], v[131:132], -1.0
	v_ldexp_f64 v[133:134], v[133:134], v149
	s_delay_alu instid0(VALU_DEP_3) | instskip(NEXT) | instid1(VALU_DEP_3)
	v_add_f64 v[145:146], v[147:148], -1.0
	v_add_f64 v[164:165], v[162:163], 1.0
	s_delay_alu instid0(VALU_DEP_2) | instskip(NEXT) | instid1(VALU_DEP_2)
	v_add_f64 v[145:146], v[131:132], -v[145:146]
	v_add_f64 v[131:132], v[131:132], -v[164:165]
	s_delay_alu instid0(VALU_DEP_2) | instskip(NEXT) | instid1(VALU_DEP_2)
	v_add_f64 v[145:146], v[133:134], v[145:146]
	v_add_f64 v[131:132], v[133:134], v[131:132]
	s_delay_alu instid0(VALU_DEP_2) | instskip(NEXT) | instid1(VALU_DEP_2)
	v_add_f64 v[149:150], v[147:148], v[145:146]
	v_add_f64 v[164:165], v[162:163], v[131:132]
	s_delay_alu instid0(VALU_DEP_2) | instskip(SKIP_1) | instid1(VALU_DEP_2)
	v_rcp_f64_e32 v[160:161], v[149:150]
	v_add_f64 v[147:148], v[149:150], -v[147:148]
	v_add_f64 v[162:163], v[164:165], -v[162:163]
	s_delay_alu instid0(VALU_DEP_2) | instskip(SKIP_3) | instid1(VALU_DEP_2)
	v_add_f64 v[145:146], v[145:146], -v[147:148]
	s_waitcnt_depctr 0xfff
	v_fma_f64 v[209:210], -v[149:150], v[160:161], 1.0
	v_add_f64 v[131:132], v[131:132], -v[162:163]
	v_fma_f64 v[160:161], v[209:210], v[160:161], v[160:161]
	s_delay_alu instid0(VALU_DEP_1) | instskip(NEXT) | instid1(VALU_DEP_1)
	v_fma_f64 v[133:134], -v[149:150], v[160:161], 1.0
	v_fma_f64 v[133:134], v[133:134], v[160:161], v[160:161]
	s_delay_alu instid0(VALU_DEP_1) | instskip(NEXT) | instid1(VALU_DEP_1)
	v_mul_f64 v[160:161], v[164:165], v[133:134]
	v_mul_f64 v[209:210], v[149:150], v[160:161]
	s_delay_alu instid0(VALU_DEP_1) | instskip(NEXT) | instid1(VALU_DEP_1)
	v_fma_f64 v[147:148], v[160:161], v[149:150], -v[209:210]
	v_fma_f64 v[147:148], v[160:161], v[145:146], v[147:148]
	s_delay_alu instid0(VALU_DEP_1) | instskip(NEXT) | instid1(VALU_DEP_1)
	v_add_f64 v[211:212], v[209:210], v[147:148]
	v_add_f64 v[213:214], v[164:165], -v[211:212]
	v_add_f64 v[162:163], v[211:212], -v[209:210]
	s_delay_alu instid0(VALU_DEP_2) | instskip(NEXT) | instid1(VALU_DEP_2)
	v_add_f64 v[164:165], v[164:165], -v[213:214]
	v_add_f64 v[147:148], v[162:163], -v[147:148]
	s_delay_alu instid0(VALU_DEP_2) | instskip(NEXT) | instid1(VALU_DEP_1)
	v_add_f64 v[164:165], v[164:165], -v[211:212]
	v_add_f64 v[131:132], v[131:132], v[164:165]
	s_delay_alu instid0(VALU_DEP_1) | instskip(NEXT) | instid1(VALU_DEP_1)
	v_add_f64 v[131:132], v[147:148], v[131:132]
	v_add_f64 v[147:148], v[213:214], v[131:132]
	s_delay_alu instid0(VALU_DEP_1) | instskip(SKIP_1) | instid1(VALU_DEP_2)
	v_mul_f64 v[162:163], v[133:134], v[147:148]
	v_add_f64 v[211:212], v[213:214], -v[147:148]
	v_mul_f64 v[164:165], v[149:150], v[162:163]
	s_delay_alu instid0(VALU_DEP_2) | instskip(NEXT) | instid1(VALU_DEP_2)
	v_add_f64 v[131:132], v[131:132], v[211:212]
	v_fma_f64 v[149:150], v[162:163], v[149:150], -v[164:165]
	s_delay_alu instid0(VALU_DEP_1) | instskip(NEXT) | instid1(VALU_DEP_1)
	v_fma_f64 v[145:146], v[162:163], v[145:146], v[149:150]
	v_add_f64 v[149:150], v[164:165], v[145:146]
	s_delay_alu instid0(VALU_DEP_1) | instskip(SKIP_1) | instid1(VALU_DEP_2)
	v_add_f64 v[209:210], v[147:148], -v[149:150]
	v_add_f64 v[164:165], v[149:150], -v[164:165]
	;; [unrolled: 1-line block ×3, first 2 shown]
	s_delay_alu instid0(VALU_DEP_2) | instskip(NEXT) | instid1(VALU_DEP_2)
	v_add_f64 v[145:146], v[164:165], -v[145:146]
	v_add_f64 v[147:148], v[147:148], -v[149:150]
	s_delay_alu instid0(VALU_DEP_1) | instskip(SKIP_1) | instid1(VALU_DEP_2)
	v_add_f64 v[131:132], v[131:132], v[147:148]
	v_add_f64 v[147:148], v[160:161], v[162:163]
	;; [unrolled: 1-line block ×3, first 2 shown]
	s_delay_alu instid0(VALU_DEP_2) | instskip(NEXT) | instid1(VALU_DEP_2)
	v_add_f64 v[145:146], v[147:148], -v[160:161]
	v_add_f64 v[131:132], v[209:210], v[131:132]
	s_delay_alu instid0(VALU_DEP_2) | instskip(NEXT) | instid1(VALU_DEP_2)
	v_add_f64 v[145:146], v[162:163], -v[145:146]
	v_mul_f64 v[131:132], v[133:134], v[131:132]
	s_delay_alu instid0(VALU_DEP_1) | instskip(NEXT) | instid1(VALU_DEP_1)
	v_add_f64 v[131:132], v[145:146], v[131:132]
	v_add_f64 v[133:134], v[147:148], v[131:132]
	s_delay_alu instid0(VALU_DEP_1) | instskip(NEXT) | instid1(VALU_DEP_1)
	v_mul_f64 v[145:146], v[133:134], v[133:134]
	v_fma_f64 v[149:150], v[145:146], s[30:31], s[28:29]
	s_mov_b32 s28, 0xd7f4df2e
	s_mov_b32 s29, 0x3fc7474d
	v_mul_f64 v[160:161], v[133:134], v[145:146]
	s_delay_alu instid0(VALU_DEP_2)
	v_fma_f64 v[149:150], v[145:146], v[149:150], s[28:29]
	s_mov_b32 s28, 0x16291751
	s_mov_b32 s29, 0x3fcc71c0
	s_delay_alu instid0(VALU_DEP_1) | instid1(SALU_CYCLE_1)
	v_fma_f64 v[149:150], v[145:146], v[149:150], s[28:29]
	s_mov_b32 s28, 0x9b27acf1
	s_mov_b32 s29, 0x3fd24924
	s_delay_alu instid0(VALU_DEP_1) | instid1(SALU_CYCLE_1)
	;; [unrolled: 4-line block ×3, first 2 shown]
	v_fma_f64 v[149:150], v[145:146], v[149:150], s[28:29]
	s_delay_alu instid0(VALU_DEP_1) | instskip(SKIP_2) | instid1(VALU_DEP_3)
	v_fma_f64 v[145:146], v[145:146], v[149:150], s[18:19]
	v_ldexp_f64 v[149:150], v[133:134], 1
	v_add_f64 v[133:134], v[133:134], -v[147:148]
	v_mul_f64 v[145:146], v[160:161], v[145:146]
	v_cvt_f64_i32_e32 v[160:161], v151
	s_delay_alu instid0(VALU_DEP_3) | instskip(NEXT) | instid1(VALU_DEP_3)
	v_add_f64 v[131:132], v[131:132], -v[133:134]
	v_add_f64 v[147:148], v[149:150], v[145:146]
	s_delay_alu instid0(VALU_DEP_3) | instskip(NEXT) | instid1(VALU_DEP_3)
	v_mul_f64 v[162:163], v[160:161], s[20:21]
	v_ldexp_f64 v[131:132], v[131:132], 1
	s_delay_alu instid0(VALU_DEP_3) | instskip(NEXT) | instid1(VALU_DEP_3)
	v_add_f64 v[133:134], v[147:148], -v[149:150]
	v_fma_f64 v[149:150], v[160:161], s[20:21], -v[162:163]
	s_delay_alu instid0(VALU_DEP_2) | instskip(NEXT) | instid1(VALU_DEP_2)
	v_add_f64 v[133:134], v[145:146], -v[133:134]
	v_fma_f64 v[145:146], v[160:161], s[24:25], v[149:150]
	s_delay_alu instid0(VALU_DEP_2) | instskip(NEXT) | instid1(VALU_DEP_2)
	v_add_f64 v[131:132], v[131:132], v[133:134]
	v_add_f64 v[133:134], v[162:163], v[145:146]
	s_delay_alu instid0(VALU_DEP_2) | instskip(NEXT) | instid1(VALU_DEP_2)
	v_add_f64 v[149:150], v[147:148], v[131:132]
	v_add_f64 v[162:163], v[133:134], -v[162:163]
	s_delay_alu instid0(VALU_DEP_2) | instskip(SKIP_1) | instid1(VALU_DEP_3)
	v_add_f64 v[160:161], v[133:134], v[149:150]
	v_add_f64 v[147:148], v[149:150], -v[147:148]
	v_add_f64 v[145:146], v[145:146], -v[162:163]
	s_delay_alu instid0(VALU_DEP_3) | instskip(NEXT) | instid1(VALU_DEP_3)
	v_add_f64 v[164:165], v[160:161], -v[133:134]
	v_add_f64 v[131:132], v[131:132], -v[147:148]
	s_delay_alu instid0(VALU_DEP_2) | instskip(SKIP_1) | instid1(VALU_DEP_3)
	v_add_f64 v[209:210], v[160:161], -v[164:165]
	v_add_f64 v[147:148], v[149:150], -v[164:165]
	v_add_f64 v[149:150], v[145:146], v[131:132]
	s_delay_alu instid0(VALU_DEP_3) | instskip(NEXT) | instid1(VALU_DEP_1)
	v_add_f64 v[133:134], v[133:134], -v[209:210]
	v_add_f64 v[133:134], v[147:148], v[133:134]
	s_delay_alu instid0(VALU_DEP_3) | instskip(NEXT) | instid1(VALU_DEP_2)
	v_add_f64 v[147:148], v[149:150], -v[145:146]
	v_add_f64 v[133:134], v[149:150], v[133:134]
	s_delay_alu instid0(VALU_DEP_2) | instskip(SKIP_1) | instid1(VALU_DEP_3)
	v_add_f64 v[149:150], v[149:150], -v[147:148]
	v_add_f64 v[131:132], v[131:132], -v[147:148]
	v_add_f64 v[162:163], v[160:161], v[133:134]
	s_delay_alu instid0(VALU_DEP_3) | instskip(NEXT) | instid1(VALU_DEP_2)
	v_add_f64 v[145:146], v[145:146], -v[149:150]
	v_add_f64 v[147:148], v[162:163], -v[160:161]
	s_delay_alu instid0(VALU_DEP_2) | instskip(NEXT) | instid1(VALU_DEP_2)
	v_add_f64 v[131:132], v[131:132], v[145:146]
	v_add_f64 v[133:134], v[133:134], -v[147:148]
	s_delay_alu instid0(VALU_DEP_1) | instskip(NEXT) | instid1(VALU_DEP_1)
	v_add_f64 v[131:132], v[131:132], v[133:134]
	v_add_f64 v[131:132], v[162:163], v[131:132]
	s_delay_alu instid0(VALU_DEP_1) | instskip(NEXT) | instid1(VALU_DEP_2)
	v_cndmask_b32_e64 v131, v131, v129, s17
	v_cndmask_b32_e64 v132, v132, v130, s17
	v_cmp_ngt_f64_e64 s17, -1.0, v[129:130]
	s_delay_alu instid0(VALU_DEP_1) | instskip(SKIP_1) | instid1(VALU_DEP_1)
	v_cndmask_b32_e64 v132, 0x7ff80000, v132, s17
	v_cmp_nge_f64_e64 s17, -1.0, v[129:130]
	v_cndmask_b32_e64 v131, 0, v131, s17
	v_cmp_neq_f64_e64 s17, -1.0, v[129:130]
	s_delay_alu instid0(VALU_DEP_1) | instskip(NEXT) | instid1(VALU_DEP_1)
	v_cndmask_b32_e64 v132, 0xfff00000, v132, s17
	v_add_f64 v[129:130], v[48:49], v[131:132]
.LBB8_307:
	s_or_b32 exec_lo, exec_lo, s27
	s_delay_alu instid0(VALU_DEP_1)
	v_dual_mov_b32 v48, v129 :: v_dual_mov_b32 v49, v130
.LBB8_308:
	s_or_b32 exec_lo, exec_lo, s26
	s_waitcnt lgkmcnt(1)
	v_and_b32_e32 v129, 0x3e0, v128
	v_lshrrev_b32_e32 v145, 5, v128
	s_mov_b32 s18, exec_lo
	s_delay_alu instid0(VALU_DEP_2) | instskip(NEXT) | instid1(VALU_DEP_1)
	v_min_u32_e32 v129, 0xe0, v129
	v_or_b32_e32 v129, 31, v129
	s_delay_alu instid0(VALU_DEP_1)
	v_cmpx_eq_u32_e64 v129, v128
	s_cbranch_execz .LBB8_310
; %bb.309:
	v_lshlrev_b32_e32 v129, 3, v145
	ds_store_b64 v129, v[48:49]
.LBB8_310:
	s_or_b32 exec_lo, exec_lo, s18
	s_delay_alu instid0(SALU_CYCLE_1)
	s_mov_b32 s26, exec_lo
	s_waitcnt lgkmcnt(0)
	s_barrier
	buffer_gl0_inv
	v_cmpx_gt_u32_e32 8, v128
	s_cbranch_execz .LBB8_324
; %bb.311:
	ds_load_b64 v[129:130], v195
	v_and_b32_e32 v146, 7, v144
	s_mov_b32 s27, exec_lo
	s_waitcnt lgkmcnt(0)
	v_mov_b32_e32 v133, v129
	v_mov_b32_dpp v131, v129 row_shr:1 row_mask:0xf bank_mask:0xf
	v_mov_b32_dpp v132, v130 row_shr:1 row_mask:0xf bank_mask:0xf
	v_mov_b32_e32 v134, v130
	v_cmpx_ne_u32_e32 0, v146
	s_cbranch_execz .LBB8_315
; %bb.312:
	s_delay_alu instid0(VALU_DEP_3) | instskip(SKIP_3) | instid1(VALU_DEP_3)
	v_max_f64 v[133:134], v[131:132], v[131:132]
	v_max_f64 v[147:148], v[129:130], v[129:130]
	v_cmp_u_f64_e64 s17, v[131:132], v[131:132]
	v_cmp_u_f64_e64 s18, v[129:130], v[129:130]
	v_min_f64 v[149:150], v[133:134], v[147:148]
	v_max_f64 v[133:134], v[133:134], v[147:148]
	s_delay_alu instid0(VALU_DEP_2) | instskip(NEXT) | instid1(VALU_DEP_3)
	v_cndmask_b32_e64 v147, v149, v131, s17
	v_cndmask_b32_e64 v148, v150, v132, s17
	s_delay_alu instid0(VALU_DEP_3) | instskip(NEXT) | instid1(VALU_DEP_4)
	v_cndmask_b32_e64 v149, v134, v132, s17
	v_cndmask_b32_e64 v150, v133, v131, s17
	s_delay_alu instid0(VALU_DEP_4) | instskip(NEXT) | instid1(VALU_DEP_4)
	v_cndmask_b32_e64 v133, v147, v129, s18
	v_cndmask_b32_e64 v134, v148, v130, s18
	s_delay_alu instid0(VALU_DEP_4) | instskip(NEXT) | instid1(VALU_DEP_4)
	v_cndmask_b32_e64 v130, v149, v130, s18
	v_cndmask_b32_e64 v129, v150, v129, s18
	s_delay_alu instid0(VALU_DEP_3) | instskip(NEXT) | instid1(VALU_DEP_2)
	v_cmp_class_f64_e64 s18, v[133:134], 0x1f8
	v_cmp_neq_f64_e64 s17, v[133:134], v[129:130]
	s_delay_alu instid0(VALU_DEP_1) | instskip(NEXT) | instid1(SALU_CYCLE_1)
	s_or_b32 s17, s17, s18
	s_and_saveexec_b32 s28, s17
	s_cbranch_execz .LBB8_314
; %bb.313:
	v_add_f64 v[131:132], v[133:134], -v[129:130]
	s_mov_b32 s18, 0x652b82fe
	s_mov_b32 s19, 0x3ff71547
	;; [unrolled: 1-line block ×10, first 2 shown]
	s_delay_alu instid0(VALU_DEP_1) | instskip(SKIP_3) | instid1(VALU_DEP_2)
	v_mul_f64 v[133:134], v[131:132], s[18:19]
	s_mov_b32 s18, 0xfca7ab0c
	s_mov_b32 s19, 0x3e928af3
	v_cmp_nlt_f64_e64 s17, 0x40900000, v[131:132]
	v_rndne_f64_e32 v[133:134], v[133:134]
	s_delay_alu instid0(VALU_DEP_1) | instskip(SKIP_2) | instid1(VALU_DEP_2)
	v_fma_f64 v[147:148], v[133:134], s[20:21], v[131:132]
	v_cvt_i32_f64_e32 v151, v[133:134]
	s_mov_b32 s21, 0x3fe62e42
	v_fma_f64 v[147:148], v[133:134], s[24:25], v[147:148]
	s_mov_b32 s25, 0x3c7abc9e
	s_delay_alu instid0(VALU_DEP_1) | instskip(SKIP_4) | instid1(VALU_DEP_1)
	v_fma_f64 v[149:150], v[147:148], s[30:31], s[18:19]
	s_mov_b32 s18, 0x623fde64
	s_mov_b32 s19, 0x3ec71dee
	;; [unrolled: 1-line block ×4, first 2 shown]
	v_fma_f64 v[149:150], v[147:148], v[149:150], s[18:19]
	s_mov_b32 s18, 0x7c89e6b0
	s_mov_b32 s19, 0x3efa0199
	s_delay_alu instid0(VALU_DEP_1) | instid1(SALU_CYCLE_1)
	v_fma_f64 v[149:150], v[147:148], v[149:150], s[18:19]
	s_mov_b32 s18, 0x14761f6e
	s_mov_b32 s19, 0x3f2a01a0
	s_delay_alu instid0(VALU_DEP_1) | instid1(SALU_CYCLE_1)
	;; [unrolled: 4-line block ×7, first 2 shown]
	v_fma_f64 v[149:150], v[147:148], v[149:150], s[18:19]
	v_cmp_ngt_f64_e64 s18, 0xc090cc00, v[131:132]
	s_mov_b32 s19, 0x3fe55555
	s_delay_alu instid0(VALU_DEP_2) | instskip(NEXT) | instid1(VALU_DEP_1)
	v_fma_f64 v[149:150], v[147:148], v[149:150], 1.0
	v_fma_f64 v[133:134], v[147:148], v[149:150], 1.0
	s_delay_alu instid0(VALU_DEP_1) | instskip(NEXT) | instid1(VALU_DEP_1)
	v_ldexp_f64 v[133:134], v[133:134], v151
	v_cndmask_b32_e64 v134, 0x7ff00000, v134, s17
	s_and_b32 s17, s18, s17
	s_delay_alu instid0(VALU_DEP_2) | instid1(SALU_CYCLE_1)
	v_cndmask_b32_e64 v131, 0, v133, s17
	s_delay_alu instid0(VALU_DEP_2) | instskip(SKIP_1) | instid1(VALU_DEP_1)
	v_cndmask_b32_e64 v132, 0, v134, s18
	s_mov_b32 s18, 0x55555555
	v_add_f64 v[133:134], v[131:132], 1.0
	s_delay_alu instid0(VALU_DEP_1) | instskip(SKIP_2) | instid1(VALU_DEP_3)
	v_frexp_mant_f64_e32 v[147:148], v[133:134]
	v_frexp_exp_i32_f64_e32 v151, v[133:134]
	v_add_f64 v[149:150], v[133:134], -1.0
	v_cmp_gt_f64_e64 s17, s[18:19], v[147:148]
	s_mov_b32 s18, 0x55555780
	s_delay_alu instid0(VALU_DEP_2) | instskip(SKIP_1) | instid1(VALU_DEP_3)
	v_add_f64 v[147:148], v[149:150], -v[133:134]
	v_add_f64 v[149:150], v[131:132], -v[149:150]
	v_subrev_co_ci_u32_e64 v151, s17, 0, v151, s17
	s_delay_alu instid0(VALU_DEP_3) | instskip(SKIP_1) | instid1(VALU_DEP_3)
	v_add_f64 v[147:148], v[147:148], 1.0
	v_cmp_eq_f64_e64 s17, 0x7ff00000, v[131:132]
	v_sub_nc_u32_e32 v162, 0, v151
	s_delay_alu instid0(VALU_DEP_1) | instskip(NEXT) | instid1(VALU_DEP_4)
	v_ldexp_f64 v[133:134], v[133:134], v162
	v_add_f64 v[147:148], v[149:150], v[147:148]
	s_delay_alu instid0(VALU_DEP_2) | instskip(SKIP_1) | instid1(VALU_DEP_3)
	v_add_f64 v[160:161], v[133:134], 1.0
	v_add_f64 v[209:210], v[133:134], -1.0
	v_ldexp_f64 v[147:148], v[147:148], v162
	s_delay_alu instid0(VALU_DEP_3) | instskip(NEXT) | instid1(VALU_DEP_3)
	v_add_f64 v[149:150], v[160:161], -1.0
	v_add_f64 v[211:212], v[209:210], 1.0
	s_delay_alu instid0(VALU_DEP_2) | instskip(NEXT) | instid1(VALU_DEP_2)
	v_add_f64 v[149:150], v[133:134], -v[149:150]
	v_add_f64 v[133:134], v[133:134], -v[211:212]
	s_delay_alu instid0(VALU_DEP_2) | instskip(NEXT) | instid1(VALU_DEP_2)
	v_add_f64 v[149:150], v[147:148], v[149:150]
	v_add_f64 v[133:134], v[147:148], v[133:134]
	s_delay_alu instid0(VALU_DEP_2) | instskip(NEXT) | instid1(VALU_DEP_2)
	v_add_f64 v[162:163], v[160:161], v[149:150]
	v_add_f64 v[211:212], v[209:210], v[133:134]
	s_delay_alu instid0(VALU_DEP_2) | instskip(SKIP_1) | instid1(VALU_DEP_2)
	v_rcp_f64_e32 v[164:165], v[162:163]
	v_add_f64 v[160:161], v[162:163], -v[160:161]
	v_add_f64 v[209:210], v[211:212], -v[209:210]
	s_delay_alu instid0(VALU_DEP_2) | instskip(SKIP_3) | instid1(VALU_DEP_2)
	v_add_f64 v[149:150], v[149:150], -v[160:161]
	s_waitcnt_depctr 0xfff
	v_fma_f64 v[213:214], -v[162:163], v[164:165], 1.0
	v_add_f64 v[133:134], v[133:134], -v[209:210]
	v_fma_f64 v[164:165], v[213:214], v[164:165], v[164:165]
	s_delay_alu instid0(VALU_DEP_1) | instskip(NEXT) | instid1(VALU_DEP_1)
	v_fma_f64 v[147:148], -v[162:163], v[164:165], 1.0
	v_fma_f64 v[147:148], v[147:148], v[164:165], v[164:165]
	s_delay_alu instid0(VALU_DEP_1) | instskip(NEXT) | instid1(VALU_DEP_1)
	v_mul_f64 v[164:165], v[211:212], v[147:148]
	v_mul_f64 v[213:214], v[162:163], v[164:165]
	s_delay_alu instid0(VALU_DEP_1) | instskip(NEXT) | instid1(VALU_DEP_1)
	v_fma_f64 v[160:161], v[164:165], v[162:163], -v[213:214]
	v_fma_f64 v[160:161], v[164:165], v[149:150], v[160:161]
	s_delay_alu instid0(VALU_DEP_1) | instskip(NEXT) | instid1(VALU_DEP_1)
	v_add_f64 v[224:225], v[213:214], v[160:161]
	v_add_f64 v[226:227], v[211:212], -v[224:225]
	v_add_f64 v[209:210], v[224:225], -v[213:214]
	s_delay_alu instid0(VALU_DEP_2) | instskip(NEXT) | instid1(VALU_DEP_2)
	v_add_f64 v[211:212], v[211:212], -v[226:227]
	v_add_f64 v[160:161], v[209:210], -v[160:161]
	s_delay_alu instid0(VALU_DEP_2) | instskip(NEXT) | instid1(VALU_DEP_1)
	v_add_f64 v[211:212], v[211:212], -v[224:225]
	v_add_f64 v[133:134], v[133:134], v[211:212]
	s_delay_alu instid0(VALU_DEP_1) | instskip(NEXT) | instid1(VALU_DEP_1)
	v_add_f64 v[133:134], v[160:161], v[133:134]
	v_add_f64 v[160:161], v[226:227], v[133:134]
	s_delay_alu instid0(VALU_DEP_1) | instskip(SKIP_1) | instid1(VALU_DEP_2)
	v_mul_f64 v[209:210], v[147:148], v[160:161]
	v_add_f64 v[224:225], v[226:227], -v[160:161]
	v_mul_f64 v[211:212], v[162:163], v[209:210]
	s_delay_alu instid0(VALU_DEP_2) | instskip(NEXT) | instid1(VALU_DEP_2)
	v_add_f64 v[133:134], v[133:134], v[224:225]
	v_fma_f64 v[162:163], v[209:210], v[162:163], -v[211:212]
	s_delay_alu instid0(VALU_DEP_1) | instskip(NEXT) | instid1(VALU_DEP_1)
	v_fma_f64 v[149:150], v[209:210], v[149:150], v[162:163]
	v_add_f64 v[162:163], v[211:212], v[149:150]
	s_delay_alu instid0(VALU_DEP_1) | instskip(SKIP_1) | instid1(VALU_DEP_2)
	v_add_f64 v[213:214], v[160:161], -v[162:163]
	v_add_f64 v[211:212], v[162:163], -v[211:212]
	;; [unrolled: 1-line block ×3, first 2 shown]
	s_delay_alu instid0(VALU_DEP_2) | instskip(NEXT) | instid1(VALU_DEP_2)
	v_add_f64 v[149:150], v[211:212], -v[149:150]
	v_add_f64 v[160:161], v[160:161], -v[162:163]
	s_delay_alu instid0(VALU_DEP_1) | instskip(SKIP_1) | instid1(VALU_DEP_2)
	v_add_f64 v[133:134], v[133:134], v[160:161]
	v_add_f64 v[160:161], v[164:165], v[209:210]
	;; [unrolled: 1-line block ×3, first 2 shown]
	s_delay_alu instid0(VALU_DEP_2) | instskip(NEXT) | instid1(VALU_DEP_2)
	v_add_f64 v[149:150], v[160:161], -v[164:165]
	v_add_f64 v[133:134], v[213:214], v[133:134]
	s_delay_alu instid0(VALU_DEP_2) | instskip(NEXT) | instid1(VALU_DEP_2)
	v_add_f64 v[149:150], v[209:210], -v[149:150]
	v_mul_f64 v[133:134], v[147:148], v[133:134]
	s_delay_alu instid0(VALU_DEP_1) | instskip(NEXT) | instid1(VALU_DEP_1)
	v_add_f64 v[133:134], v[149:150], v[133:134]
	v_add_f64 v[147:148], v[160:161], v[133:134]
	s_delay_alu instid0(VALU_DEP_1) | instskip(NEXT) | instid1(VALU_DEP_1)
	v_mul_f64 v[149:150], v[147:148], v[147:148]
	v_fma_f64 v[162:163], v[149:150], s[34:35], s[30:31]
	s_mov_b32 s30, 0xd7f4df2e
	s_mov_b32 s31, 0x3fc7474d
	v_mul_f64 v[164:165], v[147:148], v[149:150]
	s_delay_alu instid0(VALU_DEP_2)
	v_fma_f64 v[162:163], v[149:150], v[162:163], s[30:31]
	s_mov_b32 s30, 0x16291751
	s_mov_b32 s31, 0x3fcc71c0
	s_delay_alu instid0(VALU_DEP_1) | instid1(SALU_CYCLE_1)
	v_fma_f64 v[162:163], v[149:150], v[162:163], s[30:31]
	s_mov_b32 s30, 0x9b27acf1
	s_mov_b32 s31, 0x3fd24924
	s_delay_alu instid0(VALU_DEP_1) | instid1(SALU_CYCLE_1)
	;; [unrolled: 4-line block ×3, first 2 shown]
	v_fma_f64 v[162:163], v[149:150], v[162:163], s[30:31]
	s_delay_alu instid0(VALU_DEP_1) | instskip(SKIP_2) | instid1(VALU_DEP_3)
	v_fma_f64 v[149:150], v[149:150], v[162:163], s[18:19]
	v_ldexp_f64 v[162:163], v[147:148], 1
	v_add_f64 v[147:148], v[147:148], -v[160:161]
	v_mul_f64 v[149:150], v[164:165], v[149:150]
	v_cvt_f64_i32_e32 v[164:165], v151
	s_delay_alu instid0(VALU_DEP_3) | instskip(NEXT) | instid1(VALU_DEP_3)
	v_add_f64 v[133:134], v[133:134], -v[147:148]
	v_add_f64 v[160:161], v[162:163], v[149:150]
	s_delay_alu instid0(VALU_DEP_3) | instskip(NEXT) | instid1(VALU_DEP_3)
	v_mul_f64 v[209:210], v[164:165], s[20:21]
	v_ldexp_f64 v[133:134], v[133:134], 1
	s_delay_alu instid0(VALU_DEP_3) | instskip(NEXT) | instid1(VALU_DEP_3)
	v_add_f64 v[147:148], v[160:161], -v[162:163]
	v_fma_f64 v[162:163], v[164:165], s[20:21], -v[209:210]
	s_delay_alu instid0(VALU_DEP_2) | instskip(NEXT) | instid1(VALU_DEP_2)
	v_add_f64 v[147:148], v[149:150], -v[147:148]
	v_fma_f64 v[149:150], v[164:165], s[24:25], v[162:163]
	s_delay_alu instid0(VALU_DEP_2) | instskip(NEXT) | instid1(VALU_DEP_2)
	v_add_f64 v[133:134], v[133:134], v[147:148]
	v_add_f64 v[147:148], v[209:210], v[149:150]
	s_delay_alu instid0(VALU_DEP_2) | instskip(NEXT) | instid1(VALU_DEP_2)
	v_add_f64 v[162:163], v[160:161], v[133:134]
	v_add_f64 v[209:210], v[147:148], -v[209:210]
	s_delay_alu instid0(VALU_DEP_2) | instskip(SKIP_1) | instid1(VALU_DEP_3)
	v_add_f64 v[164:165], v[147:148], v[162:163]
	v_add_f64 v[160:161], v[162:163], -v[160:161]
	v_add_f64 v[149:150], v[149:150], -v[209:210]
	s_delay_alu instid0(VALU_DEP_3) | instskip(NEXT) | instid1(VALU_DEP_3)
	v_add_f64 v[211:212], v[164:165], -v[147:148]
	v_add_f64 v[133:134], v[133:134], -v[160:161]
	s_delay_alu instid0(VALU_DEP_2) | instskip(SKIP_1) | instid1(VALU_DEP_3)
	v_add_f64 v[213:214], v[164:165], -v[211:212]
	v_add_f64 v[160:161], v[162:163], -v[211:212]
	v_add_f64 v[162:163], v[149:150], v[133:134]
	s_delay_alu instid0(VALU_DEP_3) | instskip(NEXT) | instid1(VALU_DEP_1)
	v_add_f64 v[147:148], v[147:148], -v[213:214]
	v_add_f64 v[147:148], v[160:161], v[147:148]
	s_delay_alu instid0(VALU_DEP_3) | instskip(NEXT) | instid1(VALU_DEP_2)
	v_add_f64 v[160:161], v[162:163], -v[149:150]
	v_add_f64 v[147:148], v[162:163], v[147:148]
	s_delay_alu instid0(VALU_DEP_2) | instskip(SKIP_1) | instid1(VALU_DEP_3)
	v_add_f64 v[162:163], v[162:163], -v[160:161]
	v_add_f64 v[133:134], v[133:134], -v[160:161]
	v_add_f64 v[209:210], v[164:165], v[147:148]
	s_delay_alu instid0(VALU_DEP_3) | instskip(NEXT) | instid1(VALU_DEP_2)
	v_add_f64 v[149:150], v[149:150], -v[162:163]
	v_add_f64 v[160:161], v[209:210], -v[164:165]
	s_delay_alu instid0(VALU_DEP_2) | instskip(NEXT) | instid1(VALU_DEP_2)
	v_add_f64 v[133:134], v[133:134], v[149:150]
	v_add_f64 v[147:148], v[147:148], -v[160:161]
	s_delay_alu instid0(VALU_DEP_1) | instskip(NEXT) | instid1(VALU_DEP_1)
	v_add_f64 v[133:134], v[133:134], v[147:148]
	v_add_f64 v[133:134], v[209:210], v[133:134]
	s_delay_alu instid0(VALU_DEP_1) | instskip(NEXT) | instid1(VALU_DEP_2)
	v_cndmask_b32_e64 v133, v133, v131, s17
	v_cndmask_b32_e64 v134, v134, v132, s17
	v_cmp_ngt_f64_e64 s17, -1.0, v[131:132]
	s_delay_alu instid0(VALU_DEP_1) | instskip(SKIP_1) | instid1(VALU_DEP_1)
	v_cndmask_b32_e64 v134, 0x7ff80000, v134, s17
	v_cmp_nge_f64_e64 s17, -1.0, v[131:132]
	v_cndmask_b32_e64 v133, 0, v133, s17
	v_cmp_neq_f64_e64 s17, -1.0, v[131:132]
	s_delay_alu instid0(VALU_DEP_1) | instskip(NEXT) | instid1(VALU_DEP_1)
	v_cndmask_b32_e64 v134, 0xfff00000, v134, s17
	v_add_f64 v[131:132], v[129:130], v[133:134]
.LBB8_314:
	s_or_b32 exec_lo, exec_lo, s28
	s_delay_alu instid0(VALU_DEP_1)
	v_dual_mov_b32 v133, v131 :: v_dual_mov_b32 v134, v132
	v_dual_mov_b32 v129, v131 :: v_dual_mov_b32 v130, v132
.LBB8_315:
	s_or_b32 exec_lo, exec_lo, s27
	s_delay_alu instid0(VALU_DEP_2) | instskip(NEXT) | instid1(VALU_DEP_3)
	v_mov_b32_dpp v131, v133 row_shr:2 row_mask:0xf bank_mask:0xf
	v_mov_b32_dpp v132, v134 row_shr:2 row_mask:0xf bank_mask:0xf
	s_mov_b32 s27, exec_lo
	v_cmpx_lt_u32_e32 1, v146
	s_cbranch_execz .LBB8_319
; %bb.316:
	s_delay_alu instid0(VALU_DEP_2) | instskip(SKIP_3) | instid1(VALU_DEP_3)
	v_max_f64 v[133:134], v[131:132], v[131:132]
	v_max_f64 v[147:148], v[129:130], v[129:130]
	v_cmp_u_f64_e64 s17, v[131:132], v[131:132]
	v_cmp_u_f64_e64 s18, v[129:130], v[129:130]
	v_min_f64 v[149:150], v[133:134], v[147:148]
	v_max_f64 v[133:134], v[133:134], v[147:148]
	s_delay_alu instid0(VALU_DEP_2) | instskip(NEXT) | instid1(VALU_DEP_3)
	v_cndmask_b32_e64 v147, v149, v131, s17
	v_cndmask_b32_e64 v148, v150, v132, s17
	s_delay_alu instid0(VALU_DEP_3) | instskip(NEXT) | instid1(VALU_DEP_4)
	v_cndmask_b32_e64 v149, v134, v132, s17
	v_cndmask_b32_e64 v150, v133, v131, s17
	s_delay_alu instid0(VALU_DEP_4) | instskip(NEXT) | instid1(VALU_DEP_4)
	v_cndmask_b32_e64 v133, v147, v129, s18
	v_cndmask_b32_e64 v134, v148, v130, s18
	s_delay_alu instid0(VALU_DEP_4) | instskip(NEXT) | instid1(VALU_DEP_4)
	v_cndmask_b32_e64 v130, v149, v130, s18
	v_cndmask_b32_e64 v129, v150, v129, s18
	s_delay_alu instid0(VALU_DEP_3) | instskip(NEXT) | instid1(VALU_DEP_2)
	v_cmp_class_f64_e64 s18, v[133:134], 0x1f8
	v_cmp_neq_f64_e64 s17, v[133:134], v[129:130]
	s_delay_alu instid0(VALU_DEP_1) | instskip(NEXT) | instid1(SALU_CYCLE_1)
	s_or_b32 s17, s17, s18
	s_and_saveexec_b32 s28, s17
	s_cbranch_execz .LBB8_318
; %bb.317:
	v_add_f64 v[131:132], v[133:134], -v[129:130]
	s_mov_b32 s18, 0x652b82fe
	s_mov_b32 s19, 0x3ff71547
	;; [unrolled: 1-line block ×10, first 2 shown]
	s_delay_alu instid0(VALU_DEP_1) | instskip(SKIP_3) | instid1(VALU_DEP_2)
	v_mul_f64 v[133:134], v[131:132], s[18:19]
	s_mov_b32 s18, 0xfca7ab0c
	s_mov_b32 s19, 0x3e928af3
	v_cmp_nlt_f64_e64 s17, 0x40900000, v[131:132]
	v_rndne_f64_e32 v[133:134], v[133:134]
	s_delay_alu instid0(VALU_DEP_1) | instskip(SKIP_2) | instid1(VALU_DEP_2)
	v_fma_f64 v[147:148], v[133:134], s[20:21], v[131:132]
	v_cvt_i32_f64_e32 v151, v[133:134]
	s_mov_b32 s21, 0x3fe62e42
	v_fma_f64 v[147:148], v[133:134], s[24:25], v[147:148]
	s_mov_b32 s25, 0x3c7abc9e
	s_delay_alu instid0(VALU_DEP_1) | instskip(SKIP_4) | instid1(VALU_DEP_1)
	v_fma_f64 v[149:150], v[147:148], s[30:31], s[18:19]
	s_mov_b32 s18, 0x623fde64
	s_mov_b32 s19, 0x3ec71dee
	;; [unrolled: 1-line block ×4, first 2 shown]
	v_fma_f64 v[149:150], v[147:148], v[149:150], s[18:19]
	s_mov_b32 s18, 0x7c89e6b0
	s_mov_b32 s19, 0x3efa0199
	s_delay_alu instid0(VALU_DEP_1) | instid1(SALU_CYCLE_1)
	v_fma_f64 v[149:150], v[147:148], v[149:150], s[18:19]
	s_mov_b32 s18, 0x14761f6e
	s_mov_b32 s19, 0x3f2a01a0
	s_delay_alu instid0(VALU_DEP_1) | instid1(SALU_CYCLE_1)
	;; [unrolled: 4-line block ×7, first 2 shown]
	v_fma_f64 v[149:150], v[147:148], v[149:150], s[18:19]
	v_cmp_ngt_f64_e64 s18, 0xc090cc00, v[131:132]
	s_mov_b32 s19, 0x3fe55555
	s_delay_alu instid0(VALU_DEP_2) | instskip(NEXT) | instid1(VALU_DEP_1)
	v_fma_f64 v[149:150], v[147:148], v[149:150], 1.0
	v_fma_f64 v[133:134], v[147:148], v[149:150], 1.0
	s_delay_alu instid0(VALU_DEP_1) | instskip(NEXT) | instid1(VALU_DEP_1)
	v_ldexp_f64 v[133:134], v[133:134], v151
	v_cndmask_b32_e64 v134, 0x7ff00000, v134, s17
	s_and_b32 s17, s18, s17
	s_delay_alu instid0(VALU_DEP_2) | instid1(SALU_CYCLE_1)
	v_cndmask_b32_e64 v131, 0, v133, s17
	s_delay_alu instid0(VALU_DEP_2) | instskip(SKIP_1) | instid1(VALU_DEP_1)
	v_cndmask_b32_e64 v132, 0, v134, s18
	s_mov_b32 s18, 0x55555555
	v_add_f64 v[133:134], v[131:132], 1.0
	s_delay_alu instid0(VALU_DEP_1) | instskip(SKIP_2) | instid1(VALU_DEP_3)
	v_frexp_mant_f64_e32 v[147:148], v[133:134]
	v_frexp_exp_i32_f64_e32 v151, v[133:134]
	v_add_f64 v[149:150], v[133:134], -1.0
	v_cmp_gt_f64_e64 s17, s[18:19], v[147:148]
	s_mov_b32 s18, 0x55555780
	s_delay_alu instid0(VALU_DEP_2) | instskip(SKIP_1) | instid1(VALU_DEP_3)
	v_add_f64 v[147:148], v[149:150], -v[133:134]
	v_add_f64 v[149:150], v[131:132], -v[149:150]
	v_subrev_co_ci_u32_e64 v151, s17, 0, v151, s17
	s_delay_alu instid0(VALU_DEP_3) | instskip(SKIP_1) | instid1(VALU_DEP_3)
	v_add_f64 v[147:148], v[147:148], 1.0
	v_cmp_eq_f64_e64 s17, 0x7ff00000, v[131:132]
	v_sub_nc_u32_e32 v162, 0, v151
	s_delay_alu instid0(VALU_DEP_1) | instskip(NEXT) | instid1(VALU_DEP_4)
	v_ldexp_f64 v[133:134], v[133:134], v162
	v_add_f64 v[147:148], v[149:150], v[147:148]
	s_delay_alu instid0(VALU_DEP_2) | instskip(SKIP_1) | instid1(VALU_DEP_3)
	v_add_f64 v[160:161], v[133:134], 1.0
	v_add_f64 v[209:210], v[133:134], -1.0
	v_ldexp_f64 v[147:148], v[147:148], v162
	s_delay_alu instid0(VALU_DEP_3) | instskip(NEXT) | instid1(VALU_DEP_3)
	v_add_f64 v[149:150], v[160:161], -1.0
	v_add_f64 v[211:212], v[209:210], 1.0
	s_delay_alu instid0(VALU_DEP_2) | instskip(NEXT) | instid1(VALU_DEP_2)
	v_add_f64 v[149:150], v[133:134], -v[149:150]
	v_add_f64 v[133:134], v[133:134], -v[211:212]
	s_delay_alu instid0(VALU_DEP_2) | instskip(NEXT) | instid1(VALU_DEP_2)
	v_add_f64 v[149:150], v[147:148], v[149:150]
	v_add_f64 v[133:134], v[147:148], v[133:134]
	s_delay_alu instid0(VALU_DEP_2) | instskip(NEXT) | instid1(VALU_DEP_2)
	v_add_f64 v[162:163], v[160:161], v[149:150]
	v_add_f64 v[211:212], v[209:210], v[133:134]
	s_delay_alu instid0(VALU_DEP_2) | instskip(SKIP_1) | instid1(VALU_DEP_2)
	v_rcp_f64_e32 v[164:165], v[162:163]
	v_add_f64 v[160:161], v[162:163], -v[160:161]
	v_add_f64 v[209:210], v[211:212], -v[209:210]
	s_delay_alu instid0(VALU_DEP_2) | instskip(SKIP_3) | instid1(VALU_DEP_2)
	v_add_f64 v[149:150], v[149:150], -v[160:161]
	s_waitcnt_depctr 0xfff
	v_fma_f64 v[213:214], -v[162:163], v[164:165], 1.0
	v_add_f64 v[133:134], v[133:134], -v[209:210]
	v_fma_f64 v[164:165], v[213:214], v[164:165], v[164:165]
	s_delay_alu instid0(VALU_DEP_1) | instskip(NEXT) | instid1(VALU_DEP_1)
	v_fma_f64 v[147:148], -v[162:163], v[164:165], 1.0
	v_fma_f64 v[147:148], v[147:148], v[164:165], v[164:165]
	s_delay_alu instid0(VALU_DEP_1) | instskip(NEXT) | instid1(VALU_DEP_1)
	v_mul_f64 v[164:165], v[211:212], v[147:148]
	v_mul_f64 v[213:214], v[162:163], v[164:165]
	s_delay_alu instid0(VALU_DEP_1) | instskip(NEXT) | instid1(VALU_DEP_1)
	v_fma_f64 v[160:161], v[164:165], v[162:163], -v[213:214]
	v_fma_f64 v[160:161], v[164:165], v[149:150], v[160:161]
	s_delay_alu instid0(VALU_DEP_1) | instskip(NEXT) | instid1(VALU_DEP_1)
	v_add_f64 v[224:225], v[213:214], v[160:161]
	v_add_f64 v[226:227], v[211:212], -v[224:225]
	v_add_f64 v[209:210], v[224:225], -v[213:214]
	s_delay_alu instid0(VALU_DEP_2) | instskip(NEXT) | instid1(VALU_DEP_2)
	v_add_f64 v[211:212], v[211:212], -v[226:227]
	v_add_f64 v[160:161], v[209:210], -v[160:161]
	s_delay_alu instid0(VALU_DEP_2) | instskip(NEXT) | instid1(VALU_DEP_1)
	v_add_f64 v[211:212], v[211:212], -v[224:225]
	v_add_f64 v[133:134], v[133:134], v[211:212]
	s_delay_alu instid0(VALU_DEP_1) | instskip(NEXT) | instid1(VALU_DEP_1)
	v_add_f64 v[133:134], v[160:161], v[133:134]
	v_add_f64 v[160:161], v[226:227], v[133:134]
	s_delay_alu instid0(VALU_DEP_1) | instskip(SKIP_1) | instid1(VALU_DEP_2)
	v_mul_f64 v[209:210], v[147:148], v[160:161]
	v_add_f64 v[224:225], v[226:227], -v[160:161]
	v_mul_f64 v[211:212], v[162:163], v[209:210]
	s_delay_alu instid0(VALU_DEP_2) | instskip(NEXT) | instid1(VALU_DEP_2)
	v_add_f64 v[133:134], v[133:134], v[224:225]
	v_fma_f64 v[162:163], v[209:210], v[162:163], -v[211:212]
	s_delay_alu instid0(VALU_DEP_1) | instskip(NEXT) | instid1(VALU_DEP_1)
	v_fma_f64 v[149:150], v[209:210], v[149:150], v[162:163]
	v_add_f64 v[162:163], v[211:212], v[149:150]
	s_delay_alu instid0(VALU_DEP_1) | instskip(SKIP_1) | instid1(VALU_DEP_2)
	v_add_f64 v[213:214], v[160:161], -v[162:163]
	v_add_f64 v[211:212], v[162:163], -v[211:212]
	;; [unrolled: 1-line block ×3, first 2 shown]
	s_delay_alu instid0(VALU_DEP_2) | instskip(NEXT) | instid1(VALU_DEP_2)
	v_add_f64 v[149:150], v[211:212], -v[149:150]
	v_add_f64 v[160:161], v[160:161], -v[162:163]
	s_delay_alu instid0(VALU_DEP_1) | instskip(SKIP_1) | instid1(VALU_DEP_2)
	v_add_f64 v[133:134], v[133:134], v[160:161]
	v_add_f64 v[160:161], v[164:165], v[209:210]
	;; [unrolled: 1-line block ×3, first 2 shown]
	s_delay_alu instid0(VALU_DEP_2) | instskip(NEXT) | instid1(VALU_DEP_2)
	v_add_f64 v[149:150], v[160:161], -v[164:165]
	v_add_f64 v[133:134], v[213:214], v[133:134]
	s_delay_alu instid0(VALU_DEP_2) | instskip(NEXT) | instid1(VALU_DEP_2)
	v_add_f64 v[149:150], v[209:210], -v[149:150]
	v_mul_f64 v[133:134], v[147:148], v[133:134]
	s_delay_alu instid0(VALU_DEP_1) | instskip(NEXT) | instid1(VALU_DEP_1)
	v_add_f64 v[133:134], v[149:150], v[133:134]
	v_add_f64 v[147:148], v[160:161], v[133:134]
	s_delay_alu instid0(VALU_DEP_1) | instskip(NEXT) | instid1(VALU_DEP_1)
	v_mul_f64 v[149:150], v[147:148], v[147:148]
	v_fma_f64 v[162:163], v[149:150], s[34:35], s[30:31]
	s_mov_b32 s30, 0xd7f4df2e
	s_mov_b32 s31, 0x3fc7474d
	v_mul_f64 v[164:165], v[147:148], v[149:150]
	s_delay_alu instid0(VALU_DEP_2)
	v_fma_f64 v[162:163], v[149:150], v[162:163], s[30:31]
	s_mov_b32 s30, 0x16291751
	s_mov_b32 s31, 0x3fcc71c0
	s_delay_alu instid0(VALU_DEP_1) | instid1(SALU_CYCLE_1)
	v_fma_f64 v[162:163], v[149:150], v[162:163], s[30:31]
	s_mov_b32 s30, 0x9b27acf1
	s_mov_b32 s31, 0x3fd24924
	s_delay_alu instid0(VALU_DEP_1) | instid1(SALU_CYCLE_1)
	;; [unrolled: 4-line block ×3, first 2 shown]
	v_fma_f64 v[162:163], v[149:150], v[162:163], s[30:31]
	s_delay_alu instid0(VALU_DEP_1) | instskip(SKIP_2) | instid1(VALU_DEP_3)
	v_fma_f64 v[149:150], v[149:150], v[162:163], s[18:19]
	v_ldexp_f64 v[162:163], v[147:148], 1
	v_add_f64 v[147:148], v[147:148], -v[160:161]
	v_mul_f64 v[149:150], v[164:165], v[149:150]
	v_cvt_f64_i32_e32 v[164:165], v151
	s_delay_alu instid0(VALU_DEP_3) | instskip(NEXT) | instid1(VALU_DEP_3)
	v_add_f64 v[133:134], v[133:134], -v[147:148]
	v_add_f64 v[160:161], v[162:163], v[149:150]
	s_delay_alu instid0(VALU_DEP_3) | instskip(NEXT) | instid1(VALU_DEP_3)
	v_mul_f64 v[209:210], v[164:165], s[20:21]
	v_ldexp_f64 v[133:134], v[133:134], 1
	s_delay_alu instid0(VALU_DEP_3) | instskip(NEXT) | instid1(VALU_DEP_3)
	v_add_f64 v[147:148], v[160:161], -v[162:163]
	v_fma_f64 v[162:163], v[164:165], s[20:21], -v[209:210]
	s_delay_alu instid0(VALU_DEP_2) | instskip(NEXT) | instid1(VALU_DEP_2)
	v_add_f64 v[147:148], v[149:150], -v[147:148]
	v_fma_f64 v[149:150], v[164:165], s[24:25], v[162:163]
	s_delay_alu instid0(VALU_DEP_2) | instskip(NEXT) | instid1(VALU_DEP_2)
	v_add_f64 v[133:134], v[133:134], v[147:148]
	v_add_f64 v[147:148], v[209:210], v[149:150]
	s_delay_alu instid0(VALU_DEP_2) | instskip(NEXT) | instid1(VALU_DEP_2)
	v_add_f64 v[162:163], v[160:161], v[133:134]
	v_add_f64 v[209:210], v[147:148], -v[209:210]
	s_delay_alu instid0(VALU_DEP_2) | instskip(SKIP_1) | instid1(VALU_DEP_3)
	v_add_f64 v[164:165], v[147:148], v[162:163]
	v_add_f64 v[160:161], v[162:163], -v[160:161]
	v_add_f64 v[149:150], v[149:150], -v[209:210]
	s_delay_alu instid0(VALU_DEP_3) | instskip(NEXT) | instid1(VALU_DEP_3)
	v_add_f64 v[211:212], v[164:165], -v[147:148]
	v_add_f64 v[133:134], v[133:134], -v[160:161]
	s_delay_alu instid0(VALU_DEP_2) | instskip(SKIP_1) | instid1(VALU_DEP_3)
	v_add_f64 v[213:214], v[164:165], -v[211:212]
	v_add_f64 v[160:161], v[162:163], -v[211:212]
	v_add_f64 v[162:163], v[149:150], v[133:134]
	s_delay_alu instid0(VALU_DEP_3) | instskip(NEXT) | instid1(VALU_DEP_1)
	v_add_f64 v[147:148], v[147:148], -v[213:214]
	v_add_f64 v[147:148], v[160:161], v[147:148]
	s_delay_alu instid0(VALU_DEP_3) | instskip(NEXT) | instid1(VALU_DEP_2)
	v_add_f64 v[160:161], v[162:163], -v[149:150]
	v_add_f64 v[147:148], v[162:163], v[147:148]
	s_delay_alu instid0(VALU_DEP_2) | instskip(SKIP_1) | instid1(VALU_DEP_3)
	v_add_f64 v[162:163], v[162:163], -v[160:161]
	v_add_f64 v[133:134], v[133:134], -v[160:161]
	v_add_f64 v[209:210], v[164:165], v[147:148]
	s_delay_alu instid0(VALU_DEP_3) | instskip(NEXT) | instid1(VALU_DEP_2)
	v_add_f64 v[149:150], v[149:150], -v[162:163]
	v_add_f64 v[160:161], v[209:210], -v[164:165]
	s_delay_alu instid0(VALU_DEP_2) | instskip(NEXT) | instid1(VALU_DEP_2)
	v_add_f64 v[133:134], v[133:134], v[149:150]
	v_add_f64 v[147:148], v[147:148], -v[160:161]
	s_delay_alu instid0(VALU_DEP_1) | instskip(NEXT) | instid1(VALU_DEP_1)
	v_add_f64 v[133:134], v[133:134], v[147:148]
	v_add_f64 v[133:134], v[209:210], v[133:134]
	s_delay_alu instid0(VALU_DEP_1) | instskip(NEXT) | instid1(VALU_DEP_2)
	v_cndmask_b32_e64 v133, v133, v131, s17
	v_cndmask_b32_e64 v134, v134, v132, s17
	v_cmp_ngt_f64_e64 s17, -1.0, v[131:132]
	s_delay_alu instid0(VALU_DEP_1) | instskip(SKIP_1) | instid1(VALU_DEP_1)
	v_cndmask_b32_e64 v134, 0x7ff80000, v134, s17
	v_cmp_nge_f64_e64 s17, -1.0, v[131:132]
	v_cndmask_b32_e64 v133, 0, v133, s17
	v_cmp_neq_f64_e64 s17, -1.0, v[131:132]
	s_delay_alu instid0(VALU_DEP_1) | instskip(NEXT) | instid1(VALU_DEP_1)
	v_cndmask_b32_e64 v134, 0xfff00000, v134, s17
	v_add_f64 v[131:132], v[129:130], v[133:134]
.LBB8_318:
	s_or_b32 exec_lo, exec_lo, s28
	s_delay_alu instid0(VALU_DEP_1)
	v_dual_mov_b32 v133, v131 :: v_dual_mov_b32 v134, v132
	v_dual_mov_b32 v129, v131 :: v_dual_mov_b32 v130, v132
.LBB8_319:
	s_or_b32 exec_lo, exec_lo, s27
	s_delay_alu instid0(VALU_DEP_2) | instskip(NEXT) | instid1(VALU_DEP_3)
	v_mov_b32_dpp v131, v133 row_shr:4 row_mask:0xf bank_mask:0xf
	v_mov_b32_dpp v132, v134 row_shr:4 row_mask:0xf bank_mask:0xf
	s_mov_b32 s27, exec_lo
	v_cmpx_lt_u32_e32 3, v146
	s_cbranch_execz .LBB8_323
; %bb.320:
	s_delay_alu instid0(VALU_DEP_2) | instskip(SKIP_3) | instid1(VALU_DEP_3)
	v_max_f64 v[133:134], v[131:132], v[131:132]
	v_max_f64 v[146:147], v[129:130], v[129:130]
	v_cmp_u_f64_e64 s17, v[131:132], v[131:132]
	v_cmp_u_f64_e64 s18, v[129:130], v[129:130]
	v_min_f64 v[148:149], v[133:134], v[146:147]
	v_max_f64 v[133:134], v[133:134], v[146:147]
	s_delay_alu instid0(VALU_DEP_2) | instskip(NEXT) | instid1(VALU_DEP_3)
	v_cndmask_b32_e64 v146, v148, v131, s17
	v_cndmask_b32_e64 v147, v149, v132, s17
	s_delay_alu instid0(VALU_DEP_3) | instskip(NEXT) | instid1(VALU_DEP_4)
	v_cndmask_b32_e64 v148, v134, v132, s17
	v_cndmask_b32_e64 v149, v133, v131, s17
	s_delay_alu instid0(VALU_DEP_4) | instskip(NEXT) | instid1(VALU_DEP_4)
	v_cndmask_b32_e64 v133, v146, v129, s18
	v_cndmask_b32_e64 v134, v147, v130, s18
	s_delay_alu instid0(VALU_DEP_4) | instskip(NEXT) | instid1(VALU_DEP_4)
	v_cndmask_b32_e64 v130, v148, v130, s18
	v_cndmask_b32_e64 v129, v149, v129, s18
	s_delay_alu instid0(VALU_DEP_3) | instskip(NEXT) | instid1(VALU_DEP_2)
	v_cmp_class_f64_e64 s18, v[133:134], 0x1f8
	v_cmp_neq_f64_e64 s17, v[133:134], v[129:130]
	s_delay_alu instid0(VALU_DEP_1) | instskip(NEXT) | instid1(SALU_CYCLE_1)
	s_or_b32 s17, s17, s18
	s_and_saveexec_b32 s28, s17
	s_cbranch_execz .LBB8_322
; %bb.321:
	v_add_f64 v[131:132], v[133:134], -v[129:130]
	s_mov_b32 s18, 0x652b82fe
	s_mov_b32 s19, 0x3ff71547
	;; [unrolled: 1-line block ×10, first 2 shown]
	s_delay_alu instid0(VALU_DEP_1) | instskip(SKIP_3) | instid1(VALU_DEP_2)
	v_mul_f64 v[133:134], v[131:132], s[18:19]
	s_mov_b32 s18, 0xfca7ab0c
	s_mov_b32 s19, 0x3e928af3
	v_cmp_nlt_f64_e64 s17, 0x40900000, v[131:132]
	v_rndne_f64_e32 v[133:134], v[133:134]
	s_delay_alu instid0(VALU_DEP_1) | instskip(SKIP_2) | instid1(VALU_DEP_2)
	v_fma_f64 v[146:147], v[133:134], s[20:21], v[131:132]
	v_cvt_i32_f64_e32 v150, v[133:134]
	s_mov_b32 s21, 0x3fe62e42
	v_fma_f64 v[146:147], v[133:134], s[24:25], v[146:147]
	s_mov_b32 s25, 0x3c7abc9e
	s_delay_alu instid0(VALU_DEP_1) | instskip(SKIP_4) | instid1(VALU_DEP_1)
	v_fma_f64 v[148:149], v[146:147], s[30:31], s[18:19]
	s_mov_b32 s18, 0x623fde64
	s_mov_b32 s19, 0x3ec71dee
	;; [unrolled: 1-line block ×4, first 2 shown]
	v_fma_f64 v[148:149], v[146:147], v[148:149], s[18:19]
	s_mov_b32 s18, 0x7c89e6b0
	s_mov_b32 s19, 0x3efa0199
	s_delay_alu instid0(VALU_DEP_1) | instid1(SALU_CYCLE_1)
	v_fma_f64 v[148:149], v[146:147], v[148:149], s[18:19]
	s_mov_b32 s18, 0x14761f6e
	s_mov_b32 s19, 0x3f2a01a0
	s_delay_alu instid0(VALU_DEP_1) | instid1(SALU_CYCLE_1)
	;; [unrolled: 4-line block ×7, first 2 shown]
	v_fma_f64 v[148:149], v[146:147], v[148:149], s[18:19]
	v_cmp_ngt_f64_e64 s18, 0xc090cc00, v[131:132]
	s_mov_b32 s19, 0x3fe55555
	s_delay_alu instid0(VALU_DEP_2) | instskip(NEXT) | instid1(VALU_DEP_1)
	v_fma_f64 v[148:149], v[146:147], v[148:149], 1.0
	v_fma_f64 v[133:134], v[146:147], v[148:149], 1.0
	s_delay_alu instid0(VALU_DEP_1) | instskip(NEXT) | instid1(VALU_DEP_1)
	v_ldexp_f64 v[133:134], v[133:134], v150
	v_cndmask_b32_e64 v134, 0x7ff00000, v134, s17
	s_and_b32 s17, s18, s17
	s_delay_alu instid0(VALU_DEP_2) | instid1(SALU_CYCLE_1)
	v_cndmask_b32_e64 v131, 0, v133, s17
	s_delay_alu instid0(VALU_DEP_2) | instskip(SKIP_1) | instid1(VALU_DEP_1)
	v_cndmask_b32_e64 v132, 0, v134, s18
	s_mov_b32 s18, 0x55555555
	v_add_f64 v[133:134], v[131:132], 1.0
	s_delay_alu instid0(VALU_DEP_1) | instskip(SKIP_2) | instid1(VALU_DEP_3)
	v_frexp_mant_f64_e32 v[146:147], v[133:134]
	v_frexp_exp_i32_f64_e32 v150, v[133:134]
	v_add_f64 v[148:149], v[133:134], -1.0
	v_cmp_gt_f64_e64 s17, s[18:19], v[146:147]
	s_mov_b32 s18, 0x55555780
	s_delay_alu instid0(VALU_DEP_2) | instskip(SKIP_1) | instid1(VALU_DEP_3)
	v_add_f64 v[146:147], v[148:149], -v[133:134]
	v_add_f64 v[148:149], v[131:132], -v[148:149]
	v_subrev_co_ci_u32_e64 v166, s17, 0, v150, s17
	s_delay_alu instid0(VALU_DEP_3) | instskip(SKIP_1) | instid1(VALU_DEP_3)
	v_add_f64 v[146:147], v[146:147], 1.0
	v_cmp_eq_f64_e64 s17, 0x7ff00000, v[131:132]
	v_sub_nc_u32_e32 v160, 0, v166
	s_delay_alu instid0(VALU_DEP_1) | instskip(NEXT) | instid1(VALU_DEP_4)
	v_ldexp_f64 v[133:134], v[133:134], v160
	v_add_f64 v[146:147], v[148:149], v[146:147]
	s_delay_alu instid0(VALU_DEP_2) | instskip(SKIP_1) | instid1(VALU_DEP_3)
	v_add_f64 v[150:151], v[133:134], 1.0
	v_add_f64 v[164:165], v[133:134], -1.0
	v_ldexp_f64 v[146:147], v[146:147], v160
	s_delay_alu instid0(VALU_DEP_3) | instskip(NEXT) | instid1(VALU_DEP_3)
	v_add_f64 v[148:149], v[150:151], -1.0
	v_add_f64 v[209:210], v[164:165], 1.0
	s_delay_alu instid0(VALU_DEP_2) | instskip(NEXT) | instid1(VALU_DEP_2)
	v_add_f64 v[148:149], v[133:134], -v[148:149]
	v_add_f64 v[133:134], v[133:134], -v[209:210]
	s_delay_alu instid0(VALU_DEP_2) | instskip(NEXT) | instid1(VALU_DEP_2)
	v_add_f64 v[148:149], v[146:147], v[148:149]
	v_add_f64 v[133:134], v[146:147], v[133:134]
	s_delay_alu instid0(VALU_DEP_2) | instskip(NEXT) | instid1(VALU_DEP_2)
	v_add_f64 v[160:161], v[150:151], v[148:149]
	v_add_f64 v[209:210], v[164:165], v[133:134]
	s_delay_alu instid0(VALU_DEP_2) | instskip(SKIP_1) | instid1(VALU_DEP_2)
	v_rcp_f64_e32 v[162:163], v[160:161]
	v_add_f64 v[150:151], v[160:161], -v[150:151]
	v_add_f64 v[164:165], v[209:210], -v[164:165]
	s_delay_alu instid0(VALU_DEP_2) | instskip(SKIP_3) | instid1(VALU_DEP_2)
	v_add_f64 v[148:149], v[148:149], -v[150:151]
	s_waitcnt_depctr 0xfff
	v_fma_f64 v[211:212], -v[160:161], v[162:163], 1.0
	v_add_f64 v[133:134], v[133:134], -v[164:165]
	v_fma_f64 v[162:163], v[211:212], v[162:163], v[162:163]
	s_delay_alu instid0(VALU_DEP_1) | instskip(NEXT) | instid1(VALU_DEP_1)
	v_fma_f64 v[146:147], -v[160:161], v[162:163], 1.0
	v_fma_f64 v[146:147], v[146:147], v[162:163], v[162:163]
	s_delay_alu instid0(VALU_DEP_1) | instskip(NEXT) | instid1(VALU_DEP_1)
	v_mul_f64 v[162:163], v[209:210], v[146:147]
	v_mul_f64 v[211:212], v[160:161], v[162:163]
	s_delay_alu instid0(VALU_DEP_1) | instskip(NEXT) | instid1(VALU_DEP_1)
	v_fma_f64 v[150:151], v[162:163], v[160:161], -v[211:212]
	v_fma_f64 v[150:151], v[162:163], v[148:149], v[150:151]
	s_delay_alu instid0(VALU_DEP_1) | instskip(NEXT) | instid1(VALU_DEP_1)
	v_add_f64 v[213:214], v[211:212], v[150:151]
	v_add_f64 v[224:225], v[209:210], -v[213:214]
	v_add_f64 v[164:165], v[213:214], -v[211:212]
	s_delay_alu instid0(VALU_DEP_2) | instskip(NEXT) | instid1(VALU_DEP_2)
	v_add_f64 v[209:210], v[209:210], -v[224:225]
	v_add_f64 v[150:151], v[164:165], -v[150:151]
	s_delay_alu instid0(VALU_DEP_2) | instskip(NEXT) | instid1(VALU_DEP_1)
	v_add_f64 v[209:210], v[209:210], -v[213:214]
	v_add_f64 v[133:134], v[133:134], v[209:210]
	s_delay_alu instid0(VALU_DEP_1) | instskip(NEXT) | instid1(VALU_DEP_1)
	v_add_f64 v[133:134], v[150:151], v[133:134]
	v_add_f64 v[150:151], v[224:225], v[133:134]
	s_delay_alu instid0(VALU_DEP_1) | instskip(SKIP_1) | instid1(VALU_DEP_2)
	v_mul_f64 v[164:165], v[146:147], v[150:151]
	v_add_f64 v[213:214], v[224:225], -v[150:151]
	v_mul_f64 v[209:210], v[160:161], v[164:165]
	s_delay_alu instid0(VALU_DEP_2) | instskip(NEXT) | instid1(VALU_DEP_2)
	v_add_f64 v[133:134], v[133:134], v[213:214]
	v_fma_f64 v[160:161], v[164:165], v[160:161], -v[209:210]
	s_delay_alu instid0(VALU_DEP_1) | instskip(NEXT) | instid1(VALU_DEP_1)
	v_fma_f64 v[148:149], v[164:165], v[148:149], v[160:161]
	v_add_f64 v[160:161], v[209:210], v[148:149]
	s_delay_alu instid0(VALU_DEP_1) | instskip(SKIP_1) | instid1(VALU_DEP_2)
	v_add_f64 v[211:212], v[150:151], -v[160:161]
	v_add_f64 v[209:210], v[160:161], -v[209:210]
	;; [unrolled: 1-line block ×3, first 2 shown]
	s_delay_alu instid0(VALU_DEP_2) | instskip(NEXT) | instid1(VALU_DEP_2)
	v_add_f64 v[148:149], v[209:210], -v[148:149]
	v_add_f64 v[150:151], v[150:151], -v[160:161]
	s_delay_alu instid0(VALU_DEP_1) | instskip(SKIP_1) | instid1(VALU_DEP_2)
	v_add_f64 v[133:134], v[133:134], v[150:151]
	v_add_f64 v[150:151], v[162:163], v[164:165]
	;; [unrolled: 1-line block ×3, first 2 shown]
	s_delay_alu instid0(VALU_DEP_2) | instskip(NEXT) | instid1(VALU_DEP_2)
	v_add_f64 v[148:149], v[150:151], -v[162:163]
	v_add_f64 v[133:134], v[211:212], v[133:134]
	s_delay_alu instid0(VALU_DEP_2) | instskip(NEXT) | instid1(VALU_DEP_2)
	v_add_f64 v[148:149], v[164:165], -v[148:149]
	v_mul_f64 v[133:134], v[146:147], v[133:134]
	s_delay_alu instid0(VALU_DEP_1) | instskip(NEXT) | instid1(VALU_DEP_1)
	v_add_f64 v[133:134], v[148:149], v[133:134]
	v_add_f64 v[146:147], v[150:151], v[133:134]
	s_delay_alu instid0(VALU_DEP_1) | instskip(NEXT) | instid1(VALU_DEP_1)
	v_mul_f64 v[148:149], v[146:147], v[146:147]
	v_fma_f64 v[160:161], v[148:149], s[34:35], s[30:31]
	s_mov_b32 s30, 0xd7f4df2e
	s_mov_b32 s31, 0x3fc7474d
	v_mul_f64 v[162:163], v[146:147], v[148:149]
	s_delay_alu instid0(VALU_DEP_2)
	v_fma_f64 v[160:161], v[148:149], v[160:161], s[30:31]
	s_mov_b32 s30, 0x16291751
	s_mov_b32 s31, 0x3fcc71c0
	s_delay_alu instid0(VALU_DEP_1) | instid1(SALU_CYCLE_1)
	v_fma_f64 v[160:161], v[148:149], v[160:161], s[30:31]
	s_mov_b32 s30, 0x9b27acf1
	s_mov_b32 s31, 0x3fd24924
	s_delay_alu instid0(VALU_DEP_1) | instid1(SALU_CYCLE_1)
	;; [unrolled: 4-line block ×3, first 2 shown]
	v_fma_f64 v[160:161], v[148:149], v[160:161], s[30:31]
	s_delay_alu instid0(VALU_DEP_1) | instskip(SKIP_2) | instid1(VALU_DEP_3)
	v_fma_f64 v[148:149], v[148:149], v[160:161], s[18:19]
	v_ldexp_f64 v[160:161], v[146:147], 1
	v_add_f64 v[146:147], v[146:147], -v[150:151]
	v_mul_f64 v[148:149], v[162:163], v[148:149]
	v_cvt_f64_i32_e32 v[162:163], v166
	s_delay_alu instid0(VALU_DEP_3) | instskip(NEXT) | instid1(VALU_DEP_3)
	v_add_f64 v[133:134], v[133:134], -v[146:147]
	v_add_f64 v[150:151], v[160:161], v[148:149]
	s_delay_alu instid0(VALU_DEP_3) | instskip(NEXT) | instid1(VALU_DEP_3)
	v_mul_f64 v[164:165], v[162:163], s[20:21]
	v_ldexp_f64 v[133:134], v[133:134], 1
	s_delay_alu instid0(VALU_DEP_3) | instskip(NEXT) | instid1(VALU_DEP_3)
	v_add_f64 v[146:147], v[150:151], -v[160:161]
	v_fma_f64 v[160:161], v[162:163], s[20:21], -v[164:165]
	s_delay_alu instid0(VALU_DEP_2) | instskip(NEXT) | instid1(VALU_DEP_2)
	v_add_f64 v[146:147], v[148:149], -v[146:147]
	v_fma_f64 v[148:149], v[162:163], s[24:25], v[160:161]
	s_delay_alu instid0(VALU_DEP_2) | instskip(NEXT) | instid1(VALU_DEP_2)
	v_add_f64 v[133:134], v[133:134], v[146:147]
	v_add_f64 v[146:147], v[164:165], v[148:149]
	s_delay_alu instid0(VALU_DEP_2) | instskip(NEXT) | instid1(VALU_DEP_2)
	v_add_f64 v[160:161], v[150:151], v[133:134]
	v_add_f64 v[164:165], v[146:147], -v[164:165]
	s_delay_alu instid0(VALU_DEP_2) | instskip(SKIP_1) | instid1(VALU_DEP_3)
	v_add_f64 v[162:163], v[146:147], v[160:161]
	v_add_f64 v[150:151], v[160:161], -v[150:151]
	v_add_f64 v[148:149], v[148:149], -v[164:165]
	s_delay_alu instid0(VALU_DEP_3) | instskip(NEXT) | instid1(VALU_DEP_3)
	v_add_f64 v[209:210], v[162:163], -v[146:147]
	v_add_f64 v[133:134], v[133:134], -v[150:151]
	s_delay_alu instid0(VALU_DEP_2) | instskip(SKIP_1) | instid1(VALU_DEP_3)
	v_add_f64 v[211:212], v[162:163], -v[209:210]
	v_add_f64 v[150:151], v[160:161], -v[209:210]
	v_add_f64 v[160:161], v[148:149], v[133:134]
	s_delay_alu instid0(VALU_DEP_3) | instskip(NEXT) | instid1(VALU_DEP_1)
	v_add_f64 v[146:147], v[146:147], -v[211:212]
	v_add_f64 v[146:147], v[150:151], v[146:147]
	s_delay_alu instid0(VALU_DEP_3) | instskip(NEXT) | instid1(VALU_DEP_2)
	v_add_f64 v[150:151], v[160:161], -v[148:149]
	v_add_f64 v[146:147], v[160:161], v[146:147]
	s_delay_alu instid0(VALU_DEP_2) | instskip(SKIP_1) | instid1(VALU_DEP_3)
	v_add_f64 v[160:161], v[160:161], -v[150:151]
	v_add_f64 v[133:134], v[133:134], -v[150:151]
	v_add_f64 v[164:165], v[162:163], v[146:147]
	s_delay_alu instid0(VALU_DEP_3) | instskip(NEXT) | instid1(VALU_DEP_2)
	v_add_f64 v[148:149], v[148:149], -v[160:161]
	v_add_f64 v[150:151], v[164:165], -v[162:163]
	s_delay_alu instid0(VALU_DEP_2) | instskip(NEXT) | instid1(VALU_DEP_2)
	v_add_f64 v[133:134], v[133:134], v[148:149]
	v_add_f64 v[146:147], v[146:147], -v[150:151]
	s_delay_alu instid0(VALU_DEP_1) | instskip(NEXT) | instid1(VALU_DEP_1)
	v_add_f64 v[133:134], v[133:134], v[146:147]
	v_add_f64 v[133:134], v[164:165], v[133:134]
	s_delay_alu instid0(VALU_DEP_1) | instskip(NEXT) | instid1(VALU_DEP_2)
	v_cndmask_b32_e64 v133, v133, v131, s17
	v_cndmask_b32_e64 v134, v134, v132, s17
	v_cmp_ngt_f64_e64 s17, -1.0, v[131:132]
	s_delay_alu instid0(VALU_DEP_1) | instskip(SKIP_1) | instid1(VALU_DEP_1)
	v_cndmask_b32_e64 v134, 0x7ff80000, v134, s17
	v_cmp_nge_f64_e64 s17, -1.0, v[131:132]
	v_cndmask_b32_e64 v133, 0, v133, s17
	v_cmp_neq_f64_e64 s17, -1.0, v[131:132]
	s_delay_alu instid0(VALU_DEP_1) | instskip(NEXT) | instid1(VALU_DEP_1)
	v_cndmask_b32_e64 v134, 0xfff00000, v134, s17
	v_add_f64 v[131:132], v[129:130], v[133:134]
.LBB8_322:
	s_or_b32 exec_lo, exec_lo, s28
	s_delay_alu instid0(VALU_DEP_1)
	v_dual_mov_b32 v129, v131 :: v_dual_mov_b32 v130, v132
.LBB8_323:
	s_or_b32 exec_lo, exec_lo, s27
	ds_store_b64 v195, v[129:130]
.LBB8_324:
	s_or_b32 exec_lo, exec_lo, s26
	s_delay_alu instid0(SALU_CYCLE_1)
	s_mov_b32 s26, exec_lo
	s_waitcnt lgkmcnt(0)
	s_barrier
	buffer_gl0_inv
                                        ; implicit-def: $vgpr129_vgpr130
	v_cmpx_lt_u32_e32 31, v128
	s_cbranch_execz .LBB8_328
; %bb.325:
	v_lshl_add_u32 v129, v145, 3, -8
	v_max_f64 v[131:132], v[48:49], v[48:49]
	v_cmp_u_f64_e64 s18, v[48:49], v[48:49]
	ds_load_b64 v[129:130], v129
	s_waitcnt lgkmcnt(0)
	v_max_f64 v[133:134], v[129:130], v[129:130]
	v_cmp_u_f64_e64 s17, v[129:130], v[129:130]
	s_delay_alu instid0(VALU_DEP_2) | instskip(SKIP_1) | instid1(VALU_DEP_2)
	v_min_f64 v[145:146], v[133:134], v[131:132]
	v_max_f64 v[131:132], v[133:134], v[131:132]
	v_cndmask_b32_e64 v133, v145, v129, s17
	s_delay_alu instid0(VALU_DEP_3) | instskip(NEXT) | instid1(VALU_DEP_3)
	v_cndmask_b32_e64 v134, v146, v130, s17
	v_cndmask_b32_e64 v132, v132, v130, s17
	s_delay_alu instid0(VALU_DEP_4) | instskip(NEXT) | instid1(VALU_DEP_4)
	v_cndmask_b32_e64 v131, v131, v129, s17
	v_cndmask_b32_e64 v133, v133, v48, s18
	s_delay_alu instid0(VALU_DEP_4) | instskip(NEXT) | instid1(VALU_DEP_4)
	v_cndmask_b32_e64 v134, v134, v49, s18
	v_cndmask_b32_e64 v132, v132, v49, s18
	s_delay_alu instid0(VALU_DEP_4) | instskip(SKIP_1) | instid1(VALU_DEP_4)
	v_cndmask_b32_e64 v131, v131, v48, s18
	v_dual_mov_b32 v48, v129 :: v_dual_mov_b32 v49, v130
	v_cmp_class_f64_e64 s18, v[133:134], 0x1f8
	s_delay_alu instid0(VALU_DEP_3) | instskip(NEXT) | instid1(VALU_DEP_1)
	v_cmp_neq_f64_e64 s17, v[133:134], v[131:132]
	s_or_b32 s17, s17, s18
	s_delay_alu instid0(SALU_CYCLE_1)
	s_and_saveexec_b32 s27, s17
	s_cbranch_execz .LBB8_327
; %bb.326:
	v_add_f64 v[48:49], v[133:134], -v[131:132]
	s_mov_b32 s18, 0x652b82fe
	s_mov_b32 s19, 0x3ff71547
	;; [unrolled: 1-line block ×10, first 2 shown]
	s_delay_alu instid0(VALU_DEP_1) | instskip(SKIP_3) | instid1(VALU_DEP_2)
	v_mul_f64 v[133:134], v[48:49], s[18:19]
	s_mov_b32 s18, 0xfca7ab0c
	s_mov_b32 s19, 0x3e928af3
	v_cmp_nlt_f64_e64 s17, 0x40900000, v[48:49]
	v_rndne_f64_e32 v[133:134], v[133:134]
	s_delay_alu instid0(VALU_DEP_1) | instskip(SKIP_2) | instid1(VALU_DEP_2)
	v_fma_f64 v[145:146], v[133:134], s[20:21], v[48:49]
	v_cvt_i32_f64_e32 v149, v[133:134]
	s_mov_b32 s21, 0x3fe62e42
	v_fma_f64 v[145:146], v[133:134], s[24:25], v[145:146]
	s_mov_b32 s25, 0x3c7abc9e
	s_delay_alu instid0(VALU_DEP_1) | instskip(SKIP_4) | instid1(VALU_DEP_1)
	v_fma_f64 v[147:148], v[145:146], s[28:29], s[18:19]
	s_mov_b32 s18, 0x623fde64
	s_mov_b32 s19, 0x3ec71dee
	;; [unrolled: 1-line block ×4, first 2 shown]
	v_fma_f64 v[147:148], v[145:146], v[147:148], s[18:19]
	s_mov_b32 s18, 0x7c89e6b0
	s_mov_b32 s19, 0x3efa0199
	s_delay_alu instid0(VALU_DEP_1) | instid1(SALU_CYCLE_1)
	v_fma_f64 v[147:148], v[145:146], v[147:148], s[18:19]
	s_mov_b32 s18, 0x14761f6e
	s_mov_b32 s19, 0x3f2a01a0
	s_delay_alu instid0(VALU_DEP_1) | instid1(SALU_CYCLE_1)
	;; [unrolled: 4-line block ×7, first 2 shown]
	v_fma_f64 v[147:148], v[145:146], v[147:148], s[18:19]
	v_cmp_ngt_f64_e64 s18, 0xc090cc00, v[48:49]
	s_mov_b32 s19, 0x3fe55555
	s_delay_alu instid0(VALU_DEP_2) | instskip(NEXT) | instid1(VALU_DEP_1)
	v_fma_f64 v[147:148], v[145:146], v[147:148], 1.0
	v_fma_f64 v[133:134], v[145:146], v[147:148], 1.0
	s_delay_alu instid0(VALU_DEP_1) | instskip(NEXT) | instid1(VALU_DEP_1)
	v_ldexp_f64 v[133:134], v[133:134], v149
	v_cndmask_b32_e64 v134, 0x7ff00000, v134, s17
	s_and_b32 s17, s18, s17
	s_delay_alu instid0(VALU_DEP_2) | instid1(SALU_CYCLE_1)
	v_cndmask_b32_e64 v48, 0, v133, s17
	s_delay_alu instid0(VALU_DEP_2) | instskip(SKIP_1) | instid1(VALU_DEP_1)
	v_cndmask_b32_e64 v49, 0, v134, s18
	s_mov_b32 s18, 0x55555555
	v_add_f64 v[133:134], v[48:49], 1.0
	s_delay_alu instid0(VALU_DEP_1) | instskip(SKIP_2) | instid1(VALU_DEP_3)
	v_frexp_mant_f64_e32 v[145:146], v[133:134]
	v_frexp_exp_i32_f64_e32 v149, v[133:134]
	v_add_f64 v[147:148], v[133:134], -1.0
	v_cmp_gt_f64_e64 s17, s[18:19], v[145:146]
	s_mov_b32 s18, 0x55555780
	s_delay_alu instid0(VALU_DEP_2) | instskip(SKIP_1) | instid1(VALU_DEP_3)
	v_add_f64 v[145:146], v[147:148], -v[133:134]
	v_add_f64 v[147:148], v[48:49], -v[147:148]
	v_subrev_co_ci_u32_e64 v151, s17, 0, v149, s17
	s_delay_alu instid0(VALU_DEP_3) | instskip(SKIP_1) | instid1(VALU_DEP_3)
	v_add_f64 v[145:146], v[145:146], 1.0
	v_cmp_eq_f64_e64 s17, 0x7ff00000, v[48:49]
	v_sub_nc_u32_e32 v160, 0, v151
	s_delay_alu instid0(VALU_DEP_1) | instskip(NEXT) | instid1(VALU_DEP_4)
	v_ldexp_f64 v[133:134], v[133:134], v160
	v_add_f64 v[145:146], v[147:148], v[145:146]
	s_delay_alu instid0(VALU_DEP_2) | instskip(SKIP_1) | instid1(VALU_DEP_3)
	v_add_f64 v[149:150], v[133:134], 1.0
	v_add_f64 v[164:165], v[133:134], -1.0
	v_ldexp_f64 v[145:146], v[145:146], v160
	s_delay_alu instid0(VALU_DEP_3) | instskip(NEXT) | instid1(VALU_DEP_3)
	v_add_f64 v[147:148], v[149:150], -1.0
	v_add_f64 v[209:210], v[164:165], 1.0
	s_delay_alu instid0(VALU_DEP_2) | instskip(NEXT) | instid1(VALU_DEP_2)
	v_add_f64 v[147:148], v[133:134], -v[147:148]
	v_add_f64 v[133:134], v[133:134], -v[209:210]
	s_delay_alu instid0(VALU_DEP_2) | instskip(NEXT) | instid1(VALU_DEP_2)
	v_add_f64 v[147:148], v[145:146], v[147:148]
	v_add_f64 v[133:134], v[145:146], v[133:134]
	s_delay_alu instid0(VALU_DEP_2) | instskip(NEXT) | instid1(VALU_DEP_2)
	v_add_f64 v[160:161], v[149:150], v[147:148]
	v_add_f64 v[209:210], v[164:165], v[133:134]
	s_delay_alu instid0(VALU_DEP_2) | instskip(SKIP_1) | instid1(VALU_DEP_2)
	v_rcp_f64_e32 v[162:163], v[160:161]
	v_add_f64 v[149:150], v[160:161], -v[149:150]
	v_add_f64 v[164:165], v[209:210], -v[164:165]
	s_delay_alu instid0(VALU_DEP_2) | instskip(SKIP_3) | instid1(VALU_DEP_2)
	v_add_f64 v[147:148], v[147:148], -v[149:150]
	s_waitcnt_depctr 0xfff
	v_fma_f64 v[211:212], -v[160:161], v[162:163], 1.0
	v_add_f64 v[133:134], v[133:134], -v[164:165]
	v_fma_f64 v[162:163], v[211:212], v[162:163], v[162:163]
	s_delay_alu instid0(VALU_DEP_1) | instskip(NEXT) | instid1(VALU_DEP_1)
	v_fma_f64 v[145:146], -v[160:161], v[162:163], 1.0
	v_fma_f64 v[145:146], v[145:146], v[162:163], v[162:163]
	s_delay_alu instid0(VALU_DEP_1) | instskip(NEXT) | instid1(VALU_DEP_1)
	v_mul_f64 v[162:163], v[209:210], v[145:146]
	v_mul_f64 v[211:212], v[160:161], v[162:163]
	s_delay_alu instid0(VALU_DEP_1) | instskip(NEXT) | instid1(VALU_DEP_1)
	v_fma_f64 v[149:150], v[162:163], v[160:161], -v[211:212]
	v_fma_f64 v[149:150], v[162:163], v[147:148], v[149:150]
	s_delay_alu instid0(VALU_DEP_1) | instskip(NEXT) | instid1(VALU_DEP_1)
	v_add_f64 v[213:214], v[211:212], v[149:150]
	v_add_f64 v[224:225], v[209:210], -v[213:214]
	v_add_f64 v[164:165], v[213:214], -v[211:212]
	s_delay_alu instid0(VALU_DEP_2) | instskip(NEXT) | instid1(VALU_DEP_2)
	v_add_f64 v[209:210], v[209:210], -v[224:225]
	v_add_f64 v[149:150], v[164:165], -v[149:150]
	s_delay_alu instid0(VALU_DEP_2) | instskip(NEXT) | instid1(VALU_DEP_1)
	v_add_f64 v[209:210], v[209:210], -v[213:214]
	v_add_f64 v[133:134], v[133:134], v[209:210]
	s_delay_alu instid0(VALU_DEP_1) | instskip(NEXT) | instid1(VALU_DEP_1)
	v_add_f64 v[133:134], v[149:150], v[133:134]
	v_add_f64 v[149:150], v[224:225], v[133:134]
	s_delay_alu instid0(VALU_DEP_1) | instskip(SKIP_1) | instid1(VALU_DEP_2)
	v_mul_f64 v[164:165], v[145:146], v[149:150]
	v_add_f64 v[213:214], v[224:225], -v[149:150]
	v_mul_f64 v[209:210], v[160:161], v[164:165]
	s_delay_alu instid0(VALU_DEP_2) | instskip(NEXT) | instid1(VALU_DEP_2)
	v_add_f64 v[133:134], v[133:134], v[213:214]
	v_fma_f64 v[160:161], v[164:165], v[160:161], -v[209:210]
	s_delay_alu instid0(VALU_DEP_1) | instskip(NEXT) | instid1(VALU_DEP_1)
	v_fma_f64 v[147:148], v[164:165], v[147:148], v[160:161]
	v_add_f64 v[160:161], v[209:210], v[147:148]
	s_delay_alu instid0(VALU_DEP_1) | instskip(SKIP_1) | instid1(VALU_DEP_2)
	v_add_f64 v[211:212], v[149:150], -v[160:161]
	v_add_f64 v[209:210], v[160:161], -v[209:210]
	;; [unrolled: 1-line block ×3, first 2 shown]
	s_delay_alu instid0(VALU_DEP_2) | instskip(NEXT) | instid1(VALU_DEP_2)
	v_add_f64 v[147:148], v[209:210], -v[147:148]
	v_add_f64 v[149:150], v[149:150], -v[160:161]
	s_delay_alu instid0(VALU_DEP_1) | instskip(SKIP_1) | instid1(VALU_DEP_2)
	v_add_f64 v[133:134], v[133:134], v[149:150]
	v_add_f64 v[149:150], v[162:163], v[164:165]
	;; [unrolled: 1-line block ×3, first 2 shown]
	s_delay_alu instid0(VALU_DEP_2) | instskip(NEXT) | instid1(VALU_DEP_2)
	v_add_f64 v[147:148], v[149:150], -v[162:163]
	v_add_f64 v[133:134], v[211:212], v[133:134]
	s_delay_alu instid0(VALU_DEP_2) | instskip(NEXT) | instid1(VALU_DEP_2)
	v_add_f64 v[147:148], v[164:165], -v[147:148]
	v_mul_f64 v[133:134], v[145:146], v[133:134]
	s_delay_alu instid0(VALU_DEP_1) | instskip(NEXT) | instid1(VALU_DEP_1)
	v_add_f64 v[133:134], v[147:148], v[133:134]
	v_add_f64 v[145:146], v[149:150], v[133:134]
	s_delay_alu instid0(VALU_DEP_1) | instskip(NEXT) | instid1(VALU_DEP_1)
	v_mul_f64 v[147:148], v[145:146], v[145:146]
	v_fma_f64 v[160:161], v[147:148], s[30:31], s[28:29]
	s_mov_b32 s28, 0xd7f4df2e
	s_mov_b32 s29, 0x3fc7474d
	v_mul_f64 v[162:163], v[145:146], v[147:148]
	s_delay_alu instid0(VALU_DEP_2)
	v_fma_f64 v[160:161], v[147:148], v[160:161], s[28:29]
	s_mov_b32 s28, 0x16291751
	s_mov_b32 s29, 0x3fcc71c0
	s_delay_alu instid0(VALU_DEP_1) | instid1(SALU_CYCLE_1)
	v_fma_f64 v[160:161], v[147:148], v[160:161], s[28:29]
	s_mov_b32 s28, 0x9b27acf1
	s_mov_b32 s29, 0x3fd24924
	s_delay_alu instid0(VALU_DEP_1) | instid1(SALU_CYCLE_1)
	;; [unrolled: 4-line block ×3, first 2 shown]
	v_fma_f64 v[160:161], v[147:148], v[160:161], s[28:29]
	s_delay_alu instid0(VALU_DEP_1) | instskip(SKIP_2) | instid1(VALU_DEP_3)
	v_fma_f64 v[147:148], v[147:148], v[160:161], s[18:19]
	v_ldexp_f64 v[160:161], v[145:146], 1
	v_add_f64 v[145:146], v[145:146], -v[149:150]
	v_mul_f64 v[147:148], v[162:163], v[147:148]
	v_cvt_f64_i32_e32 v[162:163], v151
	s_delay_alu instid0(VALU_DEP_3) | instskip(NEXT) | instid1(VALU_DEP_3)
	v_add_f64 v[133:134], v[133:134], -v[145:146]
	v_add_f64 v[149:150], v[160:161], v[147:148]
	s_delay_alu instid0(VALU_DEP_3) | instskip(NEXT) | instid1(VALU_DEP_3)
	v_mul_f64 v[164:165], v[162:163], s[20:21]
	v_ldexp_f64 v[133:134], v[133:134], 1
	s_delay_alu instid0(VALU_DEP_3) | instskip(NEXT) | instid1(VALU_DEP_3)
	v_add_f64 v[145:146], v[149:150], -v[160:161]
	v_fma_f64 v[160:161], v[162:163], s[20:21], -v[164:165]
	s_delay_alu instid0(VALU_DEP_2) | instskip(NEXT) | instid1(VALU_DEP_2)
	v_add_f64 v[145:146], v[147:148], -v[145:146]
	v_fma_f64 v[147:148], v[162:163], s[24:25], v[160:161]
	s_delay_alu instid0(VALU_DEP_2) | instskip(NEXT) | instid1(VALU_DEP_2)
	v_add_f64 v[133:134], v[133:134], v[145:146]
	v_add_f64 v[145:146], v[164:165], v[147:148]
	s_delay_alu instid0(VALU_DEP_2) | instskip(NEXT) | instid1(VALU_DEP_2)
	v_add_f64 v[160:161], v[149:150], v[133:134]
	v_add_f64 v[164:165], v[145:146], -v[164:165]
	s_delay_alu instid0(VALU_DEP_2) | instskip(SKIP_1) | instid1(VALU_DEP_3)
	v_add_f64 v[162:163], v[145:146], v[160:161]
	v_add_f64 v[149:150], v[160:161], -v[149:150]
	v_add_f64 v[147:148], v[147:148], -v[164:165]
	s_delay_alu instid0(VALU_DEP_3) | instskip(NEXT) | instid1(VALU_DEP_3)
	v_add_f64 v[209:210], v[162:163], -v[145:146]
	v_add_f64 v[133:134], v[133:134], -v[149:150]
	s_delay_alu instid0(VALU_DEP_2) | instskip(SKIP_1) | instid1(VALU_DEP_3)
	v_add_f64 v[211:212], v[162:163], -v[209:210]
	v_add_f64 v[149:150], v[160:161], -v[209:210]
	v_add_f64 v[160:161], v[147:148], v[133:134]
	s_delay_alu instid0(VALU_DEP_3) | instskip(NEXT) | instid1(VALU_DEP_1)
	v_add_f64 v[145:146], v[145:146], -v[211:212]
	v_add_f64 v[145:146], v[149:150], v[145:146]
	s_delay_alu instid0(VALU_DEP_3) | instskip(NEXT) | instid1(VALU_DEP_2)
	v_add_f64 v[149:150], v[160:161], -v[147:148]
	v_add_f64 v[145:146], v[160:161], v[145:146]
	s_delay_alu instid0(VALU_DEP_2) | instskip(SKIP_1) | instid1(VALU_DEP_3)
	v_add_f64 v[160:161], v[160:161], -v[149:150]
	v_add_f64 v[133:134], v[133:134], -v[149:150]
	v_add_f64 v[164:165], v[162:163], v[145:146]
	s_delay_alu instid0(VALU_DEP_3) | instskip(NEXT) | instid1(VALU_DEP_2)
	v_add_f64 v[147:148], v[147:148], -v[160:161]
	v_add_f64 v[149:150], v[164:165], -v[162:163]
	s_delay_alu instid0(VALU_DEP_2) | instskip(NEXT) | instid1(VALU_DEP_2)
	v_add_f64 v[133:134], v[133:134], v[147:148]
	v_add_f64 v[145:146], v[145:146], -v[149:150]
	s_delay_alu instid0(VALU_DEP_1) | instskip(NEXT) | instid1(VALU_DEP_1)
	v_add_f64 v[133:134], v[133:134], v[145:146]
	v_add_f64 v[133:134], v[164:165], v[133:134]
	s_delay_alu instid0(VALU_DEP_1) | instskip(NEXT) | instid1(VALU_DEP_2)
	v_cndmask_b32_e64 v133, v133, v48, s17
	v_cndmask_b32_e64 v134, v134, v49, s17
	v_cmp_ngt_f64_e64 s17, -1.0, v[48:49]
	s_delay_alu instid0(VALU_DEP_1) | instskip(SKIP_1) | instid1(VALU_DEP_1)
	v_cndmask_b32_e64 v134, 0x7ff80000, v134, s17
	v_cmp_nge_f64_e64 s17, -1.0, v[48:49]
	v_cndmask_b32_e64 v133, 0, v133, s17
	v_cmp_neq_f64_e64 s17, -1.0, v[48:49]
	s_delay_alu instid0(VALU_DEP_1) | instskip(NEXT) | instid1(VALU_DEP_1)
	v_cndmask_b32_e64 v134, 0xfff00000, v134, s17
	v_add_f64 v[48:49], v[131:132], v[133:134]
.LBB8_327:
	s_or_b32 exec_lo, exec_lo, s27
.LBB8_328:
	s_delay_alu instid0(SALU_CYCLE_1) | instskip(SKIP_1) | instid1(VALU_DEP_1)
	s_or_b32 exec_lo, exec_lo, s26
	v_add_nc_u32_e32 v131, -1, v144
	v_cmp_gt_i32_e64 s17, 0, v131
	s_delay_alu instid0(VALU_DEP_1) | instskip(NEXT) | instid1(VALU_DEP_1)
	v_cndmask_b32_e64 v131, v131, v144, s17
	v_lshlrev_b32_e32 v131, 2, v131
	ds_bpermute_b32 v48, v131, v48
	ds_bpermute_b32 v49, v131, v49
	s_and_saveexec_b32 s24, s1
	s_cbranch_execz .LBB8_332
; %bb.329:
	v_cmp_eq_u32_e64 s1, 0, v144
	s_waitcnt lgkmcnt(0)
	s_delay_alu instid0(VALU_DEP_1) | instskip(SKIP_1) | instid1(VALU_DEP_1)
	v_cndmask_b32_e64 v49, v49, v130, s1
	v_cndmask_b32_e64 v48, v48, v129, s1
	v_max_f64 v[34:35], v[48:49], v[48:49]
	v_cmp_u_f64_e64 s1, v[48:49], v[48:49]
	s_delay_alu instid0(VALU_DEP_2) | instskip(SKIP_1) | instid1(VALU_DEP_2)
	v_min_f64 v[36:37], v[34:35], v[32:33]
	v_max_f64 v[32:33], v[34:35], v[32:33]
	v_cndmask_b32_e64 v34, v36, v48, s1
	s_delay_alu instid0(VALU_DEP_3) | instskip(NEXT) | instid1(VALU_DEP_3)
	v_cndmask_b32_e64 v35, v37, v49, s1
	v_cndmask_b32_e64 v36, v33, v49, s1
	s_delay_alu instid0(VALU_DEP_4) | instskip(NEXT) | instid1(VALU_DEP_4)
	v_cndmask_b32_e64 v37, v32, v48, s1
	v_cndmask_b32_e64 v32, v34, v0, s16
	s_delay_alu instid0(VALU_DEP_4) | instskip(NEXT) | instid1(VALU_DEP_4)
	v_cndmask_b32_e64 v33, v35, v1, s16
	v_cndmask_b32_e64 v1, v36, v1, s16
	s_delay_alu instid0(VALU_DEP_4) | instskip(NEXT) | instid1(VALU_DEP_3)
	v_cndmask_b32_e64 v0, v37, v0, s16
	v_cmp_class_f64_e64 s16, v[32:33], 0x1f8
	s_delay_alu instid0(VALU_DEP_2) | instskip(NEXT) | instid1(VALU_DEP_1)
	v_cmp_neq_f64_e64 s1, v[32:33], v[0:1]
	s_or_b32 s1, s1, s16
	s_delay_alu instid0(SALU_CYCLE_1)
	s_and_saveexec_b32 s25, s1
	s_cbranch_execz .LBB8_331
; %bb.330:
	v_add_f64 v[32:33], v[32:33], -v[0:1]
	s_mov_b32 s16, 0x652b82fe
	s_mov_b32 s17, 0x3ff71547
	;; [unrolled: 1-line block ×10, first 2 shown]
	s_delay_alu instid0(VALU_DEP_1) | instskip(SKIP_3) | instid1(VALU_DEP_2)
	v_mul_f64 v[34:35], v[32:33], s[16:17]
	s_mov_b32 s16, 0xfca7ab0c
	s_mov_b32 s17, 0x3e928af3
	v_cmp_nlt_f64_e64 s1, 0x40900000, v[32:33]
	v_rndne_f64_e32 v[34:35], v[34:35]
	s_delay_alu instid0(VALU_DEP_1) | instskip(SKIP_2) | instid1(VALU_DEP_2)
	v_fma_f64 v[36:37], v[34:35], s[18:19], v[32:33]
	v_cvt_i32_f64_e32 v129, v[34:35]
	s_mov_b32 s19, 0x3fe62e42
	v_fma_f64 v[36:37], v[34:35], s[20:21], v[36:37]
	s_mov_b32 s21, 0x3c7abc9e
	s_delay_alu instid0(VALU_DEP_1) | instskip(SKIP_4) | instid1(VALU_DEP_1)
	v_fma_f64 v[48:49], v[36:37], s[26:27], s[16:17]
	s_mov_b32 s16, 0x623fde64
	s_mov_b32 s17, 0x3ec71dee
	;; [unrolled: 1-line block ×4, first 2 shown]
	v_fma_f64 v[48:49], v[36:37], v[48:49], s[16:17]
	s_mov_b32 s16, 0x7c89e6b0
	s_mov_b32 s17, 0x3efa0199
	s_delay_alu instid0(VALU_DEP_1) | instid1(SALU_CYCLE_1)
	v_fma_f64 v[48:49], v[36:37], v[48:49], s[16:17]
	s_mov_b32 s16, 0x14761f6e
	s_mov_b32 s17, 0x3f2a01a0
	s_delay_alu instid0(VALU_DEP_1) | instid1(SALU_CYCLE_1)
	;; [unrolled: 4-line block ×7, first 2 shown]
	v_fma_f64 v[48:49], v[36:37], v[48:49], s[16:17]
	v_cmp_ngt_f64_e64 s16, 0xc090cc00, v[32:33]
	s_mov_b32 s17, 0x3fe55555
	s_delay_alu instid0(VALU_DEP_2) | instskip(NEXT) | instid1(VALU_DEP_1)
	v_fma_f64 v[48:49], v[36:37], v[48:49], 1.0
	v_fma_f64 v[34:35], v[36:37], v[48:49], 1.0
	s_delay_alu instid0(VALU_DEP_1) | instskip(NEXT) | instid1(VALU_DEP_1)
	v_ldexp_f64 v[34:35], v[34:35], v129
	v_cndmask_b32_e64 v35, 0x7ff00000, v35, s1
	s_and_b32 s1, s16, s1
	s_delay_alu instid0(VALU_DEP_2) | instid1(SALU_CYCLE_1)
	v_cndmask_b32_e64 v32, 0, v34, s1
	s_delay_alu instid0(VALU_DEP_2) | instskip(SKIP_1) | instid1(VALU_DEP_1)
	v_cndmask_b32_e64 v33, 0, v35, s16
	s_mov_b32 s16, 0x55555555
	v_add_f64 v[34:35], v[32:33], 1.0
	s_delay_alu instid0(VALU_DEP_1) | instskip(SKIP_2) | instid1(VALU_DEP_3)
	v_frexp_mant_f64_e32 v[36:37], v[34:35]
	v_frexp_exp_i32_f64_e32 v129, v[34:35]
	v_add_f64 v[48:49], v[34:35], -1.0
	v_cmp_gt_f64_e64 s1, s[16:17], v[36:37]
	s_mov_b32 s16, 0x55555780
	s_delay_alu instid0(VALU_DEP_2) | instskip(SKIP_1) | instid1(VALU_DEP_3)
	v_add_f64 v[36:37], v[48:49], -v[34:35]
	v_add_f64 v[48:49], v[32:33], -v[48:49]
	v_subrev_co_ci_u32_e64 v162, s1, 0, v129, s1
	s_delay_alu instid0(VALU_DEP_3) | instskip(SKIP_1) | instid1(VALU_DEP_3)
	v_add_f64 v[36:37], v[36:37], 1.0
	v_cmp_eq_f64_e64 s1, 0x7ff00000, v[32:33]
	v_sub_nc_u32_e32 v131, 0, v162
	s_delay_alu instid0(VALU_DEP_1) | instskip(NEXT) | instid1(VALU_DEP_4)
	v_ldexp_f64 v[34:35], v[34:35], v131
	v_add_f64 v[36:37], v[48:49], v[36:37]
	s_delay_alu instid0(VALU_DEP_2) | instskip(SKIP_1) | instid1(VALU_DEP_3)
	v_add_f64 v[129:130], v[34:35], 1.0
	v_add_f64 v[144:145], v[34:35], -1.0
	v_ldexp_f64 v[36:37], v[36:37], v131
	s_delay_alu instid0(VALU_DEP_3) | instskip(NEXT) | instid1(VALU_DEP_3)
	v_add_f64 v[48:49], v[129:130], -1.0
	v_add_f64 v[146:147], v[144:145], 1.0
	s_delay_alu instid0(VALU_DEP_2) | instskip(NEXT) | instid1(VALU_DEP_2)
	v_add_f64 v[48:49], v[34:35], -v[48:49]
	v_add_f64 v[34:35], v[34:35], -v[146:147]
	s_delay_alu instid0(VALU_DEP_2) | instskip(NEXT) | instid1(VALU_DEP_2)
	v_add_f64 v[48:49], v[36:37], v[48:49]
	v_add_f64 v[34:35], v[36:37], v[34:35]
	s_delay_alu instid0(VALU_DEP_2) | instskip(NEXT) | instid1(VALU_DEP_2)
	v_add_f64 v[131:132], v[129:130], v[48:49]
	v_add_f64 v[146:147], v[144:145], v[34:35]
	s_delay_alu instid0(VALU_DEP_2) | instskip(SKIP_1) | instid1(VALU_DEP_2)
	v_rcp_f64_e32 v[133:134], v[131:132]
	v_add_f64 v[129:130], v[131:132], -v[129:130]
	v_add_f64 v[144:145], v[146:147], -v[144:145]
	s_delay_alu instid0(VALU_DEP_2) | instskip(SKIP_3) | instid1(VALU_DEP_2)
	v_add_f64 v[48:49], v[48:49], -v[129:130]
	s_waitcnt_depctr 0xfff
	v_fma_f64 v[148:149], -v[131:132], v[133:134], 1.0
	v_add_f64 v[34:35], v[34:35], -v[144:145]
	v_fma_f64 v[133:134], v[148:149], v[133:134], v[133:134]
	s_delay_alu instid0(VALU_DEP_1) | instskip(NEXT) | instid1(VALU_DEP_1)
	v_fma_f64 v[36:37], -v[131:132], v[133:134], 1.0
	v_fma_f64 v[36:37], v[36:37], v[133:134], v[133:134]
	s_delay_alu instid0(VALU_DEP_1) | instskip(NEXT) | instid1(VALU_DEP_1)
	v_mul_f64 v[133:134], v[146:147], v[36:37]
	v_mul_f64 v[148:149], v[131:132], v[133:134]
	s_delay_alu instid0(VALU_DEP_1) | instskip(NEXT) | instid1(VALU_DEP_1)
	v_fma_f64 v[129:130], v[133:134], v[131:132], -v[148:149]
	v_fma_f64 v[129:130], v[133:134], v[48:49], v[129:130]
	s_delay_alu instid0(VALU_DEP_1) | instskip(NEXT) | instid1(VALU_DEP_1)
	v_add_f64 v[150:151], v[148:149], v[129:130]
	v_add_f64 v[160:161], v[146:147], -v[150:151]
	v_add_f64 v[144:145], v[150:151], -v[148:149]
	s_delay_alu instid0(VALU_DEP_2) | instskip(NEXT) | instid1(VALU_DEP_2)
	v_add_f64 v[146:147], v[146:147], -v[160:161]
	v_add_f64 v[129:130], v[144:145], -v[129:130]
	s_delay_alu instid0(VALU_DEP_2) | instskip(NEXT) | instid1(VALU_DEP_1)
	v_add_f64 v[146:147], v[146:147], -v[150:151]
	v_add_f64 v[34:35], v[34:35], v[146:147]
	s_delay_alu instid0(VALU_DEP_1) | instskip(NEXT) | instid1(VALU_DEP_1)
	v_add_f64 v[34:35], v[129:130], v[34:35]
	v_add_f64 v[129:130], v[160:161], v[34:35]
	s_delay_alu instid0(VALU_DEP_1) | instskip(SKIP_1) | instid1(VALU_DEP_2)
	v_mul_f64 v[144:145], v[36:37], v[129:130]
	v_add_f64 v[150:151], v[160:161], -v[129:130]
	v_mul_f64 v[146:147], v[131:132], v[144:145]
	s_delay_alu instid0(VALU_DEP_2) | instskip(NEXT) | instid1(VALU_DEP_2)
	v_add_f64 v[34:35], v[34:35], v[150:151]
	v_fma_f64 v[131:132], v[144:145], v[131:132], -v[146:147]
	s_delay_alu instid0(VALU_DEP_1) | instskip(NEXT) | instid1(VALU_DEP_1)
	v_fma_f64 v[48:49], v[144:145], v[48:49], v[131:132]
	v_add_f64 v[131:132], v[146:147], v[48:49]
	s_delay_alu instid0(VALU_DEP_1) | instskip(SKIP_1) | instid1(VALU_DEP_2)
	v_add_f64 v[148:149], v[129:130], -v[131:132]
	v_add_f64 v[146:147], v[131:132], -v[146:147]
	;; [unrolled: 1-line block ×3, first 2 shown]
	s_delay_alu instid0(VALU_DEP_2) | instskip(NEXT) | instid1(VALU_DEP_2)
	v_add_f64 v[48:49], v[146:147], -v[48:49]
	v_add_f64 v[129:130], v[129:130], -v[131:132]
	s_delay_alu instid0(VALU_DEP_1) | instskip(SKIP_1) | instid1(VALU_DEP_2)
	v_add_f64 v[34:35], v[34:35], v[129:130]
	v_add_f64 v[129:130], v[133:134], v[144:145]
	;; [unrolled: 1-line block ×3, first 2 shown]
	s_delay_alu instid0(VALU_DEP_2) | instskip(NEXT) | instid1(VALU_DEP_2)
	v_add_f64 v[48:49], v[129:130], -v[133:134]
	v_add_f64 v[34:35], v[148:149], v[34:35]
	s_delay_alu instid0(VALU_DEP_2) | instskip(NEXT) | instid1(VALU_DEP_2)
	v_add_f64 v[48:49], v[144:145], -v[48:49]
	v_mul_f64 v[34:35], v[36:37], v[34:35]
	s_delay_alu instid0(VALU_DEP_1) | instskip(NEXT) | instid1(VALU_DEP_1)
	v_add_f64 v[34:35], v[48:49], v[34:35]
	v_add_f64 v[36:37], v[129:130], v[34:35]
	s_delay_alu instid0(VALU_DEP_1) | instskip(NEXT) | instid1(VALU_DEP_1)
	v_mul_f64 v[48:49], v[36:37], v[36:37]
	v_fma_f64 v[131:132], v[48:49], s[28:29], s[26:27]
	s_mov_b32 s26, 0xd7f4df2e
	s_mov_b32 s27, 0x3fc7474d
	v_mul_f64 v[133:134], v[36:37], v[48:49]
	s_delay_alu instid0(VALU_DEP_2)
	v_fma_f64 v[131:132], v[48:49], v[131:132], s[26:27]
	s_mov_b32 s26, 0x16291751
	s_mov_b32 s27, 0x3fcc71c0
	s_delay_alu instid0(VALU_DEP_1) | instid1(SALU_CYCLE_1)
	v_fma_f64 v[131:132], v[48:49], v[131:132], s[26:27]
	s_mov_b32 s26, 0x9b27acf1
	s_mov_b32 s27, 0x3fd24924
	s_delay_alu instid0(VALU_DEP_1) | instid1(SALU_CYCLE_1)
	;; [unrolled: 4-line block ×3, first 2 shown]
	v_fma_f64 v[131:132], v[48:49], v[131:132], s[26:27]
	s_delay_alu instid0(VALU_DEP_1) | instskip(SKIP_2) | instid1(VALU_DEP_3)
	v_fma_f64 v[48:49], v[48:49], v[131:132], s[16:17]
	v_ldexp_f64 v[131:132], v[36:37], 1
	v_add_f64 v[36:37], v[36:37], -v[129:130]
	v_mul_f64 v[48:49], v[133:134], v[48:49]
	v_cvt_f64_i32_e32 v[133:134], v162
	s_delay_alu instid0(VALU_DEP_3) | instskip(NEXT) | instid1(VALU_DEP_3)
	v_add_f64 v[34:35], v[34:35], -v[36:37]
	v_add_f64 v[129:130], v[131:132], v[48:49]
	s_delay_alu instid0(VALU_DEP_3) | instskip(NEXT) | instid1(VALU_DEP_3)
	v_mul_f64 v[144:145], v[133:134], s[18:19]
	v_ldexp_f64 v[34:35], v[34:35], 1
	s_delay_alu instid0(VALU_DEP_3) | instskip(NEXT) | instid1(VALU_DEP_3)
	v_add_f64 v[36:37], v[129:130], -v[131:132]
	v_fma_f64 v[131:132], v[133:134], s[18:19], -v[144:145]
	s_delay_alu instid0(VALU_DEP_2) | instskip(NEXT) | instid1(VALU_DEP_2)
	v_add_f64 v[36:37], v[48:49], -v[36:37]
	v_fma_f64 v[48:49], v[133:134], s[20:21], v[131:132]
	s_delay_alu instid0(VALU_DEP_2) | instskip(NEXT) | instid1(VALU_DEP_2)
	v_add_f64 v[34:35], v[34:35], v[36:37]
	v_add_f64 v[36:37], v[144:145], v[48:49]
	s_delay_alu instid0(VALU_DEP_2) | instskip(NEXT) | instid1(VALU_DEP_2)
	v_add_f64 v[131:132], v[129:130], v[34:35]
	v_add_f64 v[144:145], v[36:37], -v[144:145]
	s_delay_alu instid0(VALU_DEP_2) | instskip(SKIP_1) | instid1(VALU_DEP_3)
	v_add_f64 v[133:134], v[36:37], v[131:132]
	v_add_f64 v[129:130], v[131:132], -v[129:130]
	v_add_f64 v[48:49], v[48:49], -v[144:145]
	s_delay_alu instid0(VALU_DEP_3) | instskip(NEXT) | instid1(VALU_DEP_3)
	v_add_f64 v[146:147], v[133:134], -v[36:37]
	v_add_f64 v[34:35], v[34:35], -v[129:130]
	s_delay_alu instid0(VALU_DEP_2) | instskip(SKIP_1) | instid1(VALU_DEP_3)
	v_add_f64 v[148:149], v[133:134], -v[146:147]
	v_add_f64 v[129:130], v[131:132], -v[146:147]
	v_add_f64 v[131:132], v[48:49], v[34:35]
	s_delay_alu instid0(VALU_DEP_3) | instskip(NEXT) | instid1(VALU_DEP_1)
	v_add_f64 v[36:37], v[36:37], -v[148:149]
	v_add_f64 v[36:37], v[129:130], v[36:37]
	s_delay_alu instid0(VALU_DEP_3) | instskip(NEXT) | instid1(VALU_DEP_2)
	v_add_f64 v[129:130], v[131:132], -v[48:49]
	v_add_f64 v[36:37], v[131:132], v[36:37]
	s_delay_alu instid0(VALU_DEP_2) | instskip(SKIP_1) | instid1(VALU_DEP_3)
	v_add_f64 v[131:132], v[131:132], -v[129:130]
	v_add_f64 v[34:35], v[34:35], -v[129:130]
	v_add_f64 v[144:145], v[133:134], v[36:37]
	s_delay_alu instid0(VALU_DEP_3) | instskip(NEXT) | instid1(VALU_DEP_2)
	v_add_f64 v[48:49], v[48:49], -v[131:132]
	v_add_f64 v[129:130], v[144:145], -v[133:134]
	s_delay_alu instid0(VALU_DEP_2) | instskip(NEXT) | instid1(VALU_DEP_2)
	v_add_f64 v[34:35], v[34:35], v[48:49]
	v_add_f64 v[36:37], v[36:37], -v[129:130]
	s_delay_alu instid0(VALU_DEP_1) | instskip(NEXT) | instid1(VALU_DEP_1)
	v_add_f64 v[34:35], v[34:35], v[36:37]
	v_add_f64 v[34:35], v[144:145], v[34:35]
	s_delay_alu instid0(VALU_DEP_1) | instskip(NEXT) | instid1(VALU_DEP_2)
	v_cndmask_b32_e64 v34, v34, v32, s1
	v_cndmask_b32_e64 v35, v35, v33, s1
	v_cmp_ngt_f64_e64 s1, -1.0, v[32:33]
	s_delay_alu instid0(VALU_DEP_1) | instskip(SKIP_1) | instid1(VALU_DEP_1)
	v_cndmask_b32_e64 v35, 0x7ff80000, v35, s1
	v_cmp_nge_f64_e64 s1, -1.0, v[32:33]
	v_cndmask_b32_e64 v34, 0, v34, s1
	v_cmp_neq_f64_e64 s1, -1.0, v[32:33]
	s_delay_alu instid0(VALU_DEP_1) | instskip(NEXT) | instid1(VALU_DEP_1)
	v_cndmask_b32_e64 v35, 0xfff00000, v35, s1
	v_add_f64 v[48:49], v[0:1], v[34:35]
.LBB8_331:
	s_or_b32 exec_lo, exec_lo, s25
	s_delay_alu instid0(VALU_DEP_1) | instskip(SKIP_1) | instid1(VALU_DEP_1)
	v_max_f64 v[0:1], v[48:49], v[48:49]
	;;#ASMSTART
	;;#ASMEND
	v_min_f64 v[34:35], v[0:1], v[54:55]
	v_max_f64 v[36:37], v[0:1], v[54:55]
	v_dual_mov_b32 v0, v48 :: v_dual_mov_b32 v1, v49
.LBB8_332:
	s_or_b32 exec_lo, exec_lo, s24
	s_delay_alu instid0(VALU_DEP_1) | instskip(NEXT) | instid1(VALU_DEP_1)
	v_cmp_u_f64_e64 s1, v[0:1], v[0:1]
	v_cndmask_b32_e64 v32, v34, v0, s1
	v_cndmask_b32_e64 v33, v35, v1, s1
	;; [unrolled: 1-line block ×4, first 2 shown]
	s_delay_alu instid0(VALU_DEP_3) | instskip(NEXT) | instid1(VALU_DEP_2)
	v_dual_cndmask_b32 v34, v32, v2 :: v_dual_cndmask_b32 v35, v33, v3
	v_dual_cndmask_b32 v33, v37, v3 :: v_dual_cndmask_b32 v32, v36, v2
	v_dual_mov_b32 v3, v1 :: v_dual_mov_b32 v2, v0
	s_delay_alu instid0(VALU_DEP_3) | instskip(NEXT) | instid1(VALU_DEP_3)
	v_cmp_class_f64_e64 s1, v[34:35], 0x1f8
	v_cmp_neq_f64_e32 vcc_lo, v[34:35], v[32:33]
	s_delay_alu instid0(VALU_DEP_2) | instskip(NEXT) | instid1(SALU_CYCLE_1)
	s_or_b32 s1, vcc_lo, s1
	s_and_saveexec_b32 s24, s1
	s_cbranch_execz .LBB8_334
; %bb.333:
	v_add_f64 v[2:3], v[34:35], -v[32:33]
	s_mov_b32 s16, 0x652b82fe
	s_mov_b32 s17, 0x3ff71547
	;; [unrolled: 1-line block ×10, first 2 shown]
	s_delay_alu instid0(VALU_DEP_1) | instskip(SKIP_4) | instid1(VALU_DEP_3)
	v_mul_f64 v[34:35], v[2:3], s[16:17]
	s_mov_b32 s17, 0xbfe62e42
	s_mov_b32 s16, 0xfefa39ef
	v_cmp_nlt_f64_e32 vcc_lo, 0x40900000, v[2:3]
	v_cmp_ngt_f64_e64 s1, 0xc090cc00, v[2:3]
	v_rndne_f64_e32 v[34:35], v[34:35]
	s_delay_alu instid0(VALU_DEP_1) | instskip(SKIP_2) | instid1(VALU_DEP_2)
	v_fma_f64 v[36:37], v[34:35], s[16:17], v[2:3]
	v_cvt_i32_f64_e32 v54, v[34:35]
	s_mov_b32 s17, 0x3fe62e42
	v_fma_f64 v[36:37], v[34:35], s[18:19], v[36:37]
	s_mov_b32 s19, 0x3c7abc9e
	s_waitcnt lgkmcnt(0)
	s_delay_alu instid0(VALU_DEP_1) | instskip(SKIP_4) | instid1(VALU_DEP_1)
	v_fma_f64 v[48:49], v[36:37], s[26:27], s[20:21]
	s_mov_b32 s20, 0x623fde64
	s_mov_b32 s21, 0x3ec71dee
	;; [unrolled: 1-line block ×4, first 2 shown]
	v_fma_f64 v[48:49], v[36:37], v[48:49], s[20:21]
	s_mov_b32 s20, 0x7c89e6b0
	s_mov_b32 s21, 0x3efa0199
	s_delay_alu instid0(VALU_DEP_1) | instid1(SALU_CYCLE_1)
	v_fma_f64 v[48:49], v[36:37], v[48:49], s[20:21]
	s_mov_b32 s20, 0x14761f6e
	s_mov_b32 s21, 0x3f2a01a0
	s_delay_alu instid0(VALU_DEP_1) | instid1(SALU_CYCLE_1)
	;; [unrolled: 4-line block ×7, first 2 shown]
	v_fma_f64 v[48:49], v[36:37], v[48:49], s[20:21]
	s_mov_b32 s21, 0x3fe55555
	s_mov_b32 s20, 0x55555555
	s_delay_alu instid0(VALU_DEP_1) | instskip(NEXT) | instid1(VALU_DEP_1)
	v_fma_f64 v[48:49], v[36:37], v[48:49], 1.0
	v_fma_f64 v[34:35], v[36:37], v[48:49], 1.0
	s_delay_alu instid0(VALU_DEP_1) | instskip(NEXT) | instid1(VALU_DEP_1)
	v_ldexp_f64 v[34:35], v[34:35], v54
	v_cndmask_b32_e32 v35, 0x7ff00000, v35, vcc_lo
	s_and_b32 vcc_lo, s1, vcc_lo
	s_delay_alu instid0(VALU_DEP_1) | instskip(NEXT) | instid1(VALU_DEP_3)
	v_cndmask_b32_e64 v3, 0, v35, s1
	v_cndmask_b32_e32 v2, 0, v34, vcc_lo
	s_delay_alu instid0(VALU_DEP_1) | instskip(NEXT) | instid1(VALU_DEP_1)
	v_add_f64 v[34:35], v[2:3], 1.0
	v_frexp_mant_f64_e32 v[36:37], v[34:35]
	v_frexp_exp_i32_f64_e32 v54, v[34:35]
	v_add_f64 v[48:49], v[34:35], -1.0
	s_delay_alu instid0(VALU_DEP_3) | instskip(SKIP_1) | instid1(VALU_DEP_2)
	v_cmp_gt_f64_e32 vcc_lo, s[20:21], v[36:37]
	s_mov_b32 s20, 0x55555780
	v_add_f64 v[36:37], v[48:49], -v[34:35]
	v_add_f64 v[48:49], v[2:3], -v[48:49]
	v_subrev_co_ci_u32_e32 v160, vcc_lo, 0, v54, vcc_lo
	s_delay_alu instid0(VALU_DEP_3) | instskip(SKIP_1) | instid1(VALU_DEP_3)
	v_add_f64 v[36:37], v[36:37], 1.0
	v_cmp_eq_f64_e32 vcc_lo, 0x7ff00000, v[2:3]
	v_sub_nc_u32_e32 v129, 0, v160
	s_delay_alu instid0(VALU_DEP_1) | instskip(NEXT) | instid1(VALU_DEP_4)
	v_ldexp_f64 v[34:35], v[34:35], v129
	v_add_f64 v[36:37], v[48:49], v[36:37]
	s_delay_alu instid0(VALU_DEP_2) | instskip(SKIP_1) | instid1(VALU_DEP_3)
	v_add_f64 v[54:55], v[34:35], 1.0
	v_add_f64 v[133:134], v[34:35], -1.0
	v_ldexp_f64 v[36:37], v[36:37], v129
	s_delay_alu instid0(VALU_DEP_3) | instskip(NEXT) | instid1(VALU_DEP_3)
	v_add_f64 v[48:49], v[54:55], -1.0
	v_add_f64 v[144:145], v[133:134], 1.0
	s_delay_alu instid0(VALU_DEP_2) | instskip(NEXT) | instid1(VALU_DEP_2)
	v_add_f64 v[48:49], v[34:35], -v[48:49]
	v_add_f64 v[34:35], v[34:35], -v[144:145]
	s_delay_alu instid0(VALU_DEP_2) | instskip(NEXT) | instid1(VALU_DEP_2)
	v_add_f64 v[48:49], v[36:37], v[48:49]
	v_add_f64 v[34:35], v[36:37], v[34:35]
	s_delay_alu instid0(VALU_DEP_2) | instskip(NEXT) | instid1(VALU_DEP_2)
	v_add_f64 v[129:130], v[54:55], v[48:49]
	v_add_f64 v[144:145], v[133:134], v[34:35]
	s_delay_alu instid0(VALU_DEP_2) | instskip(SKIP_1) | instid1(VALU_DEP_2)
	v_rcp_f64_e32 v[131:132], v[129:130]
	v_add_f64 v[54:55], v[129:130], -v[54:55]
	v_add_f64 v[133:134], v[144:145], -v[133:134]
	s_delay_alu instid0(VALU_DEP_2) | instskip(SKIP_3) | instid1(VALU_DEP_2)
	v_add_f64 v[48:49], v[48:49], -v[54:55]
	s_waitcnt_depctr 0xfff
	v_fma_f64 v[146:147], -v[129:130], v[131:132], 1.0
	v_add_f64 v[34:35], v[34:35], -v[133:134]
	v_fma_f64 v[131:132], v[146:147], v[131:132], v[131:132]
	s_delay_alu instid0(VALU_DEP_1) | instskip(NEXT) | instid1(VALU_DEP_1)
	v_fma_f64 v[36:37], -v[129:130], v[131:132], 1.0
	v_fma_f64 v[36:37], v[36:37], v[131:132], v[131:132]
	s_delay_alu instid0(VALU_DEP_1) | instskip(NEXT) | instid1(VALU_DEP_1)
	v_mul_f64 v[131:132], v[144:145], v[36:37]
	v_mul_f64 v[146:147], v[129:130], v[131:132]
	s_delay_alu instid0(VALU_DEP_1) | instskip(NEXT) | instid1(VALU_DEP_1)
	v_fma_f64 v[54:55], v[131:132], v[129:130], -v[146:147]
	v_fma_f64 v[54:55], v[131:132], v[48:49], v[54:55]
	s_delay_alu instid0(VALU_DEP_1) | instskip(NEXT) | instid1(VALU_DEP_1)
	v_add_f64 v[148:149], v[146:147], v[54:55]
	v_add_f64 v[150:151], v[144:145], -v[148:149]
	v_add_f64 v[133:134], v[148:149], -v[146:147]
	s_delay_alu instid0(VALU_DEP_2) | instskip(NEXT) | instid1(VALU_DEP_2)
	v_add_f64 v[144:145], v[144:145], -v[150:151]
	v_add_f64 v[54:55], v[133:134], -v[54:55]
	s_delay_alu instid0(VALU_DEP_2) | instskip(NEXT) | instid1(VALU_DEP_1)
	v_add_f64 v[144:145], v[144:145], -v[148:149]
	v_add_f64 v[34:35], v[34:35], v[144:145]
	s_delay_alu instid0(VALU_DEP_1) | instskip(NEXT) | instid1(VALU_DEP_1)
	v_add_f64 v[34:35], v[54:55], v[34:35]
	v_add_f64 v[54:55], v[150:151], v[34:35]
	s_delay_alu instid0(VALU_DEP_1) | instskip(SKIP_1) | instid1(VALU_DEP_2)
	v_mul_f64 v[133:134], v[36:37], v[54:55]
	v_add_f64 v[148:149], v[150:151], -v[54:55]
	v_mul_f64 v[144:145], v[129:130], v[133:134]
	s_delay_alu instid0(VALU_DEP_2) | instskip(NEXT) | instid1(VALU_DEP_2)
	v_add_f64 v[34:35], v[34:35], v[148:149]
	v_fma_f64 v[129:130], v[133:134], v[129:130], -v[144:145]
	s_delay_alu instid0(VALU_DEP_1) | instskip(NEXT) | instid1(VALU_DEP_1)
	v_fma_f64 v[48:49], v[133:134], v[48:49], v[129:130]
	v_add_f64 v[129:130], v[144:145], v[48:49]
	s_delay_alu instid0(VALU_DEP_1) | instskip(SKIP_1) | instid1(VALU_DEP_2)
	v_add_f64 v[146:147], v[54:55], -v[129:130]
	v_add_f64 v[144:145], v[129:130], -v[144:145]
	v_add_f64 v[54:55], v[54:55], -v[146:147]
	s_delay_alu instid0(VALU_DEP_2) | instskip(NEXT) | instid1(VALU_DEP_2)
	v_add_f64 v[48:49], v[144:145], -v[48:49]
	v_add_f64 v[54:55], v[54:55], -v[129:130]
	s_delay_alu instid0(VALU_DEP_1) | instskip(SKIP_1) | instid1(VALU_DEP_2)
	v_add_f64 v[34:35], v[34:35], v[54:55]
	v_add_f64 v[54:55], v[131:132], v[133:134]
	;; [unrolled: 1-line block ×3, first 2 shown]
	s_delay_alu instid0(VALU_DEP_2) | instskip(NEXT) | instid1(VALU_DEP_2)
	v_add_f64 v[48:49], v[54:55], -v[131:132]
	v_add_f64 v[34:35], v[146:147], v[34:35]
	s_delay_alu instid0(VALU_DEP_2) | instskip(NEXT) | instid1(VALU_DEP_2)
	v_add_f64 v[48:49], v[133:134], -v[48:49]
	v_mul_f64 v[34:35], v[36:37], v[34:35]
	s_delay_alu instid0(VALU_DEP_1) | instskip(NEXT) | instid1(VALU_DEP_1)
	v_add_f64 v[34:35], v[48:49], v[34:35]
	v_add_f64 v[36:37], v[54:55], v[34:35]
	s_delay_alu instid0(VALU_DEP_1) | instskip(NEXT) | instid1(VALU_DEP_1)
	v_mul_f64 v[48:49], v[36:37], v[36:37]
	v_fma_f64 v[129:130], v[48:49], s[28:29], s[26:27]
	s_mov_b32 s26, 0xd7f4df2e
	s_mov_b32 s27, 0x3fc7474d
	v_mul_f64 v[131:132], v[36:37], v[48:49]
	s_delay_alu instid0(VALU_DEP_2)
	v_fma_f64 v[129:130], v[48:49], v[129:130], s[26:27]
	s_mov_b32 s26, 0x16291751
	s_mov_b32 s27, 0x3fcc71c0
	s_delay_alu instid0(VALU_DEP_1) | instid1(SALU_CYCLE_1)
	v_fma_f64 v[129:130], v[48:49], v[129:130], s[26:27]
	s_mov_b32 s26, 0x9b27acf1
	s_mov_b32 s27, 0x3fd24924
	s_delay_alu instid0(VALU_DEP_1) | instid1(SALU_CYCLE_1)
	;; [unrolled: 4-line block ×3, first 2 shown]
	v_fma_f64 v[129:130], v[48:49], v[129:130], s[26:27]
	s_delay_alu instid0(VALU_DEP_1) | instskip(SKIP_2) | instid1(VALU_DEP_3)
	v_fma_f64 v[48:49], v[48:49], v[129:130], s[20:21]
	v_ldexp_f64 v[129:130], v[36:37], 1
	v_add_f64 v[36:37], v[36:37], -v[54:55]
	v_mul_f64 v[48:49], v[131:132], v[48:49]
	v_cvt_f64_i32_e32 v[131:132], v160
	s_delay_alu instid0(VALU_DEP_3) | instskip(NEXT) | instid1(VALU_DEP_3)
	v_add_f64 v[34:35], v[34:35], -v[36:37]
	v_add_f64 v[54:55], v[129:130], v[48:49]
	s_delay_alu instid0(VALU_DEP_3) | instskip(NEXT) | instid1(VALU_DEP_3)
	v_mul_f64 v[133:134], v[131:132], s[16:17]
	v_ldexp_f64 v[34:35], v[34:35], 1
	s_delay_alu instid0(VALU_DEP_3) | instskip(NEXT) | instid1(VALU_DEP_3)
	v_add_f64 v[36:37], v[54:55], -v[129:130]
	v_fma_f64 v[129:130], v[131:132], s[16:17], -v[133:134]
	s_delay_alu instid0(VALU_DEP_2) | instskip(NEXT) | instid1(VALU_DEP_2)
	v_add_f64 v[36:37], v[48:49], -v[36:37]
	v_fma_f64 v[48:49], v[131:132], s[18:19], v[129:130]
	s_delay_alu instid0(VALU_DEP_2) | instskip(NEXT) | instid1(VALU_DEP_2)
	v_add_f64 v[34:35], v[34:35], v[36:37]
	v_add_f64 v[36:37], v[133:134], v[48:49]
	s_delay_alu instid0(VALU_DEP_2) | instskip(NEXT) | instid1(VALU_DEP_2)
	v_add_f64 v[129:130], v[54:55], v[34:35]
	v_add_f64 v[133:134], v[36:37], -v[133:134]
	s_delay_alu instid0(VALU_DEP_2) | instskip(SKIP_1) | instid1(VALU_DEP_3)
	v_add_f64 v[131:132], v[36:37], v[129:130]
	v_add_f64 v[54:55], v[129:130], -v[54:55]
	v_add_f64 v[48:49], v[48:49], -v[133:134]
	s_delay_alu instid0(VALU_DEP_3) | instskip(NEXT) | instid1(VALU_DEP_3)
	v_add_f64 v[144:145], v[131:132], -v[36:37]
	v_add_f64 v[34:35], v[34:35], -v[54:55]
	s_delay_alu instid0(VALU_DEP_2) | instskip(SKIP_1) | instid1(VALU_DEP_3)
	v_add_f64 v[146:147], v[131:132], -v[144:145]
	v_add_f64 v[54:55], v[129:130], -v[144:145]
	v_add_f64 v[129:130], v[48:49], v[34:35]
	s_delay_alu instid0(VALU_DEP_3) | instskip(NEXT) | instid1(VALU_DEP_1)
	v_add_f64 v[36:37], v[36:37], -v[146:147]
	v_add_f64 v[36:37], v[54:55], v[36:37]
	s_delay_alu instid0(VALU_DEP_3) | instskip(NEXT) | instid1(VALU_DEP_2)
	v_add_f64 v[54:55], v[129:130], -v[48:49]
	v_add_f64 v[36:37], v[129:130], v[36:37]
	s_delay_alu instid0(VALU_DEP_2) | instskip(SKIP_1) | instid1(VALU_DEP_3)
	v_add_f64 v[129:130], v[129:130], -v[54:55]
	v_add_f64 v[34:35], v[34:35], -v[54:55]
	v_add_f64 v[133:134], v[131:132], v[36:37]
	s_delay_alu instid0(VALU_DEP_3) | instskip(NEXT) | instid1(VALU_DEP_2)
	v_add_f64 v[48:49], v[48:49], -v[129:130]
	v_add_f64 v[54:55], v[133:134], -v[131:132]
	s_delay_alu instid0(VALU_DEP_2) | instskip(NEXT) | instid1(VALU_DEP_2)
	v_add_f64 v[34:35], v[34:35], v[48:49]
	v_add_f64 v[36:37], v[36:37], -v[54:55]
	s_delay_alu instid0(VALU_DEP_1) | instskip(NEXT) | instid1(VALU_DEP_1)
	v_add_f64 v[34:35], v[34:35], v[36:37]
	v_add_f64 v[34:35], v[133:134], v[34:35]
	s_delay_alu instid0(VALU_DEP_1) | instskip(SKIP_1) | instid1(VALU_DEP_2)
	v_dual_cndmask_b32 v35, v35, v3 :: v_dual_cndmask_b32 v34, v34, v2
	v_cmp_ngt_f64_e32 vcc_lo, -1.0, v[2:3]
	v_cndmask_b32_e32 v35, 0x7ff80000, v35, vcc_lo
	v_cmp_nge_f64_e32 vcc_lo, -1.0, v[2:3]
	s_delay_alu instid0(VALU_DEP_4) | instskip(SKIP_1) | instid1(VALU_DEP_4)
	v_cndmask_b32_e32 v34, 0, v34, vcc_lo
	v_cmp_neq_f64_e32 vcc_lo, -1.0, v[2:3]
	v_cndmask_b32_e32 v35, 0xfff00000, v35, vcc_lo
	s_delay_alu instid0(VALU_DEP_1)
	v_add_f64 v[2:3], v[32:33], v[34:35]
.LBB8_334:
	s_or_b32 exec_lo, exec_lo, s24
	s_delay_alu instid0(VALU_DEP_1) | instskip(SKIP_1) | instid1(VALU_DEP_2)
	v_max_f64 v[32:33], v[2:3], v[2:3]
	v_cmp_u_f64_e32 vcc_lo, v[2:3], v[2:3]
	v_min_f64 v[34:35], v[32:33], v[4:5]
	v_max_f64 v[4:5], v[32:33], v[4:5]
	s_delay_alu instid0(VALU_DEP_2) | instskip(NEXT) | instid1(VALU_DEP_2)
	v_dual_cndmask_b32 v32, v34, v2 :: v_dual_cndmask_b32 v33, v35, v3
	v_dual_cndmask_b32 v5, v5, v3 :: v_dual_cndmask_b32 v4, v4, v2
	s_delay_alu instid0(VALU_DEP_2) | instskip(NEXT) | instid1(VALU_DEP_3)
	v_cndmask_b32_e64 v34, v32, v112, s2
	v_cndmask_b32_e64 v35, v33, v113, s2
	s_delay_alu instid0(VALU_DEP_3) | instskip(NEXT) | instid1(VALU_DEP_4)
	v_cndmask_b32_e64 v33, v5, v113, s2
	v_cndmask_b32_e64 v32, v4, v112, s2
	v_dual_mov_b32 v5, v3 :: v_dual_mov_b32 v4, v2
	s_delay_alu instid0(VALU_DEP_4) | instskip(NEXT) | instid1(VALU_DEP_3)
	v_cmp_class_f64_e64 s1, v[34:35], 0x1f8
	v_cmp_neq_f64_e32 vcc_lo, v[34:35], v[32:33]
	s_delay_alu instid0(VALU_DEP_2) | instskip(NEXT) | instid1(SALU_CYCLE_1)
	s_or_b32 s1, vcc_lo, s1
	s_and_saveexec_b32 s2, s1
	s_cbranch_execz .LBB8_336
; %bb.335:
	v_add_f64 v[4:5], v[34:35], -v[32:33]
	s_mov_b32 s16, 0x652b82fe
	s_mov_b32 s17, 0x3ff71547
	;; [unrolled: 1-line block ×10, first 2 shown]
	s_delay_alu instid0(VALU_DEP_1) | instskip(SKIP_4) | instid1(VALU_DEP_3)
	v_mul_f64 v[34:35], v[4:5], s[16:17]
	s_mov_b32 s17, 0xbfe62e42
	s_mov_b32 s16, 0xfefa39ef
	v_cmp_nlt_f64_e32 vcc_lo, 0x40900000, v[4:5]
	v_cmp_ngt_f64_e64 s1, 0xc090cc00, v[4:5]
	v_rndne_f64_e32 v[34:35], v[34:35]
	s_delay_alu instid0(VALU_DEP_1) | instskip(SKIP_2) | instid1(VALU_DEP_2)
	v_fma_f64 v[36:37], v[34:35], s[16:17], v[4:5]
	v_cvt_i32_f64_e32 v54, v[34:35]
	s_mov_b32 s17, 0x3fe62e42
	v_fma_f64 v[36:37], v[34:35], s[18:19], v[36:37]
	s_mov_b32 s19, 0x3c7abc9e
	s_waitcnt lgkmcnt(0)
	s_delay_alu instid0(VALU_DEP_1) | instskip(SKIP_4) | instid1(VALU_DEP_1)
	v_fma_f64 v[48:49], v[36:37], s[24:25], s[20:21]
	s_mov_b32 s20, 0x623fde64
	s_mov_b32 s21, 0x3ec71dee
	;; [unrolled: 1-line block ×4, first 2 shown]
	v_fma_f64 v[48:49], v[36:37], v[48:49], s[20:21]
	s_mov_b32 s20, 0x7c89e6b0
	s_mov_b32 s21, 0x3efa0199
	s_delay_alu instid0(VALU_DEP_1) | instid1(SALU_CYCLE_1)
	v_fma_f64 v[48:49], v[36:37], v[48:49], s[20:21]
	s_mov_b32 s20, 0x14761f6e
	s_mov_b32 s21, 0x3f2a01a0
	s_delay_alu instid0(VALU_DEP_1) | instid1(SALU_CYCLE_1)
	;; [unrolled: 4-line block ×7, first 2 shown]
	v_fma_f64 v[48:49], v[36:37], v[48:49], s[20:21]
	s_mov_b32 s21, 0x3fe55555
	s_mov_b32 s20, 0x55555555
	s_delay_alu instid0(VALU_DEP_1) | instskip(NEXT) | instid1(VALU_DEP_1)
	v_fma_f64 v[48:49], v[36:37], v[48:49], 1.0
	v_fma_f64 v[34:35], v[36:37], v[48:49], 1.0
	s_delay_alu instid0(VALU_DEP_1) | instskip(NEXT) | instid1(VALU_DEP_1)
	v_ldexp_f64 v[34:35], v[34:35], v54
	v_cndmask_b32_e32 v35, 0x7ff00000, v35, vcc_lo
	s_and_b32 vcc_lo, s1, vcc_lo
	s_delay_alu instid0(VALU_DEP_1) | instskip(NEXT) | instid1(VALU_DEP_3)
	v_cndmask_b32_e64 v5, 0, v35, s1
	v_cndmask_b32_e32 v4, 0, v34, vcc_lo
	s_delay_alu instid0(VALU_DEP_1) | instskip(NEXT) | instid1(VALU_DEP_1)
	v_add_f64 v[34:35], v[4:5], 1.0
	v_frexp_mant_f64_e32 v[36:37], v[34:35]
	v_frexp_exp_i32_f64_e32 v54, v[34:35]
	v_add_f64 v[48:49], v[34:35], -1.0
	s_delay_alu instid0(VALU_DEP_3) | instskip(SKIP_1) | instid1(VALU_DEP_2)
	v_cmp_gt_f64_e32 vcc_lo, s[20:21], v[36:37]
	s_mov_b32 s20, 0x55555780
	v_add_f64 v[36:37], v[48:49], -v[34:35]
	v_add_f64 v[48:49], v[4:5], -v[48:49]
	v_subrev_co_ci_u32_e32 v150, vcc_lo, 0, v54, vcc_lo
	s_delay_alu instid0(VALU_DEP_3) | instskip(SKIP_1) | instid1(VALU_DEP_3)
	v_add_f64 v[36:37], v[36:37], 1.0
	v_cmp_eq_f64_e32 vcc_lo, 0x7ff00000, v[4:5]
	v_sub_nc_u32_e32 v112, 0, v150
	s_delay_alu instid0(VALU_DEP_1) | instskip(NEXT) | instid1(VALU_DEP_4)
	v_ldexp_f64 v[34:35], v[34:35], v112
	v_add_f64 v[36:37], v[48:49], v[36:37]
	s_delay_alu instid0(VALU_DEP_2) | instskip(SKIP_1) | instid1(VALU_DEP_3)
	v_add_f64 v[54:55], v[34:35], 1.0
	v_add_f64 v[131:132], v[34:35], -1.0
	v_ldexp_f64 v[36:37], v[36:37], v112
	s_delay_alu instid0(VALU_DEP_3) | instskip(NEXT) | instid1(VALU_DEP_3)
	v_add_f64 v[48:49], v[54:55], -1.0
	v_add_f64 v[133:134], v[131:132], 1.0
	s_delay_alu instid0(VALU_DEP_2) | instskip(NEXT) | instid1(VALU_DEP_2)
	v_add_f64 v[48:49], v[34:35], -v[48:49]
	v_add_f64 v[34:35], v[34:35], -v[133:134]
	s_delay_alu instid0(VALU_DEP_2) | instskip(NEXT) | instid1(VALU_DEP_2)
	v_add_f64 v[48:49], v[36:37], v[48:49]
	v_add_f64 v[34:35], v[36:37], v[34:35]
	s_delay_alu instid0(VALU_DEP_2) | instskip(NEXT) | instid1(VALU_DEP_2)
	v_add_f64 v[112:113], v[54:55], v[48:49]
	v_add_f64 v[133:134], v[131:132], v[34:35]
	s_delay_alu instid0(VALU_DEP_2) | instskip(SKIP_1) | instid1(VALU_DEP_2)
	v_rcp_f64_e32 v[129:130], v[112:113]
	v_add_f64 v[54:55], v[112:113], -v[54:55]
	v_add_f64 v[131:132], v[133:134], -v[131:132]
	s_delay_alu instid0(VALU_DEP_2) | instskip(SKIP_3) | instid1(VALU_DEP_2)
	v_add_f64 v[48:49], v[48:49], -v[54:55]
	s_waitcnt_depctr 0xfff
	v_fma_f64 v[144:145], -v[112:113], v[129:130], 1.0
	v_add_f64 v[34:35], v[34:35], -v[131:132]
	v_fma_f64 v[129:130], v[144:145], v[129:130], v[129:130]
	s_delay_alu instid0(VALU_DEP_1) | instskip(NEXT) | instid1(VALU_DEP_1)
	v_fma_f64 v[36:37], -v[112:113], v[129:130], 1.0
	v_fma_f64 v[36:37], v[36:37], v[129:130], v[129:130]
	s_delay_alu instid0(VALU_DEP_1) | instskip(NEXT) | instid1(VALU_DEP_1)
	v_mul_f64 v[129:130], v[133:134], v[36:37]
	v_mul_f64 v[144:145], v[112:113], v[129:130]
	s_delay_alu instid0(VALU_DEP_1) | instskip(NEXT) | instid1(VALU_DEP_1)
	v_fma_f64 v[54:55], v[129:130], v[112:113], -v[144:145]
	v_fma_f64 v[54:55], v[129:130], v[48:49], v[54:55]
	s_delay_alu instid0(VALU_DEP_1) | instskip(NEXT) | instid1(VALU_DEP_1)
	v_add_f64 v[146:147], v[144:145], v[54:55]
	v_add_f64 v[148:149], v[133:134], -v[146:147]
	v_add_f64 v[131:132], v[146:147], -v[144:145]
	s_delay_alu instid0(VALU_DEP_2) | instskip(NEXT) | instid1(VALU_DEP_2)
	v_add_f64 v[133:134], v[133:134], -v[148:149]
	v_add_f64 v[54:55], v[131:132], -v[54:55]
	s_delay_alu instid0(VALU_DEP_2) | instskip(NEXT) | instid1(VALU_DEP_1)
	v_add_f64 v[133:134], v[133:134], -v[146:147]
	v_add_f64 v[34:35], v[34:35], v[133:134]
	s_delay_alu instid0(VALU_DEP_1) | instskip(NEXT) | instid1(VALU_DEP_1)
	v_add_f64 v[34:35], v[54:55], v[34:35]
	v_add_f64 v[54:55], v[148:149], v[34:35]
	s_delay_alu instid0(VALU_DEP_1) | instskip(SKIP_1) | instid1(VALU_DEP_2)
	v_mul_f64 v[131:132], v[36:37], v[54:55]
	v_add_f64 v[146:147], v[148:149], -v[54:55]
	v_mul_f64 v[133:134], v[112:113], v[131:132]
	s_delay_alu instid0(VALU_DEP_2) | instskip(NEXT) | instid1(VALU_DEP_2)
	v_add_f64 v[34:35], v[34:35], v[146:147]
	v_fma_f64 v[112:113], v[131:132], v[112:113], -v[133:134]
	s_delay_alu instid0(VALU_DEP_1) | instskip(NEXT) | instid1(VALU_DEP_1)
	v_fma_f64 v[48:49], v[131:132], v[48:49], v[112:113]
	v_add_f64 v[112:113], v[133:134], v[48:49]
	s_delay_alu instid0(VALU_DEP_1) | instskip(SKIP_1) | instid1(VALU_DEP_2)
	v_add_f64 v[144:145], v[54:55], -v[112:113]
	v_add_f64 v[133:134], v[112:113], -v[133:134]
	v_add_f64 v[54:55], v[54:55], -v[144:145]
	s_delay_alu instid0(VALU_DEP_2) | instskip(NEXT) | instid1(VALU_DEP_2)
	v_add_f64 v[48:49], v[133:134], -v[48:49]
	v_add_f64 v[54:55], v[54:55], -v[112:113]
	s_delay_alu instid0(VALU_DEP_1) | instskip(SKIP_1) | instid1(VALU_DEP_2)
	v_add_f64 v[34:35], v[34:35], v[54:55]
	v_add_f64 v[54:55], v[129:130], v[131:132]
	;; [unrolled: 1-line block ×3, first 2 shown]
	s_delay_alu instid0(VALU_DEP_2) | instskip(NEXT) | instid1(VALU_DEP_2)
	v_add_f64 v[48:49], v[54:55], -v[129:130]
	v_add_f64 v[34:35], v[144:145], v[34:35]
	s_delay_alu instid0(VALU_DEP_2) | instskip(NEXT) | instid1(VALU_DEP_2)
	v_add_f64 v[48:49], v[131:132], -v[48:49]
	v_mul_f64 v[34:35], v[36:37], v[34:35]
	s_delay_alu instid0(VALU_DEP_1) | instskip(NEXT) | instid1(VALU_DEP_1)
	v_add_f64 v[34:35], v[48:49], v[34:35]
	v_add_f64 v[36:37], v[54:55], v[34:35]
	s_delay_alu instid0(VALU_DEP_1) | instskip(NEXT) | instid1(VALU_DEP_1)
	v_mul_f64 v[48:49], v[36:37], v[36:37]
	v_fma_f64 v[112:113], v[48:49], s[26:27], s[24:25]
	s_mov_b32 s24, 0xd7f4df2e
	s_mov_b32 s25, 0x3fc7474d
	v_mul_f64 v[129:130], v[36:37], v[48:49]
	s_delay_alu instid0(VALU_DEP_2)
	v_fma_f64 v[112:113], v[48:49], v[112:113], s[24:25]
	s_mov_b32 s24, 0x16291751
	s_mov_b32 s25, 0x3fcc71c0
	s_delay_alu instid0(VALU_DEP_1) | instid1(SALU_CYCLE_1)
	v_fma_f64 v[112:113], v[48:49], v[112:113], s[24:25]
	s_mov_b32 s24, 0x9b27acf1
	s_mov_b32 s25, 0x3fd24924
	s_delay_alu instid0(VALU_DEP_1) | instid1(SALU_CYCLE_1)
	;; [unrolled: 4-line block ×3, first 2 shown]
	v_fma_f64 v[112:113], v[48:49], v[112:113], s[24:25]
	s_delay_alu instid0(VALU_DEP_1) | instskip(SKIP_2) | instid1(VALU_DEP_3)
	v_fma_f64 v[48:49], v[48:49], v[112:113], s[20:21]
	v_ldexp_f64 v[112:113], v[36:37], 1
	v_add_f64 v[36:37], v[36:37], -v[54:55]
	v_mul_f64 v[48:49], v[129:130], v[48:49]
	v_cvt_f64_i32_e32 v[129:130], v150
	s_delay_alu instid0(VALU_DEP_3) | instskip(NEXT) | instid1(VALU_DEP_3)
	v_add_f64 v[34:35], v[34:35], -v[36:37]
	v_add_f64 v[54:55], v[112:113], v[48:49]
	s_delay_alu instid0(VALU_DEP_3) | instskip(NEXT) | instid1(VALU_DEP_3)
	v_mul_f64 v[131:132], v[129:130], s[16:17]
	v_ldexp_f64 v[34:35], v[34:35], 1
	s_delay_alu instid0(VALU_DEP_3) | instskip(NEXT) | instid1(VALU_DEP_3)
	v_add_f64 v[36:37], v[54:55], -v[112:113]
	v_fma_f64 v[112:113], v[129:130], s[16:17], -v[131:132]
	s_delay_alu instid0(VALU_DEP_2) | instskip(NEXT) | instid1(VALU_DEP_2)
	v_add_f64 v[36:37], v[48:49], -v[36:37]
	v_fma_f64 v[48:49], v[129:130], s[18:19], v[112:113]
	s_delay_alu instid0(VALU_DEP_2) | instskip(NEXT) | instid1(VALU_DEP_2)
	v_add_f64 v[34:35], v[34:35], v[36:37]
	v_add_f64 v[36:37], v[131:132], v[48:49]
	s_delay_alu instid0(VALU_DEP_2) | instskip(NEXT) | instid1(VALU_DEP_2)
	v_add_f64 v[112:113], v[54:55], v[34:35]
	v_add_f64 v[131:132], v[36:37], -v[131:132]
	s_delay_alu instid0(VALU_DEP_2) | instskip(SKIP_1) | instid1(VALU_DEP_3)
	v_add_f64 v[129:130], v[36:37], v[112:113]
	v_add_f64 v[54:55], v[112:113], -v[54:55]
	v_add_f64 v[48:49], v[48:49], -v[131:132]
	s_delay_alu instid0(VALU_DEP_3) | instskip(NEXT) | instid1(VALU_DEP_3)
	v_add_f64 v[133:134], v[129:130], -v[36:37]
	v_add_f64 v[34:35], v[34:35], -v[54:55]
	s_delay_alu instid0(VALU_DEP_2) | instskip(SKIP_1) | instid1(VALU_DEP_3)
	v_add_f64 v[144:145], v[129:130], -v[133:134]
	v_add_f64 v[54:55], v[112:113], -v[133:134]
	v_add_f64 v[112:113], v[48:49], v[34:35]
	s_delay_alu instid0(VALU_DEP_3) | instskip(NEXT) | instid1(VALU_DEP_1)
	v_add_f64 v[36:37], v[36:37], -v[144:145]
	v_add_f64 v[36:37], v[54:55], v[36:37]
	s_delay_alu instid0(VALU_DEP_3) | instskip(NEXT) | instid1(VALU_DEP_2)
	v_add_f64 v[54:55], v[112:113], -v[48:49]
	v_add_f64 v[36:37], v[112:113], v[36:37]
	s_delay_alu instid0(VALU_DEP_2) | instskip(SKIP_1) | instid1(VALU_DEP_3)
	v_add_f64 v[112:113], v[112:113], -v[54:55]
	v_add_f64 v[34:35], v[34:35], -v[54:55]
	v_add_f64 v[131:132], v[129:130], v[36:37]
	s_delay_alu instid0(VALU_DEP_3) | instskip(NEXT) | instid1(VALU_DEP_2)
	v_add_f64 v[48:49], v[48:49], -v[112:113]
	v_add_f64 v[54:55], v[131:132], -v[129:130]
	s_delay_alu instid0(VALU_DEP_2) | instskip(NEXT) | instid1(VALU_DEP_2)
	v_add_f64 v[34:35], v[34:35], v[48:49]
	v_add_f64 v[36:37], v[36:37], -v[54:55]
	s_delay_alu instid0(VALU_DEP_1) | instskip(NEXT) | instid1(VALU_DEP_1)
	v_add_f64 v[34:35], v[34:35], v[36:37]
	v_add_f64 v[34:35], v[131:132], v[34:35]
	s_delay_alu instid0(VALU_DEP_1) | instskip(SKIP_1) | instid1(VALU_DEP_2)
	v_dual_cndmask_b32 v35, v35, v5 :: v_dual_cndmask_b32 v34, v34, v4
	v_cmp_ngt_f64_e32 vcc_lo, -1.0, v[4:5]
	v_cndmask_b32_e32 v35, 0x7ff80000, v35, vcc_lo
	v_cmp_nge_f64_e32 vcc_lo, -1.0, v[4:5]
	s_delay_alu instid0(VALU_DEP_4) | instskip(SKIP_1) | instid1(VALU_DEP_4)
	v_cndmask_b32_e32 v34, 0, v34, vcc_lo
	v_cmp_neq_f64_e32 vcc_lo, -1.0, v[4:5]
	v_cndmask_b32_e32 v35, 0xfff00000, v35, vcc_lo
	s_delay_alu instid0(VALU_DEP_1)
	v_add_f64 v[4:5], v[32:33], v[34:35]
.LBB8_336:
	s_or_b32 exec_lo, exec_lo, s2
	s_delay_alu instid0(VALU_DEP_1) | instskip(SKIP_1) | instid1(VALU_DEP_2)
	v_max_f64 v[32:33], v[4:5], v[4:5]
	v_cmp_u_f64_e32 vcc_lo, v[4:5], v[4:5]
	v_min_f64 v[34:35], v[32:33], v[6:7]
	v_max_f64 v[6:7], v[32:33], v[6:7]
	s_delay_alu instid0(VALU_DEP_2) | instskip(NEXT) | instid1(VALU_DEP_2)
	v_dual_cndmask_b32 v32, v34, v4 :: v_dual_cndmask_b32 v33, v35, v5
	v_dual_cndmask_b32 v7, v7, v5 :: v_dual_cndmask_b32 v6, v6, v4
	s_delay_alu instid0(VALU_DEP_2) | instskip(NEXT) | instid1(VALU_DEP_3)
	v_cndmask_b32_e64 v34, v32, v114, s3
	v_cndmask_b32_e64 v35, v33, v115, s3
	s_delay_alu instid0(VALU_DEP_3) | instskip(NEXT) | instid1(VALU_DEP_4)
	v_cndmask_b32_e64 v33, v7, v115, s3
	v_cndmask_b32_e64 v32, v6, v114, s3
	v_dual_mov_b32 v7, v5 :: v_dual_mov_b32 v6, v4
	s_delay_alu instid0(VALU_DEP_4) | instskip(NEXT) | instid1(VALU_DEP_3)
	v_cmp_class_f64_e64 s1, v[34:35], 0x1f8
	v_cmp_neq_f64_e32 vcc_lo, v[34:35], v[32:33]
	s_delay_alu instid0(VALU_DEP_2) | instskip(NEXT) | instid1(SALU_CYCLE_1)
	s_or_b32 s1, vcc_lo, s1
	s_and_saveexec_b32 s20, s1
	s_cbranch_execz .LBB8_338
; %bb.337:
	v_add_f64 v[6:7], v[34:35], -v[32:33]
	s_mov_b32 s2, 0x652b82fe
	s_mov_b32 s3, 0x3ff71547
	;; [unrolled: 1-line block ×10, first 2 shown]
	s_delay_alu instid0(VALU_DEP_1) | instskip(SKIP_4) | instid1(VALU_DEP_3)
	v_mul_f64 v[34:35], v[6:7], s[2:3]
	s_mov_b32 s3, 0xbfe62e42
	s_mov_b32 s2, 0xfefa39ef
	v_cmp_nlt_f64_e32 vcc_lo, 0x40900000, v[6:7]
	v_cmp_ngt_f64_e64 s1, 0xc090cc00, v[6:7]
	v_rndne_f64_e32 v[34:35], v[34:35]
	s_delay_alu instid0(VALU_DEP_1) | instskip(SKIP_2) | instid1(VALU_DEP_2)
	v_fma_f64 v[36:37], v[34:35], s[2:3], v[6:7]
	v_cvt_i32_f64_e32 v54, v[34:35]
	s_mov_b32 s3, 0x3fe62e42
	v_fma_f64 v[36:37], v[34:35], s[16:17], v[36:37]
	s_mov_b32 s17, 0x3c7abc9e
	s_waitcnt lgkmcnt(0)
	s_delay_alu instid0(VALU_DEP_1) | instskip(SKIP_4) | instid1(VALU_DEP_1)
	v_fma_f64 v[48:49], v[36:37], s[24:25], s[18:19]
	s_mov_b32 s18, 0x623fde64
	s_mov_b32 s19, 0x3ec71dee
	;; [unrolled: 1-line block ×4, first 2 shown]
	v_fma_f64 v[48:49], v[36:37], v[48:49], s[18:19]
	s_mov_b32 s18, 0x7c89e6b0
	s_mov_b32 s19, 0x3efa0199
	s_delay_alu instid0(VALU_DEP_1) | instid1(SALU_CYCLE_1)
	v_fma_f64 v[48:49], v[36:37], v[48:49], s[18:19]
	s_mov_b32 s18, 0x14761f6e
	s_mov_b32 s19, 0x3f2a01a0
	s_delay_alu instid0(VALU_DEP_1) | instid1(SALU_CYCLE_1)
	;; [unrolled: 4-line block ×7, first 2 shown]
	v_fma_f64 v[48:49], v[36:37], v[48:49], s[18:19]
	s_mov_b32 s19, 0x3fe55555
	s_mov_b32 s18, 0x55555555
	s_delay_alu instid0(VALU_DEP_1) | instskip(NEXT) | instid1(VALU_DEP_1)
	v_fma_f64 v[48:49], v[36:37], v[48:49], 1.0
	v_fma_f64 v[34:35], v[36:37], v[48:49], 1.0
	s_delay_alu instid0(VALU_DEP_1) | instskip(NEXT) | instid1(VALU_DEP_1)
	v_ldexp_f64 v[34:35], v[34:35], v54
	v_cndmask_b32_e32 v35, 0x7ff00000, v35, vcc_lo
	s_and_b32 vcc_lo, s1, vcc_lo
	s_delay_alu instid0(VALU_DEP_1) | instskip(NEXT) | instid1(VALU_DEP_3)
	v_cndmask_b32_e64 v7, 0, v35, s1
	v_cndmask_b32_e32 v6, 0, v34, vcc_lo
	s_delay_alu instid0(VALU_DEP_1) | instskip(NEXT) | instid1(VALU_DEP_1)
	v_add_f64 v[34:35], v[6:7], 1.0
	v_frexp_mant_f64_e32 v[36:37], v[34:35]
	v_frexp_exp_i32_f64_e32 v54, v[34:35]
	v_add_f64 v[48:49], v[34:35], -1.0
	s_delay_alu instid0(VALU_DEP_3) | instskip(SKIP_1) | instid1(VALU_DEP_2)
	v_cmp_gt_f64_e32 vcc_lo, s[18:19], v[36:37]
	s_mov_b32 s18, 0x55555780
	v_add_f64 v[36:37], v[48:49], -v[34:35]
	v_add_f64 v[48:49], v[6:7], -v[48:49]
	v_subrev_co_ci_u32_e32 v148, vcc_lo, 0, v54, vcc_lo
	s_delay_alu instid0(VALU_DEP_3) | instskip(SKIP_1) | instid1(VALU_DEP_3)
	v_add_f64 v[36:37], v[36:37], 1.0
	v_cmp_eq_f64_e32 vcc_lo, 0x7ff00000, v[6:7]
	v_sub_nc_u32_e32 v112, 0, v148
	s_delay_alu instid0(VALU_DEP_1) | instskip(NEXT) | instid1(VALU_DEP_4)
	v_ldexp_f64 v[34:35], v[34:35], v112
	v_add_f64 v[36:37], v[48:49], v[36:37]
	s_delay_alu instid0(VALU_DEP_2) | instskip(SKIP_1) | instid1(VALU_DEP_3)
	v_add_f64 v[54:55], v[34:35], 1.0
	v_add_f64 v[129:130], v[34:35], -1.0
	v_ldexp_f64 v[36:37], v[36:37], v112
	s_delay_alu instid0(VALU_DEP_3) | instskip(NEXT) | instid1(VALU_DEP_3)
	v_add_f64 v[48:49], v[54:55], -1.0
	v_add_f64 v[131:132], v[129:130], 1.0
	s_delay_alu instid0(VALU_DEP_2) | instskip(NEXT) | instid1(VALU_DEP_2)
	v_add_f64 v[48:49], v[34:35], -v[48:49]
	v_add_f64 v[34:35], v[34:35], -v[131:132]
	s_delay_alu instid0(VALU_DEP_2) | instskip(NEXT) | instid1(VALU_DEP_2)
	v_add_f64 v[48:49], v[36:37], v[48:49]
	v_add_f64 v[34:35], v[36:37], v[34:35]
	s_delay_alu instid0(VALU_DEP_2) | instskip(NEXT) | instid1(VALU_DEP_2)
	v_add_f64 v[112:113], v[54:55], v[48:49]
	v_add_f64 v[131:132], v[129:130], v[34:35]
	s_delay_alu instid0(VALU_DEP_2) | instskip(SKIP_1) | instid1(VALU_DEP_2)
	v_rcp_f64_e32 v[114:115], v[112:113]
	v_add_f64 v[54:55], v[112:113], -v[54:55]
	v_add_f64 v[129:130], v[131:132], -v[129:130]
	s_delay_alu instid0(VALU_DEP_2) | instskip(SKIP_3) | instid1(VALU_DEP_2)
	v_add_f64 v[48:49], v[48:49], -v[54:55]
	s_waitcnt_depctr 0xfff
	v_fma_f64 v[133:134], -v[112:113], v[114:115], 1.0
	v_add_f64 v[34:35], v[34:35], -v[129:130]
	v_fma_f64 v[114:115], v[133:134], v[114:115], v[114:115]
	s_delay_alu instid0(VALU_DEP_1) | instskip(NEXT) | instid1(VALU_DEP_1)
	v_fma_f64 v[36:37], -v[112:113], v[114:115], 1.0
	v_fma_f64 v[36:37], v[36:37], v[114:115], v[114:115]
	s_delay_alu instid0(VALU_DEP_1) | instskip(NEXT) | instid1(VALU_DEP_1)
	v_mul_f64 v[114:115], v[131:132], v[36:37]
	v_mul_f64 v[133:134], v[112:113], v[114:115]
	s_delay_alu instid0(VALU_DEP_1) | instskip(NEXT) | instid1(VALU_DEP_1)
	v_fma_f64 v[54:55], v[114:115], v[112:113], -v[133:134]
	v_fma_f64 v[54:55], v[114:115], v[48:49], v[54:55]
	s_delay_alu instid0(VALU_DEP_1) | instskip(NEXT) | instid1(VALU_DEP_1)
	v_add_f64 v[144:145], v[133:134], v[54:55]
	v_add_f64 v[146:147], v[131:132], -v[144:145]
	v_add_f64 v[129:130], v[144:145], -v[133:134]
	s_delay_alu instid0(VALU_DEP_2) | instskip(NEXT) | instid1(VALU_DEP_2)
	v_add_f64 v[131:132], v[131:132], -v[146:147]
	v_add_f64 v[54:55], v[129:130], -v[54:55]
	s_delay_alu instid0(VALU_DEP_2) | instskip(NEXT) | instid1(VALU_DEP_1)
	v_add_f64 v[131:132], v[131:132], -v[144:145]
	v_add_f64 v[34:35], v[34:35], v[131:132]
	s_delay_alu instid0(VALU_DEP_1) | instskip(NEXT) | instid1(VALU_DEP_1)
	v_add_f64 v[34:35], v[54:55], v[34:35]
	v_add_f64 v[54:55], v[146:147], v[34:35]
	s_delay_alu instid0(VALU_DEP_1) | instskip(SKIP_1) | instid1(VALU_DEP_2)
	v_mul_f64 v[129:130], v[36:37], v[54:55]
	v_add_f64 v[144:145], v[146:147], -v[54:55]
	v_mul_f64 v[131:132], v[112:113], v[129:130]
	s_delay_alu instid0(VALU_DEP_2) | instskip(NEXT) | instid1(VALU_DEP_2)
	v_add_f64 v[34:35], v[34:35], v[144:145]
	v_fma_f64 v[112:113], v[129:130], v[112:113], -v[131:132]
	s_delay_alu instid0(VALU_DEP_1) | instskip(NEXT) | instid1(VALU_DEP_1)
	v_fma_f64 v[48:49], v[129:130], v[48:49], v[112:113]
	v_add_f64 v[112:113], v[131:132], v[48:49]
	s_delay_alu instid0(VALU_DEP_1) | instskip(SKIP_1) | instid1(VALU_DEP_2)
	v_add_f64 v[133:134], v[54:55], -v[112:113]
	v_add_f64 v[131:132], v[112:113], -v[131:132]
	;; [unrolled: 1-line block ×3, first 2 shown]
	s_delay_alu instid0(VALU_DEP_2) | instskip(NEXT) | instid1(VALU_DEP_2)
	v_add_f64 v[48:49], v[131:132], -v[48:49]
	v_add_f64 v[54:55], v[54:55], -v[112:113]
	s_delay_alu instid0(VALU_DEP_1) | instskip(SKIP_1) | instid1(VALU_DEP_2)
	v_add_f64 v[34:35], v[34:35], v[54:55]
	v_add_f64 v[54:55], v[114:115], v[129:130]
	;; [unrolled: 1-line block ×3, first 2 shown]
	s_delay_alu instid0(VALU_DEP_2) | instskip(NEXT) | instid1(VALU_DEP_2)
	v_add_f64 v[48:49], v[54:55], -v[114:115]
	v_add_f64 v[34:35], v[133:134], v[34:35]
	s_delay_alu instid0(VALU_DEP_2) | instskip(NEXT) | instid1(VALU_DEP_2)
	v_add_f64 v[48:49], v[129:130], -v[48:49]
	v_mul_f64 v[34:35], v[36:37], v[34:35]
	s_delay_alu instid0(VALU_DEP_1) | instskip(NEXT) | instid1(VALU_DEP_1)
	v_add_f64 v[34:35], v[48:49], v[34:35]
	v_add_f64 v[36:37], v[54:55], v[34:35]
	s_delay_alu instid0(VALU_DEP_1) | instskip(NEXT) | instid1(VALU_DEP_1)
	v_mul_f64 v[48:49], v[36:37], v[36:37]
	v_fma_f64 v[112:113], v[48:49], s[26:27], s[24:25]
	s_mov_b32 s24, 0xd7f4df2e
	s_mov_b32 s25, 0x3fc7474d
	v_mul_f64 v[114:115], v[36:37], v[48:49]
	s_delay_alu instid0(VALU_DEP_2)
	v_fma_f64 v[112:113], v[48:49], v[112:113], s[24:25]
	s_mov_b32 s24, 0x16291751
	s_mov_b32 s25, 0x3fcc71c0
	s_delay_alu instid0(VALU_DEP_1) | instid1(SALU_CYCLE_1)
	v_fma_f64 v[112:113], v[48:49], v[112:113], s[24:25]
	s_mov_b32 s24, 0x9b27acf1
	s_mov_b32 s25, 0x3fd24924
	s_delay_alu instid0(VALU_DEP_1) | instid1(SALU_CYCLE_1)
	;; [unrolled: 4-line block ×3, first 2 shown]
	v_fma_f64 v[112:113], v[48:49], v[112:113], s[24:25]
	s_delay_alu instid0(VALU_DEP_1) | instskip(SKIP_2) | instid1(VALU_DEP_3)
	v_fma_f64 v[48:49], v[48:49], v[112:113], s[18:19]
	v_ldexp_f64 v[112:113], v[36:37], 1
	v_add_f64 v[36:37], v[36:37], -v[54:55]
	v_mul_f64 v[48:49], v[114:115], v[48:49]
	v_cvt_f64_i32_e32 v[114:115], v148
	s_delay_alu instid0(VALU_DEP_3) | instskip(NEXT) | instid1(VALU_DEP_3)
	v_add_f64 v[34:35], v[34:35], -v[36:37]
	v_add_f64 v[54:55], v[112:113], v[48:49]
	s_delay_alu instid0(VALU_DEP_3) | instskip(NEXT) | instid1(VALU_DEP_3)
	v_mul_f64 v[129:130], v[114:115], s[2:3]
	v_ldexp_f64 v[34:35], v[34:35], 1
	s_delay_alu instid0(VALU_DEP_3) | instskip(NEXT) | instid1(VALU_DEP_3)
	v_add_f64 v[36:37], v[54:55], -v[112:113]
	v_fma_f64 v[112:113], v[114:115], s[2:3], -v[129:130]
	s_delay_alu instid0(VALU_DEP_2) | instskip(NEXT) | instid1(VALU_DEP_2)
	v_add_f64 v[36:37], v[48:49], -v[36:37]
	v_fma_f64 v[48:49], v[114:115], s[16:17], v[112:113]
	s_delay_alu instid0(VALU_DEP_2) | instskip(NEXT) | instid1(VALU_DEP_2)
	v_add_f64 v[34:35], v[34:35], v[36:37]
	v_add_f64 v[36:37], v[129:130], v[48:49]
	s_delay_alu instid0(VALU_DEP_2) | instskip(NEXT) | instid1(VALU_DEP_2)
	v_add_f64 v[112:113], v[54:55], v[34:35]
	v_add_f64 v[129:130], v[36:37], -v[129:130]
	s_delay_alu instid0(VALU_DEP_2) | instskip(SKIP_1) | instid1(VALU_DEP_3)
	v_add_f64 v[114:115], v[36:37], v[112:113]
	v_add_f64 v[54:55], v[112:113], -v[54:55]
	v_add_f64 v[48:49], v[48:49], -v[129:130]
	s_delay_alu instid0(VALU_DEP_3) | instskip(NEXT) | instid1(VALU_DEP_3)
	v_add_f64 v[131:132], v[114:115], -v[36:37]
	v_add_f64 v[34:35], v[34:35], -v[54:55]
	s_delay_alu instid0(VALU_DEP_2) | instskip(SKIP_1) | instid1(VALU_DEP_3)
	v_add_f64 v[133:134], v[114:115], -v[131:132]
	v_add_f64 v[54:55], v[112:113], -v[131:132]
	v_add_f64 v[112:113], v[48:49], v[34:35]
	s_delay_alu instid0(VALU_DEP_3) | instskip(NEXT) | instid1(VALU_DEP_1)
	v_add_f64 v[36:37], v[36:37], -v[133:134]
	v_add_f64 v[36:37], v[54:55], v[36:37]
	s_delay_alu instid0(VALU_DEP_3) | instskip(NEXT) | instid1(VALU_DEP_2)
	v_add_f64 v[54:55], v[112:113], -v[48:49]
	v_add_f64 v[36:37], v[112:113], v[36:37]
	s_delay_alu instid0(VALU_DEP_2) | instskip(SKIP_1) | instid1(VALU_DEP_3)
	v_add_f64 v[112:113], v[112:113], -v[54:55]
	v_add_f64 v[34:35], v[34:35], -v[54:55]
	v_add_f64 v[129:130], v[114:115], v[36:37]
	s_delay_alu instid0(VALU_DEP_3) | instskip(NEXT) | instid1(VALU_DEP_2)
	v_add_f64 v[48:49], v[48:49], -v[112:113]
	v_add_f64 v[54:55], v[129:130], -v[114:115]
	s_delay_alu instid0(VALU_DEP_2) | instskip(NEXT) | instid1(VALU_DEP_2)
	v_add_f64 v[34:35], v[34:35], v[48:49]
	v_add_f64 v[36:37], v[36:37], -v[54:55]
	s_delay_alu instid0(VALU_DEP_1) | instskip(NEXT) | instid1(VALU_DEP_1)
	v_add_f64 v[34:35], v[34:35], v[36:37]
	v_add_f64 v[34:35], v[129:130], v[34:35]
	s_delay_alu instid0(VALU_DEP_1) | instskip(SKIP_1) | instid1(VALU_DEP_2)
	v_dual_cndmask_b32 v35, v35, v7 :: v_dual_cndmask_b32 v34, v34, v6
	v_cmp_ngt_f64_e32 vcc_lo, -1.0, v[6:7]
	v_cndmask_b32_e32 v35, 0x7ff80000, v35, vcc_lo
	v_cmp_nge_f64_e32 vcc_lo, -1.0, v[6:7]
	s_delay_alu instid0(VALU_DEP_4) | instskip(SKIP_1) | instid1(VALU_DEP_4)
	v_cndmask_b32_e32 v34, 0, v34, vcc_lo
	v_cmp_neq_f64_e32 vcc_lo, -1.0, v[6:7]
	v_cndmask_b32_e32 v35, 0xfff00000, v35, vcc_lo
	s_delay_alu instid0(VALU_DEP_1)
	v_add_f64 v[6:7], v[32:33], v[34:35]
.LBB8_338:
	s_or_b32 exec_lo, exec_lo, s20
	s_delay_alu instid0(VALU_DEP_1) | instskip(SKIP_1) | instid1(VALU_DEP_2)
	v_max_f64 v[32:33], v[6:7], v[6:7]
	v_cmp_u_f64_e32 vcc_lo, v[6:7], v[6:7]
	v_min_f64 v[34:35], v[32:33], v[8:9]
	v_max_f64 v[8:9], v[32:33], v[8:9]
	s_delay_alu instid0(VALU_DEP_2) | instskip(NEXT) | instid1(VALU_DEP_2)
	v_dual_cndmask_b32 v32, v34, v6 :: v_dual_cndmask_b32 v33, v35, v7
	v_dual_cndmask_b32 v9, v9, v7 :: v_dual_cndmask_b32 v8, v8, v6
	s_delay_alu instid0(VALU_DEP_2) | instskip(NEXT) | instid1(VALU_DEP_3)
	v_cndmask_b32_e64 v34, v32, v100, s4
	v_cndmask_b32_e64 v35, v33, v101, s4
	s_delay_alu instid0(VALU_DEP_3) | instskip(NEXT) | instid1(VALU_DEP_4)
	v_cndmask_b32_e64 v33, v9, v101, s4
	v_cndmask_b32_e64 v32, v8, v100, s4
	v_dual_mov_b32 v9, v7 :: v_dual_mov_b32 v8, v6
	s_delay_alu instid0(VALU_DEP_4) | instskip(NEXT) | instid1(VALU_DEP_3)
	v_cmp_class_f64_e64 s1, v[34:35], 0x1f8
	v_cmp_neq_f64_e32 vcc_lo, v[34:35], v[32:33]
	s_delay_alu instid0(VALU_DEP_2) | instskip(NEXT) | instid1(SALU_CYCLE_1)
	s_or_b32 s1, vcc_lo, s1
	s_and_saveexec_b32 s4, s1
	s_cbranch_execz .LBB8_340
; %bb.339:
	v_add_f64 v[8:9], v[34:35], -v[32:33]
	s_mov_b32 s2, 0x652b82fe
	s_mov_b32 s3, 0x3ff71547
	;; [unrolled: 1-line block ×10, first 2 shown]
	s_delay_alu instid0(VALU_DEP_1) | instskip(SKIP_4) | instid1(VALU_DEP_3)
	v_mul_f64 v[34:35], v[8:9], s[2:3]
	s_mov_b32 s3, 0xbfe62e42
	s_mov_b32 s2, 0xfefa39ef
	v_cmp_nlt_f64_e32 vcc_lo, 0x40900000, v[8:9]
	v_cmp_ngt_f64_e64 s1, 0xc090cc00, v[8:9]
	v_rndne_f64_e32 v[34:35], v[34:35]
	s_delay_alu instid0(VALU_DEP_1) | instskip(SKIP_2) | instid1(VALU_DEP_2)
	v_fma_f64 v[36:37], v[34:35], s[2:3], v[8:9]
	v_cvt_i32_f64_e32 v54, v[34:35]
	s_mov_b32 s3, 0x3fe62e42
	v_fma_f64 v[36:37], v[34:35], s[16:17], v[36:37]
	s_mov_b32 s17, 0x3c7abc9e
	s_waitcnt lgkmcnt(0)
	s_delay_alu instid0(VALU_DEP_1) | instskip(SKIP_4) | instid1(VALU_DEP_1)
	v_fma_f64 v[48:49], v[36:37], s[20:21], s[18:19]
	s_mov_b32 s18, 0x623fde64
	s_mov_b32 s19, 0x3ec71dee
	;; [unrolled: 1-line block ×4, first 2 shown]
	v_fma_f64 v[48:49], v[36:37], v[48:49], s[18:19]
	s_mov_b32 s18, 0x7c89e6b0
	s_mov_b32 s19, 0x3efa0199
	s_delay_alu instid0(VALU_DEP_1) | instid1(SALU_CYCLE_1)
	v_fma_f64 v[48:49], v[36:37], v[48:49], s[18:19]
	s_mov_b32 s18, 0x14761f6e
	s_mov_b32 s19, 0x3f2a01a0
	s_delay_alu instid0(VALU_DEP_1) | instid1(SALU_CYCLE_1)
	;; [unrolled: 4-line block ×7, first 2 shown]
	v_fma_f64 v[48:49], v[36:37], v[48:49], s[18:19]
	s_mov_b32 s19, 0x3fe55555
	s_mov_b32 s18, 0x55555555
	s_delay_alu instid0(VALU_DEP_1) | instskip(NEXT) | instid1(VALU_DEP_1)
	v_fma_f64 v[48:49], v[36:37], v[48:49], 1.0
	v_fma_f64 v[34:35], v[36:37], v[48:49], 1.0
	s_delay_alu instid0(VALU_DEP_1) | instskip(NEXT) | instid1(VALU_DEP_1)
	v_ldexp_f64 v[34:35], v[34:35], v54
	v_cndmask_b32_e32 v35, 0x7ff00000, v35, vcc_lo
	s_and_b32 vcc_lo, s1, vcc_lo
	s_delay_alu instid0(VALU_DEP_1) | instskip(NEXT) | instid1(VALU_DEP_3)
	v_cndmask_b32_e64 v9, 0, v35, s1
	v_cndmask_b32_e32 v8, 0, v34, vcc_lo
	s_delay_alu instid0(VALU_DEP_1) | instskip(NEXT) | instid1(VALU_DEP_1)
	v_add_f64 v[34:35], v[8:9], 1.0
	v_frexp_mant_f64_e32 v[36:37], v[34:35]
	v_frexp_exp_i32_f64_e32 v54, v[34:35]
	v_add_f64 v[48:49], v[34:35], -1.0
	s_delay_alu instid0(VALU_DEP_3) | instskip(SKIP_1) | instid1(VALU_DEP_2)
	v_cmp_gt_f64_e32 vcc_lo, s[18:19], v[36:37]
	s_mov_b32 s18, 0x55555780
	v_add_f64 v[36:37], v[48:49], -v[34:35]
	v_add_f64 v[48:49], v[8:9], -v[48:49]
	v_subrev_co_ci_u32_e32 v146, vcc_lo, 0, v54, vcc_lo
	s_delay_alu instid0(VALU_DEP_3) | instskip(SKIP_1) | instid1(VALU_DEP_3)
	v_add_f64 v[36:37], v[36:37], 1.0
	v_cmp_eq_f64_e32 vcc_lo, 0x7ff00000, v[8:9]
	v_sub_nc_u32_e32 v100, 0, v146
	s_delay_alu instid0(VALU_DEP_1) | instskip(NEXT) | instid1(VALU_DEP_4)
	v_ldexp_f64 v[34:35], v[34:35], v100
	v_add_f64 v[36:37], v[48:49], v[36:37]
	s_delay_alu instid0(VALU_DEP_2) | instskip(SKIP_1) | instid1(VALU_DEP_3)
	v_add_f64 v[54:55], v[34:35], 1.0
	v_add_f64 v[114:115], v[34:35], -1.0
	v_ldexp_f64 v[36:37], v[36:37], v100
	s_delay_alu instid0(VALU_DEP_3) | instskip(NEXT) | instid1(VALU_DEP_3)
	v_add_f64 v[48:49], v[54:55], -1.0
	v_add_f64 v[129:130], v[114:115], 1.0
	s_delay_alu instid0(VALU_DEP_2) | instskip(NEXT) | instid1(VALU_DEP_2)
	v_add_f64 v[48:49], v[34:35], -v[48:49]
	v_add_f64 v[34:35], v[34:35], -v[129:130]
	s_delay_alu instid0(VALU_DEP_2) | instskip(NEXT) | instid1(VALU_DEP_2)
	v_add_f64 v[48:49], v[36:37], v[48:49]
	v_add_f64 v[34:35], v[36:37], v[34:35]
	s_delay_alu instid0(VALU_DEP_2) | instskip(NEXT) | instid1(VALU_DEP_2)
	v_add_f64 v[100:101], v[54:55], v[48:49]
	v_add_f64 v[129:130], v[114:115], v[34:35]
	s_delay_alu instid0(VALU_DEP_2) | instskip(SKIP_1) | instid1(VALU_DEP_2)
	v_rcp_f64_e32 v[112:113], v[100:101]
	v_add_f64 v[54:55], v[100:101], -v[54:55]
	v_add_f64 v[114:115], v[129:130], -v[114:115]
	s_delay_alu instid0(VALU_DEP_2) | instskip(SKIP_3) | instid1(VALU_DEP_2)
	v_add_f64 v[48:49], v[48:49], -v[54:55]
	s_waitcnt_depctr 0xfff
	v_fma_f64 v[131:132], -v[100:101], v[112:113], 1.0
	v_add_f64 v[34:35], v[34:35], -v[114:115]
	v_fma_f64 v[112:113], v[131:132], v[112:113], v[112:113]
	s_delay_alu instid0(VALU_DEP_1) | instskip(NEXT) | instid1(VALU_DEP_1)
	v_fma_f64 v[36:37], -v[100:101], v[112:113], 1.0
	v_fma_f64 v[36:37], v[36:37], v[112:113], v[112:113]
	s_delay_alu instid0(VALU_DEP_1) | instskip(NEXT) | instid1(VALU_DEP_1)
	v_mul_f64 v[112:113], v[129:130], v[36:37]
	v_mul_f64 v[131:132], v[100:101], v[112:113]
	s_delay_alu instid0(VALU_DEP_1) | instskip(NEXT) | instid1(VALU_DEP_1)
	v_fma_f64 v[54:55], v[112:113], v[100:101], -v[131:132]
	v_fma_f64 v[54:55], v[112:113], v[48:49], v[54:55]
	s_delay_alu instid0(VALU_DEP_1) | instskip(NEXT) | instid1(VALU_DEP_1)
	v_add_f64 v[133:134], v[131:132], v[54:55]
	v_add_f64 v[144:145], v[129:130], -v[133:134]
	v_add_f64 v[114:115], v[133:134], -v[131:132]
	s_delay_alu instid0(VALU_DEP_2) | instskip(NEXT) | instid1(VALU_DEP_2)
	v_add_f64 v[129:130], v[129:130], -v[144:145]
	v_add_f64 v[54:55], v[114:115], -v[54:55]
	s_delay_alu instid0(VALU_DEP_2) | instskip(NEXT) | instid1(VALU_DEP_1)
	v_add_f64 v[129:130], v[129:130], -v[133:134]
	v_add_f64 v[34:35], v[34:35], v[129:130]
	s_delay_alu instid0(VALU_DEP_1) | instskip(NEXT) | instid1(VALU_DEP_1)
	v_add_f64 v[34:35], v[54:55], v[34:35]
	v_add_f64 v[54:55], v[144:145], v[34:35]
	s_delay_alu instid0(VALU_DEP_1) | instskip(SKIP_1) | instid1(VALU_DEP_2)
	v_mul_f64 v[114:115], v[36:37], v[54:55]
	v_add_f64 v[133:134], v[144:145], -v[54:55]
	v_mul_f64 v[129:130], v[100:101], v[114:115]
	s_delay_alu instid0(VALU_DEP_2) | instskip(NEXT) | instid1(VALU_DEP_2)
	v_add_f64 v[34:35], v[34:35], v[133:134]
	v_fma_f64 v[100:101], v[114:115], v[100:101], -v[129:130]
	s_delay_alu instid0(VALU_DEP_1) | instskip(NEXT) | instid1(VALU_DEP_1)
	v_fma_f64 v[48:49], v[114:115], v[48:49], v[100:101]
	v_add_f64 v[100:101], v[129:130], v[48:49]
	s_delay_alu instid0(VALU_DEP_1) | instskip(SKIP_1) | instid1(VALU_DEP_2)
	v_add_f64 v[131:132], v[54:55], -v[100:101]
	v_add_f64 v[129:130], v[100:101], -v[129:130]
	;; [unrolled: 1-line block ×3, first 2 shown]
	s_delay_alu instid0(VALU_DEP_2) | instskip(NEXT) | instid1(VALU_DEP_2)
	v_add_f64 v[48:49], v[129:130], -v[48:49]
	v_add_f64 v[54:55], v[54:55], -v[100:101]
	s_delay_alu instid0(VALU_DEP_1) | instskip(SKIP_1) | instid1(VALU_DEP_2)
	v_add_f64 v[34:35], v[34:35], v[54:55]
	v_add_f64 v[54:55], v[112:113], v[114:115]
	;; [unrolled: 1-line block ×3, first 2 shown]
	s_delay_alu instid0(VALU_DEP_2) | instskip(NEXT) | instid1(VALU_DEP_2)
	v_add_f64 v[48:49], v[54:55], -v[112:113]
	v_add_f64 v[34:35], v[131:132], v[34:35]
	s_delay_alu instid0(VALU_DEP_2) | instskip(NEXT) | instid1(VALU_DEP_2)
	v_add_f64 v[48:49], v[114:115], -v[48:49]
	v_mul_f64 v[34:35], v[36:37], v[34:35]
	s_delay_alu instid0(VALU_DEP_1) | instskip(NEXT) | instid1(VALU_DEP_1)
	v_add_f64 v[34:35], v[48:49], v[34:35]
	v_add_f64 v[36:37], v[54:55], v[34:35]
	s_delay_alu instid0(VALU_DEP_1) | instskip(NEXT) | instid1(VALU_DEP_1)
	v_mul_f64 v[48:49], v[36:37], v[36:37]
	v_fma_f64 v[100:101], v[48:49], s[24:25], s[20:21]
	s_mov_b32 s20, 0xd7f4df2e
	s_mov_b32 s21, 0x3fc7474d
	v_mul_f64 v[112:113], v[36:37], v[48:49]
	s_delay_alu instid0(VALU_DEP_2)
	v_fma_f64 v[100:101], v[48:49], v[100:101], s[20:21]
	s_mov_b32 s20, 0x16291751
	s_mov_b32 s21, 0x3fcc71c0
	s_delay_alu instid0(VALU_DEP_1) | instid1(SALU_CYCLE_1)
	v_fma_f64 v[100:101], v[48:49], v[100:101], s[20:21]
	s_mov_b32 s20, 0x9b27acf1
	s_mov_b32 s21, 0x3fd24924
	s_delay_alu instid0(VALU_DEP_1) | instid1(SALU_CYCLE_1)
	;; [unrolled: 4-line block ×3, first 2 shown]
	v_fma_f64 v[100:101], v[48:49], v[100:101], s[20:21]
	s_delay_alu instid0(VALU_DEP_1) | instskip(SKIP_2) | instid1(VALU_DEP_3)
	v_fma_f64 v[48:49], v[48:49], v[100:101], s[18:19]
	v_ldexp_f64 v[100:101], v[36:37], 1
	v_add_f64 v[36:37], v[36:37], -v[54:55]
	v_mul_f64 v[48:49], v[112:113], v[48:49]
	v_cvt_f64_i32_e32 v[112:113], v146
	s_delay_alu instid0(VALU_DEP_3) | instskip(NEXT) | instid1(VALU_DEP_3)
	v_add_f64 v[34:35], v[34:35], -v[36:37]
	v_add_f64 v[54:55], v[100:101], v[48:49]
	s_delay_alu instid0(VALU_DEP_3) | instskip(NEXT) | instid1(VALU_DEP_3)
	v_mul_f64 v[114:115], v[112:113], s[2:3]
	v_ldexp_f64 v[34:35], v[34:35], 1
	s_delay_alu instid0(VALU_DEP_3) | instskip(NEXT) | instid1(VALU_DEP_3)
	v_add_f64 v[36:37], v[54:55], -v[100:101]
	v_fma_f64 v[100:101], v[112:113], s[2:3], -v[114:115]
	s_delay_alu instid0(VALU_DEP_2) | instskip(NEXT) | instid1(VALU_DEP_2)
	v_add_f64 v[36:37], v[48:49], -v[36:37]
	v_fma_f64 v[48:49], v[112:113], s[16:17], v[100:101]
	s_delay_alu instid0(VALU_DEP_2) | instskip(NEXT) | instid1(VALU_DEP_2)
	v_add_f64 v[34:35], v[34:35], v[36:37]
	v_add_f64 v[36:37], v[114:115], v[48:49]
	s_delay_alu instid0(VALU_DEP_2) | instskip(NEXT) | instid1(VALU_DEP_2)
	v_add_f64 v[100:101], v[54:55], v[34:35]
	v_add_f64 v[114:115], v[36:37], -v[114:115]
	s_delay_alu instid0(VALU_DEP_2) | instskip(SKIP_1) | instid1(VALU_DEP_3)
	v_add_f64 v[112:113], v[36:37], v[100:101]
	v_add_f64 v[54:55], v[100:101], -v[54:55]
	v_add_f64 v[48:49], v[48:49], -v[114:115]
	s_delay_alu instid0(VALU_DEP_3) | instskip(NEXT) | instid1(VALU_DEP_3)
	v_add_f64 v[129:130], v[112:113], -v[36:37]
	v_add_f64 v[34:35], v[34:35], -v[54:55]
	s_delay_alu instid0(VALU_DEP_2) | instskip(SKIP_1) | instid1(VALU_DEP_3)
	v_add_f64 v[131:132], v[112:113], -v[129:130]
	v_add_f64 v[54:55], v[100:101], -v[129:130]
	v_add_f64 v[100:101], v[48:49], v[34:35]
	s_delay_alu instid0(VALU_DEP_3) | instskip(NEXT) | instid1(VALU_DEP_1)
	v_add_f64 v[36:37], v[36:37], -v[131:132]
	v_add_f64 v[36:37], v[54:55], v[36:37]
	s_delay_alu instid0(VALU_DEP_3) | instskip(NEXT) | instid1(VALU_DEP_2)
	v_add_f64 v[54:55], v[100:101], -v[48:49]
	v_add_f64 v[36:37], v[100:101], v[36:37]
	s_delay_alu instid0(VALU_DEP_2) | instskip(SKIP_1) | instid1(VALU_DEP_3)
	v_add_f64 v[100:101], v[100:101], -v[54:55]
	v_add_f64 v[34:35], v[34:35], -v[54:55]
	v_add_f64 v[114:115], v[112:113], v[36:37]
	s_delay_alu instid0(VALU_DEP_3) | instskip(NEXT) | instid1(VALU_DEP_2)
	v_add_f64 v[48:49], v[48:49], -v[100:101]
	v_add_f64 v[54:55], v[114:115], -v[112:113]
	s_delay_alu instid0(VALU_DEP_2) | instskip(NEXT) | instid1(VALU_DEP_2)
	v_add_f64 v[34:35], v[34:35], v[48:49]
	v_add_f64 v[36:37], v[36:37], -v[54:55]
	s_delay_alu instid0(VALU_DEP_1) | instskip(NEXT) | instid1(VALU_DEP_1)
	v_add_f64 v[34:35], v[34:35], v[36:37]
	v_add_f64 v[34:35], v[114:115], v[34:35]
	s_delay_alu instid0(VALU_DEP_1) | instskip(SKIP_1) | instid1(VALU_DEP_2)
	v_dual_cndmask_b32 v35, v35, v9 :: v_dual_cndmask_b32 v34, v34, v8
	v_cmp_ngt_f64_e32 vcc_lo, -1.0, v[8:9]
	v_cndmask_b32_e32 v35, 0x7ff80000, v35, vcc_lo
	v_cmp_nge_f64_e32 vcc_lo, -1.0, v[8:9]
	s_delay_alu instid0(VALU_DEP_4) | instskip(SKIP_1) | instid1(VALU_DEP_4)
	v_cndmask_b32_e32 v34, 0, v34, vcc_lo
	v_cmp_neq_f64_e32 vcc_lo, -1.0, v[8:9]
	v_cndmask_b32_e32 v35, 0xfff00000, v35, vcc_lo
	s_delay_alu instid0(VALU_DEP_1)
	v_add_f64 v[8:9], v[32:33], v[34:35]
.LBB8_340:
	s_or_b32 exec_lo, exec_lo, s4
	s_delay_alu instid0(VALU_DEP_1) | instskip(SKIP_1) | instid1(VALU_DEP_2)
	v_max_f64 v[32:33], v[8:9], v[8:9]
	v_cmp_u_f64_e32 vcc_lo, v[8:9], v[8:9]
	v_min_f64 v[34:35], v[32:33], v[10:11]
	v_max_f64 v[10:11], v[32:33], v[10:11]
	s_delay_alu instid0(VALU_DEP_2) | instskip(NEXT) | instid1(VALU_DEP_2)
	v_dual_cndmask_b32 v32, v34, v8 :: v_dual_cndmask_b32 v33, v35, v9
	v_dual_cndmask_b32 v11, v11, v9 :: v_dual_cndmask_b32 v10, v10, v8
	s_delay_alu instid0(VALU_DEP_2) | instskip(NEXT) | instid1(VALU_DEP_3)
	v_cndmask_b32_e64 v34, v32, v102, s5
	v_cndmask_b32_e64 v35, v33, v103, s5
	s_delay_alu instid0(VALU_DEP_3) | instskip(NEXT) | instid1(VALU_DEP_4)
	v_cndmask_b32_e64 v33, v11, v103, s5
	v_cndmask_b32_e64 v32, v10, v102, s5
	v_dual_mov_b32 v11, v9 :: v_dual_mov_b32 v10, v8
	s_delay_alu instid0(VALU_DEP_4) | instskip(NEXT) | instid1(VALU_DEP_3)
	v_cmp_class_f64_e64 s1, v[34:35], 0x1f8
	v_cmp_neq_f64_e32 vcc_lo, v[34:35], v[32:33]
	s_delay_alu instid0(VALU_DEP_2) | instskip(NEXT) | instid1(SALU_CYCLE_1)
	s_or_b32 s1, vcc_lo, s1
	s_and_saveexec_b32 s18, s1
	s_cbranch_execz .LBB8_342
; %bb.341:
	v_add_f64 v[10:11], v[34:35], -v[32:33]
	s_mov_b32 s2, 0x652b82fe
	s_mov_b32 s3, 0x3ff71547
	;; [unrolled: 1-line block ×10, first 2 shown]
	s_delay_alu instid0(VALU_DEP_1) | instskip(SKIP_4) | instid1(VALU_DEP_3)
	v_mul_f64 v[34:35], v[10:11], s[2:3]
	s_mov_b32 s3, 0xbfe62e42
	s_mov_b32 s2, 0xfefa39ef
	v_cmp_nlt_f64_e32 vcc_lo, 0x40900000, v[10:11]
	v_cmp_ngt_f64_e64 s1, 0xc090cc00, v[10:11]
	v_rndne_f64_e32 v[34:35], v[34:35]
	s_delay_alu instid0(VALU_DEP_1) | instskip(SKIP_2) | instid1(VALU_DEP_2)
	v_fma_f64 v[36:37], v[34:35], s[2:3], v[10:11]
	v_cvt_i32_f64_e32 v54, v[34:35]
	s_mov_b32 s3, 0x3fe62e42
	v_fma_f64 v[36:37], v[34:35], s[4:5], v[36:37]
	s_mov_b32 s5, 0x3c7abc9e
	s_waitcnt lgkmcnt(0)
	s_delay_alu instid0(VALU_DEP_1) | instskip(SKIP_4) | instid1(VALU_DEP_1)
	v_fma_f64 v[48:49], v[36:37], s[20:21], s[16:17]
	s_mov_b32 s16, 0x623fde64
	s_mov_b32 s17, 0x3ec71dee
	;; [unrolled: 1-line block ×4, first 2 shown]
	v_fma_f64 v[48:49], v[36:37], v[48:49], s[16:17]
	s_mov_b32 s16, 0x7c89e6b0
	s_mov_b32 s17, 0x3efa0199
	s_delay_alu instid0(VALU_DEP_1) | instid1(SALU_CYCLE_1)
	v_fma_f64 v[48:49], v[36:37], v[48:49], s[16:17]
	s_mov_b32 s16, 0x14761f6e
	s_mov_b32 s17, 0x3f2a01a0
	s_delay_alu instid0(VALU_DEP_1) | instid1(SALU_CYCLE_1)
	;; [unrolled: 4-line block ×7, first 2 shown]
	v_fma_f64 v[48:49], v[36:37], v[48:49], s[16:17]
	s_mov_b32 s17, 0x3fe55555
	s_mov_b32 s16, 0x55555555
	s_delay_alu instid0(VALU_DEP_1) | instskip(NEXT) | instid1(VALU_DEP_1)
	v_fma_f64 v[48:49], v[36:37], v[48:49], 1.0
	v_fma_f64 v[34:35], v[36:37], v[48:49], 1.0
	s_delay_alu instid0(VALU_DEP_1) | instskip(NEXT) | instid1(VALU_DEP_1)
	v_ldexp_f64 v[34:35], v[34:35], v54
	v_cndmask_b32_e32 v35, 0x7ff00000, v35, vcc_lo
	s_and_b32 vcc_lo, s1, vcc_lo
	s_delay_alu instid0(VALU_DEP_1) | instskip(NEXT) | instid1(VALU_DEP_3)
	v_cndmask_b32_e64 v11, 0, v35, s1
	v_cndmask_b32_e32 v10, 0, v34, vcc_lo
	s_delay_alu instid0(VALU_DEP_1) | instskip(NEXT) | instid1(VALU_DEP_1)
	v_add_f64 v[34:35], v[10:11], 1.0
	v_frexp_mant_f64_e32 v[36:37], v[34:35]
	v_frexp_exp_i32_f64_e32 v54, v[34:35]
	v_add_f64 v[48:49], v[34:35], -1.0
	s_delay_alu instid0(VALU_DEP_3) | instskip(SKIP_1) | instid1(VALU_DEP_2)
	v_cmp_gt_f64_e32 vcc_lo, s[16:17], v[36:37]
	s_mov_b32 s16, 0x55555780
	v_add_f64 v[36:37], v[48:49], -v[34:35]
	v_add_f64 v[48:49], v[10:11], -v[48:49]
	v_subrev_co_ci_u32_e32 v144, vcc_lo, 0, v54, vcc_lo
	s_delay_alu instid0(VALU_DEP_3) | instskip(SKIP_1) | instid1(VALU_DEP_3)
	v_add_f64 v[36:37], v[36:37], 1.0
	v_cmp_eq_f64_e32 vcc_lo, 0x7ff00000, v[10:11]
	v_sub_nc_u32_e32 v100, 0, v144
	s_delay_alu instid0(VALU_DEP_1) | instskip(NEXT) | instid1(VALU_DEP_4)
	v_ldexp_f64 v[34:35], v[34:35], v100
	v_add_f64 v[36:37], v[48:49], v[36:37]
	s_delay_alu instid0(VALU_DEP_2) | instskip(SKIP_1) | instid1(VALU_DEP_3)
	v_add_f64 v[54:55], v[34:35], 1.0
	v_add_f64 v[112:113], v[34:35], -1.0
	v_ldexp_f64 v[36:37], v[36:37], v100
	s_delay_alu instid0(VALU_DEP_3) | instskip(NEXT) | instid1(VALU_DEP_3)
	v_add_f64 v[48:49], v[54:55], -1.0
	v_add_f64 v[114:115], v[112:113], 1.0
	s_delay_alu instid0(VALU_DEP_2) | instskip(NEXT) | instid1(VALU_DEP_2)
	v_add_f64 v[48:49], v[34:35], -v[48:49]
	v_add_f64 v[34:35], v[34:35], -v[114:115]
	s_delay_alu instid0(VALU_DEP_2) | instskip(NEXT) | instid1(VALU_DEP_2)
	v_add_f64 v[48:49], v[36:37], v[48:49]
	v_add_f64 v[34:35], v[36:37], v[34:35]
	s_delay_alu instid0(VALU_DEP_2) | instskip(NEXT) | instid1(VALU_DEP_2)
	v_add_f64 v[100:101], v[54:55], v[48:49]
	v_add_f64 v[114:115], v[112:113], v[34:35]
	s_delay_alu instid0(VALU_DEP_2) | instskip(SKIP_1) | instid1(VALU_DEP_2)
	v_rcp_f64_e32 v[102:103], v[100:101]
	v_add_f64 v[54:55], v[100:101], -v[54:55]
	v_add_f64 v[112:113], v[114:115], -v[112:113]
	s_delay_alu instid0(VALU_DEP_2) | instskip(SKIP_3) | instid1(VALU_DEP_2)
	v_add_f64 v[48:49], v[48:49], -v[54:55]
	s_waitcnt_depctr 0xfff
	v_fma_f64 v[129:130], -v[100:101], v[102:103], 1.0
	v_add_f64 v[34:35], v[34:35], -v[112:113]
	v_fma_f64 v[102:103], v[129:130], v[102:103], v[102:103]
	s_delay_alu instid0(VALU_DEP_1) | instskip(NEXT) | instid1(VALU_DEP_1)
	v_fma_f64 v[36:37], -v[100:101], v[102:103], 1.0
	v_fma_f64 v[36:37], v[36:37], v[102:103], v[102:103]
	s_delay_alu instid0(VALU_DEP_1) | instskip(NEXT) | instid1(VALU_DEP_1)
	v_mul_f64 v[102:103], v[114:115], v[36:37]
	v_mul_f64 v[129:130], v[100:101], v[102:103]
	s_delay_alu instid0(VALU_DEP_1) | instskip(NEXT) | instid1(VALU_DEP_1)
	v_fma_f64 v[54:55], v[102:103], v[100:101], -v[129:130]
	v_fma_f64 v[54:55], v[102:103], v[48:49], v[54:55]
	s_delay_alu instid0(VALU_DEP_1) | instskip(NEXT) | instid1(VALU_DEP_1)
	v_add_f64 v[131:132], v[129:130], v[54:55]
	v_add_f64 v[133:134], v[114:115], -v[131:132]
	v_add_f64 v[112:113], v[131:132], -v[129:130]
	s_delay_alu instid0(VALU_DEP_2) | instskip(NEXT) | instid1(VALU_DEP_2)
	v_add_f64 v[114:115], v[114:115], -v[133:134]
	v_add_f64 v[54:55], v[112:113], -v[54:55]
	s_delay_alu instid0(VALU_DEP_2) | instskip(NEXT) | instid1(VALU_DEP_1)
	v_add_f64 v[114:115], v[114:115], -v[131:132]
	v_add_f64 v[34:35], v[34:35], v[114:115]
	s_delay_alu instid0(VALU_DEP_1) | instskip(NEXT) | instid1(VALU_DEP_1)
	v_add_f64 v[34:35], v[54:55], v[34:35]
	v_add_f64 v[54:55], v[133:134], v[34:35]
	s_delay_alu instid0(VALU_DEP_1) | instskip(SKIP_1) | instid1(VALU_DEP_2)
	v_mul_f64 v[112:113], v[36:37], v[54:55]
	v_add_f64 v[131:132], v[133:134], -v[54:55]
	v_mul_f64 v[114:115], v[100:101], v[112:113]
	s_delay_alu instid0(VALU_DEP_2) | instskip(NEXT) | instid1(VALU_DEP_2)
	v_add_f64 v[34:35], v[34:35], v[131:132]
	v_fma_f64 v[100:101], v[112:113], v[100:101], -v[114:115]
	s_delay_alu instid0(VALU_DEP_1) | instskip(NEXT) | instid1(VALU_DEP_1)
	v_fma_f64 v[48:49], v[112:113], v[48:49], v[100:101]
	v_add_f64 v[100:101], v[114:115], v[48:49]
	s_delay_alu instid0(VALU_DEP_1) | instskip(SKIP_1) | instid1(VALU_DEP_2)
	v_add_f64 v[129:130], v[54:55], -v[100:101]
	v_add_f64 v[114:115], v[100:101], -v[114:115]
	;; [unrolled: 1-line block ×3, first 2 shown]
	s_delay_alu instid0(VALU_DEP_2) | instskip(NEXT) | instid1(VALU_DEP_2)
	v_add_f64 v[48:49], v[114:115], -v[48:49]
	v_add_f64 v[54:55], v[54:55], -v[100:101]
	s_delay_alu instid0(VALU_DEP_1) | instskip(SKIP_1) | instid1(VALU_DEP_2)
	v_add_f64 v[34:35], v[34:35], v[54:55]
	v_add_f64 v[54:55], v[102:103], v[112:113]
	;; [unrolled: 1-line block ×3, first 2 shown]
	s_delay_alu instid0(VALU_DEP_2) | instskip(NEXT) | instid1(VALU_DEP_2)
	v_add_f64 v[48:49], v[54:55], -v[102:103]
	v_add_f64 v[34:35], v[129:130], v[34:35]
	s_delay_alu instid0(VALU_DEP_2) | instskip(NEXT) | instid1(VALU_DEP_2)
	v_add_f64 v[48:49], v[112:113], -v[48:49]
	v_mul_f64 v[34:35], v[36:37], v[34:35]
	s_delay_alu instid0(VALU_DEP_1) | instskip(NEXT) | instid1(VALU_DEP_1)
	v_add_f64 v[34:35], v[48:49], v[34:35]
	v_add_f64 v[36:37], v[54:55], v[34:35]
	s_delay_alu instid0(VALU_DEP_1) | instskip(NEXT) | instid1(VALU_DEP_1)
	v_mul_f64 v[48:49], v[36:37], v[36:37]
	v_fma_f64 v[100:101], v[48:49], s[24:25], s[20:21]
	s_mov_b32 s20, 0xd7f4df2e
	s_mov_b32 s21, 0x3fc7474d
	v_mul_f64 v[102:103], v[36:37], v[48:49]
	s_delay_alu instid0(VALU_DEP_2)
	v_fma_f64 v[100:101], v[48:49], v[100:101], s[20:21]
	s_mov_b32 s20, 0x16291751
	s_mov_b32 s21, 0x3fcc71c0
	s_delay_alu instid0(VALU_DEP_1) | instid1(SALU_CYCLE_1)
	v_fma_f64 v[100:101], v[48:49], v[100:101], s[20:21]
	s_mov_b32 s20, 0x9b27acf1
	s_mov_b32 s21, 0x3fd24924
	s_delay_alu instid0(VALU_DEP_1) | instid1(SALU_CYCLE_1)
	;; [unrolled: 4-line block ×3, first 2 shown]
	v_fma_f64 v[100:101], v[48:49], v[100:101], s[20:21]
	s_delay_alu instid0(VALU_DEP_1) | instskip(SKIP_2) | instid1(VALU_DEP_3)
	v_fma_f64 v[48:49], v[48:49], v[100:101], s[16:17]
	v_ldexp_f64 v[100:101], v[36:37], 1
	v_add_f64 v[36:37], v[36:37], -v[54:55]
	v_mul_f64 v[48:49], v[102:103], v[48:49]
	v_cvt_f64_i32_e32 v[102:103], v144
	s_delay_alu instid0(VALU_DEP_3) | instskip(NEXT) | instid1(VALU_DEP_3)
	v_add_f64 v[34:35], v[34:35], -v[36:37]
	v_add_f64 v[54:55], v[100:101], v[48:49]
	s_delay_alu instid0(VALU_DEP_3) | instskip(NEXT) | instid1(VALU_DEP_3)
	v_mul_f64 v[112:113], v[102:103], s[2:3]
	v_ldexp_f64 v[34:35], v[34:35], 1
	s_delay_alu instid0(VALU_DEP_3) | instskip(NEXT) | instid1(VALU_DEP_3)
	v_add_f64 v[36:37], v[54:55], -v[100:101]
	v_fma_f64 v[100:101], v[102:103], s[2:3], -v[112:113]
	s_delay_alu instid0(VALU_DEP_2) | instskip(NEXT) | instid1(VALU_DEP_2)
	v_add_f64 v[36:37], v[48:49], -v[36:37]
	v_fma_f64 v[48:49], v[102:103], s[4:5], v[100:101]
	s_delay_alu instid0(VALU_DEP_2) | instskip(NEXT) | instid1(VALU_DEP_2)
	v_add_f64 v[34:35], v[34:35], v[36:37]
	v_add_f64 v[36:37], v[112:113], v[48:49]
	s_delay_alu instid0(VALU_DEP_2) | instskip(NEXT) | instid1(VALU_DEP_2)
	v_add_f64 v[100:101], v[54:55], v[34:35]
	v_add_f64 v[112:113], v[36:37], -v[112:113]
	s_delay_alu instid0(VALU_DEP_2) | instskip(SKIP_1) | instid1(VALU_DEP_3)
	v_add_f64 v[102:103], v[36:37], v[100:101]
	v_add_f64 v[54:55], v[100:101], -v[54:55]
	v_add_f64 v[48:49], v[48:49], -v[112:113]
	s_delay_alu instid0(VALU_DEP_3) | instskip(NEXT) | instid1(VALU_DEP_3)
	v_add_f64 v[114:115], v[102:103], -v[36:37]
	v_add_f64 v[34:35], v[34:35], -v[54:55]
	s_delay_alu instid0(VALU_DEP_2) | instskip(SKIP_1) | instid1(VALU_DEP_3)
	v_add_f64 v[129:130], v[102:103], -v[114:115]
	v_add_f64 v[54:55], v[100:101], -v[114:115]
	v_add_f64 v[100:101], v[48:49], v[34:35]
	s_delay_alu instid0(VALU_DEP_3) | instskip(NEXT) | instid1(VALU_DEP_1)
	v_add_f64 v[36:37], v[36:37], -v[129:130]
	v_add_f64 v[36:37], v[54:55], v[36:37]
	s_delay_alu instid0(VALU_DEP_3) | instskip(NEXT) | instid1(VALU_DEP_2)
	v_add_f64 v[54:55], v[100:101], -v[48:49]
	v_add_f64 v[36:37], v[100:101], v[36:37]
	s_delay_alu instid0(VALU_DEP_2) | instskip(SKIP_1) | instid1(VALU_DEP_3)
	v_add_f64 v[100:101], v[100:101], -v[54:55]
	v_add_f64 v[34:35], v[34:35], -v[54:55]
	v_add_f64 v[112:113], v[102:103], v[36:37]
	s_delay_alu instid0(VALU_DEP_3) | instskip(NEXT) | instid1(VALU_DEP_2)
	v_add_f64 v[48:49], v[48:49], -v[100:101]
	v_add_f64 v[54:55], v[112:113], -v[102:103]
	s_delay_alu instid0(VALU_DEP_2) | instskip(NEXT) | instid1(VALU_DEP_2)
	v_add_f64 v[34:35], v[34:35], v[48:49]
	v_add_f64 v[36:37], v[36:37], -v[54:55]
	s_delay_alu instid0(VALU_DEP_1) | instskip(NEXT) | instid1(VALU_DEP_1)
	v_add_f64 v[34:35], v[34:35], v[36:37]
	v_add_f64 v[34:35], v[112:113], v[34:35]
	s_delay_alu instid0(VALU_DEP_1) | instskip(SKIP_1) | instid1(VALU_DEP_2)
	v_dual_cndmask_b32 v35, v35, v11 :: v_dual_cndmask_b32 v34, v34, v10
	v_cmp_ngt_f64_e32 vcc_lo, -1.0, v[10:11]
	v_cndmask_b32_e32 v35, 0x7ff80000, v35, vcc_lo
	v_cmp_nge_f64_e32 vcc_lo, -1.0, v[10:11]
	s_delay_alu instid0(VALU_DEP_4) | instskip(SKIP_1) | instid1(VALU_DEP_4)
	v_cndmask_b32_e32 v34, 0, v34, vcc_lo
	v_cmp_neq_f64_e32 vcc_lo, -1.0, v[10:11]
	v_cndmask_b32_e32 v35, 0xfff00000, v35, vcc_lo
	s_delay_alu instid0(VALU_DEP_1)
	v_add_f64 v[10:11], v[32:33], v[34:35]
.LBB8_342:
	s_or_b32 exec_lo, exec_lo, s18
	s_delay_alu instid0(VALU_DEP_1) | instskip(SKIP_1) | instid1(VALU_DEP_2)
	v_max_f64 v[32:33], v[10:11], v[10:11]
	v_cmp_u_f64_e32 vcc_lo, v[10:11], v[10:11]
	v_min_f64 v[34:35], v[32:33], v[12:13]
	v_max_f64 v[12:13], v[32:33], v[12:13]
	s_delay_alu instid0(VALU_DEP_2) | instskip(NEXT) | instid1(VALU_DEP_2)
	v_dual_cndmask_b32 v32, v34, v10 :: v_dual_cndmask_b32 v33, v35, v11
	v_dual_cndmask_b32 v13, v13, v11 :: v_dual_cndmask_b32 v12, v12, v10
	s_delay_alu instid0(VALU_DEP_2) | instskip(NEXT) | instid1(VALU_DEP_3)
	v_cndmask_b32_e64 v34, v32, v96, s6
	v_cndmask_b32_e64 v35, v33, v97, s6
	s_delay_alu instid0(VALU_DEP_3) | instskip(NEXT) | instid1(VALU_DEP_4)
	v_cndmask_b32_e64 v33, v13, v97, s6
	v_cndmask_b32_e64 v32, v12, v96, s6
	v_dual_mov_b32 v13, v11 :: v_dual_mov_b32 v12, v10
	s_delay_alu instid0(VALU_DEP_4) | instskip(NEXT) | instid1(VALU_DEP_3)
	v_cmp_class_f64_e64 s1, v[34:35], 0x1f8
	v_cmp_neq_f64_e32 vcc_lo, v[34:35], v[32:33]
	s_delay_alu instid0(VALU_DEP_2) | instskip(NEXT) | instid1(SALU_CYCLE_1)
	s_or_b32 s1, vcc_lo, s1
	s_and_saveexec_b32 s6, s1
	s_cbranch_execz .LBB8_344
; %bb.343:
	v_add_f64 v[12:13], v[34:35], -v[32:33]
	s_mov_b32 s2, 0x652b82fe
	s_mov_b32 s3, 0x3ff71547
	;; [unrolled: 1-line block ×10, first 2 shown]
	s_delay_alu instid0(VALU_DEP_1) | instskip(SKIP_4) | instid1(VALU_DEP_3)
	v_mul_f64 v[34:35], v[12:13], s[2:3]
	s_mov_b32 s3, 0xbfe62e42
	s_mov_b32 s2, 0xfefa39ef
	v_cmp_nlt_f64_e32 vcc_lo, 0x40900000, v[12:13]
	v_cmp_ngt_f64_e64 s1, 0xc090cc00, v[12:13]
	v_rndne_f64_e32 v[34:35], v[34:35]
	s_delay_alu instid0(VALU_DEP_1) | instskip(SKIP_2) | instid1(VALU_DEP_2)
	v_fma_f64 v[36:37], v[34:35], s[2:3], v[12:13]
	v_cvt_i32_f64_e32 v54, v[34:35]
	s_mov_b32 s3, 0x3fe62e42
	v_fma_f64 v[36:37], v[34:35], s[4:5], v[36:37]
	s_mov_b32 s5, 0x3c7abc9e
	s_waitcnt lgkmcnt(0)
	s_delay_alu instid0(VALU_DEP_1) | instskip(SKIP_4) | instid1(VALU_DEP_1)
	v_fma_f64 v[48:49], v[36:37], s[18:19], s[16:17]
	s_mov_b32 s16, 0x623fde64
	s_mov_b32 s17, 0x3ec71dee
	;; [unrolled: 1-line block ×4, first 2 shown]
	v_fma_f64 v[48:49], v[36:37], v[48:49], s[16:17]
	s_mov_b32 s16, 0x7c89e6b0
	s_mov_b32 s17, 0x3efa0199
	s_delay_alu instid0(VALU_DEP_1) | instid1(SALU_CYCLE_1)
	v_fma_f64 v[48:49], v[36:37], v[48:49], s[16:17]
	s_mov_b32 s16, 0x14761f6e
	s_mov_b32 s17, 0x3f2a01a0
	s_delay_alu instid0(VALU_DEP_1) | instid1(SALU_CYCLE_1)
	;; [unrolled: 4-line block ×7, first 2 shown]
	v_fma_f64 v[48:49], v[36:37], v[48:49], s[16:17]
	s_mov_b32 s17, 0x3fe55555
	s_mov_b32 s16, 0x55555555
	s_delay_alu instid0(VALU_DEP_1) | instskip(NEXT) | instid1(VALU_DEP_1)
	v_fma_f64 v[48:49], v[36:37], v[48:49], 1.0
	v_fma_f64 v[34:35], v[36:37], v[48:49], 1.0
	s_delay_alu instid0(VALU_DEP_1) | instskip(NEXT) | instid1(VALU_DEP_1)
	v_ldexp_f64 v[34:35], v[34:35], v54
	v_cndmask_b32_e32 v35, 0x7ff00000, v35, vcc_lo
	s_and_b32 vcc_lo, s1, vcc_lo
	s_delay_alu instid0(VALU_DEP_1) | instskip(NEXT) | instid1(VALU_DEP_3)
	v_cndmask_b32_e64 v13, 0, v35, s1
	v_cndmask_b32_e32 v12, 0, v34, vcc_lo
	s_delay_alu instid0(VALU_DEP_1) | instskip(NEXT) | instid1(VALU_DEP_1)
	v_add_f64 v[34:35], v[12:13], 1.0
	v_frexp_mant_f64_e32 v[36:37], v[34:35]
	v_frexp_exp_i32_f64_e32 v54, v[34:35]
	v_add_f64 v[48:49], v[34:35], -1.0
	s_delay_alu instid0(VALU_DEP_3) | instskip(SKIP_1) | instid1(VALU_DEP_2)
	v_cmp_gt_f64_e32 vcc_lo, s[16:17], v[36:37]
	s_mov_b32 s16, 0x55555780
	v_add_f64 v[36:37], v[48:49], -v[34:35]
	v_add_f64 v[48:49], v[12:13], -v[48:49]
	v_subrev_co_ci_u32_e32 v133, vcc_lo, 0, v54, vcc_lo
	s_delay_alu instid0(VALU_DEP_3) | instskip(SKIP_1) | instid1(VALU_DEP_3)
	v_add_f64 v[36:37], v[36:37], 1.0
	v_cmp_eq_f64_e32 vcc_lo, 0x7ff00000, v[12:13]
	v_sub_nc_u32_e32 v96, 0, v133
	s_delay_alu instid0(VALU_DEP_1) | instskip(NEXT) | instid1(VALU_DEP_4)
	v_ldexp_f64 v[34:35], v[34:35], v96
	v_add_f64 v[36:37], v[48:49], v[36:37]
	s_delay_alu instid0(VALU_DEP_2) | instskip(SKIP_1) | instid1(VALU_DEP_3)
	v_add_f64 v[54:55], v[34:35], 1.0
	v_add_f64 v[102:103], v[34:35], -1.0
	v_ldexp_f64 v[36:37], v[36:37], v96
	s_delay_alu instid0(VALU_DEP_3) | instskip(NEXT) | instid1(VALU_DEP_3)
	v_add_f64 v[48:49], v[54:55], -1.0
	v_add_f64 v[112:113], v[102:103], 1.0
	s_delay_alu instid0(VALU_DEP_2) | instskip(NEXT) | instid1(VALU_DEP_2)
	v_add_f64 v[48:49], v[34:35], -v[48:49]
	v_add_f64 v[34:35], v[34:35], -v[112:113]
	s_delay_alu instid0(VALU_DEP_2) | instskip(NEXT) | instid1(VALU_DEP_2)
	v_add_f64 v[48:49], v[36:37], v[48:49]
	v_add_f64 v[34:35], v[36:37], v[34:35]
	s_delay_alu instid0(VALU_DEP_2) | instskip(NEXT) | instid1(VALU_DEP_2)
	v_add_f64 v[96:97], v[54:55], v[48:49]
	v_add_f64 v[112:113], v[102:103], v[34:35]
	s_delay_alu instid0(VALU_DEP_2) | instskip(SKIP_1) | instid1(VALU_DEP_2)
	v_rcp_f64_e32 v[100:101], v[96:97]
	v_add_f64 v[54:55], v[96:97], -v[54:55]
	v_add_f64 v[102:103], v[112:113], -v[102:103]
	s_delay_alu instid0(VALU_DEP_2) | instskip(SKIP_3) | instid1(VALU_DEP_2)
	v_add_f64 v[48:49], v[48:49], -v[54:55]
	s_waitcnt_depctr 0xfff
	v_fma_f64 v[114:115], -v[96:97], v[100:101], 1.0
	v_add_f64 v[34:35], v[34:35], -v[102:103]
	v_fma_f64 v[100:101], v[114:115], v[100:101], v[100:101]
	s_delay_alu instid0(VALU_DEP_1) | instskip(NEXT) | instid1(VALU_DEP_1)
	v_fma_f64 v[36:37], -v[96:97], v[100:101], 1.0
	v_fma_f64 v[36:37], v[36:37], v[100:101], v[100:101]
	s_delay_alu instid0(VALU_DEP_1) | instskip(NEXT) | instid1(VALU_DEP_1)
	v_mul_f64 v[100:101], v[112:113], v[36:37]
	v_mul_f64 v[114:115], v[96:97], v[100:101]
	s_delay_alu instid0(VALU_DEP_1) | instskip(NEXT) | instid1(VALU_DEP_1)
	v_fma_f64 v[54:55], v[100:101], v[96:97], -v[114:115]
	v_fma_f64 v[54:55], v[100:101], v[48:49], v[54:55]
	s_delay_alu instid0(VALU_DEP_1) | instskip(NEXT) | instid1(VALU_DEP_1)
	v_add_f64 v[129:130], v[114:115], v[54:55]
	v_add_f64 v[131:132], v[112:113], -v[129:130]
	v_add_f64 v[102:103], v[129:130], -v[114:115]
	s_delay_alu instid0(VALU_DEP_2) | instskip(NEXT) | instid1(VALU_DEP_2)
	v_add_f64 v[112:113], v[112:113], -v[131:132]
	v_add_f64 v[54:55], v[102:103], -v[54:55]
	s_delay_alu instid0(VALU_DEP_2) | instskip(NEXT) | instid1(VALU_DEP_1)
	v_add_f64 v[112:113], v[112:113], -v[129:130]
	v_add_f64 v[34:35], v[34:35], v[112:113]
	s_delay_alu instid0(VALU_DEP_1) | instskip(NEXT) | instid1(VALU_DEP_1)
	v_add_f64 v[34:35], v[54:55], v[34:35]
	v_add_f64 v[54:55], v[131:132], v[34:35]
	s_delay_alu instid0(VALU_DEP_1) | instskip(SKIP_1) | instid1(VALU_DEP_2)
	v_mul_f64 v[102:103], v[36:37], v[54:55]
	v_add_f64 v[129:130], v[131:132], -v[54:55]
	v_mul_f64 v[112:113], v[96:97], v[102:103]
	s_delay_alu instid0(VALU_DEP_2) | instskip(NEXT) | instid1(VALU_DEP_2)
	v_add_f64 v[34:35], v[34:35], v[129:130]
	v_fma_f64 v[96:97], v[102:103], v[96:97], -v[112:113]
	s_delay_alu instid0(VALU_DEP_1) | instskip(NEXT) | instid1(VALU_DEP_1)
	v_fma_f64 v[48:49], v[102:103], v[48:49], v[96:97]
	v_add_f64 v[96:97], v[112:113], v[48:49]
	s_delay_alu instid0(VALU_DEP_1) | instskip(SKIP_1) | instid1(VALU_DEP_2)
	v_add_f64 v[114:115], v[54:55], -v[96:97]
	v_add_f64 v[112:113], v[96:97], -v[112:113]
	;; [unrolled: 1-line block ×3, first 2 shown]
	s_delay_alu instid0(VALU_DEP_2) | instskip(NEXT) | instid1(VALU_DEP_2)
	v_add_f64 v[48:49], v[112:113], -v[48:49]
	v_add_f64 v[54:55], v[54:55], -v[96:97]
	s_delay_alu instid0(VALU_DEP_1) | instskip(SKIP_1) | instid1(VALU_DEP_2)
	v_add_f64 v[34:35], v[34:35], v[54:55]
	v_add_f64 v[54:55], v[100:101], v[102:103]
	;; [unrolled: 1-line block ×3, first 2 shown]
	s_delay_alu instid0(VALU_DEP_2) | instskip(NEXT) | instid1(VALU_DEP_2)
	v_add_f64 v[48:49], v[54:55], -v[100:101]
	v_add_f64 v[34:35], v[114:115], v[34:35]
	s_delay_alu instid0(VALU_DEP_2) | instskip(NEXT) | instid1(VALU_DEP_2)
	v_add_f64 v[48:49], v[102:103], -v[48:49]
	v_mul_f64 v[34:35], v[36:37], v[34:35]
	s_delay_alu instid0(VALU_DEP_1) | instskip(NEXT) | instid1(VALU_DEP_1)
	v_add_f64 v[34:35], v[48:49], v[34:35]
	v_add_f64 v[36:37], v[54:55], v[34:35]
	s_delay_alu instid0(VALU_DEP_1) | instskip(NEXT) | instid1(VALU_DEP_1)
	v_mul_f64 v[48:49], v[36:37], v[36:37]
	v_fma_f64 v[96:97], v[48:49], s[20:21], s[18:19]
	s_mov_b32 s18, 0xd7f4df2e
	s_mov_b32 s19, 0x3fc7474d
	v_mul_f64 v[100:101], v[36:37], v[48:49]
	s_delay_alu instid0(VALU_DEP_2)
	v_fma_f64 v[96:97], v[48:49], v[96:97], s[18:19]
	s_mov_b32 s18, 0x16291751
	s_mov_b32 s19, 0x3fcc71c0
	s_delay_alu instid0(VALU_DEP_1) | instid1(SALU_CYCLE_1)
	v_fma_f64 v[96:97], v[48:49], v[96:97], s[18:19]
	s_mov_b32 s18, 0x9b27acf1
	s_mov_b32 s19, 0x3fd24924
	s_delay_alu instid0(VALU_DEP_1) | instid1(SALU_CYCLE_1)
	;; [unrolled: 4-line block ×3, first 2 shown]
	v_fma_f64 v[96:97], v[48:49], v[96:97], s[18:19]
	s_delay_alu instid0(VALU_DEP_1) | instskip(SKIP_2) | instid1(VALU_DEP_3)
	v_fma_f64 v[48:49], v[48:49], v[96:97], s[16:17]
	v_ldexp_f64 v[96:97], v[36:37], 1
	v_add_f64 v[36:37], v[36:37], -v[54:55]
	v_mul_f64 v[48:49], v[100:101], v[48:49]
	v_cvt_f64_i32_e32 v[100:101], v133
	s_delay_alu instid0(VALU_DEP_3) | instskip(NEXT) | instid1(VALU_DEP_3)
	v_add_f64 v[34:35], v[34:35], -v[36:37]
	v_add_f64 v[54:55], v[96:97], v[48:49]
	s_delay_alu instid0(VALU_DEP_3) | instskip(NEXT) | instid1(VALU_DEP_3)
	v_mul_f64 v[102:103], v[100:101], s[2:3]
	v_ldexp_f64 v[34:35], v[34:35], 1
	s_delay_alu instid0(VALU_DEP_3) | instskip(NEXT) | instid1(VALU_DEP_3)
	v_add_f64 v[36:37], v[54:55], -v[96:97]
	v_fma_f64 v[96:97], v[100:101], s[2:3], -v[102:103]
	s_delay_alu instid0(VALU_DEP_2) | instskip(NEXT) | instid1(VALU_DEP_2)
	v_add_f64 v[36:37], v[48:49], -v[36:37]
	v_fma_f64 v[48:49], v[100:101], s[4:5], v[96:97]
	s_delay_alu instid0(VALU_DEP_2) | instskip(NEXT) | instid1(VALU_DEP_2)
	v_add_f64 v[34:35], v[34:35], v[36:37]
	v_add_f64 v[36:37], v[102:103], v[48:49]
	s_delay_alu instid0(VALU_DEP_2) | instskip(NEXT) | instid1(VALU_DEP_2)
	v_add_f64 v[96:97], v[54:55], v[34:35]
	v_add_f64 v[102:103], v[36:37], -v[102:103]
	s_delay_alu instid0(VALU_DEP_2) | instskip(SKIP_1) | instid1(VALU_DEP_3)
	v_add_f64 v[100:101], v[36:37], v[96:97]
	v_add_f64 v[54:55], v[96:97], -v[54:55]
	v_add_f64 v[48:49], v[48:49], -v[102:103]
	s_delay_alu instid0(VALU_DEP_3) | instskip(NEXT) | instid1(VALU_DEP_3)
	v_add_f64 v[112:113], v[100:101], -v[36:37]
	v_add_f64 v[34:35], v[34:35], -v[54:55]
	s_delay_alu instid0(VALU_DEP_2) | instskip(SKIP_1) | instid1(VALU_DEP_3)
	v_add_f64 v[114:115], v[100:101], -v[112:113]
	v_add_f64 v[54:55], v[96:97], -v[112:113]
	v_add_f64 v[96:97], v[48:49], v[34:35]
	s_delay_alu instid0(VALU_DEP_3) | instskip(NEXT) | instid1(VALU_DEP_1)
	v_add_f64 v[36:37], v[36:37], -v[114:115]
	v_add_f64 v[36:37], v[54:55], v[36:37]
	s_delay_alu instid0(VALU_DEP_3) | instskip(NEXT) | instid1(VALU_DEP_2)
	v_add_f64 v[54:55], v[96:97], -v[48:49]
	v_add_f64 v[36:37], v[96:97], v[36:37]
	s_delay_alu instid0(VALU_DEP_2) | instskip(SKIP_1) | instid1(VALU_DEP_3)
	v_add_f64 v[96:97], v[96:97], -v[54:55]
	v_add_f64 v[34:35], v[34:35], -v[54:55]
	v_add_f64 v[102:103], v[100:101], v[36:37]
	s_delay_alu instid0(VALU_DEP_3) | instskip(NEXT) | instid1(VALU_DEP_2)
	v_add_f64 v[48:49], v[48:49], -v[96:97]
	v_add_f64 v[54:55], v[102:103], -v[100:101]
	s_delay_alu instid0(VALU_DEP_2) | instskip(NEXT) | instid1(VALU_DEP_2)
	v_add_f64 v[34:35], v[34:35], v[48:49]
	v_add_f64 v[36:37], v[36:37], -v[54:55]
	s_delay_alu instid0(VALU_DEP_1) | instskip(NEXT) | instid1(VALU_DEP_1)
	v_add_f64 v[34:35], v[34:35], v[36:37]
	v_add_f64 v[34:35], v[102:103], v[34:35]
	s_delay_alu instid0(VALU_DEP_1) | instskip(SKIP_1) | instid1(VALU_DEP_2)
	v_dual_cndmask_b32 v35, v35, v13 :: v_dual_cndmask_b32 v34, v34, v12
	v_cmp_ngt_f64_e32 vcc_lo, -1.0, v[12:13]
	v_cndmask_b32_e32 v35, 0x7ff80000, v35, vcc_lo
	v_cmp_nge_f64_e32 vcc_lo, -1.0, v[12:13]
	s_delay_alu instid0(VALU_DEP_4) | instskip(SKIP_1) | instid1(VALU_DEP_4)
	v_cndmask_b32_e32 v34, 0, v34, vcc_lo
	v_cmp_neq_f64_e32 vcc_lo, -1.0, v[12:13]
	v_cndmask_b32_e32 v35, 0xfff00000, v35, vcc_lo
	s_delay_alu instid0(VALU_DEP_1)
	v_add_f64 v[12:13], v[32:33], v[34:35]
.LBB8_344:
	s_or_b32 exec_lo, exec_lo, s6
	s_delay_alu instid0(VALU_DEP_1) | instskip(SKIP_1) | instid1(VALU_DEP_2)
	v_max_f64 v[32:33], v[12:13], v[12:13]
	v_cmp_u_f64_e32 vcc_lo, v[12:13], v[12:13]
	v_min_f64 v[34:35], v[32:33], v[14:15]
	v_max_f64 v[14:15], v[32:33], v[14:15]
	s_delay_alu instid0(VALU_DEP_2) | instskip(NEXT) | instid1(VALU_DEP_2)
	v_dual_cndmask_b32 v32, v34, v12 :: v_dual_cndmask_b32 v33, v35, v13
	v_dual_cndmask_b32 v15, v15, v13 :: v_dual_cndmask_b32 v14, v14, v12
	s_delay_alu instid0(VALU_DEP_2) | instskip(NEXT) | instid1(VALU_DEP_3)
	v_cndmask_b32_e64 v34, v32, v98, s7
	v_cndmask_b32_e64 v35, v33, v99, s7
	s_delay_alu instid0(VALU_DEP_3) | instskip(NEXT) | instid1(VALU_DEP_4)
	v_cndmask_b32_e64 v33, v15, v99, s7
	v_cndmask_b32_e64 v32, v14, v98, s7
	v_dual_mov_b32 v15, v13 :: v_dual_mov_b32 v14, v12
	s_delay_alu instid0(VALU_DEP_4) | instskip(NEXT) | instid1(VALU_DEP_3)
	v_cmp_class_f64_e64 s1, v[34:35], 0x1f8
	v_cmp_neq_f64_e32 vcc_lo, v[34:35], v[32:33]
	s_delay_alu instid0(VALU_DEP_2) | instskip(NEXT) | instid1(SALU_CYCLE_1)
	s_or_b32 s1, vcc_lo, s1
	s_and_saveexec_b32 s16, s1
	s_cbranch_execz .LBB8_346
; %bb.345:
	v_add_f64 v[14:15], v[34:35], -v[32:33]
	s_mov_b32 s2, 0x652b82fe
	s_mov_b32 s3, 0x3ff71547
	;; [unrolled: 1-line block ×10, first 2 shown]
	s_delay_alu instid0(VALU_DEP_1) | instskip(SKIP_4) | instid1(VALU_DEP_3)
	v_mul_f64 v[34:35], v[14:15], s[2:3]
	s_mov_b32 s3, 0xbfe62e42
	s_mov_b32 s2, 0xfefa39ef
	v_cmp_nlt_f64_e32 vcc_lo, 0x40900000, v[14:15]
	v_cmp_ngt_f64_e64 s1, 0xc090cc00, v[14:15]
	v_rndne_f64_e32 v[34:35], v[34:35]
	s_delay_alu instid0(VALU_DEP_1) | instskip(SKIP_2) | instid1(VALU_DEP_2)
	v_fma_f64 v[36:37], v[34:35], s[2:3], v[14:15]
	v_cvt_i32_f64_e32 v54, v[34:35]
	s_mov_b32 s3, 0x3fe62e42
	v_fma_f64 v[36:37], v[34:35], s[4:5], v[36:37]
	s_mov_b32 s5, 0x3c7abc9e
	s_waitcnt lgkmcnt(0)
	s_delay_alu instid0(VALU_DEP_1) | instskip(SKIP_4) | instid1(VALU_DEP_1)
	v_fma_f64 v[48:49], v[36:37], s[18:19], s[6:7]
	s_mov_b32 s6, 0x623fde64
	s_mov_b32 s7, 0x3ec71dee
	;; [unrolled: 1-line block ×4, first 2 shown]
	v_fma_f64 v[48:49], v[36:37], v[48:49], s[6:7]
	s_mov_b32 s6, 0x7c89e6b0
	s_mov_b32 s7, 0x3efa0199
	s_delay_alu instid0(VALU_DEP_1) | instid1(SALU_CYCLE_1)
	v_fma_f64 v[48:49], v[36:37], v[48:49], s[6:7]
	s_mov_b32 s6, 0x14761f6e
	s_mov_b32 s7, 0x3f2a01a0
	s_delay_alu instid0(VALU_DEP_1) | instid1(SALU_CYCLE_1)
	;; [unrolled: 4-line block ×7, first 2 shown]
	v_fma_f64 v[48:49], v[36:37], v[48:49], s[6:7]
	s_mov_b32 s7, 0x3fe55555
	s_mov_b32 s6, 0x55555555
	s_delay_alu instid0(VALU_DEP_1) | instskip(NEXT) | instid1(VALU_DEP_1)
	v_fma_f64 v[48:49], v[36:37], v[48:49], 1.0
	v_fma_f64 v[34:35], v[36:37], v[48:49], 1.0
	s_delay_alu instid0(VALU_DEP_1) | instskip(NEXT) | instid1(VALU_DEP_1)
	v_ldexp_f64 v[34:35], v[34:35], v54
	v_cndmask_b32_e32 v35, 0x7ff00000, v35, vcc_lo
	s_and_b32 vcc_lo, s1, vcc_lo
	s_delay_alu instid0(VALU_DEP_1) | instskip(NEXT) | instid1(VALU_DEP_3)
	v_cndmask_b32_e64 v15, 0, v35, s1
	v_cndmask_b32_e32 v14, 0, v34, vcc_lo
	s_delay_alu instid0(VALU_DEP_1) | instskip(NEXT) | instid1(VALU_DEP_1)
	v_add_f64 v[34:35], v[14:15], 1.0
	v_frexp_mant_f64_e32 v[36:37], v[34:35]
	v_frexp_exp_i32_f64_e32 v54, v[34:35]
	v_add_f64 v[48:49], v[34:35], -1.0
	s_delay_alu instid0(VALU_DEP_3) | instskip(SKIP_1) | instid1(VALU_DEP_2)
	v_cmp_gt_f64_e32 vcc_lo, s[6:7], v[36:37]
	s_mov_b32 s6, 0x55555780
	v_add_f64 v[36:37], v[48:49], -v[34:35]
	v_add_f64 v[48:49], v[14:15], -v[48:49]
	v_subrev_co_ci_u32_e32 v131, vcc_lo, 0, v54, vcc_lo
	s_delay_alu instid0(VALU_DEP_3) | instskip(SKIP_1) | instid1(VALU_DEP_3)
	v_add_f64 v[36:37], v[36:37], 1.0
	v_cmp_eq_f64_e32 vcc_lo, 0x7ff00000, v[14:15]
	v_sub_nc_u32_e32 v96, 0, v131
	s_delay_alu instid0(VALU_DEP_1) | instskip(NEXT) | instid1(VALU_DEP_4)
	v_ldexp_f64 v[34:35], v[34:35], v96
	v_add_f64 v[36:37], v[48:49], v[36:37]
	s_delay_alu instid0(VALU_DEP_2) | instskip(SKIP_1) | instid1(VALU_DEP_3)
	v_add_f64 v[54:55], v[34:35], 1.0
	v_add_f64 v[100:101], v[34:35], -1.0
	v_ldexp_f64 v[36:37], v[36:37], v96
	s_delay_alu instid0(VALU_DEP_3) | instskip(NEXT) | instid1(VALU_DEP_3)
	v_add_f64 v[48:49], v[54:55], -1.0
	v_add_f64 v[102:103], v[100:101], 1.0
	s_delay_alu instid0(VALU_DEP_2) | instskip(NEXT) | instid1(VALU_DEP_2)
	v_add_f64 v[48:49], v[34:35], -v[48:49]
	v_add_f64 v[34:35], v[34:35], -v[102:103]
	s_delay_alu instid0(VALU_DEP_2) | instskip(NEXT) | instid1(VALU_DEP_2)
	v_add_f64 v[48:49], v[36:37], v[48:49]
	v_add_f64 v[34:35], v[36:37], v[34:35]
	s_delay_alu instid0(VALU_DEP_2) | instskip(NEXT) | instid1(VALU_DEP_2)
	v_add_f64 v[96:97], v[54:55], v[48:49]
	v_add_f64 v[102:103], v[100:101], v[34:35]
	s_delay_alu instid0(VALU_DEP_2) | instskip(SKIP_1) | instid1(VALU_DEP_2)
	v_rcp_f64_e32 v[98:99], v[96:97]
	v_add_f64 v[54:55], v[96:97], -v[54:55]
	v_add_f64 v[100:101], v[102:103], -v[100:101]
	s_delay_alu instid0(VALU_DEP_2) | instskip(SKIP_3) | instid1(VALU_DEP_2)
	v_add_f64 v[48:49], v[48:49], -v[54:55]
	s_waitcnt_depctr 0xfff
	v_fma_f64 v[112:113], -v[96:97], v[98:99], 1.0
	v_add_f64 v[34:35], v[34:35], -v[100:101]
	v_fma_f64 v[98:99], v[112:113], v[98:99], v[98:99]
	s_delay_alu instid0(VALU_DEP_1) | instskip(NEXT) | instid1(VALU_DEP_1)
	v_fma_f64 v[36:37], -v[96:97], v[98:99], 1.0
	v_fma_f64 v[36:37], v[36:37], v[98:99], v[98:99]
	s_delay_alu instid0(VALU_DEP_1) | instskip(NEXT) | instid1(VALU_DEP_1)
	v_mul_f64 v[98:99], v[102:103], v[36:37]
	v_mul_f64 v[112:113], v[96:97], v[98:99]
	s_delay_alu instid0(VALU_DEP_1) | instskip(NEXT) | instid1(VALU_DEP_1)
	v_fma_f64 v[54:55], v[98:99], v[96:97], -v[112:113]
	v_fma_f64 v[54:55], v[98:99], v[48:49], v[54:55]
	s_delay_alu instid0(VALU_DEP_1) | instskip(NEXT) | instid1(VALU_DEP_1)
	v_add_f64 v[114:115], v[112:113], v[54:55]
	v_add_f64 v[129:130], v[102:103], -v[114:115]
	v_add_f64 v[100:101], v[114:115], -v[112:113]
	s_delay_alu instid0(VALU_DEP_2) | instskip(NEXT) | instid1(VALU_DEP_2)
	v_add_f64 v[102:103], v[102:103], -v[129:130]
	v_add_f64 v[54:55], v[100:101], -v[54:55]
	s_delay_alu instid0(VALU_DEP_2) | instskip(NEXT) | instid1(VALU_DEP_1)
	v_add_f64 v[102:103], v[102:103], -v[114:115]
	v_add_f64 v[34:35], v[34:35], v[102:103]
	s_delay_alu instid0(VALU_DEP_1) | instskip(NEXT) | instid1(VALU_DEP_1)
	v_add_f64 v[34:35], v[54:55], v[34:35]
	v_add_f64 v[54:55], v[129:130], v[34:35]
	s_delay_alu instid0(VALU_DEP_1) | instskip(SKIP_1) | instid1(VALU_DEP_2)
	v_mul_f64 v[100:101], v[36:37], v[54:55]
	v_add_f64 v[114:115], v[129:130], -v[54:55]
	v_mul_f64 v[102:103], v[96:97], v[100:101]
	s_delay_alu instid0(VALU_DEP_2) | instskip(NEXT) | instid1(VALU_DEP_2)
	v_add_f64 v[34:35], v[34:35], v[114:115]
	v_fma_f64 v[96:97], v[100:101], v[96:97], -v[102:103]
	s_delay_alu instid0(VALU_DEP_1) | instskip(NEXT) | instid1(VALU_DEP_1)
	v_fma_f64 v[48:49], v[100:101], v[48:49], v[96:97]
	v_add_f64 v[96:97], v[102:103], v[48:49]
	s_delay_alu instid0(VALU_DEP_1) | instskip(SKIP_1) | instid1(VALU_DEP_2)
	v_add_f64 v[112:113], v[54:55], -v[96:97]
	v_add_f64 v[102:103], v[96:97], -v[102:103]
	;; [unrolled: 1-line block ×3, first 2 shown]
	s_delay_alu instid0(VALU_DEP_2) | instskip(NEXT) | instid1(VALU_DEP_2)
	v_add_f64 v[48:49], v[102:103], -v[48:49]
	v_add_f64 v[54:55], v[54:55], -v[96:97]
	s_delay_alu instid0(VALU_DEP_1) | instskip(SKIP_1) | instid1(VALU_DEP_2)
	v_add_f64 v[34:35], v[34:35], v[54:55]
	v_add_f64 v[54:55], v[98:99], v[100:101]
	;; [unrolled: 1-line block ×3, first 2 shown]
	s_delay_alu instid0(VALU_DEP_2) | instskip(NEXT) | instid1(VALU_DEP_2)
	v_add_f64 v[48:49], v[54:55], -v[98:99]
	v_add_f64 v[34:35], v[112:113], v[34:35]
	s_delay_alu instid0(VALU_DEP_2) | instskip(NEXT) | instid1(VALU_DEP_2)
	v_add_f64 v[48:49], v[100:101], -v[48:49]
	v_mul_f64 v[34:35], v[36:37], v[34:35]
	s_delay_alu instid0(VALU_DEP_1) | instskip(NEXT) | instid1(VALU_DEP_1)
	v_add_f64 v[34:35], v[48:49], v[34:35]
	v_add_f64 v[36:37], v[54:55], v[34:35]
	s_delay_alu instid0(VALU_DEP_1) | instskip(NEXT) | instid1(VALU_DEP_1)
	v_mul_f64 v[48:49], v[36:37], v[36:37]
	v_fma_f64 v[96:97], v[48:49], s[20:21], s[18:19]
	s_mov_b32 s18, 0xd7f4df2e
	s_mov_b32 s19, 0x3fc7474d
	v_mul_f64 v[98:99], v[36:37], v[48:49]
	s_delay_alu instid0(VALU_DEP_2)
	v_fma_f64 v[96:97], v[48:49], v[96:97], s[18:19]
	s_mov_b32 s18, 0x16291751
	s_mov_b32 s19, 0x3fcc71c0
	s_delay_alu instid0(VALU_DEP_1) | instid1(SALU_CYCLE_1)
	v_fma_f64 v[96:97], v[48:49], v[96:97], s[18:19]
	s_mov_b32 s18, 0x9b27acf1
	s_mov_b32 s19, 0x3fd24924
	s_delay_alu instid0(VALU_DEP_1) | instid1(SALU_CYCLE_1)
	;; [unrolled: 4-line block ×3, first 2 shown]
	v_fma_f64 v[96:97], v[48:49], v[96:97], s[18:19]
	s_delay_alu instid0(VALU_DEP_1) | instskip(SKIP_2) | instid1(VALU_DEP_3)
	v_fma_f64 v[48:49], v[48:49], v[96:97], s[6:7]
	v_ldexp_f64 v[96:97], v[36:37], 1
	v_add_f64 v[36:37], v[36:37], -v[54:55]
	v_mul_f64 v[48:49], v[98:99], v[48:49]
	v_cvt_f64_i32_e32 v[98:99], v131
	s_delay_alu instid0(VALU_DEP_3) | instskip(NEXT) | instid1(VALU_DEP_3)
	v_add_f64 v[34:35], v[34:35], -v[36:37]
	v_add_f64 v[54:55], v[96:97], v[48:49]
	s_delay_alu instid0(VALU_DEP_3) | instskip(NEXT) | instid1(VALU_DEP_3)
	v_mul_f64 v[100:101], v[98:99], s[2:3]
	v_ldexp_f64 v[34:35], v[34:35], 1
	s_delay_alu instid0(VALU_DEP_3) | instskip(NEXT) | instid1(VALU_DEP_3)
	v_add_f64 v[36:37], v[54:55], -v[96:97]
	v_fma_f64 v[96:97], v[98:99], s[2:3], -v[100:101]
	s_delay_alu instid0(VALU_DEP_2) | instskip(NEXT) | instid1(VALU_DEP_2)
	v_add_f64 v[36:37], v[48:49], -v[36:37]
	v_fma_f64 v[48:49], v[98:99], s[4:5], v[96:97]
	s_delay_alu instid0(VALU_DEP_2) | instskip(NEXT) | instid1(VALU_DEP_2)
	v_add_f64 v[34:35], v[34:35], v[36:37]
	v_add_f64 v[36:37], v[100:101], v[48:49]
	s_delay_alu instid0(VALU_DEP_2) | instskip(NEXT) | instid1(VALU_DEP_2)
	v_add_f64 v[96:97], v[54:55], v[34:35]
	v_add_f64 v[100:101], v[36:37], -v[100:101]
	s_delay_alu instid0(VALU_DEP_2) | instskip(SKIP_1) | instid1(VALU_DEP_3)
	v_add_f64 v[98:99], v[36:37], v[96:97]
	v_add_f64 v[54:55], v[96:97], -v[54:55]
	v_add_f64 v[48:49], v[48:49], -v[100:101]
	s_delay_alu instid0(VALU_DEP_3) | instskip(NEXT) | instid1(VALU_DEP_3)
	v_add_f64 v[102:103], v[98:99], -v[36:37]
	v_add_f64 v[34:35], v[34:35], -v[54:55]
	s_delay_alu instid0(VALU_DEP_2) | instskip(SKIP_1) | instid1(VALU_DEP_3)
	v_add_f64 v[112:113], v[98:99], -v[102:103]
	v_add_f64 v[54:55], v[96:97], -v[102:103]
	v_add_f64 v[96:97], v[48:49], v[34:35]
	s_delay_alu instid0(VALU_DEP_3) | instskip(NEXT) | instid1(VALU_DEP_1)
	v_add_f64 v[36:37], v[36:37], -v[112:113]
	v_add_f64 v[36:37], v[54:55], v[36:37]
	s_delay_alu instid0(VALU_DEP_3) | instskip(NEXT) | instid1(VALU_DEP_2)
	v_add_f64 v[54:55], v[96:97], -v[48:49]
	v_add_f64 v[36:37], v[96:97], v[36:37]
	s_delay_alu instid0(VALU_DEP_2) | instskip(SKIP_1) | instid1(VALU_DEP_3)
	v_add_f64 v[96:97], v[96:97], -v[54:55]
	v_add_f64 v[34:35], v[34:35], -v[54:55]
	v_add_f64 v[100:101], v[98:99], v[36:37]
	s_delay_alu instid0(VALU_DEP_3) | instskip(NEXT) | instid1(VALU_DEP_2)
	v_add_f64 v[48:49], v[48:49], -v[96:97]
	v_add_f64 v[54:55], v[100:101], -v[98:99]
	s_delay_alu instid0(VALU_DEP_2) | instskip(NEXT) | instid1(VALU_DEP_2)
	v_add_f64 v[34:35], v[34:35], v[48:49]
	v_add_f64 v[36:37], v[36:37], -v[54:55]
	s_delay_alu instid0(VALU_DEP_1) | instskip(NEXT) | instid1(VALU_DEP_1)
	v_add_f64 v[34:35], v[34:35], v[36:37]
	v_add_f64 v[34:35], v[100:101], v[34:35]
	s_delay_alu instid0(VALU_DEP_1) | instskip(SKIP_1) | instid1(VALU_DEP_2)
	v_dual_cndmask_b32 v35, v35, v15 :: v_dual_cndmask_b32 v34, v34, v14
	v_cmp_ngt_f64_e32 vcc_lo, -1.0, v[14:15]
	v_cndmask_b32_e32 v35, 0x7ff80000, v35, vcc_lo
	v_cmp_nge_f64_e32 vcc_lo, -1.0, v[14:15]
	s_delay_alu instid0(VALU_DEP_4) | instskip(SKIP_1) | instid1(VALU_DEP_4)
	v_cndmask_b32_e32 v34, 0, v34, vcc_lo
	v_cmp_neq_f64_e32 vcc_lo, -1.0, v[14:15]
	v_cndmask_b32_e32 v35, 0xfff00000, v35, vcc_lo
	s_delay_alu instid0(VALU_DEP_1)
	v_add_f64 v[14:15], v[32:33], v[34:35]
.LBB8_346:
	s_or_b32 exec_lo, exec_lo, s16
	s_delay_alu instid0(VALU_DEP_1) | instskip(SKIP_1) | instid1(VALU_DEP_2)
	v_max_f64 v[32:33], v[14:15], v[14:15]
	v_cmp_u_f64_e32 vcc_lo, v[14:15], v[14:15]
	v_min_f64 v[34:35], v[32:33], v[16:17]
	v_max_f64 v[16:17], v[32:33], v[16:17]
	s_delay_alu instid0(VALU_DEP_2) | instskip(NEXT) | instid1(VALU_DEP_2)
	v_dual_cndmask_b32 v32, v34, v14 :: v_dual_cndmask_b32 v33, v35, v15
	v_dual_cndmask_b32 v17, v17, v15 :: v_dual_cndmask_b32 v16, v16, v14
	s_delay_alu instid0(VALU_DEP_2) | instskip(NEXT) | instid1(VALU_DEP_3)
	v_cndmask_b32_e64 v34, v32, v84, s8
	v_cndmask_b32_e64 v35, v33, v85, s8
	s_delay_alu instid0(VALU_DEP_3) | instskip(NEXT) | instid1(VALU_DEP_4)
	v_cndmask_b32_e64 v33, v17, v85, s8
	v_cndmask_b32_e64 v32, v16, v84, s8
	v_dual_mov_b32 v17, v15 :: v_dual_mov_b32 v16, v14
	s_delay_alu instid0(VALU_DEP_4) | instskip(NEXT) | instid1(VALU_DEP_3)
	v_cmp_class_f64_e64 s1, v[34:35], 0x1f8
	v_cmp_neq_f64_e32 vcc_lo, v[34:35], v[32:33]
	s_delay_alu instid0(VALU_DEP_2) | instskip(NEXT) | instid1(SALU_CYCLE_1)
	s_or_b32 s1, vcc_lo, s1
	s_and_saveexec_b32 s8, s1
	s_cbranch_execz .LBB8_348
; %bb.347:
	v_add_f64 v[16:17], v[34:35], -v[32:33]
	s_mov_b32 s2, 0x652b82fe
	s_mov_b32 s3, 0x3ff71547
	;; [unrolled: 1-line block ×10, first 2 shown]
	s_delay_alu instid0(VALU_DEP_1) | instskip(SKIP_4) | instid1(VALU_DEP_3)
	v_mul_f64 v[34:35], v[16:17], s[2:3]
	s_mov_b32 s3, 0xbfe62e42
	s_mov_b32 s2, 0xfefa39ef
	v_cmp_nlt_f64_e32 vcc_lo, 0x40900000, v[16:17]
	v_cmp_ngt_f64_e64 s1, 0xc090cc00, v[16:17]
	v_rndne_f64_e32 v[34:35], v[34:35]
	s_delay_alu instid0(VALU_DEP_1) | instskip(SKIP_2) | instid1(VALU_DEP_2)
	v_fma_f64 v[36:37], v[34:35], s[2:3], v[16:17]
	v_cvt_i32_f64_e32 v54, v[34:35]
	s_mov_b32 s3, 0x3fe62e42
	v_fma_f64 v[36:37], v[34:35], s[4:5], v[36:37]
	s_mov_b32 s5, 0x3c7abc9e
	s_waitcnt lgkmcnt(0)
	s_delay_alu instid0(VALU_DEP_1) | instskip(SKIP_4) | instid1(VALU_DEP_1)
	v_fma_f64 v[48:49], v[36:37], s[16:17], s[6:7]
	s_mov_b32 s6, 0x623fde64
	s_mov_b32 s7, 0x3ec71dee
	;; [unrolled: 1-line block ×4, first 2 shown]
	v_fma_f64 v[48:49], v[36:37], v[48:49], s[6:7]
	s_mov_b32 s6, 0x7c89e6b0
	s_mov_b32 s7, 0x3efa0199
	s_delay_alu instid0(VALU_DEP_1) | instid1(SALU_CYCLE_1)
	v_fma_f64 v[48:49], v[36:37], v[48:49], s[6:7]
	s_mov_b32 s6, 0x14761f6e
	s_mov_b32 s7, 0x3f2a01a0
	s_delay_alu instid0(VALU_DEP_1) | instid1(SALU_CYCLE_1)
	;; [unrolled: 4-line block ×7, first 2 shown]
	v_fma_f64 v[48:49], v[36:37], v[48:49], s[6:7]
	s_mov_b32 s7, 0x3fe55555
	s_mov_b32 s6, 0x55555555
	s_delay_alu instid0(VALU_DEP_1) | instskip(NEXT) | instid1(VALU_DEP_1)
	v_fma_f64 v[48:49], v[36:37], v[48:49], 1.0
	v_fma_f64 v[34:35], v[36:37], v[48:49], 1.0
	s_delay_alu instid0(VALU_DEP_1) | instskip(NEXT) | instid1(VALU_DEP_1)
	v_ldexp_f64 v[34:35], v[34:35], v54
	v_cndmask_b32_e32 v35, 0x7ff00000, v35, vcc_lo
	s_and_b32 vcc_lo, s1, vcc_lo
	s_delay_alu instid0(VALU_DEP_1) | instskip(NEXT) | instid1(VALU_DEP_3)
	v_cndmask_b32_e64 v17, 0, v35, s1
	v_cndmask_b32_e32 v16, 0, v34, vcc_lo
	s_delay_alu instid0(VALU_DEP_1) | instskip(NEXT) | instid1(VALU_DEP_1)
	v_add_f64 v[34:35], v[16:17], 1.0
	v_frexp_mant_f64_e32 v[36:37], v[34:35]
	v_frexp_exp_i32_f64_e32 v54, v[34:35]
	v_add_f64 v[48:49], v[34:35], -1.0
	s_delay_alu instid0(VALU_DEP_3) | instskip(SKIP_1) | instid1(VALU_DEP_2)
	v_cmp_gt_f64_e32 vcc_lo, s[6:7], v[36:37]
	s_mov_b32 s6, 0x55555780
	v_add_f64 v[36:37], v[48:49], -v[34:35]
	v_add_f64 v[48:49], v[16:17], -v[48:49]
	v_subrev_co_ci_u32_e32 v129, vcc_lo, 0, v54, vcc_lo
	s_delay_alu instid0(VALU_DEP_3) | instskip(SKIP_1) | instid1(VALU_DEP_3)
	v_add_f64 v[36:37], v[36:37], 1.0
	v_cmp_eq_f64_e32 vcc_lo, 0x7ff00000, v[16:17]
	v_sub_nc_u32_e32 v84, 0, v129
	s_delay_alu instid0(VALU_DEP_1) | instskip(NEXT) | instid1(VALU_DEP_4)
	v_ldexp_f64 v[34:35], v[34:35], v84
	v_add_f64 v[36:37], v[48:49], v[36:37]
	s_delay_alu instid0(VALU_DEP_2) | instskip(SKIP_1) | instid1(VALU_DEP_3)
	v_add_f64 v[54:55], v[34:35], 1.0
	v_add_f64 v[98:99], v[34:35], -1.0
	v_ldexp_f64 v[36:37], v[36:37], v84
	s_delay_alu instid0(VALU_DEP_3) | instskip(NEXT) | instid1(VALU_DEP_3)
	v_add_f64 v[48:49], v[54:55], -1.0
	v_add_f64 v[100:101], v[98:99], 1.0
	s_delay_alu instid0(VALU_DEP_2) | instskip(NEXT) | instid1(VALU_DEP_2)
	v_add_f64 v[48:49], v[34:35], -v[48:49]
	v_add_f64 v[34:35], v[34:35], -v[100:101]
	s_delay_alu instid0(VALU_DEP_2) | instskip(NEXT) | instid1(VALU_DEP_2)
	v_add_f64 v[48:49], v[36:37], v[48:49]
	v_add_f64 v[34:35], v[36:37], v[34:35]
	s_delay_alu instid0(VALU_DEP_2) | instskip(NEXT) | instid1(VALU_DEP_2)
	v_add_f64 v[84:85], v[54:55], v[48:49]
	v_add_f64 v[100:101], v[98:99], v[34:35]
	s_delay_alu instid0(VALU_DEP_2) | instskip(SKIP_1) | instid1(VALU_DEP_2)
	v_rcp_f64_e32 v[96:97], v[84:85]
	v_add_f64 v[54:55], v[84:85], -v[54:55]
	v_add_f64 v[98:99], v[100:101], -v[98:99]
	s_delay_alu instid0(VALU_DEP_2) | instskip(SKIP_3) | instid1(VALU_DEP_2)
	v_add_f64 v[48:49], v[48:49], -v[54:55]
	s_waitcnt_depctr 0xfff
	v_fma_f64 v[102:103], -v[84:85], v[96:97], 1.0
	v_add_f64 v[34:35], v[34:35], -v[98:99]
	v_fma_f64 v[96:97], v[102:103], v[96:97], v[96:97]
	s_delay_alu instid0(VALU_DEP_1) | instskip(NEXT) | instid1(VALU_DEP_1)
	v_fma_f64 v[36:37], -v[84:85], v[96:97], 1.0
	v_fma_f64 v[36:37], v[36:37], v[96:97], v[96:97]
	s_delay_alu instid0(VALU_DEP_1) | instskip(NEXT) | instid1(VALU_DEP_1)
	v_mul_f64 v[96:97], v[100:101], v[36:37]
	v_mul_f64 v[102:103], v[84:85], v[96:97]
	s_delay_alu instid0(VALU_DEP_1) | instskip(NEXT) | instid1(VALU_DEP_1)
	v_fma_f64 v[54:55], v[96:97], v[84:85], -v[102:103]
	v_fma_f64 v[54:55], v[96:97], v[48:49], v[54:55]
	s_delay_alu instid0(VALU_DEP_1) | instskip(NEXT) | instid1(VALU_DEP_1)
	v_add_f64 v[112:113], v[102:103], v[54:55]
	v_add_f64 v[114:115], v[100:101], -v[112:113]
	v_add_f64 v[98:99], v[112:113], -v[102:103]
	s_delay_alu instid0(VALU_DEP_2) | instskip(NEXT) | instid1(VALU_DEP_2)
	v_add_f64 v[100:101], v[100:101], -v[114:115]
	v_add_f64 v[54:55], v[98:99], -v[54:55]
	s_delay_alu instid0(VALU_DEP_2) | instskip(NEXT) | instid1(VALU_DEP_1)
	v_add_f64 v[100:101], v[100:101], -v[112:113]
	v_add_f64 v[34:35], v[34:35], v[100:101]
	s_delay_alu instid0(VALU_DEP_1) | instskip(NEXT) | instid1(VALU_DEP_1)
	v_add_f64 v[34:35], v[54:55], v[34:35]
	v_add_f64 v[54:55], v[114:115], v[34:35]
	s_delay_alu instid0(VALU_DEP_1) | instskip(SKIP_1) | instid1(VALU_DEP_2)
	v_mul_f64 v[98:99], v[36:37], v[54:55]
	v_add_f64 v[112:113], v[114:115], -v[54:55]
	v_mul_f64 v[100:101], v[84:85], v[98:99]
	s_delay_alu instid0(VALU_DEP_2) | instskip(NEXT) | instid1(VALU_DEP_2)
	v_add_f64 v[34:35], v[34:35], v[112:113]
	v_fma_f64 v[84:85], v[98:99], v[84:85], -v[100:101]
	s_delay_alu instid0(VALU_DEP_1) | instskip(NEXT) | instid1(VALU_DEP_1)
	v_fma_f64 v[48:49], v[98:99], v[48:49], v[84:85]
	v_add_f64 v[84:85], v[100:101], v[48:49]
	s_delay_alu instid0(VALU_DEP_1) | instskip(SKIP_1) | instid1(VALU_DEP_2)
	v_add_f64 v[102:103], v[54:55], -v[84:85]
	v_add_f64 v[100:101], v[84:85], -v[100:101]
	;; [unrolled: 1-line block ×3, first 2 shown]
	s_delay_alu instid0(VALU_DEP_2) | instskip(NEXT) | instid1(VALU_DEP_2)
	v_add_f64 v[48:49], v[100:101], -v[48:49]
	v_add_f64 v[54:55], v[54:55], -v[84:85]
	s_delay_alu instid0(VALU_DEP_1) | instskip(SKIP_1) | instid1(VALU_DEP_2)
	v_add_f64 v[34:35], v[34:35], v[54:55]
	v_add_f64 v[54:55], v[96:97], v[98:99]
	;; [unrolled: 1-line block ×3, first 2 shown]
	s_delay_alu instid0(VALU_DEP_2) | instskip(NEXT) | instid1(VALU_DEP_2)
	v_add_f64 v[48:49], v[54:55], -v[96:97]
	v_add_f64 v[34:35], v[102:103], v[34:35]
	s_delay_alu instid0(VALU_DEP_2) | instskip(NEXT) | instid1(VALU_DEP_2)
	v_add_f64 v[48:49], v[98:99], -v[48:49]
	v_mul_f64 v[34:35], v[36:37], v[34:35]
	s_delay_alu instid0(VALU_DEP_1) | instskip(NEXT) | instid1(VALU_DEP_1)
	v_add_f64 v[34:35], v[48:49], v[34:35]
	v_add_f64 v[36:37], v[54:55], v[34:35]
	s_delay_alu instid0(VALU_DEP_1) | instskip(NEXT) | instid1(VALU_DEP_1)
	v_mul_f64 v[48:49], v[36:37], v[36:37]
	v_fma_f64 v[84:85], v[48:49], s[18:19], s[16:17]
	s_mov_b32 s16, 0xd7f4df2e
	s_mov_b32 s17, 0x3fc7474d
	v_mul_f64 v[96:97], v[36:37], v[48:49]
	s_delay_alu instid0(VALU_DEP_2)
	v_fma_f64 v[84:85], v[48:49], v[84:85], s[16:17]
	s_mov_b32 s16, 0x16291751
	s_mov_b32 s17, 0x3fcc71c0
	s_delay_alu instid0(VALU_DEP_1) | instid1(SALU_CYCLE_1)
	v_fma_f64 v[84:85], v[48:49], v[84:85], s[16:17]
	s_mov_b32 s16, 0x9b27acf1
	s_mov_b32 s17, 0x3fd24924
	s_delay_alu instid0(VALU_DEP_1) | instid1(SALU_CYCLE_1)
	;; [unrolled: 4-line block ×3, first 2 shown]
	v_fma_f64 v[84:85], v[48:49], v[84:85], s[16:17]
	s_delay_alu instid0(VALU_DEP_1) | instskip(SKIP_2) | instid1(VALU_DEP_3)
	v_fma_f64 v[48:49], v[48:49], v[84:85], s[6:7]
	v_ldexp_f64 v[84:85], v[36:37], 1
	v_add_f64 v[36:37], v[36:37], -v[54:55]
	v_mul_f64 v[48:49], v[96:97], v[48:49]
	v_cvt_f64_i32_e32 v[96:97], v129
	s_delay_alu instid0(VALU_DEP_3) | instskip(NEXT) | instid1(VALU_DEP_3)
	v_add_f64 v[34:35], v[34:35], -v[36:37]
	v_add_f64 v[54:55], v[84:85], v[48:49]
	s_delay_alu instid0(VALU_DEP_3) | instskip(NEXT) | instid1(VALU_DEP_3)
	v_mul_f64 v[98:99], v[96:97], s[2:3]
	v_ldexp_f64 v[34:35], v[34:35], 1
	s_delay_alu instid0(VALU_DEP_3) | instskip(NEXT) | instid1(VALU_DEP_3)
	v_add_f64 v[36:37], v[54:55], -v[84:85]
	v_fma_f64 v[84:85], v[96:97], s[2:3], -v[98:99]
	s_delay_alu instid0(VALU_DEP_2) | instskip(NEXT) | instid1(VALU_DEP_2)
	v_add_f64 v[36:37], v[48:49], -v[36:37]
	v_fma_f64 v[48:49], v[96:97], s[4:5], v[84:85]
	s_delay_alu instid0(VALU_DEP_2) | instskip(NEXT) | instid1(VALU_DEP_2)
	v_add_f64 v[34:35], v[34:35], v[36:37]
	v_add_f64 v[36:37], v[98:99], v[48:49]
	s_delay_alu instid0(VALU_DEP_2) | instskip(NEXT) | instid1(VALU_DEP_2)
	v_add_f64 v[84:85], v[54:55], v[34:35]
	v_add_f64 v[98:99], v[36:37], -v[98:99]
	s_delay_alu instid0(VALU_DEP_2) | instskip(SKIP_1) | instid1(VALU_DEP_3)
	v_add_f64 v[96:97], v[36:37], v[84:85]
	v_add_f64 v[54:55], v[84:85], -v[54:55]
	v_add_f64 v[48:49], v[48:49], -v[98:99]
	s_delay_alu instid0(VALU_DEP_3) | instskip(NEXT) | instid1(VALU_DEP_3)
	v_add_f64 v[100:101], v[96:97], -v[36:37]
	v_add_f64 v[34:35], v[34:35], -v[54:55]
	s_delay_alu instid0(VALU_DEP_2) | instskip(SKIP_1) | instid1(VALU_DEP_3)
	v_add_f64 v[102:103], v[96:97], -v[100:101]
	v_add_f64 v[54:55], v[84:85], -v[100:101]
	v_add_f64 v[84:85], v[48:49], v[34:35]
	s_delay_alu instid0(VALU_DEP_3) | instskip(NEXT) | instid1(VALU_DEP_1)
	v_add_f64 v[36:37], v[36:37], -v[102:103]
	v_add_f64 v[36:37], v[54:55], v[36:37]
	s_delay_alu instid0(VALU_DEP_3) | instskip(NEXT) | instid1(VALU_DEP_2)
	v_add_f64 v[54:55], v[84:85], -v[48:49]
	v_add_f64 v[36:37], v[84:85], v[36:37]
	s_delay_alu instid0(VALU_DEP_2) | instskip(SKIP_1) | instid1(VALU_DEP_3)
	v_add_f64 v[84:85], v[84:85], -v[54:55]
	v_add_f64 v[34:35], v[34:35], -v[54:55]
	v_add_f64 v[98:99], v[96:97], v[36:37]
	s_delay_alu instid0(VALU_DEP_3) | instskip(NEXT) | instid1(VALU_DEP_2)
	v_add_f64 v[48:49], v[48:49], -v[84:85]
	v_add_f64 v[54:55], v[98:99], -v[96:97]
	s_delay_alu instid0(VALU_DEP_2) | instskip(NEXT) | instid1(VALU_DEP_2)
	v_add_f64 v[34:35], v[34:35], v[48:49]
	v_add_f64 v[36:37], v[36:37], -v[54:55]
	s_delay_alu instid0(VALU_DEP_1) | instskip(NEXT) | instid1(VALU_DEP_1)
	v_add_f64 v[34:35], v[34:35], v[36:37]
	v_add_f64 v[34:35], v[98:99], v[34:35]
	s_delay_alu instid0(VALU_DEP_1) | instskip(SKIP_1) | instid1(VALU_DEP_2)
	v_dual_cndmask_b32 v35, v35, v17 :: v_dual_cndmask_b32 v34, v34, v16
	v_cmp_ngt_f64_e32 vcc_lo, -1.0, v[16:17]
	v_cndmask_b32_e32 v35, 0x7ff80000, v35, vcc_lo
	v_cmp_nge_f64_e32 vcc_lo, -1.0, v[16:17]
	s_delay_alu instid0(VALU_DEP_4) | instskip(SKIP_1) | instid1(VALU_DEP_4)
	v_cndmask_b32_e32 v34, 0, v34, vcc_lo
	v_cmp_neq_f64_e32 vcc_lo, -1.0, v[16:17]
	v_cndmask_b32_e32 v35, 0xfff00000, v35, vcc_lo
	s_delay_alu instid0(VALU_DEP_1)
	v_add_f64 v[16:17], v[32:33], v[34:35]
.LBB8_348:
	s_or_b32 exec_lo, exec_lo, s8
	s_delay_alu instid0(VALU_DEP_1) | instskip(SKIP_1) | instid1(VALU_DEP_2)
	v_max_f64 v[32:33], v[16:17], v[16:17]
	v_cmp_u_f64_e32 vcc_lo, v[16:17], v[16:17]
	v_min_f64 v[34:35], v[32:33], v[18:19]
	v_max_f64 v[18:19], v[32:33], v[18:19]
	s_delay_alu instid0(VALU_DEP_2) | instskip(NEXT) | instid1(VALU_DEP_2)
	v_dual_cndmask_b32 v32, v34, v16 :: v_dual_cndmask_b32 v33, v35, v17
	v_dual_cndmask_b32 v19, v19, v17 :: v_dual_cndmask_b32 v18, v18, v16
	s_delay_alu instid0(VALU_DEP_2) | instskip(NEXT) | instid1(VALU_DEP_3)
	v_cndmask_b32_e64 v34, v32, v86, s9
	v_cndmask_b32_e64 v35, v33, v87, s9
	s_delay_alu instid0(VALU_DEP_3) | instskip(NEXT) | instid1(VALU_DEP_4)
	v_cndmask_b32_e64 v33, v19, v87, s9
	v_cndmask_b32_e64 v32, v18, v86, s9
	v_dual_mov_b32 v19, v17 :: v_dual_mov_b32 v18, v16
	s_delay_alu instid0(VALU_DEP_4) | instskip(NEXT) | instid1(VALU_DEP_3)
	v_cmp_class_f64_e64 s1, v[34:35], 0x1f8
	v_cmp_neq_f64_e32 vcc_lo, v[34:35], v[32:33]
	s_delay_alu instid0(VALU_DEP_2) | instskip(NEXT) | instid1(SALU_CYCLE_1)
	s_or_b32 s1, vcc_lo, s1
	s_and_saveexec_b32 s8, s1
	s_cbranch_execz .LBB8_350
; %bb.349:
	v_add_f64 v[18:19], v[34:35], -v[32:33]
	s_mov_b32 s2, 0x652b82fe
	s_mov_b32 s3, 0x3ff71547
	;; [unrolled: 1-line block ×10, first 2 shown]
	s_delay_alu instid0(VALU_DEP_1) | instskip(SKIP_4) | instid1(VALU_DEP_3)
	v_mul_f64 v[34:35], v[18:19], s[2:3]
	s_mov_b32 s3, 0xbfe62e42
	s_mov_b32 s2, 0xfefa39ef
	v_cmp_nlt_f64_e32 vcc_lo, 0x40900000, v[18:19]
	v_cmp_ngt_f64_e64 s1, 0xc090cc00, v[18:19]
	v_rndne_f64_e32 v[34:35], v[34:35]
	s_delay_alu instid0(VALU_DEP_1) | instskip(SKIP_2) | instid1(VALU_DEP_2)
	v_fma_f64 v[36:37], v[34:35], s[2:3], v[18:19]
	v_cvt_i32_f64_e32 v54, v[34:35]
	s_mov_b32 s3, 0x3fe62e42
	v_fma_f64 v[36:37], v[34:35], s[4:5], v[36:37]
	s_mov_b32 s5, 0x3c7abc9e
	s_waitcnt lgkmcnt(0)
	s_delay_alu instid0(VALU_DEP_1) | instskip(SKIP_4) | instid1(VALU_DEP_1)
	v_fma_f64 v[48:49], v[36:37], s[16:17], s[6:7]
	s_mov_b32 s6, 0x623fde64
	s_mov_b32 s7, 0x3ec71dee
	;; [unrolled: 1-line block ×4, first 2 shown]
	v_fma_f64 v[48:49], v[36:37], v[48:49], s[6:7]
	s_mov_b32 s6, 0x7c89e6b0
	s_mov_b32 s7, 0x3efa0199
	s_delay_alu instid0(VALU_DEP_1) | instid1(SALU_CYCLE_1)
	v_fma_f64 v[48:49], v[36:37], v[48:49], s[6:7]
	s_mov_b32 s6, 0x14761f6e
	s_mov_b32 s7, 0x3f2a01a0
	s_delay_alu instid0(VALU_DEP_1) | instid1(SALU_CYCLE_1)
	;; [unrolled: 4-line block ×7, first 2 shown]
	v_fma_f64 v[48:49], v[36:37], v[48:49], s[6:7]
	s_mov_b32 s7, 0x3fe55555
	s_mov_b32 s6, 0x55555555
	s_delay_alu instid0(VALU_DEP_1) | instskip(NEXT) | instid1(VALU_DEP_1)
	v_fma_f64 v[48:49], v[36:37], v[48:49], 1.0
	v_fma_f64 v[34:35], v[36:37], v[48:49], 1.0
	s_delay_alu instid0(VALU_DEP_1) | instskip(NEXT) | instid1(VALU_DEP_1)
	v_ldexp_f64 v[34:35], v[34:35], v54
	v_cndmask_b32_e32 v35, 0x7ff00000, v35, vcc_lo
	s_and_b32 vcc_lo, s1, vcc_lo
	s_delay_alu instid0(VALU_DEP_1) | instskip(NEXT) | instid1(VALU_DEP_3)
	v_cndmask_b32_e64 v19, 0, v35, s1
	v_cndmask_b32_e32 v18, 0, v34, vcc_lo
	s_delay_alu instid0(VALU_DEP_1) | instskip(NEXT) | instid1(VALU_DEP_1)
	v_add_f64 v[34:35], v[18:19], 1.0
	v_frexp_mant_f64_e32 v[36:37], v[34:35]
	v_frexp_exp_i32_f64_e32 v54, v[34:35]
	v_add_f64 v[48:49], v[34:35], -1.0
	s_delay_alu instid0(VALU_DEP_3) | instskip(SKIP_1) | instid1(VALU_DEP_2)
	v_cmp_gt_f64_e32 vcc_lo, s[6:7], v[36:37]
	s_mov_b32 s6, 0x55555780
	v_add_f64 v[36:37], v[48:49], -v[34:35]
	v_add_f64 v[48:49], v[18:19], -v[48:49]
	v_subrev_co_ci_u32_e32 v114, vcc_lo, 0, v54, vcc_lo
	s_delay_alu instid0(VALU_DEP_3) | instskip(SKIP_1) | instid1(VALU_DEP_3)
	v_add_f64 v[36:37], v[36:37], 1.0
	v_cmp_eq_f64_e32 vcc_lo, 0x7ff00000, v[18:19]
	v_sub_nc_u32_e32 v84, 0, v114
	s_delay_alu instid0(VALU_DEP_1) | instskip(NEXT) | instid1(VALU_DEP_4)
	v_ldexp_f64 v[34:35], v[34:35], v84
	v_add_f64 v[36:37], v[48:49], v[36:37]
	s_delay_alu instid0(VALU_DEP_2) | instskip(SKIP_1) | instid1(VALU_DEP_3)
	v_add_f64 v[54:55], v[34:35], 1.0
	v_add_f64 v[96:97], v[34:35], -1.0
	v_ldexp_f64 v[36:37], v[36:37], v84
	s_delay_alu instid0(VALU_DEP_3) | instskip(NEXT) | instid1(VALU_DEP_3)
	v_add_f64 v[48:49], v[54:55], -1.0
	v_add_f64 v[98:99], v[96:97], 1.0
	s_delay_alu instid0(VALU_DEP_2) | instskip(NEXT) | instid1(VALU_DEP_2)
	v_add_f64 v[48:49], v[34:35], -v[48:49]
	v_add_f64 v[34:35], v[34:35], -v[98:99]
	s_delay_alu instid0(VALU_DEP_2) | instskip(NEXT) | instid1(VALU_DEP_2)
	v_add_f64 v[48:49], v[36:37], v[48:49]
	v_add_f64 v[34:35], v[36:37], v[34:35]
	s_delay_alu instid0(VALU_DEP_2) | instskip(NEXT) | instid1(VALU_DEP_2)
	v_add_f64 v[84:85], v[54:55], v[48:49]
	v_add_f64 v[98:99], v[96:97], v[34:35]
	s_delay_alu instid0(VALU_DEP_2) | instskip(SKIP_1) | instid1(VALU_DEP_2)
	v_rcp_f64_e32 v[86:87], v[84:85]
	v_add_f64 v[54:55], v[84:85], -v[54:55]
	v_add_f64 v[96:97], v[98:99], -v[96:97]
	s_delay_alu instid0(VALU_DEP_2) | instskip(SKIP_3) | instid1(VALU_DEP_2)
	v_add_f64 v[48:49], v[48:49], -v[54:55]
	s_waitcnt_depctr 0xfff
	v_fma_f64 v[100:101], -v[84:85], v[86:87], 1.0
	v_add_f64 v[34:35], v[34:35], -v[96:97]
	v_fma_f64 v[86:87], v[100:101], v[86:87], v[86:87]
	s_delay_alu instid0(VALU_DEP_1) | instskip(NEXT) | instid1(VALU_DEP_1)
	v_fma_f64 v[36:37], -v[84:85], v[86:87], 1.0
	v_fma_f64 v[36:37], v[36:37], v[86:87], v[86:87]
	s_delay_alu instid0(VALU_DEP_1) | instskip(NEXT) | instid1(VALU_DEP_1)
	v_mul_f64 v[86:87], v[98:99], v[36:37]
	v_mul_f64 v[100:101], v[84:85], v[86:87]
	s_delay_alu instid0(VALU_DEP_1) | instskip(NEXT) | instid1(VALU_DEP_1)
	v_fma_f64 v[54:55], v[86:87], v[84:85], -v[100:101]
	v_fma_f64 v[54:55], v[86:87], v[48:49], v[54:55]
	s_delay_alu instid0(VALU_DEP_1) | instskip(NEXT) | instid1(VALU_DEP_1)
	v_add_f64 v[102:103], v[100:101], v[54:55]
	v_add_f64 v[112:113], v[98:99], -v[102:103]
	v_add_f64 v[96:97], v[102:103], -v[100:101]
	s_delay_alu instid0(VALU_DEP_2) | instskip(NEXT) | instid1(VALU_DEP_2)
	v_add_f64 v[98:99], v[98:99], -v[112:113]
	v_add_f64 v[54:55], v[96:97], -v[54:55]
	s_delay_alu instid0(VALU_DEP_2) | instskip(NEXT) | instid1(VALU_DEP_1)
	v_add_f64 v[98:99], v[98:99], -v[102:103]
	v_add_f64 v[34:35], v[34:35], v[98:99]
	s_delay_alu instid0(VALU_DEP_1) | instskip(NEXT) | instid1(VALU_DEP_1)
	v_add_f64 v[34:35], v[54:55], v[34:35]
	v_add_f64 v[54:55], v[112:113], v[34:35]
	s_delay_alu instid0(VALU_DEP_1) | instskip(SKIP_1) | instid1(VALU_DEP_2)
	v_mul_f64 v[96:97], v[36:37], v[54:55]
	v_add_f64 v[102:103], v[112:113], -v[54:55]
	v_mul_f64 v[98:99], v[84:85], v[96:97]
	s_delay_alu instid0(VALU_DEP_2) | instskip(NEXT) | instid1(VALU_DEP_2)
	v_add_f64 v[34:35], v[34:35], v[102:103]
	v_fma_f64 v[84:85], v[96:97], v[84:85], -v[98:99]
	s_delay_alu instid0(VALU_DEP_1) | instskip(NEXT) | instid1(VALU_DEP_1)
	v_fma_f64 v[48:49], v[96:97], v[48:49], v[84:85]
	v_add_f64 v[84:85], v[98:99], v[48:49]
	s_delay_alu instid0(VALU_DEP_1) | instskip(SKIP_1) | instid1(VALU_DEP_2)
	v_add_f64 v[100:101], v[54:55], -v[84:85]
	v_add_f64 v[98:99], v[84:85], -v[98:99]
	v_add_f64 v[54:55], v[54:55], -v[100:101]
	s_delay_alu instid0(VALU_DEP_2) | instskip(NEXT) | instid1(VALU_DEP_2)
	v_add_f64 v[48:49], v[98:99], -v[48:49]
	v_add_f64 v[54:55], v[54:55], -v[84:85]
	s_delay_alu instid0(VALU_DEP_1) | instskip(SKIP_1) | instid1(VALU_DEP_2)
	v_add_f64 v[34:35], v[34:35], v[54:55]
	v_add_f64 v[54:55], v[86:87], v[96:97]
	;; [unrolled: 1-line block ×3, first 2 shown]
	s_delay_alu instid0(VALU_DEP_2) | instskip(NEXT) | instid1(VALU_DEP_2)
	v_add_f64 v[48:49], v[54:55], -v[86:87]
	v_add_f64 v[34:35], v[100:101], v[34:35]
	s_delay_alu instid0(VALU_DEP_2) | instskip(NEXT) | instid1(VALU_DEP_2)
	v_add_f64 v[48:49], v[96:97], -v[48:49]
	v_mul_f64 v[34:35], v[36:37], v[34:35]
	s_delay_alu instid0(VALU_DEP_1) | instskip(NEXT) | instid1(VALU_DEP_1)
	v_add_f64 v[34:35], v[48:49], v[34:35]
	v_add_f64 v[36:37], v[54:55], v[34:35]
	s_delay_alu instid0(VALU_DEP_1) | instskip(NEXT) | instid1(VALU_DEP_1)
	v_mul_f64 v[48:49], v[36:37], v[36:37]
	v_fma_f64 v[84:85], v[48:49], s[18:19], s[16:17]
	s_mov_b32 s16, 0xd7f4df2e
	s_mov_b32 s17, 0x3fc7474d
	v_mul_f64 v[86:87], v[36:37], v[48:49]
	s_delay_alu instid0(VALU_DEP_2)
	v_fma_f64 v[84:85], v[48:49], v[84:85], s[16:17]
	s_mov_b32 s16, 0x16291751
	s_mov_b32 s17, 0x3fcc71c0
	s_delay_alu instid0(VALU_DEP_1) | instid1(SALU_CYCLE_1)
	v_fma_f64 v[84:85], v[48:49], v[84:85], s[16:17]
	s_mov_b32 s16, 0x9b27acf1
	s_mov_b32 s17, 0x3fd24924
	s_delay_alu instid0(VALU_DEP_1) | instid1(SALU_CYCLE_1)
	;; [unrolled: 4-line block ×3, first 2 shown]
	v_fma_f64 v[84:85], v[48:49], v[84:85], s[16:17]
	s_delay_alu instid0(VALU_DEP_1) | instskip(SKIP_2) | instid1(VALU_DEP_3)
	v_fma_f64 v[48:49], v[48:49], v[84:85], s[6:7]
	v_ldexp_f64 v[84:85], v[36:37], 1
	v_add_f64 v[36:37], v[36:37], -v[54:55]
	v_mul_f64 v[48:49], v[86:87], v[48:49]
	v_cvt_f64_i32_e32 v[86:87], v114
	s_delay_alu instid0(VALU_DEP_3) | instskip(NEXT) | instid1(VALU_DEP_3)
	v_add_f64 v[34:35], v[34:35], -v[36:37]
	v_add_f64 v[54:55], v[84:85], v[48:49]
	s_delay_alu instid0(VALU_DEP_3) | instskip(NEXT) | instid1(VALU_DEP_3)
	v_mul_f64 v[96:97], v[86:87], s[2:3]
	v_ldexp_f64 v[34:35], v[34:35], 1
	s_delay_alu instid0(VALU_DEP_3) | instskip(NEXT) | instid1(VALU_DEP_3)
	v_add_f64 v[36:37], v[54:55], -v[84:85]
	v_fma_f64 v[84:85], v[86:87], s[2:3], -v[96:97]
	s_delay_alu instid0(VALU_DEP_2) | instskip(NEXT) | instid1(VALU_DEP_2)
	v_add_f64 v[36:37], v[48:49], -v[36:37]
	v_fma_f64 v[48:49], v[86:87], s[4:5], v[84:85]
	s_delay_alu instid0(VALU_DEP_2) | instskip(NEXT) | instid1(VALU_DEP_2)
	v_add_f64 v[34:35], v[34:35], v[36:37]
	v_add_f64 v[36:37], v[96:97], v[48:49]
	s_delay_alu instid0(VALU_DEP_2) | instskip(NEXT) | instid1(VALU_DEP_2)
	v_add_f64 v[84:85], v[54:55], v[34:35]
	v_add_f64 v[96:97], v[36:37], -v[96:97]
	s_delay_alu instid0(VALU_DEP_2) | instskip(SKIP_1) | instid1(VALU_DEP_3)
	v_add_f64 v[86:87], v[36:37], v[84:85]
	v_add_f64 v[54:55], v[84:85], -v[54:55]
	v_add_f64 v[48:49], v[48:49], -v[96:97]
	s_delay_alu instid0(VALU_DEP_3) | instskip(NEXT) | instid1(VALU_DEP_3)
	v_add_f64 v[98:99], v[86:87], -v[36:37]
	v_add_f64 v[34:35], v[34:35], -v[54:55]
	s_delay_alu instid0(VALU_DEP_2) | instskip(SKIP_1) | instid1(VALU_DEP_3)
	v_add_f64 v[100:101], v[86:87], -v[98:99]
	v_add_f64 v[54:55], v[84:85], -v[98:99]
	v_add_f64 v[84:85], v[48:49], v[34:35]
	s_delay_alu instid0(VALU_DEP_3) | instskip(NEXT) | instid1(VALU_DEP_1)
	v_add_f64 v[36:37], v[36:37], -v[100:101]
	v_add_f64 v[36:37], v[54:55], v[36:37]
	s_delay_alu instid0(VALU_DEP_3) | instskip(NEXT) | instid1(VALU_DEP_2)
	v_add_f64 v[54:55], v[84:85], -v[48:49]
	v_add_f64 v[36:37], v[84:85], v[36:37]
	s_delay_alu instid0(VALU_DEP_2) | instskip(SKIP_1) | instid1(VALU_DEP_3)
	v_add_f64 v[84:85], v[84:85], -v[54:55]
	v_add_f64 v[34:35], v[34:35], -v[54:55]
	v_add_f64 v[96:97], v[86:87], v[36:37]
	s_delay_alu instid0(VALU_DEP_3) | instskip(NEXT) | instid1(VALU_DEP_2)
	v_add_f64 v[48:49], v[48:49], -v[84:85]
	v_add_f64 v[54:55], v[96:97], -v[86:87]
	s_delay_alu instid0(VALU_DEP_2) | instskip(NEXT) | instid1(VALU_DEP_2)
	v_add_f64 v[34:35], v[34:35], v[48:49]
	v_add_f64 v[36:37], v[36:37], -v[54:55]
	s_delay_alu instid0(VALU_DEP_1) | instskip(NEXT) | instid1(VALU_DEP_1)
	v_add_f64 v[34:35], v[34:35], v[36:37]
	v_add_f64 v[34:35], v[96:97], v[34:35]
	s_delay_alu instid0(VALU_DEP_1) | instskip(SKIP_1) | instid1(VALU_DEP_2)
	v_dual_cndmask_b32 v35, v35, v19 :: v_dual_cndmask_b32 v34, v34, v18
	v_cmp_ngt_f64_e32 vcc_lo, -1.0, v[18:19]
	v_cndmask_b32_e32 v35, 0x7ff80000, v35, vcc_lo
	v_cmp_nge_f64_e32 vcc_lo, -1.0, v[18:19]
	s_delay_alu instid0(VALU_DEP_4) | instskip(SKIP_1) | instid1(VALU_DEP_4)
	v_cndmask_b32_e32 v34, 0, v34, vcc_lo
	v_cmp_neq_f64_e32 vcc_lo, -1.0, v[18:19]
	v_cndmask_b32_e32 v35, 0xfff00000, v35, vcc_lo
	s_delay_alu instid0(VALU_DEP_1)
	v_add_f64 v[18:19], v[32:33], v[34:35]
.LBB8_350:
	s_or_b32 exec_lo, exec_lo, s8
	s_delay_alu instid0(VALU_DEP_1) | instskip(SKIP_1) | instid1(VALU_DEP_2)
	v_max_f64 v[32:33], v[18:19], v[18:19]
	v_cmp_u_f64_e32 vcc_lo, v[18:19], v[18:19]
	v_min_f64 v[34:35], v[32:33], v[20:21]
	v_max_f64 v[20:21], v[32:33], v[20:21]
	s_delay_alu instid0(VALU_DEP_2) | instskip(NEXT) | instid1(VALU_DEP_2)
	v_dual_cndmask_b32 v32, v34, v18 :: v_dual_cndmask_b32 v33, v35, v19
	v_dual_cndmask_b32 v21, v21, v19 :: v_dual_cndmask_b32 v20, v20, v18
	s_delay_alu instid0(VALU_DEP_2) | instskip(NEXT) | instid1(VALU_DEP_3)
	v_cndmask_b32_e64 v34, v32, v80, s10
	v_cndmask_b32_e64 v35, v33, v81, s10
	s_delay_alu instid0(VALU_DEP_3) | instskip(NEXT) | instid1(VALU_DEP_4)
	v_cndmask_b32_e64 v33, v21, v81, s10
	v_cndmask_b32_e64 v32, v20, v80, s10
	v_dual_mov_b32 v21, v19 :: v_dual_mov_b32 v20, v18
	s_delay_alu instid0(VALU_DEP_4) | instskip(NEXT) | instid1(VALU_DEP_3)
	v_cmp_class_f64_e64 s1, v[34:35], 0x1f8
	v_cmp_neq_f64_e32 vcc_lo, v[34:35], v[32:33]
	s_delay_alu instid0(VALU_DEP_2) | instskip(NEXT) | instid1(SALU_CYCLE_1)
	s_or_b32 s1, vcc_lo, s1
	s_and_saveexec_b32 s8, s1
	s_cbranch_execz .LBB8_352
; %bb.351:
	v_add_f64 v[20:21], v[34:35], -v[32:33]
	s_mov_b32 s2, 0x652b82fe
	s_mov_b32 s3, 0x3ff71547
	;; [unrolled: 1-line block ×10, first 2 shown]
	s_delay_alu instid0(VALU_DEP_1) | instskip(SKIP_4) | instid1(VALU_DEP_3)
	v_mul_f64 v[34:35], v[20:21], s[2:3]
	s_mov_b32 s3, 0xbfe62e42
	s_mov_b32 s2, 0xfefa39ef
	v_cmp_nlt_f64_e32 vcc_lo, 0x40900000, v[20:21]
	v_cmp_ngt_f64_e64 s1, 0xc090cc00, v[20:21]
	v_rndne_f64_e32 v[34:35], v[34:35]
	s_delay_alu instid0(VALU_DEP_1) | instskip(SKIP_2) | instid1(VALU_DEP_2)
	v_fma_f64 v[36:37], v[34:35], s[2:3], v[20:21]
	v_cvt_i32_f64_e32 v54, v[34:35]
	s_mov_b32 s3, 0x3fe62e42
	v_fma_f64 v[36:37], v[34:35], s[4:5], v[36:37]
	s_mov_b32 s5, 0x3c7abc9e
	s_waitcnt lgkmcnt(0)
	s_delay_alu instid0(VALU_DEP_1) | instskip(SKIP_4) | instid1(VALU_DEP_1)
	v_fma_f64 v[48:49], v[36:37], s[16:17], s[6:7]
	s_mov_b32 s6, 0x623fde64
	s_mov_b32 s7, 0x3ec71dee
	;; [unrolled: 1-line block ×4, first 2 shown]
	v_fma_f64 v[48:49], v[36:37], v[48:49], s[6:7]
	s_mov_b32 s6, 0x7c89e6b0
	s_mov_b32 s7, 0x3efa0199
	s_delay_alu instid0(VALU_DEP_1) | instid1(SALU_CYCLE_1)
	v_fma_f64 v[48:49], v[36:37], v[48:49], s[6:7]
	s_mov_b32 s6, 0x14761f6e
	s_mov_b32 s7, 0x3f2a01a0
	s_delay_alu instid0(VALU_DEP_1) | instid1(SALU_CYCLE_1)
	;; [unrolled: 4-line block ×7, first 2 shown]
	v_fma_f64 v[48:49], v[36:37], v[48:49], s[6:7]
	s_mov_b32 s7, 0x3fe55555
	s_mov_b32 s6, 0x55555555
	s_delay_alu instid0(VALU_DEP_1) | instskip(NEXT) | instid1(VALU_DEP_1)
	v_fma_f64 v[48:49], v[36:37], v[48:49], 1.0
	v_fma_f64 v[34:35], v[36:37], v[48:49], 1.0
	s_delay_alu instid0(VALU_DEP_1) | instskip(NEXT) | instid1(VALU_DEP_1)
	v_ldexp_f64 v[34:35], v[34:35], v54
	v_cndmask_b32_e32 v35, 0x7ff00000, v35, vcc_lo
	s_and_b32 vcc_lo, s1, vcc_lo
	s_delay_alu instid0(VALU_DEP_1) | instskip(NEXT) | instid1(VALU_DEP_3)
	v_cndmask_b32_e64 v21, 0, v35, s1
	v_cndmask_b32_e32 v20, 0, v34, vcc_lo
	s_delay_alu instid0(VALU_DEP_1) | instskip(NEXT) | instid1(VALU_DEP_1)
	v_add_f64 v[34:35], v[20:21], 1.0
	v_frexp_mant_f64_e32 v[36:37], v[34:35]
	v_frexp_exp_i32_f64_e32 v54, v[34:35]
	v_add_f64 v[48:49], v[34:35], -1.0
	s_delay_alu instid0(VALU_DEP_3) | instskip(SKIP_1) | instid1(VALU_DEP_2)
	v_cmp_gt_f64_e32 vcc_lo, s[6:7], v[36:37]
	s_mov_b32 s6, 0x55555780
	v_add_f64 v[36:37], v[48:49], -v[34:35]
	v_add_f64 v[48:49], v[20:21], -v[48:49]
	v_subrev_co_ci_u32_e32 v112, vcc_lo, 0, v54, vcc_lo
	s_delay_alu instid0(VALU_DEP_3) | instskip(SKIP_1) | instid1(VALU_DEP_3)
	v_add_f64 v[36:37], v[36:37], 1.0
	v_cmp_eq_f64_e32 vcc_lo, 0x7ff00000, v[20:21]
	v_sub_nc_u32_e32 v80, 0, v112
	s_delay_alu instid0(VALU_DEP_1) | instskip(NEXT) | instid1(VALU_DEP_4)
	v_ldexp_f64 v[34:35], v[34:35], v80
	v_add_f64 v[36:37], v[48:49], v[36:37]
	s_delay_alu instid0(VALU_DEP_2) | instskip(SKIP_1) | instid1(VALU_DEP_3)
	v_add_f64 v[54:55], v[34:35], 1.0
	v_add_f64 v[86:87], v[34:35], -1.0
	v_ldexp_f64 v[36:37], v[36:37], v80
	s_delay_alu instid0(VALU_DEP_3) | instskip(NEXT) | instid1(VALU_DEP_3)
	v_add_f64 v[48:49], v[54:55], -1.0
	v_add_f64 v[96:97], v[86:87], 1.0
	s_delay_alu instid0(VALU_DEP_2) | instskip(NEXT) | instid1(VALU_DEP_2)
	v_add_f64 v[48:49], v[34:35], -v[48:49]
	v_add_f64 v[34:35], v[34:35], -v[96:97]
	s_delay_alu instid0(VALU_DEP_2) | instskip(NEXT) | instid1(VALU_DEP_2)
	v_add_f64 v[48:49], v[36:37], v[48:49]
	v_add_f64 v[34:35], v[36:37], v[34:35]
	s_delay_alu instid0(VALU_DEP_2) | instskip(NEXT) | instid1(VALU_DEP_2)
	v_add_f64 v[80:81], v[54:55], v[48:49]
	v_add_f64 v[96:97], v[86:87], v[34:35]
	s_delay_alu instid0(VALU_DEP_2) | instskip(SKIP_1) | instid1(VALU_DEP_2)
	v_rcp_f64_e32 v[84:85], v[80:81]
	v_add_f64 v[54:55], v[80:81], -v[54:55]
	v_add_f64 v[86:87], v[96:97], -v[86:87]
	s_delay_alu instid0(VALU_DEP_2) | instskip(SKIP_3) | instid1(VALU_DEP_2)
	v_add_f64 v[48:49], v[48:49], -v[54:55]
	s_waitcnt_depctr 0xfff
	v_fma_f64 v[98:99], -v[80:81], v[84:85], 1.0
	v_add_f64 v[34:35], v[34:35], -v[86:87]
	v_fma_f64 v[84:85], v[98:99], v[84:85], v[84:85]
	s_delay_alu instid0(VALU_DEP_1) | instskip(NEXT) | instid1(VALU_DEP_1)
	v_fma_f64 v[36:37], -v[80:81], v[84:85], 1.0
	v_fma_f64 v[36:37], v[36:37], v[84:85], v[84:85]
	s_delay_alu instid0(VALU_DEP_1) | instskip(NEXT) | instid1(VALU_DEP_1)
	v_mul_f64 v[84:85], v[96:97], v[36:37]
	v_mul_f64 v[98:99], v[80:81], v[84:85]
	s_delay_alu instid0(VALU_DEP_1) | instskip(NEXT) | instid1(VALU_DEP_1)
	v_fma_f64 v[54:55], v[84:85], v[80:81], -v[98:99]
	v_fma_f64 v[54:55], v[84:85], v[48:49], v[54:55]
	s_delay_alu instid0(VALU_DEP_1) | instskip(NEXT) | instid1(VALU_DEP_1)
	v_add_f64 v[100:101], v[98:99], v[54:55]
	v_add_f64 v[102:103], v[96:97], -v[100:101]
	v_add_f64 v[86:87], v[100:101], -v[98:99]
	s_delay_alu instid0(VALU_DEP_2) | instskip(NEXT) | instid1(VALU_DEP_2)
	v_add_f64 v[96:97], v[96:97], -v[102:103]
	v_add_f64 v[54:55], v[86:87], -v[54:55]
	s_delay_alu instid0(VALU_DEP_2) | instskip(NEXT) | instid1(VALU_DEP_1)
	v_add_f64 v[96:97], v[96:97], -v[100:101]
	v_add_f64 v[34:35], v[34:35], v[96:97]
	s_delay_alu instid0(VALU_DEP_1) | instskip(NEXT) | instid1(VALU_DEP_1)
	v_add_f64 v[34:35], v[54:55], v[34:35]
	v_add_f64 v[54:55], v[102:103], v[34:35]
	s_delay_alu instid0(VALU_DEP_1) | instskip(SKIP_1) | instid1(VALU_DEP_2)
	v_mul_f64 v[86:87], v[36:37], v[54:55]
	v_add_f64 v[100:101], v[102:103], -v[54:55]
	v_mul_f64 v[96:97], v[80:81], v[86:87]
	s_delay_alu instid0(VALU_DEP_2) | instskip(NEXT) | instid1(VALU_DEP_2)
	v_add_f64 v[34:35], v[34:35], v[100:101]
	v_fma_f64 v[80:81], v[86:87], v[80:81], -v[96:97]
	s_delay_alu instid0(VALU_DEP_1) | instskip(NEXT) | instid1(VALU_DEP_1)
	v_fma_f64 v[48:49], v[86:87], v[48:49], v[80:81]
	v_add_f64 v[80:81], v[96:97], v[48:49]
	s_delay_alu instid0(VALU_DEP_1) | instskip(SKIP_1) | instid1(VALU_DEP_2)
	v_add_f64 v[98:99], v[54:55], -v[80:81]
	v_add_f64 v[96:97], v[80:81], -v[96:97]
	;; [unrolled: 1-line block ×3, first 2 shown]
	s_delay_alu instid0(VALU_DEP_2) | instskip(NEXT) | instid1(VALU_DEP_2)
	v_add_f64 v[48:49], v[96:97], -v[48:49]
	v_add_f64 v[54:55], v[54:55], -v[80:81]
	s_delay_alu instid0(VALU_DEP_1) | instskip(SKIP_1) | instid1(VALU_DEP_2)
	v_add_f64 v[34:35], v[34:35], v[54:55]
	v_add_f64 v[54:55], v[84:85], v[86:87]
	;; [unrolled: 1-line block ×3, first 2 shown]
	s_delay_alu instid0(VALU_DEP_2) | instskip(NEXT) | instid1(VALU_DEP_2)
	v_add_f64 v[48:49], v[54:55], -v[84:85]
	v_add_f64 v[34:35], v[98:99], v[34:35]
	s_delay_alu instid0(VALU_DEP_2) | instskip(NEXT) | instid1(VALU_DEP_2)
	v_add_f64 v[48:49], v[86:87], -v[48:49]
	v_mul_f64 v[34:35], v[36:37], v[34:35]
	s_delay_alu instid0(VALU_DEP_1) | instskip(NEXT) | instid1(VALU_DEP_1)
	v_add_f64 v[34:35], v[48:49], v[34:35]
	v_add_f64 v[36:37], v[54:55], v[34:35]
	s_delay_alu instid0(VALU_DEP_1) | instskip(NEXT) | instid1(VALU_DEP_1)
	v_mul_f64 v[48:49], v[36:37], v[36:37]
	v_fma_f64 v[80:81], v[48:49], s[18:19], s[16:17]
	s_mov_b32 s16, 0xd7f4df2e
	s_mov_b32 s17, 0x3fc7474d
	v_mul_f64 v[84:85], v[36:37], v[48:49]
	s_delay_alu instid0(VALU_DEP_2)
	v_fma_f64 v[80:81], v[48:49], v[80:81], s[16:17]
	s_mov_b32 s16, 0x16291751
	s_mov_b32 s17, 0x3fcc71c0
	s_delay_alu instid0(VALU_DEP_1) | instid1(SALU_CYCLE_1)
	v_fma_f64 v[80:81], v[48:49], v[80:81], s[16:17]
	s_mov_b32 s16, 0x9b27acf1
	s_mov_b32 s17, 0x3fd24924
	s_delay_alu instid0(VALU_DEP_1) | instid1(SALU_CYCLE_1)
	;; [unrolled: 4-line block ×3, first 2 shown]
	v_fma_f64 v[80:81], v[48:49], v[80:81], s[16:17]
	s_delay_alu instid0(VALU_DEP_1) | instskip(SKIP_2) | instid1(VALU_DEP_3)
	v_fma_f64 v[48:49], v[48:49], v[80:81], s[6:7]
	v_ldexp_f64 v[80:81], v[36:37], 1
	v_add_f64 v[36:37], v[36:37], -v[54:55]
	v_mul_f64 v[48:49], v[84:85], v[48:49]
	v_cvt_f64_i32_e32 v[84:85], v112
	s_delay_alu instid0(VALU_DEP_3) | instskip(NEXT) | instid1(VALU_DEP_3)
	v_add_f64 v[34:35], v[34:35], -v[36:37]
	v_add_f64 v[54:55], v[80:81], v[48:49]
	s_delay_alu instid0(VALU_DEP_3) | instskip(NEXT) | instid1(VALU_DEP_3)
	v_mul_f64 v[86:87], v[84:85], s[2:3]
	v_ldexp_f64 v[34:35], v[34:35], 1
	s_delay_alu instid0(VALU_DEP_3) | instskip(NEXT) | instid1(VALU_DEP_3)
	v_add_f64 v[36:37], v[54:55], -v[80:81]
	v_fma_f64 v[80:81], v[84:85], s[2:3], -v[86:87]
	s_delay_alu instid0(VALU_DEP_2) | instskip(NEXT) | instid1(VALU_DEP_2)
	v_add_f64 v[36:37], v[48:49], -v[36:37]
	v_fma_f64 v[48:49], v[84:85], s[4:5], v[80:81]
	s_delay_alu instid0(VALU_DEP_2) | instskip(NEXT) | instid1(VALU_DEP_2)
	v_add_f64 v[34:35], v[34:35], v[36:37]
	v_add_f64 v[36:37], v[86:87], v[48:49]
	s_delay_alu instid0(VALU_DEP_2) | instskip(NEXT) | instid1(VALU_DEP_2)
	v_add_f64 v[80:81], v[54:55], v[34:35]
	v_add_f64 v[86:87], v[36:37], -v[86:87]
	s_delay_alu instid0(VALU_DEP_2) | instskip(SKIP_1) | instid1(VALU_DEP_3)
	v_add_f64 v[84:85], v[36:37], v[80:81]
	v_add_f64 v[54:55], v[80:81], -v[54:55]
	v_add_f64 v[48:49], v[48:49], -v[86:87]
	s_delay_alu instid0(VALU_DEP_3) | instskip(NEXT) | instid1(VALU_DEP_3)
	v_add_f64 v[96:97], v[84:85], -v[36:37]
	v_add_f64 v[34:35], v[34:35], -v[54:55]
	s_delay_alu instid0(VALU_DEP_2) | instskip(SKIP_1) | instid1(VALU_DEP_3)
	v_add_f64 v[98:99], v[84:85], -v[96:97]
	v_add_f64 v[54:55], v[80:81], -v[96:97]
	v_add_f64 v[80:81], v[48:49], v[34:35]
	s_delay_alu instid0(VALU_DEP_3) | instskip(NEXT) | instid1(VALU_DEP_1)
	v_add_f64 v[36:37], v[36:37], -v[98:99]
	v_add_f64 v[36:37], v[54:55], v[36:37]
	s_delay_alu instid0(VALU_DEP_3) | instskip(NEXT) | instid1(VALU_DEP_2)
	v_add_f64 v[54:55], v[80:81], -v[48:49]
	v_add_f64 v[36:37], v[80:81], v[36:37]
	s_delay_alu instid0(VALU_DEP_2) | instskip(SKIP_1) | instid1(VALU_DEP_3)
	v_add_f64 v[80:81], v[80:81], -v[54:55]
	v_add_f64 v[34:35], v[34:35], -v[54:55]
	v_add_f64 v[86:87], v[84:85], v[36:37]
	s_delay_alu instid0(VALU_DEP_3) | instskip(NEXT) | instid1(VALU_DEP_2)
	v_add_f64 v[48:49], v[48:49], -v[80:81]
	v_add_f64 v[54:55], v[86:87], -v[84:85]
	s_delay_alu instid0(VALU_DEP_2) | instskip(NEXT) | instid1(VALU_DEP_2)
	v_add_f64 v[34:35], v[34:35], v[48:49]
	v_add_f64 v[36:37], v[36:37], -v[54:55]
	s_delay_alu instid0(VALU_DEP_1) | instskip(NEXT) | instid1(VALU_DEP_1)
	v_add_f64 v[34:35], v[34:35], v[36:37]
	v_add_f64 v[34:35], v[86:87], v[34:35]
	s_delay_alu instid0(VALU_DEP_1) | instskip(SKIP_1) | instid1(VALU_DEP_2)
	v_dual_cndmask_b32 v35, v35, v21 :: v_dual_cndmask_b32 v34, v34, v20
	v_cmp_ngt_f64_e32 vcc_lo, -1.0, v[20:21]
	v_cndmask_b32_e32 v35, 0x7ff80000, v35, vcc_lo
	v_cmp_nge_f64_e32 vcc_lo, -1.0, v[20:21]
	s_delay_alu instid0(VALU_DEP_4) | instskip(SKIP_1) | instid1(VALU_DEP_4)
	v_cndmask_b32_e32 v34, 0, v34, vcc_lo
	v_cmp_neq_f64_e32 vcc_lo, -1.0, v[20:21]
	v_cndmask_b32_e32 v35, 0xfff00000, v35, vcc_lo
	s_delay_alu instid0(VALU_DEP_1)
	v_add_f64 v[20:21], v[32:33], v[34:35]
.LBB8_352:
	s_or_b32 exec_lo, exec_lo, s8
	s_delay_alu instid0(VALU_DEP_1) | instskip(SKIP_1) | instid1(VALU_DEP_2)
	v_max_f64 v[32:33], v[20:21], v[20:21]
	v_cmp_u_f64_e32 vcc_lo, v[20:21], v[20:21]
	v_min_f64 v[34:35], v[32:33], v[22:23]
	v_max_f64 v[22:23], v[32:33], v[22:23]
	s_delay_alu instid0(VALU_DEP_2) | instskip(NEXT) | instid1(VALU_DEP_2)
	v_dual_cndmask_b32 v32, v34, v20 :: v_dual_cndmask_b32 v33, v35, v21
	v_dual_cndmask_b32 v23, v23, v21 :: v_dual_cndmask_b32 v22, v22, v20
	s_delay_alu instid0(VALU_DEP_2) | instskip(NEXT) | instid1(VALU_DEP_3)
	v_cndmask_b32_e64 v34, v32, v82, s11
	v_cndmask_b32_e64 v35, v33, v83, s11
	s_delay_alu instid0(VALU_DEP_3) | instskip(NEXT) | instid1(VALU_DEP_4)
	v_cndmask_b32_e64 v33, v23, v83, s11
	v_cndmask_b32_e64 v32, v22, v82, s11
	v_dual_mov_b32 v23, v21 :: v_dual_mov_b32 v22, v20
	s_delay_alu instid0(VALU_DEP_4) | instskip(NEXT) | instid1(VALU_DEP_3)
	v_cmp_class_f64_e64 s1, v[34:35], 0x1f8
	v_cmp_neq_f64_e32 vcc_lo, v[34:35], v[32:33]
	s_delay_alu instid0(VALU_DEP_2) | instskip(NEXT) | instid1(SALU_CYCLE_1)
	s_or_b32 s1, vcc_lo, s1
	s_and_saveexec_b32 s8, s1
	s_cbranch_execz .LBB8_354
; %bb.353:
	v_add_f64 v[22:23], v[34:35], -v[32:33]
	s_mov_b32 s2, 0x652b82fe
	s_mov_b32 s3, 0x3ff71547
	;; [unrolled: 1-line block ×10, first 2 shown]
	s_delay_alu instid0(VALU_DEP_1) | instskip(SKIP_4) | instid1(VALU_DEP_3)
	v_mul_f64 v[34:35], v[22:23], s[2:3]
	s_mov_b32 s3, 0xbfe62e42
	s_mov_b32 s2, 0xfefa39ef
	v_cmp_nlt_f64_e32 vcc_lo, 0x40900000, v[22:23]
	v_cmp_ngt_f64_e64 s1, 0xc090cc00, v[22:23]
	v_rndne_f64_e32 v[34:35], v[34:35]
	s_delay_alu instid0(VALU_DEP_1) | instskip(SKIP_2) | instid1(VALU_DEP_2)
	v_fma_f64 v[36:37], v[34:35], s[2:3], v[22:23]
	v_cvt_i32_f64_e32 v54, v[34:35]
	s_mov_b32 s3, 0x3fe62e42
	v_fma_f64 v[36:37], v[34:35], s[4:5], v[36:37]
	s_mov_b32 s5, 0x3c7abc9e
	s_waitcnt lgkmcnt(0)
	s_delay_alu instid0(VALU_DEP_1) | instskip(SKIP_4) | instid1(VALU_DEP_1)
	v_fma_f64 v[48:49], v[36:37], s[10:11], s[6:7]
	s_mov_b32 s6, 0x623fde64
	s_mov_b32 s7, 0x3ec71dee
	;; [unrolled: 1-line block ×4, first 2 shown]
	v_fma_f64 v[48:49], v[36:37], v[48:49], s[6:7]
	s_mov_b32 s6, 0x7c89e6b0
	s_mov_b32 s7, 0x3efa0199
	s_delay_alu instid0(VALU_DEP_1) | instid1(SALU_CYCLE_1)
	v_fma_f64 v[48:49], v[36:37], v[48:49], s[6:7]
	s_mov_b32 s6, 0x14761f6e
	s_mov_b32 s7, 0x3f2a01a0
	s_delay_alu instid0(VALU_DEP_1) | instid1(SALU_CYCLE_1)
	;; [unrolled: 4-line block ×7, first 2 shown]
	v_fma_f64 v[48:49], v[36:37], v[48:49], s[6:7]
	s_mov_b32 s7, 0x3fe55555
	s_mov_b32 s6, 0x55555555
	s_delay_alu instid0(VALU_DEP_1) | instskip(NEXT) | instid1(VALU_DEP_1)
	v_fma_f64 v[48:49], v[36:37], v[48:49], 1.0
	v_fma_f64 v[34:35], v[36:37], v[48:49], 1.0
	s_delay_alu instid0(VALU_DEP_1) | instskip(NEXT) | instid1(VALU_DEP_1)
	v_ldexp_f64 v[34:35], v[34:35], v54
	v_cndmask_b32_e32 v35, 0x7ff00000, v35, vcc_lo
	s_and_b32 vcc_lo, s1, vcc_lo
	s_delay_alu instid0(VALU_DEP_1) | instskip(NEXT) | instid1(VALU_DEP_3)
	v_cndmask_b32_e64 v23, 0, v35, s1
	v_cndmask_b32_e32 v22, 0, v34, vcc_lo
	s_delay_alu instid0(VALU_DEP_1) | instskip(NEXT) | instid1(VALU_DEP_1)
	v_add_f64 v[34:35], v[22:23], 1.0
	v_frexp_mant_f64_e32 v[36:37], v[34:35]
	v_frexp_exp_i32_f64_e32 v54, v[34:35]
	v_add_f64 v[48:49], v[34:35], -1.0
	s_delay_alu instid0(VALU_DEP_3) | instskip(SKIP_1) | instid1(VALU_DEP_2)
	v_cmp_gt_f64_e32 vcc_lo, s[6:7], v[36:37]
	s_mov_b32 s6, 0x55555780
	v_add_f64 v[36:37], v[48:49], -v[34:35]
	v_add_f64 v[48:49], v[22:23], -v[48:49]
	v_subrev_co_ci_u32_e32 v102, vcc_lo, 0, v54, vcc_lo
	s_delay_alu instid0(VALU_DEP_3) | instskip(SKIP_1) | instid1(VALU_DEP_3)
	v_add_f64 v[36:37], v[36:37], 1.0
	v_cmp_eq_f64_e32 vcc_lo, 0x7ff00000, v[22:23]
	v_sub_nc_u32_e32 v80, 0, v102
	s_delay_alu instid0(VALU_DEP_1) | instskip(NEXT) | instid1(VALU_DEP_4)
	v_ldexp_f64 v[34:35], v[34:35], v80
	v_add_f64 v[36:37], v[48:49], v[36:37]
	s_delay_alu instid0(VALU_DEP_2) | instskip(SKIP_1) | instid1(VALU_DEP_3)
	v_add_f64 v[54:55], v[34:35], 1.0
	v_add_f64 v[84:85], v[34:35], -1.0
	v_ldexp_f64 v[36:37], v[36:37], v80
	s_delay_alu instid0(VALU_DEP_3) | instskip(NEXT) | instid1(VALU_DEP_3)
	v_add_f64 v[48:49], v[54:55], -1.0
	v_add_f64 v[86:87], v[84:85], 1.0
	s_delay_alu instid0(VALU_DEP_2) | instskip(NEXT) | instid1(VALU_DEP_2)
	v_add_f64 v[48:49], v[34:35], -v[48:49]
	v_add_f64 v[34:35], v[34:35], -v[86:87]
	s_delay_alu instid0(VALU_DEP_2) | instskip(NEXT) | instid1(VALU_DEP_2)
	v_add_f64 v[48:49], v[36:37], v[48:49]
	v_add_f64 v[34:35], v[36:37], v[34:35]
	s_delay_alu instid0(VALU_DEP_2) | instskip(NEXT) | instid1(VALU_DEP_2)
	v_add_f64 v[80:81], v[54:55], v[48:49]
	v_add_f64 v[86:87], v[84:85], v[34:35]
	s_delay_alu instid0(VALU_DEP_2) | instskip(SKIP_1) | instid1(VALU_DEP_2)
	v_rcp_f64_e32 v[82:83], v[80:81]
	v_add_f64 v[54:55], v[80:81], -v[54:55]
	v_add_f64 v[84:85], v[86:87], -v[84:85]
	s_delay_alu instid0(VALU_DEP_2) | instskip(SKIP_3) | instid1(VALU_DEP_2)
	v_add_f64 v[48:49], v[48:49], -v[54:55]
	s_waitcnt_depctr 0xfff
	v_fma_f64 v[96:97], -v[80:81], v[82:83], 1.0
	v_add_f64 v[34:35], v[34:35], -v[84:85]
	v_fma_f64 v[82:83], v[96:97], v[82:83], v[82:83]
	s_delay_alu instid0(VALU_DEP_1) | instskip(NEXT) | instid1(VALU_DEP_1)
	v_fma_f64 v[36:37], -v[80:81], v[82:83], 1.0
	v_fma_f64 v[36:37], v[36:37], v[82:83], v[82:83]
	s_delay_alu instid0(VALU_DEP_1) | instskip(NEXT) | instid1(VALU_DEP_1)
	v_mul_f64 v[82:83], v[86:87], v[36:37]
	v_mul_f64 v[96:97], v[80:81], v[82:83]
	s_delay_alu instid0(VALU_DEP_1) | instskip(NEXT) | instid1(VALU_DEP_1)
	v_fma_f64 v[54:55], v[82:83], v[80:81], -v[96:97]
	v_fma_f64 v[54:55], v[82:83], v[48:49], v[54:55]
	s_delay_alu instid0(VALU_DEP_1) | instskip(NEXT) | instid1(VALU_DEP_1)
	v_add_f64 v[98:99], v[96:97], v[54:55]
	v_add_f64 v[100:101], v[86:87], -v[98:99]
	v_add_f64 v[84:85], v[98:99], -v[96:97]
	s_delay_alu instid0(VALU_DEP_2) | instskip(NEXT) | instid1(VALU_DEP_2)
	v_add_f64 v[86:87], v[86:87], -v[100:101]
	v_add_f64 v[54:55], v[84:85], -v[54:55]
	s_delay_alu instid0(VALU_DEP_2) | instskip(NEXT) | instid1(VALU_DEP_1)
	v_add_f64 v[86:87], v[86:87], -v[98:99]
	v_add_f64 v[34:35], v[34:35], v[86:87]
	s_delay_alu instid0(VALU_DEP_1) | instskip(NEXT) | instid1(VALU_DEP_1)
	v_add_f64 v[34:35], v[54:55], v[34:35]
	v_add_f64 v[54:55], v[100:101], v[34:35]
	s_delay_alu instid0(VALU_DEP_1) | instskip(SKIP_1) | instid1(VALU_DEP_2)
	v_mul_f64 v[84:85], v[36:37], v[54:55]
	v_add_f64 v[98:99], v[100:101], -v[54:55]
	v_mul_f64 v[86:87], v[80:81], v[84:85]
	s_delay_alu instid0(VALU_DEP_2) | instskip(NEXT) | instid1(VALU_DEP_2)
	v_add_f64 v[34:35], v[34:35], v[98:99]
	v_fma_f64 v[80:81], v[84:85], v[80:81], -v[86:87]
	s_delay_alu instid0(VALU_DEP_1) | instskip(NEXT) | instid1(VALU_DEP_1)
	v_fma_f64 v[48:49], v[84:85], v[48:49], v[80:81]
	v_add_f64 v[80:81], v[86:87], v[48:49]
	s_delay_alu instid0(VALU_DEP_1) | instskip(SKIP_1) | instid1(VALU_DEP_2)
	v_add_f64 v[96:97], v[54:55], -v[80:81]
	v_add_f64 v[86:87], v[80:81], -v[86:87]
	;; [unrolled: 1-line block ×3, first 2 shown]
	s_delay_alu instid0(VALU_DEP_2) | instskip(NEXT) | instid1(VALU_DEP_2)
	v_add_f64 v[48:49], v[86:87], -v[48:49]
	v_add_f64 v[54:55], v[54:55], -v[80:81]
	s_delay_alu instid0(VALU_DEP_1) | instskip(SKIP_1) | instid1(VALU_DEP_2)
	v_add_f64 v[34:35], v[34:35], v[54:55]
	v_add_f64 v[54:55], v[82:83], v[84:85]
	;; [unrolled: 1-line block ×3, first 2 shown]
	s_delay_alu instid0(VALU_DEP_2) | instskip(NEXT) | instid1(VALU_DEP_2)
	v_add_f64 v[48:49], v[54:55], -v[82:83]
	v_add_f64 v[34:35], v[96:97], v[34:35]
	s_delay_alu instid0(VALU_DEP_2) | instskip(NEXT) | instid1(VALU_DEP_2)
	v_add_f64 v[48:49], v[84:85], -v[48:49]
	v_mul_f64 v[34:35], v[36:37], v[34:35]
	s_delay_alu instid0(VALU_DEP_1) | instskip(NEXT) | instid1(VALU_DEP_1)
	v_add_f64 v[34:35], v[48:49], v[34:35]
	v_add_f64 v[36:37], v[54:55], v[34:35]
	s_delay_alu instid0(VALU_DEP_1) | instskip(NEXT) | instid1(VALU_DEP_1)
	v_mul_f64 v[48:49], v[36:37], v[36:37]
	v_fma_f64 v[80:81], v[48:49], s[16:17], s[10:11]
	s_mov_b32 s10, 0xd7f4df2e
	s_mov_b32 s11, 0x3fc7474d
	v_mul_f64 v[82:83], v[36:37], v[48:49]
	s_delay_alu instid0(VALU_DEP_2)
	v_fma_f64 v[80:81], v[48:49], v[80:81], s[10:11]
	s_mov_b32 s10, 0x16291751
	s_mov_b32 s11, 0x3fcc71c0
	s_delay_alu instid0(VALU_DEP_1) | instid1(SALU_CYCLE_1)
	v_fma_f64 v[80:81], v[48:49], v[80:81], s[10:11]
	s_mov_b32 s10, 0x9b27acf1
	s_mov_b32 s11, 0x3fd24924
	s_delay_alu instid0(VALU_DEP_1) | instid1(SALU_CYCLE_1)
	v_fma_f64 v[80:81], v[48:49], v[80:81], s[10:11]
	s_mov_b32 s10, 0x998ef7b6
	s_mov_b32 s11, 0x3fd99999
	s_delay_alu instid0(VALU_DEP_1) | instid1(SALU_CYCLE_1)
	v_fma_f64 v[80:81], v[48:49], v[80:81], s[10:11]
	s_delay_alu instid0(VALU_DEP_1) | instskip(SKIP_2) | instid1(VALU_DEP_3)
	v_fma_f64 v[48:49], v[48:49], v[80:81], s[6:7]
	v_ldexp_f64 v[80:81], v[36:37], 1
	v_add_f64 v[36:37], v[36:37], -v[54:55]
	v_mul_f64 v[48:49], v[82:83], v[48:49]
	v_cvt_f64_i32_e32 v[82:83], v102
	s_delay_alu instid0(VALU_DEP_3) | instskip(NEXT) | instid1(VALU_DEP_3)
	v_add_f64 v[34:35], v[34:35], -v[36:37]
	v_add_f64 v[54:55], v[80:81], v[48:49]
	s_delay_alu instid0(VALU_DEP_3) | instskip(NEXT) | instid1(VALU_DEP_3)
	v_mul_f64 v[84:85], v[82:83], s[2:3]
	v_ldexp_f64 v[34:35], v[34:35], 1
	s_delay_alu instid0(VALU_DEP_3) | instskip(NEXT) | instid1(VALU_DEP_3)
	v_add_f64 v[36:37], v[54:55], -v[80:81]
	v_fma_f64 v[80:81], v[82:83], s[2:3], -v[84:85]
	s_delay_alu instid0(VALU_DEP_2) | instskip(NEXT) | instid1(VALU_DEP_2)
	v_add_f64 v[36:37], v[48:49], -v[36:37]
	v_fma_f64 v[48:49], v[82:83], s[4:5], v[80:81]
	s_delay_alu instid0(VALU_DEP_2) | instskip(NEXT) | instid1(VALU_DEP_2)
	v_add_f64 v[34:35], v[34:35], v[36:37]
	v_add_f64 v[36:37], v[84:85], v[48:49]
	s_delay_alu instid0(VALU_DEP_2) | instskip(NEXT) | instid1(VALU_DEP_2)
	v_add_f64 v[80:81], v[54:55], v[34:35]
	v_add_f64 v[84:85], v[36:37], -v[84:85]
	s_delay_alu instid0(VALU_DEP_2) | instskip(SKIP_1) | instid1(VALU_DEP_3)
	v_add_f64 v[82:83], v[36:37], v[80:81]
	v_add_f64 v[54:55], v[80:81], -v[54:55]
	v_add_f64 v[48:49], v[48:49], -v[84:85]
	s_delay_alu instid0(VALU_DEP_3) | instskip(NEXT) | instid1(VALU_DEP_3)
	v_add_f64 v[86:87], v[82:83], -v[36:37]
	v_add_f64 v[34:35], v[34:35], -v[54:55]
	s_delay_alu instid0(VALU_DEP_2) | instskip(SKIP_1) | instid1(VALU_DEP_3)
	v_add_f64 v[96:97], v[82:83], -v[86:87]
	v_add_f64 v[54:55], v[80:81], -v[86:87]
	v_add_f64 v[80:81], v[48:49], v[34:35]
	s_delay_alu instid0(VALU_DEP_3) | instskip(NEXT) | instid1(VALU_DEP_1)
	v_add_f64 v[36:37], v[36:37], -v[96:97]
	v_add_f64 v[36:37], v[54:55], v[36:37]
	s_delay_alu instid0(VALU_DEP_3) | instskip(NEXT) | instid1(VALU_DEP_2)
	v_add_f64 v[54:55], v[80:81], -v[48:49]
	v_add_f64 v[36:37], v[80:81], v[36:37]
	s_delay_alu instid0(VALU_DEP_2) | instskip(SKIP_1) | instid1(VALU_DEP_3)
	v_add_f64 v[80:81], v[80:81], -v[54:55]
	v_add_f64 v[34:35], v[34:35], -v[54:55]
	v_add_f64 v[84:85], v[82:83], v[36:37]
	s_delay_alu instid0(VALU_DEP_3) | instskip(NEXT) | instid1(VALU_DEP_2)
	v_add_f64 v[48:49], v[48:49], -v[80:81]
	v_add_f64 v[54:55], v[84:85], -v[82:83]
	s_delay_alu instid0(VALU_DEP_2) | instskip(NEXT) | instid1(VALU_DEP_2)
	v_add_f64 v[34:35], v[34:35], v[48:49]
	v_add_f64 v[36:37], v[36:37], -v[54:55]
	s_delay_alu instid0(VALU_DEP_1) | instskip(NEXT) | instid1(VALU_DEP_1)
	v_add_f64 v[34:35], v[34:35], v[36:37]
	v_add_f64 v[34:35], v[84:85], v[34:35]
	s_delay_alu instid0(VALU_DEP_1) | instskip(SKIP_1) | instid1(VALU_DEP_2)
	v_dual_cndmask_b32 v35, v35, v23 :: v_dual_cndmask_b32 v34, v34, v22
	v_cmp_ngt_f64_e32 vcc_lo, -1.0, v[22:23]
	v_cndmask_b32_e32 v35, 0x7ff80000, v35, vcc_lo
	v_cmp_nge_f64_e32 vcc_lo, -1.0, v[22:23]
	s_delay_alu instid0(VALU_DEP_4) | instskip(SKIP_1) | instid1(VALU_DEP_4)
	v_cndmask_b32_e32 v34, 0, v34, vcc_lo
	v_cmp_neq_f64_e32 vcc_lo, -1.0, v[22:23]
	v_cndmask_b32_e32 v35, 0xfff00000, v35, vcc_lo
	s_delay_alu instid0(VALU_DEP_1)
	v_add_f64 v[22:23], v[32:33], v[34:35]
.LBB8_354:
	s_or_b32 exec_lo, exec_lo, s8
	s_delay_alu instid0(VALU_DEP_1) | instskip(SKIP_1) | instid1(VALU_DEP_2)
	v_max_f64 v[32:33], v[22:23], v[22:23]
	v_cmp_u_f64_e32 vcc_lo, v[22:23], v[22:23]
	v_min_f64 v[34:35], v[32:33], v[24:25]
	v_max_f64 v[24:25], v[32:33], v[24:25]
	s_delay_alu instid0(VALU_DEP_2) | instskip(NEXT) | instid1(VALU_DEP_2)
	v_dual_cndmask_b32 v32, v34, v22 :: v_dual_cndmask_b32 v33, v35, v23
	v_dual_cndmask_b32 v25, v25, v23 :: v_dual_cndmask_b32 v24, v24, v22
	s_delay_alu instid0(VALU_DEP_2) | instskip(NEXT) | instid1(VALU_DEP_3)
	v_cndmask_b32_e64 v34, v32, v68, s12
	v_cndmask_b32_e64 v35, v33, v69, s12
	s_delay_alu instid0(VALU_DEP_3) | instskip(NEXT) | instid1(VALU_DEP_4)
	v_cndmask_b32_e64 v33, v25, v69, s12
	v_cndmask_b32_e64 v32, v24, v68, s12
	v_dual_mov_b32 v25, v23 :: v_dual_mov_b32 v24, v22
	s_delay_alu instid0(VALU_DEP_4) | instskip(NEXT) | instid1(VALU_DEP_3)
	v_cmp_class_f64_e64 s1, v[34:35], 0x1f8
	v_cmp_neq_f64_e32 vcc_lo, v[34:35], v[32:33]
	s_delay_alu instid0(VALU_DEP_2) | instskip(NEXT) | instid1(SALU_CYCLE_1)
	s_or_b32 s1, vcc_lo, s1
	s_and_saveexec_b32 s8, s1
	s_cbranch_execz .LBB8_356
; %bb.355:
	v_add_f64 v[24:25], v[34:35], -v[32:33]
	s_mov_b32 s2, 0x652b82fe
	s_mov_b32 s3, 0x3ff71547
	;; [unrolled: 1-line block ×10, first 2 shown]
	s_delay_alu instid0(VALU_DEP_1) | instskip(SKIP_4) | instid1(VALU_DEP_3)
	v_mul_f64 v[34:35], v[24:25], s[2:3]
	s_mov_b32 s3, 0xbfe62e42
	s_mov_b32 s2, 0xfefa39ef
	v_cmp_nlt_f64_e32 vcc_lo, 0x40900000, v[24:25]
	v_cmp_ngt_f64_e64 s1, 0xc090cc00, v[24:25]
	v_rndne_f64_e32 v[34:35], v[34:35]
	s_delay_alu instid0(VALU_DEP_1) | instskip(SKIP_2) | instid1(VALU_DEP_2)
	v_fma_f64 v[36:37], v[34:35], s[2:3], v[24:25]
	v_cvt_i32_f64_e32 v54, v[34:35]
	s_mov_b32 s3, 0x3fe62e42
	v_fma_f64 v[36:37], v[34:35], s[4:5], v[36:37]
	s_mov_b32 s5, 0x3c7abc9e
	s_waitcnt lgkmcnt(0)
	s_delay_alu instid0(VALU_DEP_1) | instskip(SKIP_4) | instid1(VALU_DEP_1)
	v_fma_f64 v[48:49], v[36:37], s[10:11], s[6:7]
	s_mov_b32 s6, 0x623fde64
	s_mov_b32 s7, 0x3ec71dee
	;; [unrolled: 1-line block ×4, first 2 shown]
	v_fma_f64 v[48:49], v[36:37], v[48:49], s[6:7]
	s_mov_b32 s6, 0x7c89e6b0
	s_mov_b32 s7, 0x3efa0199
	s_delay_alu instid0(VALU_DEP_1) | instid1(SALU_CYCLE_1)
	v_fma_f64 v[48:49], v[36:37], v[48:49], s[6:7]
	s_mov_b32 s6, 0x14761f6e
	s_mov_b32 s7, 0x3f2a01a0
	s_delay_alu instid0(VALU_DEP_1) | instid1(SALU_CYCLE_1)
	;; [unrolled: 4-line block ×7, first 2 shown]
	v_fma_f64 v[48:49], v[36:37], v[48:49], s[6:7]
	s_mov_b32 s7, 0x3fe55555
	s_mov_b32 s6, 0x55555555
	s_delay_alu instid0(VALU_DEP_1) | instskip(NEXT) | instid1(VALU_DEP_1)
	v_fma_f64 v[48:49], v[36:37], v[48:49], 1.0
	v_fma_f64 v[34:35], v[36:37], v[48:49], 1.0
	s_delay_alu instid0(VALU_DEP_1) | instskip(NEXT) | instid1(VALU_DEP_1)
	v_ldexp_f64 v[34:35], v[34:35], v54
	v_cndmask_b32_e32 v35, 0x7ff00000, v35, vcc_lo
	s_and_b32 vcc_lo, s1, vcc_lo
	s_delay_alu instid0(VALU_DEP_1) | instskip(NEXT) | instid1(VALU_DEP_3)
	v_cndmask_b32_e64 v25, 0, v35, s1
	v_cndmask_b32_e32 v24, 0, v34, vcc_lo
	s_delay_alu instid0(VALU_DEP_1) | instskip(NEXT) | instid1(VALU_DEP_1)
	v_add_f64 v[34:35], v[24:25], 1.0
	v_frexp_mant_f64_e32 v[36:37], v[34:35]
	v_frexp_exp_i32_f64_e32 v54, v[34:35]
	v_add_f64 v[48:49], v[34:35], -1.0
	s_delay_alu instid0(VALU_DEP_3) | instskip(SKIP_1) | instid1(VALU_DEP_2)
	v_cmp_gt_f64_e32 vcc_lo, s[6:7], v[36:37]
	s_mov_b32 s6, 0x55555780
	v_add_f64 v[36:37], v[48:49], -v[34:35]
	v_add_f64 v[48:49], v[24:25], -v[48:49]
	v_subrev_co_ci_u32_e32 v100, vcc_lo, 0, v54, vcc_lo
	s_delay_alu instid0(VALU_DEP_3) | instskip(SKIP_1) | instid1(VALU_DEP_3)
	v_add_f64 v[36:37], v[36:37], 1.0
	v_cmp_eq_f64_e32 vcc_lo, 0x7ff00000, v[24:25]
	v_sub_nc_u32_e32 v68, 0, v100
	s_delay_alu instid0(VALU_DEP_1) | instskip(NEXT) | instid1(VALU_DEP_4)
	v_ldexp_f64 v[34:35], v[34:35], v68
	v_add_f64 v[36:37], v[48:49], v[36:37]
	s_delay_alu instid0(VALU_DEP_2) | instskip(SKIP_1) | instid1(VALU_DEP_3)
	v_add_f64 v[54:55], v[34:35], 1.0
	v_add_f64 v[82:83], v[34:35], -1.0
	v_ldexp_f64 v[36:37], v[36:37], v68
	s_delay_alu instid0(VALU_DEP_3) | instskip(NEXT) | instid1(VALU_DEP_3)
	v_add_f64 v[48:49], v[54:55], -1.0
	v_add_f64 v[84:85], v[82:83], 1.0
	s_delay_alu instid0(VALU_DEP_2) | instskip(NEXT) | instid1(VALU_DEP_2)
	v_add_f64 v[48:49], v[34:35], -v[48:49]
	v_add_f64 v[34:35], v[34:35], -v[84:85]
	s_delay_alu instid0(VALU_DEP_2) | instskip(NEXT) | instid1(VALU_DEP_2)
	v_add_f64 v[48:49], v[36:37], v[48:49]
	v_add_f64 v[34:35], v[36:37], v[34:35]
	s_delay_alu instid0(VALU_DEP_2) | instskip(NEXT) | instid1(VALU_DEP_2)
	v_add_f64 v[68:69], v[54:55], v[48:49]
	v_add_f64 v[84:85], v[82:83], v[34:35]
	s_delay_alu instid0(VALU_DEP_2) | instskip(SKIP_1) | instid1(VALU_DEP_2)
	v_rcp_f64_e32 v[80:81], v[68:69]
	v_add_f64 v[54:55], v[68:69], -v[54:55]
	v_add_f64 v[82:83], v[84:85], -v[82:83]
	s_delay_alu instid0(VALU_DEP_2) | instskip(SKIP_3) | instid1(VALU_DEP_2)
	v_add_f64 v[48:49], v[48:49], -v[54:55]
	s_waitcnt_depctr 0xfff
	v_fma_f64 v[86:87], -v[68:69], v[80:81], 1.0
	v_add_f64 v[34:35], v[34:35], -v[82:83]
	v_fma_f64 v[80:81], v[86:87], v[80:81], v[80:81]
	s_delay_alu instid0(VALU_DEP_1) | instskip(NEXT) | instid1(VALU_DEP_1)
	v_fma_f64 v[36:37], -v[68:69], v[80:81], 1.0
	v_fma_f64 v[36:37], v[36:37], v[80:81], v[80:81]
	s_delay_alu instid0(VALU_DEP_1) | instskip(NEXT) | instid1(VALU_DEP_1)
	v_mul_f64 v[80:81], v[84:85], v[36:37]
	v_mul_f64 v[86:87], v[68:69], v[80:81]
	s_delay_alu instid0(VALU_DEP_1) | instskip(NEXT) | instid1(VALU_DEP_1)
	v_fma_f64 v[54:55], v[80:81], v[68:69], -v[86:87]
	v_fma_f64 v[54:55], v[80:81], v[48:49], v[54:55]
	s_delay_alu instid0(VALU_DEP_1) | instskip(NEXT) | instid1(VALU_DEP_1)
	v_add_f64 v[96:97], v[86:87], v[54:55]
	v_add_f64 v[98:99], v[84:85], -v[96:97]
	v_add_f64 v[82:83], v[96:97], -v[86:87]
	s_delay_alu instid0(VALU_DEP_2) | instskip(NEXT) | instid1(VALU_DEP_2)
	v_add_f64 v[84:85], v[84:85], -v[98:99]
	v_add_f64 v[54:55], v[82:83], -v[54:55]
	s_delay_alu instid0(VALU_DEP_2) | instskip(NEXT) | instid1(VALU_DEP_1)
	v_add_f64 v[84:85], v[84:85], -v[96:97]
	v_add_f64 v[34:35], v[34:35], v[84:85]
	s_delay_alu instid0(VALU_DEP_1) | instskip(NEXT) | instid1(VALU_DEP_1)
	v_add_f64 v[34:35], v[54:55], v[34:35]
	v_add_f64 v[54:55], v[98:99], v[34:35]
	s_delay_alu instid0(VALU_DEP_1) | instskip(SKIP_1) | instid1(VALU_DEP_2)
	v_mul_f64 v[82:83], v[36:37], v[54:55]
	v_add_f64 v[96:97], v[98:99], -v[54:55]
	v_mul_f64 v[84:85], v[68:69], v[82:83]
	s_delay_alu instid0(VALU_DEP_2) | instskip(NEXT) | instid1(VALU_DEP_2)
	v_add_f64 v[34:35], v[34:35], v[96:97]
	v_fma_f64 v[68:69], v[82:83], v[68:69], -v[84:85]
	s_delay_alu instid0(VALU_DEP_1) | instskip(NEXT) | instid1(VALU_DEP_1)
	v_fma_f64 v[48:49], v[82:83], v[48:49], v[68:69]
	v_add_f64 v[68:69], v[84:85], v[48:49]
	s_delay_alu instid0(VALU_DEP_1) | instskip(SKIP_1) | instid1(VALU_DEP_2)
	v_add_f64 v[86:87], v[54:55], -v[68:69]
	v_add_f64 v[84:85], v[68:69], -v[84:85]
	;; [unrolled: 1-line block ×3, first 2 shown]
	s_delay_alu instid0(VALU_DEP_2) | instskip(NEXT) | instid1(VALU_DEP_2)
	v_add_f64 v[48:49], v[84:85], -v[48:49]
	v_add_f64 v[54:55], v[54:55], -v[68:69]
	s_delay_alu instid0(VALU_DEP_1) | instskip(SKIP_1) | instid1(VALU_DEP_2)
	v_add_f64 v[34:35], v[34:35], v[54:55]
	v_add_f64 v[54:55], v[80:81], v[82:83]
	;; [unrolled: 1-line block ×3, first 2 shown]
	s_delay_alu instid0(VALU_DEP_2) | instskip(NEXT) | instid1(VALU_DEP_2)
	v_add_f64 v[48:49], v[54:55], -v[80:81]
	v_add_f64 v[34:35], v[86:87], v[34:35]
	s_delay_alu instid0(VALU_DEP_2) | instskip(NEXT) | instid1(VALU_DEP_2)
	v_add_f64 v[48:49], v[82:83], -v[48:49]
	v_mul_f64 v[34:35], v[36:37], v[34:35]
	s_delay_alu instid0(VALU_DEP_1) | instskip(NEXT) | instid1(VALU_DEP_1)
	v_add_f64 v[34:35], v[48:49], v[34:35]
	v_add_f64 v[36:37], v[54:55], v[34:35]
	s_delay_alu instid0(VALU_DEP_1) | instskip(NEXT) | instid1(VALU_DEP_1)
	v_mul_f64 v[48:49], v[36:37], v[36:37]
	v_fma_f64 v[68:69], v[48:49], s[16:17], s[10:11]
	s_mov_b32 s10, 0xd7f4df2e
	s_mov_b32 s11, 0x3fc7474d
	v_mul_f64 v[80:81], v[36:37], v[48:49]
	s_delay_alu instid0(VALU_DEP_2)
	v_fma_f64 v[68:69], v[48:49], v[68:69], s[10:11]
	s_mov_b32 s10, 0x16291751
	s_mov_b32 s11, 0x3fcc71c0
	s_delay_alu instid0(VALU_DEP_1) | instid1(SALU_CYCLE_1)
	v_fma_f64 v[68:69], v[48:49], v[68:69], s[10:11]
	s_mov_b32 s10, 0x9b27acf1
	s_mov_b32 s11, 0x3fd24924
	s_delay_alu instid0(VALU_DEP_1) | instid1(SALU_CYCLE_1)
	;; [unrolled: 4-line block ×3, first 2 shown]
	v_fma_f64 v[68:69], v[48:49], v[68:69], s[10:11]
	s_delay_alu instid0(VALU_DEP_1) | instskip(SKIP_2) | instid1(VALU_DEP_3)
	v_fma_f64 v[48:49], v[48:49], v[68:69], s[6:7]
	v_ldexp_f64 v[68:69], v[36:37], 1
	v_add_f64 v[36:37], v[36:37], -v[54:55]
	v_mul_f64 v[48:49], v[80:81], v[48:49]
	v_cvt_f64_i32_e32 v[80:81], v100
	s_delay_alu instid0(VALU_DEP_3) | instskip(NEXT) | instid1(VALU_DEP_3)
	v_add_f64 v[34:35], v[34:35], -v[36:37]
	v_add_f64 v[54:55], v[68:69], v[48:49]
	s_delay_alu instid0(VALU_DEP_3) | instskip(NEXT) | instid1(VALU_DEP_3)
	v_mul_f64 v[82:83], v[80:81], s[2:3]
	v_ldexp_f64 v[34:35], v[34:35], 1
	s_delay_alu instid0(VALU_DEP_3) | instskip(NEXT) | instid1(VALU_DEP_3)
	v_add_f64 v[36:37], v[54:55], -v[68:69]
	v_fma_f64 v[68:69], v[80:81], s[2:3], -v[82:83]
	s_delay_alu instid0(VALU_DEP_2) | instskip(NEXT) | instid1(VALU_DEP_2)
	v_add_f64 v[36:37], v[48:49], -v[36:37]
	v_fma_f64 v[48:49], v[80:81], s[4:5], v[68:69]
	s_delay_alu instid0(VALU_DEP_2) | instskip(NEXT) | instid1(VALU_DEP_2)
	v_add_f64 v[34:35], v[34:35], v[36:37]
	v_add_f64 v[36:37], v[82:83], v[48:49]
	s_delay_alu instid0(VALU_DEP_2) | instskip(NEXT) | instid1(VALU_DEP_2)
	v_add_f64 v[68:69], v[54:55], v[34:35]
	v_add_f64 v[82:83], v[36:37], -v[82:83]
	s_delay_alu instid0(VALU_DEP_2) | instskip(SKIP_1) | instid1(VALU_DEP_3)
	v_add_f64 v[80:81], v[36:37], v[68:69]
	v_add_f64 v[54:55], v[68:69], -v[54:55]
	v_add_f64 v[48:49], v[48:49], -v[82:83]
	s_delay_alu instid0(VALU_DEP_3) | instskip(NEXT) | instid1(VALU_DEP_3)
	v_add_f64 v[84:85], v[80:81], -v[36:37]
	v_add_f64 v[34:35], v[34:35], -v[54:55]
	s_delay_alu instid0(VALU_DEP_2) | instskip(SKIP_1) | instid1(VALU_DEP_3)
	v_add_f64 v[86:87], v[80:81], -v[84:85]
	v_add_f64 v[54:55], v[68:69], -v[84:85]
	v_add_f64 v[68:69], v[48:49], v[34:35]
	s_delay_alu instid0(VALU_DEP_3) | instskip(NEXT) | instid1(VALU_DEP_1)
	v_add_f64 v[36:37], v[36:37], -v[86:87]
	v_add_f64 v[36:37], v[54:55], v[36:37]
	s_delay_alu instid0(VALU_DEP_3) | instskip(NEXT) | instid1(VALU_DEP_2)
	v_add_f64 v[54:55], v[68:69], -v[48:49]
	v_add_f64 v[36:37], v[68:69], v[36:37]
	s_delay_alu instid0(VALU_DEP_2) | instskip(SKIP_1) | instid1(VALU_DEP_3)
	v_add_f64 v[68:69], v[68:69], -v[54:55]
	v_add_f64 v[34:35], v[34:35], -v[54:55]
	v_add_f64 v[82:83], v[80:81], v[36:37]
	s_delay_alu instid0(VALU_DEP_3) | instskip(NEXT) | instid1(VALU_DEP_2)
	v_add_f64 v[48:49], v[48:49], -v[68:69]
	v_add_f64 v[54:55], v[82:83], -v[80:81]
	s_delay_alu instid0(VALU_DEP_2) | instskip(NEXT) | instid1(VALU_DEP_2)
	v_add_f64 v[34:35], v[34:35], v[48:49]
	v_add_f64 v[36:37], v[36:37], -v[54:55]
	s_delay_alu instid0(VALU_DEP_1) | instskip(NEXT) | instid1(VALU_DEP_1)
	v_add_f64 v[34:35], v[34:35], v[36:37]
	v_add_f64 v[34:35], v[82:83], v[34:35]
	s_delay_alu instid0(VALU_DEP_1) | instskip(SKIP_1) | instid1(VALU_DEP_2)
	v_dual_cndmask_b32 v35, v35, v25 :: v_dual_cndmask_b32 v34, v34, v24
	v_cmp_ngt_f64_e32 vcc_lo, -1.0, v[24:25]
	v_cndmask_b32_e32 v35, 0x7ff80000, v35, vcc_lo
	v_cmp_nge_f64_e32 vcc_lo, -1.0, v[24:25]
	s_delay_alu instid0(VALU_DEP_4) | instskip(SKIP_1) | instid1(VALU_DEP_4)
	v_cndmask_b32_e32 v34, 0, v34, vcc_lo
	v_cmp_neq_f64_e32 vcc_lo, -1.0, v[24:25]
	v_cndmask_b32_e32 v35, 0xfff00000, v35, vcc_lo
	s_delay_alu instid0(VALU_DEP_1)
	v_add_f64 v[24:25], v[32:33], v[34:35]
.LBB8_356:
	s_or_b32 exec_lo, exec_lo, s8
	s_delay_alu instid0(VALU_DEP_1) | instskip(SKIP_1) | instid1(VALU_DEP_2)
	v_max_f64 v[32:33], v[24:25], v[24:25]
	v_cmp_u_f64_e32 vcc_lo, v[24:25], v[24:25]
	v_min_f64 v[34:35], v[32:33], v[26:27]
	v_max_f64 v[26:27], v[32:33], v[26:27]
	s_delay_alu instid0(VALU_DEP_2) | instskip(NEXT) | instid1(VALU_DEP_2)
	v_dual_cndmask_b32 v32, v34, v24 :: v_dual_cndmask_b32 v33, v35, v25
	v_dual_cndmask_b32 v27, v27, v25 :: v_dual_cndmask_b32 v26, v26, v24
	s_delay_alu instid0(VALU_DEP_2) | instskip(NEXT) | instid1(VALU_DEP_3)
	v_cndmask_b32_e64 v34, v32, v70, s13
	v_cndmask_b32_e64 v35, v33, v71, s13
	s_delay_alu instid0(VALU_DEP_3) | instskip(NEXT) | instid1(VALU_DEP_4)
	v_cndmask_b32_e64 v33, v27, v71, s13
	v_cndmask_b32_e64 v32, v26, v70, s13
	v_dual_mov_b32 v27, v25 :: v_dual_mov_b32 v26, v24
	s_delay_alu instid0(VALU_DEP_4) | instskip(NEXT) | instid1(VALU_DEP_3)
	v_cmp_class_f64_e64 s1, v[34:35], 0x1f8
	v_cmp_neq_f64_e32 vcc_lo, v[34:35], v[32:33]
	s_delay_alu instid0(VALU_DEP_2) | instskip(NEXT) | instid1(SALU_CYCLE_1)
	s_or_b32 s1, vcc_lo, s1
	s_and_saveexec_b32 s8, s1
	s_cbranch_execz .LBB8_358
; %bb.357:
	v_add_f64 v[26:27], v[34:35], -v[32:33]
	s_mov_b32 s2, 0x652b82fe
	s_mov_b32 s3, 0x3ff71547
	;; [unrolled: 1-line block ×10, first 2 shown]
	s_delay_alu instid0(VALU_DEP_1) | instskip(SKIP_4) | instid1(VALU_DEP_3)
	v_mul_f64 v[34:35], v[26:27], s[2:3]
	s_mov_b32 s3, 0xbfe62e42
	s_mov_b32 s2, 0xfefa39ef
	v_cmp_nlt_f64_e32 vcc_lo, 0x40900000, v[26:27]
	v_cmp_ngt_f64_e64 s1, 0xc090cc00, v[26:27]
	v_rndne_f64_e32 v[34:35], v[34:35]
	s_delay_alu instid0(VALU_DEP_1) | instskip(SKIP_2) | instid1(VALU_DEP_2)
	v_fma_f64 v[36:37], v[34:35], s[2:3], v[26:27]
	v_cvt_i32_f64_e32 v54, v[34:35]
	s_mov_b32 s3, 0x3fe62e42
	v_fma_f64 v[36:37], v[34:35], s[4:5], v[36:37]
	s_mov_b32 s5, 0x3c7abc9e
	s_waitcnt lgkmcnt(0)
	s_delay_alu instid0(VALU_DEP_1) | instskip(SKIP_4) | instid1(VALU_DEP_1)
	v_fma_f64 v[48:49], v[36:37], s[10:11], s[6:7]
	s_mov_b32 s6, 0x623fde64
	s_mov_b32 s7, 0x3ec71dee
	;; [unrolled: 1-line block ×4, first 2 shown]
	v_fma_f64 v[48:49], v[36:37], v[48:49], s[6:7]
	s_mov_b32 s6, 0x7c89e6b0
	s_mov_b32 s7, 0x3efa0199
	s_delay_alu instid0(VALU_DEP_1) | instid1(SALU_CYCLE_1)
	v_fma_f64 v[48:49], v[36:37], v[48:49], s[6:7]
	s_mov_b32 s6, 0x14761f6e
	s_mov_b32 s7, 0x3f2a01a0
	s_delay_alu instid0(VALU_DEP_1) | instid1(SALU_CYCLE_1)
	;; [unrolled: 4-line block ×7, first 2 shown]
	v_fma_f64 v[48:49], v[36:37], v[48:49], s[6:7]
	s_mov_b32 s7, 0x3fe55555
	s_mov_b32 s6, 0x55555555
	s_delay_alu instid0(VALU_DEP_1) | instskip(NEXT) | instid1(VALU_DEP_1)
	v_fma_f64 v[48:49], v[36:37], v[48:49], 1.0
	v_fma_f64 v[34:35], v[36:37], v[48:49], 1.0
	s_delay_alu instid0(VALU_DEP_1) | instskip(NEXT) | instid1(VALU_DEP_1)
	v_ldexp_f64 v[34:35], v[34:35], v54
	v_cndmask_b32_e32 v35, 0x7ff00000, v35, vcc_lo
	s_and_b32 vcc_lo, s1, vcc_lo
	s_delay_alu instid0(VALU_DEP_1) | instskip(NEXT) | instid1(VALU_DEP_3)
	v_cndmask_b32_e64 v27, 0, v35, s1
	v_cndmask_b32_e32 v26, 0, v34, vcc_lo
	s_delay_alu instid0(VALU_DEP_1) | instskip(NEXT) | instid1(VALU_DEP_1)
	v_add_f64 v[34:35], v[26:27], 1.0
	v_frexp_mant_f64_e32 v[36:37], v[34:35]
	v_frexp_exp_i32_f64_e32 v54, v[34:35]
	v_add_f64 v[48:49], v[34:35], -1.0
	s_delay_alu instid0(VALU_DEP_3) | instskip(SKIP_1) | instid1(VALU_DEP_2)
	v_cmp_gt_f64_e32 vcc_lo, s[6:7], v[36:37]
	s_mov_b32 s6, 0x55555780
	v_add_f64 v[36:37], v[48:49], -v[34:35]
	v_add_f64 v[48:49], v[26:27], -v[48:49]
	v_subrev_co_ci_u32_e32 v98, vcc_lo, 0, v54, vcc_lo
	s_delay_alu instid0(VALU_DEP_3) | instskip(SKIP_1) | instid1(VALU_DEP_3)
	v_add_f64 v[36:37], v[36:37], 1.0
	v_cmp_eq_f64_e32 vcc_lo, 0x7ff00000, v[26:27]
	v_sub_nc_u32_e32 v68, 0, v98
	s_delay_alu instid0(VALU_DEP_1) | instskip(NEXT) | instid1(VALU_DEP_4)
	v_ldexp_f64 v[34:35], v[34:35], v68
	v_add_f64 v[36:37], v[48:49], v[36:37]
	s_delay_alu instid0(VALU_DEP_2) | instskip(SKIP_1) | instid1(VALU_DEP_3)
	v_add_f64 v[54:55], v[34:35], 1.0
	v_add_f64 v[80:81], v[34:35], -1.0
	v_ldexp_f64 v[36:37], v[36:37], v68
	s_delay_alu instid0(VALU_DEP_3) | instskip(NEXT) | instid1(VALU_DEP_3)
	v_add_f64 v[48:49], v[54:55], -1.0
	v_add_f64 v[82:83], v[80:81], 1.0
	s_delay_alu instid0(VALU_DEP_2) | instskip(NEXT) | instid1(VALU_DEP_2)
	v_add_f64 v[48:49], v[34:35], -v[48:49]
	v_add_f64 v[34:35], v[34:35], -v[82:83]
	s_delay_alu instid0(VALU_DEP_2) | instskip(NEXT) | instid1(VALU_DEP_2)
	v_add_f64 v[48:49], v[36:37], v[48:49]
	v_add_f64 v[34:35], v[36:37], v[34:35]
	s_delay_alu instid0(VALU_DEP_2) | instskip(NEXT) | instid1(VALU_DEP_2)
	v_add_f64 v[68:69], v[54:55], v[48:49]
	v_add_f64 v[82:83], v[80:81], v[34:35]
	s_delay_alu instid0(VALU_DEP_2) | instskip(SKIP_1) | instid1(VALU_DEP_2)
	v_rcp_f64_e32 v[70:71], v[68:69]
	v_add_f64 v[54:55], v[68:69], -v[54:55]
	v_add_f64 v[80:81], v[82:83], -v[80:81]
	s_delay_alu instid0(VALU_DEP_2) | instskip(SKIP_3) | instid1(VALU_DEP_2)
	v_add_f64 v[48:49], v[48:49], -v[54:55]
	s_waitcnt_depctr 0xfff
	v_fma_f64 v[84:85], -v[68:69], v[70:71], 1.0
	v_add_f64 v[34:35], v[34:35], -v[80:81]
	v_fma_f64 v[70:71], v[84:85], v[70:71], v[70:71]
	s_delay_alu instid0(VALU_DEP_1) | instskip(NEXT) | instid1(VALU_DEP_1)
	v_fma_f64 v[36:37], -v[68:69], v[70:71], 1.0
	v_fma_f64 v[36:37], v[36:37], v[70:71], v[70:71]
	s_delay_alu instid0(VALU_DEP_1) | instskip(NEXT) | instid1(VALU_DEP_1)
	v_mul_f64 v[70:71], v[82:83], v[36:37]
	v_mul_f64 v[84:85], v[68:69], v[70:71]
	s_delay_alu instid0(VALU_DEP_1) | instskip(NEXT) | instid1(VALU_DEP_1)
	v_fma_f64 v[54:55], v[70:71], v[68:69], -v[84:85]
	v_fma_f64 v[54:55], v[70:71], v[48:49], v[54:55]
	s_delay_alu instid0(VALU_DEP_1) | instskip(NEXT) | instid1(VALU_DEP_1)
	v_add_f64 v[86:87], v[84:85], v[54:55]
	v_add_f64 v[96:97], v[82:83], -v[86:87]
	v_add_f64 v[80:81], v[86:87], -v[84:85]
	s_delay_alu instid0(VALU_DEP_2) | instskip(NEXT) | instid1(VALU_DEP_2)
	v_add_f64 v[82:83], v[82:83], -v[96:97]
	v_add_f64 v[54:55], v[80:81], -v[54:55]
	s_delay_alu instid0(VALU_DEP_2) | instskip(NEXT) | instid1(VALU_DEP_1)
	v_add_f64 v[82:83], v[82:83], -v[86:87]
	v_add_f64 v[34:35], v[34:35], v[82:83]
	s_delay_alu instid0(VALU_DEP_1) | instskip(NEXT) | instid1(VALU_DEP_1)
	v_add_f64 v[34:35], v[54:55], v[34:35]
	v_add_f64 v[54:55], v[96:97], v[34:35]
	s_delay_alu instid0(VALU_DEP_1) | instskip(SKIP_1) | instid1(VALU_DEP_2)
	v_mul_f64 v[80:81], v[36:37], v[54:55]
	v_add_f64 v[86:87], v[96:97], -v[54:55]
	v_mul_f64 v[82:83], v[68:69], v[80:81]
	s_delay_alu instid0(VALU_DEP_2) | instskip(NEXT) | instid1(VALU_DEP_2)
	v_add_f64 v[34:35], v[34:35], v[86:87]
	v_fma_f64 v[68:69], v[80:81], v[68:69], -v[82:83]
	s_delay_alu instid0(VALU_DEP_1) | instskip(NEXT) | instid1(VALU_DEP_1)
	v_fma_f64 v[48:49], v[80:81], v[48:49], v[68:69]
	v_add_f64 v[68:69], v[82:83], v[48:49]
	s_delay_alu instid0(VALU_DEP_1) | instskip(SKIP_1) | instid1(VALU_DEP_2)
	v_add_f64 v[84:85], v[54:55], -v[68:69]
	v_add_f64 v[82:83], v[68:69], -v[82:83]
	;; [unrolled: 1-line block ×3, first 2 shown]
	s_delay_alu instid0(VALU_DEP_2) | instskip(NEXT) | instid1(VALU_DEP_2)
	v_add_f64 v[48:49], v[82:83], -v[48:49]
	v_add_f64 v[54:55], v[54:55], -v[68:69]
	s_delay_alu instid0(VALU_DEP_1) | instskip(SKIP_1) | instid1(VALU_DEP_2)
	v_add_f64 v[34:35], v[34:35], v[54:55]
	v_add_f64 v[54:55], v[70:71], v[80:81]
	;; [unrolled: 1-line block ×3, first 2 shown]
	s_delay_alu instid0(VALU_DEP_2) | instskip(NEXT) | instid1(VALU_DEP_2)
	v_add_f64 v[48:49], v[54:55], -v[70:71]
	v_add_f64 v[34:35], v[84:85], v[34:35]
	s_delay_alu instid0(VALU_DEP_2) | instskip(NEXT) | instid1(VALU_DEP_2)
	v_add_f64 v[48:49], v[80:81], -v[48:49]
	v_mul_f64 v[34:35], v[36:37], v[34:35]
	s_delay_alu instid0(VALU_DEP_1) | instskip(NEXT) | instid1(VALU_DEP_1)
	v_add_f64 v[34:35], v[48:49], v[34:35]
	v_add_f64 v[36:37], v[54:55], v[34:35]
	s_delay_alu instid0(VALU_DEP_1) | instskip(NEXT) | instid1(VALU_DEP_1)
	v_mul_f64 v[48:49], v[36:37], v[36:37]
	v_fma_f64 v[68:69], v[48:49], s[12:13], s[10:11]
	s_mov_b32 s10, 0xd7f4df2e
	s_mov_b32 s11, 0x3fc7474d
	v_mul_f64 v[70:71], v[36:37], v[48:49]
	s_delay_alu instid0(VALU_DEP_2)
	v_fma_f64 v[68:69], v[48:49], v[68:69], s[10:11]
	s_mov_b32 s10, 0x16291751
	s_mov_b32 s11, 0x3fcc71c0
	s_delay_alu instid0(VALU_DEP_1) | instid1(SALU_CYCLE_1)
	v_fma_f64 v[68:69], v[48:49], v[68:69], s[10:11]
	s_mov_b32 s10, 0x9b27acf1
	s_mov_b32 s11, 0x3fd24924
	s_delay_alu instid0(VALU_DEP_1) | instid1(SALU_CYCLE_1)
	;; [unrolled: 4-line block ×3, first 2 shown]
	v_fma_f64 v[68:69], v[48:49], v[68:69], s[10:11]
	s_delay_alu instid0(VALU_DEP_1) | instskip(SKIP_2) | instid1(VALU_DEP_3)
	v_fma_f64 v[48:49], v[48:49], v[68:69], s[6:7]
	v_ldexp_f64 v[68:69], v[36:37], 1
	v_add_f64 v[36:37], v[36:37], -v[54:55]
	v_mul_f64 v[48:49], v[70:71], v[48:49]
	v_cvt_f64_i32_e32 v[70:71], v98
	s_delay_alu instid0(VALU_DEP_3) | instskip(NEXT) | instid1(VALU_DEP_3)
	v_add_f64 v[34:35], v[34:35], -v[36:37]
	v_add_f64 v[54:55], v[68:69], v[48:49]
	s_delay_alu instid0(VALU_DEP_3) | instskip(NEXT) | instid1(VALU_DEP_3)
	v_mul_f64 v[80:81], v[70:71], s[2:3]
	v_ldexp_f64 v[34:35], v[34:35], 1
	s_delay_alu instid0(VALU_DEP_3) | instskip(NEXT) | instid1(VALU_DEP_3)
	v_add_f64 v[36:37], v[54:55], -v[68:69]
	v_fma_f64 v[68:69], v[70:71], s[2:3], -v[80:81]
	s_delay_alu instid0(VALU_DEP_2) | instskip(NEXT) | instid1(VALU_DEP_2)
	v_add_f64 v[36:37], v[48:49], -v[36:37]
	v_fma_f64 v[48:49], v[70:71], s[4:5], v[68:69]
	s_delay_alu instid0(VALU_DEP_2) | instskip(NEXT) | instid1(VALU_DEP_2)
	v_add_f64 v[34:35], v[34:35], v[36:37]
	v_add_f64 v[36:37], v[80:81], v[48:49]
	s_delay_alu instid0(VALU_DEP_2) | instskip(NEXT) | instid1(VALU_DEP_2)
	v_add_f64 v[68:69], v[54:55], v[34:35]
	v_add_f64 v[80:81], v[36:37], -v[80:81]
	s_delay_alu instid0(VALU_DEP_2) | instskip(SKIP_1) | instid1(VALU_DEP_3)
	v_add_f64 v[70:71], v[36:37], v[68:69]
	v_add_f64 v[54:55], v[68:69], -v[54:55]
	v_add_f64 v[48:49], v[48:49], -v[80:81]
	s_delay_alu instid0(VALU_DEP_3) | instskip(NEXT) | instid1(VALU_DEP_3)
	v_add_f64 v[82:83], v[70:71], -v[36:37]
	v_add_f64 v[34:35], v[34:35], -v[54:55]
	s_delay_alu instid0(VALU_DEP_2) | instskip(SKIP_1) | instid1(VALU_DEP_3)
	v_add_f64 v[84:85], v[70:71], -v[82:83]
	v_add_f64 v[54:55], v[68:69], -v[82:83]
	v_add_f64 v[68:69], v[48:49], v[34:35]
	s_delay_alu instid0(VALU_DEP_3) | instskip(NEXT) | instid1(VALU_DEP_1)
	v_add_f64 v[36:37], v[36:37], -v[84:85]
	v_add_f64 v[36:37], v[54:55], v[36:37]
	s_delay_alu instid0(VALU_DEP_3) | instskip(NEXT) | instid1(VALU_DEP_2)
	v_add_f64 v[54:55], v[68:69], -v[48:49]
	v_add_f64 v[36:37], v[68:69], v[36:37]
	s_delay_alu instid0(VALU_DEP_2) | instskip(SKIP_1) | instid1(VALU_DEP_3)
	v_add_f64 v[68:69], v[68:69], -v[54:55]
	v_add_f64 v[34:35], v[34:35], -v[54:55]
	v_add_f64 v[80:81], v[70:71], v[36:37]
	s_delay_alu instid0(VALU_DEP_3) | instskip(NEXT) | instid1(VALU_DEP_2)
	v_add_f64 v[48:49], v[48:49], -v[68:69]
	v_add_f64 v[54:55], v[80:81], -v[70:71]
	s_delay_alu instid0(VALU_DEP_2) | instskip(NEXT) | instid1(VALU_DEP_2)
	v_add_f64 v[34:35], v[34:35], v[48:49]
	v_add_f64 v[36:37], v[36:37], -v[54:55]
	s_delay_alu instid0(VALU_DEP_1) | instskip(NEXT) | instid1(VALU_DEP_1)
	v_add_f64 v[34:35], v[34:35], v[36:37]
	v_add_f64 v[34:35], v[80:81], v[34:35]
	s_delay_alu instid0(VALU_DEP_1) | instskip(SKIP_1) | instid1(VALU_DEP_2)
	v_dual_cndmask_b32 v35, v35, v27 :: v_dual_cndmask_b32 v34, v34, v26
	v_cmp_ngt_f64_e32 vcc_lo, -1.0, v[26:27]
	v_cndmask_b32_e32 v35, 0x7ff80000, v35, vcc_lo
	v_cmp_nge_f64_e32 vcc_lo, -1.0, v[26:27]
	s_delay_alu instid0(VALU_DEP_4) | instskip(SKIP_1) | instid1(VALU_DEP_4)
	v_cndmask_b32_e32 v34, 0, v34, vcc_lo
	v_cmp_neq_f64_e32 vcc_lo, -1.0, v[26:27]
	v_cndmask_b32_e32 v35, 0xfff00000, v35, vcc_lo
	s_delay_alu instid0(VALU_DEP_1)
	v_add_f64 v[26:27], v[32:33], v[34:35]
.LBB8_358:
	s_or_b32 exec_lo, exec_lo, s8
	s_delay_alu instid0(VALU_DEP_1) | instskip(SKIP_1) | instid1(VALU_DEP_2)
	v_max_f64 v[32:33], v[26:27], v[26:27]
	v_cmp_u_f64_e32 vcc_lo, v[26:27], v[26:27]
	v_min_f64 v[34:35], v[32:33], v[28:29]
	v_max_f64 v[28:29], v[32:33], v[28:29]
	s_delay_alu instid0(VALU_DEP_2) | instskip(NEXT) | instid1(VALU_DEP_2)
	v_dual_cndmask_b32 v32, v34, v26 :: v_dual_cndmask_b32 v33, v35, v27
	v_dual_cndmask_b32 v29, v29, v27 :: v_dual_cndmask_b32 v28, v28, v26
	s_delay_alu instid0(VALU_DEP_2) | instskip(NEXT) | instid1(VALU_DEP_3)
	v_cndmask_b32_e64 v34, v32, v64, s14
	v_cndmask_b32_e64 v35, v33, v65, s14
	s_delay_alu instid0(VALU_DEP_3) | instskip(NEXT) | instid1(VALU_DEP_4)
	v_cndmask_b32_e64 v33, v29, v65, s14
	v_cndmask_b32_e64 v32, v28, v64, s14
	v_dual_mov_b32 v29, v27 :: v_dual_mov_b32 v28, v26
	s_delay_alu instid0(VALU_DEP_4) | instskip(NEXT) | instid1(VALU_DEP_3)
	v_cmp_class_f64_e64 s1, v[34:35], 0x1f8
	v_cmp_neq_f64_e32 vcc_lo, v[34:35], v[32:33]
	s_delay_alu instid0(VALU_DEP_2) | instskip(NEXT) | instid1(SALU_CYCLE_1)
	s_or_b32 s1, vcc_lo, s1
	s_and_saveexec_b32 s8, s1
	s_cbranch_execz .LBB8_360
; %bb.359:
	v_add_f64 v[28:29], v[34:35], -v[32:33]
	s_mov_b32 s2, 0x652b82fe
	s_mov_b32 s3, 0x3ff71547
	;; [unrolled: 1-line block ×10, first 2 shown]
	s_delay_alu instid0(VALU_DEP_1) | instskip(SKIP_4) | instid1(VALU_DEP_3)
	v_mul_f64 v[34:35], v[28:29], s[2:3]
	s_mov_b32 s3, 0xbfe62e42
	s_mov_b32 s2, 0xfefa39ef
	v_cmp_nlt_f64_e32 vcc_lo, 0x40900000, v[28:29]
	v_cmp_ngt_f64_e64 s1, 0xc090cc00, v[28:29]
	v_rndne_f64_e32 v[34:35], v[34:35]
	s_delay_alu instid0(VALU_DEP_1) | instskip(SKIP_2) | instid1(VALU_DEP_2)
	v_fma_f64 v[36:37], v[34:35], s[2:3], v[28:29]
	v_cvt_i32_f64_e32 v54, v[34:35]
	s_mov_b32 s3, 0x3fe62e42
	v_fma_f64 v[36:37], v[34:35], s[4:5], v[36:37]
	s_mov_b32 s5, 0x3c7abc9e
	s_waitcnt lgkmcnt(0)
	s_delay_alu instid0(VALU_DEP_1) | instskip(SKIP_4) | instid1(VALU_DEP_1)
	v_fma_f64 v[48:49], v[36:37], s[10:11], s[6:7]
	s_mov_b32 s6, 0x623fde64
	s_mov_b32 s7, 0x3ec71dee
	;; [unrolled: 1-line block ×4, first 2 shown]
	v_fma_f64 v[48:49], v[36:37], v[48:49], s[6:7]
	s_mov_b32 s6, 0x7c89e6b0
	s_mov_b32 s7, 0x3efa0199
	s_delay_alu instid0(VALU_DEP_1) | instid1(SALU_CYCLE_1)
	v_fma_f64 v[48:49], v[36:37], v[48:49], s[6:7]
	s_mov_b32 s6, 0x14761f6e
	s_mov_b32 s7, 0x3f2a01a0
	s_delay_alu instid0(VALU_DEP_1) | instid1(SALU_CYCLE_1)
	;; [unrolled: 4-line block ×7, first 2 shown]
	v_fma_f64 v[48:49], v[36:37], v[48:49], s[6:7]
	s_mov_b32 s7, 0x3fe55555
	s_mov_b32 s6, 0x55555555
	s_delay_alu instid0(VALU_DEP_1) | instskip(NEXT) | instid1(VALU_DEP_1)
	v_fma_f64 v[48:49], v[36:37], v[48:49], 1.0
	v_fma_f64 v[34:35], v[36:37], v[48:49], 1.0
	s_delay_alu instid0(VALU_DEP_1) | instskip(NEXT) | instid1(VALU_DEP_1)
	v_ldexp_f64 v[34:35], v[34:35], v54
	v_cndmask_b32_e32 v35, 0x7ff00000, v35, vcc_lo
	s_and_b32 vcc_lo, s1, vcc_lo
	s_delay_alu instid0(VALU_DEP_1) | instskip(NEXT) | instid1(VALU_DEP_3)
	v_cndmask_b32_e64 v29, 0, v35, s1
	v_cndmask_b32_e32 v28, 0, v34, vcc_lo
	s_delay_alu instid0(VALU_DEP_1) | instskip(NEXT) | instid1(VALU_DEP_1)
	v_add_f64 v[34:35], v[28:29], 1.0
	v_frexp_mant_f64_e32 v[36:37], v[34:35]
	v_frexp_exp_i32_f64_e32 v54, v[34:35]
	v_add_f64 v[48:49], v[34:35], -1.0
	s_delay_alu instid0(VALU_DEP_3) | instskip(SKIP_1) | instid1(VALU_DEP_2)
	v_cmp_gt_f64_e32 vcc_lo, s[6:7], v[36:37]
	s_mov_b32 s6, 0x55555780
	v_add_f64 v[36:37], v[48:49], -v[34:35]
	v_add_f64 v[48:49], v[28:29], -v[48:49]
	v_subrev_co_ci_u32_e32 v96, vcc_lo, 0, v54, vcc_lo
	s_delay_alu instid0(VALU_DEP_3) | instskip(SKIP_1) | instid1(VALU_DEP_3)
	v_add_f64 v[36:37], v[36:37], 1.0
	v_cmp_eq_f64_e32 vcc_lo, 0x7ff00000, v[28:29]
	v_sub_nc_u32_e32 v64, 0, v96
	s_delay_alu instid0(VALU_DEP_1) | instskip(NEXT) | instid1(VALU_DEP_4)
	v_ldexp_f64 v[34:35], v[34:35], v64
	v_add_f64 v[36:37], v[48:49], v[36:37]
	s_delay_alu instid0(VALU_DEP_2) | instskip(SKIP_1) | instid1(VALU_DEP_3)
	v_add_f64 v[54:55], v[34:35], 1.0
	v_add_f64 v[70:71], v[34:35], -1.0
	v_ldexp_f64 v[36:37], v[36:37], v64
	s_delay_alu instid0(VALU_DEP_3) | instskip(NEXT) | instid1(VALU_DEP_3)
	v_add_f64 v[48:49], v[54:55], -1.0
	v_add_f64 v[80:81], v[70:71], 1.0
	s_delay_alu instid0(VALU_DEP_2) | instskip(NEXT) | instid1(VALU_DEP_2)
	v_add_f64 v[48:49], v[34:35], -v[48:49]
	v_add_f64 v[34:35], v[34:35], -v[80:81]
	s_delay_alu instid0(VALU_DEP_2) | instskip(NEXT) | instid1(VALU_DEP_2)
	v_add_f64 v[48:49], v[36:37], v[48:49]
	v_add_f64 v[34:35], v[36:37], v[34:35]
	s_delay_alu instid0(VALU_DEP_2) | instskip(NEXT) | instid1(VALU_DEP_2)
	v_add_f64 v[64:65], v[54:55], v[48:49]
	v_add_f64 v[80:81], v[70:71], v[34:35]
	s_delay_alu instid0(VALU_DEP_2) | instskip(SKIP_1) | instid1(VALU_DEP_2)
	v_rcp_f64_e32 v[68:69], v[64:65]
	v_add_f64 v[54:55], v[64:65], -v[54:55]
	v_add_f64 v[70:71], v[80:81], -v[70:71]
	s_delay_alu instid0(VALU_DEP_2) | instskip(SKIP_3) | instid1(VALU_DEP_2)
	v_add_f64 v[48:49], v[48:49], -v[54:55]
	s_waitcnt_depctr 0xfff
	v_fma_f64 v[82:83], -v[64:65], v[68:69], 1.0
	v_add_f64 v[34:35], v[34:35], -v[70:71]
	v_fma_f64 v[68:69], v[82:83], v[68:69], v[68:69]
	s_delay_alu instid0(VALU_DEP_1) | instskip(NEXT) | instid1(VALU_DEP_1)
	v_fma_f64 v[36:37], -v[64:65], v[68:69], 1.0
	v_fma_f64 v[36:37], v[36:37], v[68:69], v[68:69]
	s_delay_alu instid0(VALU_DEP_1) | instskip(NEXT) | instid1(VALU_DEP_1)
	v_mul_f64 v[68:69], v[80:81], v[36:37]
	v_mul_f64 v[82:83], v[64:65], v[68:69]
	s_delay_alu instid0(VALU_DEP_1) | instskip(NEXT) | instid1(VALU_DEP_1)
	v_fma_f64 v[54:55], v[68:69], v[64:65], -v[82:83]
	v_fma_f64 v[54:55], v[68:69], v[48:49], v[54:55]
	s_delay_alu instid0(VALU_DEP_1) | instskip(NEXT) | instid1(VALU_DEP_1)
	v_add_f64 v[84:85], v[82:83], v[54:55]
	v_add_f64 v[86:87], v[80:81], -v[84:85]
	v_add_f64 v[70:71], v[84:85], -v[82:83]
	s_delay_alu instid0(VALU_DEP_2) | instskip(NEXT) | instid1(VALU_DEP_2)
	v_add_f64 v[80:81], v[80:81], -v[86:87]
	v_add_f64 v[54:55], v[70:71], -v[54:55]
	s_delay_alu instid0(VALU_DEP_2) | instskip(NEXT) | instid1(VALU_DEP_1)
	v_add_f64 v[80:81], v[80:81], -v[84:85]
	v_add_f64 v[34:35], v[34:35], v[80:81]
	s_delay_alu instid0(VALU_DEP_1) | instskip(NEXT) | instid1(VALU_DEP_1)
	v_add_f64 v[34:35], v[54:55], v[34:35]
	v_add_f64 v[54:55], v[86:87], v[34:35]
	s_delay_alu instid0(VALU_DEP_1) | instskip(SKIP_1) | instid1(VALU_DEP_2)
	v_mul_f64 v[70:71], v[36:37], v[54:55]
	v_add_f64 v[84:85], v[86:87], -v[54:55]
	v_mul_f64 v[80:81], v[64:65], v[70:71]
	s_delay_alu instid0(VALU_DEP_2) | instskip(NEXT) | instid1(VALU_DEP_2)
	v_add_f64 v[34:35], v[34:35], v[84:85]
	v_fma_f64 v[64:65], v[70:71], v[64:65], -v[80:81]
	s_delay_alu instid0(VALU_DEP_1) | instskip(NEXT) | instid1(VALU_DEP_1)
	v_fma_f64 v[48:49], v[70:71], v[48:49], v[64:65]
	v_add_f64 v[64:65], v[80:81], v[48:49]
	s_delay_alu instid0(VALU_DEP_1) | instskip(SKIP_1) | instid1(VALU_DEP_2)
	v_add_f64 v[82:83], v[54:55], -v[64:65]
	v_add_f64 v[80:81], v[64:65], -v[80:81]
	;; [unrolled: 1-line block ×3, first 2 shown]
	s_delay_alu instid0(VALU_DEP_2) | instskip(NEXT) | instid1(VALU_DEP_2)
	v_add_f64 v[48:49], v[80:81], -v[48:49]
	v_add_f64 v[54:55], v[54:55], -v[64:65]
	s_delay_alu instid0(VALU_DEP_1) | instskip(SKIP_1) | instid1(VALU_DEP_2)
	v_add_f64 v[34:35], v[34:35], v[54:55]
	v_add_f64 v[54:55], v[68:69], v[70:71]
	;; [unrolled: 1-line block ×3, first 2 shown]
	s_delay_alu instid0(VALU_DEP_2) | instskip(NEXT) | instid1(VALU_DEP_2)
	v_add_f64 v[48:49], v[54:55], -v[68:69]
	v_add_f64 v[34:35], v[82:83], v[34:35]
	s_delay_alu instid0(VALU_DEP_2) | instskip(NEXT) | instid1(VALU_DEP_2)
	v_add_f64 v[48:49], v[70:71], -v[48:49]
	v_mul_f64 v[34:35], v[36:37], v[34:35]
	s_delay_alu instid0(VALU_DEP_1) | instskip(NEXT) | instid1(VALU_DEP_1)
	v_add_f64 v[34:35], v[48:49], v[34:35]
	v_add_f64 v[36:37], v[54:55], v[34:35]
	s_delay_alu instid0(VALU_DEP_1) | instskip(NEXT) | instid1(VALU_DEP_1)
	v_mul_f64 v[48:49], v[36:37], v[36:37]
	v_fma_f64 v[64:65], v[48:49], s[12:13], s[10:11]
	s_mov_b32 s10, 0xd7f4df2e
	s_mov_b32 s11, 0x3fc7474d
	v_mul_f64 v[68:69], v[36:37], v[48:49]
	s_delay_alu instid0(VALU_DEP_2)
	v_fma_f64 v[64:65], v[48:49], v[64:65], s[10:11]
	s_mov_b32 s10, 0x16291751
	s_mov_b32 s11, 0x3fcc71c0
	s_delay_alu instid0(VALU_DEP_1) | instid1(SALU_CYCLE_1)
	v_fma_f64 v[64:65], v[48:49], v[64:65], s[10:11]
	s_mov_b32 s10, 0x9b27acf1
	s_mov_b32 s11, 0x3fd24924
	s_delay_alu instid0(VALU_DEP_1) | instid1(SALU_CYCLE_1)
	;; [unrolled: 4-line block ×3, first 2 shown]
	v_fma_f64 v[64:65], v[48:49], v[64:65], s[10:11]
	s_delay_alu instid0(VALU_DEP_1) | instskip(SKIP_2) | instid1(VALU_DEP_3)
	v_fma_f64 v[48:49], v[48:49], v[64:65], s[6:7]
	v_ldexp_f64 v[64:65], v[36:37], 1
	v_add_f64 v[36:37], v[36:37], -v[54:55]
	v_mul_f64 v[48:49], v[68:69], v[48:49]
	v_cvt_f64_i32_e32 v[68:69], v96
	s_delay_alu instid0(VALU_DEP_3) | instskip(NEXT) | instid1(VALU_DEP_3)
	v_add_f64 v[34:35], v[34:35], -v[36:37]
	v_add_f64 v[54:55], v[64:65], v[48:49]
	s_delay_alu instid0(VALU_DEP_3) | instskip(NEXT) | instid1(VALU_DEP_3)
	v_mul_f64 v[70:71], v[68:69], s[2:3]
	v_ldexp_f64 v[34:35], v[34:35], 1
	s_delay_alu instid0(VALU_DEP_3) | instskip(NEXT) | instid1(VALU_DEP_3)
	v_add_f64 v[36:37], v[54:55], -v[64:65]
	v_fma_f64 v[64:65], v[68:69], s[2:3], -v[70:71]
	s_delay_alu instid0(VALU_DEP_2) | instskip(NEXT) | instid1(VALU_DEP_2)
	v_add_f64 v[36:37], v[48:49], -v[36:37]
	v_fma_f64 v[48:49], v[68:69], s[4:5], v[64:65]
	s_delay_alu instid0(VALU_DEP_2) | instskip(NEXT) | instid1(VALU_DEP_2)
	v_add_f64 v[34:35], v[34:35], v[36:37]
	v_add_f64 v[36:37], v[70:71], v[48:49]
	s_delay_alu instid0(VALU_DEP_2) | instskip(NEXT) | instid1(VALU_DEP_2)
	v_add_f64 v[64:65], v[54:55], v[34:35]
	v_add_f64 v[70:71], v[36:37], -v[70:71]
	s_delay_alu instid0(VALU_DEP_2) | instskip(SKIP_1) | instid1(VALU_DEP_3)
	v_add_f64 v[68:69], v[36:37], v[64:65]
	v_add_f64 v[54:55], v[64:65], -v[54:55]
	v_add_f64 v[48:49], v[48:49], -v[70:71]
	s_delay_alu instid0(VALU_DEP_3) | instskip(NEXT) | instid1(VALU_DEP_3)
	v_add_f64 v[80:81], v[68:69], -v[36:37]
	v_add_f64 v[34:35], v[34:35], -v[54:55]
	s_delay_alu instid0(VALU_DEP_2) | instskip(SKIP_1) | instid1(VALU_DEP_3)
	v_add_f64 v[82:83], v[68:69], -v[80:81]
	v_add_f64 v[54:55], v[64:65], -v[80:81]
	v_add_f64 v[64:65], v[48:49], v[34:35]
	s_delay_alu instid0(VALU_DEP_3) | instskip(NEXT) | instid1(VALU_DEP_1)
	v_add_f64 v[36:37], v[36:37], -v[82:83]
	v_add_f64 v[36:37], v[54:55], v[36:37]
	s_delay_alu instid0(VALU_DEP_3) | instskip(NEXT) | instid1(VALU_DEP_2)
	v_add_f64 v[54:55], v[64:65], -v[48:49]
	v_add_f64 v[36:37], v[64:65], v[36:37]
	s_delay_alu instid0(VALU_DEP_2) | instskip(SKIP_1) | instid1(VALU_DEP_3)
	v_add_f64 v[64:65], v[64:65], -v[54:55]
	v_add_f64 v[34:35], v[34:35], -v[54:55]
	v_add_f64 v[70:71], v[68:69], v[36:37]
	s_delay_alu instid0(VALU_DEP_3) | instskip(NEXT) | instid1(VALU_DEP_2)
	v_add_f64 v[48:49], v[48:49], -v[64:65]
	v_add_f64 v[54:55], v[70:71], -v[68:69]
	s_delay_alu instid0(VALU_DEP_2) | instskip(NEXT) | instid1(VALU_DEP_2)
	v_add_f64 v[34:35], v[34:35], v[48:49]
	v_add_f64 v[36:37], v[36:37], -v[54:55]
	s_delay_alu instid0(VALU_DEP_1) | instskip(NEXT) | instid1(VALU_DEP_1)
	v_add_f64 v[34:35], v[34:35], v[36:37]
	v_add_f64 v[34:35], v[70:71], v[34:35]
	s_delay_alu instid0(VALU_DEP_1) | instskip(SKIP_1) | instid1(VALU_DEP_2)
	v_dual_cndmask_b32 v35, v35, v29 :: v_dual_cndmask_b32 v34, v34, v28
	v_cmp_ngt_f64_e32 vcc_lo, -1.0, v[28:29]
	v_cndmask_b32_e32 v35, 0x7ff80000, v35, vcc_lo
	v_cmp_nge_f64_e32 vcc_lo, -1.0, v[28:29]
	s_delay_alu instid0(VALU_DEP_4) | instskip(SKIP_1) | instid1(VALU_DEP_4)
	v_cndmask_b32_e32 v34, 0, v34, vcc_lo
	v_cmp_neq_f64_e32 vcc_lo, -1.0, v[28:29]
	v_cndmask_b32_e32 v35, 0xfff00000, v35, vcc_lo
	s_delay_alu instid0(VALU_DEP_1)
	v_add_f64 v[28:29], v[32:33], v[34:35]
.LBB8_360:
	s_or_b32 exec_lo, exec_lo, s8
	s_delay_alu instid0(VALU_DEP_1) | instskip(SKIP_1) | instid1(VALU_DEP_2)
	v_max_f64 v[32:33], v[28:29], v[28:29]
	v_cmp_u_f64_e32 vcc_lo, v[28:29], v[28:29]
	v_min_f64 v[34:35], v[32:33], v[30:31]
	v_max_f64 v[30:31], v[32:33], v[30:31]
	s_delay_alu instid0(VALU_DEP_2) | instskip(NEXT) | instid1(VALU_DEP_2)
	v_dual_cndmask_b32 v32, v34, v28 :: v_dual_cndmask_b32 v33, v35, v29
	v_dual_cndmask_b32 v31, v31, v29 :: v_dual_cndmask_b32 v30, v30, v28
	s_delay_alu instid0(VALU_DEP_2) | instskip(NEXT) | instid1(VALU_DEP_3)
	v_cndmask_b32_e64 v34, v32, v66, s15
	v_cndmask_b32_e64 v35, v33, v67, s15
	s_delay_alu instid0(VALU_DEP_3) | instskip(NEXT) | instid1(VALU_DEP_4)
	v_cndmask_b32_e64 v33, v31, v67, s15
	v_cndmask_b32_e64 v32, v30, v66, s15
	v_dual_mov_b32 v31, v29 :: v_dual_mov_b32 v30, v28
	s_delay_alu instid0(VALU_DEP_4) | instskip(NEXT) | instid1(VALU_DEP_3)
	v_cmp_class_f64_e64 s1, v[34:35], 0x1f8
	v_cmp_neq_f64_e32 vcc_lo, v[34:35], v[32:33]
	s_delay_alu instid0(VALU_DEP_2) | instskip(NEXT) | instid1(SALU_CYCLE_1)
	s_or_b32 s1, vcc_lo, s1
	s_and_saveexec_b32 s8, s1
	s_cbranch_execz .LBB8_362
; %bb.361:
	v_add_f64 v[30:31], v[34:35], -v[32:33]
	s_mov_b32 s2, 0x652b82fe
	s_mov_b32 s3, 0x3ff71547
	;; [unrolled: 1-line block ×10, first 2 shown]
	s_delay_alu instid0(VALU_DEP_1) | instskip(SKIP_4) | instid1(VALU_DEP_3)
	v_mul_f64 v[34:35], v[30:31], s[2:3]
	s_mov_b32 s3, 0xbfe62e42
	s_mov_b32 s2, 0xfefa39ef
	v_cmp_nlt_f64_e32 vcc_lo, 0x40900000, v[30:31]
	v_cmp_ngt_f64_e64 s1, 0xc090cc00, v[30:31]
	v_rndne_f64_e32 v[34:35], v[34:35]
	s_delay_alu instid0(VALU_DEP_1) | instskip(SKIP_2) | instid1(VALU_DEP_2)
	v_fma_f64 v[36:37], v[34:35], s[2:3], v[30:31]
	v_cvt_i32_f64_e32 v54, v[34:35]
	s_mov_b32 s3, 0x3fe62e42
	v_fma_f64 v[36:37], v[34:35], s[4:5], v[36:37]
	s_mov_b32 s5, 0x3c7abc9e
	s_waitcnt lgkmcnt(0)
	s_delay_alu instid0(VALU_DEP_1) | instskip(SKIP_4) | instid1(VALU_DEP_1)
	v_fma_f64 v[48:49], v[36:37], s[10:11], s[6:7]
	s_mov_b32 s6, 0x623fde64
	s_mov_b32 s7, 0x3ec71dee
	;; [unrolled: 1-line block ×4, first 2 shown]
	v_fma_f64 v[48:49], v[36:37], v[48:49], s[6:7]
	s_mov_b32 s6, 0x7c89e6b0
	s_mov_b32 s7, 0x3efa0199
	s_delay_alu instid0(VALU_DEP_1) | instid1(SALU_CYCLE_1)
	v_fma_f64 v[48:49], v[36:37], v[48:49], s[6:7]
	s_mov_b32 s6, 0x14761f6e
	s_mov_b32 s7, 0x3f2a01a0
	s_delay_alu instid0(VALU_DEP_1) | instid1(SALU_CYCLE_1)
	;; [unrolled: 4-line block ×7, first 2 shown]
	v_fma_f64 v[48:49], v[36:37], v[48:49], s[6:7]
	s_mov_b32 s7, 0x3fe55555
	s_mov_b32 s6, 0x55555555
	s_delay_alu instid0(VALU_DEP_1) | instskip(NEXT) | instid1(VALU_DEP_1)
	v_fma_f64 v[48:49], v[36:37], v[48:49], 1.0
	v_fma_f64 v[34:35], v[36:37], v[48:49], 1.0
	s_delay_alu instid0(VALU_DEP_1) | instskip(NEXT) | instid1(VALU_DEP_1)
	v_ldexp_f64 v[34:35], v[34:35], v54
	v_cndmask_b32_e32 v35, 0x7ff00000, v35, vcc_lo
	s_and_b32 vcc_lo, s1, vcc_lo
	s_delay_alu instid0(VALU_DEP_1) | instskip(NEXT) | instid1(VALU_DEP_3)
	v_cndmask_b32_e64 v31, 0, v35, s1
	v_cndmask_b32_e32 v30, 0, v34, vcc_lo
	s_delay_alu instid0(VALU_DEP_1) | instskip(NEXT) | instid1(VALU_DEP_1)
	v_add_f64 v[34:35], v[30:31], 1.0
	v_frexp_mant_f64_e32 v[36:37], v[34:35]
	v_frexp_exp_i32_f64_e32 v54, v[34:35]
	v_add_f64 v[48:49], v[34:35], -1.0
	s_delay_alu instid0(VALU_DEP_3) | instskip(SKIP_1) | instid1(VALU_DEP_2)
	v_cmp_gt_f64_e32 vcc_lo, s[6:7], v[36:37]
	s_mov_b32 s6, 0x55555780
	v_add_f64 v[36:37], v[48:49], -v[34:35]
	v_add_f64 v[48:49], v[30:31], -v[48:49]
	v_subrev_co_ci_u32_e32 v86, vcc_lo, 0, v54, vcc_lo
	s_delay_alu instid0(VALU_DEP_3) | instskip(SKIP_1) | instid1(VALU_DEP_3)
	v_add_f64 v[36:37], v[36:37], 1.0
	v_cmp_eq_f64_e32 vcc_lo, 0x7ff00000, v[30:31]
	v_sub_nc_u32_e32 v64, 0, v86
	s_delay_alu instid0(VALU_DEP_1) | instskip(NEXT) | instid1(VALU_DEP_4)
	v_ldexp_f64 v[34:35], v[34:35], v64
	v_add_f64 v[36:37], v[48:49], v[36:37]
	s_delay_alu instid0(VALU_DEP_2) | instskip(SKIP_1) | instid1(VALU_DEP_3)
	v_add_f64 v[54:55], v[34:35], 1.0
	v_add_f64 v[68:69], v[34:35], -1.0
	v_ldexp_f64 v[36:37], v[36:37], v64
	s_delay_alu instid0(VALU_DEP_3) | instskip(NEXT) | instid1(VALU_DEP_3)
	v_add_f64 v[48:49], v[54:55], -1.0
	v_add_f64 v[70:71], v[68:69], 1.0
	s_delay_alu instid0(VALU_DEP_2) | instskip(NEXT) | instid1(VALU_DEP_2)
	v_add_f64 v[48:49], v[34:35], -v[48:49]
	v_add_f64 v[34:35], v[34:35], -v[70:71]
	s_delay_alu instid0(VALU_DEP_2) | instskip(NEXT) | instid1(VALU_DEP_2)
	v_add_f64 v[48:49], v[36:37], v[48:49]
	v_add_f64 v[34:35], v[36:37], v[34:35]
	s_delay_alu instid0(VALU_DEP_2) | instskip(NEXT) | instid1(VALU_DEP_2)
	v_add_f64 v[64:65], v[54:55], v[48:49]
	v_add_f64 v[70:71], v[68:69], v[34:35]
	s_delay_alu instid0(VALU_DEP_2) | instskip(SKIP_1) | instid1(VALU_DEP_2)
	v_rcp_f64_e32 v[66:67], v[64:65]
	v_add_f64 v[54:55], v[64:65], -v[54:55]
	v_add_f64 v[68:69], v[70:71], -v[68:69]
	s_delay_alu instid0(VALU_DEP_2) | instskip(SKIP_3) | instid1(VALU_DEP_2)
	v_add_f64 v[48:49], v[48:49], -v[54:55]
	s_waitcnt_depctr 0xfff
	v_fma_f64 v[80:81], -v[64:65], v[66:67], 1.0
	v_add_f64 v[34:35], v[34:35], -v[68:69]
	v_fma_f64 v[66:67], v[80:81], v[66:67], v[66:67]
	s_delay_alu instid0(VALU_DEP_1) | instskip(NEXT) | instid1(VALU_DEP_1)
	v_fma_f64 v[36:37], -v[64:65], v[66:67], 1.0
	v_fma_f64 v[36:37], v[36:37], v[66:67], v[66:67]
	s_delay_alu instid0(VALU_DEP_1) | instskip(NEXT) | instid1(VALU_DEP_1)
	v_mul_f64 v[66:67], v[70:71], v[36:37]
	v_mul_f64 v[80:81], v[64:65], v[66:67]
	s_delay_alu instid0(VALU_DEP_1) | instskip(NEXT) | instid1(VALU_DEP_1)
	v_fma_f64 v[54:55], v[66:67], v[64:65], -v[80:81]
	v_fma_f64 v[54:55], v[66:67], v[48:49], v[54:55]
	s_delay_alu instid0(VALU_DEP_1) | instskip(NEXT) | instid1(VALU_DEP_1)
	v_add_f64 v[82:83], v[80:81], v[54:55]
	v_add_f64 v[84:85], v[70:71], -v[82:83]
	v_add_f64 v[68:69], v[82:83], -v[80:81]
	s_delay_alu instid0(VALU_DEP_2) | instskip(NEXT) | instid1(VALU_DEP_2)
	v_add_f64 v[70:71], v[70:71], -v[84:85]
	v_add_f64 v[54:55], v[68:69], -v[54:55]
	s_delay_alu instid0(VALU_DEP_2) | instskip(NEXT) | instid1(VALU_DEP_1)
	v_add_f64 v[70:71], v[70:71], -v[82:83]
	v_add_f64 v[34:35], v[34:35], v[70:71]
	s_delay_alu instid0(VALU_DEP_1) | instskip(NEXT) | instid1(VALU_DEP_1)
	v_add_f64 v[34:35], v[54:55], v[34:35]
	v_add_f64 v[54:55], v[84:85], v[34:35]
	s_delay_alu instid0(VALU_DEP_1) | instskip(SKIP_1) | instid1(VALU_DEP_2)
	v_mul_f64 v[68:69], v[36:37], v[54:55]
	v_add_f64 v[82:83], v[84:85], -v[54:55]
	v_mul_f64 v[70:71], v[64:65], v[68:69]
	s_delay_alu instid0(VALU_DEP_2) | instskip(NEXT) | instid1(VALU_DEP_2)
	v_add_f64 v[34:35], v[34:35], v[82:83]
	v_fma_f64 v[64:65], v[68:69], v[64:65], -v[70:71]
	s_delay_alu instid0(VALU_DEP_1) | instskip(NEXT) | instid1(VALU_DEP_1)
	v_fma_f64 v[48:49], v[68:69], v[48:49], v[64:65]
	v_add_f64 v[64:65], v[70:71], v[48:49]
	s_delay_alu instid0(VALU_DEP_1) | instskip(SKIP_1) | instid1(VALU_DEP_2)
	v_add_f64 v[80:81], v[54:55], -v[64:65]
	v_add_f64 v[70:71], v[64:65], -v[70:71]
	;; [unrolled: 1-line block ×3, first 2 shown]
	s_delay_alu instid0(VALU_DEP_2) | instskip(NEXT) | instid1(VALU_DEP_2)
	v_add_f64 v[48:49], v[70:71], -v[48:49]
	v_add_f64 v[54:55], v[54:55], -v[64:65]
	s_delay_alu instid0(VALU_DEP_1) | instskip(SKIP_1) | instid1(VALU_DEP_2)
	v_add_f64 v[34:35], v[34:35], v[54:55]
	v_add_f64 v[54:55], v[66:67], v[68:69]
	;; [unrolled: 1-line block ×3, first 2 shown]
	s_delay_alu instid0(VALU_DEP_2) | instskip(NEXT) | instid1(VALU_DEP_2)
	v_add_f64 v[48:49], v[54:55], -v[66:67]
	v_add_f64 v[34:35], v[80:81], v[34:35]
	s_delay_alu instid0(VALU_DEP_2) | instskip(NEXT) | instid1(VALU_DEP_2)
	v_add_f64 v[48:49], v[68:69], -v[48:49]
	v_mul_f64 v[34:35], v[36:37], v[34:35]
	s_delay_alu instid0(VALU_DEP_1) | instskip(NEXT) | instid1(VALU_DEP_1)
	v_add_f64 v[34:35], v[48:49], v[34:35]
	v_add_f64 v[36:37], v[54:55], v[34:35]
	s_delay_alu instid0(VALU_DEP_1) | instskip(NEXT) | instid1(VALU_DEP_1)
	v_mul_f64 v[48:49], v[36:37], v[36:37]
	v_fma_f64 v[64:65], v[48:49], s[12:13], s[10:11]
	s_mov_b32 s10, 0xd7f4df2e
	s_mov_b32 s11, 0x3fc7474d
	v_mul_f64 v[66:67], v[36:37], v[48:49]
	s_delay_alu instid0(VALU_DEP_2)
	v_fma_f64 v[64:65], v[48:49], v[64:65], s[10:11]
	s_mov_b32 s10, 0x16291751
	s_mov_b32 s11, 0x3fcc71c0
	s_delay_alu instid0(VALU_DEP_1) | instid1(SALU_CYCLE_1)
	v_fma_f64 v[64:65], v[48:49], v[64:65], s[10:11]
	s_mov_b32 s10, 0x9b27acf1
	s_mov_b32 s11, 0x3fd24924
	s_delay_alu instid0(VALU_DEP_1) | instid1(SALU_CYCLE_1)
	;; [unrolled: 4-line block ×3, first 2 shown]
	v_fma_f64 v[64:65], v[48:49], v[64:65], s[10:11]
	s_delay_alu instid0(VALU_DEP_1) | instskip(SKIP_2) | instid1(VALU_DEP_3)
	v_fma_f64 v[48:49], v[48:49], v[64:65], s[6:7]
	v_ldexp_f64 v[64:65], v[36:37], 1
	v_add_f64 v[36:37], v[36:37], -v[54:55]
	v_mul_f64 v[48:49], v[66:67], v[48:49]
	v_cvt_f64_i32_e32 v[66:67], v86
	s_delay_alu instid0(VALU_DEP_3) | instskip(NEXT) | instid1(VALU_DEP_3)
	v_add_f64 v[34:35], v[34:35], -v[36:37]
	v_add_f64 v[54:55], v[64:65], v[48:49]
	s_delay_alu instid0(VALU_DEP_3) | instskip(NEXT) | instid1(VALU_DEP_3)
	v_mul_f64 v[68:69], v[66:67], s[2:3]
	v_ldexp_f64 v[34:35], v[34:35], 1
	s_delay_alu instid0(VALU_DEP_3) | instskip(NEXT) | instid1(VALU_DEP_3)
	v_add_f64 v[36:37], v[54:55], -v[64:65]
	v_fma_f64 v[64:65], v[66:67], s[2:3], -v[68:69]
	s_delay_alu instid0(VALU_DEP_2) | instskip(NEXT) | instid1(VALU_DEP_2)
	v_add_f64 v[36:37], v[48:49], -v[36:37]
	v_fma_f64 v[48:49], v[66:67], s[4:5], v[64:65]
	s_delay_alu instid0(VALU_DEP_2) | instskip(NEXT) | instid1(VALU_DEP_2)
	v_add_f64 v[34:35], v[34:35], v[36:37]
	v_add_f64 v[36:37], v[68:69], v[48:49]
	s_delay_alu instid0(VALU_DEP_2) | instskip(NEXT) | instid1(VALU_DEP_2)
	v_add_f64 v[64:65], v[54:55], v[34:35]
	v_add_f64 v[68:69], v[36:37], -v[68:69]
	s_delay_alu instid0(VALU_DEP_2) | instskip(SKIP_1) | instid1(VALU_DEP_3)
	v_add_f64 v[66:67], v[36:37], v[64:65]
	v_add_f64 v[54:55], v[64:65], -v[54:55]
	v_add_f64 v[48:49], v[48:49], -v[68:69]
	s_delay_alu instid0(VALU_DEP_3) | instskip(NEXT) | instid1(VALU_DEP_3)
	v_add_f64 v[70:71], v[66:67], -v[36:37]
	v_add_f64 v[34:35], v[34:35], -v[54:55]
	s_delay_alu instid0(VALU_DEP_2) | instskip(SKIP_1) | instid1(VALU_DEP_3)
	v_add_f64 v[80:81], v[66:67], -v[70:71]
	v_add_f64 v[54:55], v[64:65], -v[70:71]
	v_add_f64 v[64:65], v[48:49], v[34:35]
	s_delay_alu instid0(VALU_DEP_3) | instskip(NEXT) | instid1(VALU_DEP_1)
	v_add_f64 v[36:37], v[36:37], -v[80:81]
	v_add_f64 v[36:37], v[54:55], v[36:37]
	s_delay_alu instid0(VALU_DEP_3) | instskip(NEXT) | instid1(VALU_DEP_2)
	v_add_f64 v[54:55], v[64:65], -v[48:49]
	v_add_f64 v[36:37], v[64:65], v[36:37]
	s_delay_alu instid0(VALU_DEP_2) | instskip(SKIP_1) | instid1(VALU_DEP_3)
	v_add_f64 v[64:65], v[64:65], -v[54:55]
	v_add_f64 v[34:35], v[34:35], -v[54:55]
	v_add_f64 v[68:69], v[66:67], v[36:37]
	s_delay_alu instid0(VALU_DEP_3) | instskip(NEXT) | instid1(VALU_DEP_2)
	v_add_f64 v[48:49], v[48:49], -v[64:65]
	v_add_f64 v[54:55], v[68:69], -v[66:67]
	s_delay_alu instid0(VALU_DEP_2) | instskip(NEXT) | instid1(VALU_DEP_2)
	v_add_f64 v[34:35], v[34:35], v[48:49]
	v_add_f64 v[36:37], v[36:37], -v[54:55]
	s_delay_alu instid0(VALU_DEP_1) | instskip(NEXT) | instid1(VALU_DEP_1)
	v_add_f64 v[34:35], v[34:35], v[36:37]
	v_add_f64 v[34:35], v[68:69], v[34:35]
	s_delay_alu instid0(VALU_DEP_1) | instskip(SKIP_1) | instid1(VALU_DEP_2)
	v_dual_cndmask_b32 v35, v35, v31 :: v_dual_cndmask_b32 v34, v34, v30
	v_cmp_ngt_f64_e32 vcc_lo, -1.0, v[30:31]
	v_cndmask_b32_e32 v35, 0x7ff80000, v35, vcc_lo
	v_cmp_nge_f64_e32 vcc_lo, -1.0, v[30:31]
	s_delay_alu instid0(VALU_DEP_4) | instskip(SKIP_1) | instid1(VALU_DEP_4)
	v_cndmask_b32_e32 v34, 0, v34, vcc_lo
	v_cmp_neq_f64_e32 vcc_lo, -1.0, v[30:31]
	v_cndmask_b32_e32 v35, 0xfff00000, v35, vcc_lo
	s_delay_alu instid0(VALU_DEP_1)
	v_add_f64 v[30:31], v[32:33], v[34:35]
.LBB8_362:
	s_or_b32 exec_lo, exec_lo, s8
	s_delay_alu instid0(SALU_CYCLE_1)
	s_mov_b32 s1, exec_lo
	v_cmpx_eq_u32_e32 0xff, v128
	s_cbranch_execz .LBB8_372
; %bb.363:
	v_add_co_u32 v32, vcc_lo, 0x200, v116
	v_add_co_ci_u32_e32 v33, vcc_lo, 0, v117, vcc_lo
	s_mov_b64 s[2:3], src_shared_base
	s_mov_b32 s2, exec_lo
	s_delay_alu instid0(VALU_DEP_1)
	v_cmpx_ne_u32_e64 s3, v33
	s_xor_b32 s2, exec_lo, s2
	s_cbranch_execz .LBB8_369
; %bb.364:
	s_mov_b64 s[4:5], src_private_base
	s_mov_b32 s3, exec_lo
	v_cmpx_ne_u32_e64 s5, v33
	s_xor_b32 s3, exec_lo, s3
	s_cbranch_execz .LBB8_366
; %bb.365:
	v_dual_mov_b32 v37, 0 :: v_dual_mov_b32 v36, 2
	v_dual_mov_b32 v34, v30 :: v_dual_mov_b32 v35, v31
	;;#ASMSTART
	global_store_dwordx4 v[32:33], v[34:37] off	
s_waitcnt vmcnt(0)
	;;#ASMEND
                                        ; implicit-def: $vgpr32_vgpr33
.LBB8_366:
	s_and_not1_saveexec_b32 s3, s3
	s_cbranch_execz .LBB8_368
; %bb.367:
	v_dual_mov_b32 v37, 0 :: v_dual_mov_b32 v36, 2
	v_dual_mov_b32 v34, v30 :: v_dual_mov_b32 v35, v31
	;;#ASMSTART
	flat_store_dwordx4 v[32:33], v[34:37] 	
s_waitcnt vmcnt(0)
	;;#ASMEND
.LBB8_368:
	s_or_b32 exec_lo, exec_lo, s3
                                        ; implicit-def: $vgpr32_vgpr33
.LBB8_369:
	s_and_not1_saveexec_b32 s2, s2
	s_cbranch_execz .LBB8_371
; %bb.370:
	v_cmp_ne_u64_e32 vcc_lo, 0, v[32:33]
	v_dual_mov_b32 v34, 2 :: v_dual_mov_b32 v33, v31
	v_dual_mov_b32 v35, 0 :: v_dual_cndmask_b32 v36, -1, v32
	v_mov_b32_e32 v32, v30
	;;#ASMSTART
	ds_write_b128 v36, v[32:35] 	
s_waitcnt lgkmcnt(0)
	;;#ASMEND
.LBB8_371:
	s_or_b32 exec_lo, exec_lo, s2
.LBB8_372:
	s_delay_alu instid0(SALU_CYCLE_1) | instskip(NEXT) | instid1(VALU_DEP_2)
	s_or_b32 exec_lo, exec_lo, s1
	v_mov_b32_e32 v35, v31
	s_delay_alu instid0(VALU_DEP_3)
	v_dual_mov_b32 v34, v30 :: v_dual_mov_b32 v33, v29
	v_dual_mov_b32 v32, v28 :: v_dual_mov_b32 v31, v27
	v_mov_b32_e32 v30, v26
	v_mov_b32_e32 v29, v25
	;; [unrolled: 1-line block ×27, first 2 shown]
.LBB8_373:
	v_add_co_u32 v0, vcc_lo, v52, v118
	v_add_co_ci_u32_e32 v1, vcc_lo, v53, v119, vcc_lo
	s_waitcnt lgkmcnt(0)
	s_delay_alu instid0(VALU_DEP_2) | instskip(NEXT) | instid1(VALU_DEP_2)
	v_add_co_u32 v36, vcc_lo, v0, s22
	v_add_co_ci_u32_e32 v37, vcc_lo, s23, v1, vcc_lo
	v_lshlrev_b32_e32 v1, 7, v128
	v_lshrrev_b32_e32 v0, 5, v128
	s_barrier
	buffer_gl0_inv
	s_and_saveexec_b32 s1, s0
	s_delay_alu instid0(SALU_CYCLE_1)
	s_xor_b32 s0, exec_lo, s1
	s_cbranch_execz .LBB8_375
; %bb.374:
	v_lshl_add_u32 v1, v208, 3, v1
	v_lshrrev_b32_e32 v2, 5, v198
	v_lshrrev_b32_e32 v3, 5, v197
	v_add_lshl_u32 v0, v0, v128, 3
                                        ; implicit-def: $vgpr48_vgpr49_vgpr50_vgpr51
                                        ; implicit-def: $vgpr208
                                        ; implicit-def: $vgpr181
                                        ; implicit-def: $vgpr182
                                        ; implicit-def: $vgpr198
                                        ; implicit-def: $vgpr197
	ds_store_2addr_b64 v1, v[4:5], v[6:7] offset1:1
	ds_store_2addr_b64 v1, v[8:9], v[10:11] offset0:2 offset1:3
	ds_store_2addr_b64 v1, v[12:13], v[14:15] offset0:4 offset1:5
	;; [unrolled: 1-line block ×7, first 2 shown]
	v_lshrrev_b32_e32 v8, 5, v196
	v_lshrrev_b32_e32 v1, 5, v199
	;; [unrolled: 1-line block ×5, first 2 shown]
	v_add_lshl_u32 v8, v8, v128, 3
	v_add_lshl_u32 v4, v1, v128, 3
	;; [unrolled: 1-line block ×7, first 2 shown]
	s_waitcnt lgkmcnt(0)
	s_barrier
	buffer_gl0_inv
	ds_load_b64 v[0:1], v0
	ds_load_b64 v[2:3], v4 offset:2048
	ds_load_b64 v[4:5], v5 offset:4096
	;; [unrolled: 1-line block ×7, first 2 shown]
	v_lshrrev_b32_e32 v24, 5, v177
	v_lshrrev_b32_e32 v16, 5, v183
	v_lshrrev_b32_e32 v17, 5, v180
	v_lshrrev_b32_e32 v25, 5, v176
	v_lshrrev_b32_e32 v18, 5, v179
	v_lshrrev_b32_e32 v26, 5, v167
	v_lshrrev_b32_e32 v19, 5, v178
	v_lshrrev_b32_e32 v27, 5, v135
	v_add_lshl_u32 v28, v24, v128, 3
	v_add_co_u32 v24, vcc_lo, v36, v195
	v_add_lshl_u32 v16, v16, v128, 3
	v_add_lshl_u32 v20, v17, v128, 3
	;; [unrolled: 1-line block ×3, first 2 shown]
	v_add_co_ci_u32_e32 v25, vcc_lo, 0, v37, vcc_lo
	v_add_lshl_u32 v21, v18, v128, 3
	v_add_lshl_u32 v30, v26, v128, 3
	v_add_lshl_u32 v22, v19, v128, 3
	v_add_lshl_u32 v32, v27, v128, 3
	v_add_co_u32 v34, vcc_lo, 0x1000, v24
	ds_load_b64 v[16:17], v16 offset:16384
	ds_load_b64 v[18:19], v20 offset:18432
	;; [unrolled: 1-line block ×8, first 2 shown]
	v_add_co_ci_u32_e32 v35, vcc_lo, 0, v25, vcc_lo
	v_add_co_u32 v36, vcc_lo, 0x2000, v24
	v_add_co_ci_u32_e32 v37, vcc_lo, 0, v25, vcc_lo
	v_add_co_u32 v38, vcc_lo, 0x3000, v24
	v_add_co_ci_u32_e32 v39, vcc_lo, 0, v25, vcc_lo
	s_waitcnt lgkmcnt(15)
	flat_store_b64 v[24:25], v[0:1]
	s_waitcnt lgkmcnt(15)
	flat_store_b64 v[24:25], v[2:3] offset:2048
	s_waitcnt lgkmcnt(15)
	flat_store_b64 v[34:35], v[4:5]
	s_waitcnt lgkmcnt(15)
	flat_store_b64 v[34:35], v[6:7] offset:2048
	s_waitcnt lgkmcnt(15)
	flat_store_b64 v[36:37], v[8:9]
	s_waitcnt lgkmcnt(15)
	flat_store_b64 v[36:37], v[10:11] offset:2048
	s_waitcnt lgkmcnt(15)
	flat_store_b64 v[38:39], v[12:13]
	s_waitcnt lgkmcnt(15)
	flat_store_b64 v[38:39], v[14:15] offset:2048
	v_add_co_u32 v0, vcc_lo, 0x4000, v24
	v_add_co_ci_u32_e32 v1, vcc_lo, 0, v25, vcc_lo
	v_add_co_u32 v2, vcc_lo, 0x5000, v24
	v_add_co_ci_u32_e32 v3, vcc_lo, 0, v25, vcc_lo
	;; [unrolled: 2-line block ×4, first 2 shown]
                                        ; implicit-def: $vgpr36_vgpr37_vgpr38_vgpr39
	s_waitcnt lgkmcnt(15)
	flat_store_b64 v[0:1], v[16:17]
	s_waitcnt lgkmcnt(15)
	flat_store_b64 v[0:1], v[18:19] offset:2048
	s_waitcnt lgkmcnt(15)
	flat_store_b64 v[2:3], v[20:21]
	s_waitcnt lgkmcnt(15)
	flat_store_b64 v[2:3], v[22:23] offset:2048
	;; [unrolled: 4-line block ×4, first 2 shown]
                                        ; implicit-def: $vgpr128
                                        ; implicit-def: $vgpr4_vgpr5_vgpr6_vgpr7_vgpr8_vgpr9_vgpr10_vgpr11_vgpr12_vgpr13_vgpr14_vgpr15_vgpr16_vgpr17_vgpr18_vgpr19_vgpr20_vgpr21_vgpr22_vgpr23_vgpr24_vgpr25_vgpr26_vgpr27_vgpr28_vgpr29_vgpr30_vgpr31_vgpr32_vgpr33_vgpr34_vgpr35
                                        ; implicit-def: $vgpr36
                                        ; implicit-def: $vgpr37
                                        ; implicit-def: $vgpr1
                                        ; implicit-def: $vgpr0
                                        ; implicit-def: $vgpr195
                                        ; implicit-def: $vgpr199
                                        ; implicit-def: $vgpr196
                                        ; implicit-def: $vgpr194
                                        ; implicit-def: $vgpr193
                                        ; implicit-def: $vgpr192
                                        ; implicit-def: $vgpr183
                                        ; implicit-def: $vgpr180
                                        ; implicit-def: $vgpr179
                                        ; implicit-def: $vgpr178
                                        ; implicit-def: $vgpr177
                                        ; implicit-def: $vgpr176
                                        ; implicit-def: $vgpr167
                                        ; implicit-def: $vgpr135
.LBB8_375:
	s_and_not1_saveexec_b32 s0, s0
	s_cbranch_execz .LBB8_453
; %bb.376:
	v_lshl_add_u32 v1, v208, 3, v1
	v_lshrrev_b32_e32 v2, 5, v198
	v_lshrrev_b32_e32 v3, 5, v197
	v_add_lshl_u32 v0, v0, v128, 3
	v_mov_b32_e32 v129, 0
	ds_store_2addr_b64 v1, v[4:5], v[6:7] offset1:1
	ds_store_2addr_b64 v1, v[8:9], v[10:11] offset0:2 offset1:3
	ds_store_2addr_b64 v1, v[12:13], v[14:15] offset0:4 offset1:5
	;; [unrolled: 1-line block ×7, first 2 shown]
	v_lshrrev_b32_e32 v17, 5, v180
	v_lshrrev_b32_e32 v18, 5, v179
	;; [unrolled: 1-line block ×8, first 2 shown]
	v_add_lshl_u32 v19, v17, v128, 3
	v_lshrrev_b32_e32 v17, 5, v178
	v_add_lshl_u32 v20, v18, v128, 3
	v_lshrrev_b32_e32 v18, 5, v177
	v_lshrrev_b32_e32 v21, 5, v176
	v_lshrrev_b32_e32 v22, 5, v167
	v_lshrrev_b32_e32 v23, 5, v135
	v_add_lshl_u32 v8, v8, v128, 3
	v_add_lshl_u32 v16, v16, v128, 3
	v_add_lshl_u32 v1, v1, v128, 3
	v_add_lshl_u32 v12, v9, v128, 3
	v_add_lshl_u32 v4, v2, v128, 3
	v_add_lshl_u32 v13, v10, v128, 3
	v_add_lshl_u32 v6, v3, v128, 3
	v_add_lshl_u32 v14, v11, v128, 3
	v_add_lshl_u32 v24, v17, v128, 3
	v_add_lshl_u32 v26, v18, v128, 3
	v_add_lshl_u32 v27, v21, v128, 3
	v_add_lshl_u32 v28, v22, v128, 3
	v_add_lshl_u32 v30, v23, v128, 3
	s_waitcnt lgkmcnt(0)
	s_waitcnt_vscnt null, 0x0
	s_barrier
	buffer_gl0_inv
	ds_load_b64 v[2:3], v0
	ds_load_b64 v[0:1], v1 offset:2048
	ds_load_b64 v[4:5], v4 offset:4096
	;; [unrolled: 1-line block ×15, first 2 shown]
	v_add_co_u32 v32, vcc_lo, v36, v195
	v_add_co_ci_u32_e32 v33, vcc_lo, 0, v37, vcc_lo
	s_mov_b32 s1, exec_lo
	v_cmpx_lt_u32_e64 v128, v181
	s_cbranch_execnz .LBB8_454
; %bb.377:
	s_or_b32 exec_lo, exec_lo, s1
	s_delay_alu instid0(SALU_CYCLE_1)
	s_mov_b32 s1, exec_lo
	v_cmpx_lt_u32_e64 v199, v181
	s_cbranch_execnz .LBB8_455
.LBB8_378:
	s_or_b32 exec_lo, exec_lo, s1
	s_delay_alu instid0(SALU_CYCLE_1)
	s_mov_b32 s1, exec_lo
	v_cmpx_lt_u32_e64 v198, v181
	s_cbranch_execnz .LBB8_456
.LBB8_379:
	s_or_b32 exec_lo, exec_lo, s1
	s_delay_alu instid0(SALU_CYCLE_1)
	s_mov_b32 s1, exec_lo
	v_cmpx_lt_u32_e64 v197, v181
	s_cbranch_execnz .LBB8_457
.LBB8_380:
	s_or_b32 exec_lo, exec_lo, s1
	s_delay_alu instid0(SALU_CYCLE_1)
	s_mov_b32 s1, exec_lo
	v_cmpx_lt_u32_e64 v196, v181
	s_cbranch_execnz .LBB8_458
.LBB8_381:
	s_or_b32 exec_lo, exec_lo, s1
	s_delay_alu instid0(SALU_CYCLE_1)
	s_mov_b32 s1, exec_lo
	v_cmpx_lt_u32_e64 v194, v181
	s_cbranch_execnz .LBB8_459
.LBB8_382:
	s_or_b32 exec_lo, exec_lo, s1
	s_delay_alu instid0(SALU_CYCLE_1)
	s_mov_b32 s1, exec_lo
	v_cmpx_lt_u32_e64 v193, v181
	s_cbranch_execnz .LBB8_460
.LBB8_383:
	s_or_b32 exec_lo, exec_lo, s1
	s_delay_alu instid0(SALU_CYCLE_1)
	s_mov_b32 s1, exec_lo
	v_cmpx_lt_u32_e64 v192, v181
	s_cbranch_execnz .LBB8_461
.LBB8_384:
	s_or_b32 exec_lo, exec_lo, s1
	s_delay_alu instid0(SALU_CYCLE_1)
	s_mov_b32 s1, exec_lo
	v_cmpx_lt_u32_e64 v183, v181
	s_cbranch_execnz .LBB8_462
.LBB8_385:
	s_or_b32 exec_lo, exec_lo, s1
	s_delay_alu instid0(SALU_CYCLE_1)
	s_mov_b32 s1, exec_lo
	v_cmpx_lt_u32_e64 v180, v181
	s_cbranch_execnz .LBB8_463
.LBB8_386:
	s_or_b32 exec_lo, exec_lo, s1
	s_delay_alu instid0(SALU_CYCLE_1)
	s_mov_b32 s1, exec_lo
	v_cmpx_lt_u32_e64 v179, v181
	s_cbranch_execnz .LBB8_464
.LBB8_387:
	s_or_b32 exec_lo, exec_lo, s1
	s_delay_alu instid0(SALU_CYCLE_1)
	s_mov_b32 s1, exec_lo
	v_cmpx_lt_u32_e64 v178, v181
	s_cbranch_execnz .LBB8_465
.LBB8_388:
	s_or_b32 exec_lo, exec_lo, s1
	s_delay_alu instid0(SALU_CYCLE_1)
	s_mov_b32 s1, exec_lo
	v_cmpx_lt_u32_e64 v177, v181
	s_cbranch_execnz .LBB8_466
.LBB8_389:
	s_or_b32 exec_lo, exec_lo, s1
	s_delay_alu instid0(SALU_CYCLE_1)
	s_mov_b32 s1, exec_lo
	v_cmpx_lt_u32_e64 v176, v181
	s_cbranch_execnz .LBB8_467
.LBB8_390:
	s_or_b32 exec_lo, exec_lo, s1
	s_delay_alu instid0(SALU_CYCLE_1)
	s_mov_b32 s1, exec_lo
	v_cmpx_lt_u32_e64 v167, v181
	s_cbranch_execnz .LBB8_468
.LBB8_391:
	s_or_b32 exec_lo, exec_lo, s1
	s_delay_alu instid0(SALU_CYCLE_1)
	s_mov_b32 s1, exec_lo
	v_cmpx_lt_u32_e64 v135, v181
	s_cbranch_execz .LBB8_393
.LBB8_392:
	v_add_co_u32 v32, vcc_lo, 0x7000, v32
	v_add_co_ci_u32_e32 v33, vcc_lo, 0, v33, vcc_lo
	s_waitcnt lgkmcnt(0)
	flat_store_b64 v[32:33], v[30:31] offset:2048
.LBB8_393:
	s_or_b32 exec_lo, exec_lo, s1
	s_delay_alu instid0(SALU_CYCLE_1)
	s_mov_b32 s1, exec_lo
	v_cmpx_lt_u64_e32 1, v[50:51]
	s_cbranch_execz .LBB8_452
; %bb.394:
	v_add_co_u32 v32, vcc_lo, v181, -1
	v_add_co_ci_u32_e32 v33, vcc_lo, -1, v182, vcc_lo
	s_delay_alu instid0(VALU_DEP_1) | instskip(NEXT) | instid1(VALU_DEP_1)
	v_lshrrev_b64 v[33:34], 4, v[32:33]
	v_cmp_eq_u64_e32 vcc_lo, v[33:34], v[128:129]
	s_and_b32 exec_lo, exec_lo, vcc_lo
	s_cbranch_execz .LBB8_452
; %bb.395:
	v_dual_mov_b32 v33, 0 :: v_dual_and_b32 v32, 15, v32
	s_mov_b32 s2, exec_lo
	s_delay_alu instid0(VALU_DEP_1)
	v_cmpx_lt_i64_e32 7, v[32:33]
	s_xor_b32 s2, exec_lo, s2
	s_cbranch_execz .LBB8_425
; %bb.396:
	s_mov_b32 s3, exec_lo
	v_cmpx_lt_i64_e32 11, v[32:33]
	s_xor_b32 s3, exec_lo, s3
	s_cbranch_execz .LBB8_410
; %bb.397:
	s_mov_b32 s4, exec_lo
	;; [unrolled: 5-line block ×3, first 2 shown]
	v_cmpx_lt_i64_e32 14, v[32:33]
	s_xor_b32 s5, exec_lo, s5
	s_cbranch_execz .LBB8_400
; %bb.399:
	s_waitcnt lgkmcnt(0)
	flat_store_b64 v[38:39], v[30:31]
                                        ; implicit-def: $vgpr38_vgpr39
                                        ; implicit-def: $vgpr28_vgpr29
.LBB8_400:
	s_and_not1_saveexec_b32 s5, s5
	s_cbranch_execz .LBB8_402
; %bb.401:
	s_waitcnt lgkmcnt(1)
	flat_store_b64 v[38:39], v[28:29]
.LBB8_402:
	s_or_b32 exec_lo, exec_lo, s5
                                        ; implicit-def: $vgpr38_vgpr39
                                        ; implicit-def: $vgpr22_vgpr23
                                        ; implicit-def: $vgpr32_vgpr33
                                        ; implicit-def: $vgpr26_vgpr27
.LBB8_403:
	s_and_not1_saveexec_b32 s4, s4
	s_cbranch_execz .LBB8_409
; %bb.404:
	s_mov_b32 s5, exec_lo
	v_cmpx_lt_i64_e32 12, v[32:33]
	s_xor_b32 s5, exec_lo, s5
	s_cbranch_execz .LBB8_406
; %bb.405:
	s_waitcnt lgkmcnt(2)
	flat_store_b64 v[38:39], v[26:27]
                                        ; implicit-def: $vgpr38_vgpr39
                                        ; implicit-def: $vgpr22_vgpr23
.LBB8_406:
	s_and_not1_saveexec_b32 s5, s5
	s_cbranch_execz .LBB8_408
; %bb.407:
	s_waitcnt lgkmcnt(3)
	flat_store_b64 v[38:39], v[22:23]
.LBB8_408:
	s_or_b32 exec_lo, exec_lo, s5
.LBB8_409:
	s_delay_alu instid0(SALU_CYCLE_1)
	s_or_b32 exec_lo, exec_lo, s4
                                        ; implicit-def: $vgpr32_vgpr33
                                        ; implicit-def: $vgpr38_vgpr39
                                        ; implicit-def: $vgpr16_vgpr17
                                        ; implicit-def: $vgpr20_vgpr21
                                        ; implicit-def: $vgpr18_vgpr19
                                        ; implicit-def: $vgpr24_vgpr25
.LBB8_410:
	s_and_not1_saveexec_b32 s3, s3
	s_cbranch_execz .LBB8_424
; %bb.411:
	s_mov_b32 s4, exec_lo
	v_cmpx_lt_i64_e32 9, v[32:33]
	s_xor_b32 s4, exec_lo, s4
	s_cbranch_execz .LBB8_417
; %bb.412:
	s_mov_b32 s5, exec_lo
	v_cmpx_lt_i64_e32 10, v[32:33]
	s_xor_b32 s5, exec_lo, s5
	s_cbranch_execz .LBB8_414
; %bb.413:
	s_waitcnt lgkmcnt(4)
	flat_store_b64 v[38:39], v[24:25]
                                        ; implicit-def: $vgpr38_vgpr39
                                        ; implicit-def: $vgpr20_vgpr21
.LBB8_414:
	s_and_not1_saveexec_b32 s5, s5
	s_cbranch_execz .LBB8_416
; %bb.415:
	s_waitcnt lgkmcnt(5)
	flat_store_b64 v[38:39], v[20:21]
.LBB8_416:
	s_or_b32 exec_lo, exec_lo, s5
                                        ; implicit-def: $vgpr38_vgpr39
                                        ; implicit-def: $vgpr16_vgpr17
                                        ; implicit-def: $vgpr32_vgpr33
                                        ; implicit-def: $vgpr18_vgpr19
.LBB8_417:
	s_and_not1_saveexec_b32 s4, s4
	s_cbranch_execz .LBB8_423
; %bb.418:
	s_mov_b32 s5, exec_lo
	v_cmpx_lt_i64_e32 8, v[32:33]
	s_xor_b32 s5, exec_lo, s5
	s_cbranch_execz .LBB8_420
; %bb.419:
	s_waitcnt lgkmcnt(6)
	flat_store_b64 v[38:39], v[18:19]
                                        ; implicit-def: $vgpr38_vgpr39
                                        ; implicit-def: $vgpr16_vgpr17
.LBB8_420:
	s_and_not1_saveexec_b32 s5, s5
	s_cbranch_execz .LBB8_422
; %bb.421:
	s_waitcnt lgkmcnt(7)
	flat_store_b64 v[38:39], v[16:17]
.LBB8_422:
	s_or_b32 exec_lo, exec_lo, s5
.LBB8_423:
	s_delay_alu instid0(SALU_CYCLE_1)
	s_or_b32 exec_lo, exec_lo, s4
.LBB8_424:
	s_delay_alu instid0(SALU_CYCLE_1)
	s_or_b32 exec_lo, exec_lo, s3
                                        ; implicit-def: $vgpr2_vgpr3
                                        ; implicit-def: $vgpr0_vgpr1
                                        ; implicit-def: $vgpr4_vgpr5
                                        ; implicit-def: $vgpr6_vgpr7
                                        ; implicit-def: $vgpr8_vgpr9
                                        ; implicit-def: $vgpr10_vgpr11
                                        ; implicit-def: $vgpr12_vgpr13
                                        ; implicit-def: $vgpr14_vgpr15
                                        ; implicit-def: $vgpr38_vgpr39
                                        ; implicit-def: $vgpr32_vgpr33
.LBB8_425:
	s_and_not1_saveexec_b32 s2, s2
	s_cbranch_execz .LBB8_452
; %bb.426:
	s_mov_b32 s2, exec_lo
	v_cmpx_lt_i64_e32 3, v[32:33]
	s_xor_b32 s2, exec_lo, s2
	s_cbranch_execz .LBB8_440
; %bb.427:
	s_mov_b32 s3, exec_lo
	v_cmpx_lt_i64_e32 5, v[32:33]
	s_xor_b32 s3, exec_lo, s3
	;; [unrolled: 5-line block ×3, first 2 shown]
	s_cbranch_execz .LBB8_430
; %bb.429:
	s_waitcnt lgkmcnt(8)
	flat_store_b64 v[38:39], v[14:15]
                                        ; implicit-def: $vgpr38_vgpr39
                                        ; implicit-def: $vgpr12_vgpr13
.LBB8_430:
	s_and_not1_saveexec_b32 s4, s4
	s_cbranch_execz .LBB8_432
; %bb.431:
	s_waitcnt lgkmcnt(9)
	flat_store_b64 v[38:39], v[12:13]
.LBB8_432:
	s_or_b32 exec_lo, exec_lo, s4
                                        ; implicit-def: $vgpr38_vgpr39
                                        ; implicit-def: $vgpr8_vgpr9
                                        ; implicit-def: $vgpr32_vgpr33
                                        ; implicit-def: $vgpr10_vgpr11
.LBB8_433:
	s_and_not1_saveexec_b32 s3, s3
	s_cbranch_execz .LBB8_439
; %bb.434:
	s_mov_b32 s4, exec_lo
	v_cmpx_lt_i64_e32 4, v[32:33]
	s_xor_b32 s4, exec_lo, s4
	s_cbranch_execz .LBB8_436
; %bb.435:
	s_waitcnt lgkmcnt(10)
	flat_store_b64 v[38:39], v[10:11]
                                        ; implicit-def: $vgpr38_vgpr39
                                        ; implicit-def: $vgpr8_vgpr9
.LBB8_436:
	s_and_not1_saveexec_b32 s4, s4
	s_cbranch_execz .LBB8_438
; %bb.437:
	s_waitcnt lgkmcnt(11)
	flat_store_b64 v[38:39], v[8:9]
.LBB8_438:
	s_or_b32 exec_lo, exec_lo, s4
.LBB8_439:
	s_delay_alu instid0(SALU_CYCLE_1)
	s_or_b32 exec_lo, exec_lo, s3
                                        ; implicit-def: $vgpr32_vgpr33
                                        ; implicit-def: $vgpr38_vgpr39
                                        ; implicit-def: $vgpr0_vgpr1
                                        ; implicit-def: $vgpr4_vgpr5
                                        ; implicit-def: $vgpr2_vgpr3
                                        ; implicit-def: $vgpr6_vgpr7
.LBB8_440:
	s_and_not1_saveexec_b32 s2, s2
	s_cbranch_execz .LBB8_452
; %bb.441:
	s_mov_b32 s2, exec_lo
	v_cmpx_lt_i64_e32 1, v[32:33]
	s_xor_b32 s2, exec_lo, s2
	s_cbranch_execz .LBB8_447
; %bb.442:
	s_mov_b32 s3, exec_lo
	v_cmpx_lt_i64_e32 2, v[32:33]
	s_xor_b32 s3, exec_lo, s3
	s_cbranch_execz .LBB8_444
; %bb.443:
	s_waitcnt lgkmcnt(12)
	flat_store_b64 v[38:39], v[6:7]
                                        ; implicit-def: $vgpr38_vgpr39
                                        ; implicit-def: $vgpr4_vgpr5
.LBB8_444:
	s_and_not1_saveexec_b32 s3, s3
	s_cbranch_execz .LBB8_446
; %bb.445:
	s_waitcnt lgkmcnt(13)
	flat_store_b64 v[38:39], v[4:5]
.LBB8_446:
	s_or_b32 exec_lo, exec_lo, s3
                                        ; implicit-def: $vgpr38_vgpr39
                                        ; implicit-def: $vgpr0_vgpr1
                                        ; implicit-def: $vgpr32_vgpr33
                                        ; implicit-def: $vgpr2_vgpr3
.LBB8_447:
	s_and_not1_saveexec_b32 s2, s2
	s_cbranch_execz .LBB8_452
; %bb.448:
	s_mov_b32 s2, exec_lo
	v_cmpx_ne_u64_e32 1, v[32:33]
	s_xor_b32 s2, exec_lo, s2
	s_cbranch_execz .LBB8_450
; %bb.449:
	s_waitcnt lgkmcnt(15)
	flat_store_b64 v[38:39], v[2:3]
                                        ; implicit-def: $vgpr38_vgpr39
                                        ; implicit-def: $vgpr0_vgpr1
.LBB8_450:
	s_and_not1_saveexec_b32 s2, s2
	s_cbranch_execz .LBB8_452
; %bb.451:
	s_waitcnt lgkmcnt(14)
	flat_store_b64 v[38:39], v[0:1]
.LBB8_452:
	s_or_b32 exec_lo, exec_lo, s1
.LBB8_453:
	s_delay_alu instid0(SALU_CYCLE_1)
	s_or_b32 exec_lo, exec_lo, s0
	v_readlane_b32 s30, v44, 0
	v_readlane_b32 s31, v44, 1
	s_or_saveexec_b32 s0, -1
	scratch_load_b32 v44, off, s32          ; 4-byte Folded Reload
	s_mov_b32 exec_lo, s0
	s_waitcnt vmcnt(0) lgkmcnt(0)
	s_setpc_b64 s[30:31]
.LBB8_454:
	s_waitcnt lgkmcnt(15)
	flat_store_b64 v[32:33], v[2:3]
	s_or_b32 exec_lo, exec_lo, s1
	s_delay_alu instid0(SALU_CYCLE_1)
	s_mov_b32 s1, exec_lo
	v_cmpx_lt_u32_e64 v199, v181
	s_cbranch_execz .LBB8_378
.LBB8_455:
	s_waitcnt lgkmcnt(14)
	flat_store_b64 v[32:33], v[0:1] offset:2048
	s_or_b32 exec_lo, exec_lo, s1
	s_delay_alu instid0(SALU_CYCLE_1)
	s_mov_b32 s1, exec_lo
	v_cmpx_lt_u32_e64 v198, v181
	s_cbranch_execz .LBB8_379
.LBB8_456:
	v_add_co_u32 v34, vcc_lo, 0x1000, v32
	v_add_co_ci_u32_e32 v35, vcc_lo, 0, v33, vcc_lo
	s_waitcnt lgkmcnt(13)
	flat_store_b64 v[34:35], v[4:5]
	s_or_b32 exec_lo, exec_lo, s1
	s_delay_alu instid0(SALU_CYCLE_1)
	s_mov_b32 s1, exec_lo
	v_cmpx_lt_u32_e64 v197, v181
	s_cbranch_execz .LBB8_380
.LBB8_457:
	v_add_co_u32 v34, vcc_lo, 0x1000, v32
	v_add_co_ci_u32_e32 v35, vcc_lo, 0, v33, vcc_lo
	s_waitcnt lgkmcnt(12)
	flat_store_b64 v[34:35], v[6:7] offset:2048
	s_or_b32 exec_lo, exec_lo, s1
	s_delay_alu instid0(SALU_CYCLE_1)
	s_mov_b32 s1, exec_lo
	v_cmpx_lt_u32_e64 v196, v181
	s_cbranch_execz .LBB8_381
.LBB8_458:
	v_add_co_u32 v34, vcc_lo, 0x2000, v32
	v_add_co_ci_u32_e32 v35, vcc_lo, 0, v33, vcc_lo
	s_waitcnt lgkmcnt(11)
	flat_store_b64 v[34:35], v[8:9]
	s_or_b32 exec_lo, exec_lo, s1
	s_delay_alu instid0(SALU_CYCLE_1)
	s_mov_b32 s1, exec_lo
	v_cmpx_lt_u32_e64 v194, v181
	s_cbranch_execz .LBB8_382
.LBB8_459:
	v_add_co_u32 v34, vcc_lo, 0x2000, v32
	v_add_co_ci_u32_e32 v35, vcc_lo, 0, v33, vcc_lo
	s_waitcnt lgkmcnt(10)
	flat_store_b64 v[34:35], v[10:11] offset:2048
	s_or_b32 exec_lo, exec_lo, s1
	s_delay_alu instid0(SALU_CYCLE_1)
	s_mov_b32 s1, exec_lo
	v_cmpx_lt_u32_e64 v193, v181
	s_cbranch_execz .LBB8_383
.LBB8_460:
	v_add_co_u32 v34, vcc_lo, 0x3000, v32
	v_add_co_ci_u32_e32 v35, vcc_lo, 0, v33, vcc_lo
	s_waitcnt lgkmcnt(9)
	flat_store_b64 v[34:35], v[12:13]
	s_or_b32 exec_lo, exec_lo, s1
	s_delay_alu instid0(SALU_CYCLE_1)
	s_mov_b32 s1, exec_lo
	v_cmpx_lt_u32_e64 v192, v181
	s_cbranch_execz .LBB8_384
.LBB8_461:
	v_add_co_u32 v34, vcc_lo, 0x3000, v32
	v_add_co_ci_u32_e32 v35, vcc_lo, 0, v33, vcc_lo
	s_waitcnt lgkmcnt(8)
	flat_store_b64 v[34:35], v[14:15] offset:2048
	s_or_b32 exec_lo, exec_lo, s1
	s_delay_alu instid0(SALU_CYCLE_1)
	s_mov_b32 s1, exec_lo
	v_cmpx_lt_u32_e64 v183, v181
	s_cbranch_execz .LBB8_385
.LBB8_462:
	v_add_co_u32 v34, vcc_lo, 0x4000, v32
	v_add_co_ci_u32_e32 v35, vcc_lo, 0, v33, vcc_lo
	s_waitcnt lgkmcnt(7)
	flat_store_b64 v[34:35], v[16:17]
	s_or_b32 exec_lo, exec_lo, s1
	s_delay_alu instid0(SALU_CYCLE_1)
	s_mov_b32 s1, exec_lo
	v_cmpx_lt_u32_e64 v180, v181
	s_cbranch_execz .LBB8_386
.LBB8_463:
	v_add_co_u32 v34, vcc_lo, 0x4000, v32
	v_add_co_ci_u32_e32 v35, vcc_lo, 0, v33, vcc_lo
	s_waitcnt lgkmcnt(6)
	flat_store_b64 v[34:35], v[18:19] offset:2048
	s_or_b32 exec_lo, exec_lo, s1
	s_delay_alu instid0(SALU_CYCLE_1)
	s_mov_b32 s1, exec_lo
	v_cmpx_lt_u32_e64 v179, v181
	s_cbranch_execz .LBB8_387
.LBB8_464:
	v_add_co_u32 v34, vcc_lo, 0x5000, v32
	v_add_co_ci_u32_e32 v35, vcc_lo, 0, v33, vcc_lo
	s_waitcnt lgkmcnt(5)
	flat_store_b64 v[34:35], v[20:21]
	s_or_b32 exec_lo, exec_lo, s1
	s_delay_alu instid0(SALU_CYCLE_1)
	s_mov_b32 s1, exec_lo
	v_cmpx_lt_u32_e64 v178, v181
	s_cbranch_execz .LBB8_388
.LBB8_465:
	v_add_co_u32 v34, vcc_lo, 0x5000, v32
	v_add_co_ci_u32_e32 v35, vcc_lo, 0, v33, vcc_lo
	s_waitcnt lgkmcnt(4)
	flat_store_b64 v[34:35], v[24:25] offset:2048
	s_or_b32 exec_lo, exec_lo, s1
	s_delay_alu instid0(SALU_CYCLE_1)
	s_mov_b32 s1, exec_lo
	v_cmpx_lt_u32_e64 v177, v181
	s_cbranch_execz .LBB8_389
.LBB8_466:
	v_add_co_u32 v34, vcc_lo, 0x6000, v32
	v_add_co_ci_u32_e32 v35, vcc_lo, 0, v33, vcc_lo
	s_waitcnt lgkmcnt(3)
	flat_store_b64 v[34:35], v[22:23]
	s_or_b32 exec_lo, exec_lo, s1
	s_delay_alu instid0(SALU_CYCLE_1)
	s_mov_b32 s1, exec_lo
	v_cmpx_lt_u32_e64 v176, v181
	s_cbranch_execz .LBB8_390
.LBB8_467:
	v_add_co_u32 v34, vcc_lo, 0x6000, v32
	v_add_co_ci_u32_e32 v35, vcc_lo, 0, v33, vcc_lo
	s_waitcnt lgkmcnt(2)
	flat_store_b64 v[34:35], v[26:27] offset:2048
	s_or_b32 exec_lo, exec_lo, s1
	s_delay_alu instid0(SALU_CYCLE_1)
	s_mov_b32 s1, exec_lo
	v_cmpx_lt_u32_e64 v167, v181
	s_cbranch_execz .LBB8_391
.LBB8_468:
	v_add_co_u32 v34, vcc_lo, 0x7000, v32
	v_add_co_ci_u32_e32 v35, vcc_lo, 0, v33, vcc_lo
	s_waitcnt lgkmcnt(1)
	flat_store_b64 v[34:35], v[28:29]
	s_or_b32 exec_lo, exec_lo, s1
	s_delay_alu instid0(SALU_CYCLE_1)
	s_mov_b32 s1, exec_lo
	v_cmpx_lt_u32_e64 v135, v181
	s_cbranch_execnz .LBB8_392
	s_branch .LBB8_393
.Lfunc_end8:
	.size	_ZZZN7rocprim17ROCPRIM_400000_NS6detail9scan_implILNS1_25lookback_scan_determinismE0ELb0ELb0ENS0_14default_configEPKdPddZZZN2at6native31launch_logcumsumexp_cuda_kernelERKNS8_10TensorBaseESC_lENKUlvE_clEvENKUlvE_clEvEUlddE_dEEDaPvRmT3_T4_T5_mT6_P12ihipStream_tbENKUlT_T0_E_clISt17integral_constantIbLb0EEST_EEDaSO_SP_ENKUlSO_E_clINS1_13target_configIS4_NS1_20scan_config_selectorIdEENS1_11comp_targetILNS1_3genE9ELNS1_11target_archE1100ELNS1_3gpuE3ELNS1_3repE0EEELNS0_4arch9wavefront6targetE0EEEEEDaSO_, .Lfunc_end8-_ZZZN7rocprim17ROCPRIM_400000_NS6detail9scan_implILNS1_25lookback_scan_determinismE0ELb0ELb0ENS0_14default_configEPKdPddZZZN2at6native31launch_logcumsumexp_cuda_kernelERKNS8_10TensorBaseESC_lENKUlvE_clEvENKUlvE_clEvEUlddE_dEEDaPvRmT3_T4_T5_mT6_P12ihipStream_tbENKUlT_T0_E_clISt17integral_constantIbLb0EEST_EEDaSO_SP_ENKUlSO_E_clINS1_13target_configIS4_NS1_20scan_config_selectorIdEENS1_11comp_targetILNS1_3genE9ELNS1_11target_archE1100ELNS1_3gpuE3ELNS1_3repE0EEELNS0_4arch9wavefront6targetE0EEEEEDaSO_
                                        ; -- End function
	.section	.AMDGPU.csdata,"",@progbits
; Function info:
; codeLenInByte = 185632
; NumSgprs: 78
; NumVgprs: 248
; ScratchSize: 8
; MemoryBound: 0
	.section	.text._ZN7rocprim17ROCPRIM_400000_NS6detail17trampoline_kernelINS0_14default_configENS1_20scan_config_selectorIdEEZZNS1_9scan_implILNS1_25lookback_scan_determinismE0ELb0ELb0ES3_PKdPddZZZN2at6native31launch_logcumsumexp_cuda_kernelERKNSB_10TensorBaseESF_lENKUlvE_clEvENKUlvE_clEvEUlddE_dEEDaPvRmT3_T4_T5_mT6_P12ihipStream_tbENKUlT_T0_E_clISt17integral_constantIbLb0EESW_EEDaSR_SS_EUlSR_E_NS1_11comp_targetILNS1_3genE9ELNS1_11target_archE1100ELNS1_3gpuE3ELNS1_3repE0EEENS1_30default_config_static_selectorELNS0_4arch9wavefront6targetE0EEEvT1_,"axG",@progbits,_ZN7rocprim17ROCPRIM_400000_NS6detail17trampoline_kernelINS0_14default_configENS1_20scan_config_selectorIdEEZZNS1_9scan_implILNS1_25lookback_scan_determinismE0ELb0ELb0ES3_PKdPddZZZN2at6native31launch_logcumsumexp_cuda_kernelERKNSB_10TensorBaseESF_lENKUlvE_clEvENKUlvE_clEvEUlddE_dEEDaPvRmT3_T4_T5_mT6_P12ihipStream_tbENKUlT_T0_E_clISt17integral_constantIbLb0EESW_EEDaSR_SS_EUlSR_E_NS1_11comp_targetILNS1_3genE9ELNS1_11target_archE1100ELNS1_3gpuE3ELNS1_3repE0EEENS1_30default_config_static_selectorELNS0_4arch9wavefront6targetE0EEEvT1_,comdat
	.globl	_ZN7rocprim17ROCPRIM_400000_NS6detail17trampoline_kernelINS0_14default_configENS1_20scan_config_selectorIdEEZZNS1_9scan_implILNS1_25lookback_scan_determinismE0ELb0ELb0ES3_PKdPddZZZN2at6native31launch_logcumsumexp_cuda_kernelERKNSB_10TensorBaseESF_lENKUlvE_clEvENKUlvE_clEvEUlddE_dEEDaPvRmT3_T4_T5_mT6_P12ihipStream_tbENKUlT_T0_E_clISt17integral_constantIbLb0EESW_EEDaSR_SS_EUlSR_E_NS1_11comp_targetILNS1_3genE9ELNS1_11target_archE1100ELNS1_3gpuE3ELNS1_3repE0EEENS1_30default_config_static_selectorELNS0_4arch9wavefront6targetE0EEEvT1_ ; -- Begin function _ZN7rocprim17ROCPRIM_400000_NS6detail17trampoline_kernelINS0_14default_configENS1_20scan_config_selectorIdEEZZNS1_9scan_implILNS1_25lookback_scan_determinismE0ELb0ELb0ES3_PKdPddZZZN2at6native31launch_logcumsumexp_cuda_kernelERKNSB_10TensorBaseESF_lENKUlvE_clEvENKUlvE_clEvEUlddE_dEEDaPvRmT3_T4_T5_mT6_P12ihipStream_tbENKUlT_T0_E_clISt17integral_constantIbLb0EESW_EEDaSR_SS_EUlSR_E_NS1_11comp_targetILNS1_3genE9ELNS1_11target_archE1100ELNS1_3gpuE3ELNS1_3repE0EEENS1_30default_config_static_selectorELNS0_4arch9wavefront6targetE0EEEvT1_
	.p2align	8
	.type	_ZN7rocprim17ROCPRIM_400000_NS6detail17trampoline_kernelINS0_14default_configENS1_20scan_config_selectorIdEEZZNS1_9scan_implILNS1_25lookback_scan_determinismE0ELb0ELb0ES3_PKdPddZZZN2at6native31launch_logcumsumexp_cuda_kernelERKNSB_10TensorBaseESF_lENKUlvE_clEvENKUlvE_clEvEUlddE_dEEDaPvRmT3_T4_T5_mT6_P12ihipStream_tbENKUlT_T0_E_clISt17integral_constantIbLb0EESW_EEDaSR_SS_EUlSR_E_NS1_11comp_targetILNS1_3genE9ELNS1_11target_archE1100ELNS1_3gpuE3ELNS1_3repE0EEENS1_30default_config_static_selectorELNS0_4arch9wavefront6targetE0EEEvT1_,@function
_ZN7rocprim17ROCPRIM_400000_NS6detail17trampoline_kernelINS0_14default_configENS1_20scan_config_selectorIdEEZZNS1_9scan_implILNS1_25lookback_scan_determinismE0ELb0ELb0ES3_PKdPddZZZN2at6native31launch_logcumsumexp_cuda_kernelERKNSB_10TensorBaseESF_lENKUlvE_clEvENKUlvE_clEvEUlddE_dEEDaPvRmT3_T4_T5_mT6_P12ihipStream_tbENKUlT_T0_E_clISt17integral_constantIbLb0EESW_EEDaSR_SS_EUlSR_E_NS1_11comp_targetILNS1_3genE9ELNS1_11target_archE1100ELNS1_3gpuE3ELNS1_3repE0EEENS1_30default_config_static_selectorELNS0_4arch9wavefront6targetE0EEEvT1_: ; @_ZN7rocprim17ROCPRIM_400000_NS6detail17trampoline_kernelINS0_14default_configENS1_20scan_config_selectorIdEEZZNS1_9scan_implILNS1_25lookback_scan_determinismE0ELb0ELb0ES3_PKdPddZZZN2at6native31launch_logcumsumexp_cuda_kernelERKNSB_10TensorBaseESF_lENKUlvE_clEvENKUlvE_clEvEUlddE_dEEDaPvRmT3_T4_T5_mT6_P12ihipStream_tbENKUlT_T0_E_clISt17integral_constantIbLb0EESW_EEDaSR_SS_EUlSR_E_NS1_11comp_targetILNS1_3genE9ELNS1_11target_archE1100ELNS1_3gpuE3ELNS1_3repE0EEENS1_30default_config_static_selectorELNS0_4arch9wavefront6targetE0EEEvT1_
; %bb.0:
	s_clause 0x3
	s_load_b256 s[16:23], s[0:1], 0x0
	s_load_b256 s[24:31], s[0:1], 0x20
	;; [unrolled: 1-line block ×3, first 2 shown]
	s_load_b64 s[2:3], s[0:1], 0x60
	v_mov_b32_e32 v31, v0
	s_mov_b64 s[4:5], src_private_base
	s_add_u32 s8, s0, 0x68
	s_mov_b32 s12, s15
	s_addc_u32 s9, s1, 0
	s_movk_i32 s32, 0x70
	s_getpc_b64 s[0:1]
	s_add_u32 s0, s0, _ZZZN7rocprim17ROCPRIM_400000_NS6detail9scan_implILNS1_25lookback_scan_determinismE0ELb0ELb0ENS0_14default_configEPKdPddZZZN2at6native31launch_logcumsumexp_cuda_kernelERKNS8_10TensorBaseESC_lENKUlvE_clEvENKUlvE_clEvEUlddE_dEEDaPvRmT3_T4_T5_mT6_P12ihipStream_tbENKUlT_T0_E_clISt17integral_constantIbLb0EEST_EEDaSO_SP_ENKUlSO_E_clINS1_13target_configIS4_NS1_20scan_config_selectorIdEENS1_11comp_targetILNS1_3genE9ELNS1_11target_archE1100ELNS1_3gpuE3ELNS1_3repE0EEELNS0_4arch9wavefront6targetE0EEEEEDaSO_@rel32@lo+4
	s_addc_u32 s1, s1, _ZZZN7rocprim17ROCPRIM_400000_NS6detail9scan_implILNS1_25lookback_scan_determinismE0ELb0ELb0ENS0_14default_configEPKdPddZZZN2at6native31launch_logcumsumexp_cuda_kernelERKNS8_10TensorBaseESC_lENKUlvE_clEvENKUlvE_clEvEUlddE_dEEDaPvRmT3_T4_T5_mT6_P12ihipStream_tbENKUlT_T0_E_clISt17integral_constantIbLb0EEST_EEDaSO_SP_ENKUlSO_E_clINS1_13target_configIS4_NS1_20scan_config_selectorIdEENS1_11comp_targetILNS1_3genE9ELNS1_11target_archE1100ELNS1_3gpuE3ELNS1_3repE0EEELNS0_4arch9wavefront6targetE0EEEEEDaSO_@rel32@hi+12
	s_waitcnt lgkmcnt(0)
	v_dual_mov_b32 v0, s16 :: v_dual_mov_b32 v1, s17
	v_dual_mov_b32 v2, s18 :: v_dual_mov_b32 v3, s19
	;; [unrolled: 1-line block ×13, first 2 shown]
	s_clause 0x6
	scratch_store_b128 off, v[0:3], off
	scratch_store_b128 off, v[4:7], off offset:16
	scratch_store_b128 off, v[8:11], off offset:32
	;; [unrolled: 1-line block ×5, first 2 shown]
	scratch_store_b64 off, v[24:25], off offset:96
	v_dual_mov_b32 v0, 0 :: v_dual_mov_b32 v1, s5
	s_swappc_b64 s[30:31], s[0:1]
	s_endpgm
	.section	.rodata,"a",@progbits
	.p2align	6, 0x0
	.amdhsa_kernel _ZN7rocprim17ROCPRIM_400000_NS6detail17trampoline_kernelINS0_14default_configENS1_20scan_config_selectorIdEEZZNS1_9scan_implILNS1_25lookback_scan_determinismE0ELb0ELb0ES3_PKdPddZZZN2at6native31launch_logcumsumexp_cuda_kernelERKNSB_10TensorBaseESF_lENKUlvE_clEvENKUlvE_clEvEUlddE_dEEDaPvRmT3_T4_T5_mT6_P12ihipStream_tbENKUlT_T0_E_clISt17integral_constantIbLb0EESW_EEDaSR_SS_EUlSR_E_NS1_11comp_targetILNS1_3genE9ELNS1_11target_archE1100ELNS1_3gpuE3ELNS1_3repE0EEENS1_30default_config_static_selectorELNS0_4arch9wavefront6targetE0EEEvT1_
		.amdhsa_group_segment_fixed_size 33792
		.amdhsa_private_segment_fixed_size 120
		.amdhsa_kernarg_size 360
		.amdhsa_user_sgpr_count 15
		.amdhsa_user_sgpr_dispatch_ptr 0
		.amdhsa_user_sgpr_queue_ptr 0
		.amdhsa_user_sgpr_kernarg_segment_ptr 1
		.amdhsa_user_sgpr_dispatch_id 0
		.amdhsa_user_sgpr_private_segment_size 0
		.amdhsa_wavefront_size32 1
		.amdhsa_uses_dynamic_stack 0
		.amdhsa_enable_private_segment 1
		.amdhsa_system_sgpr_workgroup_id_x 1
		.amdhsa_system_sgpr_workgroup_id_y 0
		.amdhsa_system_sgpr_workgroup_id_z 0
		.amdhsa_system_sgpr_workgroup_info 0
		.amdhsa_system_vgpr_workitem_id 0
		.amdhsa_next_free_vgpr 248
		.amdhsa_next_free_sgpr 76
		.amdhsa_reserve_vcc 1
		.amdhsa_float_round_mode_32 0
		.amdhsa_float_round_mode_16_64 0
		.amdhsa_float_denorm_mode_32 3
		.amdhsa_float_denorm_mode_16_64 3
		.amdhsa_dx10_clamp 1
		.amdhsa_ieee_mode 1
		.amdhsa_fp16_overflow 0
		.amdhsa_workgroup_processor_mode 1
		.amdhsa_memory_ordered 1
		.amdhsa_forward_progress 0
		.amdhsa_shared_vgpr_count 0
		.amdhsa_exception_fp_ieee_invalid_op 0
		.amdhsa_exception_fp_denorm_src 0
		.amdhsa_exception_fp_ieee_div_zero 0
		.amdhsa_exception_fp_ieee_overflow 0
		.amdhsa_exception_fp_ieee_underflow 0
		.amdhsa_exception_fp_ieee_inexact 0
		.amdhsa_exception_int_div_zero 0
	.end_amdhsa_kernel
	.section	.text._ZN7rocprim17ROCPRIM_400000_NS6detail17trampoline_kernelINS0_14default_configENS1_20scan_config_selectorIdEEZZNS1_9scan_implILNS1_25lookback_scan_determinismE0ELb0ELb0ES3_PKdPddZZZN2at6native31launch_logcumsumexp_cuda_kernelERKNSB_10TensorBaseESF_lENKUlvE_clEvENKUlvE_clEvEUlddE_dEEDaPvRmT3_T4_T5_mT6_P12ihipStream_tbENKUlT_T0_E_clISt17integral_constantIbLb0EESW_EEDaSR_SS_EUlSR_E_NS1_11comp_targetILNS1_3genE9ELNS1_11target_archE1100ELNS1_3gpuE3ELNS1_3repE0EEENS1_30default_config_static_selectorELNS0_4arch9wavefront6targetE0EEEvT1_,"axG",@progbits,_ZN7rocprim17ROCPRIM_400000_NS6detail17trampoline_kernelINS0_14default_configENS1_20scan_config_selectorIdEEZZNS1_9scan_implILNS1_25lookback_scan_determinismE0ELb0ELb0ES3_PKdPddZZZN2at6native31launch_logcumsumexp_cuda_kernelERKNSB_10TensorBaseESF_lENKUlvE_clEvENKUlvE_clEvEUlddE_dEEDaPvRmT3_T4_T5_mT6_P12ihipStream_tbENKUlT_T0_E_clISt17integral_constantIbLb0EESW_EEDaSR_SS_EUlSR_E_NS1_11comp_targetILNS1_3genE9ELNS1_11target_archE1100ELNS1_3gpuE3ELNS1_3repE0EEENS1_30default_config_static_selectorELNS0_4arch9wavefront6targetE0EEEvT1_,comdat
.Lfunc_end9:
	.size	_ZN7rocprim17ROCPRIM_400000_NS6detail17trampoline_kernelINS0_14default_configENS1_20scan_config_selectorIdEEZZNS1_9scan_implILNS1_25lookback_scan_determinismE0ELb0ELb0ES3_PKdPddZZZN2at6native31launch_logcumsumexp_cuda_kernelERKNSB_10TensorBaseESF_lENKUlvE_clEvENKUlvE_clEvEUlddE_dEEDaPvRmT3_T4_T5_mT6_P12ihipStream_tbENKUlT_T0_E_clISt17integral_constantIbLb0EESW_EEDaSR_SS_EUlSR_E_NS1_11comp_targetILNS1_3genE9ELNS1_11target_archE1100ELNS1_3gpuE3ELNS1_3repE0EEENS1_30default_config_static_selectorELNS0_4arch9wavefront6targetE0EEEvT1_, .Lfunc_end9-_ZN7rocprim17ROCPRIM_400000_NS6detail17trampoline_kernelINS0_14default_configENS1_20scan_config_selectorIdEEZZNS1_9scan_implILNS1_25lookback_scan_determinismE0ELb0ELb0ES3_PKdPddZZZN2at6native31launch_logcumsumexp_cuda_kernelERKNSB_10TensorBaseESF_lENKUlvE_clEvENKUlvE_clEvEUlddE_dEEDaPvRmT3_T4_T5_mT6_P12ihipStream_tbENKUlT_T0_E_clISt17integral_constantIbLb0EESW_EEDaSR_SS_EUlSR_E_NS1_11comp_targetILNS1_3genE9ELNS1_11target_archE1100ELNS1_3gpuE3ELNS1_3repE0EEENS1_30default_config_static_selectorELNS0_4arch9wavefront6targetE0EEEvT1_
                                        ; -- End function
	.section	.AMDGPU.csdata,"",@progbits
; Kernel info:
; codeLenInByte = 268
; NumSgprs: 78
; NumVgprs: 248
; ScratchSize: 120
; MemoryBound: 0
; FloatMode: 240
; IeeeMode: 1
; LDSByteSize: 33792 bytes/workgroup (compile time only)
; SGPRBlocks: 9
; VGPRBlocks: 30
; NumSGPRsForWavesPerEU: 78
; NumVGPRsForWavesPerEU: 248
; Occupancy: 5
; WaveLimiterHint : 1
; COMPUTE_PGM_RSRC2:SCRATCH_EN: 1
; COMPUTE_PGM_RSRC2:USER_SGPR: 15
; COMPUTE_PGM_RSRC2:TRAP_HANDLER: 0
; COMPUTE_PGM_RSRC2:TGID_X_EN: 1
; COMPUTE_PGM_RSRC2:TGID_Y_EN: 0
; COMPUTE_PGM_RSRC2:TGID_Z_EN: 0
; COMPUTE_PGM_RSRC2:TIDIG_COMP_CNT: 0
	.section	.text._ZN7rocprim17ROCPRIM_400000_NS6detail17trampoline_kernelINS0_14default_configENS1_20scan_config_selectorIdEEZZNS1_9scan_implILNS1_25lookback_scan_determinismE0ELb0ELb0ES3_PKdPddZZZN2at6native31launch_logcumsumexp_cuda_kernelERKNSB_10TensorBaseESF_lENKUlvE_clEvENKUlvE_clEvEUlddE_dEEDaPvRmT3_T4_T5_mT6_P12ihipStream_tbENKUlT_T0_E_clISt17integral_constantIbLb0EESW_EEDaSR_SS_EUlSR_E_NS1_11comp_targetILNS1_3genE8ELNS1_11target_archE1030ELNS1_3gpuE2ELNS1_3repE0EEENS1_30default_config_static_selectorELNS0_4arch9wavefront6targetE0EEEvT1_,"axG",@progbits,_ZN7rocprim17ROCPRIM_400000_NS6detail17trampoline_kernelINS0_14default_configENS1_20scan_config_selectorIdEEZZNS1_9scan_implILNS1_25lookback_scan_determinismE0ELb0ELb0ES3_PKdPddZZZN2at6native31launch_logcumsumexp_cuda_kernelERKNSB_10TensorBaseESF_lENKUlvE_clEvENKUlvE_clEvEUlddE_dEEDaPvRmT3_T4_T5_mT6_P12ihipStream_tbENKUlT_T0_E_clISt17integral_constantIbLb0EESW_EEDaSR_SS_EUlSR_E_NS1_11comp_targetILNS1_3genE8ELNS1_11target_archE1030ELNS1_3gpuE2ELNS1_3repE0EEENS1_30default_config_static_selectorELNS0_4arch9wavefront6targetE0EEEvT1_,comdat
	.globl	_ZN7rocprim17ROCPRIM_400000_NS6detail17trampoline_kernelINS0_14default_configENS1_20scan_config_selectorIdEEZZNS1_9scan_implILNS1_25lookback_scan_determinismE0ELb0ELb0ES3_PKdPddZZZN2at6native31launch_logcumsumexp_cuda_kernelERKNSB_10TensorBaseESF_lENKUlvE_clEvENKUlvE_clEvEUlddE_dEEDaPvRmT3_T4_T5_mT6_P12ihipStream_tbENKUlT_T0_E_clISt17integral_constantIbLb0EESW_EEDaSR_SS_EUlSR_E_NS1_11comp_targetILNS1_3genE8ELNS1_11target_archE1030ELNS1_3gpuE2ELNS1_3repE0EEENS1_30default_config_static_selectorELNS0_4arch9wavefront6targetE0EEEvT1_ ; -- Begin function _ZN7rocprim17ROCPRIM_400000_NS6detail17trampoline_kernelINS0_14default_configENS1_20scan_config_selectorIdEEZZNS1_9scan_implILNS1_25lookback_scan_determinismE0ELb0ELb0ES3_PKdPddZZZN2at6native31launch_logcumsumexp_cuda_kernelERKNSB_10TensorBaseESF_lENKUlvE_clEvENKUlvE_clEvEUlddE_dEEDaPvRmT3_T4_T5_mT6_P12ihipStream_tbENKUlT_T0_E_clISt17integral_constantIbLb0EESW_EEDaSR_SS_EUlSR_E_NS1_11comp_targetILNS1_3genE8ELNS1_11target_archE1030ELNS1_3gpuE2ELNS1_3repE0EEENS1_30default_config_static_selectorELNS0_4arch9wavefront6targetE0EEEvT1_
	.p2align	8
	.type	_ZN7rocprim17ROCPRIM_400000_NS6detail17trampoline_kernelINS0_14default_configENS1_20scan_config_selectorIdEEZZNS1_9scan_implILNS1_25lookback_scan_determinismE0ELb0ELb0ES3_PKdPddZZZN2at6native31launch_logcumsumexp_cuda_kernelERKNSB_10TensorBaseESF_lENKUlvE_clEvENKUlvE_clEvEUlddE_dEEDaPvRmT3_T4_T5_mT6_P12ihipStream_tbENKUlT_T0_E_clISt17integral_constantIbLb0EESW_EEDaSR_SS_EUlSR_E_NS1_11comp_targetILNS1_3genE8ELNS1_11target_archE1030ELNS1_3gpuE2ELNS1_3repE0EEENS1_30default_config_static_selectorELNS0_4arch9wavefront6targetE0EEEvT1_,@function
_ZN7rocprim17ROCPRIM_400000_NS6detail17trampoline_kernelINS0_14default_configENS1_20scan_config_selectorIdEEZZNS1_9scan_implILNS1_25lookback_scan_determinismE0ELb0ELb0ES3_PKdPddZZZN2at6native31launch_logcumsumexp_cuda_kernelERKNSB_10TensorBaseESF_lENKUlvE_clEvENKUlvE_clEvEUlddE_dEEDaPvRmT3_T4_T5_mT6_P12ihipStream_tbENKUlT_T0_E_clISt17integral_constantIbLb0EESW_EEDaSR_SS_EUlSR_E_NS1_11comp_targetILNS1_3genE8ELNS1_11target_archE1030ELNS1_3gpuE2ELNS1_3repE0EEENS1_30default_config_static_selectorELNS0_4arch9wavefront6targetE0EEEvT1_: ; @_ZN7rocprim17ROCPRIM_400000_NS6detail17trampoline_kernelINS0_14default_configENS1_20scan_config_selectorIdEEZZNS1_9scan_implILNS1_25lookback_scan_determinismE0ELb0ELb0ES3_PKdPddZZZN2at6native31launch_logcumsumexp_cuda_kernelERKNSB_10TensorBaseESF_lENKUlvE_clEvENKUlvE_clEvEUlddE_dEEDaPvRmT3_T4_T5_mT6_P12ihipStream_tbENKUlT_T0_E_clISt17integral_constantIbLb0EESW_EEDaSR_SS_EUlSR_E_NS1_11comp_targetILNS1_3genE8ELNS1_11target_archE1030ELNS1_3gpuE2ELNS1_3repE0EEENS1_30default_config_static_selectorELNS0_4arch9wavefront6targetE0EEEvT1_
; %bb.0:
	.section	.rodata,"a",@progbits
	.p2align	6, 0x0
	.amdhsa_kernel _ZN7rocprim17ROCPRIM_400000_NS6detail17trampoline_kernelINS0_14default_configENS1_20scan_config_selectorIdEEZZNS1_9scan_implILNS1_25lookback_scan_determinismE0ELb0ELb0ES3_PKdPddZZZN2at6native31launch_logcumsumexp_cuda_kernelERKNSB_10TensorBaseESF_lENKUlvE_clEvENKUlvE_clEvEUlddE_dEEDaPvRmT3_T4_T5_mT6_P12ihipStream_tbENKUlT_T0_E_clISt17integral_constantIbLb0EESW_EEDaSR_SS_EUlSR_E_NS1_11comp_targetILNS1_3genE8ELNS1_11target_archE1030ELNS1_3gpuE2ELNS1_3repE0EEENS1_30default_config_static_selectorELNS0_4arch9wavefront6targetE0EEEvT1_
		.amdhsa_group_segment_fixed_size 0
		.amdhsa_private_segment_fixed_size 0
		.amdhsa_kernarg_size 104
		.amdhsa_user_sgpr_count 15
		.amdhsa_user_sgpr_dispatch_ptr 0
		.amdhsa_user_sgpr_queue_ptr 0
		.amdhsa_user_sgpr_kernarg_segment_ptr 1
		.amdhsa_user_sgpr_dispatch_id 0
		.amdhsa_user_sgpr_private_segment_size 0
		.amdhsa_wavefront_size32 1
		.amdhsa_uses_dynamic_stack 0
		.amdhsa_enable_private_segment 0
		.amdhsa_system_sgpr_workgroup_id_x 1
		.amdhsa_system_sgpr_workgroup_id_y 0
		.amdhsa_system_sgpr_workgroup_id_z 0
		.amdhsa_system_sgpr_workgroup_info 0
		.amdhsa_system_vgpr_workitem_id 0
		.amdhsa_next_free_vgpr 1
		.amdhsa_next_free_sgpr 1
		.amdhsa_reserve_vcc 0
		.amdhsa_float_round_mode_32 0
		.amdhsa_float_round_mode_16_64 0
		.amdhsa_float_denorm_mode_32 3
		.amdhsa_float_denorm_mode_16_64 3
		.amdhsa_dx10_clamp 1
		.amdhsa_ieee_mode 1
		.amdhsa_fp16_overflow 0
		.amdhsa_workgroup_processor_mode 1
		.amdhsa_memory_ordered 1
		.amdhsa_forward_progress 0
		.amdhsa_shared_vgpr_count 0
		.amdhsa_exception_fp_ieee_invalid_op 0
		.amdhsa_exception_fp_denorm_src 0
		.amdhsa_exception_fp_ieee_div_zero 0
		.amdhsa_exception_fp_ieee_overflow 0
		.amdhsa_exception_fp_ieee_underflow 0
		.amdhsa_exception_fp_ieee_inexact 0
		.amdhsa_exception_int_div_zero 0
	.end_amdhsa_kernel
	.section	.text._ZN7rocprim17ROCPRIM_400000_NS6detail17trampoline_kernelINS0_14default_configENS1_20scan_config_selectorIdEEZZNS1_9scan_implILNS1_25lookback_scan_determinismE0ELb0ELb0ES3_PKdPddZZZN2at6native31launch_logcumsumexp_cuda_kernelERKNSB_10TensorBaseESF_lENKUlvE_clEvENKUlvE_clEvEUlddE_dEEDaPvRmT3_T4_T5_mT6_P12ihipStream_tbENKUlT_T0_E_clISt17integral_constantIbLb0EESW_EEDaSR_SS_EUlSR_E_NS1_11comp_targetILNS1_3genE8ELNS1_11target_archE1030ELNS1_3gpuE2ELNS1_3repE0EEENS1_30default_config_static_selectorELNS0_4arch9wavefront6targetE0EEEvT1_,"axG",@progbits,_ZN7rocprim17ROCPRIM_400000_NS6detail17trampoline_kernelINS0_14default_configENS1_20scan_config_selectorIdEEZZNS1_9scan_implILNS1_25lookback_scan_determinismE0ELb0ELb0ES3_PKdPddZZZN2at6native31launch_logcumsumexp_cuda_kernelERKNSB_10TensorBaseESF_lENKUlvE_clEvENKUlvE_clEvEUlddE_dEEDaPvRmT3_T4_T5_mT6_P12ihipStream_tbENKUlT_T0_E_clISt17integral_constantIbLb0EESW_EEDaSR_SS_EUlSR_E_NS1_11comp_targetILNS1_3genE8ELNS1_11target_archE1030ELNS1_3gpuE2ELNS1_3repE0EEENS1_30default_config_static_selectorELNS0_4arch9wavefront6targetE0EEEvT1_,comdat
.Lfunc_end10:
	.size	_ZN7rocprim17ROCPRIM_400000_NS6detail17trampoline_kernelINS0_14default_configENS1_20scan_config_selectorIdEEZZNS1_9scan_implILNS1_25lookback_scan_determinismE0ELb0ELb0ES3_PKdPddZZZN2at6native31launch_logcumsumexp_cuda_kernelERKNSB_10TensorBaseESF_lENKUlvE_clEvENKUlvE_clEvEUlddE_dEEDaPvRmT3_T4_T5_mT6_P12ihipStream_tbENKUlT_T0_E_clISt17integral_constantIbLb0EESW_EEDaSR_SS_EUlSR_E_NS1_11comp_targetILNS1_3genE8ELNS1_11target_archE1030ELNS1_3gpuE2ELNS1_3repE0EEENS1_30default_config_static_selectorELNS0_4arch9wavefront6targetE0EEEvT1_, .Lfunc_end10-_ZN7rocprim17ROCPRIM_400000_NS6detail17trampoline_kernelINS0_14default_configENS1_20scan_config_selectorIdEEZZNS1_9scan_implILNS1_25lookback_scan_determinismE0ELb0ELb0ES3_PKdPddZZZN2at6native31launch_logcumsumexp_cuda_kernelERKNSB_10TensorBaseESF_lENKUlvE_clEvENKUlvE_clEvEUlddE_dEEDaPvRmT3_T4_T5_mT6_P12ihipStream_tbENKUlT_T0_E_clISt17integral_constantIbLb0EESW_EEDaSR_SS_EUlSR_E_NS1_11comp_targetILNS1_3genE8ELNS1_11target_archE1030ELNS1_3gpuE2ELNS1_3repE0EEENS1_30default_config_static_selectorELNS0_4arch9wavefront6targetE0EEEvT1_
                                        ; -- End function
	.section	.AMDGPU.csdata,"",@progbits
; Kernel info:
; codeLenInByte = 0
; NumSgprs: 0
; NumVgprs: 0
; ScratchSize: 0
; MemoryBound: 0
; FloatMode: 240
; IeeeMode: 1
; LDSByteSize: 0 bytes/workgroup (compile time only)
; SGPRBlocks: 0
; VGPRBlocks: 0
; NumSGPRsForWavesPerEU: 1
; NumVGPRsForWavesPerEU: 1
; Occupancy: 16
; WaveLimiterHint : 0
; COMPUTE_PGM_RSRC2:SCRATCH_EN: 0
; COMPUTE_PGM_RSRC2:USER_SGPR: 15
; COMPUTE_PGM_RSRC2:TRAP_HANDLER: 0
; COMPUTE_PGM_RSRC2:TGID_X_EN: 1
; COMPUTE_PGM_RSRC2:TGID_Y_EN: 0
; COMPUTE_PGM_RSRC2:TGID_Z_EN: 0
; COMPUTE_PGM_RSRC2:TIDIG_COMP_CNT: 0
	.section	.text._ZN7rocprim17ROCPRIM_400000_NS6detail17trampoline_kernelINS0_14default_configENS1_25transform_config_selectorIdLb1EEEZNS1_14transform_implILb1ES3_S5_PdS7_NS0_8identityIdEEEE10hipError_tT2_T3_mT4_P12ihipStream_tbEUlT_E_NS1_11comp_targetILNS1_3genE0ELNS1_11target_archE4294967295ELNS1_3gpuE0ELNS1_3repE0EEENS1_30default_config_static_selectorELNS0_4arch9wavefront6targetE0EEEvT1_,"axG",@progbits,_ZN7rocprim17ROCPRIM_400000_NS6detail17trampoline_kernelINS0_14default_configENS1_25transform_config_selectorIdLb1EEEZNS1_14transform_implILb1ES3_S5_PdS7_NS0_8identityIdEEEE10hipError_tT2_T3_mT4_P12ihipStream_tbEUlT_E_NS1_11comp_targetILNS1_3genE0ELNS1_11target_archE4294967295ELNS1_3gpuE0ELNS1_3repE0EEENS1_30default_config_static_selectorELNS0_4arch9wavefront6targetE0EEEvT1_,comdat
	.protected	_ZN7rocprim17ROCPRIM_400000_NS6detail17trampoline_kernelINS0_14default_configENS1_25transform_config_selectorIdLb1EEEZNS1_14transform_implILb1ES3_S5_PdS7_NS0_8identityIdEEEE10hipError_tT2_T3_mT4_P12ihipStream_tbEUlT_E_NS1_11comp_targetILNS1_3genE0ELNS1_11target_archE4294967295ELNS1_3gpuE0ELNS1_3repE0EEENS1_30default_config_static_selectorELNS0_4arch9wavefront6targetE0EEEvT1_ ; -- Begin function _ZN7rocprim17ROCPRIM_400000_NS6detail17trampoline_kernelINS0_14default_configENS1_25transform_config_selectorIdLb1EEEZNS1_14transform_implILb1ES3_S5_PdS7_NS0_8identityIdEEEE10hipError_tT2_T3_mT4_P12ihipStream_tbEUlT_E_NS1_11comp_targetILNS1_3genE0ELNS1_11target_archE4294967295ELNS1_3gpuE0ELNS1_3repE0EEENS1_30default_config_static_selectorELNS0_4arch9wavefront6targetE0EEEvT1_
	.globl	_ZN7rocprim17ROCPRIM_400000_NS6detail17trampoline_kernelINS0_14default_configENS1_25transform_config_selectorIdLb1EEEZNS1_14transform_implILb1ES3_S5_PdS7_NS0_8identityIdEEEE10hipError_tT2_T3_mT4_P12ihipStream_tbEUlT_E_NS1_11comp_targetILNS1_3genE0ELNS1_11target_archE4294967295ELNS1_3gpuE0ELNS1_3repE0EEENS1_30default_config_static_selectorELNS0_4arch9wavefront6targetE0EEEvT1_
	.p2align	8
	.type	_ZN7rocprim17ROCPRIM_400000_NS6detail17trampoline_kernelINS0_14default_configENS1_25transform_config_selectorIdLb1EEEZNS1_14transform_implILb1ES3_S5_PdS7_NS0_8identityIdEEEE10hipError_tT2_T3_mT4_P12ihipStream_tbEUlT_E_NS1_11comp_targetILNS1_3genE0ELNS1_11target_archE4294967295ELNS1_3gpuE0ELNS1_3repE0EEENS1_30default_config_static_selectorELNS0_4arch9wavefront6targetE0EEEvT1_,@function
_ZN7rocprim17ROCPRIM_400000_NS6detail17trampoline_kernelINS0_14default_configENS1_25transform_config_selectorIdLb1EEEZNS1_14transform_implILb1ES3_S5_PdS7_NS0_8identityIdEEEE10hipError_tT2_T3_mT4_P12ihipStream_tbEUlT_E_NS1_11comp_targetILNS1_3genE0ELNS1_11target_archE4294967295ELNS1_3gpuE0ELNS1_3repE0EEENS1_30default_config_static_selectorELNS0_4arch9wavefront6targetE0EEEvT1_: ; @_ZN7rocprim17ROCPRIM_400000_NS6detail17trampoline_kernelINS0_14default_configENS1_25transform_config_selectorIdLb1EEEZNS1_14transform_implILb1ES3_S5_PdS7_NS0_8identityIdEEEE10hipError_tT2_T3_mT4_P12ihipStream_tbEUlT_E_NS1_11comp_targetILNS1_3genE0ELNS1_11target_archE4294967295ELNS1_3gpuE0ELNS1_3repE0EEENS1_30default_config_static_selectorELNS0_4arch9wavefront6targetE0EEEvT1_
; %bb.0:
	.section	.rodata,"a",@progbits
	.p2align	6, 0x0
	.amdhsa_kernel _ZN7rocprim17ROCPRIM_400000_NS6detail17trampoline_kernelINS0_14default_configENS1_25transform_config_selectorIdLb1EEEZNS1_14transform_implILb1ES3_S5_PdS7_NS0_8identityIdEEEE10hipError_tT2_T3_mT4_P12ihipStream_tbEUlT_E_NS1_11comp_targetILNS1_3genE0ELNS1_11target_archE4294967295ELNS1_3gpuE0ELNS1_3repE0EEENS1_30default_config_static_selectorELNS0_4arch9wavefront6targetE0EEEvT1_
		.amdhsa_group_segment_fixed_size 0
		.amdhsa_private_segment_fixed_size 0
		.amdhsa_kernarg_size 40
		.amdhsa_user_sgpr_count 15
		.amdhsa_user_sgpr_dispatch_ptr 0
		.amdhsa_user_sgpr_queue_ptr 0
		.amdhsa_user_sgpr_kernarg_segment_ptr 1
		.amdhsa_user_sgpr_dispatch_id 0
		.amdhsa_user_sgpr_private_segment_size 0
		.amdhsa_wavefront_size32 1
		.amdhsa_uses_dynamic_stack 0
		.amdhsa_enable_private_segment 0
		.amdhsa_system_sgpr_workgroup_id_x 1
		.amdhsa_system_sgpr_workgroup_id_y 0
		.amdhsa_system_sgpr_workgroup_id_z 0
		.amdhsa_system_sgpr_workgroup_info 0
		.amdhsa_system_vgpr_workitem_id 0
		.amdhsa_next_free_vgpr 1
		.amdhsa_next_free_sgpr 1
		.amdhsa_reserve_vcc 0
		.amdhsa_float_round_mode_32 0
		.amdhsa_float_round_mode_16_64 0
		.amdhsa_float_denorm_mode_32 3
		.amdhsa_float_denorm_mode_16_64 3
		.amdhsa_dx10_clamp 1
		.amdhsa_ieee_mode 1
		.amdhsa_fp16_overflow 0
		.amdhsa_workgroup_processor_mode 1
		.amdhsa_memory_ordered 1
		.amdhsa_forward_progress 0
		.amdhsa_shared_vgpr_count 0
		.amdhsa_exception_fp_ieee_invalid_op 0
		.amdhsa_exception_fp_denorm_src 0
		.amdhsa_exception_fp_ieee_div_zero 0
		.amdhsa_exception_fp_ieee_overflow 0
		.amdhsa_exception_fp_ieee_underflow 0
		.amdhsa_exception_fp_ieee_inexact 0
		.amdhsa_exception_int_div_zero 0
	.end_amdhsa_kernel
	.section	.text._ZN7rocprim17ROCPRIM_400000_NS6detail17trampoline_kernelINS0_14default_configENS1_25transform_config_selectorIdLb1EEEZNS1_14transform_implILb1ES3_S5_PdS7_NS0_8identityIdEEEE10hipError_tT2_T3_mT4_P12ihipStream_tbEUlT_E_NS1_11comp_targetILNS1_3genE0ELNS1_11target_archE4294967295ELNS1_3gpuE0ELNS1_3repE0EEENS1_30default_config_static_selectorELNS0_4arch9wavefront6targetE0EEEvT1_,"axG",@progbits,_ZN7rocprim17ROCPRIM_400000_NS6detail17trampoline_kernelINS0_14default_configENS1_25transform_config_selectorIdLb1EEEZNS1_14transform_implILb1ES3_S5_PdS7_NS0_8identityIdEEEE10hipError_tT2_T3_mT4_P12ihipStream_tbEUlT_E_NS1_11comp_targetILNS1_3genE0ELNS1_11target_archE4294967295ELNS1_3gpuE0ELNS1_3repE0EEENS1_30default_config_static_selectorELNS0_4arch9wavefront6targetE0EEEvT1_,comdat
.Lfunc_end11:
	.size	_ZN7rocprim17ROCPRIM_400000_NS6detail17trampoline_kernelINS0_14default_configENS1_25transform_config_selectorIdLb1EEEZNS1_14transform_implILb1ES3_S5_PdS7_NS0_8identityIdEEEE10hipError_tT2_T3_mT4_P12ihipStream_tbEUlT_E_NS1_11comp_targetILNS1_3genE0ELNS1_11target_archE4294967295ELNS1_3gpuE0ELNS1_3repE0EEENS1_30default_config_static_selectorELNS0_4arch9wavefront6targetE0EEEvT1_, .Lfunc_end11-_ZN7rocprim17ROCPRIM_400000_NS6detail17trampoline_kernelINS0_14default_configENS1_25transform_config_selectorIdLb1EEEZNS1_14transform_implILb1ES3_S5_PdS7_NS0_8identityIdEEEE10hipError_tT2_T3_mT4_P12ihipStream_tbEUlT_E_NS1_11comp_targetILNS1_3genE0ELNS1_11target_archE4294967295ELNS1_3gpuE0ELNS1_3repE0EEENS1_30default_config_static_selectorELNS0_4arch9wavefront6targetE0EEEvT1_
                                        ; -- End function
	.section	.AMDGPU.csdata,"",@progbits
; Kernel info:
; codeLenInByte = 0
; NumSgprs: 0
; NumVgprs: 0
; ScratchSize: 0
; MemoryBound: 0
; FloatMode: 240
; IeeeMode: 1
; LDSByteSize: 0 bytes/workgroup (compile time only)
; SGPRBlocks: 0
; VGPRBlocks: 0
; NumSGPRsForWavesPerEU: 1
; NumVGPRsForWavesPerEU: 1
; Occupancy: 16
; WaveLimiterHint : 0
; COMPUTE_PGM_RSRC2:SCRATCH_EN: 0
; COMPUTE_PGM_RSRC2:USER_SGPR: 15
; COMPUTE_PGM_RSRC2:TRAP_HANDLER: 0
; COMPUTE_PGM_RSRC2:TGID_X_EN: 1
; COMPUTE_PGM_RSRC2:TGID_Y_EN: 0
; COMPUTE_PGM_RSRC2:TGID_Z_EN: 0
; COMPUTE_PGM_RSRC2:TIDIG_COMP_CNT: 0
	.section	.text._ZN7rocprim17ROCPRIM_400000_NS6detail17trampoline_kernelINS0_14default_configENS1_25transform_config_selectorIdLb1EEEZNS1_14transform_implILb1ES3_S5_PdS7_NS0_8identityIdEEEE10hipError_tT2_T3_mT4_P12ihipStream_tbEUlT_E_NS1_11comp_targetILNS1_3genE10ELNS1_11target_archE1201ELNS1_3gpuE5ELNS1_3repE0EEENS1_30default_config_static_selectorELNS0_4arch9wavefront6targetE0EEEvT1_,"axG",@progbits,_ZN7rocprim17ROCPRIM_400000_NS6detail17trampoline_kernelINS0_14default_configENS1_25transform_config_selectorIdLb1EEEZNS1_14transform_implILb1ES3_S5_PdS7_NS0_8identityIdEEEE10hipError_tT2_T3_mT4_P12ihipStream_tbEUlT_E_NS1_11comp_targetILNS1_3genE10ELNS1_11target_archE1201ELNS1_3gpuE5ELNS1_3repE0EEENS1_30default_config_static_selectorELNS0_4arch9wavefront6targetE0EEEvT1_,comdat
	.protected	_ZN7rocprim17ROCPRIM_400000_NS6detail17trampoline_kernelINS0_14default_configENS1_25transform_config_selectorIdLb1EEEZNS1_14transform_implILb1ES3_S5_PdS7_NS0_8identityIdEEEE10hipError_tT2_T3_mT4_P12ihipStream_tbEUlT_E_NS1_11comp_targetILNS1_3genE10ELNS1_11target_archE1201ELNS1_3gpuE5ELNS1_3repE0EEENS1_30default_config_static_selectorELNS0_4arch9wavefront6targetE0EEEvT1_ ; -- Begin function _ZN7rocprim17ROCPRIM_400000_NS6detail17trampoline_kernelINS0_14default_configENS1_25transform_config_selectorIdLb1EEEZNS1_14transform_implILb1ES3_S5_PdS7_NS0_8identityIdEEEE10hipError_tT2_T3_mT4_P12ihipStream_tbEUlT_E_NS1_11comp_targetILNS1_3genE10ELNS1_11target_archE1201ELNS1_3gpuE5ELNS1_3repE0EEENS1_30default_config_static_selectorELNS0_4arch9wavefront6targetE0EEEvT1_
	.globl	_ZN7rocprim17ROCPRIM_400000_NS6detail17trampoline_kernelINS0_14default_configENS1_25transform_config_selectorIdLb1EEEZNS1_14transform_implILb1ES3_S5_PdS7_NS0_8identityIdEEEE10hipError_tT2_T3_mT4_P12ihipStream_tbEUlT_E_NS1_11comp_targetILNS1_3genE10ELNS1_11target_archE1201ELNS1_3gpuE5ELNS1_3repE0EEENS1_30default_config_static_selectorELNS0_4arch9wavefront6targetE0EEEvT1_
	.p2align	8
	.type	_ZN7rocprim17ROCPRIM_400000_NS6detail17trampoline_kernelINS0_14default_configENS1_25transform_config_selectorIdLb1EEEZNS1_14transform_implILb1ES3_S5_PdS7_NS0_8identityIdEEEE10hipError_tT2_T3_mT4_P12ihipStream_tbEUlT_E_NS1_11comp_targetILNS1_3genE10ELNS1_11target_archE1201ELNS1_3gpuE5ELNS1_3repE0EEENS1_30default_config_static_selectorELNS0_4arch9wavefront6targetE0EEEvT1_,@function
_ZN7rocprim17ROCPRIM_400000_NS6detail17trampoline_kernelINS0_14default_configENS1_25transform_config_selectorIdLb1EEEZNS1_14transform_implILb1ES3_S5_PdS7_NS0_8identityIdEEEE10hipError_tT2_T3_mT4_P12ihipStream_tbEUlT_E_NS1_11comp_targetILNS1_3genE10ELNS1_11target_archE1201ELNS1_3gpuE5ELNS1_3repE0EEENS1_30default_config_static_selectorELNS0_4arch9wavefront6targetE0EEEvT1_: ; @_ZN7rocprim17ROCPRIM_400000_NS6detail17trampoline_kernelINS0_14default_configENS1_25transform_config_selectorIdLb1EEEZNS1_14transform_implILb1ES3_S5_PdS7_NS0_8identityIdEEEE10hipError_tT2_T3_mT4_P12ihipStream_tbEUlT_E_NS1_11comp_targetILNS1_3genE10ELNS1_11target_archE1201ELNS1_3gpuE5ELNS1_3repE0EEENS1_30default_config_static_selectorELNS0_4arch9wavefront6targetE0EEEvT1_
; %bb.0:
	.section	.rodata,"a",@progbits
	.p2align	6, 0x0
	.amdhsa_kernel _ZN7rocprim17ROCPRIM_400000_NS6detail17trampoline_kernelINS0_14default_configENS1_25transform_config_selectorIdLb1EEEZNS1_14transform_implILb1ES3_S5_PdS7_NS0_8identityIdEEEE10hipError_tT2_T3_mT4_P12ihipStream_tbEUlT_E_NS1_11comp_targetILNS1_3genE10ELNS1_11target_archE1201ELNS1_3gpuE5ELNS1_3repE0EEENS1_30default_config_static_selectorELNS0_4arch9wavefront6targetE0EEEvT1_
		.amdhsa_group_segment_fixed_size 0
		.amdhsa_private_segment_fixed_size 0
		.amdhsa_kernarg_size 40
		.amdhsa_user_sgpr_count 15
		.amdhsa_user_sgpr_dispatch_ptr 0
		.amdhsa_user_sgpr_queue_ptr 0
		.amdhsa_user_sgpr_kernarg_segment_ptr 1
		.amdhsa_user_sgpr_dispatch_id 0
		.amdhsa_user_sgpr_private_segment_size 0
		.amdhsa_wavefront_size32 1
		.amdhsa_uses_dynamic_stack 0
		.amdhsa_enable_private_segment 0
		.amdhsa_system_sgpr_workgroup_id_x 1
		.amdhsa_system_sgpr_workgroup_id_y 0
		.amdhsa_system_sgpr_workgroup_id_z 0
		.amdhsa_system_sgpr_workgroup_info 0
		.amdhsa_system_vgpr_workitem_id 0
		.amdhsa_next_free_vgpr 1
		.amdhsa_next_free_sgpr 1
		.amdhsa_reserve_vcc 0
		.amdhsa_float_round_mode_32 0
		.amdhsa_float_round_mode_16_64 0
		.amdhsa_float_denorm_mode_32 3
		.amdhsa_float_denorm_mode_16_64 3
		.amdhsa_dx10_clamp 1
		.amdhsa_ieee_mode 1
		.amdhsa_fp16_overflow 0
		.amdhsa_workgroup_processor_mode 1
		.amdhsa_memory_ordered 1
		.amdhsa_forward_progress 0
		.amdhsa_shared_vgpr_count 0
		.amdhsa_exception_fp_ieee_invalid_op 0
		.amdhsa_exception_fp_denorm_src 0
		.amdhsa_exception_fp_ieee_div_zero 0
		.amdhsa_exception_fp_ieee_overflow 0
		.amdhsa_exception_fp_ieee_underflow 0
		.amdhsa_exception_fp_ieee_inexact 0
		.amdhsa_exception_int_div_zero 0
	.end_amdhsa_kernel
	.section	.text._ZN7rocprim17ROCPRIM_400000_NS6detail17trampoline_kernelINS0_14default_configENS1_25transform_config_selectorIdLb1EEEZNS1_14transform_implILb1ES3_S5_PdS7_NS0_8identityIdEEEE10hipError_tT2_T3_mT4_P12ihipStream_tbEUlT_E_NS1_11comp_targetILNS1_3genE10ELNS1_11target_archE1201ELNS1_3gpuE5ELNS1_3repE0EEENS1_30default_config_static_selectorELNS0_4arch9wavefront6targetE0EEEvT1_,"axG",@progbits,_ZN7rocprim17ROCPRIM_400000_NS6detail17trampoline_kernelINS0_14default_configENS1_25transform_config_selectorIdLb1EEEZNS1_14transform_implILb1ES3_S5_PdS7_NS0_8identityIdEEEE10hipError_tT2_T3_mT4_P12ihipStream_tbEUlT_E_NS1_11comp_targetILNS1_3genE10ELNS1_11target_archE1201ELNS1_3gpuE5ELNS1_3repE0EEENS1_30default_config_static_selectorELNS0_4arch9wavefront6targetE0EEEvT1_,comdat
.Lfunc_end12:
	.size	_ZN7rocprim17ROCPRIM_400000_NS6detail17trampoline_kernelINS0_14default_configENS1_25transform_config_selectorIdLb1EEEZNS1_14transform_implILb1ES3_S5_PdS7_NS0_8identityIdEEEE10hipError_tT2_T3_mT4_P12ihipStream_tbEUlT_E_NS1_11comp_targetILNS1_3genE10ELNS1_11target_archE1201ELNS1_3gpuE5ELNS1_3repE0EEENS1_30default_config_static_selectorELNS0_4arch9wavefront6targetE0EEEvT1_, .Lfunc_end12-_ZN7rocprim17ROCPRIM_400000_NS6detail17trampoline_kernelINS0_14default_configENS1_25transform_config_selectorIdLb1EEEZNS1_14transform_implILb1ES3_S5_PdS7_NS0_8identityIdEEEE10hipError_tT2_T3_mT4_P12ihipStream_tbEUlT_E_NS1_11comp_targetILNS1_3genE10ELNS1_11target_archE1201ELNS1_3gpuE5ELNS1_3repE0EEENS1_30default_config_static_selectorELNS0_4arch9wavefront6targetE0EEEvT1_
                                        ; -- End function
	.section	.AMDGPU.csdata,"",@progbits
; Kernel info:
; codeLenInByte = 0
; NumSgprs: 0
; NumVgprs: 0
; ScratchSize: 0
; MemoryBound: 0
; FloatMode: 240
; IeeeMode: 1
; LDSByteSize: 0 bytes/workgroup (compile time only)
; SGPRBlocks: 0
; VGPRBlocks: 0
; NumSGPRsForWavesPerEU: 1
; NumVGPRsForWavesPerEU: 1
; Occupancy: 16
; WaveLimiterHint : 0
; COMPUTE_PGM_RSRC2:SCRATCH_EN: 0
; COMPUTE_PGM_RSRC2:USER_SGPR: 15
; COMPUTE_PGM_RSRC2:TRAP_HANDLER: 0
; COMPUTE_PGM_RSRC2:TGID_X_EN: 1
; COMPUTE_PGM_RSRC2:TGID_Y_EN: 0
; COMPUTE_PGM_RSRC2:TGID_Z_EN: 0
; COMPUTE_PGM_RSRC2:TIDIG_COMP_CNT: 0
	.section	.text._ZN7rocprim17ROCPRIM_400000_NS6detail17trampoline_kernelINS0_14default_configENS1_25transform_config_selectorIdLb1EEEZNS1_14transform_implILb1ES3_S5_PdS7_NS0_8identityIdEEEE10hipError_tT2_T3_mT4_P12ihipStream_tbEUlT_E_NS1_11comp_targetILNS1_3genE5ELNS1_11target_archE942ELNS1_3gpuE9ELNS1_3repE0EEENS1_30default_config_static_selectorELNS0_4arch9wavefront6targetE0EEEvT1_,"axG",@progbits,_ZN7rocprim17ROCPRIM_400000_NS6detail17trampoline_kernelINS0_14default_configENS1_25transform_config_selectorIdLb1EEEZNS1_14transform_implILb1ES3_S5_PdS7_NS0_8identityIdEEEE10hipError_tT2_T3_mT4_P12ihipStream_tbEUlT_E_NS1_11comp_targetILNS1_3genE5ELNS1_11target_archE942ELNS1_3gpuE9ELNS1_3repE0EEENS1_30default_config_static_selectorELNS0_4arch9wavefront6targetE0EEEvT1_,comdat
	.protected	_ZN7rocprim17ROCPRIM_400000_NS6detail17trampoline_kernelINS0_14default_configENS1_25transform_config_selectorIdLb1EEEZNS1_14transform_implILb1ES3_S5_PdS7_NS0_8identityIdEEEE10hipError_tT2_T3_mT4_P12ihipStream_tbEUlT_E_NS1_11comp_targetILNS1_3genE5ELNS1_11target_archE942ELNS1_3gpuE9ELNS1_3repE0EEENS1_30default_config_static_selectorELNS0_4arch9wavefront6targetE0EEEvT1_ ; -- Begin function _ZN7rocprim17ROCPRIM_400000_NS6detail17trampoline_kernelINS0_14default_configENS1_25transform_config_selectorIdLb1EEEZNS1_14transform_implILb1ES3_S5_PdS7_NS0_8identityIdEEEE10hipError_tT2_T3_mT4_P12ihipStream_tbEUlT_E_NS1_11comp_targetILNS1_3genE5ELNS1_11target_archE942ELNS1_3gpuE9ELNS1_3repE0EEENS1_30default_config_static_selectorELNS0_4arch9wavefront6targetE0EEEvT1_
	.globl	_ZN7rocprim17ROCPRIM_400000_NS6detail17trampoline_kernelINS0_14default_configENS1_25transform_config_selectorIdLb1EEEZNS1_14transform_implILb1ES3_S5_PdS7_NS0_8identityIdEEEE10hipError_tT2_T3_mT4_P12ihipStream_tbEUlT_E_NS1_11comp_targetILNS1_3genE5ELNS1_11target_archE942ELNS1_3gpuE9ELNS1_3repE0EEENS1_30default_config_static_selectorELNS0_4arch9wavefront6targetE0EEEvT1_
	.p2align	8
	.type	_ZN7rocprim17ROCPRIM_400000_NS6detail17trampoline_kernelINS0_14default_configENS1_25transform_config_selectorIdLb1EEEZNS1_14transform_implILb1ES3_S5_PdS7_NS0_8identityIdEEEE10hipError_tT2_T3_mT4_P12ihipStream_tbEUlT_E_NS1_11comp_targetILNS1_3genE5ELNS1_11target_archE942ELNS1_3gpuE9ELNS1_3repE0EEENS1_30default_config_static_selectorELNS0_4arch9wavefront6targetE0EEEvT1_,@function
_ZN7rocprim17ROCPRIM_400000_NS6detail17trampoline_kernelINS0_14default_configENS1_25transform_config_selectorIdLb1EEEZNS1_14transform_implILb1ES3_S5_PdS7_NS0_8identityIdEEEE10hipError_tT2_T3_mT4_P12ihipStream_tbEUlT_E_NS1_11comp_targetILNS1_3genE5ELNS1_11target_archE942ELNS1_3gpuE9ELNS1_3repE0EEENS1_30default_config_static_selectorELNS0_4arch9wavefront6targetE0EEEvT1_: ; @_ZN7rocprim17ROCPRIM_400000_NS6detail17trampoline_kernelINS0_14default_configENS1_25transform_config_selectorIdLb1EEEZNS1_14transform_implILb1ES3_S5_PdS7_NS0_8identityIdEEEE10hipError_tT2_T3_mT4_P12ihipStream_tbEUlT_E_NS1_11comp_targetILNS1_3genE5ELNS1_11target_archE942ELNS1_3gpuE9ELNS1_3repE0EEENS1_30default_config_static_selectorELNS0_4arch9wavefront6targetE0EEEvT1_
; %bb.0:
	.section	.rodata,"a",@progbits
	.p2align	6, 0x0
	.amdhsa_kernel _ZN7rocprim17ROCPRIM_400000_NS6detail17trampoline_kernelINS0_14default_configENS1_25transform_config_selectorIdLb1EEEZNS1_14transform_implILb1ES3_S5_PdS7_NS0_8identityIdEEEE10hipError_tT2_T3_mT4_P12ihipStream_tbEUlT_E_NS1_11comp_targetILNS1_3genE5ELNS1_11target_archE942ELNS1_3gpuE9ELNS1_3repE0EEENS1_30default_config_static_selectorELNS0_4arch9wavefront6targetE0EEEvT1_
		.amdhsa_group_segment_fixed_size 0
		.amdhsa_private_segment_fixed_size 0
		.amdhsa_kernarg_size 40
		.amdhsa_user_sgpr_count 15
		.amdhsa_user_sgpr_dispatch_ptr 0
		.amdhsa_user_sgpr_queue_ptr 0
		.amdhsa_user_sgpr_kernarg_segment_ptr 1
		.amdhsa_user_sgpr_dispatch_id 0
		.amdhsa_user_sgpr_private_segment_size 0
		.amdhsa_wavefront_size32 1
		.amdhsa_uses_dynamic_stack 0
		.amdhsa_enable_private_segment 0
		.amdhsa_system_sgpr_workgroup_id_x 1
		.amdhsa_system_sgpr_workgroup_id_y 0
		.amdhsa_system_sgpr_workgroup_id_z 0
		.amdhsa_system_sgpr_workgroup_info 0
		.amdhsa_system_vgpr_workitem_id 0
		.amdhsa_next_free_vgpr 1
		.amdhsa_next_free_sgpr 1
		.amdhsa_reserve_vcc 0
		.amdhsa_float_round_mode_32 0
		.amdhsa_float_round_mode_16_64 0
		.amdhsa_float_denorm_mode_32 3
		.amdhsa_float_denorm_mode_16_64 3
		.amdhsa_dx10_clamp 1
		.amdhsa_ieee_mode 1
		.amdhsa_fp16_overflow 0
		.amdhsa_workgroup_processor_mode 1
		.amdhsa_memory_ordered 1
		.amdhsa_forward_progress 0
		.amdhsa_shared_vgpr_count 0
		.amdhsa_exception_fp_ieee_invalid_op 0
		.amdhsa_exception_fp_denorm_src 0
		.amdhsa_exception_fp_ieee_div_zero 0
		.amdhsa_exception_fp_ieee_overflow 0
		.amdhsa_exception_fp_ieee_underflow 0
		.amdhsa_exception_fp_ieee_inexact 0
		.amdhsa_exception_int_div_zero 0
	.end_amdhsa_kernel
	.section	.text._ZN7rocprim17ROCPRIM_400000_NS6detail17trampoline_kernelINS0_14default_configENS1_25transform_config_selectorIdLb1EEEZNS1_14transform_implILb1ES3_S5_PdS7_NS0_8identityIdEEEE10hipError_tT2_T3_mT4_P12ihipStream_tbEUlT_E_NS1_11comp_targetILNS1_3genE5ELNS1_11target_archE942ELNS1_3gpuE9ELNS1_3repE0EEENS1_30default_config_static_selectorELNS0_4arch9wavefront6targetE0EEEvT1_,"axG",@progbits,_ZN7rocprim17ROCPRIM_400000_NS6detail17trampoline_kernelINS0_14default_configENS1_25transform_config_selectorIdLb1EEEZNS1_14transform_implILb1ES3_S5_PdS7_NS0_8identityIdEEEE10hipError_tT2_T3_mT4_P12ihipStream_tbEUlT_E_NS1_11comp_targetILNS1_3genE5ELNS1_11target_archE942ELNS1_3gpuE9ELNS1_3repE0EEENS1_30default_config_static_selectorELNS0_4arch9wavefront6targetE0EEEvT1_,comdat
.Lfunc_end13:
	.size	_ZN7rocprim17ROCPRIM_400000_NS6detail17trampoline_kernelINS0_14default_configENS1_25transform_config_selectorIdLb1EEEZNS1_14transform_implILb1ES3_S5_PdS7_NS0_8identityIdEEEE10hipError_tT2_T3_mT4_P12ihipStream_tbEUlT_E_NS1_11comp_targetILNS1_3genE5ELNS1_11target_archE942ELNS1_3gpuE9ELNS1_3repE0EEENS1_30default_config_static_selectorELNS0_4arch9wavefront6targetE0EEEvT1_, .Lfunc_end13-_ZN7rocprim17ROCPRIM_400000_NS6detail17trampoline_kernelINS0_14default_configENS1_25transform_config_selectorIdLb1EEEZNS1_14transform_implILb1ES3_S5_PdS7_NS0_8identityIdEEEE10hipError_tT2_T3_mT4_P12ihipStream_tbEUlT_E_NS1_11comp_targetILNS1_3genE5ELNS1_11target_archE942ELNS1_3gpuE9ELNS1_3repE0EEENS1_30default_config_static_selectorELNS0_4arch9wavefront6targetE0EEEvT1_
                                        ; -- End function
	.section	.AMDGPU.csdata,"",@progbits
; Kernel info:
; codeLenInByte = 0
; NumSgprs: 0
; NumVgprs: 0
; ScratchSize: 0
; MemoryBound: 0
; FloatMode: 240
; IeeeMode: 1
; LDSByteSize: 0 bytes/workgroup (compile time only)
; SGPRBlocks: 0
; VGPRBlocks: 0
; NumSGPRsForWavesPerEU: 1
; NumVGPRsForWavesPerEU: 1
; Occupancy: 16
; WaveLimiterHint : 0
; COMPUTE_PGM_RSRC2:SCRATCH_EN: 0
; COMPUTE_PGM_RSRC2:USER_SGPR: 15
; COMPUTE_PGM_RSRC2:TRAP_HANDLER: 0
; COMPUTE_PGM_RSRC2:TGID_X_EN: 1
; COMPUTE_PGM_RSRC2:TGID_Y_EN: 0
; COMPUTE_PGM_RSRC2:TGID_Z_EN: 0
; COMPUTE_PGM_RSRC2:TIDIG_COMP_CNT: 0
	.section	.text._ZN7rocprim17ROCPRIM_400000_NS6detail17trampoline_kernelINS0_14default_configENS1_25transform_config_selectorIdLb1EEEZNS1_14transform_implILb1ES3_S5_PdS7_NS0_8identityIdEEEE10hipError_tT2_T3_mT4_P12ihipStream_tbEUlT_E_NS1_11comp_targetILNS1_3genE4ELNS1_11target_archE910ELNS1_3gpuE8ELNS1_3repE0EEENS1_30default_config_static_selectorELNS0_4arch9wavefront6targetE0EEEvT1_,"axG",@progbits,_ZN7rocprim17ROCPRIM_400000_NS6detail17trampoline_kernelINS0_14default_configENS1_25transform_config_selectorIdLb1EEEZNS1_14transform_implILb1ES3_S5_PdS7_NS0_8identityIdEEEE10hipError_tT2_T3_mT4_P12ihipStream_tbEUlT_E_NS1_11comp_targetILNS1_3genE4ELNS1_11target_archE910ELNS1_3gpuE8ELNS1_3repE0EEENS1_30default_config_static_selectorELNS0_4arch9wavefront6targetE0EEEvT1_,comdat
	.protected	_ZN7rocprim17ROCPRIM_400000_NS6detail17trampoline_kernelINS0_14default_configENS1_25transform_config_selectorIdLb1EEEZNS1_14transform_implILb1ES3_S5_PdS7_NS0_8identityIdEEEE10hipError_tT2_T3_mT4_P12ihipStream_tbEUlT_E_NS1_11comp_targetILNS1_3genE4ELNS1_11target_archE910ELNS1_3gpuE8ELNS1_3repE0EEENS1_30default_config_static_selectorELNS0_4arch9wavefront6targetE0EEEvT1_ ; -- Begin function _ZN7rocprim17ROCPRIM_400000_NS6detail17trampoline_kernelINS0_14default_configENS1_25transform_config_selectorIdLb1EEEZNS1_14transform_implILb1ES3_S5_PdS7_NS0_8identityIdEEEE10hipError_tT2_T3_mT4_P12ihipStream_tbEUlT_E_NS1_11comp_targetILNS1_3genE4ELNS1_11target_archE910ELNS1_3gpuE8ELNS1_3repE0EEENS1_30default_config_static_selectorELNS0_4arch9wavefront6targetE0EEEvT1_
	.globl	_ZN7rocprim17ROCPRIM_400000_NS6detail17trampoline_kernelINS0_14default_configENS1_25transform_config_selectorIdLb1EEEZNS1_14transform_implILb1ES3_S5_PdS7_NS0_8identityIdEEEE10hipError_tT2_T3_mT4_P12ihipStream_tbEUlT_E_NS1_11comp_targetILNS1_3genE4ELNS1_11target_archE910ELNS1_3gpuE8ELNS1_3repE0EEENS1_30default_config_static_selectorELNS0_4arch9wavefront6targetE0EEEvT1_
	.p2align	8
	.type	_ZN7rocprim17ROCPRIM_400000_NS6detail17trampoline_kernelINS0_14default_configENS1_25transform_config_selectorIdLb1EEEZNS1_14transform_implILb1ES3_S5_PdS7_NS0_8identityIdEEEE10hipError_tT2_T3_mT4_P12ihipStream_tbEUlT_E_NS1_11comp_targetILNS1_3genE4ELNS1_11target_archE910ELNS1_3gpuE8ELNS1_3repE0EEENS1_30default_config_static_selectorELNS0_4arch9wavefront6targetE0EEEvT1_,@function
_ZN7rocprim17ROCPRIM_400000_NS6detail17trampoline_kernelINS0_14default_configENS1_25transform_config_selectorIdLb1EEEZNS1_14transform_implILb1ES3_S5_PdS7_NS0_8identityIdEEEE10hipError_tT2_T3_mT4_P12ihipStream_tbEUlT_E_NS1_11comp_targetILNS1_3genE4ELNS1_11target_archE910ELNS1_3gpuE8ELNS1_3repE0EEENS1_30default_config_static_selectorELNS0_4arch9wavefront6targetE0EEEvT1_: ; @_ZN7rocprim17ROCPRIM_400000_NS6detail17trampoline_kernelINS0_14default_configENS1_25transform_config_selectorIdLb1EEEZNS1_14transform_implILb1ES3_S5_PdS7_NS0_8identityIdEEEE10hipError_tT2_T3_mT4_P12ihipStream_tbEUlT_E_NS1_11comp_targetILNS1_3genE4ELNS1_11target_archE910ELNS1_3gpuE8ELNS1_3repE0EEENS1_30default_config_static_selectorELNS0_4arch9wavefront6targetE0EEEvT1_
; %bb.0:
	.section	.rodata,"a",@progbits
	.p2align	6, 0x0
	.amdhsa_kernel _ZN7rocprim17ROCPRIM_400000_NS6detail17trampoline_kernelINS0_14default_configENS1_25transform_config_selectorIdLb1EEEZNS1_14transform_implILb1ES3_S5_PdS7_NS0_8identityIdEEEE10hipError_tT2_T3_mT4_P12ihipStream_tbEUlT_E_NS1_11comp_targetILNS1_3genE4ELNS1_11target_archE910ELNS1_3gpuE8ELNS1_3repE0EEENS1_30default_config_static_selectorELNS0_4arch9wavefront6targetE0EEEvT1_
		.amdhsa_group_segment_fixed_size 0
		.amdhsa_private_segment_fixed_size 0
		.amdhsa_kernarg_size 40
		.amdhsa_user_sgpr_count 15
		.amdhsa_user_sgpr_dispatch_ptr 0
		.amdhsa_user_sgpr_queue_ptr 0
		.amdhsa_user_sgpr_kernarg_segment_ptr 1
		.amdhsa_user_sgpr_dispatch_id 0
		.amdhsa_user_sgpr_private_segment_size 0
		.amdhsa_wavefront_size32 1
		.amdhsa_uses_dynamic_stack 0
		.amdhsa_enable_private_segment 0
		.amdhsa_system_sgpr_workgroup_id_x 1
		.amdhsa_system_sgpr_workgroup_id_y 0
		.amdhsa_system_sgpr_workgroup_id_z 0
		.amdhsa_system_sgpr_workgroup_info 0
		.amdhsa_system_vgpr_workitem_id 0
		.amdhsa_next_free_vgpr 1
		.amdhsa_next_free_sgpr 1
		.amdhsa_reserve_vcc 0
		.amdhsa_float_round_mode_32 0
		.amdhsa_float_round_mode_16_64 0
		.amdhsa_float_denorm_mode_32 3
		.amdhsa_float_denorm_mode_16_64 3
		.amdhsa_dx10_clamp 1
		.amdhsa_ieee_mode 1
		.amdhsa_fp16_overflow 0
		.amdhsa_workgroup_processor_mode 1
		.amdhsa_memory_ordered 1
		.amdhsa_forward_progress 0
		.amdhsa_shared_vgpr_count 0
		.amdhsa_exception_fp_ieee_invalid_op 0
		.amdhsa_exception_fp_denorm_src 0
		.amdhsa_exception_fp_ieee_div_zero 0
		.amdhsa_exception_fp_ieee_overflow 0
		.amdhsa_exception_fp_ieee_underflow 0
		.amdhsa_exception_fp_ieee_inexact 0
		.amdhsa_exception_int_div_zero 0
	.end_amdhsa_kernel
	.section	.text._ZN7rocprim17ROCPRIM_400000_NS6detail17trampoline_kernelINS0_14default_configENS1_25transform_config_selectorIdLb1EEEZNS1_14transform_implILb1ES3_S5_PdS7_NS0_8identityIdEEEE10hipError_tT2_T3_mT4_P12ihipStream_tbEUlT_E_NS1_11comp_targetILNS1_3genE4ELNS1_11target_archE910ELNS1_3gpuE8ELNS1_3repE0EEENS1_30default_config_static_selectorELNS0_4arch9wavefront6targetE0EEEvT1_,"axG",@progbits,_ZN7rocprim17ROCPRIM_400000_NS6detail17trampoline_kernelINS0_14default_configENS1_25transform_config_selectorIdLb1EEEZNS1_14transform_implILb1ES3_S5_PdS7_NS0_8identityIdEEEE10hipError_tT2_T3_mT4_P12ihipStream_tbEUlT_E_NS1_11comp_targetILNS1_3genE4ELNS1_11target_archE910ELNS1_3gpuE8ELNS1_3repE0EEENS1_30default_config_static_selectorELNS0_4arch9wavefront6targetE0EEEvT1_,comdat
.Lfunc_end14:
	.size	_ZN7rocprim17ROCPRIM_400000_NS6detail17trampoline_kernelINS0_14default_configENS1_25transform_config_selectorIdLb1EEEZNS1_14transform_implILb1ES3_S5_PdS7_NS0_8identityIdEEEE10hipError_tT2_T3_mT4_P12ihipStream_tbEUlT_E_NS1_11comp_targetILNS1_3genE4ELNS1_11target_archE910ELNS1_3gpuE8ELNS1_3repE0EEENS1_30default_config_static_selectorELNS0_4arch9wavefront6targetE0EEEvT1_, .Lfunc_end14-_ZN7rocprim17ROCPRIM_400000_NS6detail17trampoline_kernelINS0_14default_configENS1_25transform_config_selectorIdLb1EEEZNS1_14transform_implILb1ES3_S5_PdS7_NS0_8identityIdEEEE10hipError_tT2_T3_mT4_P12ihipStream_tbEUlT_E_NS1_11comp_targetILNS1_3genE4ELNS1_11target_archE910ELNS1_3gpuE8ELNS1_3repE0EEENS1_30default_config_static_selectorELNS0_4arch9wavefront6targetE0EEEvT1_
                                        ; -- End function
	.section	.AMDGPU.csdata,"",@progbits
; Kernel info:
; codeLenInByte = 0
; NumSgprs: 0
; NumVgprs: 0
; ScratchSize: 0
; MemoryBound: 0
; FloatMode: 240
; IeeeMode: 1
; LDSByteSize: 0 bytes/workgroup (compile time only)
; SGPRBlocks: 0
; VGPRBlocks: 0
; NumSGPRsForWavesPerEU: 1
; NumVGPRsForWavesPerEU: 1
; Occupancy: 16
; WaveLimiterHint : 0
; COMPUTE_PGM_RSRC2:SCRATCH_EN: 0
; COMPUTE_PGM_RSRC2:USER_SGPR: 15
; COMPUTE_PGM_RSRC2:TRAP_HANDLER: 0
; COMPUTE_PGM_RSRC2:TGID_X_EN: 1
; COMPUTE_PGM_RSRC2:TGID_Y_EN: 0
; COMPUTE_PGM_RSRC2:TGID_Z_EN: 0
; COMPUTE_PGM_RSRC2:TIDIG_COMP_CNT: 0
	.section	.text._ZN7rocprim17ROCPRIM_400000_NS6detail17trampoline_kernelINS0_14default_configENS1_25transform_config_selectorIdLb1EEEZNS1_14transform_implILb1ES3_S5_PdS7_NS0_8identityIdEEEE10hipError_tT2_T3_mT4_P12ihipStream_tbEUlT_E_NS1_11comp_targetILNS1_3genE3ELNS1_11target_archE908ELNS1_3gpuE7ELNS1_3repE0EEENS1_30default_config_static_selectorELNS0_4arch9wavefront6targetE0EEEvT1_,"axG",@progbits,_ZN7rocprim17ROCPRIM_400000_NS6detail17trampoline_kernelINS0_14default_configENS1_25transform_config_selectorIdLb1EEEZNS1_14transform_implILb1ES3_S5_PdS7_NS0_8identityIdEEEE10hipError_tT2_T3_mT4_P12ihipStream_tbEUlT_E_NS1_11comp_targetILNS1_3genE3ELNS1_11target_archE908ELNS1_3gpuE7ELNS1_3repE0EEENS1_30default_config_static_selectorELNS0_4arch9wavefront6targetE0EEEvT1_,comdat
	.protected	_ZN7rocprim17ROCPRIM_400000_NS6detail17trampoline_kernelINS0_14default_configENS1_25transform_config_selectorIdLb1EEEZNS1_14transform_implILb1ES3_S5_PdS7_NS0_8identityIdEEEE10hipError_tT2_T3_mT4_P12ihipStream_tbEUlT_E_NS1_11comp_targetILNS1_3genE3ELNS1_11target_archE908ELNS1_3gpuE7ELNS1_3repE0EEENS1_30default_config_static_selectorELNS0_4arch9wavefront6targetE0EEEvT1_ ; -- Begin function _ZN7rocprim17ROCPRIM_400000_NS6detail17trampoline_kernelINS0_14default_configENS1_25transform_config_selectorIdLb1EEEZNS1_14transform_implILb1ES3_S5_PdS7_NS0_8identityIdEEEE10hipError_tT2_T3_mT4_P12ihipStream_tbEUlT_E_NS1_11comp_targetILNS1_3genE3ELNS1_11target_archE908ELNS1_3gpuE7ELNS1_3repE0EEENS1_30default_config_static_selectorELNS0_4arch9wavefront6targetE0EEEvT1_
	.globl	_ZN7rocprim17ROCPRIM_400000_NS6detail17trampoline_kernelINS0_14default_configENS1_25transform_config_selectorIdLb1EEEZNS1_14transform_implILb1ES3_S5_PdS7_NS0_8identityIdEEEE10hipError_tT2_T3_mT4_P12ihipStream_tbEUlT_E_NS1_11comp_targetILNS1_3genE3ELNS1_11target_archE908ELNS1_3gpuE7ELNS1_3repE0EEENS1_30default_config_static_selectorELNS0_4arch9wavefront6targetE0EEEvT1_
	.p2align	8
	.type	_ZN7rocprim17ROCPRIM_400000_NS6detail17trampoline_kernelINS0_14default_configENS1_25transform_config_selectorIdLb1EEEZNS1_14transform_implILb1ES3_S5_PdS7_NS0_8identityIdEEEE10hipError_tT2_T3_mT4_P12ihipStream_tbEUlT_E_NS1_11comp_targetILNS1_3genE3ELNS1_11target_archE908ELNS1_3gpuE7ELNS1_3repE0EEENS1_30default_config_static_selectorELNS0_4arch9wavefront6targetE0EEEvT1_,@function
_ZN7rocprim17ROCPRIM_400000_NS6detail17trampoline_kernelINS0_14default_configENS1_25transform_config_selectorIdLb1EEEZNS1_14transform_implILb1ES3_S5_PdS7_NS0_8identityIdEEEE10hipError_tT2_T3_mT4_P12ihipStream_tbEUlT_E_NS1_11comp_targetILNS1_3genE3ELNS1_11target_archE908ELNS1_3gpuE7ELNS1_3repE0EEENS1_30default_config_static_selectorELNS0_4arch9wavefront6targetE0EEEvT1_: ; @_ZN7rocprim17ROCPRIM_400000_NS6detail17trampoline_kernelINS0_14default_configENS1_25transform_config_selectorIdLb1EEEZNS1_14transform_implILb1ES3_S5_PdS7_NS0_8identityIdEEEE10hipError_tT2_T3_mT4_P12ihipStream_tbEUlT_E_NS1_11comp_targetILNS1_3genE3ELNS1_11target_archE908ELNS1_3gpuE7ELNS1_3repE0EEENS1_30default_config_static_selectorELNS0_4arch9wavefront6targetE0EEEvT1_
; %bb.0:
	.section	.rodata,"a",@progbits
	.p2align	6, 0x0
	.amdhsa_kernel _ZN7rocprim17ROCPRIM_400000_NS6detail17trampoline_kernelINS0_14default_configENS1_25transform_config_selectorIdLb1EEEZNS1_14transform_implILb1ES3_S5_PdS7_NS0_8identityIdEEEE10hipError_tT2_T3_mT4_P12ihipStream_tbEUlT_E_NS1_11comp_targetILNS1_3genE3ELNS1_11target_archE908ELNS1_3gpuE7ELNS1_3repE0EEENS1_30default_config_static_selectorELNS0_4arch9wavefront6targetE0EEEvT1_
		.amdhsa_group_segment_fixed_size 0
		.amdhsa_private_segment_fixed_size 0
		.amdhsa_kernarg_size 40
		.amdhsa_user_sgpr_count 15
		.amdhsa_user_sgpr_dispatch_ptr 0
		.amdhsa_user_sgpr_queue_ptr 0
		.amdhsa_user_sgpr_kernarg_segment_ptr 1
		.amdhsa_user_sgpr_dispatch_id 0
		.amdhsa_user_sgpr_private_segment_size 0
		.amdhsa_wavefront_size32 1
		.amdhsa_uses_dynamic_stack 0
		.amdhsa_enable_private_segment 0
		.amdhsa_system_sgpr_workgroup_id_x 1
		.amdhsa_system_sgpr_workgroup_id_y 0
		.amdhsa_system_sgpr_workgroup_id_z 0
		.amdhsa_system_sgpr_workgroup_info 0
		.amdhsa_system_vgpr_workitem_id 0
		.amdhsa_next_free_vgpr 1
		.amdhsa_next_free_sgpr 1
		.amdhsa_reserve_vcc 0
		.amdhsa_float_round_mode_32 0
		.amdhsa_float_round_mode_16_64 0
		.amdhsa_float_denorm_mode_32 3
		.amdhsa_float_denorm_mode_16_64 3
		.amdhsa_dx10_clamp 1
		.amdhsa_ieee_mode 1
		.amdhsa_fp16_overflow 0
		.amdhsa_workgroup_processor_mode 1
		.amdhsa_memory_ordered 1
		.amdhsa_forward_progress 0
		.amdhsa_shared_vgpr_count 0
		.amdhsa_exception_fp_ieee_invalid_op 0
		.amdhsa_exception_fp_denorm_src 0
		.amdhsa_exception_fp_ieee_div_zero 0
		.amdhsa_exception_fp_ieee_overflow 0
		.amdhsa_exception_fp_ieee_underflow 0
		.amdhsa_exception_fp_ieee_inexact 0
		.amdhsa_exception_int_div_zero 0
	.end_amdhsa_kernel
	.section	.text._ZN7rocprim17ROCPRIM_400000_NS6detail17trampoline_kernelINS0_14default_configENS1_25transform_config_selectorIdLb1EEEZNS1_14transform_implILb1ES3_S5_PdS7_NS0_8identityIdEEEE10hipError_tT2_T3_mT4_P12ihipStream_tbEUlT_E_NS1_11comp_targetILNS1_3genE3ELNS1_11target_archE908ELNS1_3gpuE7ELNS1_3repE0EEENS1_30default_config_static_selectorELNS0_4arch9wavefront6targetE0EEEvT1_,"axG",@progbits,_ZN7rocprim17ROCPRIM_400000_NS6detail17trampoline_kernelINS0_14default_configENS1_25transform_config_selectorIdLb1EEEZNS1_14transform_implILb1ES3_S5_PdS7_NS0_8identityIdEEEE10hipError_tT2_T3_mT4_P12ihipStream_tbEUlT_E_NS1_11comp_targetILNS1_3genE3ELNS1_11target_archE908ELNS1_3gpuE7ELNS1_3repE0EEENS1_30default_config_static_selectorELNS0_4arch9wavefront6targetE0EEEvT1_,comdat
.Lfunc_end15:
	.size	_ZN7rocprim17ROCPRIM_400000_NS6detail17trampoline_kernelINS0_14default_configENS1_25transform_config_selectorIdLb1EEEZNS1_14transform_implILb1ES3_S5_PdS7_NS0_8identityIdEEEE10hipError_tT2_T3_mT4_P12ihipStream_tbEUlT_E_NS1_11comp_targetILNS1_3genE3ELNS1_11target_archE908ELNS1_3gpuE7ELNS1_3repE0EEENS1_30default_config_static_selectorELNS0_4arch9wavefront6targetE0EEEvT1_, .Lfunc_end15-_ZN7rocprim17ROCPRIM_400000_NS6detail17trampoline_kernelINS0_14default_configENS1_25transform_config_selectorIdLb1EEEZNS1_14transform_implILb1ES3_S5_PdS7_NS0_8identityIdEEEE10hipError_tT2_T3_mT4_P12ihipStream_tbEUlT_E_NS1_11comp_targetILNS1_3genE3ELNS1_11target_archE908ELNS1_3gpuE7ELNS1_3repE0EEENS1_30default_config_static_selectorELNS0_4arch9wavefront6targetE0EEEvT1_
                                        ; -- End function
	.section	.AMDGPU.csdata,"",@progbits
; Kernel info:
; codeLenInByte = 0
; NumSgprs: 0
; NumVgprs: 0
; ScratchSize: 0
; MemoryBound: 0
; FloatMode: 240
; IeeeMode: 1
; LDSByteSize: 0 bytes/workgroup (compile time only)
; SGPRBlocks: 0
; VGPRBlocks: 0
; NumSGPRsForWavesPerEU: 1
; NumVGPRsForWavesPerEU: 1
; Occupancy: 16
; WaveLimiterHint : 0
; COMPUTE_PGM_RSRC2:SCRATCH_EN: 0
; COMPUTE_PGM_RSRC2:USER_SGPR: 15
; COMPUTE_PGM_RSRC2:TRAP_HANDLER: 0
; COMPUTE_PGM_RSRC2:TGID_X_EN: 1
; COMPUTE_PGM_RSRC2:TGID_Y_EN: 0
; COMPUTE_PGM_RSRC2:TGID_Z_EN: 0
; COMPUTE_PGM_RSRC2:TIDIG_COMP_CNT: 0
	.section	.text._ZN7rocprim17ROCPRIM_400000_NS6detail17trampoline_kernelINS0_14default_configENS1_25transform_config_selectorIdLb1EEEZNS1_14transform_implILb1ES3_S5_PdS7_NS0_8identityIdEEEE10hipError_tT2_T3_mT4_P12ihipStream_tbEUlT_E_NS1_11comp_targetILNS1_3genE2ELNS1_11target_archE906ELNS1_3gpuE6ELNS1_3repE0EEENS1_30default_config_static_selectorELNS0_4arch9wavefront6targetE0EEEvT1_,"axG",@progbits,_ZN7rocprim17ROCPRIM_400000_NS6detail17trampoline_kernelINS0_14default_configENS1_25transform_config_selectorIdLb1EEEZNS1_14transform_implILb1ES3_S5_PdS7_NS0_8identityIdEEEE10hipError_tT2_T3_mT4_P12ihipStream_tbEUlT_E_NS1_11comp_targetILNS1_3genE2ELNS1_11target_archE906ELNS1_3gpuE6ELNS1_3repE0EEENS1_30default_config_static_selectorELNS0_4arch9wavefront6targetE0EEEvT1_,comdat
	.protected	_ZN7rocprim17ROCPRIM_400000_NS6detail17trampoline_kernelINS0_14default_configENS1_25transform_config_selectorIdLb1EEEZNS1_14transform_implILb1ES3_S5_PdS7_NS0_8identityIdEEEE10hipError_tT2_T3_mT4_P12ihipStream_tbEUlT_E_NS1_11comp_targetILNS1_3genE2ELNS1_11target_archE906ELNS1_3gpuE6ELNS1_3repE0EEENS1_30default_config_static_selectorELNS0_4arch9wavefront6targetE0EEEvT1_ ; -- Begin function _ZN7rocprim17ROCPRIM_400000_NS6detail17trampoline_kernelINS0_14default_configENS1_25transform_config_selectorIdLb1EEEZNS1_14transform_implILb1ES3_S5_PdS7_NS0_8identityIdEEEE10hipError_tT2_T3_mT4_P12ihipStream_tbEUlT_E_NS1_11comp_targetILNS1_3genE2ELNS1_11target_archE906ELNS1_3gpuE6ELNS1_3repE0EEENS1_30default_config_static_selectorELNS0_4arch9wavefront6targetE0EEEvT1_
	.globl	_ZN7rocprim17ROCPRIM_400000_NS6detail17trampoline_kernelINS0_14default_configENS1_25transform_config_selectorIdLb1EEEZNS1_14transform_implILb1ES3_S5_PdS7_NS0_8identityIdEEEE10hipError_tT2_T3_mT4_P12ihipStream_tbEUlT_E_NS1_11comp_targetILNS1_3genE2ELNS1_11target_archE906ELNS1_3gpuE6ELNS1_3repE0EEENS1_30default_config_static_selectorELNS0_4arch9wavefront6targetE0EEEvT1_
	.p2align	8
	.type	_ZN7rocprim17ROCPRIM_400000_NS6detail17trampoline_kernelINS0_14default_configENS1_25transform_config_selectorIdLb1EEEZNS1_14transform_implILb1ES3_S5_PdS7_NS0_8identityIdEEEE10hipError_tT2_T3_mT4_P12ihipStream_tbEUlT_E_NS1_11comp_targetILNS1_3genE2ELNS1_11target_archE906ELNS1_3gpuE6ELNS1_3repE0EEENS1_30default_config_static_selectorELNS0_4arch9wavefront6targetE0EEEvT1_,@function
_ZN7rocprim17ROCPRIM_400000_NS6detail17trampoline_kernelINS0_14default_configENS1_25transform_config_selectorIdLb1EEEZNS1_14transform_implILb1ES3_S5_PdS7_NS0_8identityIdEEEE10hipError_tT2_T3_mT4_P12ihipStream_tbEUlT_E_NS1_11comp_targetILNS1_3genE2ELNS1_11target_archE906ELNS1_3gpuE6ELNS1_3repE0EEENS1_30default_config_static_selectorELNS0_4arch9wavefront6targetE0EEEvT1_: ; @_ZN7rocprim17ROCPRIM_400000_NS6detail17trampoline_kernelINS0_14default_configENS1_25transform_config_selectorIdLb1EEEZNS1_14transform_implILb1ES3_S5_PdS7_NS0_8identityIdEEEE10hipError_tT2_T3_mT4_P12ihipStream_tbEUlT_E_NS1_11comp_targetILNS1_3genE2ELNS1_11target_archE906ELNS1_3gpuE6ELNS1_3repE0EEENS1_30default_config_static_selectorELNS0_4arch9wavefront6targetE0EEEvT1_
; %bb.0:
	.section	.rodata,"a",@progbits
	.p2align	6, 0x0
	.amdhsa_kernel _ZN7rocprim17ROCPRIM_400000_NS6detail17trampoline_kernelINS0_14default_configENS1_25transform_config_selectorIdLb1EEEZNS1_14transform_implILb1ES3_S5_PdS7_NS0_8identityIdEEEE10hipError_tT2_T3_mT4_P12ihipStream_tbEUlT_E_NS1_11comp_targetILNS1_3genE2ELNS1_11target_archE906ELNS1_3gpuE6ELNS1_3repE0EEENS1_30default_config_static_selectorELNS0_4arch9wavefront6targetE0EEEvT1_
		.amdhsa_group_segment_fixed_size 0
		.amdhsa_private_segment_fixed_size 0
		.amdhsa_kernarg_size 40
		.amdhsa_user_sgpr_count 15
		.amdhsa_user_sgpr_dispatch_ptr 0
		.amdhsa_user_sgpr_queue_ptr 0
		.amdhsa_user_sgpr_kernarg_segment_ptr 1
		.amdhsa_user_sgpr_dispatch_id 0
		.amdhsa_user_sgpr_private_segment_size 0
		.amdhsa_wavefront_size32 1
		.amdhsa_uses_dynamic_stack 0
		.amdhsa_enable_private_segment 0
		.amdhsa_system_sgpr_workgroup_id_x 1
		.amdhsa_system_sgpr_workgroup_id_y 0
		.amdhsa_system_sgpr_workgroup_id_z 0
		.amdhsa_system_sgpr_workgroup_info 0
		.amdhsa_system_vgpr_workitem_id 0
		.amdhsa_next_free_vgpr 1
		.amdhsa_next_free_sgpr 1
		.amdhsa_reserve_vcc 0
		.amdhsa_float_round_mode_32 0
		.amdhsa_float_round_mode_16_64 0
		.amdhsa_float_denorm_mode_32 3
		.amdhsa_float_denorm_mode_16_64 3
		.amdhsa_dx10_clamp 1
		.amdhsa_ieee_mode 1
		.amdhsa_fp16_overflow 0
		.amdhsa_workgroup_processor_mode 1
		.amdhsa_memory_ordered 1
		.amdhsa_forward_progress 0
		.amdhsa_shared_vgpr_count 0
		.amdhsa_exception_fp_ieee_invalid_op 0
		.amdhsa_exception_fp_denorm_src 0
		.amdhsa_exception_fp_ieee_div_zero 0
		.amdhsa_exception_fp_ieee_overflow 0
		.amdhsa_exception_fp_ieee_underflow 0
		.amdhsa_exception_fp_ieee_inexact 0
		.amdhsa_exception_int_div_zero 0
	.end_amdhsa_kernel
	.section	.text._ZN7rocprim17ROCPRIM_400000_NS6detail17trampoline_kernelINS0_14default_configENS1_25transform_config_selectorIdLb1EEEZNS1_14transform_implILb1ES3_S5_PdS7_NS0_8identityIdEEEE10hipError_tT2_T3_mT4_P12ihipStream_tbEUlT_E_NS1_11comp_targetILNS1_3genE2ELNS1_11target_archE906ELNS1_3gpuE6ELNS1_3repE0EEENS1_30default_config_static_selectorELNS0_4arch9wavefront6targetE0EEEvT1_,"axG",@progbits,_ZN7rocprim17ROCPRIM_400000_NS6detail17trampoline_kernelINS0_14default_configENS1_25transform_config_selectorIdLb1EEEZNS1_14transform_implILb1ES3_S5_PdS7_NS0_8identityIdEEEE10hipError_tT2_T3_mT4_P12ihipStream_tbEUlT_E_NS1_11comp_targetILNS1_3genE2ELNS1_11target_archE906ELNS1_3gpuE6ELNS1_3repE0EEENS1_30default_config_static_selectorELNS0_4arch9wavefront6targetE0EEEvT1_,comdat
.Lfunc_end16:
	.size	_ZN7rocprim17ROCPRIM_400000_NS6detail17trampoline_kernelINS0_14default_configENS1_25transform_config_selectorIdLb1EEEZNS1_14transform_implILb1ES3_S5_PdS7_NS0_8identityIdEEEE10hipError_tT2_T3_mT4_P12ihipStream_tbEUlT_E_NS1_11comp_targetILNS1_3genE2ELNS1_11target_archE906ELNS1_3gpuE6ELNS1_3repE0EEENS1_30default_config_static_selectorELNS0_4arch9wavefront6targetE0EEEvT1_, .Lfunc_end16-_ZN7rocprim17ROCPRIM_400000_NS6detail17trampoline_kernelINS0_14default_configENS1_25transform_config_selectorIdLb1EEEZNS1_14transform_implILb1ES3_S5_PdS7_NS0_8identityIdEEEE10hipError_tT2_T3_mT4_P12ihipStream_tbEUlT_E_NS1_11comp_targetILNS1_3genE2ELNS1_11target_archE906ELNS1_3gpuE6ELNS1_3repE0EEENS1_30default_config_static_selectorELNS0_4arch9wavefront6targetE0EEEvT1_
                                        ; -- End function
	.section	.AMDGPU.csdata,"",@progbits
; Kernel info:
; codeLenInByte = 0
; NumSgprs: 0
; NumVgprs: 0
; ScratchSize: 0
; MemoryBound: 0
; FloatMode: 240
; IeeeMode: 1
; LDSByteSize: 0 bytes/workgroup (compile time only)
; SGPRBlocks: 0
; VGPRBlocks: 0
; NumSGPRsForWavesPerEU: 1
; NumVGPRsForWavesPerEU: 1
; Occupancy: 16
; WaveLimiterHint : 0
; COMPUTE_PGM_RSRC2:SCRATCH_EN: 0
; COMPUTE_PGM_RSRC2:USER_SGPR: 15
; COMPUTE_PGM_RSRC2:TRAP_HANDLER: 0
; COMPUTE_PGM_RSRC2:TGID_X_EN: 1
; COMPUTE_PGM_RSRC2:TGID_Y_EN: 0
; COMPUTE_PGM_RSRC2:TGID_Z_EN: 0
; COMPUTE_PGM_RSRC2:TIDIG_COMP_CNT: 0
	.section	.text._ZN7rocprim17ROCPRIM_400000_NS6detail17trampoline_kernelINS0_14default_configENS1_25transform_config_selectorIdLb1EEEZNS1_14transform_implILb1ES3_S5_PdS7_NS0_8identityIdEEEE10hipError_tT2_T3_mT4_P12ihipStream_tbEUlT_E_NS1_11comp_targetILNS1_3genE9ELNS1_11target_archE1100ELNS1_3gpuE3ELNS1_3repE0EEENS1_30default_config_static_selectorELNS0_4arch9wavefront6targetE0EEEvT1_,"axG",@progbits,_ZN7rocprim17ROCPRIM_400000_NS6detail17trampoline_kernelINS0_14default_configENS1_25transform_config_selectorIdLb1EEEZNS1_14transform_implILb1ES3_S5_PdS7_NS0_8identityIdEEEE10hipError_tT2_T3_mT4_P12ihipStream_tbEUlT_E_NS1_11comp_targetILNS1_3genE9ELNS1_11target_archE1100ELNS1_3gpuE3ELNS1_3repE0EEENS1_30default_config_static_selectorELNS0_4arch9wavefront6targetE0EEEvT1_,comdat
	.protected	_ZN7rocprim17ROCPRIM_400000_NS6detail17trampoline_kernelINS0_14default_configENS1_25transform_config_selectorIdLb1EEEZNS1_14transform_implILb1ES3_S5_PdS7_NS0_8identityIdEEEE10hipError_tT2_T3_mT4_P12ihipStream_tbEUlT_E_NS1_11comp_targetILNS1_3genE9ELNS1_11target_archE1100ELNS1_3gpuE3ELNS1_3repE0EEENS1_30default_config_static_selectorELNS0_4arch9wavefront6targetE0EEEvT1_ ; -- Begin function _ZN7rocprim17ROCPRIM_400000_NS6detail17trampoline_kernelINS0_14default_configENS1_25transform_config_selectorIdLb1EEEZNS1_14transform_implILb1ES3_S5_PdS7_NS0_8identityIdEEEE10hipError_tT2_T3_mT4_P12ihipStream_tbEUlT_E_NS1_11comp_targetILNS1_3genE9ELNS1_11target_archE1100ELNS1_3gpuE3ELNS1_3repE0EEENS1_30default_config_static_selectorELNS0_4arch9wavefront6targetE0EEEvT1_
	.globl	_ZN7rocprim17ROCPRIM_400000_NS6detail17trampoline_kernelINS0_14default_configENS1_25transform_config_selectorIdLb1EEEZNS1_14transform_implILb1ES3_S5_PdS7_NS0_8identityIdEEEE10hipError_tT2_T3_mT4_P12ihipStream_tbEUlT_E_NS1_11comp_targetILNS1_3genE9ELNS1_11target_archE1100ELNS1_3gpuE3ELNS1_3repE0EEENS1_30default_config_static_selectorELNS0_4arch9wavefront6targetE0EEEvT1_
	.p2align	8
	.type	_ZN7rocprim17ROCPRIM_400000_NS6detail17trampoline_kernelINS0_14default_configENS1_25transform_config_selectorIdLb1EEEZNS1_14transform_implILb1ES3_S5_PdS7_NS0_8identityIdEEEE10hipError_tT2_T3_mT4_P12ihipStream_tbEUlT_E_NS1_11comp_targetILNS1_3genE9ELNS1_11target_archE1100ELNS1_3gpuE3ELNS1_3repE0EEENS1_30default_config_static_selectorELNS0_4arch9wavefront6targetE0EEEvT1_,@function
_ZN7rocprim17ROCPRIM_400000_NS6detail17trampoline_kernelINS0_14default_configENS1_25transform_config_selectorIdLb1EEEZNS1_14transform_implILb1ES3_S5_PdS7_NS0_8identityIdEEEE10hipError_tT2_T3_mT4_P12ihipStream_tbEUlT_E_NS1_11comp_targetILNS1_3genE9ELNS1_11target_archE1100ELNS1_3gpuE3ELNS1_3repE0EEENS1_30default_config_static_selectorELNS0_4arch9wavefront6targetE0EEEvT1_: ; @_ZN7rocprim17ROCPRIM_400000_NS6detail17trampoline_kernelINS0_14default_configENS1_25transform_config_selectorIdLb1EEEZNS1_14transform_implILb1ES3_S5_PdS7_NS0_8identityIdEEEE10hipError_tT2_T3_mT4_P12ihipStream_tbEUlT_E_NS1_11comp_targetILNS1_3genE9ELNS1_11target_archE1100ELNS1_3gpuE3ELNS1_3repE0EEENS1_30default_config_static_selectorELNS0_4arch9wavefront6targetE0EEEvT1_
; %bb.0:
	s_load_b256 s[4:11], s[0:1], 0x0
	s_waitcnt lgkmcnt(0)
	s_load_b32 s9, s[0:1], 0x28
	s_lshl_b64 s[0:1], s[6:7], 3
	s_delay_alu instid0(SALU_CYCLE_1)
	s_add_u32 s4, s4, s0
	s_addc_u32 s5, s5, s1
	s_add_u32 s6, s10, s0
	s_addc_u32 s7, s11, s1
	s_lshl_b32 s0, s15, 11
	s_mov_b32 s1, 0
	s_waitcnt lgkmcnt(0)
	s_add_i32 s9, s9, -1
	s_lshl_b64 s[2:3], s[0:1], 3
	s_mov_b32 s1, -1
	s_add_u32 s4, s4, s2
	s_addc_u32 s5, s5, s3
	s_cmp_lg_u32 s15, s9
	s_cbranch_scc0 .LBB17_2
; %bb.1:
	v_lshlrev_b32_e32 v5, 4, v0
	s_add_u32 s10, s6, s2
	s_addc_u32 s11, s7, s3
	s_mov_b32 s1, 0
	global_load_b128 v[1:4], v5, s[4:5] slc dlc
	s_waitcnt vmcnt(0)
	global_store_b128 v5, v[1:4], s[10:11]
.LBB17_2:
	s_and_not1_b32 vcc_lo, exec_lo, s1
	s_cbranch_vccnz .LBB17_11
; %bb.3:
	s_sub_i32 s0, s8, s0
	v_lshlrev_b32_e32 v5, 3, v0
	v_cmp_gt_u32_e32 vcc_lo, s0, v0
                                        ; implicit-def: $vgpr1_vgpr2_vgpr3_vgpr4
	s_and_saveexec_b32 s1, vcc_lo
	s_cbranch_execz .LBB17_5
; %bb.4:
	global_load_b64 v[1:2], v5, s[4:5]
.LBB17_5:
	s_or_b32 exec_lo, exec_lo, s1
	v_or_b32_e32 v0, 0x400, v0
	s_delay_alu instid0(VALU_DEP_1) | instskip(NEXT) | instid1(VALU_DEP_1)
	v_cmp_gt_u32_e64 s0, s0, v0
	s_and_saveexec_b32 s1, s0
	s_cbranch_execz .LBB17_7
; %bb.6:
	v_lshlrev_b32_e32 v0, 3, v0
	global_load_b64 v[3:4], v0, s[4:5]
.LBB17_7:
	s_or_b32 exec_lo, exec_lo, s1
	s_add_u32 s1, s6, s2
	s_addc_u32 s2, s7, s3
	v_add_co_u32 v5, s1, s1, v5
	s_delay_alu instid0(VALU_DEP_1)
	v_add_co_ci_u32_e64 v6, null, s2, 0, s1
	s_and_saveexec_b32 s1, vcc_lo
	s_cbranch_execz .LBB17_9
; %bb.8:
	s_waitcnt vmcnt(0)
	global_store_b64 v[5:6], v[1:2], off
.LBB17_9:
	s_or_b32 exec_lo, exec_lo, s1
	s_and_saveexec_b32 s1, s0
	s_cbranch_execz .LBB17_11
; %bb.10:
	v_add_co_u32 v0, vcc_lo, 0x2000, v5
	s_waitcnt vmcnt(0)
	v_add_co_ci_u32_e32 v1, vcc_lo, 0, v6, vcc_lo
	global_store_b64 v[0:1], v[3:4], off
.LBB17_11:
	s_nop 0
	s_sendmsg sendmsg(MSG_DEALLOC_VGPRS)
	s_endpgm
	.section	.rodata,"a",@progbits
	.p2align	6, 0x0
	.amdhsa_kernel _ZN7rocprim17ROCPRIM_400000_NS6detail17trampoline_kernelINS0_14default_configENS1_25transform_config_selectorIdLb1EEEZNS1_14transform_implILb1ES3_S5_PdS7_NS0_8identityIdEEEE10hipError_tT2_T3_mT4_P12ihipStream_tbEUlT_E_NS1_11comp_targetILNS1_3genE9ELNS1_11target_archE1100ELNS1_3gpuE3ELNS1_3repE0EEENS1_30default_config_static_selectorELNS0_4arch9wavefront6targetE0EEEvT1_
		.amdhsa_group_segment_fixed_size 0
		.amdhsa_private_segment_fixed_size 0
		.amdhsa_kernarg_size 296
		.amdhsa_user_sgpr_count 15
		.amdhsa_user_sgpr_dispatch_ptr 0
		.amdhsa_user_sgpr_queue_ptr 0
		.amdhsa_user_sgpr_kernarg_segment_ptr 1
		.amdhsa_user_sgpr_dispatch_id 0
		.amdhsa_user_sgpr_private_segment_size 0
		.amdhsa_wavefront_size32 1
		.amdhsa_uses_dynamic_stack 0
		.amdhsa_enable_private_segment 0
		.amdhsa_system_sgpr_workgroup_id_x 1
		.amdhsa_system_sgpr_workgroup_id_y 0
		.amdhsa_system_sgpr_workgroup_id_z 0
		.amdhsa_system_sgpr_workgroup_info 0
		.amdhsa_system_vgpr_workitem_id 0
		.amdhsa_next_free_vgpr 7
		.amdhsa_next_free_sgpr 16
		.amdhsa_reserve_vcc 1
		.amdhsa_float_round_mode_32 0
		.amdhsa_float_round_mode_16_64 0
		.amdhsa_float_denorm_mode_32 3
		.amdhsa_float_denorm_mode_16_64 3
		.amdhsa_dx10_clamp 1
		.amdhsa_ieee_mode 1
		.amdhsa_fp16_overflow 0
		.amdhsa_workgroup_processor_mode 1
		.amdhsa_memory_ordered 1
		.amdhsa_forward_progress 0
		.amdhsa_shared_vgpr_count 0
		.amdhsa_exception_fp_ieee_invalid_op 0
		.amdhsa_exception_fp_denorm_src 0
		.amdhsa_exception_fp_ieee_div_zero 0
		.amdhsa_exception_fp_ieee_overflow 0
		.amdhsa_exception_fp_ieee_underflow 0
		.amdhsa_exception_fp_ieee_inexact 0
		.amdhsa_exception_int_div_zero 0
	.end_amdhsa_kernel
	.section	.text._ZN7rocprim17ROCPRIM_400000_NS6detail17trampoline_kernelINS0_14default_configENS1_25transform_config_selectorIdLb1EEEZNS1_14transform_implILb1ES3_S5_PdS7_NS0_8identityIdEEEE10hipError_tT2_T3_mT4_P12ihipStream_tbEUlT_E_NS1_11comp_targetILNS1_3genE9ELNS1_11target_archE1100ELNS1_3gpuE3ELNS1_3repE0EEENS1_30default_config_static_selectorELNS0_4arch9wavefront6targetE0EEEvT1_,"axG",@progbits,_ZN7rocprim17ROCPRIM_400000_NS6detail17trampoline_kernelINS0_14default_configENS1_25transform_config_selectorIdLb1EEEZNS1_14transform_implILb1ES3_S5_PdS7_NS0_8identityIdEEEE10hipError_tT2_T3_mT4_P12ihipStream_tbEUlT_E_NS1_11comp_targetILNS1_3genE9ELNS1_11target_archE1100ELNS1_3gpuE3ELNS1_3repE0EEENS1_30default_config_static_selectorELNS0_4arch9wavefront6targetE0EEEvT1_,comdat
.Lfunc_end17:
	.size	_ZN7rocprim17ROCPRIM_400000_NS6detail17trampoline_kernelINS0_14default_configENS1_25transform_config_selectorIdLb1EEEZNS1_14transform_implILb1ES3_S5_PdS7_NS0_8identityIdEEEE10hipError_tT2_T3_mT4_P12ihipStream_tbEUlT_E_NS1_11comp_targetILNS1_3genE9ELNS1_11target_archE1100ELNS1_3gpuE3ELNS1_3repE0EEENS1_30default_config_static_selectorELNS0_4arch9wavefront6targetE0EEEvT1_, .Lfunc_end17-_ZN7rocprim17ROCPRIM_400000_NS6detail17trampoline_kernelINS0_14default_configENS1_25transform_config_selectorIdLb1EEEZNS1_14transform_implILb1ES3_S5_PdS7_NS0_8identityIdEEEE10hipError_tT2_T3_mT4_P12ihipStream_tbEUlT_E_NS1_11comp_targetILNS1_3genE9ELNS1_11target_archE1100ELNS1_3gpuE3ELNS1_3repE0EEENS1_30default_config_static_selectorELNS0_4arch9wavefront6targetE0EEEvT1_
                                        ; -- End function
	.section	.AMDGPU.csdata,"",@progbits
; Kernel info:
; codeLenInByte = 304
; NumSgprs: 18
; NumVgprs: 7
; ScratchSize: 0
; MemoryBound: 1
; FloatMode: 240
; IeeeMode: 1
; LDSByteSize: 0 bytes/workgroup (compile time only)
; SGPRBlocks: 2
; VGPRBlocks: 0
; NumSGPRsForWavesPerEU: 18
; NumVGPRsForWavesPerEU: 7
; Occupancy: 16
; WaveLimiterHint : 0
; COMPUTE_PGM_RSRC2:SCRATCH_EN: 0
; COMPUTE_PGM_RSRC2:USER_SGPR: 15
; COMPUTE_PGM_RSRC2:TRAP_HANDLER: 0
; COMPUTE_PGM_RSRC2:TGID_X_EN: 1
; COMPUTE_PGM_RSRC2:TGID_Y_EN: 0
; COMPUTE_PGM_RSRC2:TGID_Z_EN: 0
; COMPUTE_PGM_RSRC2:TIDIG_COMP_CNT: 0
	.section	.text._ZN7rocprim17ROCPRIM_400000_NS6detail17trampoline_kernelINS0_14default_configENS1_25transform_config_selectorIdLb1EEEZNS1_14transform_implILb1ES3_S5_PdS7_NS0_8identityIdEEEE10hipError_tT2_T3_mT4_P12ihipStream_tbEUlT_E_NS1_11comp_targetILNS1_3genE8ELNS1_11target_archE1030ELNS1_3gpuE2ELNS1_3repE0EEENS1_30default_config_static_selectorELNS0_4arch9wavefront6targetE0EEEvT1_,"axG",@progbits,_ZN7rocprim17ROCPRIM_400000_NS6detail17trampoline_kernelINS0_14default_configENS1_25transform_config_selectorIdLb1EEEZNS1_14transform_implILb1ES3_S5_PdS7_NS0_8identityIdEEEE10hipError_tT2_T3_mT4_P12ihipStream_tbEUlT_E_NS1_11comp_targetILNS1_3genE8ELNS1_11target_archE1030ELNS1_3gpuE2ELNS1_3repE0EEENS1_30default_config_static_selectorELNS0_4arch9wavefront6targetE0EEEvT1_,comdat
	.protected	_ZN7rocprim17ROCPRIM_400000_NS6detail17trampoline_kernelINS0_14default_configENS1_25transform_config_selectorIdLb1EEEZNS1_14transform_implILb1ES3_S5_PdS7_NS0_8identityIdEEEE10hipError_tT2_T3_mT4_P12ihipStream_tbEUlT_E_NS1_11comp_targetILNS1_3genE8ELNS1_11target_archE1030ELNS1_3gpuE2ELNS1_3repE0EEENS1_30default_config_static_selectorELNS0_4arch9wavefront6targetE0EEEvT1_ ; -- Begin function _ZN7rocprim17ROCPRIM_400000_NS6detail17trampoline_kernelINS0_14default_configENS1_25transform_config_selectorIdLb1EEEZNS1_14transform_implILb1ES3_S5_PdS7_NS0_8identityIdEEEE10hipError_tT2_T3_mT4_P12ihipStream_tbEUlT_E_NS1_11comp_targetILNS1_3genE8ELNS1_11target_archE1030ELNS1_3gpuE2ELNS1_3repE0EEENS1_30default_config_static_selectorELNS0_4arch9wavefront6targetE0EEEvT1_
	.globl	_ZN7rocprim17ROCPRIM_400000_NS6detail17trampoline_kernelINS0_14default_configENS1_25transform_config_selectorIdLb1EEEZNS1_14transform_implILb1ES3_S5_PdS7_NS0_8identityIdEEEE10hipError_tT2_T3_mT4_P12ihipStream_tbEUlT_E_NS1_11comp_targetILNS1_3genE8ELNS1_11target_archE1030ELNS1_3gpuE2ELNS1_3repE0EEENS1_30default_config_static_selectorELNS0_4arch9wavefront6targetE0EEEvT1_
	.p2align	8
	.type	_ZN7rocprim17ROCPRIM_400000_NS6detail17trampoline_kernelINS0_14default_configENS1_25transform_config_selectorIdLb1EEEZNS1_14transform_implILb1ES3_S5_PdS7_NS0_8identityIdEEEE10hipError_tT2_T3_mT4_P12ihipStream_tbEUlT_E_NS1_11comp_targetILNS1_3genE8ELNS1_11target_archE1030ELNS1_3gpuE2ELNS1_3repE0EEENS1_30default_config_static_selectorELNS0_4arch9wavefront6targetE0EEEvT1_,@function
_ZN7rocprim17ROCPRIM_400000_NS6detail17trampoline_kernelINS0_14default_configENS1_25transform_config_selectorIdLb1EEEZNS1_14transform_implILb1ES3_S5_PdS7_NS0_8identityIdEEEE10hipError_tT2_T3_mT4_P12ihipStream_tbEUlT_E_NS1_11comp_targetILNS1_3genE8ELNS1_11target_archE1030ELNS1_3gpuE2ELNS1_3repE0EEENS1_30default_config_static_selectorELNS0_4arch9wavefront6targetE0EEEvT1_: ; @_ZN7rocprim17ROCPRIM_400000_NS6detail17trampoline_kernelINS0_14default_configENS1_25transform_config_selectorIdLb1EEEZNS1_14transform_implILb1ES3_S5_PdS7_NS0_8identityIdEEEE10hipError_tT2_T3_mT4_P12ihipStream_tbEUlT_E_NS1_11comp_targetILNS1_3genE8ELNS1_11target_archE1030ELNS1_3gpuE2ELNS1_3repE0EEENS1_30default_config_static_selectorELNS0_4arch9wavefront6targetE0EEEvT1_
; %bb.0:
	.section	.rodata,"a",@progbits
	.p2align	6, 0x0
	.amdhsa_kernel _ZN7rocprim17ROCPRIM_400000_NS6detail17trampoline_kernelINS0_14default_configENS1_25transform_config_selectorIdLb1EEEZNS1_14transform_implILb1ES3_S5_PdS7_NS0_8identityIdEEEE10hipError_tT2_T3_mT4_P12ihipStream_tbEUlT_E_NS1_11comp_targetILNS1_3genE8ELNS1_11target_archE1030ELNS1_3gpuE2ELNS1_3repE0EEENS1_30default_config_static_selectorELNS0_4arch9wavefront6targetE0EEEvT1_
		.amdhsa_group_segment_fixed_size 0
		.amdhsa_private_segment_fixed_size 0
		.amdhsa_kernarg_size 40
		.amdhsa_user_sgpr_count 15
		.amdhsa_user_sgpr_dispatch_ptr 0
		.amdhsa_user_sgpr_queue_ptr 0
		.amdhsa_user_sgpr_kernarg_segment_ptr 1
		.amdhsa_user_sgpr_dispatch_id 0
		.amdhsa_user_sgpr_private_segment_size 0
		.amdhsa_wavefront_size32 1
		.amdhsa_uses_dynamic_stack 0
		.amdhsa_enable_private_segment 0
		.amdhsa_system_sgpr_workgroup_id_x 1
		.amdhsa_system_sgpr_workgroup_id_y 0
		.amdhsa_system_sgpr_workgroup_id_z 0
		.amdhsa_system_sgpr_workgroup_info 0
		.amdhsa_system_vgpr_workitem_id 0
		.amdhsa_next_free_vgpr 1
		.amdhsa_next_free_sgpr 1
		.amdhsa_reserve_vcc 0
		.amdhsa_float_round_mode_32 0
		.amdhsa_float_round_mode_16_64 0
		.amdhsa_float_denorm_mode_32 3
		.amdhsa_float_denorm_mode_16_64 3
		.amdhsa_dx10_clamp 1
		.amdhsa_ieee_mode 1
		.amdhsa_fp16_overflow 0
		.amdhsa_workgroup_processor_mode 1
		.amdhsa_memory_ordered 1
		.amdhsa_forward_progress 0
		.amdhsa_shared_vgpr_count 0
		.amdhsa_exception_fp_ieee_invalid_op 0
		.amdhsa_exception_fp_denorm_src 0
		.amdhsa_exception_fp_ieee_div_zero 0
		.amdhsa_exception_fp_ieee_overflow 0
		.amdhsa_exception_fp_ieee_underflow 0
		.amdhsa_exception_fp_ieee_inexact 0
		.amdhsa_exception_int_div_zero 0
	.end_amdhsa_kernel
	.section	.text._ZN7rocprim17ROCPRIM_400000_NS6detail17trampoline_kernelINS0_14default_configENS1_25transform_config_selectorIdLb1EEEZNS1_14transform_implILb1ES3_S5_PdS7_NS0_8identityIdEEEE10hipError_tT2_T3_mT4_P12ihipStream_tbEUlT_E_NS1_11comp_targetILNS1_3genE8ELNS1_11target_archE1030ELNS1_3gpuE2ELNS1_3repE0EEENS1_30default_config_static_selectorELNS0_4arch9wavefront6targetE0EEEvT1_,"axG",@progbits,_ZN7rocprim17ROCPRIM_400000_NS6detail17trampoline_kernelINS0_14default_configENS1_25transform_config_selectorIdLb1EEEZNS1_14transform_implILb1ES3_S5_PdS7_NS0_8identityIdEEEE10hipError_tT2_T3_mT4_P12ihipStream_tbEUlT_E_NS1_11comp_targetILNS1_3genE8ELNS1_11target_archE1030ELNS1_3gpuE2ELNS1_3repE0EEENS1_30default_config_static_selectorELNS0_4arch9wavefront6targetE0EEEvT1_,comdat
.Lfunc_end18:
	.size	_ZN7rocprim17ROCPRIM_400000_NS6detail17trampoline_kernelINS0_14default_configENS1_25transform_config_selectorIdLb1EEEZNS1_14transform_implILb1ES3_S5_PdS7_NS0_8identityIdEEEE10hipError_tT2_T3_mT4_P12ihipStream_tbEUlT_E_NS1_11comp_targetILNS1_3genE8ELNS1_11target_archE1030ELNS1_3gpuE2ELNS1_3repE0EEENS1_30default_config_static_selectorELNS0_4arch9wavefront6targetE0EEEvT1_, .Lfunc_end18-_ZN7rocprim17ROCPRIM_400000_NS6detail17trampoline_kernelINS0_14default_configENS1_25transform_config_selectorIdLb1EEEZNS1_14transform_implILb1ES3_S5_PdS7_NS0_8identityIdEEEE10hipError_tT2_T3_mT4_P12ihipStream_tbEUlT_E_NS1_11comp_targetILNS1_3genE8ELNS1_11target_archE1030ELNS1_3gpuE2ELNS1_3repE0EEENS1_30default_config_static_selectorELNS0_4arch9wavefront6targetE0EEEvT1_
                                        ; -- End function
	.section	.AMDGPU.csdata,"",@progbits
; Kernel info:
; codeLenInByte = 0
; NumSgprs: 0
; NumVgprs: 0
; ScratchSize: 0
; MemoryBound: 0
; FloatMode: 240
; IeeeMode: 1
; LDSByteSize: 0 bytes/workgroup (compile time only)
; SGPRBlocks: 0
; VGPRBlocks: 0
; NumSGPRsForWavesPerEU: 1
; NumVGPRsForWavesPerEU: 1
; Occupancy: 16
; WaveLimiterHint : 0
; COMPUTE_PGM_RSRC2:SCRATCH_EN: 0
; COMPUTE_PGM_RSRC2:USER_SGPR: 15
; COMPUTE_PGM_RSRC2:TRAP_HANDLER: 0
; COMPUTE_PGM_RSRC2:TGID_X_EN: 1
; COMPUTE_PGM_RSRC2:TGID_Y_EN: 0
; COMPUTE_PGM_RSRC2:TGID_Z_EN: 0
; COMPUTE_PGM_RSRC2:TIDIG_COMP_CNT: 0
	.section	.text._ZN7rocprim17ROCPRIM_400000_NS6detail17trampoline_kernelINS0_14default_configENS1_20scan_config_selectorIdEEZZNS1_9scan_implILNS1_25lookback_scan_determinismE0ELb0ELb0ES3_PKdPddZZZN2at6native31launch_logcumsumexp_cuda_kernelERKNSB_10TensorBaseESF_lENKUlvE_clEvENKUlvE_clEvEUlddE_dEEDaPvRmT3_T4_T5_mT6_P12ihipStream_tbENKUlT_T0_E_clISt17integral_constantIbLb0EESW_EEDaSR_SS_EUlSR_E0_NS1_11comp_targetILNS1_3genE0ELNS1_11target_archE4294967295ELNS1_3gpuE0ELNS1_3repE0EEENS1_30default_config_static_selectorELNS0_4arch9wavefront6targetE0EEEvT1_,"axG",@progbits,_ZN7rocprim17ROCPRIM_400000_NS6detail17trampoline_kernelINS0_14default_configENS1_20scan_config_selectorIdEEZZNS1_9scan_implILNS1_25lookback_scan_determinismE0ELb0ELb0ES3_PKdPddZZZN2at6native31launch_logcumsumexp_cuda_kernelERKNSB_10TensorBaseESF_lENKUlvE_clEvENKUlvE_clEvEUlddE_dEEDaPvRmT3_T4_T5_mT6_P12ihipStream_tbENKUlT_T0_E_clISt17integral_constantIbLb0EESW_EEDaSR_SS_EUlSR_E0_NS1_11comp_targetILNS1_3genE0ELNS1_11target_archE4294967295ELNS1_3gpuE0ELNS1_3repE0EEENS1_30default_config_static_selectorELNS0_4arch9wavefront6targetE0EEEvT1_,comdat
	.globl	_ZN7rocprim17ROCPRIM_400000_NS6detail17trampoline_kernelINS0_14default_configENS1_20scan_config_selectorIdEEZZNS1_9scan_implILNS1_25lookback_scan_determinismE0ELb0ELb0ES3_PKdPddZZZN2at6native31launch_logcumsumexp_cuda_kernelERKNSB_10TensorBaseESF_lENKUlvE_clEvENKUlvE_clEvEUlddE_dEEDaPvRmT3_T4_T5_mT6_P12ihipStream_tbENKUlT_T0_E_clISt17integral_constantIbLb0EESW_EEDaSR_SS_EUlSR_E0_NS1_11comp_targetILNS1_3genE0ELNS1_11target_archE4294967295ELNS1_3gpuE0ELNS1_3repE0EEENS1_30default_config_static_selectorELNS0_4arch9wavefront6targetE0EEEvT1_ ; -- Begin function _ZN7rocprim17ROCPRIM_400000_NS6detail17trampoline_kernelINS0_14default_configENS1_20scan_config_selectorIdEEZZNS1_9scan_implILNS1_25lookback_scan_determinismE0ELb0ELb0ES3_PKdPddZZZN2at6native31launch_logcumsumexp_cuda_kernelERKNSB_10TensorBaseESF_lENKUlvE_clEvENKUlvE_clEvEUlddE_dEEDaPvRmT3_T4_T5_mT6_P12ihipStream_tbENKUlT_T0_E_clISt17integral_constantIbLb0EESW_EEDaSR_SS_EUlSR_E0_NS1_11comp_targetILNS1_3genE0ELNS1_11target_archE4294967295ELNS1_3gpuE0ELNS1_3repE0EEENS1_30default_config_static_selectorELNS0_4arch9wavefront6targetE0EEEvT1_
	.p2align	8
	.type	_ZN7rocprim17ROCPRIM_400000_NS6detail17trampoline_kernelINS0_14default_configENS1_20scan_config_selectorIdEEZZNS1_9scan_implILNS1_25lookback_scan_determinismE0ELb0ELb0ES3_PKdPddZZZN2at6native31launch_logcumsumexp_cuda_kernelERKNSB_10TensorBaseESF_lENKUlvE_clEvENKUlvE_clEvEUlddE_dEEDaPvRmT3_T4_T5_mT6_P12ihipStream_tbENKUlT_T0_E_clISt17integral_constantIbLb0EESW_EEDaSR_SS_EUlSR_E0_NS1_11comp_targetILNS1_3genE0ELNS1_11target_archE4294967295ELNS1_3gpuE0ELNS1_3repE0EEENS1_30default_config_static_selectorELNS0_4arch9wavefront6targetE0EEEvT1_,@function
_ZN7rocprim17ROCPRIM_400000_NS6detail17trampoline_kernelINS0_14default_configENS1_20scan_config_selectorIdEEZZNS1_9scan_implILNS1_25lookback_scan_determinismE0ELb0ELb0ES3_PKdPddZZZN2at6native31launch_logcumsumexp_cuda_kernelERKNSB_10TensorBaseESF_lENKUlvE_clEvENKUlvE_clEvEUlddE_dEEDaPvRmT3_T4_T5_mT6_P12ihipStream_tbENKUlT_T0_E_clISt17integral_constantIbLb0EESW_EEDaSR_SS_EUlSR_E0_NS1_11comp_targetILNS1_3genE0ELNS1_11target_archE4294967295ELNS1_3gpuE0ELNS1_3repE0EEENS1_30default_config_static_selectorELNS0_4arch9wavefront6targetE0EEEvT1_: ; @_ZN7rocprim17ROCPRIM_400000_NS6detail17trampoline_kernelINS0_14default_configENS1_20scan_config_selectorIdEEZZNS1_9scan_implILNS1_25lookback_scan_determinismE0ELb0ELb0ES3_PKdPddZZZN2at6native31launch_logcumsumexp_cuda_kernelERKNSB_10TensorBaseESF_lENKUlvE_clEvENKUlvE_clEvEUlddE_dEEDaPvRmT3_T4_T5_mT6_P12ihipStream_tbENKUlT_T0_E_clISt17integral_constantIbLb0EESW_EEDaSR_SS_EUlSR_E0_NS1_11comp_targetILNS1_3genE0ELNS1_11target_archE4294967295ELNS1_3gpuE0ELNS1_3repE0EEENS1_30default_config_static_selectorELNS0_4arch9wavefront6targetE0EEEvT1_
; %bb.0:
	.section	.rodata,"a",@progbits
	.p2align	6, 0x0
	.amdhsa_kernel _ZN7rocprim17ROCPRIM_400000_NS6detail17trampoline_kernelINS0_14default_configENS1_20scan_config_selectorIdEEZZNS1_9scan_implILNS1_25lookback_scan_determinismE0ELb0ELb0ES3_PKdPddZZZN2at6native31launch_logcumsumexp_cuda_kernelERKNSB_10TensorBaseESF_lENKUlvE_clEvENKUlvE_clEvEUlddE_dEEDaPvRmT3_T4_T5_mT6_P12ihipStream_tbENKUlT_T0_E_clISt17integral_constantIbLb0EESW_EEDaSR_SS_EUlSR_E0_NS1_11comp_targetILNS1_3genE0ELNS1_11target_archE4294967295ELNS1_3gpuE0ELNS1_3repE0EEENS1_30default_config_static_selectorELNS0_4arch9wavefront6targetE0EEEvT1_
		.amdhsa_group_segment_fixed_size 0
		.amdhsa_private_segment_fixed_size 0
		.amdhsa_kernarg_size 40
		.amdhsa_user_sgpr_count 15
		.amdhsa_user_sgpr_dispatch_ptr 0
		.amdhsa_user_sgpr_queue_ptr 0
		.amdhsa_user_sgpr_kernarg_segment_ptr 1
		.amdhsa_user_sgpr_dispatch_id 0
		.amdhsa_user_sgpr_private_segment_size 0
		.amdhsa_wavefront_size32 1
		.amdhsa_uses_dynamic_stack 0
		.amdhsa_enable_private_segment 0
		.amdhsa_system_sgpr_workgroup_id_x 1
		.amdhsa_system_sgpr_workgroup_id_y 0
		.amdhsa_system_sgpr_workgroup_id_z 0
		.amdhsa_system_sgpr_workgroup_info 0
		.amdhsa_system_vgpr_workitem_id 0
		.amdhsa_next_free_vgpr 1
		.amdhsa_next_free_sgpr 1
		.amdhsa_reserve_vcc 0
		.amdhsa_float_round_mode_32 0
		.amdhsa_float_round_mode_16_64 0
		.amdhsa_float_denorm_mode_32 3
		.amdhsa_float_denorm_mode_16_64 3
		.amdhsa_dx10_clamp 1
		.amdhsa_ieee_mode 1
		.amdhsa_fp16_overflow 0
		.amdhsa_workgroup_processor_mode 1
		.amdhsa_memory_ordered 1
		.amdhsa_forward_progress 0
		.amdhsa_shared_vgpr_count 0
		.amdhsa_exception_fp_ieee_invalid_op 0
		.amdhsa_exception_fp_denorm_src 0
		.amdhsa_exception_fp_ieee_div_zero 0
		.amdhsa_exception_fp_ieee_overflow 0
		.amdhsa_exception_fp_ieee_underflow 0
		.amdhsa_exception_fp_ieee_inexact 0
		.amdhsa_exception_int_div_zero 0
	.end_amdhsa_kernel
	.section	.text._ZN7rocprim17ROCPRIM_400000_NS6detail17trampoline_kernelINS0_14default_configENS1_20scan_config_selectorIdEEZZNS1_9scan_implILNS1_25lookback_scan_determinismE0ELb0ELb0ES3_PKdPddZZZN2at6native31launch_logcumsumexp_cuda_kernelERKNSB_10TensorBaseESF_lENKUlvE_clEvENKUlvE_clEvEUlddE_dEEDaPvRmT3_T4_T5_mT6_P12ihipStream_tbENKUlT_T0_E_clISt17integral_constantIbLb0EESW_EEDaSR_SS_EUlSR_E0_NS1_11comp_targetILNS1_3genE0ELNS1_11target_archE4294967295ELNS1_3gpuE0ELNS1_3repE0EEENS1_30default_config_static_selectorELNS0_4arch9wavefront6targetE0EEEvT1_,"axG",@progbits,_ZN7rocprim17ROCPRIM_400000_NS6detail17trampoline_kernelINS0_14default_configENS1_20scan_config_selectorIdEEZZNS1_9scan_implILNS1_25lookback_scan_determinismE0ELb0ELb0ES3_PKdPddZZZN2at6native31launch_logcumsumexp_cuda_kernelERKNSB_10TensorBaseESF_lENKUlvE_clEvENKUlvE_clEvEUlddE_dEEDaPvRmT3_T4_T5_mT6_P12ihipStream_tbENKUlT_T0_E_clISt17integral_constantIbLb0EESW_EEDaSR_SS_EUlSR_E0_NS1_11comp_targetILNS1_3genE0ELNS1_11target_archE4294967295ELNS1_3gpuE0ELNS1_3repE0EEENS1_30default_config_static_selectorELNS0_4arch9wavefront6targetE0EEEvT1_,comdat
.Lfunc_end19:
	.size	_ZN7rocprim17ROCPRIM_400000_NS6detail17trampoline_kernelINS0_14default_configENS1_20scan_config_selectorIdEEZZNS1_9scan_implILNS1_25lookback_scan_determinismE0ELb0ELb0ES3_PKdPddZZZN2at6native31launch_logcumsumexp_cuda_kernelERKNSB_10TensorBaseESF_lENKUlvE_clEvENKUlvE_clEvEUlddE_dEEDaPvRmT3_T4_T5_mT6_P12ihipStream_tbENKUlT_T0_E_clISt17integral_constantIbLb0EESW_EEDaSR_SS_EUlSR_E0_NS1_11comp_targetILNS1_3genE0ELNS1_11target_archE4294967295ELNS1_3gpuE0ELNS1_3repE0EEENS1_30default_config_static_selectorELNS0_4arch9wavefront6targetE0EEEvT1_, .Lfunc_end19-_ZN7rocprim17ROCPRIM_400000_NS6detail17trampoline_kernelINS0_14default_configENS1_20scan_config_selectorIdEEZZNS1_9scan_implILNS1_25lookback_scan_determinismE0ELb0ELb0ES3_PKdPddZZZN2at6native31launch_logcumsumexp_cuda_kernelERKNSB_10TensorBaseESF_lENKUlvE_clEvENKUlvE_clEvEUlddE_dEEDaPvRmT3_T4_T5_mT6_P12ihipStream_tbENKUlT_T0_E_clISt17integral_constantIbLb0EESW_EEDaSR_SS_EUlSR_E0_NS1_11comp_targetILNS1_3genE0ELNS1_11target_archE4294967295ELNS1_3gpuE0ELNS1_3repE0EEENS1_30default_config_static_selectorELNS0_4arch9wavefront6targetE0EEEvT1_
                                        ; -- End function
	.section	.AMDGPU.csdata,"",@progbits
; Kernel info:
; codeLenInByte = 0
; NumSgprs: 0
; NumVgprs: 0
; ScratchSize: 0
; MemoryBound: 0
; FloatMode: 240
; IeeeMode: 1
; LDSByteSize: 0 bytes/workgroup (compile time only)
; SGPRBlocks: 0
; VGPRBlocks: 0
; NumSGPRsForWavesPerEU: 1
; NumVGPRsForWavesPerEU: 1
; Occupancy: 16
; WaveLimiterHint : 0
; COMPUTE_PGM_RSRC2:SCRATCH_EN: 0
; COMPUTE_PGM_RSRC2:USER_SGPR: 15
; COMPUTE_PGM_RSRC2:TRAP_HANDLER: 0
; COMPUTE_PGM_RSRC2:TGID_X_EN: 1
; COMPUTE_PGM_RSRC2:TGID_Y_EN: 0
; COMPUTE_PGM_RSRC2:TGID_Z_EN: 0
; COMPUTE_PGM_RSRC2:TIDIG_COMP_CNT: 0
	.section	.text._ZN7rocprim17ROCPRIM_400000_NS6detail17trampoline_kernelINS0_14default_configENS1_20scan_config_selectorIdEEZZNS1_9scan_implILNS1_25lookback_scan_determinismE0ELb0ELb0ES3_PKdPddZZZN2at6native31launch_logcumsumexp_cuda_kernelERKNSB_10TensorBaseESF_lENKUlvE_clEvENKUlvE_clEvEUlddE_dEEDaPvRmT3_T4_T5_mT6_P12ihipStream_tbENKUlT_T0_E_clISt17integral_constantIbLb0EESW_EEDaSR_SS_EUlSR_E0_NS1_11comp_targetILNS1_3genE5ELNS1_11target_archE942ELNS1_3gpuE9ELNS1_3repE0EEENS1_30default_config_static_selectorELNS0_4arch9wavefront6targetE0EEEvT1_,"axG",@progbits,_ZN7rocprim17ROCPRIM_400000_NS6detail17trampoline_kernelINS0_14default_configENS1_20scan_config_selectorIdEEZZNS1_9scan_implILNS1_25lookback_scan_determinismE0ELb0ELb0ES3_PKdPddZZZN2at6native31launch_logcumsumexp_cuda_kernelERKNSB_10TensorBaseESF_lENKUlvE_clEvENKUlvE_clEvEUlddE_dEEDaPvRmT3_T4_T5_mT6_P12ihipStream_tbENKUlT_T0_E_clISt17integral_constantIbLb0EESW_EEDaSR_SS_EUlSR_E0_NS1_11comp_targetILNS1_3genE5ELNS1_11target_archE942ELNS1_3gpuE9ELNS1_3repE0EEENS1_30default_config_static_selectorELNS0_4arch9wavefront6targetE0EEEvT1_,comdat
	.globl	_ZN7rocprim17ROCPRIM_400000_NS6detail17trampoline_kernelINS0_14default_configENS1_20scan_config_selectorIdEEZZNS1_9scan_implILNS1_25lookback_scan_determinismE0ELb0ELb0ES3_PKdPddZZZN2at6native31launch_logcumsumexp_cuda_kernelERKNSB_10TensorBaseESF_lENKUlvE_clEvENKUlvE_clEvEUlddE_dEEDaPvRmT3_T4_T5_mT6_P12ihipStream_tbENKUlT_T0_E_clISt17integral_constantIbLb0EESW_EEDaSR_SS_EUlSR_E0_NS1_11comp_targetILNS1_3genE5ELNS1_11target_archE942ELNS1_3gpuE9ELNS1_3repE0EEENS1_30default_config_static_selectorELNS0_4arch9wavefront6targetE0EEEvT1_ ; -- Begin function _ZN7rocprim17ROCPRIM_400000_NS6detail17trampoline_kernelINS0_14default_configENS1_20scan_config_selectorIdEEZZNS1_9scan_implILNS1_25lookback_scan_determinismE0ELb0ELb0ES3_PKdPddZZZN2at6native31launch_logcumsumexp_cuda_kernelERKNSB_10TensorBaseESF_lENKUlvE_clEvENKUlvE_clEvEUlddE_dEEDaPvRmT3_T4_T5_mT6_P12ihipStream_tbENKUlT_T0_E_clISt17integral_constantIbLb0EESW_EEDaSR_SS_EUlSR_E0_NS1_11comp_targetILNS1_3genE5ELNS1_11target_archE942ELNS1_3gpuE9ELNS1_3repE0EEENS1_30default_config_static_selectorELNS0_4arch9wavefront6targetE0EEEvT1_
	.p2align	8
	.type	_ZN7rocprim17ROCPRIM_400000_NS6detail17trampoline_kernelINS0_14default_configENS1_20scan_config_selectorIdEEZZNS1_9scan_implILNS1_25lookback_scan_determinismE0ELb0ELb0ES3_PKdPddZZZN2at6native31launch_logcumsumexp_cuda_kernelERKNSB_10TensorBaseESF_lENKUlvE_clEvENKUlvE_clEvEUlddE_dEEDaPvRmT3_T4_T5_mT6_P12ihipStream_tbENKUlT_T0_E_clISt17integral_constantIbLb0EESW_EEDaSR_SS_EUlSR_E0_NS1_11comp_targetILNS1_3genE5ELNS1_11target_archE942ELNS1_3gpuE9ELNS1_3repE0EEENS1_30default_config_static_selectorELNS0_4arch9wavefront6targetE0EEEvT1_,@function
_ZN7rocprim17ROCPRIM_400000_NS6detail17trampoline_kernelINS0_14default_configENS1_20scan_config_selectorIdEEZZNS1_9scan_implILNS1_25lookback_scan_determinismE0ELb0ELb0ES3_PKdPddZZZN2at6native31launch_logcumsumexp_cuda_kernelERKNSB_10TensorBaseESF_lENKUlvE_clEvENKUlvE_clEvEUlddE_dEEDaPvRmT3_T4_T5_mT6_P12ihipStream_tbENKUlT_T0_E_clISt17integral_constantIbLb0EESW_EEDaSR_SS_EUlSR_E0_NS1_11comp_targetILNS1_3genE5ELNS1_11target_archE942ELNS1_3gpuE9ELNS1_3repE0EEENS1_30default_config_static_selectorELNS0_4arch9wavefront6targetE0EEEvT1_: ; @_ZN7rocprim17ROCPRIM_400000_NS6detail17trampoline_kernelINS0_14default_configENS1_20scan_config_selectorIdEEZZNS1_9scan_implILNS1_25lookback_scan_determinismE0ELb0ELb0ES3_PKdPddZZZN2at6native31launch_logcumsumexp_cuda_kernelERKNSB_10TensorBaseESF_lENKUlvE_clEvENKUlvE_clEvEUlddE_dEEDaPvRmT3_T4_T5_mT6_P12ihipStream_tbENKUlT_T0_E_clISt17integral_constantIbLb0EESW_EEDaSR_SS_EUlSR_E0_NS1_11comp_targetILNS1_3genE5ELNS1_11target_archE942ELNS1_3gpuE9ELNS1_3repE0EEENS1_30default_config_static_selectorELNS0_4arch9wavefront6targetE0EEEvT1_
; %bb.0:
	.section	.rodata,"a",@progbits
	.p2align	6, 0x0
	.amdhsa_kernel _ZN7rocprim17ROCPRIM_400000_NS6detail17trampoline_kernelINS0_14default_configENS1_20scan_config_selectorIdEEZZNS1_9scan_implILNS1_25lookback_scan_determinismE0ELb0ELb0ES3_PKdPddZZZN2at6native31launch_logcumsumexp_cuda_kernelERKNSB_10TensorBaseESF_lENKUlvE_clEvENKUlvE_clEvEUlddE_dEEDaPvRmT3_T4_T5_mT6_P12ihipStream_tbENKUlT_T0_E_clISt17integral_constantIbLb0EESW_EEDaSR_SS_EUlSR_E0_NS1_11comp_targetILNS1_3genE5ELNS1_11target_archE942ELNS1_3gpuE9ELNS1_3repE0EEENS1_30default_config_static_selectorELNS0_4arch9wavefront6targetE0EEEvT1_
		.amdhsa_group_segment_fixed_size 0
		.amdhsa_private_segment_fixed_size 0
		.amdhsa_kernarg_size 40
		.amdhsa_user_sgpr_count 15
		.amdhsa_user_sgpr_dispatch_ptr 0
		.amdhsa_user_sgpr_queue_ptr 0
		.amdhsa_user_sgpr_kernarg_segment_ptr 1
		.amdhsa_user_sgpr_dispatch_id 0
		.amdhsa_user_sgpr_private_segment_size 0
		.amdhsa_wavefront_size32 1
		.amdhsa_uses_dynamic_stack 0
		.amdhsa_enable_private_segment 0
		.amdhsa_system_sgpr_workgroup_id_x 1
		.amdhsa_system_sgpr_workgroup_id_y 0
		.amdhsa_system_sgpr_workgroup_id_z 0
		.amdhsa_system_sgpr_workgroup_info 0
		.amdhsa_system_vgpr_workitem_id 0
		.amdhsa_next_free_vgpr 1
		.amdhsa_next_free_sgpr 1
		.amdhsa_reserve_vcc 0
		.amdhsa_float_round_mode_32 0
		.amdhsa_float_round_mode_16_64 0
		.amdhsa_float_denorm_mode_32 3
		.amdhsa_float_denorm_mode_16_64 3
		.amdhsa_dx10_clamp 1
		.amdhsa_ieee_mode 1
		.amdhsa_fp16_overflow 0
		.amdhsa_workgroup_processor_mode 1
		.amdhsa_memory_ordered 1
		.amdhsa_forward_progress 0
		.amdhsa_shared_vgpr_count 0
		.amdhsa_exception_fp_ieee_invalid_op 0
		.amdhsa_exception_fp_denorm_src 0
		.amdhsa_exception_fp_ieee_div_zero 0
		.amdhsa_exception_fp_ieee_overflow 0
		.amdhsa_exception_fp_ieee_underflow 0
		.amdhsa_exception_fp_ieee_inexact 0
		.amdhsa_exception_int_div_zero 0
	.end_amdhsa_kernel
	.section	.text._ZN7rocprim17ROCPRIM_400000_NS6detail17trampoline_kernelINS0_14default_configENS1_20scan_config_selectorIdEEZZNS1_9scan_implILNS1_25lookback_scan_determinismE0ELb0ELb0ES3_PKdPddZZZN2at6native31launch_logcumsumexp_cuda_kernelERKNSB_10TensorBaseESF_lENKUlvE_clEvENKUlvE_clEvEUlddE_dEEDaPvRmT3_T4_T5_mT6_P12ihipStream_tbENKUlT_T0_E_clISt17integral_constantIbLb0EESW_EEDaSR_SS_EUlSR_E0_NS1_11comp_targetILNS1_3genE5ELNS1_11target_archE942ELNS1_3gpuE9ELNS1_3repE0EEENS1_30default_config_static_selectorELNS0_4arch9wavefront6targetE0EEEvT1_,"axG",@progbits,_ZN7rocprim17ROCPRIM_400000_NS6detail17trampoline_kernelINS0_14default_configENS1_20scan_config_selectorIdEEZZNS1_9scan_implILNS1_25lookback_scan_determinismE0ELb0ELb0ES3_PKdPddZZZN2at6native31launch_logcumsumexp_cuda_kernelERKNSB_10TensorBaseESF_lENKUlvE_clEvENKUlvE_clEvEUlddE_dEEDaPvRmT3_T4_T5_mT6_P12ihipStream_tbENKUlT_T0_E_clISt17integral_constantIbLb0EESW_EEDaSR_SS_EUlSR_E0_NS1_11comp_targetILNS1_3genE5ELNS1_11target_archE942ELNS1_3gpuE9ELNS1_3repE0EEENS1_30default_config_static_selectorELNS0_4arch9wavefront6targetE0EEEvT1_,comdat
.Lfunc_end20:
	.size	_ZN7rocprim17ROCPRIM_400000_NS6detail17trampoline_kernelINS0_14default_configENS1_20scan_config_selectorIdEEZZNS1_9scan_implILNS1_25lookback_scan_determinismE0ELb0ELb0ES3_PKdPddZZZN2at6native31launch_logcumsumexp_cuda_kernelERKNSB_10TensorBaseESF_lENKUlvE_clEvENKUlvE_clEvEUlddE_dEEDaPvRmT3_T4_T5_mT6_P12ihipStream_tbENKUlT_T0_E_clISt17integral_constantIbLb0EESW_EEDaSR_SS_EUlSR_E0_NS1_11comp_targetILNS1_3genE5ELNS1_11target_archE942ELNS1_3gpuE9ELNS1_3repE0EEENS1_30default_config_static_selectorELNS0_4arch9wavefront6targetE0EEEvT1_, .Lfunc_end20-_ZN7rocprim17ROCPRIM_400000_NS6detail17trampoline_kernelINS0_14default_configENS1_20scan_config_selectorIdEEZZNS1_9scan_implILNS1_25lookback_scan_determinismE0ELb0ELb0ES3_PKdPddZZZN2at6native31launch_logcumsumexp_cuda_kernelERKNSB_10TensorBaseESF_lENKUlvE_clEvENKUlvE_clEvEUlddE_dEEDaPvRmT3_T4_T5_mT6_P12ihipStream_tbENKUlT_T0_E_clISt17integral_constantIbLb0EESW_EEDaSR_SS_EUlSR_E0_NS1_11comp_targetILNS1_3genE5ELNS1_11target_archE942ELNS1_3gpuE9ELNS1_3repE0EEENS1_30default_config_static_selectorELNS0_4arch9wavefront6targetE0EEEvT1_
                                        ; -- End function
	.section	.AMDGPU.csdata,"",@progbits
; Kernel info:
; codeLenInByte = 0
; NumSgprs: 0
; NumVgprs: 0
; ScratchSize: 0
; MemoryBound: 0
; FloatMode: 240
; IeeeMode: 1
; LDSByteSize: 0 bytes/workgroup (compile time only)
; SGPRBlocks: 0
; VGPRBlocks: 0
; NumSGPRsForWavesPerEU: 1
; NumVGPRsForWavesPerEU: 1
; Occupancy: 16
; WaveLimiterHint : 0
; COMPUTE_PGM_RSRC2:SCRATCH_EN: 0
; COMPUTE_PGM_RSRC2:USER_SGPR: 15
; COMPUTE_PGM_RSRC2:TRAP_HANDLER: 0
; COMPUTE_PGM_RSRC2:TGID_X_EN: 1
; COMPUTE_PGM_RSRC2:TGID_Y_EN: 0
; COMPUTE_PGM_RSRC2:TGID_Z_EN: 0
; COMPUTE_PGM_RSRC2:TIDIG_COMP_CNT: 0
	.section	.text._ZN7rocprim17ROCPRIM_400000_NS6detail17trampoline_kernelINS0_14default_configENS1_20scan_config_selectorIdEEZZNS1_9scan_implILNS1_25lookback_scan_determinismE0ELb0ELb0ES3_PKdPddZZZN2at6native31launch_logcumsumexp_cuda_kernelERKNSB_10TensorBaseESF_lENKUlvE_clEvENKUlvE_clEvEUlddE_dEEDaPvRmT3_T4_T5_mT6_P12ihipStream_tbENKUlT_T0_E_clISt17integral_constantIbLb0EESW_EEDaSR_SS_EUlSR_E0_NS1_11comp_targetILNS1_3genE4ELNS1_11target_archE910ELNS1_3gpuE8ELNS1_3repE0EEENS1_30default_config_static_selectorELNS0_4arch9wavefront6targetE0EEEvT1_,"axG",@progbits,_ZN7rocprim17ROCPRIM_400000_NS6detail17trampoline_kernelINS0_14default_configENS1_20scan_config_selectorIdEEZZNS1_9scan_implILNS1_25lookback_scan_determinismE0ELb0ELb0ES3_PKdPddZZZN2at6native31launch_logcumsumexp_cuda_kernelERKNSB_10TensorBaseESF_lENKUlvE_clEvENKUlvE_clEvEUlddE_dEEDaPvRmT3_T4_T5_mT6_P12ihipStream_tbENKUlT_T0_E_clISt17integral_constantIbLb0EESW_EEDaSR_SS_EUlSR_E0_NS1_11comp_targetILNS1_3genE4ELNS1_11target_archE910ELNS1_3gpuE8ELNS1_3repE0EEENS1_30default_config_static_selectorELNS0_4arch9wavefront6targetE0EEEvT1_,comdat
	.globl	_ZN7rocprim17ROCPRIM_400000_NS6detail17trampoline_kernelINS0_14default_configENS1_20scan_config_selectorIdEEZZNS1_9scan_implILNS1_25lookback_scan_determinismE0ELb0ELb0ES3_PKdPddZZZN2at6native31launch_logcumsumexp_cuda_kernelERKNSB_10TensorBaseESF_lENKUlvE_clEvENKUlvE_clEvEUlddE_dEEDaPvRmT3_T4_T5_mT6_P12ihipStream_tbENKUlT_T0_E_clISt17integral_constantIbLb0EESW_EEDaSR_SS_EUlSR_E0_NS1_11comp_targetILNS1_3genE4ELNS1_11target_archE910ELNS1_3gpuE8ELNS1_3repE0EEENS1_30default_config_static_selectorELNS0_4arch9wavefront6targetE0EEEvT1_ ; -- Begin function _ZN7rocprim17ROCPRIM_400000_NS6detail17trampoline_kernelINS0_14default_configENS1_20scan_config_selectorIdEEZZNS1_9scan_implILNS1_25lookback_scan_determinismE0ELb0ELb0ES3_PKdPddZZZN2at6native31launch_logcumsumexp_cuda_kernelERKNSB_10TensorBaseESF_lENKUlvE_clEvENKUlvE_clEvEUlddE_dEEDaPvRmT3_T4_T5_mT6_P12ihipStream_tbENKUlT_T0_E_clISt17integral_constantIbLb0EESW_EEDaSR_SS_EUlSR_E0_NS1_11comp_targetILNS1_3genE4ELNS1_11target_archE910ELNS1_3gpuE8ELNS1_3repE0EEENS1_30default_config_static_selectorELNS0_4arch9wavefront6targetE0EEEvT1_
	.p2align	8
	.type	_ZN7rocprim17ROCPRIM_400000_NS6detail17trampoline_kernelINS0_14default_configENS1_20scan_config_selectorIdEEZZNS1_9scan_implILNS1_25lookback_scan_determinismE0ELb0ELb0ES3_PKdPddZZZN2at6native31launch_logcumsumexp_cuda_kernelERKNSB_10TensorBaseESF_lENKUlvE_clEvENKUlvE_clEvEUlddE_dEEDaPvRmT3_T4_T5_mT6_P12ihipStream_tbENKUlT_T0_E_clISt17integral_constantIbLb0EESW_EEDaSR_SS_EUlSR_E0_NS1_11comp_targetILNS1_3genE4ELNS1_11target_archE910ELNS1_3gpuE8ELNS1_3repE0EEENS1_30default_config_static_selectorELNS0_4arch9wavefront6targetE0EEEvT1_,@function
_ZN7rocprim17ROCPRIM_400000_NS6detail17trampoline_kernelINS0_14default_configENS1_20scan_config_selectorIdEEZZNS1_9scan_implILNS1_25lookback_scan_determinismE0ELb0ELb0ES3_PKdPddZZZN2at6native31launch_logcumsumexp_cuda_kernelERKNSB_10TensorBaseESF_lENKUlvE_clEvENKUlvE_clEvEUlddE_dEEDaPvRmT3_T4_T5_mT6_P12ihipStream_tbENKUlT_T0_E_clISt17integral_constantIbLb0EESW_EEDaSR_SS_EUlSR_E0_NS1_11comp_targetILNS1_3genE4ELNS1_11target_archE910ELNS1_3gpuE8ELNS1_3repE0EEENS1_30default_config_static_selectorELNS0_4arch9wavefront6targetE0EEEvT1_: ; @_ZN7rocprim17ROCPRIM_400000_NS6detail17trampoline_kernelINS0_14default_configENS1_20scan_config_selectorIdEEZZNS1_9scan_implILNS1_25lookback_scan_determinismE0ELb0ELb0ES3_PKdPddZZZN2at6native31launch_logcumsumexp_cuda_kernelERKNSB_10TensorBaseESF_lENKUlvE_clEvENKUlvE_clEvEUlddE_dEEDaPvRmT3_T4_T5_mT6_P12ihipStream_tbENKUlT_T0_E_clISt17integral_constantIbLb0EESW_EEDaSR_SS_EUlSR_E0_NS1_11comp_targetILNS1_3genE4ELNS1_11target_archE910ELNS1_3gpuE8ELNS1_3repE0EEENS1_30default_config_static_selectorELNS0_4arch9wavefront6targetE0EEEvT1_
; %bb.0:
	.section	.rodata,"a",@progbits
	.p2align	6, 0x0
	.amdhsa_kernel _ZN7rocprim17ROCPRIM_400000_NS6detail17trampoline_kernelINS0_14default_configENS1_20scan_config_selectorIdEEZZNS1_9scan_implILNS1_25lookback_scan_determinismE0ELb0ELb0ES3_PKdPddZZZN2at6native31launch_logcumsumexp_cuda_kernelERKNSB_10TensorBaseESF_lENKUlvE_clEvENKUlvE_clEvEUlddE_dEEDaPvRmT3_T4_T5_mT6_P12ihipStream_tbENKUlT_T0_E_clISt17integral_constantIbLb0EESW_EEDaSR_SS_EUlSR_E0_NS1_11comp_targetILNS1_3genE4ELNS1_11target_archE910ELNS1_3gpuE8ELNS1_3repE0EEENS1_30default_config_static_selectorELNS0_4arch9wavefront6targetE0EEEvT1_
		.amdhsa_group_segment_fixed_size 0
		.amdhsa_private_segment_fixed_size 0
		.amdhsa_kernarg_size 40
		.amdhsa_user_sgpr_count 15
		.amdhsa_user_sgpr_dispatch_ptr 0
		.amdhsa_user_sgpr_queue_ptr 0
		.amdhsa_user_sgpr_kernarg_segment_ptr 1
		.amdhsa_user_sgpr_dispatch_id 0
		.amdhsa_user_sgpr_private_segment_size 0
		.amdhsa_wavefront_size32 1
		.amdhsa_uses_dynamic_stack 0
		.amdhsa_enable_private_segment 0
		.amdhsa_system_sgpr_workgroup_id_x 1
		.amdhsa_system_sgpr_workgroup_id_y 0
		.amdhsa_system_sgpr_workgroup_id_z 0
		.amdhsa_system_sgpr_workgroup_info 0
		.amdhsa_system_vgpr_workitem_id 0
		.amdhsa_next_free_vgpr 1
		.amdhsa_next_free_sgpr 1
		.amdhsa_reserve_vcc 0
		.amdhsa_float_round_mode_32 0
		.amdhsa_float_round_mode_16_64 0
		.amdhsa_float_denorm_mode_32 3
		.amdhsa_float_denorm_mode_16_64 3
		.amdhsa_dx10_clamp 1
		.amdhsa_ieee_mode 1
		.amdhsa_fp16_overflow 0
		.amdhsa_workgroup_processor_mode 1
		.amdhsa_memory_ordered 1
		.amdhsa_forward_progress 0
		.amdhsa_shared_vgpr_count 0
		.amdhsa_exception_fp_ieee_invalid_op 0
		.amdhsa_exception_fp_denorm_src 0
		.amdhsa_exception_fp_ieee_div_zero 0
		.amdhsa_exception_fp_ieee_overflow 0
		.amdhsa_exception_fp_ieee_underflow 0
		.amdhsa_exception_fp_ieee_inexact 0
		.amdhsa_exception_int_div_zero 0
	.end_amdhsa_kernel
	.section	.text._ZN7rocprim17ROCPRIM_400000_NS6detail17trampoline_kernelINS0_14default_configENS1_20scan_config_selectorIdEEZZNS1_9scan_implILNS1_25lookback_scan_determinismE0ELb0ELb0ES3_PKdPddZZZN2at6native31launch_logcumsumexp_cuda_kernelERKNSB_10TensorBaseESF_lENKUlvE_clEvENKUlvE_clEvEUlddE_dEEDaPvRmT3_T4_T5_mT6_P12ihipStream_tbENKUlT_T0_E_clISt17integral_constantIbLb0EESW_EEDaSR_SS_EUlSR_E0_NS1_11comp_targetILNS1_3genE4ELNS1_11target_archE910ELNS1_3gpuE8ELNS1_3repE0EEENS1_30default_config_static_selectorELNS0_4arch9wavefront6targetE0EEEvT1_,"axG",@progbits,_ZN7rocprim17ROCPRIM_400000_NS6detail17trampoline_kernelINS0_14default_configENS1_20scan_config_selectorIdEEZZNS1_9scan_implILNS1_25lookback_scan_determinismE0ELb0ELb0ES3_PKdPddZZZN2at6native31launch_logcumsumexp_cuda_kernelERKNSB_10TensorBaseESF_lENKUlvE_clEvENKUlvE_clEvEUlddE_dEEDaPvRmT3_T4_T5_mT6_P12ihipStream_tbENKUlT_T0_E_clISt17integral_constantIbLb0EESW_EEDaSR_SS_EUlSR_E0_NS1_11comp_targetILNS1_3genE4ELNS1_11target_archE910ELNS1_3gpuE8ELNS1_3repE0EEENS1_30default_config_static_selectorELNS0_4arch9wavefront6targetE0EEEvT1_,comdat
.Lfunc_end21:
	.size	_ZN7rocprim17ROCPRIM_400000_NS6detail17trampoline_kernelINS0_14default_configENS1_20scan_config_selectorIdEEZZNS1_9scan_implILNS1_25lookback_scan_determinismE0ELb0ELb0ES3_PKdPddZZZN2at6native31launch_logcumsumexp_cuda_kernelERKNSB_10TensorBaseESF_lENKUlvE_clEvENKUlvE_clEvEUlddE_dEEDaPvRmT3_T4_T5_mT6_P12ihipStream_tbENKUlT_T0_E_clISt17integral_constantIbLb0EESW_EEDaSR_SS_EUlSR_E0_NS1_11comp_targetILNS1_3genE4ELNS1_11target_archE910ELNS1_3gpuE8ELNS1_3repE0EEENS1_30default_config_static_selectorELNS0_4arch9wavefront6targetE0EEEvT1_, .Lfunc_end21-_ZN7rocprim17ROCPRIM_400000_NS6detail17trampoline_kernelINS0_14default_configENS1_20scan_config_selectorIdEEZZNS1_9scan_implILNS1_25lookback_scan_determinismE0ELb0ELb0ES3_PKdPddZZZN2at6native31launch_logcumsumexp_cuda_kernelERKNSB_10TensorBaseESF_lENKUlvE_clEvENKUlvE_clEvEUlddE_dEEDaPvRmT3_T4_T5_mT6_P12ihipStream_tbENKUlT_T0_E_clISt17integral_constantIbLb0EESW_EEDaSR_SS_EUlSR_E0_NS1_11comp_targetILNS1_3genE4ELNS1_11target_archE910ELNS1_3gpuE8ELNS1_3repE0EEENS1_30default_config_static_selectorELNS0_4arch9wavefront6targetE0EEEvT1_
                                        ; -- End function
	.section	.AMDGPU.csdata,"",@progbits
; Kernel info:
; codeLenInByte = 0
; NumSgprs: 0
; NumVgprs: 0
; ScratchSize: 0
; MemoryBound: 0
; FloatMode: 240
; IeeeMode: 1
; LDSByteSize: 0 bytes/workgroup (compile time only)
; SGPRBlocks: 0
; VGPRBlocks: 0
; NumSGPRsForWavesPerEU: 1
; NumVGPRsForWavesPerEU: 1
; Occupancy: 16
; WaveLimiterHint : 0
; COMPUTE_PGM_RSRC2:SCRATCH_EN: 0
; COMPUTE_PGM_RSRC2:USER_SGPR: 15
; COMPUTE_PGM_RSRC2:TRAP_HANDLER: 0
; COMPUTE_PGM_RSRC2:TGID_X_EN: 1
; COMPUTE_PGM_RSRC2:TGID_Y_EN: 0
; COMPUTE_PGM_RSRC2:TGID_Z_EN: 0
; COMPUTE_PGM_RSRC2:TIDIG_COMP_CNT: 0
	.section	.text._ZN7rocprim17ROCPRIM_400000_NS6detail17trampoline_kernelINS0_14default_configENS1_20scan_config_selectorIdEEZZNS1_9scan_implILNS1_25lookback_scan_determinismE0ELb0ELb0ES3_PKdPddZZZN2at6native31launch_logcumsumexp_cuda_kernelERKNSB_10TensorBaseESF_lENKUlvE_clEvENKUlvE_clEvEUlddE_dEEDaPvRmT3_T4_T5_mT6_P12ihipStream_tbENKUlT_T0_E_clISt17integral_constantIbLb0EESW_EEDaSR_SS_EUlSR_E0_NS1_11comp_targetILNS1_3genE3ELNS1_11target_archE908ELNS1_3gpuE7ELNS1_3repE0EEENS1_30default_config_static_selectorELNS0_4arch9wavefront6targetE0EEEvT1_,"axG",@progbits,_ZN7rocprim17ROCPRIM_400000_NS6detail17trampoline_kernelINS0_14default_configENS1_20scan_config_selectorIdEEZZNS1_9scan_implILNS1_25lookback_scan_determinismE0ELb0ELb0ES3_PKdPddZZZN2at6native31launch_logcumsumexp_cuda_kernelERKNSB_10TensorBaseESF_lENKUlvE_clEvENKUlvE_clEvEUlddE_dEEDaPvRmT3_T4_T5_mT6_P12ihipStream_tbENKUlT_T0_E_clISt17integral_constantIbLb0EESW_EEDaSR_SS_EUlSR_E0_NS1_11comp_targetILNS1_3genE3ELNS1_11target_archE908ELNS1_3gpuE7ELNS1_3repE0EEENS1_30default_config_static_selectorELNS0_4arch9wavefront6targetE0EEEvT1_,comdat
	.globl	_ZN7rocprim17ROCPRIM_400000_NS6detail17trampoline_kernelINS0_14default_configENS1_20scan_config_selectorIdEEZZNS1_9scan_implILNS1_25lookback_scan_determinismE0ELb0ELb0ES3_PKdPddZZZN2at6native31launch_logcumsumexp_cuda_kernelERKNSB_10TensorBaseESF_lENKUlvE_clEvENKUlvE_clEvEUlddE_dEEDaPvRmT3_T4_T5_mT6_P12ihipStream_tbENKUlT_T0_E_clISt17integral_constantIbLb0EESW_EEDaSR_SS_EUlSR_E0_NS1_11comp_targetILNS1_3genE3ELNS1_11target_archE908ELNS1_3gpuE7ELNS1_3repE0EEENS1_30default_config_static_selectorELNS0_4arch9wavefront6targetE0EEEvT1_ ; -- Begin function _ZN7rocprim17ROCPRIM_400000_NS6detail17trampoline_kernelINS0_14default_configENS1_20scan_config_selectorIdEEZZNS1_9scan_implILNS1_25lookback_scan_determinismE0ELb0ELb0ES3_PKdPddZZZN2at6native31launch_logcumsumexp_cuda_kernelERKNSB_10TensorBaseESF_lENKUlvE_clEvENKUlvE_clEvEUlddE_dEEDaPvRmT3_T4_T5_mT6_P12ihipStream_tbENKUlT_T0_E_clISt17integral_constantIbLb0EESW_EEDaSR_SS_EUlSR_E0_NS1_11comp_targetILNS1_3genE3ELNS1_11target_archE908ELNS1_3gpuE7ELNS1_3repE0EEENS1_30default_config_static_selectorELNS0_4arch9wavefront6targetE0EEEvT1_
	.p2align	8
	.type	_ZN7rocprim17ROCPRIM_400000_NS6detail17trampoline_kernelINS0_14default_configENS1_20scan_config_selectorIdEEZZNS1_9scan_implILNS1_25lookback_scan_determinismE0ELb0ELb0ES3_PKdPddZZZN2at6native31launch_logcumsumexp_cuda_kernelERKNSB_10TensorBaseESF_lENKUlvE_clEvENKUlvE_clEvEUlddE_dEEDaPvRmT3_T4_T5_mT6_P12ihipStream_tbENKUlT_T0_E_clISt17integral_constantIbLb0EESW_EEDaSR_SS_EUlSR_E0_NS1_11comp_targetILNS1_3genE3ELNS1_11target_archE908ELNS1_3gpuE7ELNS1_3repE0EEENS1_30default_config_static_selectorELNS0_4arch9wavefront6targetE0EEEvT1_,@function
_ZN7rocprim17ROCPRIM_400000_NS6detail17trampoline_kernelINS0_14default_configENS1_20scan_config_selectorIdEEZZNS1_9scan_implILNS1_25lookback_scan_determinismE0ELb0ELb0ES3_PKdPddZZZN2at6native31launch_logcumsumexp_cuda_kernelERKNSB_10TensorBaseESF_lENKUlvE_clEvENKUlvE_clEvEUlddE_dEEDaPvRmT3_T4_T5_mT6_P12ihipStream_tbENKUlT_T0_E_clISt17integral_constantIbLb0EESW_EEDaSR_SS_EUlSR_E0_NS1_11comp_targetILNS1_3genE3ELNS1_11target_archE908ELNS1_3gpuE7ELNS1_3repE0EEENS1_30default_config_static_selectorELNS0_4arch9wavefront6targetE0EEEvT1_: ; @_ZN7rocprim17ROCPRIM_400000_NS6detail17trampoline_kernelINS0_14default_configENS1_20scan_config_selectorIdEEZZNS1_9scan_implILNS1_25lookback_scan_determinismE0ELb0ELb0ES3_PKdPddZZZN2at6native31launch_logcumsumexp_cuda_kernelERKNSB_10TensorBaseESF_lENKUlvE_clEvENKUlvE_clEvEUlddE_dEEDaPvRmT3_T4_T5_mT6_P12ihipStream_tbENKUlT_T0_E_clISt17integral_constantIbLb0EESW_EEDaSR_SS_EUlSR_E0_NS1_11comp_targetILNS1_3genE3ELNS1_11target_archE908ELNS1_3gpuE7ELNS1_3repE0EEENS1_30default_config_static_selectorELNS0_4arch9wavefront6targetE0EEEvT1_
; %bb.0:
	.section	.rodata,"a",@progbits
	.p2align	6, 0x0
	.amdhsa_kernel _ZN7rocprim17ROCPRIM_400000_NS6detail17trampoline_kernelINS0_14default_configENS1_20scan_config_selectorIdEEZZNS1_9scan_implILNS1_25lookback_scan_determinismE0ELb0ELb0ES3_PKdPddZZZN2at6native31launch_logcumsumexp_cuda_kernelERKNSB_10TensorBaseESF_lENKUlvE_clEvENKUlvE_clEvEUlddE_dEEDaPvRmT3_T4_T5_mT6_P12ihipStream_tbENKUlT_T0_E_clISt17integral_constantIbLb0EESW_EEDaSR_SS_EUlSR_E0_NS1_11comp_targetILNS1_3genE3ELNS1_11target_archE908ELNS1_3gpuE7ELNS1_3repE0EEENS1_30default_config_static_selectorELNS0_4arch9wavefront6targetE0EEEvT1_
		.amdhsa_group_segment_fixed_size 0
		.amdhsa_private_segment_fixed_size 0
		.amdhsa_kernarg_size 40
		.amdhsa_user_sgpr_count 15
		.amdhsa_user_sgpr_dispatch_ptr 0
		.amdhsa_user_sgpr_queue_ptr 0
		.amdhsa_user_sgpr_kernarg_segment_ptr 1
		.amdhsa_user_sgpr_dispatch_id 0
		.amdhsa_user_sgpr_private_segment_size 0
		.amdhsa_wavefront_size32 1
		.amdhsa_uses_dynamic_stack 0
		.amdhsa_enable_private_segment 0
		.amdhsa_system_sgpr_workgroup_id_x 1
		.amdhsa_system_sgpr_workgroup_id_y 0
		.amdhsa_system_sgpr_workgroup_id_z 0
		.amdhsa_system_sgpr_workgroup_info 0
		.amdhsa_system_vgpr_workitem_id 0
		.amdhsa_next_free_vgpr 1
		.amdhsa_next_free_sgpr 1
		.amdhsa_reserve_vcc 0
		.amdhsa_float_round_mode_32 0
		.amdhsa_float_round_mode_16_64 0
		.amdhsa_float_denorm_mode_32 3
		.amdhsa_float_denorm_mode_16_64 3
		.amdhsa_dx10_clamp 1
		.amdhsa_ieee_mode 1
		.amdhsa_fp16_overflow 0
		.amdhsa_workgroup_processor_mode 1
		.amdhsa_memory_ordered 1
		.amdhsa_forward_progress 0
		.amdhsa_shared_vgpr_count 0
		.amdhsa_exception_fp_ieee_invalid_op 0
		.amdhsa_exception_fp_denorm_src 0
		.amdhsa_exception_fp_ieee_div_zero 0
		.amdhsa_exception_fp_ieee_overflow 0
		.amdhsa_exception_fp_ieee_underflow 0
		.amdhsa_exception_fp_ieee_inexact 0
		.amdhsa_exception_int_div_zero 0
	.end_amdhsa_kernel
	.section	.text._ZN7rocprim17ROCPRIM_400000_NS6detail17trampoline_kernelINS0_14default_configENS1_20scan_config_selectorIdEEZZNS1_9scan_implILNS1_25lookback_scan_determinismE0ELb0ELb0ES3_PKdPddZZZN2at6native31launch_logcumsumexp_cuda_kernelERKNSB_10TensorBaseESF_lENKUlvE_clEvENKUlvE_clEvEUlddE_dEEDaPvRmT3_T4_T5_mT6_P12ihipStream_tbENKUlT_T0_E_clISt17integral_constantIbLb0EESW_EEDaSR_SS_EUlSR_E0_NS1_11comp_targetILNS1_3genE3ELNS1_11target_archE908ELNS1_3gpuE7ELNS1_3repE0EEENS1_30default_config_static_selectorELNS0_4arch9wavefront6targetE0EEEvT1_,"axG",@progbits,_ZN7rocprim17ROCPRIM_400000_NS6detail17trampoline_kernelINS0_14default_configENS1_20scan_config_selectorIdEEZZNS1_9scan_implILNS1_25lookback_scan_determinismE0ELb0ELb0ES3_PKdPddZZZN2at6native31launch_logcumsumexp_cuda_kernelERKNSB_10TensorBaseESF_lENKUlvE_clEvENKUlvE_clEvEUlddE_dEEDaPvRmT3_T4_T5_mT6_P12ihipStream_tbENKUlT_T0_E_clISt17integral_constantIbLb0EESW_EEDaSR_SS_EUlSR_E0_NS1_11comp_targetILNS1_3genE3ELNS1_11target_archE908ELNS1_3gpuE7ELNS1_3repE0EEENS1_30default_config_static_selectorELNS0_4arch9wavefront6targetE0EEEvT1_,comdat
.Lfunc_end22:
	.size	_ZN7rocprim17ROCPRIM_400000_NS6detail17trampoline_kernelINS0_14default_configENS1_20scan_config_selectorIdEEZZNS1_9scan_implILNS1_25lookback_scan_determinismE0ELb0ELb0ES3_PKdPddZZZN2at6native31launch_logcumsumexp_cuda_kernelERKNSB_10TensorBaseESF_lENKUlvE_clEvENKUlvE_clEvEUlddE_dEEDaPvRmT3_T4_T5_mT6_P12ihipStream_tbENKUlT_T0_E_clISt17integral_constantIbLb0EESW_EEDaSR_SS_EUlSR_E0_NS1_11comp_targetILNS1_3genE3ELNS1_11target_archE908ELNS1_3gpuE7ELNS1_3repE0EEENS1_30default_config_static_selectorELNS0_4arch9wavefront6targetE0EEEvT1_, .Lfunc_end22-_ZN7rocprim17ROCPRIM_400000_NS6detail17trampoline_kernelINS0_14default_configENS1_20scan_config_selectorIdEEZZNS1_9scan_implILNS1_25lookback_scan_determinismE0ELb0ELb0ES3_PKdPddZZZN2at6native31launch_logcumsumexp_cuda_kernelERKNSB_10TensorBaseESF_lENKUlvE_clEvENKUlvE_clEvEUlddE_dEEDaPvRmT3_T4_T5_mT6_P12ihipStream_tbENKUlT_T0_E_clISt17integral_constantIbLb0EESW_EEDaSR_SS_EUlSR_E0_NS1_11comp_targetILNS1_3genE3ELNS1_11target_archE908ELNS1_3gpuE7ELNS1_3repE0EEENS1_30default_config_static_selectorELNS0_4arch9wavefront6targetE0EEEvT1_
                                        ; -- End function
	.section	.AMDGPU.csdata,"",@progbits
; Kernel info:
; codeLenInByte = 0
; NumSgprs: 0
; NumVgprs: 0
; ScratchSize: 0
; MemoryBound: 0
; FloatMode: 240
; IeeeMode: 1
; LDSByteSize: 0 bytes/workgroup (compile time only)
; SGPRBlocks: 0
; VGPRBlocks: 0
; NumSGPRsForWavesPerEU: 1
; NumVGPRsForWavesPerEU: 1
; Occupancy: 16
; WaveLimiterHint : 0
; COMPUTE_PGM_RSRC2:SCRATCH_EN: 0
; COMPUTE_PGM_RSRC2:USER_SGPR: 15
; COMPUTE_PGM_RSRC2:TRAP_HANDLER: 0
; COMPUTE_PGM_RSRC2:TGID_X_EN: 1
; COMPUTE_PGM_RSRC2:TGID_Y_EN: 0
; COMPUTE_PGM_RSRC2:TGID_Z_EN: 0
; COMPUTE_PGM_RSRC2:TIDIG_COMP_CNT: 0
	.section	.text._ZN7rocprim17ROCPRIM_400000_NS6detail17trampoline_kernelINS0_14default_configENS1_20scan_config_selectorIdEEZZNS1_9scan_implILNS1_25lookback_scan_determinismE0ELb0ELb0ES3_PKdPddZZZN2at6native31launch_logcumsumexp_cuda_kernelERKNSB_10TensorBaseESF_lENKUlvE_clEvENKUlvE_clEvEUlddE_dEEDaPvRmT3_T4_T5_mT6_P12ihipStream_tbENKUlT_T0_E_clISt17integral_constantIbLb0EESW_EEDaSR_SS_EUlSR_E0_NS1_11comp_targetILNS1_3genE2ELNS1_11target_archE906ELNS1_3gpuE6ELNS1_3repE0EEENS1_30default_config_static_selectorELNS0_4arch9wavefront6targetE0EEEvT1_,"axG",@progbits,_ZN7rocprim17ROCPRIM_400000_NS6detail17trampoline_kernelINS0_14default_configENS1_20scan_config_selectorIdEEZZNS1_9scan_implILNS1_25lookback_scan_determinismE0ELb0ELb0ES3_PKdPddZZZN2at6native31launch_logcumsumexp_cuda_kernelERKNSB_10TensorBaseESF_lENKUlvE_clEvENKUlvE_clEvEUlddE_dEEDaPvRmT3_T4_T5_mT6_P12ihipStream_tbENKUlT_T0_E_clISt17integral_constantIbLb0EESW_EEDaSR_SS_EUlSR_E0_NS1_11comp_targetILNS1_3genE2ELNS1_11target_archE906ELNS1_3gpuE6ELNS1_3repE0EEENS1_30default_config_static_selectorELNS0_4arch9wavefront6targetE0EEEvT1_,comdat
	.globl	_ZN7rocprim17ROCPRIM_400000_NS6detail17trampoline_kernelINS0_14default_configENS1_20scan_config_selectorIdEEZZNS1_9scan_implILNS1_25lookback_scan_determinismE0ELb0ELb0ES3_PKdPddZZZN2at6native31launch_logcumsumexp_cuda_kernelERKNSB_10TensorBaseESF_lENKUlvE_clEvENKUlvE_clEvEUlddE_dEEDaPvRmT3_T4_T5_mT6_P12ihipStream_tbENKUlT_T0_E_clISt17integral_constantIbLb0EESW_EEDaSR_SS_EUlSR_E0_NS1_11comp_targetILNS1_3genE2ELNS1_11target_archE906ELNS1_3gpuE6ELNS1_3repE0EEENS1_30default_config_static_selectorELNS0_4arch9wavefront6targetE0EEEvT1_ ; -- Begin function _ZN7rocprim17ROCPRIM_400000_NS6detail17trampoline_kernelINS0_14default_configENS1_20scan_config_selectorIdEEZZNS1_9scan_implILNS1_25lookback_scan_determinismE0ELb0ELb0ES3_PKdPddZZZN2at6native31launch_logcumsumexp_cuda_kernelERKNSB_10TensorBaseESF_lENKUlvE_clEvENKUlvE_clEvEUlddE_dEEDaPvRmT3_T4_T5_mT6_P12ihipStream_tbENKUlT_T0_E_clISt17integral_constantIbLb0EESW_EEDaSR_SS_EUlSR_E0_NS1_11comp_targetILNS1_3genE2ELNS1_11target_archE906ELNS1_3gpuE6ELNS1_3repE0EEENS1_30default_config_static_selectorELNS0_4arch9wavefront6targetE0EEEvT1_
	.p2align	8
	.type	_ZN7rocprim17ROCPRIM_400000_NS6detail17trampoline_kernelINS0_14default_configENS1_20scan_config_selectorIdEEZZNS1_9scan_implILNS1_25lookback_scan_determinismE0ELb0ELb0ES3_PKdPddZZZN2at6native31launch_logcumsumexp_cuda_kernelERKNSB_10TensorBaseESF_lENKUlvE_clEvENKUlvE_clEvEUlddE_dEEDaPvRmT3_T4_T5_mT6_P12ihipStream_tbENKUlT_T0_E_clISt17integral_constantIbLb0EESW_EEDaSR_SS_EUlSR_E0_NS1_11comp_targetILNS1_3genE2ELNS1_11target_archE906ELNS1_3gpuE6ELNS1_3repE0EEENS1_30default_config_static_selectorELNS0_4arch9wavefront6targetE0EEEvT1_,@function
_ZN7rocprim17ROCPRIM_400000_NS6detail17trampoline_kernelINS0_14default_configENS1_20scan_config_selectorIdEEZZNS1_9scan_implILNS1_25lookback_scan_determinismE0ELb0ELb0ES3_PKdPddZZZN2at6native31launch_logcumsumexp_cuda_kernelERKNSB_10TensorBaseESF_lENKUlvE_clEvENKUlvE_clEvEUlddE_dEEDaPvRmT3_T4_T5_mT6_P12ihipStream_tbENKUlT_T0_E_clISt17integral_constantIbLb0EESW_EEDaSR_SS_EUlSR_E0_NS1_11comp_targetILNS1_3genE2ELNS1_11target_archE906ELNS1_3gpuE6ELNS1_3repE0EEENS1_30default_config_static_selectorELNS0_4arch9wavefront6targetE0EEEvT1_: ; @_ZN7rocprim17ROCPRIM_400000_NS6detail17trampoline_kernelINS0_14default_configENS1_20scan_config_selectorIdEEZZNS1_9scan_implILNS1_25lookback_scan_determinismE0ELb0ELb0ES3_PKdPddZZZN2at6native31launch_logcumsumexp_cuda_kernelERKNSB_10TensorBaseESF_lENKUlvE_clEvENKUlvE_clEvEUlddE_dEEDaPvRmT3_T4_T5_mT6_P12ihipStream_tbENKUlT_T0_E_clISt17integral_constantIbLb0EESW_EEDaSR_SS_EUlSR_E0_NS1_11comp_targetILNS1_3genE2ELNS1_11target_archE906ELNS1_3gpuE6ELNS1_3repE0EEENS1_30default_config_static_selectorELNS0_4arch9wavefront6targetE0EEEvT1_
; %bb.0:
	.section	.rodata,"a",@progbits
	.p2align	6, 0x0
	.amdhsa_kernel _ZN7rocprim17ROCPRIM_400000_NS6detail17trampoline_kernelINS0_14default_configENS1_20scan_config_selectorIdEEZZNS1_9scan_implILNS1_25lookback_scan_determinismE0ELb0ELb0ES3_PKdPddZZZN2at6native31launch_logcumsumexp_cuda_kernelERKNSB_10TensorBaseESF_lENKUlvE_clEvENKUlvE_clEvEUlddE_dEEDaPvRmT3_T4_T5_mT6_P12ihipStream_tbENKUlT_T0_E_clISt17integral_constantIbLb0EESW_EEDaSR_SS_EUlSR_E0_NS1_11comp_targetILNS1_3genE2ELNS1_11target_archE906ELNS1_3gpuE6ELNS1_3repE0EEENS1_30default_config_static_selectorELNS0_4arch9wavefront6targetE0EEEvT1_
		.amdhsa_group_segment_fixed_size 0
		.amdhsa_private_segment_fixed_size 0
		.amdhsa_kernarg_size 40
		.amdhsa_user_sgpr_count 15
		.amdhsa_user_sgpr_dispatch_ptr 0
		.amdhsa_user_sgpr_queue_ptr 0
		.amdhsa_user_sgpr_kernarg_segment_ptr 1
		.amdhsa_user_sgpr_dispatch_id 0
		.amdhsa_user_sgpr_private_segment_size 0
		.amdhsa_wavefront_size32 1
		.amdhsa_uses_dynamic_stack 0
		.amdhsa_enable_private_segment 0
		.amdhsa_system_sgpr_workgroup_id_x 1
		.amdhsa_system_sgpr_workgroup_id_y 0
		.amdhsa_system_sgpr_workgroup_id_z 0
		.amdhsa_system_sgpr_workgroup_info 0
		.amdhsa_system_vgpr_workitem_id 0
		.amdhsa_next_free_vgpr 1
		.amdhsa_next_free_sgpr 1
		.amdhsa_reserve_vcc 0
		.amdhsa_float_round_mode_32 0
		.amdhsa_float_round_mode_16_64 0
		.amdhsa_float_denorm_mode_32 3
		.amdhsa_float_denorm_mode_16_64 3
		.amdhsa_dx10_clamp 1
		.amdhsa_ieee_mode 1
		.amdhsa_fp16_overflow 0
		.amdhsa_workgroup_processor_mode 1
		.amdhsa_memory_ordered 1
		.amdhsa_forward_progress 0
		.amdhsa_shared_vgpr_count 0
		.amdhsa_exception_fp_ieee_invalid_op 0
		.amdhsa_exception_fp_denorm_src 0
		.amdhsa_exception_fp_ieee_div_zero 0
		.amdhsa_exception_fp_ieee_overflow 0
		.amdhsa_exception_fp_ieee_underflow 0
		.amdhsa_exception_fp_ieee_inexact 0
		.amdhsa_exception_int_div_zero 0
	.end_amdhsa_kernel
	.section	.text._ZN7rocprim17ROCPRIM_400000_NS6detail17trampoline_kernelINS0_14default_configENS1_20scan_config_selectorIdEEZZNS1_9scan_implILNS1_25lookback_scan_determinismE0ELb0ELb0ES3_PKdPddZZZN2at6native31launch_logcumsumexp_cuda_kernelERKNSB_10TensorBaseESF_lENKUlvE_clEvENKUlvE_clEvEUlddE_dEEDaPvRmT3_T4_T5_mT6_P12ihipStream_tbENKUlT_T0_E_clISt17integral_constantIbLb0EESW_EEDaSR_SS_EUlSR_E0_NS1_11comp_targetILNS1_3genE2ELNS1_11target_archE906ELNS1_3gpuE6ELNS1_3repE0EEENS1_30default_config_static_selectorELNS0_4arch9wavefront6targetE0EEEvT1_,"axG",@progbits,_ZN7rocprim17ROCPRIM_400000_NS6detail17trampoline_kernelINS0_14default_configENS1_20scan_config_selectorIdEEZZNS1_9scan_implILNS1_25lookback_scan_determinismE0ELb0ELb0ES3_PKdPddZZZN2at6native31launch_logcumsumexp_cuda_kernelERKNSB_10TensorBaseESF_lENKUlvE_clEvENKUlvE_clEvEUlddE_dEEDaPvRmT3_T4_T5_mT6_P12ihipStream_tbENKUlT_T0_E_clISt17integral_constantIbLb0EESW_EEDaSR_SS_EUlSR_E0_NS1_11comp_targetILNS1_3genE2ELNS1_11target_archE906ELNS1_3gpuE6ELNS1_3repE0EEENS1_30default_config_static_selectorELNS0_4arch9wavefront6targetE0EEEvT1_,comdat
.Lfunc_end23:
	.size	_ZN7rocprim17ROCPRIM_400000_NS6detail17trampoline_kernelINS0_14default_configENS1_20scan_config_selectorIdEEZZNS1_9scan_implILNS1_25lookback_scan_determinismE0ELb0ELb0ES3_PKdPddZZZN2at6native31launch_logcumsumexp_cuda_kernelERKNSB_10TensorBaseESF_lENKUlvE_clEvENKUlvE_clEvEUlddE_dEEDaPvRmT3_T4_T5_mT6_P12ihipStream_tbENKUlT_T0_E_clISt17integral_constantIbLb0EESW_EEDaSR_SS_EUlSR_E0_NS1_11comp_targetILNS1_3genE2ELNS1_11target_archE906ELNS1_3gpuE6ELNS1_3repE0EEENS1_30default_config_static_selectorELNS0_4arch9wavefront6targetE0EEEvT1_, .Lfunc_end23-_ZN7rocprim17ROCPRIM_400000_NS6detail17trampoline_kernelINS0_14default_configENS1_20scan_config_selectorIdEEZZNS1_9scan_implILNS1_25lookback_scan_determinismE0ELb0ELb0ES3_PKdPddZZZN2at6native31launch_logcumsumexp_cuda_kernelERKNSB_10TensorBaseESF_lENKUlvE_clEvENKUlvE_clEvEUlddE_dEEDaPvRmT3_T4_T5_mT6_P12ihipStream_tbENKUlT_T0_E_clISt17integral_constantIbLb0EESW_EEDaSR_SS_EUlSR_E0_NS1_11comp_targetILNS1_3genE2ELNS1_11target_archE906ELNS1_3gpuE6ELNS1_3repE0EEENS1_30default_config_static_selectorELNS0_4arch9wavefront6targetE0EEEvT1_
                                        ; -- End function
	.section	.AMDGPU.csdata,"",@progbits
; Kernel info:
; codeLenInByte = 0
; NumSgprs: 0
; NumVgprs: 0
; ScratchSize: 0
; MemoryBound: 0
; FloatMode: 240
; IeeeMode: 1
; LDSByteSize: 0 bytes/workgroup (compile time only)
; SGPRBlocks: 0
; VGPRBlocks: 0
; NumSGPRsForWavesPerEU: 1
; NumVGPRsForWavesPerEU: 1
; Occupancy: 16
; WaveLimiterHint : 0
; COMPUTE_PGM_RSRC2:SCRATCH_EN: 0
; COMPUTE_PGM_RSRC2:USER_SGPR: 15
; COMPUTE_PGM_RSRC2:TRAP_HANDLER: 0
; COMPUTE_PGM_RSRC2:TGID_X_EN: 1
; COMPUTE_PGM_RSRC2:TGID_Y_EN: 0
; COMPUTE_PGM_RSRC2:TGID_Z_EN: 0
; COMPUTE_PGM_RSRC2:TIDIG_COMP_CNT: 0
	.section	.text._ZN7rocprim17ROCPRIM_400000_NS6detail17trampoline_kernelINS0_14default_configENS1_20scan_config_selectorIdEEZZNS1_9scan_implILNS1_25lookback_scan_determinismE0ELb0ELb0ES3_PKdPddZZZN2at6native31launch_logcumsumexp_cuda_kernelERKNSB_10TensorBaseESF_lENKUlvE_clEvENKUlvE_clEvEUlddE_dEEDaPvRmT3_T4_T5_mT6_P12ihipStream_tbENKUlT_T0_E_clISt17integral_constantIbLb0EESW_EEDaSR_SS_EUlSR_E0_NS1_11comp_targetILNS1_3genE10ELNS1_11target_archE1201ELNS1_3gpuE5ELNS1_3repE0EEENS1_30default_config_static_selectorELNS0_4arch9wavefront6targetE0EEEvT1_,"axG",@progbits,_ZN7rocprim17ROCPRIM_400000_NS6detail17trampoline_kernelINS0_14default_configENS1_20scan_config_selectorIdEEZZNS1_9scan_implILNS1_25lookback_scan_determinismE0ELb0ELb0ES3_PKdPddZZZN2at6native31launch_logcumsumexp_cuda_kernelERKNSB_10TensorBaseESF_lENKUlvE_clEvENKUlvE_clEvEUlddE_dEEDaPvRmT3_T4_T5_mT6_P12ihipStream_tbENKUlT_T0_E_clISt17integral_constantIbLb0EESW_EEDaSR_SS_EUlSR_E0_NS1_11comp_targetILNS1_3genE10ELNS1_11target_archE1201ELNS1_3gpuE5ELNS1_3repE0EEENS1_30default_config_static_selectorELNS0_4arch9wavefront6targetE0EEEvT1_,comdat
	.globl	_ZN7rocprim17ROCPRIM_400000_NS6detail17trampoline_kernelINS0_14default_configENS1_20scan_config_selectorIdEEZZNS1_9scan_implILNS1_25lookback_scan_determinismE0ELb0ELb0ES3_PKdPddZZZN2at6native31launch_logcumsumexp_cuda_kernelERKNSB_10TensorBaseESF_lENKUlvE_clEvENKUlvE_clEvEUlddE_dEEDaPvRmT3_T4_T5_mT6_P12ihipStream_tbENKUlT_T0_E_clISt17integral_constantIbLb0EESW_EEDaSR_SS_EUlSR_E0_NS1_11comp_targetILNS1_3genE10ELNS1_11target_archE1201ELNS1_3gpuE5ELNS1_3repE0EEENS1_30default_config_static_selectorELNS0_4arch9wavefront6targetE0EEEvT1_ ; -- Begin function _ZN7rocprim17ROCPRIM_400000_NS6detail17trampoline_kernelINS0_14default_configENS1_20scan_config_selectorIdEEZZNS1_9scan_implILNS1_25lookback_scan_determinismE0ELb0ELb0ES3_PKdPddZZZN2at6native31launch_logcumsumexp_cuda_kernelERKNSB_10TensorBaseESF_lENKUlvE_clEvENKUlvE_clEvEUlddE_dEEDaPvRmT3_T4_T5_mT6_P12ihipStream_tbENKUlT_T0_E_clISt17integral_constantIbLb0EESW_EEDaSR_SS_EUlSR_E0_NS1_11comp_targetILNS1_3genE10ELNS1_11target_archE1201ELNS1_3gpuE5ELNS1_3repE0EEENS1_30default_config_static_selectorELNS0_4arch9wavefront6targetE0EEEvT1_
	.p2align	8
	.type	_ZN7rocprim17ROCPRIM_400000_NS6detail17trampoline_kernelINS0_14default_configENS1_20scan_config_selectorIdEEZZNS1_9scan_implILNS1_25lookback_scan_determinismE0ELb0ELb0ES3_PKdPddZZZN2at6native31launch_logcumsumexp_cuda_kernelERKNSB_10TensorBaseESF_lENKUlvE_clEvENKUlvE_clEvEUlddE_dEEDaPvRmT3_T4_T5_mT6_P12ihipStream_tbENKUlT_T0_E_clISt17integral_constantIbLb0EESW_EEDaSR_SS_EUlSR_E0_NS1_11comp_targetILNS1_3genE10ELNS1_11target_archE1201ELNS1_3gpuE5ELNS1_3repE0EEENS1_30default_config_static_selectorELNS0_4arch9wavefront6targetE0EEEvT1_,@function
_ZN7rocprim17ROCPRIM_400000_NS6detail17trampoline_kernelINS0_14default_configENS1_20scan_config_selectorIdEEZZNS1_9scan_implILNS1_25lookback_scan_determinismE0ELb0ELb0ES3_PKdPddZZZN2at6native31launch_logcumsumexp_cuda_kernelERKNSB_10TensorBaseESF_lENKUlvE_clEvENKUlvE_clEvEUlddE_dEEDaPvRmT3_T4_T5_mT6_P12ihipStream_tbENKUlT_T0_E_clISt17integral_constantIbLb0EESW_EEDaSR_SS_EUlSR_E0_NS1_11comp_targetILNS1_3genE10ELNS1_11target_archE1201ELNS1_3gpuE5ELNS1_3repE0EEENS1_30default_config_static_selectorELNS0_4arch9wavefront6targetE0EEEvT1_: ; @_ZN7rocprim17ROCPRIM_400000_NS6detail17trampoline_kernelINS0_14default_configENS1_20scan_config_selectorIdEEZZNS1_9scan_implILNS1_25lookback_scan_determinismE0ELb0ELb0ES3_PKdPddZZZN2at6native31launch_logcumsumexp_cuda_kernelERKNSB_10TensorBaseESF_lENKUlvE_clEvENKUlvE_clEvEUlddE_dEEDaPvRmT3_T4_T5_mT6_P12ihipStream_tbENKUlT_T0_E_clISt17integral_constantIbLb0EESW_EEDaSR_SS_EUlSR_E0_NS1_11comp_targetILNS1_3genE10ELNS1_11target_archE1201ELNS1_3gpuE5ELNS1_3repE0EEENS1_30default_config_static_selectorELNS0_4arch9wavefront6targetE0EEEvT1_
; %bb.0:
	.section	.rodata,"a",@progbits
	.p2align	6, 0x0
	.amdhsa_kernel _ZN7rocprim17ROCPRIM_400000_NS6detail17trampoline_kernelINS0_14default_configENS1_20scan_config_selectorIdEEZZNS1_9scan_implILNS1_25lookback_scan_determinismE0ELb0ELb0ES3_PKdPddZZZN2at6native31launch_logcumsumexp_cuda_kernelERKNSB_10TensorBaseESF_lENKUlvE_clEvENKUlvE_clEvEUlddE_dEEDaPvRmT3_T4_T5_mT6_P12ihipStream_tbENKUlT_T0_E_clISt17integral_constantIbLb0EESW_EEDaSR_SS_EUlSR_E0_NS1_11comp_targetILNS1_3genE10ELNS1_11target_archE1201ELNS1_3gpuE5ELNS1_3repE0EEENS1_30default_config_static_selectorELNS0_4arch9wavefront6targetE0EEEvT1_
		.amdhsa_group_segment_fixed_size 0
		.amdhsa_private_segment_fixed_size 0
		.amdhsa_kernarg_size 40
		.amdhsa_user_sgpr_count 15
		.amdhsa_user_sgpr_dispatch_ptr 0
		.amdhsa_user_sgpr_queue_ptr 0
		.amdhsa_user_sgpr_kernarg_segment_ptr 1
		.amdhsa_user_sgpr_dispatch_id 0
		.amdhsa_user_sgpr_private_segment_size 0
		.amdhsa_wavefront_size32 1
		.amdhsa_uses_dynamic_stack 0
		.amdhsa_enable_private_segment 0
		.amdhsa_system_sgpr_workgroup_id_x 1
		.amdhsa_system_sgpr_workgroup_id_y 0
		.amdhsa_system_sgpr_workgroup_id_z 0
		.amdhsa_system_sgpr_workgroup_info 0
		.amdhsa_system_vgpr_workitem_id 0
		.amdhsa_next_free_vgpr 1
		.amdhsa_next_free_sgpr 1
		.amdhsa_reserve_vcc 0
		.amdhsa_float_round_mode_32 0
		.amdhsa_float_round_mode_16_64 0
		.amdhsa_float_denorm_mode_32 3
		.amdhsa_float_denorm_mode_16_64 3
		.amdhsa_dx10_clamp 1
		.amdhsa_ieee_mode 1
		.amdhsa_fp16_overflow 0
		.amdhsa_workgroup_processor_mode 1
		.amdhsa_memory_ordered 1
		.amdhsa_forward_progress 0
		.amdhsa_shared_vgpr_count 0
		.amdhsa_exception_fp_ieee_invalid_op 0
		.amdhsa_exception_fp_denorm_src 0
		.amdhsa_exception_fp_ieee_div_zero 0
		.amdhsa_exception_fp_ieee_overflow 0
		.amdhsa_exception_fp_ieee_underflow 0
		.amdhsa_exception_fp_ieee_inexact 0
		.amdhsa_exception_int_div_zero 0
	.end_amdhsa_kernel
	.section	.text._ZN7rocprim17ROCPRIM_400000_NS6detail17trampoline_kernelINS0_14default_configENS1_20scan_config_selectorIdEEZZNS1_9scan_implILNS1_25lookback_scan_determinismE0ELb0ELb0ES3_PKdPddZZZN2at6native31launch_logcumsumexp_cuda_kernelERKNSB_10TensorBaseESF_lENKUlvE_clEvENKUlvE_clEvEUlddE_dEEDaPvRmT3_T4_T5_mT6_P12ihipStream_tbENKUlT_T0_E_clISt17integral_constantIbLb0EESW_EEDaSR_SS_EUlSR_E0_NS1_11comp_targetILNS1_3genE10ELNS1_11target_archE1201ELNS1_3gpuE5ELNS1_3repE0EEENS1_30default_config_static_selectorELNS0_4arch9wavefront6targetE0EEEvT1_,"axG",@progbits,_ZN7rocprim17ROCPRIM_400000_NS6detail17trampoline_kernelINS0_14default_configENS1_20scan_config_selectorIdEEZZNS1_9scan_implILNS1_25lookback_scan_determinismE0ELb0ELb0ES3_PKdPddZZZN2at6native31launch_logcumsumexp_cuda_kernelERKNSB_10TensorBaseESF_lENKUlvE_clEvENKUlvE_clEvEUlddE_dEEDaPvRmT3_T4_T5_mT6_P12ihipStream_tbENKUlT_T0_E_clISt17integral_constantIbLb0EESW_EEDaSR_SS_EUlSR_E0_NS1_11comp_targetILNS1_3genE10ELNS1_11target_archE1201ELNS1_3gpuE5ELNS1_3repE0EEENS1_30default_config_static_selectorELNS0_4arch9wavefront6targetE0EEEvT1_,comdat
.Lfunc_end24:
	.size	_ZN7rocprim17ROCPRIM_400000_NS6detail17trampoline_kernelINS0_14default_configENS1_20scan_config_selectorIdEEZZNS1_9scan_implILNS1_25lookback_scan_determinismE0ELb0ELb0ES3_PKdPddZZZN2at6native31launch_logcumsumexp_cuda_kernelERKNSB_10TensorBaseESF_lENKUlvE_clEvENKUlvE_clEvEUlddE_dEEDaPvRmT3_T4_T5_mT6_P12ihipStream_tbENKUlT_T0_E_clISt17integral_constantIbLb0EESW_EEDaSR_SS_EUlSR_E0_NS1_11comp_targetILNS1_3genE10ELNS1_11target_archE1201ELNS1_3gpuE5ELNS1_3repE0EEENS1_30default_config_static_selectorELNS0_4arch9wavefront6targetE0EEEvT1_, .Lfunc_end24-_ZN7rocprim17ROCPRIM_400000_NS6detail17trampoline_kernelINS0_14default_configENS1_20scan_config_selectorIdEEZZNS1_9scan_implILNS1_25lookback_scan_determinismE0ELb0ELb0ES3_PKdPddZZZN2at6native31launch_logcumsumexp_cuda_kernelERKNSB_10TensorBaseESF_lENKUlvE_clEvENKUlvE_clEvEUlddE_dEEDaPvRmT3_T4_T5_mT6_P12ihipStream_tbENKUlT_T0_E_clISt17integral_constantIbLb0EESW_EEDaSR_SS_EUlSR_E0_NS1_11comp_targetILNS1_3genE10ELNS1_11target_archE1201ELNS1_3gpuE5ELNS1_3repE0EEENS1_30default_config_static_selectorELNS0_4arch9wavefront6targetE0EEEvT1_
                                        ; -- End function
	.section	.AMDGPU.csdata,"",@progbits
; Kernel info:
; codeLenInByte = 0
; NumSgprs: 0
; NumVgprs: 0
; ScratchSize: 0
; MemoryBound: 0
; FloatMode: 240
; IeeeMode: 1
; LDSByteSize: 0 bytes/workgroup (compile time only)
; SGPRBlocks: 0
; VGPRBlocks: 0
; NumSGPRsForWavesPerEU: 1
; NumVGPRsForWavesPerEU: 1
; Occupancy: 16
; WaveLimiterHint : 0
; COMPUTE_PGM_RSRC2:SCRATCH_EN: 0
; COMPUTE_PGM_RSRC2:USER_SGPR: 15
; COMPUTE_PGM_RSRC2:TRAP_HANDLER: 0
; COMPUTE_PGM_RSRC2:TGID_X_EN: 1
; COMPUTE_PGM_RSRC2:TGID_Y_EN: 0
; COMPUTE_PGM_RSRC2:TGID_Z_EN: 0
; COMPUTE_PGM_RSRC2:TIDIG_COMP_CNT: 0
	.section	.text._ZN7rocprim17ROCPRIM_400000_NS6detail17trampoline_kernelINS0_14default_configENS1_20scan_config_selectorIdEEZZNS1_9scan_implILNS1_25lookback_scan_determinismE0ELb0ELb0ES3_PKdPddZZZN2at6native31launch_logcumsumexp_cuda_kernelERKNSB_10TensorBaseESF_lENKUlvE_clEvENKUlvE_clEvEUlddE_dEEDaPvRmT3_T4_T5_mT6_P12ihipStream_tbENKUlT_T0_E_clISt17integral_constantIbLb0EESW_EEDaSR_SS_EUlSR_E0_NS1_11comp_targetILNS1_3genE10ELNS1_11target_archE1200ELNS1_3gpuE4ELNS1_3repE0EEENS1_30default_config_static_selectorELNS0_4arch9wavefront6targetE0EEEvT1_,"axG",@progbits,_ZN7rocprim17ROCPRIM_400000_NS6detail17trampoline_kernelINS0_14default_configENS1_20scan_config_selectorIdEEZZNS1_9scan_implILNS1_25lookback_scan_determinismE0ELb0ELb0ES3_PKdPddZZZN2at6native31launch_logcumsumexp_cuda_kernelERKNSB_10TensorBaseESF_lENKUlvE_clEvENKUlvE_clEvEUlddE_dEEDaPvRmT3_T4_T5_mT6_P12ihipStream_tbENKUlT_T0_E_clISt17integral_constantIbLb0EESW_EEDaSR_SS_EUlSR_E0_NS1_11comp_targetILNS1_3genE10ELNS1_11target_archE1200ELNS1_3gpuE4ELNS1_3repE0EEENS1_30default_config_static_selectorELNS0_4arch9wavefront6targetE0EEEvT1_,comdat
	.globl	_ZN7rocprim17ROCPRIM_400000_NS6detail17trampoline_kernelINS0_14default_configENS1_20scan_config_selectorIdEEZZNS1_9scan_implILNS1_25lookback_scan_determinismE0ELb0ELb0ES3_PKdPddZZZN2at6native31launch_logcumsumexp_cuda_kernelERKNSB_10TensorBaseESF_lENKUlvE_clEvENKUlvE_clEvEUlddE_dEEDaPvRmT3_T4_T5_mT6_P12ihipStream_tbENKUlT_T0_E_clISt17integral_constantIbLb0EESW_EEDaSR_SS_EUlSR_E0_NS1_11comp_targetILNS1_3genE10ELNS1_11target_archE1200ELNS1_3gpuE4ELNS1_3repE0EEENS1_30default_config_static_selectorELNS0_4arch9wavefront6targetE0EEEvT1_ ; -- Begin function _ZN7rocprim17ROCPRIM_400000_NS6detail17trampoline_kernelINS0_14default_configENS1_20scan_config_selectorIdEEZZNS1_9scan_implILNS1_25lookback_scan_determinismE0ELb0ELb0ES3_PKdPddZZZN2at6native31launch_logcumsumexp_cuda_kernelERKNSB_10TensorBaseESF_lENKUlvE_clEvENKUlvE_clEvEUlddE_dEEDaPvRmT3_T4_T5_mT6_P12ihipStream_tbENKUlT_T0_E_clISt17integral_constantIbLb0EESW_EEDaSR_SS_EUlSR_E0_NS1_11comp_targetILNS1_3genE10ELNS1_11target_archE1200ELNS1_3gpuE4ELNS1_3repE0EEENS1_30default_config_static_selectorELNS0_4arch9wavefront6targetE0EEEvT1_
	.p2align	8
	.type	_ZN7rocprim17ROCPRIM_400000_NS6detail17trampoline_kernelINS0_14default_configENS1_20scan_config_selectorIdEEZZNS1_9scan_implILNS1_25lookback_scan_determinismE0ELb0ELb0ES3_PKdPddZZZN2at6native31launch_logcumsumexp_cuda_kernelERKNSB_10TensorBaseESF_lENKUlvE_clEvENKUlvE_clEvEUlddE_dEEDaPvRmT3_T4_T5_mT6_P12ihipStream_tbENKUlT_T0_E_clISt17integral_constantIbLb0EESW_EEDaSR_SS_EUlSR_E0_NS1_11comp_targetILNS1_3genE10ELNS1_11target_archE1200ELNS1_3gpuE4ELNS1_3repE0EEENS1_30default_config_static_selectorELNS0_4arch9wavefront6targetE0EEEvT1_,@function
_ZN7rocprim17ROCPRIM_400000_NS6detail17trampoline_kernelINS0_14default_configENS1_20scan_config_selectorIdEEZZNS1_9scan_implILNS1_25lookback_scan_determinismE0ELb0ELb0ES3_PKdPddZZZN2at6native31launch_logcumsumexp_cuda_kernelERKNSB_10TensorBaseESF_lENKUlvE_clEvENKUlvE_clEvEUlddE_dEEDaPvRmT3_T4_T5_mT6_P12ihipStream_tbENKUlT_T0_E_clISt17integral_constantIbLb0EESW_EEDaSR_SS_EUlSR_E0_NS1_11comp_targetILNS1_3genE10ELNS1_11target_archE1200ELNS1_3gpuE4ELNS1_3repE0EEENS1_30default_config_static_selectorELNS0_4arch9wavefront6targetE0EEEvT1_: ; @_ZN7rocprim17ROCPRIM_400000_NS6detail17trampoline_kernelINS0_14default_configENS1_20scan_config_selectorIdEEZZNS1_9scan_implILNS1_25lookback_scan_determinismE0ELb0ELb0ES3_PKdPddZZZN2at6native31launch_logcumsumexp_cuda_kernelERKNSB_10TensorBaseESF_lENKUlvE_clEvENKUlvE_clEvEUlddE_dEEDaPvRmT3_T4_T5_mT6_P12ihipStream_tbENKUlT_T0_E_clISt17integral_constantIbLb0EESW_EEDaSR_SS_EUlSR_E0_NS1_11comp_targetILNS1_3genE10ELNS1_11target_archE1200ELNS1_3gpuE4ELNS1_3repE0EEENS1_30default_config_static_selectorELNS0_4arch9wavefront6targetE0EEEvT1_
; %bb.0:
	.section	.rodata,"a",@progbits
	.p2align	6, 0x0
	.amdhsa_kernel _ZN7rocprim17ROCPRIM_400000_NS6detail17trampoline_kernelINS0_14default_configENS1_20scan_config_selectorIdEEZZNS1_9scan_implILNS1_25lookback_scan_determinismE0ELb0ELb0ES3_PKdPddZZZN2at6native31launch_logcumsumexp_cuda_kernelERKNSB_10TensorBaseESF_lENKUlvE_clEvENKUlvE_clEvEUlddE_dEEDaPvRmT3_T4_T5_mT6_P12ihipStream_tbENKUlT_T0_E_clISt17integral_constantIbLb0EESW_EEDaSR_SS_EUlSR_E0_NS1_11comp_targetILNS1_3genE10ELNS1_11target_archE1200ELNS1_3gpuE4ELNS1_3repE0EEENS1_30default_config_static_selectorELNS0_4arch9wavefront6targetE0EEEvT1_
		.amdhsa_group_segment_fixed_size 0
		.amdhsa_private_segment_fixed_size 0
		.amdhsa_kernarg_size 40
		.amdhsa_user_sgpr_count 15
		.amdhsa_user_sgpr_dispatch_ptr 0
		.amdhsa_user_sgpr_queue_ptr 0
		.amdhsa_user_sgpr_kernarg_segment_ptr 1
		.amdhsa_user_sgpr_dispatch_id 0
		.amdhsa_user_sgpr_private_segment_size 0
		.amdhsa_wavefront_size32 1
		.amdhsa_uses_dynamic_stack 0
		.amdhsa_enable_private_segment 0
		.amdhsa_system_sgpr_workgroup_id_x 1
		.amdhsa_system_sgpr_workgroup_id_y 0
		.amdhsa_system_sgpr_workgroup_id_z 0
		.amdhsa_system_sgpr_workgroup_info 0
		.amdhsa_system_vgpr_workitem_id 0
		.amdhsa_next_free_vgpr 1
		.amdhsa_next_free_sgpr 1
		.amdhsa_reserve_vcc 0
		.amdhsa_float_round_mode_32 0
		.amdhsa_float_round_mode_16_64 0
		.amdhsa_float_denorm_mode_32 3
		.amdhsa_float_denorm_mode_16_64 3
		.amdhsa_dx10_clamp 1
		.amdhsa_ieee_mode 1
		.amdhsa_fp16_overflow 0
		.amdhsa_workgroup_processor_mode 1
		.amdhsa_memory_ordered 1
		.amdhsa_forward_progress 0
		.amdhsa_shared_vgpr_count 0
		.amdhsa_exception_fp_ieee_invalid_op 0
		.amdhsa_exception_fp_denorm_src 0
		.amdhsa_exception_fp_ieee_div_zero 0
		.amdhsa_exception_fp_ieee_overflow 0
		.amdhsa_exception_fp_ieee_underflow 0
		.amdhsa_exception_fp_ieee_inexact 0
		.amdhsa_exception_int_div_zero 0
	.end_amdhsa_kernel
	.section	.text._ZN7rocprim17ROCPRIM_400000_NS6detail17trampoline_kernelINS0_14default_configENS1_20scan_config_selectorIdEEZZNS1_9scan_implILNS1_25lookback_scan_determinismE0ELb0ELb0ES3_PKdPddZZZN2at6native31launch_logcumsumexp_cuda_kernelERKNSB_10TensorBaseESF_lENKUlvE_clEvENKUlvE_clEvEUlddE_dEEDaPvRmT3_T4_T5_mT6_P12ihipStream_tbENKUlT_T0_E_clISt17integral_constantIbLb0EESW_EEDaSR_SS_EUlSR_E0_NS1_11comp_targetILNS1_3genE10ELNS1_11target_archE1200ELNS1_3gpuE4ELNS1_3repE0EEENS1_30default_config_static_selectorELNS0_4arch9wavefront6targetE0EEEvT1_,"axG",@progbits,_ZN7rocprim17ROCPRIM_400000_NS6detail17trampoline_kernelINS0_14default_configENS1_20scan_config_selectorIdEEZZNS1_9scan_implILNS1_25lookback_scan_determinismE0ELb0ELb0ES3_PKdPddZZZN2at6native31launch_logcumsumexp_cuda_kernelERKNSB_10TensorBaseESF_lENKUlvE_clEvENKUlvE_clEvEUlddE_dEEDaPvRmT3_T4_T5_mT6_P12ihipStream_tbENKUlT_T0_E_clISt17integral_constantIbLb0EESW_EEDaSR_SS_EUlSR_E0_NS1_11comp_targetILNS1_3genE10ELNS1_11target_archE1200ELNS1_3gpuE4ELNS1_3repE0EEENS1_30default_config_static_selectorELNS0_4arch9wavefront6targetE0EEEvT1_,comdat
.Lfunc_end25:
	.size	_ZN7rocprim17ROCPRIM_400000_NS6detail17trampoline_kernelINS0_14default_configENS1_20scan_config_selectorIdEEZZNS1_9scan_implILNS1_25lookback_scan_determinismE0ELb0ELb0ES3_PKdPddZZZN2at6native31launch_logcumsumexp_cuda_kernelERKNSB_10TensorBaseESF_lENKUlvE_clEvENKUlvE_clEvEUlddE_dEEDaPvRmT3_T4_T5_mT6_P12ihipStream_tbENKUlT_T0_E_clISt17integral_constantIbLb0EESW_EEDaSR_SS_EUlSR_E0_NS1_11comp_targetILNS1_3genE10ELNS1_11target_archE1200ELNS1_3gpuE4ELNS1_3repE0EEENS1_30default_config_static_selectorELNS0_4arch9wavefront6targetE0EEEvT1_, .Lfunc_end25-_ZN7rocprim17ROCPRIM_400000_NS6detail17trampoline_kernelINS0_14default_configENS1_20scan_config_selectorIdEEZZNS1_9scan_implILNS1_25lookback_scan_determinismE0ELb0ELb0ES3_PKdPddZZZN2at6native31launch_logcumsumexp_cuda_kernelERKNSB_10TensorBaseESF_lENKUlvE_clEvENKUlvE_clEvEUlddE_dEEDaPvRmT3_T4_T5_mT6_P12ihipStream_tbENKUlT_T0_E_clISt17integral_constantIbLb0EESW_EEDaSR_SS_EUlSR_E0_NS1_11comp_targetILNS1_3genE10ELNS1_11target_archE1200ELNS1_3gpuE4ELNS1_3repE0EEENS1_30default_config_static_selectorELNS0_4arch9wavefront6targetE0EEEvT1_
                                        ; -- End function
	.section	.AMDGPU.csdata,"",@progbits
; Kernel info:
; codeLenInByte = 0
; NumSgprs: 0
; NumVgprs: 0
; ScratchSize: 0
; MemoryBound: 0
; FloatMode: 240
; IeeeMode: 1
; LDSByteSize: 0 bytes/workgroup (compile time only)
; SGPRBlocks: 0
; VGPRBlocks: 0
; NumSGPRsForWavesPerEU: 1
; NumVGPRsForWavesPerEU: 1
; Occupancy: 16
; WaveLimiterHint : 0
; COMPUTE_PGM_RSRC2:SCRATCH_EN: 0
; COMPUTE_PGM_RSRC2:USER_SGPR: 15
; COMPUTE_PGM_RSRC2:TRAP_HANDLER: 0
; COMPUTE_PGM_RSRC2:TGID_X_EN: 1
; COMPUTE_PGM_RSRC2:TGID_Y_EN: 0
; COMPUTE_PGM_RSRC2:TGID_Z_EN: 0
; COMPUTE_PGM_RSRC2:TIDIG_COMP_CNT: 0
	.section	.text._ZN7rocprim17ROCPRIM_400000_NS6detail17trampoline_kernelINS0_14default_configENS1_20scan_config_selectorIdEEZZNS1_9scan_implILNS1_25lookback_scan_determinismE0ELb0ELb0ES3_PKdPddZZZN2at6native31launch_logcumsumexp_cuda_kernelERKNSB_10TensorBaseESF_lENKUlvE_clEvENKUlvE_clEvEUlddE_dEEDaPvRmT3_T4_T5_mT6_P12ihipStream_tbENKUlT_T0_E_clISt17integral_constantIbLb0EESW_EEDaSR_SS_EUlSR_E0_NS1_11comp_targetILNS1_3genE9ELNS1_11target_archE1100ELNS1_3gpuE3ELNS1_3repE0EEENS1_30default_config_static_selectorELNS0_4arch9wavefront6targetE0EEEvT1_,"axG",@progbits,_ZN7rocprim17ROCPRIM_400000_NS6detail17trampoline_kernelINS0_14default_configENS1_20scan_config_selectorIdEEZZNS1_9scan_implILNS1_25lookback_scan_determinismE0ELb0ELb0ES3_PKdPddZZZN2at6native31launch_logcumsumexp_cuda_kernelERKNSB_10TensorBaseESF_lENKUlvE_clEvENKUlvE_clEvEUlddE_dEEDaPvRmT3_T4_T5_mT6_P12ihipStream_tbENKUlT_T0_E_clISt17integral_constantIbLb0EESW_EEDaSR_SS_EUlSR_E0_NS1_11comp_targetILNS1_3genE9ELNS1_11target_archE1100ELNS1_3gpuE3ELNS1_3repE0EEENS1_30default_config_static_selectorELNS0_4arch9wavefront6targetE0EEEvT1_,comdat
	.globl	_ZN7rocprim17ROCPRIM_400000_NS6detail17trampoline_kernelINS0_14default_configENS1_20scan_config_selectorIdEEZZNS1_9scan_implILNS1_25lookback_scan_determinismE0ELb0ELb0ES3_PKdPddZZZN2at6native31launch_logcumsumexp_cuda_kernelERKNSB_10TensorBaseESF_lENKUlvE_clEvENKUlvE_clEvEUlddE_dEEDaPvRmT3_T4_T5_mT6_P12ihipStream_tbENKUlT_T0_E_clISt17integral_constantIbLb0EESW_EEDaSR_SS_EUlSR_E0_NS1_11comp_targetILNS1_3genE9ELNS1_11target_archE1100ELNS1_3gpuE3ELNS1_3repE0EEENS1_30default_config_static_selectorELNS0_4arch9wavefront6targetE0EEEvT1_ ; -- Begin function _ZN7rocprim17ROCPRIM_400000_NS6detail17trampoline_kernelINS0_14default_configENS1_20scan_config_selectorIdEEZZNS1_9scan_implILNS1_25lookback_scan_determinismE0ELb0ELb0ES3_PKdPddZZZN2at6native31launch_logcumsumexp_cuda_kernelERKNSB_10TensorBaseESF_lENKUlvE_clEvENKUlvE_clEvEUlddE_dEEDaPvRmT3_T4_T5_mT6_P12ihipStream_tbENKUlT_T0_E_clISt17integral_constantIbLb0EESW_EEDaSR_SS_EUlSR_E0_NS1_11comp_targetILNS1_3genE9ELNS1_11target_archE1100ELNS1_3gpuE3ELNS1_3repE0EEENS1_30default_config_static_selectorELNS0_4arch9wavefront6targetE0EEEvT1_
	.p2align	8
	.type	_ZN7rocprim17ROCPRIM_400000_NS6detail17trampoline_kernelINS0_14default_configENS1_20scan_config_selectorIdEEZZNS1_9scan_implILNS1_25lookback_scan_determinismE0ELb0ELb0ES3_PKdPddZZZN2at6native31launch_logcumsumexp_cuda_kernelERKNSB_10TensorBaseESF_lENKUlvE_clEvENKUlvE_clEvEUlddE_dEEDaPvRmT3_T4_T5_mT6_P12ihipStream_tbENKUlT_T0_E_clISt17integral_constantIbLb0EESW_EEDaSR_SS_EUlSR_E0_NS1_11comp_targetILNS1_3genE9ELNS1_11target_archE1100ELNS1_3gpuE3ELNS1_3repE0EEENS1_30default_config_static_selectorELNS0_4arch9wavefront6targetE0EEEvT1_,@function
_ZN7rocprim17ROCPRIM_400000_NS6detail17trampoline_kernelINS0_14default_configENS1_20scan_config_selectorIdEEZZNS1_9scan_implILNS1_25lookback_scan_determinismE0ELb0ELb0ES3_PKdPddZZZN2at6native31launch_logcumsumexp_cuda_kernelERKNSB_10TensorBaseESF_lENKUlvE_clEvENKUlvE_clEvEUlddE_dEEDaPvRmT3_T4_T5_mT6_P12ihipStream_tbENKUlT_T0_E_clISt17integral_constantIbLb0EESW_EEDaSR_SS_EUlSR_E0_NS1_11comp_targetILNS1_3genE9ELNS1_11target_archE1100ELNS1_3gpuE3ELNS1_3repE0EEENS1_30default_config_static_selectorELNS0_4arch9wavefront6targetE0EEEvT1_: ; @_ZN7rocprim17ROCPRIM_400000_NS6detail17trampoline_kernelINS0_14default_configENS1_20scan_config_selectorIdEEZZNS1_9scan_implILNS1_25lookback_scan_determinismE0ELb0ELb0ES3_PKdPddZZZN2at6native31launch_logcumsumexp_cuda_kernelERKNSB_10TensorBaseESF_lENKUlvE_clEvENKUlvE_clEvEUlddE_dEEDaPvRmT3_T4_T5_mT6_P12ihipStream_tbENKUlT_T0_E_clISt17integral_constantIbLb0EESW_EEDaSR_SS_EUlSR_E0_NS1_11comp_targetILNS1_3genE9ELNS1_11target_archE1100ELNS1_3gpuE3ELNS1_3repE0EEENS1_30default_config_static_selectorELNS0_4arch9wavefront6targetE0EEEvT1_
; %bb.0:
	s_load_b128 s[20:23], s[0:1], 0x0
	v_lshlrev_b32_e32 v77, 3, v0
	s_waitcnt lgkmcnt(0)
	s_load_b64 s[18:19], s[20:21], 0x0
	v_cmp_gt_u32_e32 vcc_lo, s22, v0
	s_waitcnt lgkmcnt(0)
	v_dual_mov_b32 v1, s18 :: v_dual_mov_b32 v2, s19
	s_and_saveexec_b32 s2, vcc_lo
	s_cbranch_execz .LBB26_2
; %bb.1:
	global_load_b64 v[1:2], v77, s[20:21]
.LBB26_2:
	s_or_b32 exec_lo, exec_lo, s2
	v_or_b32_e32 v33, 0x100, v0
	v_dual_mov_b32 v3, s18 :: v_dual_mov_b32 v4, s19
	s_delay_alu instid0(VALU_DEP_2) | instskip(NEXT) | instid1(VALU_DEP_1)
	v_cmp_gt_u32_e64 s2, s22, v33
	s_and_saveexec_b32 s3, s2
	s_cbranch_execz .LBB26_4
; %bb.3:
	global_load_b64 v[3:4], v77, s[20:21] offset:2048
.LBB26_4:
	s_or_b32 exec_lo, exec_lo, s3
	v_or_b32_e32 v34, 0x200, v0
	v_dual_mov_b32 v5, s18 :: v_dual_mov_b32 v6, s19
	s_delay_alu instid0(VALU_DEP_2) | instskip(NEXT) | instid1(VALU_DEP_1)
	v_cmp_gt_u32_e64 s3, s22, v34
	s_and_saveexec_b32 s4, s3
	s_cbranch_execz .LBB26_6
; %bb.5:
	v_lshlrev_b32_e32 v5, 3, v34
	global_load_b64 v[5:6], v5, s[20:21]
.LBB26_6:
	s_or_b32 exec_lo, exec_lo, s4
	v_or_b32_e32 v35, 0x300, v0
	v_dual_mov_b32 v9, s18 :: v_dual_mov_b32 v10, s19
	s_delay_alu instid0(VALU_DEP_2) | instskip(NEXT) | instid1(VALU_DEP_1)
	v_cmp_gt_u32_e64 s4, s22, v35
	s_and_saveexec_b32 s5, s4
	s_cbranch_execz .LBB26_8
; %bb.7:
	v_lshlrev_b32_e32 v7, 3, v35
	global_load_b64 v[9:10], v7, s[20:21]
.LBB26_8:
	;; [unrolled: 11-line block ×14, first 2 shown]
	s_or_b32 exec_lo, exec_lo, s17
	v_lshrrev_b32_e32 v48, 2, v0
	v_lshrrev_b32_e32 v34, 2, v34
	;; [unrolled: 1-line block ×5, first 2 shown]
	v_and_b32_e32 v95, 56, v48
	v_and_b32_e32 v34, 0xf8, v34
	;; [unrolled: 1-line block ×4, first 2 shown]
	s_delay_alu instid0(VALU_DEP_4) | instskip(NEXT) | instid1(VALU_DEP_4)
	v_add_nc_u32_e32 v78, v95, v77
	v_add_nc_u32_e32 v80, v34, v77
	v_and_b32_e32 v34, 0x1f8, v36
	v_lshrrev_b32_e32 v36, 2, v39
	v_add_nc_u32_e32 v79, v33, v77
	v_add_nc_u32_e32 v81, v35, v77
	s_waitcnt vmcnt(0)
	ds_store_b64 v78, v[1:2]
	ds_store_b64 v79, v[3:4] offset:2048
	ds_store_b64 v80, v[5:6] offset:4096
	;; [unrolled: 1-line block ×3, first 2 shown]
	v_and_b32_e32 v1, 0x1f8, v36
	v_lshrrev_b32_e32 v2, 2, v40
	v_lshrrev_b32_e32 v3, 2, v41
	;; [unrolled: 1-line block ×4, first 2 shown]
	v_add_nc_u32_e32 v85, v1, v77
	v_and_b32_e32 v1, 0x3f8, v2
	v_and_b32_e32 v2, 0x3f8, v3
	;; [unrolled: 1-line block ×4, first 2 shown]
	v_lshrrev_b32_e32 v33, 2, v37
	v_add_nc_u32_e32 v86, v1, v77
	v_lshrrev_b32_e32 v1, 2, v44
	v_add_nc_u32_e32 v87, v2, v77
	v_lshrrev_b32_e32 v2, 2, v45
	v_lshrrev_b32_e32 v37, 2, v38
	v_add_nc_u32_e32 v88, v3, v77
	v_lshrrev_b32_e32 v3, 2, v46
	v_add_nc_u32_e32 v89, v4, v77
	v_lshrrev_b32_e32 v4, 2, v47
	v_and_b32_e32 v1, 0x3f8, v1
	v_lshlrev_b32_e32 v5, 4, v0
	v_lshrrev_b32_e32 v6, 1, v0
	v_and_b32_e32 v33, 0x1f8, v33
	v_and_b32_e32 v2, 0x3f8, v2
	;; [unrolled: 1-line block ×5, first 2 shown]
	v_add_nc_u32_e32 v82, v34, v77
	v_add_nc_u32_e32 v90, v1, v77
	v_add_lshl_u32 v94, v6, v5, 3
	v_add_nc_u32_e32 v83, v33, v77
	v_add_nc_u32_e32 v91, v2, v77
	;; [unrolled: 1-line block ×5, first 2 shown]
	ds_store_b64 v82, v[7:8] offset:8192
	ds_store_b64 v83, v[11:12] offset:10240
	;; [unrolled: 1-line block ×12, first 2 shown]
	s_waitcnt lgkmcnt(0)
	s_barrier
	buffer_gl0_inv
	ds_load_2addr_b64 v[1:4], v94 offset1:1
	ds_load_2addr_b64 v[29:32], v94 offset0:2 offset1:3
	s_waitcnt lgkmcnt(1)
	v_max_f64 v[35:36], v[3:4], v[3:4]
	v_max_f64 v[63:64], v[1:2], v[1:2]
	v_cmp_u_f64_e64 s33, v[1:2], v[1:2]
	v_cmp_u_f64_e64 s17, v[3:4], v[3:4]
	v_dual_mov_b32 v70, v2 :: v_dual_mov_b32 v69, v1
	s_delay_alu instid0(VALU_DEP_4) | instskip(SKIP_1) | instid1(VALU_DEP_2)
	v_min_f64 v[65:66], v[63:64], v[35:36]
	v_max_f64 v[67:68], v[63:64], v[35:36]
	v_cndmask_b32_e64 v5, v65, v1, s33
	s_delay_alu instid0(VALU_DEP_3) | instskip(NEXT) | instid1(VALU_DEP_3)
	v_cndmask_b32_e64 v6, v66, v2, s33
	v_cndmask_b32_e64 v7, v68, v2, s33
	s_delay_alu instid0(VALU_DEP_4) | instskip(NEXT) | instid1(VALU_DEP_4)
	v_cndmask_b32_e64 v8, v67, v1, s33
	v_cndmask_b32_e64 v37, v5, v3, s17
	s_delay_alu instid0(VALU_DEP_4) | instskip(NEXT) | instid1(VALU_DEP_4)
	v_cndmask_b32_e64 v38, v6, v4, s17
	v_cndmask_b32_e64 v34, v7, v4, s17
	s_delay_alu instid0(VALU_DEP_4)
	v_cndmask_b32_e64 v33, v8, v3, s17
	ds_load_2addr_b64 v[25:28], v94 offset0:4 offset1:5
	ds_load_2addr_b64 v[21:24], v94 offset0:6 offset1:7
	;; [unrolled: 1-line block ×6, first 2 shown]
	s_waitcnt lgkmcnt(0)
	v_cmp_class_f64_e64 s19, v[37:38], 0x1f8
	s_barrier
	v_cmp_neq_f64_e64 s18, v[37:38], v[33:34]
	buffer_gl0_inv
	s_or_b32 s18, s18, s19
	s_delay_alu instid0(SALU_CYCLE_1)
	s_and_saveexec_b32 s24, s18
	s_cbranch_execz .LBB26_34
; %bb.33:
	v_add_f64 v[37:38], v[37:38], -v[33:34]
	s_mov_b32 s18, 0x652b82fe
	s_mov_b32 s19, 0x3ff71547
	;; [unrolled: 1-line block ×10, first 2 shown]
	s_delay_alu instid0(VALU_DEP_1) | instskip(SKIP_2) | instid1(VALU_DEP_1)
	v_mul_f64 v[39:40], v[37:38], s[18:19]
	s_mov_b32 s18, 0xfca7ab0c
	s_mov_b32 s19, 0x3e928af3
	v_rndne_f64_e32 v[39:40], v[39:40]
	s_delay_alu instid0(VALU_DEP_1) | instskip(SKIP_2) | instid1(VALU_DEP_2)
	v_fma_f64 v[41:42], v[39:40], s[20:21], v[37:38]
	v_cvt_i32_f64_e32 v45, v[39:40]
	s_mov_b32 s21, 0x3fe62e42
	v_fma_f64 v[41:42], v[39:40], s[22:23], v[41:42]
	s_mov_b32 s23, 0x3c7abc9e
	s_delay_alu instid0(VALU_DEP_1) | instskip(SKIP_4) | instid1(VALU_DEP_1)
	v_fma_f64 v[43:44], v[41:42], s[26:27], s[18:19]
	s_mov_b32 s18, 0x623fde64
	s_mov_b32 s19, 0x3ec71dee
	;; [unrolled: 1-line block ×4, first 2 shown]
	v_fma_f64 v[43:44], v[41:42], v[43:44], s[18:19]
	s_mov_b32 s18, 0x7c89e6b0
	s_mov_b32 s19, 0x3efa0199
	s_delay_alu instid0(VALU_DEP_1) | instid1(SALU_CYCLE_1)
	v_fma_f64 v[43:44], v[41:42], v[43:44], s[18:19]
	s_mov_b32 s18, 0x14761f6e
	s_mov_b32 s19, 0x3f2a01a0
	s_delay_alu instid0(VALU_DEP_1) | instid1(SALU_CYCLE_1)
	;; [unrolled: 4-line block ×7, first 2 shown]
	v_fma_f64 v[43:44], v[41:42], v[43:44], s[18:19]
	v_cmp_nlt_f64_e64 s18, 0x40900000, v[37:38]
	v_cmp_ngt_f64_e64 s19, 0xc090cc00, v[37:38]
	s_delay_alu instid0(VALU_DEP_3) | instskip(NEXT) | instid1(VALU_DEP_1)
	v_fma_f64 v[43:44], v[41:42], v[43:44], 1.0
	v_fma_f64 v[39:40], v[41:42], v[43:44], 1.0
	s_delay_alu instid0(VALU_DEP_1) | instskip(NEXT) | instid1(VALU_DEP_1)
	v_ldexp_f64 v[39:40], v[39:40], v45
	v_cndmask_b32_e64 v40, 0x7ff00000, v40, s18
	s_and_b32 s18, s19, s18
	s_delay_alu instid0(VALU_DEP_2) | instid1(SALU_CYCLE_1)
	v_cndmask_b32_e64 v37, 0, v39, s18
	s_mov_b32 s18, 0x55555555
	s_delay_alu instid0(VALU_DEP_2) | instskip(SKIP_1) | instid1(VALU_DEP_1)
	v_cndmask_b32_e64 v38, 0, v40, s19
	s_mov_b32 s19, 0x3fe55555
	v_add_f64 v[39:40], v[37:38], 1.0
	s_delay_alu instid0(VALU_DEP_1) | instskip(SKIP_2) | instid1(VALU_DEP_3)
	v_frexp_mant_f64_e32 v[41:42], v[39:40]
	v_frexp_exp_i32_f64_e32 v45, v[39:40]
	v_add_f64 v[43:44], v[39:40], -1.0
	v_cmp_gt_f64_e64 s18, s[18:19], v[41:42]
	s_delay_alu instid0(VALU_DEP_2) | instskip(SKIP_1) | instid1(VALU_DEP_3)
	v_add_f64 v[41:42], v[43:44], -v[39:40]
	v_add_f64 v[43:44], v[37:38], -v[43:44]
	v_subrev_co_ci_u32_e64 v61, s18, 0, v45, s18
	s_delay_alu instid0(VALU_DEP_3) | instskip(SKIP_1) | instid1(VALU_DEP_2)
	v_add_f64 v[41:42], v[41:42], 1.0
	s_mov_b32 s18, 0x55555780
	v_sub_nc_u32_e32 v47, 0, v61
	s_delay_alu instid0(VALU_DEP_1) | instskip(NEXT) | instid1(VALU_DEP_3)
	v_ldexp_f64 v[39:40], v[39:40], v47
	v_add_f64 v[41:42], v[43:44], v[41:42]
	s_delay_alu instid0(VALU_DEP_2) | instskip(SKIP_1) | instid1(VALU_DEP_3)
	v_add_f64 v[45:46], v[39:40], 1.0
	v_add_f64 v[51:52], v[39:40], -1.0
	v_ldexp_f64 v[41:42], v[41:42], v47
	s_delay_alu instid0(VALU_DEP_3) | instskip(NEXT) | instid1(VALU_DEP_3)
	v_add_f64 v[43:44], v[45:46], -1.0
	v_add_f64 v[53:54], v[51:52], 1.0
	s_delay_alu instid0(VALU_DEP_2) | instskip(NEXT) | instid1(VALU_DEP_2)
	v_add_f64 v[43:44], v[39:40], -v[43:44]
	v_add_f64 v[39:40], v[39:40], -v[53:54]
	s_delay_alu instid0(VALU_DEP_2) | instskip(NEXT) | instid1(VALU_DEP_2)
	v_add_f64 v[43:44], v[41:42], v[43:44]
	v_add_f64 v[39:40], v[41:42], v[39:40]
	s_delay_alu instid0(VALU_DEP_2) | instskip(NEXT) | instid1(VALU_DEP_2)
	v_add_f64 v[47:48], v[45:46], v[43:44]
	v_add_f64 v[53:54], v[51:52], v[39:40]
	s_delay_alu instid0(VALU_DEP_2) | instskip(SKIP_1) | instid1(VALU_DEP_2)
	v_rcp_f64_e32 v[49:50], v[47:48]
	v_add_f64 v[45:46], v[47:48], -v[45:46]
	v_add_f64 v[51:52], v[53:54], -v[51:52]
	s_delay_alu instid0(VALU_DEP_2) | instskip(SKIP_3) | instid1(VALU_DEP_2)
	v_add_f64 v[43:44], v[43:44], -v[45:46]
	s_waitcnt_depctr 0xfff
	v_fma_f64 v[55:56], -v[47:48], v[49:50], 1.0
	v_add_f64 v[39:40], v[39:40], -v[51:52]
	v_fma_f64 v[49:50], v[55:56], v[49:50], v[49:50]
	s_delay_alu instid0(VALU_DEP_1) | instskip(NEXT) | instid1(VALU_DEP_1)
	v_fma_f64 v[41:42], -v[47:48], v[49:50], 1.0
	v_fma_f64 v[41:42], v[41:42], v[49:50], v[49:50]
	s_delay_alu instid0(VALU_DEP_1) | instskip(NEXT) | instid1(VALU_DEP_1)
	v_mul_f64 v[49:50], v[53:54], v[41:42]
	v_mul_f64 v[55:56], v[47:48], v[49:50]
	s_delay_alu instid0(VALU_DEP_1) | instskip(NEXT) | instid1(VALU_DEP_1)
	v_fma_f64 v[45:46], v[49:50], v[47:48], -v[55:56]
	v_fma_f64 v[45:46], v[49:50], v[43:44], v[45:46]
	s_delay_alu instid0(VALU_DEP_1) | instskip(NEXT) | instid1(VALU_DEP_1)
	v_add_f64 v[57:58], v[55:56], v[45:46]
	v_add_f64 v[59:60], v[53:54], -v[57:58]
	v_add_f64 v[51:52], v[57:58], -v[55:56]
	s_delay_alu instid0(VALU_DEP_2) | instskip(NEXT) | instid1(VALU_DEP_2)
	v_add_f64 v[53:54], v[53:54], -v[59:60]
	v_add_f64 v[45:46], v[51:52], -v[45:46]
	s_delay_alu instid0(VALU_DEP_2) | instskip(NEXT) | instid1(VALU_DEP_1)
	v_add_f64 v[53:54], v[53:54], -v[57:58]
	v_add_f64 v[39:40], v[39:40], v[53:54]
	s_delay_alu instid0(VALU_DEP_1) | instskip(NEXT) | instid1(VALU_DEP_1)
	v_add_f64 v[39:40], v[45:46], v[39:40]
	v_add_f64 v[45:46], v[59:60], v[39:40]
	s_delay_alu instid0(VALU_DEP_1) | instskip(SKIP_1) | instid1(VALU_DEP_2)
	v_mul_f64 v[51:52], v[41:42], v[45:46]
	v_add_f64 v[57:58], v[59:60], -v[45:46]
	v_mul_f64 v[53:54], v[47:48], v[51:52]
	s_delay_alu instid0(VALU_DEP_2) | instskip(NEXT) | instid1(VALU_DEP_2)
	v_add_f64 v[39:40], v[39:40], v[57:58]
	v_fma_f64 v[47:48], v[51:52], v[47:48], -v[53:54]
	s_delay_alu instid0(VALU_DEP_1) | instskip(NEXT) | instid1(VALU_DEP_1)
	v_fma_f64 v[43:44], v[51:52], v[43:44], v[47:48]
	v_add_f64 v[47:48], v[53:54], v[43:44]
	s_delay_alu instid0(VALU_DEP_1) | instskip(SKIP_1) | instid1(VALU_DEP_2)
	v_add_f64 v[55:56], v[45:46], -v[47:48]
	v_add_f64 v[53:54], v[47:48], -v[53:54]
	;; [unrolled: 1-line block ×3, first 2 shown]
	s_delay_alu instid0(VALU_DEP_2) | instskip(NEXT) | instid1(VALU_DEP_2)
	v_add_f64 v[43:44], v[53:54], -v[43:44]
	v_add_f64 v[45:46], v[45:46], -v[47:48]
	s_delay_alu instid0(VALU_DEP_1) | instskip(SKIP_1) | instid1(VALU_DEP_2)
	v_add_f64 v[39:40], v[39:40], v[45:46]
	v_add_f64 v[45:46], v[49:50], v[51:52]
	;; [unrolled: 1-line block ×3, first 2 shown]
	s_delay_alu instid0(VALU_DEP_2) | instskip(NEXT) | instid1(VALU_DEP_2)
	v_add_f64 v[43:44], v[45:46], -v[49:50]
	v_add_f64 v[39:40], v[55:56], v[39:40]
	s_delay_alu instid0(VALU_DEP_2) | instskip(NEXT) | instid1(VALU_DEP_2)
	v_add_f64 v[43:44], v[51:52], -v[43:44]
	v_mul_f64 v[39:40], v[41:42], v[39:40]
	s_delay_alu instid0(VALU_DEP_1) | instskip(NEXT) | instid1(VALU_DEP_1)
	v_add_f64 v[39:40], v[43:44], v[39:40]
	v_add_f64 v[41:42], v[45:46], v[39:40]
	s_delay_alu instid0(VALU_DEP_1) | instskip(NEXT) | instid1(VALU_DEP_1)
	v_mul_f64 v[43:44], v[41:42], v[41:42]
	v_fma_f64 v[47:48], v[43:44], s[28:29], s[26:27]
	s_mov_b32 s26, 0xd7f4df2e
	s_mov_b32 s27, 0x3fc7474d
	v_mul_f64 v[49:50], v[41:42], v[43:44]
	s_delay_alu instid0(VALU_DEP_2)
	v_fma_f64 v[47:48], v[43:44], v[47:48], s[26:27]
	s_mov_b32 s26, 0x16291751
	s_mov_b32 s27, 0x3fcc71c0
	s_delay_alu instid0(VALU_DEP_1) | instid1(SALU_CYCLE_1)
	v_fma_f64 v[47:48], v[43:44], v[47:48], s[26:27]
	s_mov_b32 s26, 0x9b27acf1
	s_mov_b32 s27, 0x3fd24924
	s_delay_alu instid0(VALU_DEP_1) | instid1(SALU_CYCLE_1)
	;; [unrolled: 4-line block ×3, first 2 shown]
	v_fma_f64 v[47:48], v[43:44], v[47:48], s[26:27]
	s_delay_alu instid0(VALU_DEP_1) | instskip(SKIP_3) | instid1(VALU_DEP_4)
	v_fma_f64 v[43:44], v[43:44], v[47:48], s[18:19]
	v_ldexp_f64 v[47:48], v[41:42], 1
	v_add_f64 v[41:42], v[41:42], -v[45:46]
	v_cmp_eq_f64_e64 s18, 0x7ff00000, v[37:38]
	v_mul_f64 v[43:44], v[49:50], v[43:44]
	v_cvt_f64_i32_e32 v[49:50], v61
	s_delay_alu instid0(VALU_DEP_4) | instskip(NEXT) | instid1(VALU_DEP_3)
	v_add_f64 v[39:40], v[39:40], -v[41:42]
	v_add_f64 v[45:46], v[47:48], v[43:44]
	s_delay_alu instid0(VALU_DEP_3) | instskip(NEXT) | instid1(VALU_DEP_3)
	v_mul_f64 v[51:52], v[49:50], s[20:21]
	v_ldexp_f64 v[39:40], v[39:40], 1
	s_delay_alu instid0(VALU_DEP_3) | instskip(NEXT) | instid1(VALU_DEP_3)
	v_add_f64 v[41:42], v[45:46], -v[47:48]
	v_fma_f64 v[47:48], v[49:50], s[20:21], -v[51:52]
	s_delay_alu instid0(VALU_DEP_2) | instskip(NEXT) | instid1(VALU_DEP_2)
	v_add_f64 v[41:42], v[43:44], -v[41:42]
	v_fma_f64 v[43:44], v[49:50], s[22:23], v[47:48]
	s_delay_alu instid0(VALU_DEP_2) | instskip(NEXT) | instid1(VALU_DEP_2)
	v_add_f64 v[39:40], v[39:40], v[41:42]
	v_add_f64 v[41:42], v[51:52], v[43:44]
	s_delay_alu instid0(VALU_DEP_2) | instskip(NEXT) | instid1(VALU_DEP_2)
	v_add_f64 v[47:48], v[45:46], v[39:40]
	v_add_f64 v[51:52], v[41:42], -v[51:52]
	s_delay_alu instid0(VALU_DEP_2) | instskip(SKIP_1) | instid1(VALU_DEP_3)
	v_add_f64 v[49:50], v[41:42], v[47:48]
	v_add_f64 v[45:46], v[47:48], -v[45:46]
	v_add_f64 v[43:44], v[43:44], -v[51:52]
	s_delay_alu instid0(VALU_DEP_3) | instskip(NEXT) | instid1(VALU_DEP_3)
	v_add_f64 v[53:54], v[49:50], -v[41:42]
	v_add_f64 v[39:40], v[39:40], -v[45:46]
	s_delay_alu instid0(VALU_DEP_2) | instskip(SKIP_1) | instid1(VALU_DEP_3)
	v_add_f64 v[55:56], v[49:50], -v[53:54]
	v_add_f64 v[45:46], v[47:48], -v[53:54]
	v_add_f64 v[47:48], v[43:44], v[39:40]
	s_delay_alu instid0(VALU_DEP_3) | instskip(NEXT) | instid1(VALU_DEP_1)
	v_add_f64 v[41:42], v[41:42], -v[55:56]
	v_add_f64 v[41:42], v[45:46], v[41:42]
	s_delay_alu instid0(VALU_DEP_3) | instskip(NEXT) | instid1(VALU_DEP_2)
	v_add_f64 v[45:46], v[47:48], -v[43:44]
	v_add_f64 v[41:42], v[47:48], v[41:42]
	s_delay_alu instid0(VALU_DEP_2) | instskip(SKIP_1) | instid1(VALU_DEP_3)
	v_add_f64 v[47:48], v[47:48], -v[45:46]
	v_add_f64 v[39:40], v[39:40], -v[45:46]
	v_add_f64 v[51:52], v[49:50], v[41:42]
	s_delay_alu instid0(VALU_DEP_3) | instskip(NEXT) | instid1(VALU_DEP_2)
	v_add_f64 v[43:44], v[43:44], -v[47:48]
	v_add_f64 v[45:46], v[51:52], -v[49:50]
	s_delay_alu instid0(VALU_DEP_2) | instskip(NEXT) | instid1(VALU_DEP_2)
	v_add_f64 v[39:40], v[39:40], v[43:44]
	v_add_f64 v[41:42], v[41:42], -v[45:46]
	s_delay_alu instid0(VALU_DEP_1) | instskip(NEXT) | instid1(VALU_DEP_1)
	v_add_f64 v[39:40], v[39:40], v[41:42]
	v_add_f64 v[39:40], v[51:52], v[39:40]
	s_delay_alu instid0(VALU_DEP_1) | instskip(NEXT) | instid1(VALU_DEP_2)
	v_cndmask_b32_e64 v39, v39, v37, s18
	v_cndmask_b32_e64 v40, v40, v38, s18
	v_cmp_ngt_f64_e64 s18, -1.0, v[37:38]
	s_delay_alu instid0(VALU_DEP_1) | instskip(SKIP_1) | instid1(VALU_DEP_1)
	v_cndmask_b32_e64 v40, 0x7ff80000, v40, s18
	v_cmp_nge_f64_e64 s18, -1.0, v[37:38]
	v_cndmask_b32_e64 v39, 0, v39, s18
	v_cmp_neq_f64_e64 s18, -1.0, v[37:38]
	s_delay_alu instid0(VALU_DEP_1) | instskip(NEXT) | instid1(VALU_DEP_1)
	v_cndmask_b32_e64 v40, 0xfff00000, v40, s18
	v_add_f64 v[69:70], v[33:34], v[39:40]
.LBB26_34:
	s_or_b32 exec_lo, exec_lo, s24
	v_max_f64 v[33:34], v[29:30], v[29:30]
	s_delay_alu instid0(VALU_DEP_2) | instskip(SKIP_2) | instid1(VALU_DEP_3)
	v_max_f64 v[37:38], v[69:70], v[69:70]
	v_cmp_u_f64_e64 s19, v[69:70], v[69:70]
	v_cmp_u_f64_e64 s18, v[29:30], v[29:30]
	v_min_f64 v[39:40], v[37:38], v[33:34]
	v_max_f64 v[37:38], v[37:38], v[33:34]
	s_delay_alu instid0(VALU_DEP_2) | instskip(NEXT) | instid1(VALU_DEP_3)
	v_cndmask_b32_e64 v39, v39, v69, s19
	v_cndmask_b32_e64 v40, v40, v70, s19
	s_delay_alu instid0(VALU_DEP_3) | instskip(NEXT) | instid1(VALU_DEP_4)
	v_cndmask_b32_e64 v38, v38, v70, s19
	v_cndmask_b32_e64 v37, v37, v69, s19
	s_delay_alu instid0(VALU_DEP_4) | instskip(NEXT) | instid1(VALU_DEP_4)
	v_cndmask_b32_e64 v39, v39, v29, s18
	v_cndmask_b32_e64 v40, v40, v30, s18
	s_delay_alu instid0(VALU_DEP_4) | instskip(NEXT) | instid1(VALU_DEP_4)
	v_cndmask_b32_e64 v38, v38, v30, s18
	v_cndmask_b32_e64 v37, v37, v29, s18
	s_delay_alu instid0(VALU_DEP_3) | instskip(NEXT) | instid1(VALU_DEP_2)
	v_cmp_class_f64_e64 s20, v[39:40], 0x1f8
	v_cmp_neq_f64_e64 s19, v[39:40], v[37:38]
	s_delay_alu instid0(VALU_DEP_1) | instskip(NEXT) | instid1(SALU_CYCLE_1)
	s_or_b32 s19, s19, s20
	s_and_saveexec_b32 s26, s19
	s_cbranch_execz .LBB26_36
; %bb.35:
	v_add_f64 v[39:40], v[39:40], -v[37:38]
	s_mov_b32 s20, 0x652b82fe
	s_mov_b32 s21, 0x3ff71547
	;; [unrolled: 1-line block ×10, first 2 shown]
	s_delay_alu instid0(VALU_DEP_1) | instskip(SKIP_3) | instid1(VALU_DEP_2)
	v_mul_f64 v[41:42], v[39:40], s[20:21]
	s_mov_b32 s20, 0xfca7ab0c
	s_mov_b32 s21, 0x3e928af3
	v_cmp_nlt_f64_e64 s19, 0x40900000, v[39:40]
	v_rndne_f64_e32 v[41:42], v[41:42]
	s_delay_alu instid0(VALU_DEP_1) | instskip(SKIP_2) | instid1(VALU_DEP_2)
	v_fma_f64 v[43:44], v[41:42], s[22:23], v[39:40]
	v_cvt_i32_f64_e32 v47, v[41:42]
	s_mov_b32 s23, 0x3fe62e42
	v_fma_f64 v[43:44], v[41:42], s[24:25], v[43:44]
	s_mov_b32 s25, 0x3c7abc9e
	s_delay_alu instid0(VALU_DEP_1) | instskip(SKIP_4) | instid1(VALU_DEP_1)
	v_fma_f64 v[45:46], v[43:44], s[28:29], s[20:21]
	s_mov_b32 s20, 0x623fde64
	s_mov_b32 s21, 0x3ec71dee
	;; [unrolled: 1-line block ×4, first 2 shown]
	v_fma_f64 v[45:46], v[43:44], v[45:46], s[20:21]
	s_mov_b32 s20, 0x7c89e6b0
	s_mov_b32 s21, 0x3efa0199
	s_delay_alu instid0(VALU_DEP_1) | instid1(SALU_CYCLE_1)
	v_fma_f64 v[45:46], v[43:44], v[45:46], s[20:21]
	s_mov_b32 s20, 0x14761f6e
	s_mov_b32 s21, 0x3f2a01a0
	s_delay_alu instid0(VALU_DEP_1) | instid1(SALU_CYCLE_1)
	;; [unrolled: 4-line block ×7, first 2 shown]
	v_fma_f64 v[45:46], v[43:44], v[45:46], s[20:21]
	v_cmp_ngt_f64_e64 s20, 0xc090cc00, v[39:40]
	s_mov_b32 s21, 0x3fe55555
	s_delay_alu instid0(VALU_DEP_2) | instskip(NEXT) | instid1(VALU_DEP_1)
	v_fma_f64 v[45:46], v[43:44], v[45:46], 1.0
	v_fma_f64 v[41:42], v[43:44], v[45:46], 1.0
	s_delay_alu instid0(VALU_DEP_1) | instskip(NEXT) | instid1(VALU_DEP_1)
	v_ldexp_f64 v[41:42], v[41:42], v47
	v_cndmask_b32_e64 v42, 0x7ff00000, v42, s19
	s_and_b32 s19, s20, s19
	s_delay_alu instid0(VALU_DEP_2) | instid1(SALU_CYCLE_1)
	v_cndmask_b32_e64 v39, 0, v41, s19
	s_delay_alu instid0(VALU_DEP_2) | instskip(SKIP_1) | instid1(VALU_DEP_1)
	v_cndmask_b32_e64 v40, 0, v42, s20
	s_mov_b32 s20, 0x55555555
	v_add_f64 v[41:42], v[39:40], 1.0
	s_delay_alu instid0(VALU_DEP_1) | instskip(SKIP_2) | instid1(VALU_DEP_3)
	v_frexp_mant_f64_e32 v[43:44], v[41:42]
	v_frexp_exp_i32_f64_e32 v47, v[41:42]
	v_add_f64 v[45:46], v[41:42], -1.0
	v_cmp_gt_f64_e64 s19, s[20:21], v[43:44]
	s_mov_b32 s20, 0x55555780
	s_delay_alu instid0(VALU_DEP_2) | instskip(SKIP_1) | instid1(VALU_DEP_3)
	v_add_f64 v[43:44], v[45:46], -v[41:42]
	v_add_f64 v[45:46], v[39:40], -v[45:46]
	v_subrev_co_ci_u32_e64 v69, s19, 0, v47, s19
	s_delay_alu instid0(VALU_DEP_3) | instskip(SKIP_1) | instid1(VALU_DEP_3)
	v_add_f64 v[43:44], v[43:44], 1.0
	v_cmp_eq_f64_e64 s19, 0x7ff00000, v[39:40]
	v_sub_nc_u32_e32 v49, 0, v69
	s_delay_alu instid0(VALU_DEP_1) | instskip(NEXT) | instid1(VALU_DEP_4)
	v_ldexp_f64 v[41:42], v[41:42], v49
	v_add_f64 v[43:44], v[45:46], v[43:44]
	s_delay_alu instid0(VALU_DEP_2) | instskip(SKIP_1) | instid1(VALU_DEP_3)
	v_add_f64 v[47:48], v[41:42], 1.0
	v_add_f64 v[53:54], v[41:42], -1.0
	v_ldexp_f64 v[43:44], v[43:44], v49
	s_delay_alu instid0(VALU_DEP_3) | instskip(NEXT) | instid1(VALU_DEP_3)
	v_add_f64 v[45:46], v[47:48], -1.0
	v_add_f64 v[55:56], v[53:54], 1.0
	s_delay_alu instid0(VALU_DEP_2) | instskip(NEXT) | instid1(VALU_DEP_2)
	v_add_f64 v[45:46], v[41:42], -v[45:46]
	v_add_f64 v[41:42], v[41:42], -v[55:56]
	s_delay_alu instid0(VALU_DEP_2) | instskip(NEXT) | instid1(VALU_DEP_2)
	v_add_f64 v[45:46], v[43:44], v[45:46]
	v_add_f64 v[41:42], v[43:44], v[41:42]
	s_delay_alu instid0(VALU_DEP_2) | instskip(NEXT) | instid1(VALU_DEP_2)
	v_add_f64 v[49:50], v[47:48], v[45:46]
	v_add_f64 v[55:56], v[53:54], v[41:42]
	s_delay_alu instid0(VALU_DEP_2) | instskip(SKIP_1) | instid1(VALU_DEP_2)
	v_rcp_f64_e32 v[51:52], v[49:50]
	v_add_f64 v[47:48], v[49:50], -v[47:48]
	v_add_f64 v[53:54], v[55:56], -v[53:54]
	s_delay_alu instid0(VALU_DEP_2) | instskip(SKIP_3) | instid1(VALU_DEP_2)
	v_add_f64 v[45:46], v[45:46], -v[47:48]
	s_waitcnt_depctr 0xfff
	v_fma_f64 v[57:58], -v[49:50], v[51:52], 1.0
	v_add_f64 v[41:42], v[41:42], -v[53:54]
	v_fma_f64 v[51:52], v[57:58], v[51:52], v[51:52]
	s_delay_alu instid0(VALU_DEP_1) | instskip(NEXT) | instid1(VALU_DEP_1)
	v_fma_f64 v[43:44], -v[49:50], v[51:52], 1.0
	v_fma_f64 v[43:44], v[43:44], v[51:52], v[51:52]
	s_delay_alu instid0(VALU_DEP_1) | instskip(NEXT) | instid1(VALU_DEP_1)
	v_mul_f64 v[51:52], v[55:56], v[43:44]
	v_mul_f64 v[57:58], v[49:50], v[51:52]
	s_delay_alu instid0(VALU_DEP_1) | instskip(NEXT) | instid1(VALU_DEP_1)
	v_fma_f64 v[47:48], v[51:52], v[49:50], -v[57:58]
	v_fma_f64 v[47:48], v[51:52], v[45:46], v[47:48]
	s_delay_alu instid0(VALU_DEP_1) | instskip(NEXT) | instid1(VALU_DEP_1)
	v_add_f64 v[59:60], v[57:58], v[47:48]
	v_add_f64 v[61:62], v[55:56], -v[59:60]
	v_add_f64 v[53:54], v[59:60], -v[57:58]
	s_delay_alu instid0(VALU_DEP_2) | instskip(NEXT) | instid1(VALU_DEP_2)
	v_add_f64 v[55:56], v[55:56], -v[61:62]
	v_add_f64 v[47:48], v[53:54], -v[47:48]
	s_delay_alu instid0(VALU_DEP_2) | instskip(NEXT) | instid1(VALU_DEP_1)
	v_add_f64 v[55:56], v[55:56], -v[59:60]
	v_add_f64 v[41:42], v[41:42], v[55:56]
	s_delay_alu instid0(VALU_DEP_1) | instskip(NEXT) | instid1(VALU_DEP_1)
	v_add_f64 v[41:42], v[47:48], v[41:42]
	v_add_f64 v[47:48], v[61:62], v[41:42]
	s_delay_alu instid0(VALU_DEP_1) | instskip(SKIP_1) | instid1(VALU_DEP_2)
	v_mul_f64 v[53:54], v[43:44], v[47:48]
	v_add_f64 v[59:60], v[61:62], -v[47:48]
	v_mul_f64 v[55:56], v[49:50], v[53:54]
	s_delay_alu instid0(VALU_DEP_2) | instskip(NEXT) | instid1(VALU_DEP_2)
	v_add_f64 v[41:42], v[41:42], v[59:60]
	v_fma_f64 v[49:50], v[53:54], v[49:50], -v[55:56]
	s_delay_alu instid0(VALU_DEP_1) | instskip(NEXT) | instid1(VALU_DEP_1)
	v_fma_f64 v[45:46], v[53:54], v[45:46], v[49:50]
	v_add_f64 v[49:50], v[55:56], v[45:46]
	s_delay_alu instid0(VALU_DEP_1) | instskip(SKIP_1) | instid1(VALU_DEP_2)
	v_add_f64 v[57:58], v[47:48], -v[49:50]
	v_add_f64 v[55:56], v[49:50], -v[55:56]
	;; [unrolled: 1-line block ×3, first 2 shown]
	s_delay_alu instid0(VALU_DEP_2) | instskip(NEXT) | instid1(VALU_DEP_2)
	v_add_f64 v[45:46], v[55:56], -v[45:46]
	v_add_f64 v[47:48], v[47:48], -v[49:50]
	s_delay_alu instid0(VALU_DEP_1) | instskip(SKIP_1) | instid1(VALU_DEP_2)
	v_add_f64 v[41:42], v[41:42], v[47:48]
	v_add_f64 v[47:48], v[51:52], v[53:54]
	;; [unrolled: 1-line block ×3, first 2 shown]
	s_delay_alu instid0(VALU_DEP_2) | instskip(NEXT) | instid1(VALU_DEP_2)
	v_add_f64 v[45:46], v[47:48], -v[51:52]
	v_add_f64 v[41:42], v[57:58], v[41:42]
	s_delay_alu instid0(VALU_DEP_2) | instskip(NEXT) | instid1(VALU_DEP_2)
	v_add_f64 v[45:46], v[53:54], -v[45:46]
	v_mul_f64 v[41:42], v[43:44], v[41:42]
	s_delay_alu instid0(VALU_DEP_1) | instskip(NEXT) | instid1(VALU_DEP_1)
	v_add_f64 v[41:42], v[45:46], v[41:42]
	v_add_f64 v[43:44], v[47:48], v[41:42]
	s_delay_alu instid0(VALU_DEP_1) | instskip(NEXT) | instid1(VALU_DEP_1)
	v_mul_f64 v[45:46], v[43:44], v[43:44]
	v_fma_f64 v[49:50], v[45:46], s[30:31], s[28:29]
	s_mov_b32 s28, 0xd7f4df2e
	s_mov_b32 s29, 0x3fc7474d
	v_mul_f64 v[51:52], v[43:44], v[45:46]
	s_delay_alu instid0(VALU_DEP_2)
	v_fma_f64 v[49:50], v[45:46], v[49:50], s[28:29]
	s_mov_b32 s28, 0x16291751
	s_mov_b32 s29, 0x3fcc71c0
	s_delay_alu instid0(VALU_DEP_1) | instid1(SALU_CYCLE_1)
	v_fma_f64 v[49:50], v[45:46], v[49:50], s[28:29]
	s_mov_b32 s28, 0x9b27acf1
	s_mov_b32 s29, 0x3fd24924
	s_delay_alu instid0(VALU_DEP_1) | instid1(SALU_CYCLE_1)
	;; [unrolled: 4-line block ×3, first 2 shown]
	v_fma_f64 v[49:50], v[45:46], v[49:50], s[28:29]
	s_delay_alu instid0(VALU_DEP_1) | instskip(SKIP_2) | instid1(VALU_DEP_3)
	v_fma_f64 v[45:46], v[45:46], v[49:50], s[20:21]
	v_ldexp_f64 v[49:50], v[43:44], 1
	v_add_f64 v[43:44], v[43:44], -v[47:48]
	v_mul_f64 v[45:46], v[51:52], v[45:46]
	v_cvt_f64_i32_e32 v[51:52], v69
	s_delay_alu instid0(VALU_DEP_3) | instskip(NEXT) | instid1(VALU_DEP_3)
	v_add_f64 v[41:42], v[41:42], -v[43:44]
	v_add_f64 v[47:48], v[49:50], v[45:46]
	s_delay_alu instid0(VALU_DEP_3) | instskip(NEXT) | instid1(VALU_DEP_3)
	v_mul_f64 v[53:54], v[51:52], s[22:23]
	v_ldexp_f64 v[41:42], v[41:42], 1
	s_delay_alu instid0(VALU_DEP_3) | instskip(NEXT) | instid1(VALU_DEP_3)
	v_add_f64 v[43:44], v[47:48], -v[49:50]
	v_fma_f64 v[49:50], v[51:52], s[22:23], -v[53:54]
	s_delay_alu instid0(VALU_DEP_2) | instskip(NEXT) | instid1(VALU_DEP_2)
	v_add_f64 v[43:44], v[45:46], -v[43:44]
	v_fma_f64 v[45:46], v[51:52], s[24:25], v[49:50]
	s_delay_alu instid0(VALU_DEP_2) | instskip(NEXT) | instid1(VALU_DEP_2)
	v_add_f64 v[41:42], v[41:42], v[43:44]
	v_add_f64 v[43:44], v[53:54], v[45:46]
	s_delay_alu instid0(VALU_DEP_2) | instskip(NEXT) | instid1(VALU_DEP_2)
	v_add_f64 v[49:50], v[47:48], v[41:42]
	v_add_f64 v[53:54], v[43:44], -v[53:54]
	s_delay_alu instid0(VALU_DEP_2) | instskip(SKIP_1) | instid1(VALU_DEP_3)
	v_add_f64 v[51:52], v[43:44], v[49:50]
	v_add_f64 v[47:48], v[49:50], -v[47:48]
	v_add_f64 v[45:46], v[45:46], -v[53:54]
	s_delay_alu instid0(VALU_DEP_3) | instskip(NEXT) | instid1(VALU_DEP_3)
	v_add_f64 v[55:56], v[51:52], -v[43:44]
	v_add_f64 v[41:42], v[41:42], -v[47:48]
	s_delay_alu instid0(VALU_DEP_2) | instskip(SKIP_1) | instid1(VALU_DEP_3)
	v_add_f64 v[57:58], v[51:52], -v[55:56]
	v_add_f64 v[47:48], v[49:50], -v[55:56]
	v_add_f64 v[49:50], v[45:46], v[41:42]
	s_delay_alu instid0(VALU_DEP_3) | instskip(NEXT) | instid1(VALU_DEP_1)
	v_add_f64 v[43:44], v[43:44], -v[57:58]
	v_add_f64 v[43:44], v[47:48], v[43:44]
	s_delay_alu instid0(VALU_DEP_3) | instskip(NEXT) | instid1(VALU_DEP_2)
	v_add_f64 v[47:48], v[49:50], -v[45:46]
	v_add_f64 v[43:44], v[49:50], v[43:44]
	s_delay_alu instid0(VALU_DEP_2) | instskip(SKIP_1) | instid1(VALU_DEP_3)
	v_add_f64 v[49:50], v[49:50], -v[47:48]
	v_add_f64 v[41:42], v[41:42], -v[47:48]
	v_add_f64 v[53:54], v[51:52], v[43:44]
	s_delay_alu instid0(VALU_DEP_3) | instskip(NEXT) | instid1(VALU_DEP_2)
	v_add_f64 v[45:46], v[45:46], -v[49:50]
	v_add_f64 v[47:48], v[53:54], -v[51:52]
	s_delay_alu instid0(VALU_DEP_2) | instskip(NEXT) | instid1(VALU_DEP_2)
	v_add_f64 v[41:42], v[41:42], v[45:46]
	v_add_f64 v[43:44], v[43:44], -v[47:48]
	s_delay_alu instid0(VALU_DEP_1) | instskip(NEXT) | instid1(VALU_DEP_1)
	v_add_f64 v[41:42], v[41:42], v[43:44]
	v_add_f64 v[41:42], v[53:54], v[41:42]
	s_delay_alu instid0(VALU_DEP_1) | instskip(NEXT) | instid1(VALU_DEP_2)
	v_cndmask_b32_e64 v41, v41, v39, s19
	v_cndmask_b32_e64 v42, v42, v40, s19
	v_cmp_ngt_f64_e64 s19, -1.0, v[39:40]
	s_delay_alu instid0(VALU_DEP_1) | instskip(SKIP_1) | instid1(VALU_DEP_1)
	v_cndmask_b32_e64 v42, 0x7ff80000, v42, s19
	v_cmp_nge_f64_e64 s19, -1.0, v[39:40]
	v_cndmask_b32_e64 v41, 0, v41, s19
	v_cmp_neq_f64_e64 s19, -1.0, v[39:40]
	s_delay_alu instid0(VALU_DEP_1) | instskip(NEXT) | instid1(VALU_DEP_1)
	v_cndmask_b32_e64 v42, 0xfff00000, v42, s19
	v_add_f64 v[69:70], v[37:38], v[41:42]
.LBB26_36:
	s_or_b32 exec_lo, exec_lo, s26
	v_max_f64 v[37:38], v[31:32], v[31:32]
	s_delay_alu instid0(VALU_DEP_2) | instskip(SKIP_2) | instid1(VALU_DEP_3)
	v_max_f64 v[39:40], v[69:70], v[69:70]
	v_cmp_u_f64_e64 s20, v[69:70], v[69:70]
	v_cmp_u_f64_e64 s19, v[31:32], v[31:32]
	v_min_f64 v[41:42], v[39:40], v[37:38]
	v_max_f64 v[39:40], v[39:40], v[37:38]
	s_delay_alu instid0(VALU_DEP_2) | instskip(NEXT) | instid1(VALU_DEP_3)
	v_cndmask_b32_e64 v41, v41, v69, s20
	v_cndmask_b32_e64 v42, v42, v70, s20
	s_delay_alu instid0(VALU_DEP_3) | instskip(NEXT) | instid1(VALU_DEP_4)
	v_cndmask_b32_e64 v40, v40, v70, s20
	v_cndmask_b32_e64 v39, v39, v69, s20
	s_delay_alu instid0(VALU_DEP_4) | instskip(NEXT) | instid1(VALU_DEP_4)
	v_cndmask_b32_e64 v41, v41, v31, s19
	v_cndmask_b32_e64 v42, v42, v32, s19
	s_delay_alu instid0(VALU_DEP_4) | instskip(NEXT) | instid1(VALU_DEP_4)
	v_cndmask_b32_e64 v40, v40, v32, s19
	v_cndmask_b32_e64 v39, v39, v31, s19
	s_delay_alu instid0(VALU_DEP_3) | instskip(NEXT) | instid1(VALU_DEP_2)
	v_cmp_class_f64_e64 s21, v[41:42], 0x1f8
	v_cmp_neq_f64_e64 s20, v[41:42], v[39:40]
	s_delay_alu instid0(VALU_DEP_1) | instskip(NEXT) | instid1(SALU_CYCLE_1)
	s_or_b32 s20, s20, s21
	s_and_saveexec_b32 s26, s20
	s_cbranch_execz .LBB26_38
; %bb.37:
	v_add_f64 v[41:42], v[41:42], -v[39:40]
	s_mov_b32 s20, 0x652b82fe
	s_mov_b32 s21, 0x3ff71547
	;; [unrolled: 1-line block ×10, first 2 shown]
	s_delay_alu instid0(VALU_DEP_1) | instskip(SKIP_2) | instid1(VALU_DEP_1)
	v_mul_f64 v[43:44], v[41:42], s[20:21]
	s_mov_b32 s20, 0xfca7ab0c
	s_mov_b32 s21, 0x3e928af3
	v_rndne_f64_e32 v[43:44], v[43:44]
	s_delay_alu instid0(VALU_DEP_1) | instskip(SKIP_2) | instid1(VALU_DEP_2)
	v_fma_f64 v[45:46], v[43:44], s[22:23], v[41:42]
	v_cvt_i32_f64_e32 v49, v[43:44]
	s_mov_b32 s23, 0x3fe62e42
	v_fma_f64 v[45:46], v[43:44], s[24:25], v[45:46]
	s_mov_b32 s25, 0x3c7abc9e
	s_delay_alu instid0(VALU_DEP_1) | instskip(SKIP_4) | instid1(VALU_DEP_1)
	v_fma_f64 v[47:48], v[45:46], s[28:29], s[20:21]
	s_mov_b32 s20, 0x623fde64
	s_mov_b32 s21, 0x3ec71dee
	;; [unrolled: 1-line block ×4, first 2 shown]
	v_fma_f64 v[47:48], v[45:46], v[47:48], s[20:21]
	s_mov_b32 s20, 0x7c89e6b0
	s_mov_b32 s21, 0x3efa0199
	s_delay_alu instid0(VALU_DEP_1) | instid1(SALU_CYCLE_1)
	v_fma_f64 v[47:48], v[45:46], v[47:48], s[20:21]
	s_mov_b32 s20, 0x14761f6e
	s_mov_b32 s21, 0x3f2a01a0
	s_delay_alu instid0(VALU_DEP_1) | instid1(SALU_CYCLE_1)
	;; [unrolled: 4-line block ×7, first 2 shown]
	v_fma_f64 v[47:48], v[45:46], v[47:48], s[20:21]
	v_cmp_nlt_f64_e64 s20, 0x40900000, v[41:42]
	v_cmp_ngt_f64_e64 s21, 0xc090cc00, v[41:42]
	s_delay_alu instid0(VALU_DEP_3) | instskip(NEXT) | instid1(VALU_DEP_1)
	v_fma_f64 v[47:48], v[45:46], v[47:48], 1.0
	v_fma_f64 v[43:44], v[45:46], v[47:48], 1.0
	s_delay_alu instid0(VALU_DEP_1) | instskip(NEXT) | instid1(VALU_DEP_1)
	v_ldexp_f64 v[43:44], v[43:44], v49
	v_cndmask_b32_e64 v44, 0x7ff00000, v44, s20
	s_and_b32 s20, s21, s20
	s_delay_alu instid0(VALU_DEP_2) | instid1(SALU_CYCLE_1)
	v_cndmask_b32_e64 v41, 0, v43, s20
	s_mov_b32 s20, 0x55555555
	s_delay_alu instid0(VALU_DEP_2) | instskip(SKIP_1) | instid1(VALU_DEP_1)
	v_cndmask_b32_e64 v42, 0, v44, s21
	s_mov_b32 s21, 0x3fe55555
	v_add_f64 v[43:44], v[41:42], 1.0
	s_delay_alu instid0(VALU_DEP_1) | instskip(SKIP_2) | instid1(VALU_DEP_3)
	v_frexp_mant_f64_e32 v[45:46], v[43:44]
	v_frexp_exp_i32_f64_e32 v49, v[43:44]
	v_add_f64 v[47:48], v[43:44], -1.0
	v_cmp_gt_f64_e64 s20, s[20:21], v[45:46]
	s_delay_alu instid0(VALU_DEP_2) | instskip(SKIP_1) | instid1(VALU_DEP_3)
	v_add_f64 v[45:46], v[47:48], -v[43:44]
	v_add_f64 v[47:48], v[41:42], -v[47:48]
	v_subrev_co_ci_u32_e64 v71, s20, 0, v49, s20
	s_delay_alu instid0(VALU_DEP_3) | instskip(SKIP_1) | instid1(VALU_DEP_2)
	v_add_f64 v[45:46], v[45:46], 1.0
	s_mov_b32 s20, 0x55555780
	v_sub_nc_u32_e32 v51, 0, v71
	s_delay_alu instid0(VALU_DEP_1) | instskip(NEXT) | instid1(VALU_DEP_3)
	v_ldexp_f64 v[43:44], v[43:44], v51
	v_add_f64 v[45:46], v[47:48], v[45:46]
	s_delay_alu instid0(VALU_DEP_2) | instskip(SKIP_1) | instid1(VALU_DEP_3)
	v_add_f64 v[49:50], v[43:44], 1.0
	v_add_f64 v[55:56], v[43:44], -1.0
	v_ldexp_f64 v[45:46], v[45:46], v51
	s_delay_alu instid0(VALU_DEP_3) | instskip(NEXT) | instid1(VALU_DEP_3)
	v_add_f64 v[47:48], v[49:50], -1.0
	v_add_f64 v[57:58], v[55:56], 1.0
	s_delay_alu instid0(VALU_DEP_2) | instskip(NEXT) | instid1(VALU_DEP_2)
	v_add_f64 v[47:48], v[43:44], -v[47:48]
	v_add_f64 v[43:44], v[43:44], -v[57:58]
	s_delay_alu instid0(VALU_DEP_2) | instskip(NEXT) | instid1(VALU_DEP_2)
	v_add_f64 v[47:48], v[45:46], v[47:48]
	v_add_f64 v[43:44], v[45:46], v[43:44]
	s_delay_alu instid0(VALU_DEP_2) | instskip(NEXT) | instid1(VALU_DEP_2)
	v_add_f64 v[51:52], v[49:50], v[47:48]
	v_add_f64 v[57:58], v[55:56], v[43:44]
	s_delay_alu instid0(VALU_DEP_2) | instskip(SKIP_1) | instid1(VALU_DEP_2)
	v_rcp_f64_e32 v[53:54], v[51:52]
	v_add_f64 v[49:50], v[51:52], -v[49:50]
	v_add_f64 v[55:56], v[57:58], -v[55:56]
	s_delay_alu instid0(VALU_DEP_2) | instskip(SKIP_3) | instid1(VALU_DEP_2)
	v_add_f64 v[47:48], v[47:48], -v[49:50]
	s_waitcnt_depctr 0xfff
	v_fma_f64 v[59:60], -v[51:52], v[53:54], 1.0
	v_add_f64 v[43:44], v[43:44], -v[55:56]
	v_fma_f64 v[53:54], v[59:60], v[53:54], v[53:54]
	s_delay_alu instid0(VALU_DEP_1) | instskip(NEXT) | instid1(VALU_DEP_1)
	v_fma_f64 v[45:46], -v[51:52], v[53:54], 1.0
	v_fma_f64 v[45:46], v[45:46], v[53:54], v[53:54]
	s_delay_alu instid0(VALU_DEP_1) | instskip(NEXT) | instid1(VALU_DEP_1)
	v_mul_f64 v[53:54], v[57:58], v[45:46]
	v_mul_f64 v[59:60], v[51:52], v[53:54]
	s_delay_alu instid0(VALU_DEP_1) | instskip(NEXT) | instid1(VALU_DEP_1)
	v_fma_f64 v[49:50], v[53:54], v[51:52], -v[59:60]
	v_fma_f64 v[49:50], v[53:54], v[47:48], v[49:50]
	s_delay_alu instid0(VALU_DEP_1) | instskip(NEXT) | instid1(VALU_DEP_1)
	v_add_f64 v[61:62], v[59:60], v[49:50]
	v_add_f64 v[69:70], v[57:58], -v[61:62]
	v_add_f64 v[55:56], v[61:62], -v[59:60]
	s_delay_alu instid0(VALU_DEP_2) | instskip(NEXT) | instid1(VALU_DEP_2)
	v_add_f64 v[57:58], v[57:58], -v[69:70]
	v_add_f64 v[49:50], v[55:56], -v[49:50]
	s_delay_alu instid0(VALU_DEP_2) | instskip(NEXT) | instid1(VALU_DEP_1)
	v_add_f64 v[57:58], v[57:58], -v[61:62]
	v_add_f64 v[43:44], v[43:44], v[57:58]
	s_delay_alu instid0(VALU_DEP_1) | instskip(NEXT) | instid1(VALU_DEP_1)
	v_add_f64 v[43:44], v[49:50], v[43:44]
	v_add_f64 v[49:50], v[69:70], v[43:44]
	s_delay_alu instid0(VALU_DEP_1) | instskip(SKIP_1) | instid1(VALU_DEP_2)
	v_mul_f64 v[55:56], v[45:46], v[49:50]
	v_add_f64 v[61:62], v[69:70], -v[49:50]
	v_mul_f64 v[57:58], v[51:52], v[55:56]
	s_delay_alu instid0(VALU_DEP_2) | instskip(NEXT) | instid1(VALU_DEP_2)
	v_add_f64 v[43:44], v[43:44], v[61:62]
	v_fma_f64 v[51:52], v[55:56], v[51:52], -v[57:58]
	s_delay_alu instid0(VALU_DEP_1) | instskip(NEXT) | instid1(VALU_DEP_1)
	v_fma_f64 v[47:48], v[55:56], v[47:48], v[51:52]
	v_add_f64 v[51:52], v[57:58], v[47:48]
	s_delay_alu instid0(VALU_DEP_1) | instskip(SKIP_1) | instid1(VALU_DEP_2)
	v_add_f64 v[59:60], v[49:50], -v[51:52]
	v_add_f64 v[57:58], v[51:52], -v[57:58]
	v_add_f64 v[49:50], v[49:50], -v[59:60]
	s_delay_alu instid0(VALU_DEP_2) | instskip(NEXT) | instid1(VALU_DEP_2)
	v_add_f64 v[47:48], v[57:58], -v[47:48]
	v_add_f64 v[49:50], v[49:50], -v[51:52]
	s_delay_alu instid0(VALU_DEP_1) | instskip(SKIP_1) | instid1(VALU_DEP_2)
	v_add_f64 v[43:44], v[43:44], v[49:50]
	v_add_f64 v[49:50], v[53:54], v[55:56]
	;; [unrolled: 1-line block ×3, first 2 shown]
	s_delay_alu instid0(VALU_DEP_2) | instskip(NEXT) | instid1(VALU_DEP_2)
	v_add_f64 v[47:48], v[49:50], -v[53:54]
	v_add_f64 v[43:44], v[59:60], v[43:44]
	s_delay_alu instid0(VALU_DEP_2) | instskip(NEXT) | instid1(VALU_DEP_2)
	v_add_f64 v[47:48], v[55:56], -v[47:48]
	v_mul_f64 v[43:44], v[45:46], v[43:44]
	s_delay_alu instid0(VALU_DEP_1) | instskip(NEXT) | instid1(VALU_DEP_1)
	v_add_f64 v[43:44], v[47:48], v[43:44]
	v_add_f64 v[45:46], v[49:50], v[43:44]
	s_delay_alu instid0(VALU_DEP_1) | instskip(NEXT) | instid1(VALU_DEP_1)
	v_mul_f64 v[47:48], v[45:46], v[45:46]
	v_fma_f64 v[51:52], v[47:48], s[30:31], s[28:29]
	s_mov_b32 s28, 0xd7f4df2e
	s_mov_b32 s29, 0x3fc7474d
	v_mul_f64 v[53:54], v[45:46], v[47:48]
	s_delay_alu instid0(VALU_DEP_2)
	v_fma_f64 v[51:52], v[47:48], v[51:52], s[28:29]
	s_mov_b32 s28, 0x16291751
	s_mov_b32 s29, 0x3fcc71c0
	s_delay_alu instid0(VALU_DEP_1) | instid1(SALU_CYCLE_1)
	v_fma_f64 v[51:52], v[47:48], v[51:52], s[28:29]
	s_mov_b32 s28, 0x9b27acf1
	s_mov_b32 s29, 0x3fd24924
	s_delay_alu instid0(VALU_DEP_1) | instid1(SALU_CYCLE_1)
	;; [unrolled: 4-line block ×3, first 2 shown]
	v_fma_f64 v[51:52], v[47:48], v[51:52], s[28:29]
	s_delay_alu instid0(VALU_DEP_1) | instskip(SKIP_3) | instid1(VALU_DEP_4)
	v_fma_f64 v[47:48], v[47:48], v[51:52], s[20:21]
	v_ldexp_f64 v[51:52], v[45:46], 1
	v_add_f64 v[45:46], v[45:46], -v[49:50]
	v_cmp_eq_f64_e64 s20, 0x7ff00000, v[41:42]
	v_mul_f64 v[47:48], v[53:54], v[47:48]
	v_cvt_f64_i32_e32 v[53:54], v71
	s_delay_alu instid0(VALU_DEP_4) | instskip(NEXT) | instid1(VALU_DEP_3)
	v_add_f64 v[43:44], v[43:44], -v[45:46]
	v_add_f64 v[49:50], v[51:52], v[47:48]
	s_delay_alu instid0(VALU_DEP_3) | instskip(NEXT) | instid1(VALU_DEP_3)
	v_mul_f64 v[55:56], v[53:54], s[22:23]
	v_ldexp_f64 v[43:44], v[43:44], 1
	s_delay_alu instid0(VALU_DEP_3) | instskip(NEXT) | instid1(VALU_DEP_3)
	v_add_f64 v[45:46], v[49:50], -v[51:52]
	v_fma_f64 v[51:52], v[53:54], s[22:23], -v[55:56]
	s_delay_alu instid0(VALU_DEP_2) | instskip(NEXT) | instid1(VALU_DEP_2)
	v_add_f64 v[45:46], v[47:48], -v[45:46]
	v_fma_f64 v[47:48], v[53:54], s[24:25], v[51:52]
	s_delay_alu instid0(VALU_DEP_2) | instskip(NEXT) | instid1(VALU_DEP_2)
	v_add_f64 v[43:44], v[43:44], v[45:46]
	v_add_f64 v[45:46], v[55:56], v[47:48]
	s_delay_alu instid0(VALU_DEP_2) | instskip(NEXT) | instid1(VALU_DEP_2)
	v_add_f64 v[51:52], v[49:50], v[43:44]
	v_add_f64 v[55:56], v[45:46], -v[55:56]
	s_delay_alu instid0(VALU_DEP_2) | instskip(SKIP_1) | instid1(VALU_DEP_3)
	v_add_f64 v[53:54], v[45:46], v[51:52]
	v_add_f64 v[49:50], v[51:52], -v[49:50]
	v_add_f64 v[47:48], v[47:48], -v[55:56]
	s_delay_alu instid0(VALU_DEP_3) | instskip(NEXT) | instid1(VALU_DEP_3)
	v_add_f64 v[57:58], v[53:54], -v[45:46]
	v_add_f64 v[43:44], v[43:44], -v[49:50]
	s_delay_alu instid0(VALU_DEP_2) | instskip(SKIP_1) | instid1(VALU_DEP_3)
	v_add_f64 v[59:60], v[53:54], -v[57:58]
	v_add_f64 v[49:50], v[51:52], -v[57:58]
	v_add_f64 v[51:52], v[47:48], v[43:44]
	s_delay_alu instid0(VALU_DEP_3) | instskip(NEXT) | instid1(VALU_DEP_1)
	v_add_f64 v[45:46], v[45:46], -v[59:60]
	v_add_f64 v[45:46], v[49:50], v[45:46]
	s_delay_alu instid0(VALU_DEP_3) | instskip(NEXT) | instid1(VALU_DEP_2)
	v_add_f64 v[49:50], v[51:52], -v[47:48]
	v_add_f64 v[45:46], v[51:52], v[45:46]
	s_delay_alu instid0(VALU_DEP_2) | instskip(SKIP_1) | instid1(VALU_DEP_3)
	v_add_f64 v[51:52], v[51:52], -v[49:50]
	v_add_f64 v[43:44], v[43:44], -v[49:50]
	v_add_f64 v[55:56], v[53:54], v[45:46]
	s_delay_alu instid0(VALU_DEP_3) | instskip(NEXT) | instid1(VALU_DEP_2)
	v_add_f64 v[47:48], v[47:48], -v[51:52]
	v_add_f64 v[49:50], v[55:56], -v[53:54]
	s_delay_alu instid0(VALU_DEP_2) | instskip(NEXT) | instid1(VALU_DEP_2)
	v_add_f64 v[43:44], v[43:44], v[47:48]
	v_add_f64 v[45:46], v[45:46], -v[49:50]
	s_delay_alu instid0(VALU_DEP_1) | instskip(NEXT) | instid1(VALU_DEP_1)
	v_add_f64 v[43:44], v[43:44], v[45:46]
	v_add_f64 v[43:44], v[55:56], v[43:44]
	s_delay_alu instid0(VALU_DEP_1) | instskip(NEXT) | instid1(VALU_DEP_2)
	v_cndmask_b32_e64 v43, v43, v41, s20
	v_cndmask_b32_e64 v44, v44, v42, s20
	v_cmp_ngt_f64_e64 s20, -1.0, v[41:42]
	s_delay_alu instid0(VALU_DEP_1) | instskip(SKIP_1) | instid1(VALU_DEP_1)
	v_cndmask_b32_e64 v44, 0x7ff80000, v44, s20
	v_cmp_nge_f64_e64 s20, -1.0, v[41:42]
	v_cndmask_b32_e64 v43, 0, v43, s20
	v_cmp_neq_f64_e64 s20, -1.0, v[41:42]
	s_delay_alu instid0(VALU_DEP_1) | instskip(NEXT) | instid1(VALU_DEP_1)
	v_cndmask_b32_e64 v44, 0xfff00000, v44, s20
	v_add_f64 v[69:70], v[39:40], v[43:44]
.LBB26_38:
	s_or_b32 exec_lo, exec_lo, s26
	v_max_f64 v[39:40], v[25:26], v[25:26]
	s_delay_alu instid0(VALU_DEP_2) | instskip(SKIP_2) | instid1(VALU_DEP_3)
	v_max_f64 v[41:42], v[69:70], v[69:70]
	v_cmp_u_f64_e64 s21, v[69:70], v[69:70]
	v_cmp_u_f64_e64 s20, v[25:26], v[25:26]
	v_min_f64 v[43:44], v[41:42], v[39:40]
	v_max_f64 v[41:42], v[41:42], v[39:40]
	s_delay_alu instid0(VALU_DEP_2) | instskip(NEXT) | instid1(VALU_DEP_3)
	v_cndmask_b32_e64 v43, v43, v69, s21
	v_cndmask_b32_e64 v44, v44, v70, s21
	s_delay_alu instid0(VALU_DEP_3) | instskip(NEXT) | instid1(VALU_DEP_4)
	v_cndmask_b32_e64 v42, v42, v70, s21
	v_cndmask_b32_e64 v41, v41, v69, s21
	s_delay_alu instid0(VALU_DEP_4) | instskip(NEXT) | instid1(VALU_DEP_4)
	v_cndmask_b32_e64 v43, v43, v25, s20
	v_cndmask_b32_e64 v44, v44, v26, s20
	s_delay_alu instid0(VALU_DEP_4) | instskip(NEXT) | instid1(VALU_DEP_4)
	v_cndmask_b32_e64 v42, v42, v26, s20
	v_cndmask_b32_e64 v41, v41, v25, s20
	s_delay_alu instid0(VALU_DEP_3) | instskip(NEXT) | instid1(VALU_DEP_2)
	v_cmp_class_f64_e64 s22, v[43:44], 0x1f8
	v_cmp_neq_f64_e64 s21, v[43:44], v[41:42]
	s_delay_alu instid0(VALU_DEP_1) | instskip(NEXT) | instid1(SALU_CYCLE_1)
	s_or_b32 s21, s21, s22
	s_and_saveexec_b32 s28, s21
	s_cbranch_execz .LBB26_40
; %bb.39:
	v_add_f64 v[43:44], v[43:44], -v[41:42]
	s_mov_b32 s22, 0x652b82fe
	s_mov_b32 s23, 0x3ff71547
	;; [unrolled: 1-line block ×10, first 2 shown]
	s_delay_alu instid0(VALU_DEP_1) | instskip(SKIP_3) | instid1(VALU_DEP_2)
	v_mul_f64 v[45:46], v[43:44], s[22:23]
	s_mov_b32 s22, 0xfca7ab0c
	s_mov_b32 s23, 0x3e928af3
	v_cmp_nlt_f64_e64 s21, 0x40900000, v[43:44]
	v_rndne_f64_e32 v[45:46], v[45:46]
	s_delay_alu instid0(VALU_DEP_1) | instskip(SKIP_2) | instid1(VALU_DEP_2)
	v_fma_f64 v[47:48], v[45:46], s[24:25], v[43:44]
	v_cvt_i32_f64_e32 v51, v[45:46]
	s_mov_b32 s25, 0x3fe62e42
	v_fma_f64 v[47:48], v[45:46], s[26:27], v[47:48]
	s_mov_b32 s27, 0x3c7abc9e
	s_delay_alu instid0(VALU_DEP_1) | instskip(SKIP_4) | instid1(VALU_DEP_1)
	v_fma_f64 v[49:50], v[47:48], s[30:31], s[22:23]
	s_mov_b32 s22, 0x623fde64
	s_mov_b32 s23, 0x3ec71dee
	;; [unrolled: 1-line block ×4, first 2 shown]
	v_fma_f64 v[49:50], v[47:48], v[49:50], s[22:23]
	s_mov_b32 s22, 0x7c89e6b0
	s_mov_b32 s23, 0x3efa0199
	s_delay_alu instid0(VALU_DEP_1) | instid1(SALU_CYCLE_1)
	v_fma_f64 v[49:50], v[47:48], v[49:50], s[22:23]
	s_mov_b32 s22, 0x14761f6e
	s_mov_b32 s23, 0x3f2a01a0
	s_delay_alu instid0(VALU_DEP_1) | instid1(SALU_CYCLE_1)
	;; [unrolled: 4-line block ×7, first 2 shown]
	v_fma_f64 v[49:50], v[47:48], v[49:50], s[22:23]
	v_cmp_ngt_f64_e64 s22, 0xc090cc00, v[43:44]
	s_mov_b32 s23, 0x3fe55555
	s_delay_alu instid0(VALU_DEP_2) | instskip(NEXT) | instid1(VALU_DEP_1)
	v_fma_f64 v[49:50], v[47:48], v[49:50], 1.0
	v_fma_f64 v[45:46], v[47:48], v[49:50], 1.0
	s_delay_alu instid0(VALU_DEP_1) | instskip(NEXT) | instid1(VALU_DEP_1)
	v_ldexp_f64 v[45:46], v[45:46], v51
	v_cndmask_b32_e64 v46, 0x7ff00000, v46, s21
	s_and_b32 s21, s22, s21
	s_delay_alu instid0(VALU_DEP_2) | instid1(SALU_CYCLE_1)
	v_cndmask_b32_e64 v43, 0, v45, s21
	s_delay_alu instid0(VALU_DEP_2) | instskip(SKIP_1) | instid1(VALU_DEP_1)
	v_cndmask_b32_e64 v44, 0, v46, s22
	s_mov_b32 s22, 0x55555555
	v_add_f64 v[45:46], v[43:44], 1.0
	s_delay_alu instid0(VALU_DEP_1) | instskip(SKIP_2) | instid1(VALU_DEP_3)
	v_frexp_mant_f64_e32 v[47:48], v[45:46]
	v_frexp_exp_i32_f64_e32 v51, v[45:46]
	v_add_f64 v[49:50], v[45:46], -1.0
	v_cmp_gt_f64_e64 s21, s[22:23], v[47:48]
	s_mov_b32 s22, 0x55555780
	s_delay_alu instid0(VALU_DEP_2) | instskip(SKIP_1) | instid1(VALU_DEP_3)
	v_add_f64 v[47:48], v[49:50], -v[45:46]
	v_add_f64 v[49:50], v[43:44], -v[49:50]
	v_subrev_co_ci_u32_e64 v73, s21, 0, v51, s21
	s_delay_alu instid0(VALU_DEP_3) | instskip(SKIP_1) | instid1(VALU_DEP_3)
	v_add_f64 v[47:48], v[47:48], 1.0
	v_cmp_eq_f64_e64 s21, 0x7ff00000, v[43:44]
	v_sub_nc_u32_e32 v53, 0, v73
	s_delay_alu instid0(VALU_DEP_1) | instskip(NEXT) | instid1(VALU_DEP_4)
	v_ldexp_f64 v[45:46], v[45:46], v53
	v_add_f64 v[47:48], v[49:50], v[47:48]
	s_delay_alu instid0(VALU_DEP_2) | instskip(SKIP_1) | instid1(VALU_DEP_3)
	v_add_f64 v[51:52], v[45:46], 1.0
	v_add_f64 v[57:58], v[45:46], -1.0
	v_ldexp_f64 v[47:48], v[47:48], v53
	s_delay_alu instid0(VALU_DEP_3) | instskip(NEXT) | instid1(VALU_DEP_3)
	v_add_f64 v[49:50], v[51:52], -1.0
	v_add_f64 v[59:60], v[57:58], 1.0
	s_delay_alu instid0(VALU_DEP_2) | instskip(NEXT) | instid1(VALU_DEP_2)
	v_add_f64 v[49:50], v[45:46], -v[49:50]
	v_add_f64 v[45:46], v[45:46], -v[59:60]
	s_delay_alu instid0(VALU_DEP_2) | instskip(NEXT) | instid1(VALU_DEP_2)
	v_add_f64 v[49:50], v[47:48], v[49:50]
	v_add_f64 v[45:46], v[47:48], v[45:46]
	s_delay_alu instid0(VALU_DEP_2) | instskip(NEXT) | instid1(VALU_DEP_2)
	v_add_f64 v[53:54], v[51:52], v[49:50]
	v_add_f64 v[59:60], v[57:58], v[45:46]
	s_delay_alu instid0(VALU_DEP_2) | instskip(SKIP_1) | instid1(VALU_DEP_2)
	v_rcp_f64_e32 v[55:56], v[53:54]
	v_add_f64 v[51:52], v[53:54], -v[51:52]
	v_add_f64 v[57:58], v[59:60], -v[57:58]
	s_delay_alu instid0(VALU_DEP_2) | instskip(SKIP_3) | instid1(VALU_DEP_2)
	v_add_f64 v[49:50], v[49:50], -v[51:52]
	s_waitcnt_depctr 0xfff
	v_fma_f64 v[61:62], -v[53:54], v[55:56], 1.0
	v_add_f64 v[45:46], v[45:46], -v[57:58]
	v_fma_f64 v[55:56], v[61:62], v[55:56], v[55:56]
	s_delay_alu instid0(VALU_DEP_1) | instskip(NEXT) | instid1(VALU_DEP_1)
	v_fma_f64 v[47:48], -v[53:54], v[55:56], 1.0
	v_fma_f64 v[47:48], v[47:48], v[55:56], v[55:56]
	s_delay_alu instid0(VALU_DEP_1) | instskip(NEXT) | instid1(VALU_DEP_1)
	v_mul_f64 v[55:56], v[59:60], v[47:48]
	v_mul_f64 v[61:62], v[53:54], v[55:56]
	s_delay_alu instid0(VALU_DEP_1) | instskip(NEXT) | instid1(VALU_DEP_1)
	v_fma_f64 v[51:52], v[55:56], v[53:54], -v[61:62]
	v_fma_f64 v[51:52], v[55:56], v[49:50], v[51:52]
	s_delay_alu instid0(VALU_DEP_1) | instskip(NEXT) | instid1(VALU_DEP_1)
	v_add_f64 v[69:70], v[61:62], v[51:52]
	v_add_f64 v[71:72], v[59:60], -v[69:70]
	v_add_f64 v[57:58], v[69:70], -v[61:62]
	s_delay_alu instid0(VALU_DEP_2) | instskip(NEXT) | instid1(VALU_DEP_2)
	v_add_f64 v[59:60], v[59:60], -v[71:72]
	v_add_f64 v[51:52], v[57:58], -v[51:52]
	s_delay_alu instid0(VALU_DEP_2) | instskip(NEXT) | instid1(VALU_DEP_1)
	v_add_f64 v[59:60], v[59:60], -v[69:70]
	v_add_f64 v[45:46], v[45:46], v[59:60]
	s_delay_alu instid0(VALU_DEP_1) | instskip(NEXT) | instid1(VALU_DEP_1)
	v_add_f64 v[45:46], v[51:52], v[45:46]
	v_add_f64 v[51:52], v[71:72], v[45:46]
	s_delay_alu instid0(VALU_DEP_1) | instskip(SKIP_1) | instid1(VALU_DEP_2)
	v_mul_f64 v[57:58], v[47:48], v[51:52]
	v_add_f64 v[69:70], v[71:72], -v[51:52]
	v_mul_f64 v[59:60], v[53:54], v[57:58]
	s_delay_alu instid0(VALU_DEP_2) | instskip(NEXT) | instid1(VALU_DEP_2)
	v_add_f64 v[45:46], v[45:46], v[69:70]
	v_fma_f64 v[53:54], v[57:58], v[53:54], -v[59:60]
	s_delay_alu instid0(VALU_DEP_1) | instskip(NEXT) | instid1(VALU_DEP_1)
	v_fma_f64 v[49:50], v[57:58], v[49:50], v[53:54]
	v_add_f64 v[53:54], v[59:60], v[49:50]
	s_delay_alu instid0(VALU_DEP_1) | instskip(SKIP_1) | instid1(VALU_DEP_2)
	v_add_f64 v[61:62], v[51:52], -v[53:54]
	v_add_f64 v[59:60], v[53:54], -v[59:60]
	;; [unrolled: 1-line block ×3, first 2 shown]
	s_delay_alu instid0(VALU_DEP_2) | instskip(NEXT) | instid1(VALU_DEP_2)
	v_add_f64 v[49:50], v[59:60], -v[49:50]
	v_add_f64 v[51:52], v[51:52], -v[53:54]
	s_delay_alu instid0(VALU_DEP_1) | instskip(SKIP_1) | instid1(VALU_DEP_2)
	v_add_f64 v[45:46], v[45:46], v[51:52]
	v_add_f64 v[51:52], v[55:56], v[57:58]
	;; [unrolled: 1-line block ×3, first 2 shown]
	s_delay_alu instid0(VALU_DEP_2) | instskip(NEXT) | instid1(VALU_DEP_2)
	v_add_f64 v[49:50], v[51:52], -v[55:56]
	v_add_f64 v[45:46], v[61:62], v[45:46]
	s_delay_alu instid0(VALU_DEP_2) | instskip(NEXT) | instid1(VALU_DEP_2)
	v_add_f64 v[49:50], v[57:58], -v[49:50]
	v_mul_f64 v[45:46], v[47:48], v[45:46]
	s_delay_alu instid0(VALU_DEP_1) | instskip(NEXT) | instid1(VALU_DEP_1)
	v_add_f64 v[45:46], v[49:50], v[45:46]
	v_add_f64 v[47:48], v[51:52], v[45:46]
	s_delay_alu instid0(VALU_DEP_1) | instskip(NEXT) | instid1(VALU_DEP_1)
	v_mul_f64 v[49:50], v[47:48], v[47:48]
	v_fma_f64 v[53:54], v[49:50], s[34:35], s[30:31]
	s_mov_b32 s30, 0xd7f4df2e
	s_mov_b32 s31, 0x3fc7474d
	v_mul_f64 v[55:56], v[47:48], v[49:50]
	s_delay_alu instid0(VALU_DEP_2)
	v_fma_f64 v[53:54], v[49:50], v[53:54], s[30:31]
	s_mov_b32 s30, 0x16291751
	s_mov_b32 s31, 0x3fcc71c0
	s_delay_alu instid0(VALU_DEP_1) | instid1(SALU_CYCLE_1)
	v_fma_f64 v[53:54], v[49:50], v[53:54], s[30:31]
	s_mov_b32 s30, 0x9b27acf1
	s_mov_b32 s31, 0x3fd24924
	s_delay_alu instid0(VALU_DEP_1) | instid1(SALU_CYCLE_1)
	;; [unrolled: 4-line block ×3, first 2 shown]
	v_fma_f64 v[53:54], v[49:50], v[53:54], s[30:31]
	s_delay_alu instid0(VALU_DEP_1) | instskip(SKIP_2) | instid1(VALU_DEP_3)
	v_fma_f64 v[49:50], v[49:50], v[53:54], s[22:23]
	v_ldexp_f64 v[53:54], v[47:48], 1
	v_add_f64 v[47:48], v[47:48], -v[51:52]
	v_mul_f64 v[49:50], v[55:56], v[49:50]
	v_cvt_f64_i32_e32 v[55:56], v73
	s_delay_alu instid0(VALU_DEP_3) | instskip(NEXT) | instid1(VALU_DEP_3)
	v_add_f64 v[45:46], v[45:46], -v[47:48]
	v_add_f64 v[51:52], v[53:54], v[49:50]
	s_delay_alu instid0(VALU_DEP_3) | instskip(NEXT) | instid1(VALU_DEP_3)
	v_mul_f64 v[57:58], v[55:56], s[24:25]
	v_ldexp_f64 v[45:46], v[45:46], 1
	s_delay_alu instid0(VALU_DEP_3) | instskip(NEXT) | instid1(VALU_DEP_3)
	v_add_f64 v[47:48], v[51:52], -v[53:54]
	v_fma_f64 v[53:54], v[55:56], s[24:25], -v[57:58]
	s_delay_alu instid0(VALU_DEP_2) | instskip(NEXT) | instid1(VALU_DEP_2)
	v_add_f64 v[47:48], v[49:50], -v[47:48]
	v_fma_f64 v[49:50], v[55:56], s[26:27], v[53:54]
	s_delay_alu instid0(VALU_DEP_2) | instskip(NEXT) | instid1(VALU_DEP_2)
	v_add_f64 v[45:46], v[45:46], v[47:48]
	v_add_f64 v[47:48], v[57:58], v[49:50]
	s_delay_alu instid0(VALU_DEP_2) | instskip(NEXT) | instid1(VALU_DEP_2)
	v_add_f64 v[53:54], v[51:52], v[45:46]
	v_add_f64 v[57:58], v[47:48], -v[57:58]
	s_delay_alu instid0(VALU_DEP_2) | instskip(SKIP_1) | instid1(VALU_DEP_3)
	v_add_f64 v[55:56], v[47:48], v[53:54]
	v_add_f64 v[51:52], v[53:54], -v[51:52]
	v_add_f64 v[49:50], v[49:50], -v[57:58]
	s_delay_alu instid0(VALU_DEP_3) | instskip(NEXT) | instid1(VALU_DEP_3)
	v_add_f64 v[59:60], v[55:56], -v[47:48]
	v_add_f64 v[45:46], v[45:46], -v[51:52]
	s_delay_alu instid0(VALU_DEP_2) | instskip(SKIP_1) | instid1(VALU_DEP_3)
	v_add_f64 v[61:62], v[55:56], -v[59:60]
	v_add_f64 v[51:52], v[53:54], -v[59:60]
	v_add_f64 v[53:54], v[49:50], v[45:46]
	s_delay_alu instid0(VALU_DEP_3) | instskip(NEXT) | instid1(VALU_DEP_1)
	v_add_f64 v[47:48], v[47:48], -v[61:62]
	v_add_f64 v[47:48], v[51:52], v[47:48]
	s_delay_alu instid0(VALU_DEP_3) | instskip(NEXT) | instid1(VALU_DEP_2)
	v_add_f64 v[51:52], v[53:54], -v[49:50]
	v_add_f64 v[47:48], v[53:54], v[47:48]
	s_delay_alu instid0(VALU_DEP_2) | instskip(SKIP_1) | instid1(VALU_DEP_3)
	v_add_f64 v[53:54], v[53:54], -v[51:52]
	v_add_f64 v[45:46], v[45:46], -v[51:52]
	v_add_f64 v[57:58], v[55:56], v[47:48]
	s_delay_alu instid0(VALU_DEP_3) | instskip(NEXT) | instid1(VALU_DEP_2)
	v_add_f64 v[49:50], v[49:50], -v[53:54]
	v_add_f64 v[51:52], v[57:58], -v[55:56]
	s_delay_alu instid0(VALU_DEP_2) | instskip(NEXT) | instid1(VALU_DEP_2)
	v_add_f64 v[45:46], v[45:46], v[49:50]
	v_add_f64 v[47:48], v[47:48], -v[51:52]
	s_delay_alu instid0(VALU_DEP_1) | instskip(NEXT) | instid1(VALU_DEP_1)
	v_add_f64 v[45:46], v[45:46], v[47:48]
	v_add_f64 v[45:46], v[57:58], v[45:46]
	s_delay_alu instid0(VALU_DEP_1) | instskip(NEXT) | instid1(VALU_DEP_2)
	v_cndmask_b32_e64 v45, v45, v43, s21
	v_cndmask_b32_e64 v46, v46, v44, s21
	v_cmp_ngt_f64_e64 s21, -1.0, v[43:44]
	s_delay_alu instid0(VALU_DEP_1) | instskip(SKIP_1) | instid1(VALU_DEP_1)
	v_cndmask_b32_e64 v46, 0x7ff80000, v46, s21
	v_cmp_nge_f64_e64 s21, -1.0, v[43:44]
	v_cndmask_b32_e64 v45, 0, v45, s21
	v_cmp_neq_f64_e64 s21, -1.0, v[43:44]
	s_delay_alu instid0(VALU_DEP_1) | instskip(NEXT) | instid1(VALU_DEP_1)
	v_cndmask_b32_e64 v46, 0xfff00000, v46, s21
	v_add_f64 v[69:70], v[41:42], v[45:46]
.LBB26_40:
	s_or_b32 exec_lo, exec_lo, s28
	v_max_f64 v[41:42], v[27:28], v[27:28]
	s_delay_alu instid0(VALU_DEP_2) | instskip(SKIP_2) | instid1(VALU_DEP_3)
	v_max_f64 v[43:44], v[69:70], v[69:70]
	v_cmp_u_f64_e64 s22, v[69:70], v[69:70]
	v_cmp_u_f64_e64 s21, v[27:28], v[27:28]
	v_min_f64 v[45:46], v[43:44], v[41:42]
	v_max_f64 v[43:44], v[43:44], v[41:42]
	s_delay_alu instid0(VALU_DEP_2) | instskip(NEXT) | instid1(VALU_DEP_3)
	v_cndmask_b32_e64 v45, v45, v69, s22
	v_cndmask_b32_e64 v46, v46, v70, s22
	s_delay_alu instid0(VALU_DEP_3) | instskip(NEXT) | instid1(VALU_DEP_4)
	v_cndmask_b32_e64 v44, v44, v70, s22
	v_cndmask_b32_e64 v43, v43, v69, s22
	s_delay_alu instid0(VALU_DEP_4) | instskip(NEXT) | instid1(VALU_DEP_4)
	v_cndmask_b32_e64 v45, v45, v27, s21
	v_cndmask_b32_e64 v46, v46, v28, s21
	s_delay_alu instid0(VALU_DEP_4) | instskip(NEXT) | instid1(VALU_DEP_4)
	v_cndmask_b32_e64 v44, v44, v28, s21
	v_cndmask_b32_e64 v43, v43, v27, s21
	s_delay_alu instid0(VALU_DEP_3) | instskip(NEXT) | instid1(VALU_DEP_2)
	v_cmp_class_f64_e64 s23, v[45:46], 0x1f8
	v_cmp_neq_f64_e64 s22, v[45:46], v[43:44]
	s_delay_alu instid0(VALU_DEP_1) | instskip(NEXT) | instid1(SALU_CYCLE_1)
	s_or_b32 s22, s22, s23
	s_and_saveexec_b32 s28, s22
	s_cbranch_execz .LBB26_42
; %bb.41:
	v_add_f64 v[45:46], v[45:46], -v[43:44]
	s_mov_b32 s22, 0x652b82fe
	s_mov_b32 s23, 0x3ff71547
	;; [unrolled: 1-line block ×10, first 2 shown]
	s_delay_alu instid0(VALU_DEP_1) | instskip(SKIP_2) | instid1(VALU_DEP_1)
	v_mul_f64 v[47:48], v[45:46], s[22:23]
	s_mov_b32 s22, 0xfca7ab0c
	s_mov_b32 s23, 0x3e928af3
	v_rndne_f64_e32 v[47:48], v[47:48]
	s_delay_alu instid0(VALU_DEP_1) | instskip(SKIP_2) | instid1(VALU_DEP_2)
	v_fma_f64 v[49:50], v[47:48], s[24:25], v[45:46]
	v_cvt_i32_f64_e32 v53, v[47:48]
	s_mov_b32 s25, 0x3fe62e42
	v_fma_f64 v[49:50], v[47:48], s[26:27], v[49:50]
	s_mov_b32 s27, 0x3c7abc9e
	s_delay_alu instid0(VALU_DEP_1) | instskip(SKIP_4) | instid1(VALU_DEP_1)
	v_fma_f64 v[51:52], v[49:50], s[30:31], s[22:23]
	s_mov_b32 s22, 0x623fde64
	s_mov_b32 s23, 0x3ec71dee
	;; [unrolled: 1-line block ×4, first 2 shown]
	v_fma_f64 v[51:52], v[49:50], v[51:52], s[22:23]
	s_mov_b32 s22, 0x7c89e6b0
	s_mov_b32 s23, 0x3efa0199
	s_delay_alu instid0(VALU_DEP_1) | instid1(SALU_CYCLE_1)
	v_fma_f64 v[51:52], v[49:50], v[51:52], s[22:23]
	s_mov_b32 s22, 0x14761f6e
	s_mov_b32 s23, 0x3f2a01a0
	s_delay_alu instid0(VALU_DEP_1) | instid1(SALU_CYCLE_1)
	;; [unrolled: 4-line block ×7, first 2 shown]
	v_fma_f64 v[51:52], v[49:50], v[51:52], s[22:23]
	v_cmp_nlt_f64_e64 s22, 0x40900000, v[45:46]
	v_cmp_ngt_f64_e64 s23, 0xc090cc00, v[45:46]
	s_delay_alu instid0(VALU_DEP_3) | instskip(NEXT) | instid1(VALU_DEP_1)
	v_fma_f64 v[51:52], v[49:50], v[51:52], 1.0
	v_fma_f64 v[47:48], v[49:50], v[51:52], 1.0
	s_delay_alu instid0(VALU_DEP_1) | instskip(NEXT) | instid1(VALU_DEP_1)
	v_ldexp_f64 v[47:48], v[47:48], v53
	v_cndmask_b32_e64 v48, 0x7ff00000, v48, s22
	s_and_b32 s22, s23, s22
	s_delay_alu instid0(VALU_DEP_2) | instid1(SALU_CYCLE_1)
	v_cndmask_b32_e64 v45, 0, v47, s22
	s_mov_b32 s22, 0x55555555
	s_delay_alu instid0(VALU_DEP_2) | instskip(SKIP_1) | instid1(VALU_DEP_1)
	v_cndmask_b32_e64 v46, 0, v48, s23
	s_mov_b32 s23, 0x3fe55555
	v_add_f64 v[47:48], v[45:46], 1.0
	s_delay_alu instid0(VALU_DEP_1) | instskip(SKIP_2) | instid1(VALU_DEP_3)
	v_frexp_mant_f64_e32 v[49:50], v[47:48]
	v_frexp_exp_i32_f64_e32 v53, v[47:48]
	v_add_f64 v[51:52], v[47:48], -1.0
	v_cmp_gt_f64_e64 s22, s[22:23], v[49:50]
	s_delay_alu instid0(VALU_DEP_2) | instskip(SKIP_1) | instid1(VALU_DEP_3)
	v_add_f64 v[49:50], v[51:52], -v[47:48]
	v_add_f64 v[51:52], v[45:46], -v[51:52]
	v_subrev_co_ci_u32_e64 v75, s22, 0, v53, s22
	s_delay_alu instid0(VALU_DEP_3) | instskip(SKIP_1) | instid1(VALU_DEP_2)
	v_add_f64 v[49:50], v[49:50], 1.0
	s_mov_b32 s22, 0x55555780
	v_sub_nc_u32_e32 v55, 0, v75
	s_delay_alu instid0(VALU_DEP_1) | instskip(NEXT) | instid1(VALU_DEP_3)
	v_ldexp_f64 v[47:48], v[47:48], v55
	v_add_f64 v[49:50], v[51:52], v[49:50]
	s_delay_alu instid0(VALU_DEP_2) | instskip(SKIP_1) | instid1(VALU_DEP_3)
	v_add_f64 v[53:54], v[47:48], 1.0
	v_add_f64 v[59:60], v[47:48], -1.0
	v_ldexp_f64 v[49:50], v[49:50], v55
	s_delay_alu instid0(VALU_DEP_3) | instskip(NEXT) | instid1(VALU_DEP_3)
	v_add_f64 v[51:52], v[53:54], -1.0
	v_add_f64 v[61:62], v[59:60], 1.0
	s_delay_alu instid0(VALU_DEP_2) | instskip(NEXT) | instid1(VALU_DEP_2)
	v_add_f64 v[51:52], v[47:48], -v[51:52]
	v_add_f64 v[47:48], v[47:48], -v[61:62]
	s_delay_alu instid0(VALU_DEP_2) | instskip(NEXT) | instid1(VALU_DEP_2)
	v_add_f64 v[51:52], v[49:50], v[51:52]
	v_add_f64 v[47:48], v[49:50], v[47:48]
	s_delay_alu instid0(VALU_DEP_2) | instskip(NEXT) | instid1(VALU_DEP_2)
	v_add_f64 v[55:56], v[53:54], v[51:52]
	v_add_f64 v[61:62], v[59:60], v[47:48]
	s_delay_alu instid0(VALU_DEP_2) | instskip(SKIP_1) | instid1(VALU_DEP_2)
	v_rcp_f64_e32 v[57:58], v[55:56]
	v_add_f64 v[53:54], v[55:56], -v[53:54]
	v_add_f64 v[59:60], v[61:62], -v[59:60]
	s_delay_alu instid0(VALU_DEP_2) | instskip(SKIP_3) | instid1(VALU_DEP_2)
	v_add_f64 v[51:52], v[51:52], -v[53:54]
	s_waitcnt_depctr 0xfff
	v_fma_f64 v[69:70], -v[55:56], v[57:58], 1.0
	v_add_f64 v[47:48], v[47:48], -v[59:60]
	v_fma_f64 v[57:58], v[69:70], v[57:58], v[57:58]
	s_delay_alu instid0(VALU_DEP_1) | instskip(NEXT) | instid1(VALU_DEP_1)
	v_fma_f64 v[49:50], -v[55:56], v[57:58], 1.0
	v_fma_f64 v[49:50], v[49:50], v[57:58], v[57:58]
	s_delay_alu instid0(VALU_DEP_1) | instskip(NEXT) | instid1(VALU_DEP_1)
	v_mul_f64 v[57:58], v[61:62], v[49:50]
	v_mul_f64 v[69:70], v[55:56], v[57:58]
	s_delay_alu instid0(VALU_DEP_1) | instskip(NEXT) | instid1(VALU_DEP_1)
	v_fma_f64 v[53:54], v[57:58], v[55:56], -v[69:70]
	v_fma_f64 v[53:54], v[57:58], v[51:52], v[53:54]
	s_delay_alu instid0(VALU_DEP_1) | instskip(NEXT) | instid1(VALU_DEP_1)
	v_add_f64 v[71:72], v[69:70], v[53:54]
	v_add_f64 v[73:74], v[61:62], -v[71:72]
	v_add_f64 v[59:60], v[71:72], -v[69:70]
	s_delay_alu instid0(VALU_DEP_2) | instskip(NEXT) | instid1(VALU_DEP_2)
	v_add_f64 v[61:62], v[61:62], -v[73:74]
	v_add_f64 v[53:54], v[59:60], -v[53:54]
	s_delay_alu instid0(VALU_DEP_2) | instskip(NEXT) | instid1(VALU_DEP_1)
	v_add_f64 v[61:62], v[61:62], -v[71:72]
	v_add_f64 v[47:48], v[47:48], v[61:62]
	s_delay_alu instid0(VALU_DEP_1) | instskip(NEXT) | instid1(VALU_DEP_1)
	v_add_f64 v[47:48], v[53:54], v[47:48]
	v_add_f64 v[53:54], v[73:74], v[47:48]
	s_delay_alu instid0(VALU_DEP_1) | instskip(SKIP_1) | instid1(VALU_DEP_2)
	v_mul_f64 v[59:60], v[49:50], v[53:54]
	v_add_f64 v[71:72], v[73:74], -v[53:54]
	v_mul_f64 v[61:62], v[55:56], v[59:60]
	s_delay_alu instid0(VALU_DEP_2) | instskip(NEXT) | instid1(VALU_DEP_2)
	v_add_f64 v[47:48], v[47:48], v[71:72]
	v_fma_f64 v[55:56], v[59:60], v[55:56], -v[61:62]
	s_delay_alu instid0(VALU_DEP_1) | instskip(NEXT) | instid1(VALU_DEP_1)
	v_fma_f64 v[51:52], v[59:60], v[51:52], v[55:56]
	v_add_f64 v[55:56], v[61:62], v[51:52]
	s_delay_alu instid0(VALU_DEP_1) | instskip(SKIP_1) | instid1(VALU_DEP_2)
	v_add_f64 v[69:70], v[53:54], -v[55:56]
	v_add_f64 v[61:62], v[55:56], -v[61:62]
	;; [unrolled: 1-line block ×3, first 2 shown]
	s_delay_alu instid0(VALU_DEP_2) | instskip(NEXT) | instid1(VALU_DEP_2)
	v_add_f64 v[51:52], v[61:62], -v[51:52]
	v_add_f64 v[53:54], v[53:54], -v[55:56]
	s_delay_alu instid0(VALU_DEP_1) | instskip(SKIP_1) | instid1(VALU_DEP_2)
	v_add_f64 v[47:48], v[47:48], v[53:54]
	v_add_f64 v[53:54], v[57:58], v[59:60]
	;; [unrolled: 1-line block ×3, first 2 shown]
	s_delay_alu instid0(VALU_DEP_2) | instskip(NEXT) | instid1(VALU_DEP_2)
	v_add_f64 v[51:52], v[53:54], -v[57:58]
	v_add_f64 v[47:48], v[69:70], v[47:48]
	s_delay_alu instid0(VALU_DEP_2) | instskip(NEXT) | instid1(VALU_DEP_2)
	v_add_f64 v[51:52], v[59:60], -v[51:52]
	v_mul_f64 v[47:48], v[49:50], v[47:48]
	s_delay_alu instid0(VALU_DEP_1) | instskip(NEXT) | instid1(VALU_DEP_1)
	v_add_f64 v[47:48], v[51:52], v[47:48]
	v_add_f64 v[49:50], v[53:54], v[47:48]
	s_delay_alu instid0(VALU_DEP_1) | instskip(NEXT) | instid1(VALU_DEP_1)
	v_mul_f64 v[51:52], v[49:50], v[49:50]
	v_fma_f64 v[55:56], v[51:52], s[34:35], s[30:31]
	s_mov_b32 s30, 0xd7f4df2e
	s_mov_b32 s31, 0x3fc7474d
	v_mul_f64 v[57:58], v[49:50], v[51:52]
	s_delay_alu instid0(VALU_DEP_2)
	v_fma_f64 v[55:56], v[51:52], v[55:56], s[30:31]
	s_mov_b32 s30, 0x16291751
	s_mov_b32 s31, 0x3fcc71c0
	s_delay_alu instid0(VALU_DEP_1) | instid1(SALU_CYCLE_1)
	v_fma_f64 v[55:56], v[51:52], v[55:56], s[30:31]
	s_mov_b32 s30, 0x9b27acf1
	s_mov_b32 s31, 0x3fd24924
	s_delay_alu instid0(VALU_DEP_1) | instid1(SALU_CYCLE_1)
	;; [unrolled: 4-line block ×3, first 2 shown]
	v_fma_f64 v[55:56], v[51:52], v[55:56], s[30:31]
	s_delay_alu instid0(VALU_DEP_1) | instskip(SKIP_3) | instid1(VALU_DEP_4)
	v_fma_f64 v[51:52], v[51:52], v[55:56], s[22:23]
	v_ldexp_f64 v[55:56], v[49:50], 1
	v_add_f64 v[49:50], v[49:50], -v[53:54]
	v_cmp_eq_f64_e64 s22, 0x7ff00000, v[45:46]
	v_mul_f64 v[51:52], v[57:58], v[51:52]
	v_cvt_f64_i32_e32 v[57:58], v75
	s_delay_alu instid0(VALU_DEP_4) | instskip(NEXT) | instid1(VALU_DEP_3)
	v_add_f64 v[47:48], v[47:48], -v[49:50]
	v_add_f64 v[53:54], v[55:56], v[51:52]
	s_delay_alu instid0(VALU_DEP_3) | instskip(NEXT) | instid1(VALU_DEP_3)
	v_mul_f64 v[59:60], v[57:58], s[24:25]
	v_ldexp_f64 v[47:48], v[47:48], 1
	s_delay_alu instid0(VALU_DEP_3) | instskip(NEXT) | instid1(VALU_DEP_3)
	v_add_f64 v[49:50], v[53:54], -v[55:56]
	v_fma_f64 v[55:56], v[57:58], s[24:25], -v[59:60]
	s_delay_alu instid0(VALU_DEP_2) | instskip(NEXT) | instid1(VALU_DEP_2)
	v_add_f64 v[49:50], v[51:52], -v[49:50]
	v_fma_f64 v[51:52], v[57:58], s[26:27], v[55:56]
	s_delay_alu instid0(VALU_DEP_2) | instskip(NEXT) | instid1(VALU_DEP_2)
	v_add_f64 v[47:48], v[47:48], v[49:50]
	v_add_f64 v[49:50], v[59:60], v[51:52]
	s_delay_alu instid0(VALU_DEP_2) | instskip(NEXT) | instid1(VALU_DEP_2)
	v_add_f64 v[55:56], v[53:54], v[47:48]
	v_add_f64 v[59:60], v[49:50], -v[59:60]
	s_delay_alu instid0(VALU_DEP_2) | instskip(SKIP_1) | instid1(VALU_DEP_3)
	v_add_f64 v[57:58], v[49:50], v[55:56]
	v_add_f64 v[53:54], v[55:56], -v[53:54]
	v_add_f64 v[51:52], v[51:52], -v[59:60]
	s_delay_alu instid0(VALU_DEP_3) | instskip(NEXT) | instid1(VALU_DEP_3)
	v_add_f64 v[61:62], v[57:58], -v[49:50]
	v_add_f64 v[47:48], v[47:48], -v[53:54]
	s_delay_alu instid0(VALU_DEP_2) | instskip(SKIP_1) | instid1(VALU_DEP_3)
	v_add_f64 v[69:70], v[57:58], -v[61:62]
	v_add_f64 v[53:54], v[55:56], -v[61:62]
	v_add_f64 v[55:56], v[51:52], v[47:48]
	s_delay_alu instid0(VALU_DEP_3) | instskip(NEXT) | instid1(VALU_DEP_1)
	v_add_f64 v[49:50], v[49:50], -v[69:70]
	v_add_f64 v[49:50], v[53:54], v[49:50]
	s_delay_alu instid0(VALU_DEP_3) | instskip(NEXT) | instid1(VALU_DEP_2)
	v_add_f64 v[53:54], v[55:56], -v[51:52]
	v_add_f64 v[49:50], v[55:56], v[49:50]
	s_delay_alu instid0(VALU_DEP_2) | instskip(SKIP_1) | instid1(VALU_DEP_3)
	v_add_f64 v[55:56], v[55:56], -v[53:54]
	v_add_f64 v[47:48], v[47:48], -v[53:54]
	v_add_f64 v[59:60], v[57:58], v[49:50]
	s_delay_alu instid0(VALU_DEP_3) | instskip(NEXT) | instid1(VALU_DEP_2)
	v_add_f64 v[51:52], v[51:52], -v[55:56]
	v_add_f64 v[53:54], v[59:60], -v[57:58]
	s_delay_alu instid0(VALU_DEP_2) | instskip(NEXT) | instid1(VALU_DEP_2)
	v_add_f64 v[47:48], v[47:48], v[51:52]
	v_add_f64 v[49:50], v[49:50], -v[53:54]
	s_delay_alu instid0(VALU_DEP_1) | instskip(NEXT) | instid1(VALU_DEP_1)
	v_add_f64 v[47:48], v[47:48], v[49:50]
	v_add_f64 v[47:48], v[59:60], v[47:48]
	s_delay_alu instid0(VALU_DEP_1) | instskip(NEXT) | instid1(VALU_DEP_2)
	v_cndmask_b32_e64 v47, v47, v45, s22
	v_cndmask_b32_e64 v48, v48, v46, s22
	v_cmp_ngt_f64_e64 s22, -1.0, v[45:46]
	s_delay_alu instid0(VALU_DEP_1) | instskip(SKIP_1) | instid1(VALU_DEP_1)
	v_cndmask_b32_e64 v48, 0x7ff80000, v48, s22
	v_cmp_nge_f64_e64 s22, -1.0, v[45:46]
	v_cndmask_b32_e64 v47, 0, v47, s22
	v_cmp_neq_f64_e64 s22, -1.0, v[45:46]
	s_delay_alu instid0(VALU_DEP_1) | instskip(NEXT) | instid1(VALU_DEP_1)
	v_cndmask_b32_e64 v48, 0xfff00000, v48, s22
	v_add_f64 v[69:70], v[43:44], v[47:48]
.LBB26_42:
	s_or_b32 exec_lo, exec_lo, s28
	v_max_f64 v[43:44], v[21:22], v[21:22]
	s_delay_alu instid0(VALU_DEP_2) | instskip(SKIP_2) | instid1(VALU_DEP_3)
	v_max_f64 v[45:46], v[69:70], v[69:70]
	v_cmp_u_f64_e64 s23, v[69:70], v[69:70]
	v_cmp_u_f64_e64 s22, v[21:22], v[21:22]
	v_min_f64 v[47:48], v[45:46], v[43:44]
	v_max_f64 v[45:46], v[45:46], v[43:44]
	s_delay_alu instid0(VALU_DEP_2) | instskip(NEXT) | instid1(VALU_DEP_3)
	v_cndmask_b32_e64 v47, v47, v69, s23
	v_cndmask_b32_e64 v48, v48, v70, s23
	s_delay_alu instid0(VALU_DEP_3) | instskip(NEXT) | instid1(VALU_DEP_4)
	v_cndmask_b32_e64 v46, v46, v70, s23
	v_cndmask_b32_e64 v45, v45, v69, s23
	s_delay_alu instid0(VALU_DEP_4) | instskip(NEXT) | instid1(VALU_DEP_4)
	v_cndmask_b32_e64 v47, v47, v21, s22
	v_cndmask_b32_e64 v48, v48, v22, s22
	s_delay_alu instid0(VALU_DEP_4) | instskip(NEXT) | instid1(VALU_DEP_4)
	v_cndmask_b32_e64 v46, v46, v22, s22
	v_cndmask_b32_e64 v45, v45, v21, s22
	s_delay_alu instid0(VALU_DEP_3) | instskip(NEXT) | instid1(VALU_DEP_2)
	v_cmp_class_f64_e64 s24, v[47:48], 0x1f8
	v_cmp_neq_f64_e64 s23, v[47:48], v[45:46]
	s_delay_alu instid0(VALU_DEP_1) | instskip(NEXT) | instid1(SALU_CYCLE_1)
	s_or_b32 s23, s23, s24
	s_and_saveexec_b32 s30, s23
	s_cbranch_execz .LBB26_44
; %bb.43:
	v_add_f64 v[47:48], v[47:48], -v[45:46]
	s_mov_b32 s24, 0x652b82fe
	s_mov_b32 s25, 0x3ff71547
	;; [unrolled: 1-line block ×10, first 2 shown]
	s_delay_alu instid0(VALU_DEP_1) | instskip(SKIP_3) | instid1(VALU_DEP_2)
	v_mul_f64 v[49:50], v[47:48], s[24:25]
	s_mov_b32 s24, 0xfca7ab0c
	s_mov_b32 s25, 0x3e928af3
	v_cmp_nlt_f64_e64 s23, 0x40900000, v[47:48]
	v_rndne_f64_e32 v[49:50], v[49:50]
	s_delay_alu instid0(VALU_DEP_1) | instskip(SKIP_2) | instid1(VALU_DEP_2)
	v_fma_f64 v[51:52], v[49:50], s[26:27], v[47:48]
	v_cvt_i32_f64_e32 v55, v[49:50]
	s_mov_b32 s27, 0x3fe62e42
	v_fma_f64 v[51:52], v[49:50], s[28:29], v[51:52]
	s_mov_b32 s29, 0x3c7abc9e
	s_delay_alu instid0(VALU_DEP_1) | instskip(SKIP_4) | instid1(VALU_DEP_1)
	v_fma_f64 v[53:54], v[51:52], s[34:35], s[24:25]
	s_mov_b32 s24, 0x623fde64
	s_mov_b32 s25, 0x3ec71dee
	;; [unrolled: 1-line block ×4, first 2 shown]
	v_fma_f64 v[53:54], v[51:52], v[53:54], s[24:25]
	s_mov_b32 s24, 0x7c89e6b0
	s_mov_b32 s25, 0x3efa0199
	s_delay_alu instid0(VALU_DEP_1) | instid1(SALU_CYCLE_1)
	v_fma_f64 v[53:54], v[51:52], v[53:54], s[24:25]
	s_mov_b32 s24, 0x14761f6e
	s_mov_b32 s25, 0x3f2a01a0
	s_delay_alu instid0(VALU_DEP_1) | instid1(SALU_CYCLE_1)
	;; [unrolled: 4-line block ×7, first 2 shown]
	v_fma_f64 v[53:54], v[51:52], v[53:54], s[24:25]
	v_cmp_ngt_f64_e64 s24, 0xc090cc00, v[47:48]
	s_mov_b32 s25, 0x3fe55555
	s_delay_alu instid0(VALU_DEP_2) | instskip(NEXT) | instid1(VALU_DEP_1)
	v_fma_f64 v[53:54], v[51:52], v[53:54], 1.0
	v_fma_f64 v[49:50], v[51:52], v[53:54], 1.0
	s_delay_alu instid0(VALU_DEP_1) | instskip(NEXT) | instid1(VALU_DEP_1)
	v_ldexp_f64 v[49:50], v[49:50], v55
	v_cndmask_b32_e64 v50, 0x7ff00000, v50, s23
	s_and_b32 s23, s24, s23
	s_delay_alu instid0(VALU_DEP_2) | instid1(SALU_CYCLE_1)
	v_cndmask_b32_e64 v47, 0, v49, s23
	s_delay_alu instid0(VALU_DEP_2) | instskip(SKIP_1) | instid1(VALU_DEP_1)
	v_cndmask_b32_e64 v48, 0, v50, s24
	s_mov_b32 s24, 0x55555555
	v_add_f64 v[49:50], v[47:48], 1.0
	s_delay_alu instid0(VALU_DEP_1) | instskip(SKIP_2) | instid1(VALU_DEP_3)
	v_frexp_mant_f64_e32 v[51:52], v[49:50]
	v_frexp_exp_i32_f64_e32 v55, v[49:50]
	v_add_f64 v[53:54], v[49:50], -1.0
	v_cmp_gt_f64_e64 s23, s[24:25], v[51:52]
	s_mov_b32 s24, 0x55555780
	s_delay_alu instid0(VALU_DEP_2) | instskip(SKIP_1) | instid1(VALU_DEP_3)
	v_add_f64 v[51:52], v[53:54], -v[49:50]
	v_add_f64 v[53:54], v[47:48], -v[53:54]
	v_subrev_co_ci_u32_e64 v96, s23, 0, v55, s23
	s_delay_alu instid0(VALU_DEP_3) | instskip(SKIP_1) | instid1(VALU_DEP_3)
	v_add_f64 v[51:52], v[51:52], 1.0
	v_cmp_eq_f64_e64 s23, 0x7ff00000, v[47:48]
	v_sub_nc_u32_e32 v57, 0, v96
	s_delay_alu instid0(VALU_DEP_1) | instskip(NEXT) | instid1(VALU_DEP_4)
	v_ldexp_f64 v[49:50], v[49:50], v57
	v_add_f64 v[51:52], v[53:54], v[51:52]
	s_delay_alu instid0(VALU_DEP_2) | instskip(SKIP_1) | instid1(VALU_DEP_3)
	v_add_f64 v[55:56], v[49:50], 1.0
	v_add_f64 v[61:62], v[49:50], -1.0
	v_ldexp_f64 v[51:52], v[51:52], v57
	s_delay_alu instid0(VALU_DEP_3) | instskip(NEXT) | instid1(VALU_DEP_3)
	v_add_f64 v[53:54], v[55:56], -1.0
	v_add_f64 v[69:70], v[61:62], 1.0
	s_delay_alu instid0(VALU_DEP_2) | instskip(NEXT) | instid1(VALU_DEP_2)
	v_add_f64 v[53:54], v[49:50], -v[53:54]
	v_add_f64 v[49:50], v[49:50], -v[69:70]
	s_delay_alu instid0(VALU_DEP_2) | instskip(NEXT) | instid1(VALU_DEP_2)
	v_add_f64 v[53:54], v[51:52], v[53:54]
	v_add_f64 v[49:50], v[51:52], v[49:50]
	s_delay_alu instid0(VALU_DEP_2) | instskip(NEXT) | instid1(VALU_DEP_2)
	v_add_f64 v[57:58], v[55:56], v[53:54]
	v_add_f64 v[69:70], v[61:62], v[49:50]
	s_delay_alu instid0(VALU_DEP_2) | instskip(SKIP_1) | instid1(VALU_DEP_2)
	v_rcp_f64_e32 v[59:60], v[57:58]
	v_add_f64 v[55:56], v[57:58], -v[55:56]
	v_add_f64 v[61:62], v[69:70], -v[61:62]
	s_delay_alu instid0(VALU_DEP_2) | instskip(SKIP_3) | instid1(VALU_DEP_2)
	v_add_f64 v[53:54], v[53:54], -v[55:56]
	s_waitcnt_depctr 0xfff
	v_fma_f64 v[71:72], -v[57:58], v[59:60], 1.0
	v_add_f64 v[49:50], v[49:50], -v[61:62]
	v_fma_f64 v[59:60], v[71:72], v[59:60], v[59:60]
	s_delay_alu instid0(VALU_DEP_1) | instskip(NEXT) | instid1(VALU_DEP_1)
	v_fma_f64 v[51:52], -v[57:58], v[59:60], 1.0
	v_fma_f64 v[51:52], v[51:52], v[59:60], v[59:60]
	s_delay_alu instid0(VALU_DEP_1) | instskip(NEXT) | instid1(VALU_DEP_1)
	v_mul_f64 v[59:60], v[69:70], v[51:52]
	v_mul_f64 v[71:72], v[57:58], v[59:60]
	s_delay_alu instid0(VALU_DEP_1) | instskip(NEXT) | instid1(VALU_DEP_1)
	v_fma_f64 v[55:56], v[59:60], v[57:58], -v[71:72]
	v_fma_f64 v[55:56], v[59:60], v[53:54], v[55:56]
	s_delay_alu instid0(VALU_DEP_1) | instskip(NEXT) | instid1(VALU_DEP_1)
	v_add_f64 v[73:74], v[71:72], v[55:56]
	v_add_f64 v[75:76], v[69:70], -v[73:74]
	v_add_f64 v[61:62], v[73:74], -v[71:72]
	s_delay_alu instid0(VALU_DEP_2) | instskip(NEXT) | instid1(VALU_DEP_2)
	v_add_f64 v[69:70], v[69:70], -v[75:76]
	v_add_f64 v[55:56], v[61:62], -v[55:56]
	s_delay_alu instid0(VALU_DEP_2) | instskip(NEXT) | instid1(VALU_DEP_1)
	v_add_f64 v[69:70], v[69:70], -v[73:74]
	v_add_f64 v[49:50], v[49:50], v[69:70]
	s_delay_alu instid0(VALU_DEP_1) | instskip(NEXT) | instid1(VALU_DEP_1)
	v_add_f64 v[49:50], v[55:56], v[49:50]
	v_add_f64 v[55:56], v[75:76], v[49:50]
	s_delay_alu instid0(VALU_DEP_1) | instskip(SKIP_1) | instid1(VALU_DEP_2)
	v_mul_f64 v[61:62], v[51:52], v[55:56]
	v_add_f64 v[73:74], v[75:76], -v[55:56]
	v_mul_f64 v[69:70], v[57:58], v[61:62]
	s_delay_alu instid0(VALU_DEP_2) | instskip(NEXT) | instid1(VALU_DEP_2)
	v_add_f64 v[49:50], v[49:50], v[73:74]
	v_fma_f64 v[57:58], v[61:62], v[57:58], -v[69:70]
	s_delay_alu instid0(VALU_DEP_1) | instskip(NEXT) | instid1(VALU_DEP_1)
	v_fma_f64 v[53:54], v[61:62], v[53:54], v[57:58]
	v_add_f64 v[57:58], v[69:70], v[53:54]
	s_delay_alu instid0(VALU_DEP_1) | instskip(SKIP_1) | instid1(VALU_DEP_2)
	v_add_f64 v[71:72], v[55:56], -v[57:58]
	v_add_f64 v[69:70], v[57:58], -v[69:70]
	;; [unrolled: 1-line block ×3, first 2 shown]
	s_delay_alu instid0(VALU_DEP_2) | instskip(NEXT) | instid1(VALU_DEP_2)
	v_add_f64 v[53:54], v[69:70], -v[53:54]
	v_add_f64 v[55:56], v[55:56], -v[57:58]
	s_delay_alu instid0(VALU_DEP_1) | instskip(SKIP_1) | instid1(VALU_DEP_2)
	v_add_f64 v[49:50], v[49:50], v[55:56]
	v_add_f64 v[55:56], v[59:60], v[61:62]
	;; [unrolled: 1-line block ×3, first 2 shown]
	s_delay_alu instid0(VALU_DEP_2) | instskip(NEXT) | instid1(VALU_DEP_2)
	v_add_f64 v[53:54], v[55:56], -v[59:60]
	v_add_f64 v[49:50], v[71:72], v[49:50]
	s_delay_alu instid0(VALU_DEP_2) | instskip(NEXT) | instid1(VALU_DEP_2)
	v_add_f64 v[53:54], v[61:62], -v[53:54]
	v_mul_f64 v[49:50], v[51:52], v[49:50]
	s_delay_alu instid0(VALU_DEP_1) | instskip(NEXT) | instid1(VALU_DEP_1)
	v_add_f64 v[49:50], v[53:54], v[49:50]
	v_add_f64 v[51:52], v[55:56], v[49:50]
	s_delay_alu instid0(VALU_DEP_1) | instskip(NEXT) | instid1(VALU_DEP_1)
	v_mul_f64 v[53:54], v[51:52], v[51:52]
	v_fma_f64 v[57:58], v[53:54], s[36:37], s[34:35]
	s_mov_b32 s34, 0xd7f4df2e
	s_mov_b32 s35, 0x3fc7474d
	v_mul_f64 v[59:60], v[51:52], v[53:54]
	s_delay_alu instid0(VALU_DEP_2)
	v_fma_f64 v[57:58], v[53:54], v[57:58], s[34:35]
	s_mov_b32 s34, 0x16291751
	s_mov_b32 s35, 0x3fcc71c0
	s_delay_alu instid0(VALU_DEP_1) | instid1(SALU_CYCLE_1)
	v_fma_f64 v[57:58], v[53:54], v[57:58], s[34:35]
	s_mov_b32 s34, 0x9b27acf1
	s_mov_b32 s35, 0x3fd24924
	s_delay_alu instid0(VALU_DEP_1) | instid1(SALU_CYCLE_1)
	;; [unrolled: 4-line block ×3, first 2 shown]
	v_fma_f64 v[57:58], v[53:54], v[57:58], s[34:35]
	s_delay_alu instid0(VALU_DEP_1) | instskip(SKIP_2) | instid1(VALU_DEP_3)
	v_fma_f64 v[53:54], v[53:54], v[57:58], s[24:25]
	v_ldexp_f64 v[57:58], v[51:52], 1
	v_add_f64 v[51:52], v[51:52], -v[55:56]
	v_mul_f64 v[53:54], v[59:60], v[53:54]
	v_cvt_f64_i32_e32 v[59:60], v96
	s_delay_alu instid0(VALU_DEP_3) | instskip(NEXT) | instid1(VALU_DEP_3)
	v_add_f64 v[49:50], v[49:50], -v[51:52]
	v_add_f64 v[55:56], v[57:58], v[53:54]
	s_delay_alu instid0(VALU_DEP_3) | instskip(NEXT) | instid1(VALU_DEP_3)
	v_mul_f64 v[61:62], v[59:60], s[26:27]
	v_ldexp_f64 v[49:50], v[49:50], 1
	s_delay_alu instid0(VALU_DEP_3) | instskip(NEXT) | instid1(VALU_DEP_3)
	v_add_f64 v[51:52], v[55:56], -v[57:58]
	v_fma_f64 v[57:58], v[59:60], s[26:27], -v[61:62]
	s_delay_alu instid0(VALU_DEP_2) | instskip(NEXT) | instid1(VALU_DEP_2)
	v_add_f64 v[51:52], v[53:54], -v[51:52]
	v_fma_f64 v[53:54], v[59:60], s[28:29], v[57:58]
	s_delay_alu instid0(VALU_DEP_2) | instskip(NEXT) | instid1(VALU_DEP_2)
	v_add_f64 v[49:50], v[49:50], v[51:52]
	v_add_f64 v[51:52], v[61:62], v[53:54]
	s_delay_alu instid0(VALU_DEP_2) | instskip(NEXT) | instid1(VALU_DEP_2)
	v_add_f64 v[57:58], v[55:56], v[49:50]
	v_add_f64 v[61:62], v[51:52], -v[61:62]
	s_delay_alu instid0(VALU_DEP_2) | instskip(SKIP_1) | instid1(VALU_DEP_3)
	v_add_f64 v[59:60], v[51:52], v[57:58]
	v_add_f64 v[55:56], v[57:58], -v[55:56]
	v_add_f64 v[53:54], v[53:54], -v[61:62]
	s_delay_alu instid0(VALU_DEP_3) | instskip(NEXT) | instid1(VALU_DEP_3)
	v_add_f64 v[69:70], v[59:60], -v[51:52]
	v_add_f64 v[49:50], v[49:50], -v[55:56]
	s_delay_alu instid0(VALU_DEP_2) | instskip(SKIP_1) | instid1(VALU_DEP_3)
	v_add_f64 v[71:72], v[59:60], -v[69:70]
	v_add_f64 v[55:56], v[57:58], -v[69:70]
	v_add_f64 v[57:58], v[53:54], v[49:50]
	s_delay_alu instid0(VALU_DEP_3) | instskip(NEXT) | instid1(VALU_DEP_1)
	v_add_f64 v[51:52], v[51:52], -v[71:72]
	v_add_f64 v[51:52], v[55:56], v[51:52]
	s_delay_alu instid0(VALU_DEP_3) | instskip(NEXT) | instid1(VALU_DEP_2)
	v_add_f64 v[55:56], v[57:58], -v[53:54]
	v_add_f64 v[51:52], v[57:58], v[51:52]
	s_delay_alu instid0(VALU_DEP_2) | instskip(SKIP_1) | instid1(VALU_DEP_3)
	v_add_f64 v[57:58], v[57:58], -v[55:56]
	v_add_f64 v[49:50], v[49:50], -v[55:56]
	v_add_f64 v[61:62], v[59:60], v[51:52]
	s_delay_alu instid0(VALU_DEP_3) | instskip(NEXT) | instid1(VALU_DEP_2)
	v_add_f64 v[53:54], v[53:54], -v[57:58]
	v_add_f64 v[55:56], v[61:62], -v[59:60]
	s_delay_alu instid0(VALU_DEP_2) | instskip(NEXT) | instid1(VALU_DEP_2)
	v_add_f64 v[49:50], v[49:50], v[53:54]
	v_add_f64 v[51:52], v[51:52], -v[55:56]
	s_delay_alu instid0(VALU_DEP_1) | instskip(NEXT) | instid1(VALU_DEP_1)
	v_add_f64 v[49:50], v[49:50], v[51:52]
	v_add_f64 v[49:50], v[61:62], v[49:50]
	s_delay_alu instid0(VALU_DEP_1) | instskip(NEXT) | instid1(VALU_DEP_2)
	v_cndmask_b32_e64 v49, v49, v47, s23
	v_cndmask_b32_e64 v50, v50, v48, s23
	v_cmp_ngt_f64_e64 s23, -1.0, v[47:48]
	s_delay_alu instid0(VALU_DEP_1) | instskip(SKIP_1) | instid1(VALU_DEP_1)
	v_cndmask_b32_e64 v50, 0x7ff80000, v50, s23
	v_cmp_nge_f64_e64 s23, -1.0, v[47:48]
	v_cndmask_b32_e64 v49, 0, v49, s23
	v_cmp_neq_f64_e64 s23, -1.0, v[47:48]
	s_delay_alu instid0(VALU_DEP_1) | instskip(NEXT) | instid1(VALU_DEP_1)
	v_cndmask_b32_e64 v50, 0xfff00000, v50, s23
	v_add_f64 v[69:70], v[45:46], v[49:50]
.LBB26_44:
	s_or_b32 exec_lo, exec_lo, s30
	v_max_f64 v[45:46], v[23:24], v[23:24]
	s_delay_alu instid0(VALU_DEP_2) | instskip(SKIP_2) | instid1(VALU_DEP_3)
	v_max_f64 v[47:48], v[69:70], v[69:70]
	v_cmp_u_f64_e64 s24, v[69:70], v[69:70]
	v_cmp_u_f64_e64 s23, v[23:24], v[23:24]
	v_min_f64 v[49:50], v[47:48], v[45:46]
	v_max_f64 v[47:48], v[47:48], v[45:46]
	s_delay_alu instid0(VALU_DEP_2) | instskip(NEXT) | instid1(VALU_DEP_3)
	v_cndmask_b32_e64 v49, v49, v69, s24
	v_cndmask_b32_e64 v50, v50, v70, s24
	s_delay_alu instid0(VALU_DEP_3) | instskip(NEXT) | instid1(VALU_DEP_4)
	v_cndmask_b32_e64 v48, v48, v70, s24
	v_cndmask_b32_e64 v47, v47, v69, s24
	s_delay_alu instid0(VALU_DEP_4) | instskip(NEXT) | instid1(VALU_DEP_4)
	v_cndmask_b32_e64 v49, v49, v23, s23
	v_cndmask_b32_e64 v50, v50, v24, s23
	s_delay_alu instid0(VALU_DEP_4) | instskip(NEXT) | instid1(VALU_DEP_4)
	v_cndmask_b32_e64 v48, v48, v24, s23
	v_cndmask_b32_e64 v47, v47, v23, s23
	s_delay_alu instid0(VALU_DEP_3) | instskip(NEXT) | instid1(VALU_DEP_2)
	v_cmp_class_f64_e64 s25, v[49:50], 0x1f8
	v_cmp_neq_f64_e64 s24, v[49:50], v[47:48]
	s_delay_alu instid0(VALU_DEP_1) | instskip(NEXT) | instid1(SALU_CYCLE_1)
	s_or_b32 s24, s24, s25
	s_and_saveexec_b32 s30, s24
	s_cbranch_execz .LBB26_46
; %bb.45:
	v_add_f64 v[49:50], v[49:50], -v[47:48]
	s_mov_b32 s24, 0x652b82fe
	s_mov_b32 s25, 0x3ff71547
	;; [unrolled: 1-line block ×10, first 2 shown]
	s_delay_alu instid0(VALU_DEP_1) | instskip(SKIP_2) | instid1(VALU_DEP_1)
	v_mul_f64 v[51:52], v[49:50], s[24:25]
	s_mov_b32 s24, 0xfca7ab0c
	s_mov_b32 s25, 0x3e928af3
	v_rndne_f64_e32 v[51:52], v[51:52]
	s_delay_alu instid0(VALU_DEP_1) | instskip(SKIP_2) | instid1(VALU_DEP_2)
	v_fma_f64 v[53:54], v[51:52], s[26:27], v[49:50]
	v_cvt_i32_f64_e32 v57, v[51:52]
	s_mov_b32 s27, 0x3fe62e42
	v_fma_f64 v[53:54], v[51:52], s[28:29], v[53:54]
	s_mov_b32 s29, 0x3c7abc9e
	s_delay_alu instid0(VALU_DEP_1) | instskip(SKIP_4) | instid1(VALU_DEP_1)
	v_fma_f64 v[55:56], v[53:54], s[34:35], s[24:25]
	s_mov_b32 s24, 0x623fde64
	s_mov_b32 s25, 0x3ec71dee
	;; [unrolled: 1-line block ×4, first 2 shown]
	v_fma_f64 v[55:56], v[53:54], v[55:56], s[24:25]
	s_mov_b32 s24, 0x7c89e6b0
	s_mov_b32 s25, 0x3efa0199
	s_delay_alu instid0(VALU_DEP_1) | instid1(SALU_CYCLE_1)
	v_fma_f64 v[55:56], v[53:54], v[55:56], s[24:25]
	s_mov_b32 s24, 0x14761f6e
	s_mov_b32 s25, 0x3f2a01a0
	s_delay_alu instid0(VALU_DEP_1) | instid1(SALU_CYCLE_1)
	;; [unrolled: 4-line block ×7, first 2 shown]
	v_fma_f64 v[55:56], v[53:54], v[55:56], s[24:25]
	v_cmp_nlt_f64_e64 s24, 0x40900000, v[49:50]
	v_cmp_ngt_f64_e64 s25, 0xc090cc00, v[49:50]
	s_delay_alu instid0(VALU_DEP_3) | instskip(NEXT) | instid1(VALU_DEP_1)
	v_fma_f64 v[55:56], v[53:54], v[55:56], 1.0
	v_fma_f64 v[51:52], v[53:54], v[55:56], 1.0
	s_delay_alu instid0(VALU_DEP_1) | instskip(NEXT) | instid1(VALU_DEP_1)
	v_ldexp_f64 v[51:52], v[51:52], v57
	v_cndmask_b32_e64 v52, 0x7ff00000, v52, s24
	s_and_b32 s24, s25, s24
	s_delay_alu instid0(VALU_DEP_2) | instid1(SALU_CYCLE_1)
	v_cndmask_b32_e64 v49, 0, v51, s24
	s_mov_b32 s24, 0x55555555
	s_delay_alu instid0(VALU_DEP_2) | instskip(SKIP_1) | instid1(VALU_DEP_1)
	v_cndmask_b32_e64 v50, 0, v52, s25
	s_mov_b32 s25, 0x3fe55555
	v_add_f64 v[51:52], v[49:50], 1.0
	s_delay_alu instid0(VALU_DEP_1) | instskip(SKIP_2) | instid1(VALU_DEP_3)
	v_frexp_mant_f64_e32 v[53:54], v[51:52]
	v_frexp_exp_i32_f64_e32 v57, v[51:52]
	v_add_f64 v[55:56], v[51:52], -1.0
	v_cmp_gt_f64_e64 s24, s[24:25], v[53:54]
	s_delay_alu instid0(VALU_DEP_2) | instskip(SKIP_1) | instid1(VALU_DEP_3)
	v_add_f64 v[53:54], v[55:56], -v[51:52]
	v_add_f64 v[55:56], v[49:50], -v[55:56]
	v_subrev_co_ci_u32_e64 v98, s24, 0, v57, s24
	s_delay_alu instid0(VALU_DEP_3) | instskip(SKIP_1) | instid1(VALU_DEP_2)
	v_add_f64 v[53:54], v[53:54], 1.0
	s_mov_b32 s24, 0x55555780
	v_sub_nc_u32_e32 v59, 0, v98
	s_delay_alu instid0(VALU_DEP_1) | instskip(NEXT) | instid1(VALU_DEP_3)
	v_ldexp_f64 v[51:52], v[51:52], v59
	v_add_f64 v[53:54], v[55:56], v[53:54]
	s_delay_alu instid0(VALU_DEP_2) | instskip(SKIP_1) | instid1(VALU_DEP_3)
	v_add_f64 v[57:58], v[51:52], 1.0
	v_add_f64 v[69:70], v[51:52], -1.0
	v_ldexp_f64 v[53:54], v[53:54], v59
	s_delay_alu instid0(VALU_DEP_3) | instskip(NEXT) | instid1(VALU_DEP_3)
	v_add_f64 v[55:56], v[57:58], -1.0
	v_add_f64 v[71:72], v[69:70], 1.0
	s_delay_alu instid0(VALU_DEP_2) | instskip(NEXT) | instid1(VALU_DEP_2)
	v_add_f64 v[55:56], v[51:52], -v[55:56]
	v_add_f64 v[51:52], v[51:52], -v[71:72]
	s_delay_alu instid0(VALU_DEP_2) | instskip(NEXT) | instid1(VALU_DEP_2)
	v_add_f64 v[55:56], v[53:54], v[55:56]
	v_add_f64 v[51:52], v[53:54], v[51:52]
	s_delay_alu instid0(VALU_DEP_2) | instskip(NEXT) | instid1(VALU_DEP_2)
	v_add_f64 v[59:60], v[57:58], v[55:56]
	v_add_f64 v[71:72], v[69:70], v[51:52]
	s_delay_alu instid0(VALU_DEP_2) | instskip(SKIP_1) | instid1(VALU_DEP_2)
	v_rcp_f64_e32 v[61:62], v[59:60]
	v_add_f64 v[57:58], v[59:60], -v[57:58]
	v_add_f64 v[69:70], v[71:72], -v[69:70]
	s_delay_alu instid0(VALU_DEP_2) | instskip(SKIP_3) | instid1(VALU_DEP_2)
	v_add_f64 v[55:56], v[55:56], -v[57:58]
	s_waitcnt_depctr 0xfff
	v_fma_f64 v[73:74], -v[59:60], v[61:62], 1.0
	v_add_f64 v[51:52], v[51:52], -v[69:70]
	v_fma_f64 v[61:62], v[73:74], v[61:62], v[61:62]
	s_delay_alu instid0(VALU_DEP_1) | instskip(NEXT) | instid1(VALU_DEP_1)
	v_fma_f64 v[53:54], -v[59:60], v[61:62], 1.0
	v_fma_f64 v[53:54], v[53:54], v[61:62], v[61:62]
	s_delay_alu instid0(VALU_DEP_1) | instskip(NEXT) | instid1(VALU_DEP_1)
	v_mul_f64 v[61:62], v[71:72], v[53:54]
	v_mul_f64 v[73:74], v[59:60], v[61:62]
	s_delay_alu instid0(VALU_DEP_1) | instskip(NEXT) | instid1(VALU_DEP_1)
	v_fma_f64 v[57:58], v[61:62], v[59:60], -v[73:74]
	v_fma_f64 v[57:58], v[61:62], v[55:56], v[57:58]
	s_delay_alu instid0(VALU_DEP_1) | instskip(NEXT) | instid1(VALU_DEP_1)
	v_add_f64 v[75:76], v[73:74], v[57:58]
	v_add_f64 v[96:97], v[71:72], -v[75:76]
	v_add_f64 v[69:70], v[75:76], -v[73:74]
	s_delay_alu instid0(VALU_DEP_2) | instskip(NEXT) | instid1(VALU_DEP_2)
	v_add_f64 v[71:72], v[71:72], -v[96:97]
	v_add_f64 v[57:58], v[69:70], -v[57:58]
	s_delay_alu instid0(VALU_DEP_2) | instskip(NEXT) | instid1(VALU_DEP_1)
	v_add_f64 v[71:72], v[71:72], -v[75:76]
	v_add_f64 v[51:52], v[51:52], v[71:72]
	s_delay_alu instid0(VALU_DEP_1) | instskip(NEXT) | instid1(VALU_DEP_1)
	v_add_f64 v[51:52], v[57:58], v[51:52]
	v_add_f64 v[57:58], v[96:97], v[51:52]
	s_delay_alu instid0(VALU_DEP_1) | instskip(SKIP_1) | instid1(VALU_DEP_2)
	v_mul_f64 v[69:70], v[53:54], v[57:58]
	v_add_f64 v[75:76], v[96:97], -v[57:58]
	v_mul_f64 v[71:72], v[59:60], v[69:70]
	s_delay_alu instid0(VALU_DEP_2) | instskip(NEXT) | instid1(VALU_DEP_2)
	v_add_f64 v[51:52], v[51:52], v[75:76]
	v_fma_f64 v[59:60], v[69:70], v[59:60], -v[71:72]
	s_delay_alu instid0(VALU_DEP_1) | instskip(NEXT) | instid1(VALU_DEP_1)
	v_fma_f64 v[55:56], v[69:70], v[55:56], v[59:60]
	v_add_f64 v[59:60], v[71:72], v[55:56]
	s_delay_alu instid0(VALU_DEP_1) | instskip(SKIP_1) | instid1(VALU_DEP_2)
	v_add_f64 v[73:74], v[57:58], -v[59:60]
	v_add_f64 v[71:72], v[59:60], -v[71:72]
	;; [unrolled: 1-line block ×3, first 2 shown]
	s_delay_alu instid0(VALU_DEP_2) | instskip(NEXT) | instid1(VALU_DEP_2)
	v_add_f64 v[55:56], v[71:72], -v[55:56]
	v_add_f64 v[57:58], v[57:58], -v[59:60]
	s_delay_alu instid0(VALU_DEP_1) | instskip(SKIP_1) | instid1(VALU_DEP_2)
	v_add_f64 v[51:52], v[51:52], v[57:58]
	v_add_f64 v[57:58], v[61:62], v[69:70]
	;; [unrolled: 1-line block ×3, first 2 shown]
	s_delay_alu instid0(VALU_DEP_2) | instskip(NEXT) | instid1(VALU_DEP_2)
	v_add_f64 v[55:56], v[57:58], -v[61:62]
	v_add_f64 v[51:52], v[73:74], v[51:52]
	s_delay_alu instid0(VALU_DEP_2) | instskip(NEXT) | instid1(VALU_DEP_2)
	v_add_f64 v[55:56], v[69:70], -v[55:56]
	v_mul_f64 v[51:52], v[53:54], v[51:52]
	s_delay_alu instid0(VALU_DEP_1) | instskip(NEXT) | instid1(VALU_DEP_1)
	v_add_f64 v[51:52], v[55:56], v[51:52]
	v_add_f64 v[53:54], v[57:58], v[51:52]
	s_delay_alu instid0(VALU_DEP_1) | instskip(NEXT) | instid1(VALU_DEP_1)
	v_mul_f64 v[55:56], v[53:54], v[53:54]
	v_fma_f64 v[59:60], v[55:56], s[36:37], s[34:35]
	s_mov_b32 s34, 0xd7f4df2e
	s_mov_b32 s35, 0x3fc7474d
	v_mul_f64 v[61:62], v[53:54], v[55:56]
	s_delay_alu instid0(VALU_DEP_2)
	v_fma_f64 v[59:60], v[55:56], v[59:60], s[34:35]
	s_mov_b32 s34, 0x16291751
	s_mov_b32 s35, 0x3fcc71c0
	s_delay_alu instid0(VALU_DEP_1) | instid1(SALU_CYCLE_1)
	v_fma_f64 v[59:60], v[55:56], v[59:60], s[34:35]
	s_mov_b32 s34, 0x9b27acf1
	s_mov_b32 s35, 0x3fd24924
	s_delay_alu instid0(VALU_DEP_1) | instid1(SALU_CYCLE_1)
	;; [unrolled: 4-line block ×3, first 2 shown]
	v_fma_f64 v[59:60], v[55:56], v[59:60], s[34:35]
	s_delay_alu instid0(VALU_DEP_1) | instskip(SKIP_3) | instid1(VALU_DEP_4)
	v_fma_f64 v[55:56], v[55:56], v[59:60], s[24:25]
	v_ldexp_f64 v[59:60], v[53:54], 1
	v_add_f64 v[53:54], v[53:54], -v[57:58]
	v_cmp_eq_f64_e64 s24, 0x7ff00000, v[49:50]
	v_mul_f64 v[55:56], v[61:62], v[55:56]
	v_cvt_f64_i32_e32 v[61:62], v98
	s_delay_alu instid0(VALU_DEP_4) | instskip(NEXT) | instid1(VALU_DEP_3)
	v_add_f64 v[51:52], v[51:52], -v[53:54]
	v_add_f64 v[57:58], v[59:60], v[55:56]
	s_delay_alu instid0(VALU_DEP_3) | instskip(NEXT) | instid1(VALU_DEP_3)
	v_mul_f64 v[69:70], v[61:62], s[26:27]
	v_ldexp_f64 v[51:52], v[51:52], 1
	s_delay_alu instid0(VALU_DEP_3) | instskip(NEXT) | instid1(VALU_DEP_3)
	v_add_f64 v[53:54], v[57:58], -v[59:60]
	v_fma_f64 v[59:60], v[61:62], s[26:27], -v[69:70]
	s_delay_alu instid0(VALU_DEP_2) | instskip(NEXT) | instid1(VALU_DEP_2)
	v_add_f64 v[53:54], v[55:56], -v[53:54]
	v_fma_f64 v[55:56], v[61:62], s[28:29], v[59:60]
	s_delay_alu instid0(VALU_DEP_2) | instskip(NEXT) | instid1(VALU_DEP_2)
	v_add_f64 v[51:52], v[51:52], v[53:54]
	v_add_f64 v[53:54], v[69:70], v[55:56]
	s_delay_alu instid0(VALU_DEP_2) | instskip(NEXT) | instid1(VALU_DEP_2)
	v_add_f64 v[59:60], v[57:58], v[51:52]
	v_add_f64 v[69:70], v[53:54], -v[69:70]
	s_delay_alu instid0(VALU_DEP_2) | instskip(SKIP_1) | instid1(VALU_DEP_3)
	v_add_f64 v[61:62], v[53:54], v[59:60]
	v_add_f64 v[57:58], v[59:60], -v[57:58]
	v_add_f64 v[55:56], v[55:56], -v[69:70]
	s_delay_alu instid0(VALU_DEP_3) | instskip(NEXT) | instid1(VALU_DEP_3)
	v_add_f64 v[71:72], v[61:62], -v[53:54]
	v_add_f64 v[51:52], v[51:52], -v[57:58]
	s_delay_alu instid0(VALU_DEP_2) | instskip(SKIP_1) | instid1(VALU_DEP_3)
	v_add_f64 v[73:74], v[61:62], -v[71:72]
	v_add_f64 v[57:58], v[59:60], -v[71:72]
	v_add_f64 v[59:60], v[55:56], v[51:52]
	s_delay_alu instid0(VALU_DEP_3) | instskip(NEXT) | instid1(VALU_DEP_1)
	v_add_f64 v[53:54], v[53:54], -v[73:74]
	v_add_f64 v[53:54], v[57:58], v[53:54]
	s_delay_alu instid0(VALU_DEP_3) | instskip(NEXT) | instid1(VALU_DEP_2)
	v_add_f64 v[57:58], v[59:60], -v[55:56]
	v_add_f64 v[53:54], v[59:60], v[53:54]
	s_delay_alu instid0(VALU_DEP_2) | instskip(SKIP_1) | instid1(VALU_DEP_3)
	v_add_f64 v[59:60], v[59:60], -v[57:58]
	v_add_f64 v[51:52], v[51:52], -v[57:58]
	v_add_f64 v[69:70], v[61:62], v[53:54]
	s_delay_alu instid0(VALU_DEP_3) | instskip(NEXT) | instid1(VALU_DEP_2)
	v_add_f64 v[55:56], v[55:56], -v[59:60]
	v_add_f64 v[57:58], v[69:70], -v[61:62]
	s_delay_alu instid0(VALU_DEP_2) | instskip(NEXT) | instid1(VALU_DEP_2)
	v_add_f64 v[51:52], v[51:52], v[55:56]
	v_add_f64 v[53:54], v[53:54], -v[57:58]
	s_delay_alu instid0(VALU_DEP_1) | instskip(NEXT) | instid1(VALU_DEP_1)
	v_add_f64 v[51:52], v[51:52], v[53:54]
	v_add_f64 v[51:52], v[69:70], v[51:52]
	s_delay_alu instid0(VALU_DEP_1) | instskip(NEXT) | instid1(VALU_DEP_2)
	v_cndmask_b32_e64 v51, v51, v49, s24
	v_cndmask_b32_e64 v52, v52, v50, s24
	v_cmp_ngt_f64_e64 s24, -1.0, v[49:50]
	s_delay_alu instid0(VALU_DEP_1) | instskip(SKIP_1) | instid1(VALU_DEP_1)
	v_cndmask_b32_e64 v52, 0x7ff80000, v52, s24
	v_cmp_nge_f64_e64 s24, -1.0, v[49:50]
	v_cndmask_b32_e64 v51, 0, v51, s24
	v_cmp_neq_f64_e64 s24, -1.0, v[49:50]
	s_delay_alu instid0(VALU_DEP_1) | instskip(NEXT) | instid1(VALU_DEP_1)
	v_cndmask_b32_e64 v52, 0xfff00000, v52, s24
	v_add_f64 v[69:70], v[47:48], v[51:52]
.LBB26_46:
	s_or_b32 exec_lo, exec_lo, s30
	v_max_f64 v[47:48], v[17:18], v[17:18]
	s_delay_alu instid0(VALU_DEP_2) | instskip(SKIP_2) | instid1(VALU_DEP_3)
	v_max_f64 v[49:50], v[69:70], v[69:70]
	v_cmp_u_f64_e64 s25, v[69:70], v[69:70]
	v_cmp_u_f64_e64 s24, v[17:18], v[17:18]
	v_min_f64 v[51:52], v[49:50], v[47:48]
	v_max_f64 v[49:50], v[49:50], v[47:48]
	s_delay_alu instid0(VALU_DEP_2) | instskip(NEXT) | instid1(VALU_DEP_3)
	v_cndmask_b32_e64 v51, v51, v69, s25
	v_cndmask_b32_e64 v52, v52, v70, s25
	s_delay_alu instid0(VALU_DEP_3) | instskip(NEXT) | instid1(VALU_DEP_4)
	v_cndmask_b32_e64 v50, v50, v70, s25
	v_cndmask_b32_e64 v49, v49, v69, s25
	s_delay_alu instid0(VALU_DEP_4) | instskip(NEXT) | instid1(VALU_DEP_4)
	v_cndmask_b32_e64 v51, v51, v17, s24
	v_cndmask_b32_e64 v52, v52, v18, s24
	s_delay_alu instid0(VALU_DEP_4) | instskip(NEXT) | instid1(VALU_DEP_4)
	v_cndmask_b32_e64 v50, v50, v18, s24
	v_cndmask_b32_e64 v49, v49, v17, s24
	s_delay_alu instid0(VALU_DEP_3) | instskip(NEXT) | instid1(VALU_DEP_2)
	v_cmp_class_f64_e64 s26, v[51:52], 0x1f8
	v_cmp_neq_f64_e64 s25, v[51:52], v[49:50]
	s_delay_alu instid0(VALU_DEP_1) | instskip(NEXT) | instid1(SALU_CYCLE_1)
	s_or_b32 s25, s25, s26
	s_and_saveexec_b32 s34, s25
	s_cbranch_execz .LBB26_48
; %bb.47:
	v_add_f64 v[51:52], v[51:52], -v[49:50]
	s_mov_b32 s26, 0x652b82fe
	s_mov_b32 s27, 0x3ff71547
	s_mov_b32 s29, 0xbfe62e42
	s_mov_b32 s28, 0xfefa39ef
	s_mov_b32 s31, 0xbc7abc9e
	s_mov_b32 s30, 0x3b39803f
	s_mov_b32 s36, 0x6a5dcb37
	s_mov_b32 s37, 0x3e5ade15
	s_mov_b32 s38, 0xbf559e2b
	s_mov_b32 s39, 0x3fc3ab76
	s_delay_alu instid0(VALU_DEP_1) | instskip(SKIP_3) | instid1(VALU_DEP_2)
	v_mul_f64 v[53:54], v[51:52], s[26:27]
	s_mov_b32 s26, 0xfca7ab0c
	s_mov_b32 s27, 0x3e928af3
	v_cmp_nlt_f64_e64 s25, 0x40900000, v[51:52]
	v_rndne_f64_e32 v[53:54], v[53:54]
	s_delay_alu instid0(VALU_DEP_1) | instskip(SKIP_2) | instid1(VALU_DEP_2)
	v_fma_f64 v[55:56], v[53:54], s[28:29], v[51:52]
	v_cvt_i32_f64_e32 v59, v[53:54]
	s_mov_b32 s29, 0x3fe62e42
	v_fma_f64 v[55:56], v[53:54], s[30:31], v[55:56]
	s_mov_b32 s31, 0x3c7abc9e
	s_delay_alu instid0(VALU_DEP_1) | instskip(SKIP_4) | instid1(VALU_DEP_1)
	v_fma_f64 v[57:58], v[55:56], s[36:37], s[26:27]
	s_mov_b32 s26, 0x623fde64
	s_mov_b32 s27, 0x3ec71dee
	;; [unrolled: 1-line block ×4, first 2 shown]
	v_fma_f64 v[57:58], v[55:56], v[57:58], s[26:27]
	s_mov_b32 s26, 0x7c89e6b0
	s_mov_b32 s27, 0x3efa0199
	s_delay_alu instid0(VALU_DEP_1) | instid1(SALU_CYCLE_1)
	v_fma_f64 v[57:58], v[55:56], v[57:58], s[26:27]
	s_mov_b32 s26, 0x14761f6e
	s_mov_b32 s27, 0x3f2a01a0
	s_delay_alu instid0(VALU_DEP_1) | instid1(SALU_CYCLE_1)
	;; [unrolled: 4-line block ×7, first 2 shown]
	v_fma_f64 v[57:58], v[55:56], v[57:58], s[26:27]
	v_cmp_ngt_f64_e64 s26, 0xc090cc00, v[51:52]
	s_mov_b32 s27, 0x3fe55555
	s_delay_alu instid0(VALU_DEP_2) | instskip(NEXT) | instid1(VALU_DEP_1)
	v_fma_f64 v[57:58], v[55:56], v[57:58], 1.0
	v_fma_f64 v[53:54], v[55:56], v[57:58], 1.0
	s_delay_alu instid0(VALU_DEP_1) | instskip(NEXT) | instid1(VALU_DEP_1)
	v_ldexp_f64 v[53:54], v[53:54], v59
	v_cndmask_b32_e64 v54, 0x7ff00000, v54, s25
	s_and_b32 s25, s26, s25
	s_delay_alu instid0(VALU_DEP_2) | instid1(SALU_CYCLE_1)
	v_cndmask_b32_e64 v51, 0, v53, s25
	s_delay_alu instid0(VALU_DEP_2) | instskip(SKIP_1) | instid1(VALU_DEP_1)
	v_cndmask_b32_e64 v52, 0, v54, s26
	s_mov_b32 s26, 0x55555555
	v_add_f64 v[53:54], v[51:52], 1.0
	s_delay_alu instid0(VALU_DEP_1) | instskip(SKIP_2) | instid1(VALU_DEP_3)
	v_frexp_mant_f64_e32 v[55:56], v[53:54]
	v_frexp_exp_i32_f64_e32 v59, v[53:54]
	v_add_f64 v[57:58], v[53:54], -1.0
	v_cmp_gt_f64_e64 s25, s[26:27], v[55:56]
	s_mov_b32 s26, 0x55555780
	s_delay_alu instid0(VALU_DEP_2) | instskip(SKIP_1) | instid1(VALU_DEP_3)
	v_add_f64 v[55:56], v[57:58], -v[53:54]
	v_add_f64 v[57:58], v[51:52], -v[57:58]
	v_subrev_co_ci_u32_e64 v100, s25, 0, v59, s25
	s_delay_alu instid0(VALU_DEP_3) | instskip(SKIP_1) | instid1(VALU_DEP_3)
	v_add_f64 v[55:56], v[55:56], 1.0
	v_cmp_eq_f64_e64 s25, 0x7ff00000, v[51:52]
	v_sub_nc_u32_e32 v61, 0, v100
	s_delay_alu instid0(VALU_DEP_1) | instskip(NEXT) | instid1(VALU_DEP_4)
	v_ldexp_f64 v[53:54], v[53:54], v61
	v_add_f64 v[55:56], v[57:58], v[55:56]
	s_delay_alu instid0(VALU_DEP_2) | instskip(SKIP_1) | instid1(VALU_DEP_3)
	v_add_f64 v[59:60], v[53:54], 1.0
	v_add_f64 v[71:72], v[53:54], -1.0
	v_ldexp_f64 v[55:56], v[55:56], v61
	s_delay_alu instid0(VALU_DEP_3) | instskip(NEXT) | instid1(VALU_DEP_3)
	v_add_f64 v[57:58], v[59:60], -1.0
	v_add_f64 v[73:74], v[71:72], 1.0
	s_delay_alu instid0(VALU_DEP_2) | instskip(NEXT) | instid1(VALU_DEP_2)
	v_add_f64 v[57:58], v[53:54], -v[57:58]
	v_add_f64 v[53:54], v[53:54], -v[73:74]
	s_delay_alu instid0(VALU_DEP_2) | instskip(NEXT) | instid1(VALU_DEP_2)
	v_add_f64 v[57:58], v[55:56], v[57:58]
	v_add_f64 v[53:54], v[55:56], v[53:54]
	s_delay_alu instid0(VALU_DEP_2) | instskip(NEXT) | instid1(VALU_DEP_2)
	v_add_f64 v[61:62], v[59:60], v[57:58]
	v_add_f64 v[73:74], v[71:72], v[53:54]
	s_delay_alu instid0(VALU_DEP_2) | instskip(SKIP_1) | instid1(VALU_DEP_2)
	v_rcp_f64_e32 v[69:70], v[61:62]
	v_add_f64 v[59:60], v[61:62], -v[59:60]
	v_add_f64 v[71:72], v[73:74], -v[71:72]
	s_delay_alu instid0(VALU_DEP_2) | instskip(SKIP_3) | instid1(VALU_DEP_2)
	v_add_f64 v[57:58], v[57:58], -v[59:60]
	s_waitcnt_depctr 0xfff
	v_fma_f64 v[75:76], -v[61:62], v[69:70], 1.0
	v_add_f64 v[53:54], v[53:54], -v[71:72]
	v_fma_f64 v[69:70], v[75:76], v[69:70], v[69:70]
	s_delay_alu instid0(VALU_DEP_1) | instskip(NEXT) | instid1(VALU_DEP_1)
	v_fma_f64 v[55:56], -v[61:62], v[69:70], 1.0
	v_fma_f64 v[55:56], v[55:56], v[69:70], v[69:70]
	s_delay_alu instid0(VALU_DEP_1) | instskip(NEXT) | instid1(VALU_DEP_1)
	v_mul_f64 v[69:70], v[73:74], v[55:56]
	v_mul_f64 v[75:76], v[61:62], v[69:70]
	s_delay_alu instid0(VALU_DEP_1) | instskip(NEXT) | instid1(VALU_DEP_1)
	v_fma_f64 v[59:60], v[69:70], v[61:62], -v[75:76]
	v_fma_f64 v[59:60], v[69:70], v[57:58], v[59:60]
	s_delay_alu instid0(VALU_DEP_1) | instskip(NEXT) | instid1(VALU_DEP_1)
	v_add_f64 v[96:97], v[75:76], v[59:60]
	v_add_f64 v[98:99], v[73:74], -v[96:97]
	v_add_f64 v[71:72], v[96:97], -v[75:76]
	s_delay_alu instid0(VALU_DEP_2) | instskip(NEXT) | instid1(VALU_DEP_2)
	v_add_f64 v[73:74], v[73:74], -v[98:99]
	v_add_f64 v[59:60], v[71:72], -v[59:60]
	s_delay_alu instid0(VALU_DEP_2) | instskip(NEXT) | instid1(VALU_DEP_1)
	v_add_f64 v[73:74], v[73:74], -v[96:97]
	v_add_f64 v[53:54], v[53:54], v[73:74]
	s_delay_alu instid0(VALU_DEP_1) | instskip(NEXT) | instid1(VALU_DEP_1)
	v_add_f64 v[53:54], v[59:60], v[53:54]
	v_add_f64 v[59:60], v[98:99], v[53:54]
	s_delay_alu instid0(VALU_DEP_1) | instskip(SKIP_1) | instid1(VALU_DEP_2)
	v_mul_f64 v[71:72], v[55:56], v[59:60]
	v_add_f64 v[96:97], v[98:99], -v[59:60]
	v_mul_f64 v[73:74], v[61:62], v[71:72]
	s_delay_alu instid0(VALU_DEP_2) | instskip(NEXT) | instid1(VALU_DEP_2)
	v_add_f64 v[53:54], v[53:54], v[96:97]
	v_fma_f64 v[61:62], v[71:72], v[61:62], -v[73:74]
	s_delay_alu instid0(VALU_DEP_1) | instskip(NEXT) | instid1(VALU_DEP_1)
	v_fma_f64 v[57:58], v[71:72], v[57:58], v[61:62]
	v_add_f64 v[61:62], v[73:74], v[57:58]
	s_delay_alu instid0(VALU_DEP_1) | instskip(SKIP_1) | instid1(VALU_DEP_2)
	v_add_f64 v[75:76], v[59:60], -v[61:62]
	v_add_f64 v[73:74], v[61:62], -v[73:74]
	;; [unrolled: 1-line block ×3, first 2 shown]
	s_delay_alu instid0(VALU_DEP_2) | instskip(NEXT) | instid1(VALU_DEP_2)
	v_add_f64 v[57:58], v[73:74], -v[57:58]
	v_add_f64 v[59:60], v[59:60], -v[61:62]
	s_delay_alu instid0(VALU_DEP_1) | instskip(SKIP_1) | instid1(VALU_DEP_2)
	v_add_f64 v[53:54], v[53:54], v[59:60]
	v_add_f64 v[59:60], v[69:70], v[71:72]
	v_add_f64 v[53:54], v[57:58], v[53:54]
	s_delay_alu instid0(VALU_DEP_2) | instskip(NEXT) | instid1(VALU_DEP_2)
	v_add_f64 v[57:58], v[59:60], -v[69:70]
	v_add_f64 v[53:54], v[75:76], v[53:54]
	s_delay_alu instid0(VALU_DEP_2) | instskip(NEXT) | instid1(VALU_DEP_2)
	v_add_f64 v[57:58], v[71:72], -v[57:58]
	v_mul_f64 v[53:54], v[55:56], v[53:54]
	s_delay_alu instid0(VALU_DEP_1) | instskip(NEXT) | instid1(VALU_DEP_1)
	v_add_f64 v[53:54], v[57:58], v[53:54]
	v_add_f64 v[55:56], v[59:60], v[53:54]
	s_delay_alu instid0(VALU_DEP_1) | instskip(NEXT) | instid1(VALU_DEP_1)
	v_mul_f64 v[57:58], v[55:56], v[55:56]
	v_fma_f64 v[61:62], v[57:58], s[38:39], s[36:37]
	s_mov_b32 s36, 0xd7f4df2e
	s_mov_b32 s37, 0x3fc7474d
	v_mul_f64 v[69:70], v[55:56], v[57:58]
	s_delay_alu instid0(VALU_DEP_2)
	v_fma_f64 v[61:62], v[57:58], v[61:62], s[36:37]
	s_mov_b32 s36, 0x16291751
	s_mov_b32 s37, 0x3fcc71c0
	s_delay_alu instid0(VALU_DEP_1) | instid1(SALU_CYCLE_1)
	v_fma_f64 v[61:62], v[57:58], v[61:62], s[36:37]
	s_mov_b32 s36, 0x9b27acf1
	s_mov_b32 s37, 0x3fd24924
	s_delay_alu instid0(VALU_DEP_1) | instid1(SALU_CYCLE_1)
	;; [unrolled: 4-line block ×3, first 2 shown]
	v_fma_f64 v[61:62], v[57:58], v[61:62], s[36:37]
	s_delay_alu instid0(VALU_DEP_1) | instskip(SKIP_2) | instid1(VALU_DEP_3)
	v_fma_f64 v[57:58], v[57:58], v[61:62], s[26:27]
	v_ldexp_f64 v[61:62], v[55:56], 1
	v_add_f64 v[55:56], v[55:56], -v[59:60]
	v_mul_f64 v[57:58], v[69:70], v[57:58]
	v_cvt_f64_i32_e32 v[69:70], v100
	s_delay_alu instid0(VALU_DEP_3) | instskip(NEXT) | instid1(VALU_DEP_3)
	v_add_f64 v[53:54], v[53:54], -v[55:56]
	v_add_f64 v[59:60], v[61:62], v[57:58]
	s_delay_alu instid0(VALU_DEP_3) | instskip(NEXT) | instid1(VALU_DEP_3)
	v_mul_f64 v[71:72], v[69:70], s[28:29]
	v_ldexp_f64 v[53:54], v[53:54], 1
	s_delay_alu instid0(VALU_DEP_3) | instskip(NEXT) | instid1(VALU_DEP_3)
	v_add_f64 v[55:56], v[59:60], -v[61:62]
	v_fma_f64 v[61:62], v[69:70], s[28:29], -v[71:72]
	s_delay_alu instid0(VALU_DEP_2) | instskip(NEXT) | instid1(VALU_DEP_2)
	v_add_f64 v[55:56], v[57:58], -v[55:56]
	v_fma_f64 v[57:58], v[69:70], s[30:31], v[61:62]
	s_delay_alu instid0(VALU_DEP_2) | instskip(NEXT) | instid1(VALU_DEP_2)
	v_add_f64 v[53:54], v[53:54], v[55:56]
	v_add_f64 v[55:56], v[71:72], v[57:58]
	s_delay_alu instid0(VALU_DEP_2) | instskip(NEXT) | instid1(VALU_DEP_2)
	v_add_f64 v[61:62], v[59:60], v[53:54]
	v_add_f64 v[71:72], v[55:56], -v[71:72]
	s_delay_alu instid0(VALU_DEP_2) | instskip(SKIP_1) | instid1(VALU_DEP_3)
	v_add_f64 v[69:70], v[55:56], v[61:62]
	v_add_f64 v[59:60], v[61:62], -v[59:60]
	v_add_f64 v[57:58], v[57:58], -v[71:72]
	s_delay_alu instid0(VALU_DEP_3) | instskip(NEXT) | instid1(VALU_DEP_3)
	v_add_f64 v[73:74], v[69:70], -v[55:56]
	v_add_f64 v[53:54], v[53:54], -v[59:60]
	s_delay_alu instid0(VALU_DEP_2) | instskip(SKIP_1) | instid1(VALU_DEP_3)
	v_add_f64 v[75:76], v[69:70], -v[73:74]
	v_add_f64 v[59:60], v[61:62], -v[73:74]
	v_add_f64 v[61:62], v[57:58], v[53:54]
	s_delay_alu instid0(VALU_DEP_3) | instskip(NEXT) | instid1(VALU_DEP_1)
	v_add_f64 v[55:56], v[55:56], -v[75:76]
	v_add_f64 v[55:56], v[59:60], v[55:56]
	s_delay_alu instid0(VALU_DEP_3) | instskip(NEXT) | instid1(VALU_DEP_2)
	v_add_f64 v[59:60], v[61:62], -v[57:58]
	v_add_f64 v[55:56], v[61:62], v[55:56]
	s_delay_alu instid0(VALU_DEP_2) | instskip(SKIP_1) | instid1(VALU_DEP_3)
	v_add_f64 v[61:62], v[61:62], -v[59:60]
	v_add_f64 v[53:54], v[53:54], -v[59:60]
	v_add_f64 v[71:72], v[69:70], v[55:56]
	s_delay_alu instid0(VALU_DEP_3) | instskip(NEXT) | instid1(VALU_DEP_2)
	v_add_f64 v[57:58], v[57:58], -v[61:62]
	v_add_f64 v[59:60], v[71:72], -v[69:70]
	s_delay_alu instid0(VALU_DEP_2) | instskip(NEXT) | instid1(VALU_DEP_2)
	v_add_f64 v[53:54], v[53:54], v[57:58]
	v_add_f64 v[55:56], v[55:56], -v[59:60]
	s_delay_alu instid0(VALU_DEP_1) | instskip(NEXT) | instid1(VALU_DEP_1)
	v_add_f64 v[53:54], v[53:54], v[55:56]
	v_add_f64 v[53:54], v[71:72], v[53:54]
	s_delay_alu instid0(VALU_DEP_1) | instskip(NEXT) | instid1(VALU_DEP_2)
	v_cndmask_b32_e64 v53, v53, v51, s25
	v_cndmask_b32_e64 v54, v54, v52, s25
	v_cmp_ngt_f64_e64 s25, -1.0, v[51:52]
	s_delay_alu instid0(VALU_DEP_1) | instskip(SKIP_1) | instid1(VALU_DEP_1)
	v_cndmask_b32_e64 v54, 0x7ff80000, v54, s25
	v_cmp_nge_f64_e64 s25, -1.0, v[51:52]
	v_cndmask_b32_e64 v53, 0, v53, s25
	v_cmp_neq_f64_e64 s25, -1.0, v[51:52]
	s_delay_alu instid0(VALU_DEP_1) | instskip(NEXT) | instid1(VALU_DEP_1)
	v_cndmask_b32_e64 v54, 0xfff00000, v54, s25
	v_add_f64 v[69:70], v[49:50], v[53:54]
.LBB26_48:
	s_or_b32 exec_lo, exec_lo, s34
	v_max_f64 v[49:50], v[19:20], v[19:20]
	s_delay_alu instid0(VALU_DEP_2) | instskip(SKIP_2) | instid1(VALU_DEP_3)
	v_max_f64 v[51:52], v[69:70], v[69:70]
	v_cmp_u_f64_e64 s26, v[69:70], v[69:70]
	v_cmp_u_f64_e64 s25, v[19:20], v[19:20]
	v_min_f64 v[53:54], v[51:52], v[49:50]
	v_max_f64 v[51:52], v[51:52], v[49:50]
	s_delay_alu instid0(VALU_DEP_2) | instskip(NEXT) | instid1(VALU_DEP_3)
	v_cndmask_b32_e64 v53, v53, v69, s26
	v_cndmask_b32_e64 v54, v54, v70, s26
	s_delay_alu instid0(VALU_DEP_3) | instskip(NEXT) | instid1(VALU_DEP_4)
	v_cndmask_b32_e64 v52, v52, v70, s26
	v_cndmask_b32_e64 v51, v51, v69, s26
	s_delay_alu instid0(VALU_DEP_4) | instskip(NEXT) | instid1(VALU_DEP_4)
	v_cndmask_b32_e64 v53, v53, v19, s25
	v_cndmask_b32_e64 v54, v54, v20, s25
	s_delay_alu instid0(VALU_DEP_4) | instskip(NEXT) | instid1(VALU_DEP_4)
	v_cndmask_b32_e64 v52, v52, v20, s25
	v_cndmask_b32_e64 v51, v51, v19, s25
	s_delay_alu instid0(VALU_DEP_3) | instskip(NEXT) | instid1(VALU_DEP_2)
	v_cmp_class_f64_e64 s27, v[53:54], 0x1f8
	v_cmp_neq_f64_e64 s26, v[53:54], v[51:52]
	s_delay_alu instid0(VALU_DEP_1) | instskip(NEXT) | instid1(SALU_CYCLE_1)
	s_or_b32 s26, s26, s27
	s_and_saveexec_b32 s34, s26
	s_cbranch_execz .LBB26_50
; %bb.49:
	v_add_f64 v[53:54], v[53:54], -v[51:52]
	s_mov_b32 s26, 0x652b82fe
	s_mov_b32 s27, 0x3ff71547
	;; [unrolled: 1-line block ×10, first 2 shown]
	s_delay_alu instid0(VALU_DEP_1) | instskip(SKIP_2) | instid1(VALU_DEP_1)
	v_mul_f64 v[55:56], v[53:54], s[26:27]
	s_mov_b32 s26, 0xfca7ab0c
	s_mov_b32 s27, 0x3e928af3
	v_rndne_f64_e32 v[55:56], v[55:56]
	s_delay_alu instid0(VALU_DEP_1) | instskip(SKIP_2) | instid1(VALU_DEP_2)
	v_fma_f64 v[57:58], v[55:56], s[28:29], v[53:54]
	v_cvt_i32_f64_e32 v61, v[55:56]
	s_mov_b32 s29, 0x3fe62e42
	v_fma_f64 v[57:58], v[55:56], s[30:31], v[57:58]
	s_mov_b32 s31, 0x3c7abc9e
	s_delay_alu instid0(VALU_DEP_1) | instskip(SKIP_4) | instid1(VALU_DEP_1)
	v_fma_f64 v[59:60], v[57:58], s[36:37], s[26:27]
	s_mov_b32 s26, 0x623fde64
	s_mov_b32 s27, 0x3ec71dee
	;; [unrolled: 1-line block ×4, first 2 shown]
	v_fma_f64 v[59:60], v[57:58], v[59:60], s[26:27]
	s_mov_b32 s26, 0x7c89e6b0
	s_mov_b32 s27, 0x3efa0199
	s_delay_alu instid0(VALU_DEP_1) | instid1(SALU_CYCLE_1)
	v_fma_f64 v[59:60], v[57:58], v[59:60], s[26:27]
	s_mov_b32 s26, 0x14761f6e
	s_mov_b32 s27, 0x3f2a01a0
	s_delay_alu instid0(VALU_DEP_1) | instid1(SALU_CYCLE_1)
	;; [unrolled: 4-line block ×7, first 2 shown]
	v_fma_f64 v[59:60], v[57:58], v[59:60], s[26:27]
	v_cmp_nlt_f64_e64 s26, 0x40900000, v[53:54]
	v_cmp_ngt_f64_e64 s27, 0xc090cc00, v[53:54]
	s_delay_alu instid0(VALU_DEP_3) | instskip(NEXT) | instid1(VALU_DEP_1)
	v_fma_f64 v[59:60], v[57:58], v[59:60], 1.0
	v_fma_f64 v[55:56], v[57:58], v[59:60], 1.0
	s_delay_alu instid0(VALU_DEP_1) | instskip(NEXT) | instid1(VALU_DEP_1)
	v_ldexp_f64 v[55:56], v[55:56], v61
	v_cndmask_b32_e64 v56, 0x7ff00000, v56, s26
	s_and_b32 s26, s27, s26
	s_delay_alu instid0(VALU_DEP_2) | instid1(SALU_CYCLE_1)
	v_cndmask_b32_e64 v53, 0, v55, s26
	s_mov_b32 s26, 0x55555555
	s_delay_alu instid0(VALU_DEP_2) | instskip(SKIP_1) | instid1(VALU_DEP_1)
	v_cndmask_b32_e64 v54, 0, v56, s27
	s_mov_b32 s27, 0x3fe55555
	v_add_f64 v[55:56], v[53:54], 1.0
	s_delay_alu instid0(VALU_DEP_1) | instskip(SKIP_2) | instid1(VALU_DEP_3)
	v_frexp_mant_f64_e32 v[57:58], v[55:56]
	v_frexp_exp_i32_f64_e32 v61, v[55:56]
	v_add_f64 v[59:60], v[55:56], -1.0
	v_cmp_gt_f64_e64 s26, s[26:27], v[57:58]
	s_delay_alu instid0(VALU_DEP_2) | instskip(SKIP_1) | instid1(VALU_DEP_3)
	v_add_f64 v[57:58], v[59:60], -v[55:56]
	v_add_f64 v[59:60], v[53:54], -v[59:60]
	v_subrev_co_ci_u32_e64 v102, s26, 0, v61, s26
	s_delay_alu instid0(VALU_DEP_3) | instskip(SKIP_1) | instid1(VALU_DEP_2)
	v_add_f64 v[57:58], v[57:58], 1.0
	s_mov_b32 s26, 0x55555780
	v_sub_nc_u32_e32 v69, 0, v102
	s_delay_alu instid0(VALU_DEP_1) | instskip(NEXT) | instid1(VALU_DEP_3)
	v_ldexp_f64 v[55:56], v[55:56], v69
	v_add_f64 v[57:58], v[59:60], v[57:58]
	s_delay_alu instid0(VALU_DEP_2) | instskip(SKIP_1) | instid1(VALU_DEP_3)
	v_add_f64 v[61:62], v[55:56], 1.0
	v_add_f64 v[73:74], v[55:56], -1.0
	v_ldexp_f64 v[57:58], v[57:58], v69
	s_delay_alu instid0(VALU_DEP_3) | instskip(NEXT) | instid1(VALU_DEP_3)
	v_add_f64 v[59:60], v[61:62], -1.0
	v_add_f64 v[75:76], v[73:74], 1.0
	s_delay_alu instid0(VALU_DEP_2) | instskip(NEXT) | instid1(VALU_DEP_2)
	v_add_f64 v[59:60], v[55:56], -v[59:60]
	v_add_f64 v[55:56], v[55:56], -v[75:76]
	s_delay_alu instid0(VALU_DEP_2) | instskip(NEXT) | instid1(VALU_DEP_2)
	v_add_f64 v[59:60], v[57:58], v[59:60]
	v_add_f64 v[55:56], v[57:58], v[55:56]
	s_delay_alu instid0(VALU_DEP_2) | instskip(NEXT) | instid1(VALU_DEP_2)
	v_add_f64 v[69:70], v[61:62], v[59:60]
	v_add_f64 v[75:76], v[73:74], v[55:56]
	s_delay_alu instid0(VALU_DEP_2) | instskip(SKIP_1) | instid1(VALU_DEP_2)
	v_rcp_f64_e32 v[71:72], v[69:70]
	v_add_f64 v[61:62], v[69:70], -v[61:62]
	v_add_f64 v[73:74], v[75:76], -v[73:74]
	s_delay_alu instid0(VALU_DEP_2) | instskip(SKIP_3) | instid1(VALU_DEP_2)
	v_add_f64 v[59:60], v[59:60], -v[61:62]
	s_waitcnt_depctr 0xfff
	v_fma_f64 v[96:97], -v[69:70], v[71:72], 1.0
	v_add_f64 v[55:56], v[55:56], -v[73:74]
	v_fma_f64 v[71:72], v[96:97], v[71:72], v[71:72]
	s_delay_alu instid0(VALU_DEP_1) | instskip(NEXT) | instid1(VALU_DEP_1)
	v_fma_f64 v[57:58], -v[69:70], v[71:72], 1.0
	v_fma_f64 v[57:58], v[57:58], v[71:72], v[71:72]
	s_delay_alu instid0(VALU_DEP_1) | instskip(NEXT) | instid1(VALU_DEP_1)
	v_mul_f64 v[71:72], v[75:76], v[57:58]
	v_mul_f64 v[96:97], v[69:70], v[71:72]
	s_delay_alu instid0(VALU_DEP_1) | instskip(NEXT) | instid1(VALU_DEP_1)
	v_fma_f64 v[61:62], v[71:72], v[69:70], -v[96:97]
	v_fma_f64 v[61:62], v[71:72], v[59:60], v[61:62]
	s_delay_alu instid0(VALU_DEP_1) | instskip(NEXT) | instid1(VALU_DEP_1)
	v_add_f64 v[98:99], v[96:97], v[61:62]
	v_add_f64 v[100:101], v[75:76], -v[98:99]
	v_add_f64 v[73:74], v[98:99], -v[96:97]
	s_delay_alu instid0(VALU_DEP_2) | instskip(NEXT) | instid1(VALU_DEP_2)
	v_add_f64 v[75:76], v[75:76], -v[100:101]
	v_add_f64 v[61:62], v[73:74], -v[61:62]
	s_delay_alu instid0(VALU_DEP_2) | instskip(NEXT) | instid1(VALU_DEP_1)
	v_add_f64 v[75:76], v[75:76], -v[98:99]
	v_add_f64 v[55:56], v[55:56], v[75:76]
	s_delay_alu instid0(VALU_DEP_1) | instskip(NEXT) | instid1(VALU_DEP_1)
	v_add_f64 v[55:56], v[61:62], v[55:56]
	v_add_f64 v[61:62], v[100:101], v[55:56]
	s_delay_alu instid0(VALU_DEP_1) | instskip(SKIP_1) | instid1(VALU_DEP_2)
	v_mul_f64 v[73:74], v[57:58], v[61:62]
	v_add_f64 v[98:99], v[100:101], -v[61:62]
	v_mul_f64 v[75:76], v[69:70], v[73:74]
	s_delay_alu instid0(VALU_DEP_2) | instskip(NEXT) | instid1(VALU_DEP_2)
	v_add_f64 v[55:56], v[55:56], v[98:99]
	v_fma_f64 v[69:70], v[73:74], v[69:70], -v[75:76]
	s_delay_alu instid0(VALU_DEP_1) | instskip(NEXT) | instid1(VALU_DEP_1)
	v_fma_f64 v[59:60], v[73:74], v[59:60], v[69:70]
	v_add_f64 v[69:70], v[75:76], v[59:60]
	s_delay_alu instid0(VALU_DEP_1) | instskip(SKIP_1) | instid1(VALU_DEP_2)
	v_add_f64 v[96:97], v[61:62], -v[69:70]
	v_add_f64 v[75:76], v[69:70], -v[75:76]
	v_add_f64 v[61:62], v[61:62], -v[96:97]
	s_delay_alu instid0(VALU_DEP_2) | instskip(NEXT) | instid1(VALU_DEP_2)
	v_add_f64 v[59:60], v[75:76], -v[59:60]
	v_add_f64 v[61:62], v[61:62], -v[69:70]
	s_delay_alu instid0(VALU_DEP_1) | instskip(SKIP_1) | instid1(VALU_DEP_2)
	v_add_f64 v[55:56], v[55:56], v[61:62]
	v_add_f64 v[61:62], v[71:72], v[73:74]
	v_add_f64 v[55:56], v[59:60], v[55:56]
	s_delay_alu instid0(VALU_DEP_2) | instskip(NEXT) | instid1(VALU_DEP_2)
	v_add_f64 v[59:60], v[61:62], -v[71:72]
	v_add_f64 v[55:56], v[96:97], v[55:56]
	s_delay_alu instid0(VALU_DEP_2) | instskip(NEXT) | instid1(VALU_DEP_2)
	v_add_f64 v[59:60], v[73:74], -v[59:60]
	v_mul_f64 v[55:56], v[57:58], v[55:56]
	s_delay_alu instid0(VALU_DEP_1) | instskip(NEXT) | instid1(VALU_DEP_1)
	v_add_f64 v[55:56], v[59:60], v[55:56]
	v_add_f64 v[57:58], v[61:62], v[55:56]
	s_delay_alu instid0(VALU_DEP_1) | instskip(NEXT) | instid1(VALU_DEP_1)
	v_mul_f64 v[59:60], v[57:58], v[57:58]
	v_fma_f64 v[69:70], v[59:60], s[38:39], s[36:37]
	s_mov_b32 s36, 0xd7f4df2e
	s_mov_b32 s37, 0x3fc7474d
	v_mul_f64 v[71:72], v[57:58], v[59:60]
	s_delay_alu instid0(VALU_DEP_2)
	v_fma_f64 v[69:70], v[59:60], v[69:70], s[36:37]
	s_mov_b32 s36, 0x16291751
	s_mov_b32 s37, 0x3fcc71c0
	s_delay_alu instid0(VALU_DEP_1) | instid1(SALU_CYCLE_1)
	v_fma_f64 v[69:70], v[59:60], v[69:70], s[36:37]
	s_mov_b32 s36, 0x9b27acf1
	s_mov_b32 s37, 0x3fd24924
	s_delay_alu instid0(VALU_DEP_1) | instid1(SALU_CYCLE_1)
	v_fma_f64 v[69:70], v[59:60], v[69:70], s[36:37]
	s_mov_b32 s36, 0x998ef7b6
	s_mov_b32 s37, 0x3fd99999
	s_delay_alu instid0(VALU_DEP_1) | instid1(SALU_CYCLE_1)
	v_fma_f64 v[69:70], v[59:60], v[69:70], s[36:37]
	s_delay_alu instid0(VALU_DEP_1) | instskip(SKIP_3) | instid1(VALU_DEP_4)
	v_fma_f64 v[59:60], v[59:60], v[69:70], s[26:27]
	v_ldexp_f64 v[69:70], v[57:58], 1
	v_add_f64 v[57:58], v[57:58], -v[61:62]
	v_cmp_eq_f64_e64 s26, 0x7ff00000, v[53:54]
	v_mul_f64 v[59:60], v[71:72], v[59:60]
	v_cvt_f64_i32_e32 v[71:72], v102
	s_delay_alu instid0(VALU_DEP_4) | instskip(NEXT) | instid1(VALU_DEP_3)
	v_add_f64 v[55:56], v[55:56], -v[57:58]
	v_add_f64 v[61:62], v[69:70], v[59:60]
	s_delay_alu instid0(VALU_DEP_3) | instskip(NEXT) | instid1(VALU_DEP_3)
	v_mul_f64 v[73:74], v[71:72], s[28:29]
	v_ldexp_f64 v[55:56], v[55:56], 1
	s_delay_alu instid0(VALU_DEP_3) | instskip(NEXT) | instid1(VALU_DEP_3)
	v_add_f64 v[57:58], v[61:62], -v[69:70]
	v_fma_f64 v[69:70], v[71:72], s[28:29], -v[73:74]
	s_delay_alu instid0(VALU_DEP_2) | instskip(NEXT) | instid1(VALU_DEP_2)
	v_add_f64 v[57:58], v[59:60], -v[57:58]
	v_fma_f64 v[59:60], v[71:72], s[30:31], v[69:70]
	s_delay_alu instid0(VALU_DEP_2) | instskip(NEXT) | instid1(VALU_DEP_2)
	v_add_f64 v[55:56], v[55:56], v[57:58]
	v_add_f64 v[57:58], v[73:74], v[59:60]
	s_delay_alu instid0(VALU_DEP_2) | instskip(NEXT) | instid1(VALU_DEP_2)
	v_add_f64 v[69:70], v[61:62], v[55:56]
	v_add_f64 v[73:74], v[57:58], -v[73:74]
	s_delay_alu instid0(VALU_DEP_2) | instskip(SKIP_1) | instid1(VALU_DEP_3)
	v_add_f64 v[71:72], v[57:58], v[69:70]
	v_add_f64 v[61:62], v[69:70], -v[61:62]
	v_add_f64 v[59:60], v[59:60], -v[73:74]
	s_delay_alu instid0(VALU_DEP_3) | instskip(NEXT) | instid1(VALU_DEP_3)
	v_add_f64 v[75:76], v[71:72], -v[57:58]
	v_add_f64 v[55:56], v[55:56], -v[61:62]
	s_delay_alu instid0(VALU_DEP_2) | instskip(SKIP_1) | instid1(VALU_DEP_3)
	v_add_f64 v[96:97], v[71:72], -v[75:76]
	v_add_f64 v[61:62], v[69:70], -v[75:76]
	v_add_f64 v[69:70], v[59:60], v[55:56]
	s_delay_alu instid0(VALU_DEP_3) | instskip(NEXT) | instid1(VALU_DEP_1)
	v_add_f64 v[57:58], v[57:58], -v[96:97]
	v_add_f64 v[57:58], v[61:62], v[57:58]
	s_delay_alu instid0(VALU_DEP_3) | instskip(NEXT) | instid1(VALU_DEP_2)
	v_add_f64 v[61:62], v[69:70], -v[59:60]
	v_add_f64 v[57:58], v[69:70], v[57:58]
	s_delay_alu instid0(VALU_DEP_2) | instskip(SKIP_1) | instid1(VALU_DEP_3)
	v_add_f64 v[69:70], v[69:70], -v[61:62]
	v_add_f64 v[55:56], v[55:56], -v[61:62]
	v_add_f64 v[73:74], v[71:72], v[57:58]
	s_delay_alu instid0(VALU_DEP_3) | instskip(NEXT) | instid1(VALU_DEP_2)
	v_add_f64 v[59:60], v[59:60], -v[69:70]
	v_add_f64 v[61:62], v[73:74], -v[71:72]
	s_delay_alu instid0(VALU_DEP_2) | instskip(NEXT) | instid1(VALU_DEP_2)
	v_add_f64 v[55:56], v[55:56], v[59:60]
	v_add_f64 v[57:58], v[57:58], -v[61:62]
	s_delay_alu instid0(VALU_DEP_1) | instskip(NEXT) | instid1(VALU_DEP_1)
	v_add_f64 v[55:56], v[55:56], v[57:58]
	v_add_f64 v[55:56], v[73:74], v[55:56]
	s_delay_alu instid0(VALU_DEP_1) | instskip(NEXT) | instid1(VALU_DEP_2)
	v_cndmask_b32_e64 v55, v55, v53, s26
	v_cndmask_b32_e64 v56, v56, v54, s26
	v_cmp_ngt_f64_e64 s26, -1.0, v[53:54]
	s_delay_alu instid0(VALU_DEP_1) | instskip(SKIP_1) | instid1(VALU_DEP_1)
	v_cndmask_b32_e64 v56, 0x7ff80000, v56, s26
	v_cmp_nge_f64_e64 s26, -1.0, v[53:54]
	v_cndmask_b32_e64 v55, 0, v55, s26
	v_cmp_neq_f64_e64 s26, -1.0, v[53:54]
	s_delay_alu instid0(VALU_DEP_1) | instskip(NEXT) | instid1(VALU_DEP_1)
	v_cndmask_b32_e64 v56, 0xfff00000, v56, s26
	v_add_f64 v[69:70], v[51:52], v[55:56]
.LBB26_50:
	s_or_b32 exec_lo, exec_lo, s34
	v_max_f64 v[51:52], v[13:14], v[13:14]
	s_delay_alu instid0(VALU_DEP_2) | instskip(SKIP_2) | instid1(VALU_DEP_3)
	v_max_f64 v[53:54], v[69:70], v[69:70]
	v_cmp_u_f64_e64 s27, v[69:70], v[69:70]
	v_cmp_u_f64_e64 s26, v[13:14], v[13:14]
	v_min_f64 v[55:56], v[53:54], v[51:52]
	v_max_f64 v[53:54], v[53:54], v[51:52]
	s_delay_alu instid0(VALU_DEP_2) | instskip(NEXT) | instid1(VALU_DEP_3)
	v_cndmask_b32_e64 v55, v55, v69, s27
	v_cndmask_b32_e64 v56, v56, v70, s27
	s_delay_alu instid0(VALU_DEP_3) | instskip(NEXT) | instid1(VALU_DEP_4)
	v_cndmask_b32_e64 v54, v54, v70, s27
	v_cndmask_b32_e64 v53, v53, v69, s27
	s_delay_alu instid0(VALU_DEP_4) | instskip(NEXT) | instid1(VALU_DEP_4)
	v_cndmask_b32_e64 v55, v55, v13, s26
	v_cndmask_b32_e64 v56, v56, v14, s26
	s_delay_alu instid0(VALU_DEP_4) | instskip(NEXT) | instid1(VALU_DEP_4)
	v_cndmask_b32_e64 v54, v54, v14, s26
	v_cndmask_b32_e64 v53, v53, v13, s26
	s_delay_alu instid0(VALU_DEP_3) | instskip(NEXT) | instid1(VALU_DEP_2)
	v_cmp_class_f64_e64 s28, v[55:56], 0x1f8
	v_cmp_neq_f64_e64 s27, v[55:56], v[53:54]
	s_delay_alu instid0(VALU_DEP_1) | instskip(NEXT) | instid1(SALU_CYCLE_1)
	s_or_b32 s27, s27, s28
	s_and_saveexec_b32 s36, s27
	s_cbranch_execz .LBB26_52
; %bb.51:
	v_add_f64 v[55:56], v[55:56], -v[53:54]
	s_mov_b32 s28, 0x652b82fe
	s_mov_b32 s29, 0x3ff71547
	;; [unrolled: 1-line block ×10, first 2 shown]
	s_delay_alu instid0(VALU_DEP_1) | instskip(SKIP_3) | instid1(VALU_DEP_2)
	v_mul_f64 v[57:58], v[55:56], s[28:29]
	s_mov_b32 s28, 0xfca7ab0c
	s_mov_b32 s29, 0x3e928af3
	v_cmp_nlt_f64_e64 s27, 0x40900000, v[55:56]
	v_rndne_f64_e32 v[57:58], v[57:58]
	s_delay_alu instid0(VALU_DEP_1) | instskip(SKIP_2) | instid1(VALU_DEP_2)
	v_fma_f64 v[59:60], v[57:58], s[30:31], v[55:56]
	v_cvt_i32_f64_e32 v69, v[57:58]
	s_mov_b32 s31, 0x3fe62e42
	v_fma_f64 v[59:60], v[57:58], s[34:35], v[59:60]
	s_mov_b32 s35, 0x3c7abc9e
	s_delay_alu instid0(VALU_DEP_1) | instskip(SKIP_4) | instid1(VALU_DEP_1)
	v_fma_f64 v[61:62], v[59:60], s[38:39], s[28:29]
	s_mov_b32 s28, 0x623fde64
	s_mov_b32 s29, 0x3ec71dee
	;; [unrolled: 1-line block ×4, first 2 shown]
	v_fma_f64 v[61:62], v[59:60], v[61:62], s[28:29]
	s_mov_b32 s28, 0x7c89e6b0
	s_mov_b32 s29, 0x3efa0199
	s_delay_alu instid0(VALU_DEP_1) | instid1(SALU_CYCLE_1)
	v_fma_f64 v[61:62], v[59:60], v[61:62], s[28:29]
	s_mov_b32 s28, 0x14761f6e
	s_mov_b32 s29, 0x3f2a01a0
	s_delay_alu instid0(VALU_DEP_1) | instid1(SALU_CYCLE_1)
	v_fma_f64 v[61:62], v[59:60], v[61:62], s[28:29]
	s_mov_b32 s28, 0x1852b7b0
	s_mov_b32 s29, 0x3f56c16c
	s_delay_alu instid0(VALU_DEP_1) | instid1(SALU_CYCLE_1)
	v_fma_f64 v[61:62], v[59:60], v[61:62], s[28:29]
	s_mov_b32 s28, 0x11122322
	s_mov_b32 s29, 0x3f811111
	s_delay_alu instid0(VALU_DEP_1) | instid1(SALU_CYCLE_1)
	v_fma_f64 v[61:62], v[59:60], v[61:62], s[28:29]
	s_mov_b32 s28, 0x555502a1
	s_mov_b32 s29, 0x3fa55555
	s_delay_alu instid0(VALU_DEP_1) | instid1(SALU_CYCLE_1)
	v_fma_f64 v[61:62], v[59:60], v[61:62], s[28:29]
	s_mov_b32 s28, 0x55555511
	s_mov_b32 s29, 0x3fc55555
	s_delay_alu instid0(VALU_DEP_1) | instid1(SALU_CYCLE_1)
	v_fma_f64 v[61:62], v[59:60], v[61:62], s[28:29]
	s_mov_b32 s28, 11
	s_mov_b32 s29, 0x3fe00000
	s_delay_alu instid0(VALU_DEP_1) | instid1(SALU_CYCLE_1)
	v_fma_f64 v[61:62], v[59:60], v[61:62], s[28:29]
	v_cmp_ngt_f64_e64 s28, 0xc090cc00, v[55:56]
	s_mov_b32 s29, 0x3fe55555
	s_delay_alu instid0(VALU_DEP_2) | instskip(NEXT) | instid1(VALU_DEP_1)
	v_fma_f64 v[61:62], v[59:60], v[61:62], 1.0
	v_fma_f64 v[57:58], v[59:60], v[61:62], 1.0
	s_delay_alu instid0(VALU_DEP_1) | instskip(NEXT) | instid1(VALU_DEP_1)
	v_ldexp_f64 v[57:58], v[57:58], v69
	v_cndmask_b32_e64 v58, 0x7ff00000, v58, s27
	s_and_b32 s27, s28, s27
	s_delay_alu instid0(VALU_DEP_2) | instid1(SALU_CYCLE_1)
	v_cndmask_b32_e64 v55, 0, v57, s27
	s_delay_alu instid0(VALU_DEP_2) | instskip(SKIP_1) | instid1(VALU_DEP_1)
	v_cndmask_b32_e64 v56, 0, v58, s28
	s_mov_b32 s28, 0x55555555
	v_add_f64 v[57:58], v[55:56], 1.0
	s_delay_alu instid0(VALU_DEP_1) | instskip(SKIP_2) | instid1(VALU_DEP_3)
	v_frexp_mant_f64_e32 v[59:60], v[57:58]
	v_frexp_exp_i32_f64_e32 v69, v[57:58]
	v_add_f64 v[61:62], v[57:58], -1.0
	v_cmp_gt_f64_e64 s27, s[28:29], v[59:60]
	s_mov_b32 s28, 0x55555780
	s_delay_alu instid0(VALU_DEP_2) | instskip(SKIP_1) | instid1(VALU_DEP_3)
	v_add_f64 v[59:60], v[61:62], -v[57:58]
	v_add_f64 v[61:62], v[55:56], -v[61:62]
	v_subrev_co_ci_u32_e64 v104, s27, 0, v69, s27
	s_delay_alu instid0(VALU_DEP_3) | instskip(SKIP_1) | instid1(VALU_DEP_3)
	v_add_f64 v[59:60], v[59:60], 1.0
	v_cmp_eq_f64_e64 s27, 0x7ff00000, v[55:56]
	v_sub_nc_u32_e32 v71, 0, v104
	s_delay_alu instid0(VALU_DEP_1) | instskip(NEXT) | instid1(VALU_DEP_4)
	v_ldexp_f64 v[57:58], v[57:58], v71
	v_add_f64 v[59:60], v[61:62], v[59:60]
	s_delay_alu instid0(VALU_DEP_2) | instskip(SKIP_1) | instid1(VALU_DEP_3)
	v_add_f64 v[69:70], v[57:58], 1.0
	v_add_f64 v[75:76], v[57:58], -1.0
	v_ldexp_f64 v[59:60], v[59:60], v71
	s_delay_alu instid0(VALU_DEP_3) | instskip(NEXT) | instid1(VALU_DEP_3)
	v_add_f64 v[61:62], v[69:70], -1.0
	v_add_f64 v[96:97], v[75:76], 1.0
	s_delay_alu instid0(VALU_DEP_2) | instskip(NEXT) | instid1(VALU_DEP_2)
	v_add_f64 v[61:62], v[57:58], -v[61:62]
	v_add_f64 v[57:58], v[57:58], -v[96:97]
	s_delay_alu instid0(VALU_DEP_2) | instskip(NEXT) | instid1(VALU_DEP_2)
	v_add_f64 v[61:62], v[59:60], v[61:62]
	v_add_f64 v[57:58], v[59:60], v[57:58]
	s_delay_alu instid0(VALU_DEP_2) | instskip(NEXT) | instid1(VALU_DEP_2)
	v_add_f64 v[71:72], v[69:70], v[61:62]
	v_add_f64 v[96:97], v[75:76], v[57:58]
	s_delay_alu instid0(VALU_DEP_2) | instskip(SKIP_1) | instid1(VALU_DEP_2)
	v_rcp_f64_e32 v[73:74], v[71:72]
	v_add_f64 v[69:70], v[71:72], -v[69:70]
	v_add_f64 v[75:76], v[96:97], -v[75:76]
	s_delay_alu instid0(VALU_DEP_2) | instskip(SKIP_3) | instid1(VALU_DEP_2)
	v_add_f64 v[61:62], v[61:62], -v[69:70]
	s_waitcnt_depctr 0xfff
	v_fma_f64 v[98:99], -v[71:72], v[73:74], 1.0
	v_add_f64 v[57:58], v[57:58], -v[75:76]
	v_fma_f64 v[73:74], v[98:99], v[73:74], v[73:74]
	s_delay_alu instid0(VALU_DEP_1) | instskip(NEXT) | instid1(VALU_DEP_1)
	v_fma_f64 v[59:60], -v[71:72], v[73:74], 1.0
	v_fma_f64 v[59:60], v[59:60], v[73:74], v[73:74]
	s_delay_alu instid0(VALU_DEP_1) | instskip(NEXT) | instid1(VALU_DEP_1)
	v_mul_f64 v[73:74], v[96:97], v[59:60]
	v_mul_f64 v[98:99], v[71:72], v[73:74]
	s_delay_alu instid0(VALU_DEP_1) | instskip(NEXT) | instid1(VALU_DEP_1)
	v_fma_f64 v[69:70], v[73:74], v[71:72], -v[98:99]
	v_fma_f64 v[69:70], v[73:74], v[61:62], v[69:70]
	s_delay_alu instid0(VALU_DEP_1) | instskip(NEXT) | instid1(VALU_DEP_1)
	v_add_f64 v[100:101], v[98:99], v[69:70]
	v_add_f64 v[102:103], v[96:97], -v[100:101]
	v_add_f64 v[75:76], v[100:101], -v[98:99]
	s_delay_alu instid0(VALU_DEP_2) | instskip(NEXT) | instid1(VALU_DEP_2)
	v_add_f64 v[96:97], v[96:97], -v[102:103]
	v_add_f64 v[69:70], v[75:76], -v[69:70]
	s_delay_alu instid0(VALU_DEP_2) | instskip(NEXT) | instid1(VALU_DEP_1)
	v_add_f64 v[96:97], v[96:97], -v[100:101]
	v_add_f64 v[57:58], v[57:58], v[96:97]
	s_delay_alu instid0(VALU_DEP_1) | instskip(NEXT) | instid1(VALU_DEP_1)
	v_add_f64 v[57:58], v[69:70], v[57:58]
	v_add_f64 v[69:70], v[102:103], v[57:58]
	s_delay_alu instid0(VALU_DEP_1) | instskip(SKIP_1) | instid1(VALU_DEP_2)
	v_mul_f64 v[75:76], v[59:60], v[69:70]
	v_add_f64 v[100:101], v[102:103], -v[69:70]
	v_mul_f64 v[96:97], v[71:72], v[75:76]
	s_delay_alu instid0(VALU_DEP_2) | instskip(NEXT) | instid1(VALU_DEP_2)
	v_add_f64 v[57:58], v[57:58], v[100:101]
	v_fma_f64 v[71:72], v[75:76], v[71:72], -v[96:97]
	s_delay_alu instid0(VALU_DEP_1) | instskip(NEXT) | instid1(VALU_DEP_1)
	v_fma_f64 v[61:62], v[75:76], v[61:62], v[71:72]
	v_add_f64 v[71:72], v[96:97], v[61:62]
	s_delay_alu instid0(VALU_DEP_1) | instskip(SKIP_1) | instid1(VALU_DEP_2)
	v_add_f64 v[98:99], v[69:70], -v[71:72]
	v_add_f64 v[96:97], v[71:72], -v[96:97]
	;; [unrolled: 1-line block ×3, first 2 shown]
	s_delay_alu instid0(VALU_DEP_2) | instskip(NEXT) | instid1(VALU_DEP_2)
	v_add_f64 v[61:62], v[96:97], -v[61:62]
	v_add_f64 v[69:70], v[69:70], -v[71:72]
	s_delay_alu instid0(VALU_DEP_1) | instskip(SKIP_1) | instid1(VALU_DEP_2)
	v_add_f64 v[57:58], v[57:58], v[69:70]
	v_add_f64 v[69:70], v[73:74], v[75:76]
	;; [unrolled: 1-line block ×3, first 2 shown]
	s_delay_alu instid0(VALU_DEP_2) | instskip(NEXT) | instid1(VALU_DEP_2)
	v_add_f64 v[61:62], v[69:70], -v[73:74]
	v_add_f64 v[57:58], v[98:99], v[57:58]
	s_delay_alu instid0(VALU_DEP_2) | instskip(NEXT) | instid1(VALU_DEP_2)
	v_add_f64 v[61:62], v[75:76], -v[61:62]
	v_mul_f64 v[57:58], v[59:60], v[57:58]
	s_delay_alu instid0(VALU_DEP_1) | instskip(NEXT) | instid1(VALU_DEP_1)
	v_add_f64 v[57:58], v[61:62], v[57:58]
	v_add_f64 v[59:60], v[69:70], v[57:58]
	s_delay_alu instid0(VALU_DEP_1) | instskip(NEXT) | instid1(VALU_DEP_1)
	v_mul_f64 v[61:62], v[59:60], v[59:60]
	v_fma_f64 v[71:72], v[61:62], s[40:41], s[38:39]
	s_mov_b32 s38, 0xd7f4df2e
	s_mov_b32 s39, 0x3fc7474d
	v_mul_f64 v[73:74], v[59:60], v[61:62]
	s_delay_alu instid0(VALU_DEP_2)
	v_fma_f64 v[71:72], v[61:62], v[71:72], s[38:39]
	s_mov_b32 s38, 0x16291751
	s_mov_b32 s39, 0x3fcc71c0
	s_delay_alu instid0(VALU_DEP_1) | instid1(SALU_CYCLE_1)
	v_fma_f64 v[71:72], v[61:62], v[71:72], s[38:39]
	s_mov_b32 s38, 0x9b27acf1
	s_mov_b32 s39, 0x3fd24924
	s_delay_alu instid0(VALU_DEP_1) | instid1(SALU_CYCLE_1)
	v_fma_f64 v[71:72], v[61:62], v[71:72], s[38:39]
	s_mov_b32 s38, 0x998ef7b6
	s_mov_b32 s39, 0x3fd99999
	s_delay_alu instid0(VALU_DEP_1) | instid1(SALU_CYCLE_1)
	v_fma_f64 v[71:72], v[61:62], v[71:72], s[38:39]
	s_delay_alu instid0(VALU_DEP_1) | instskip(SKIP_2) | instid1(VALU_DEP_3)
	v_fma_f64 v[61:62], v[61:62], v[71:72], s[28:29]
	v_ldexp_f64 v[71:72], v[59:60], 1
	v_add_f64 v[59:60], v[59:60], -v[69:70]
	v_mul_f64 v[61:62], v[73:74], v[61:62]
	v_cvt_f64_i32_e32 v[73:74], v104
	s_delay_alu instid0(VALU_DEP_3) | instskip(NEXT) | instid1(VALU_DEP_3)
	v_add_f64 v[57:58], v[57:58], -v[59:60]
	v_add_f64 v[69:70], v[71:72], v[61:62]
	s_delay_alu instid0(VALU_DEP_3) | instskip(NEXT) | instid1(VALU_DEP_3)
	v_mul_f64 v[75:76], v[73:74], s[30:31]
	v_ldexp_f64 v[57:58], v[57:58], 1
	s_delay_alu instid0(VALU_DEP_3) | instskip(NEXT) | instid1(VALU_DEP_3)
	v_add_f64 v[59:60], v[69:70], -v[71:72]
	v_fma_f64 v[71:72], v[73:74], s[30:31], -v[75:76]
	s_delay_alu instid0(VALU_DEP_2) | instskip(NEXT) | instid1(VALU_DEP_2)
	v_add_f64 v[59:60], v[61:62], -v[59:60]
	v_fma_f64 v[61:62], v[73:74], s[34:35], v[71:72]
	s_delay_alu instid0(VALU_DEP_2) | instskip(NEXT) | instid1(VALU_DEP_2)
	v_add_f64 v[57:58], v[57:58], v[59:60]
	v_add_f64 v[59:60], v[75:76], v[61:62]
	s_delay_alu instid0(VALU_DEP_2) | instskip(NEXT) | instid1(VALU_DEP_2)
	v_add_f64 v[71:72], v[69:70], v[57:58]
	v_add_f64 v[75:76], v[59:60], -v[75:76]
	s_delay_alu instid0(VALU_DEP_2) | instskip(SKIP_1) | instid1(VALU_DEP_3)
	v_add_f64 v[73:74], v[59:60], v[71:72]
	v_add_f64 v[69:70], v[71:72], -v[69:70]
	v_add_f64 v[61:62], v[61:62], -v[75:76]
	s_delay_alu instid0(VALU_DEP_3) | instskip(NEXT) | instid1(VALU_DEP_3)
	v_add_f64 v[96:97], v[73:74], -v[59:60]
	v_add_f64 v[57:58], v[57:58], -v[69:70]
	s_delay_alu instid0(VALU_DEP_2) | instskip(SKIP_1) | instid1(VALU_DEP_3)
	v_add_f64 v[98:99], v[73:74], -v[96:97]
	v_add_f64 v[69:70], v[71:72], -v[96:97]
	v_add_f64 v[71:72], v[61:62], v[57:58]
	s_delay_alu instid0(VALU_DEP_3) | instskip(NEXT) | instid1(VALU_DEP_1)
	v_add_f64 v[59:60], v[59:60], -v[98:99]
	v_add_f64 v[59:60], v[69:70], v[59:60]
	s_delay_alu instid0(VALU_DEP_3) | instskip(NEXT) | instid1(VALU_DEP_2)
	v_add_f64 v[69:70], v[71:72], -v[61:62]
	v_add_f64 v[59:60], v[71:72], v[59:60]
	s_delay_alu instid0(VALU_DEP_2) | instskip(SKIP_1) | instid1(VALU_DEP_3)
	v_add_f64 v[71:72], v[71:72], -v[69:70]
	v_add_f64 v[57:58], v[57:58], -v[69:70]
	v_add_f64 v[75:76], v[73:74], v[59:60]
	s_delay_alu instid0(VALU_DEP_3) | instskip(NEXT) | instid1(VALU_DEP_2)
	v_add_f64 v[61:62], v[61:62], -v[71:72]
	v_add_f64 v[69:70], v[75:76], -v[73:74]
	s_delay_alu instid0(VALU_DEP_2) | instskip(NEXT) | instid1(VALU_DEP_2)
	v_add_f64 v[57:58], v[57:58], v[61:62]
	v_add_f64 v[59:60], v[59:60], -v[69:70]
	s_delay_alu instid0(VALU_DEP_1) | instskip(NEXT) | instid1(VALU_DEP_1)
	v_add_f64 v[57:58], v[57:58], v[59:60]
	v_add_f64 v[57:58], v[75:76], v[57:58]
	s_delay_alu instid0(VALU_DEP_1) | instskip(NEXT) | instid1(VALU_DEP_2)
	v_cndmask_b32_e64 v57, v57, v55, s27
	v_cndmask_b32_e64 v58, v58, v56, s27
	v_cmp_ngt_f64_e64 s27, -1.0, v[55:56]
	s_delay_alu instid0(VALU_DEP_1) | instskip(SKIP_1) | instid1(VALU_DEP_1)
	v_cndmask_b32_e64 v58, 0x7ff80000, v58, s27
	v_cmp_nge_f64_e64 s27, -1.0, v[55:56]
	v_cndmask_b32_e64 v57, 0, v57, s27
	v_cmp_neq_f64_e64 s27, -1.0, v[55:56]
	s_delay_alu instid0(VALU_DEP_1) | instskip(NEXT) | instid1(VALU_DEP_1)
	v_cndmask_b32_e64 v58, 0xfff00000, v58, s27
	v_add_f64 v[69:70], v[53:54], v[57:58]
.LBB26_52:
	s_or_b32 exec_lo, exec_lo, s36
	v_max_f64 v[53:54], v[15:16], v[15:16]
	s_delay_alu instid0(VALU_DEP_2) | instskip(SKIP_2) | instid1(VALU_DEP_3)
	v_max_f64 v[55:56], v[69:70], v[69:70]
	v_cmp_u_f64_e64 s28, v[69:70], v[69:70]
	v_cmp_u_f64_e64 s27, v[15:16], v[15:16]
	v_min_f64 v[57:58], v[55:56], v[53:54]
	v_max_f64 v[55:56], v[55:56], v[53:54]
	s_delay_alu instid0(VALU_DEP_2) | instskip(NEXT) | instid1(VALU_DEP_3)
	v_cndmask_b32_e64 v57, v57, v69, s28
	v_cndmask_b32_e64 v58, v58, v70, s28
	s_delay_alu instid0(VALU_DEP_3) | instskip(NEXT) | instid1(VALU_DEP_4)
	v_cndmask_b32_e64 v56, v56, v70, s28
	v_cndmask_b32_e64 v55, v55, v69, s28
	s_delay_alu instid0(VALU_DEP_4) | instskip(NEXT) | instid1(VALU_DEP_4)
	v_cndmask_b32_e64 v57, v57, v15, s27
	v_cndmask_b32_e64 v58, v58, v16, s27
	s_delay_alu instid0(VALU_DEP_4) | instskip(NEXT) | instid1(VALU_DEP_4)
	v_cndmask_b32_e64 v56, v56, v16, s27
	v_cndmask_b32_e64 v55, v55, v15, s27
	s_delay_alu instid0(VALU_DEP_3) | instskip(NEXT) | instid1(VALU_DEP_2)
	v_cmp_class_f64_e64 s29, v[57:58], 0x1f8
	v_cmp_neq_f64_e64 s28, v[57:58], v[55:56]
	s_delay_alu instid0(VALU_DEP_1) | instskip(NEXT) | instid1(SALU_CYCLE_1)
	s_or_b32 s28, s28, s29
	s_and_saveexec_b32 s36, s28
	s_cbranch_execz .LBB26_54
; %bb.53:
	v_add_f64 v[57:58], v[57:58], -v[55:56]
	s_mov_b32 s28, 0x652b82fe
	s_mov_b32 s29, 0x3ff71547
	;; [unrolled: 1-line block ×10, first 2 shown]
	s_delay_alu instid0(VALU_DEP_1) | instskip(SKIP_2) | instid1(VALU_DEP_1)
	v_mul_f64 v[59:60], v[57:58], s[28:29]
	s_mov_b32 s28, 0xfca7ab0c
	s_mov_b32 s29, 0x3e928af3
	v_rndne_f64_e32 v[59:60], v[59:60]
	s_delay_alu instid0(VALU_DEP_1) | instskip(SKIP_2) | instid1(VALU_DEP_2)
	v_fma_f64 v[61:62], v[59:60], s[30:31], v[57:58]
	v_cvt_i32_f64_e32 v71, v[59:60]
	s_mov_b32 s31, 0x3fe62e42
	v_fma_f64 v[61:62], v[59:60], s[34:35], v[61:62]
	s_mov_b32 s35, 0x3c7abc9e
	s_delay_alu instid0(VALU_DEP_1) | instskip(SKIP_4) | instid1(VALU_DEP_1)
	v_fma_f64 v[69:70], v[61:62], s[38:39], s[28:29]
	s_mov_b32 s28, 0x623fde64
	s_mov_b32 s29, 0x3ec71dee
	;; [unrolled: 1-line block ×4, first 2 shown]
	v_fma_f64 v[69:70], v[61:62], v[69:70], s[28:29]
	s_mov_b32 s28, 0x7c89e6b0
	s_mov_b32 s29, 0x3efa0199
	s_delay_alu instid0(VALU_DEP_1) | instid1(SALU_CYCLE_1)
	v_fma_f64 v[69:70], v[61:62], v[69:70], s[28:29]
	s_mov_b32 s28, 0x14761f6e
	s_mov_b32 s29, 0x3f2a01a0
	s_delay_alu instid0(VALU_DEP_1) | instid1(SALU_CYCLE_1)
	;; [unrolled: 4-line block ×7, first 2 shown]
	v_fma_f64 v[69:70], v[61:62], v[69:70], s[28:29]
	v_cmp_nlt_f64_e64 s28, 0x40900000, v[57:58]
	v_cmp_ngt_f64_e64 s29, 0xc090cc00, v[57:58]
	s_delay_alu instid0(VALU_DEP_3) | instskip(NEXT) | instid1(VALU_DEP_1)
	v_fma_f64 v[69:70], v[61:62], v[69:70], 1.0
	v_fma_f64 v[59:60], v[61:62], v[69:70], 1.0
	s_delay_alu instid0(VALU_DEP_1) | instskip(NEXT) | instid1(VALU_DEP_1)
	v_ldexp_f64 v[59:60], v[59:60], v71
	v_cndmask_b32_e64 v60, 0x7ff00000, v60, s28
	s_and_b32 s28, s29, s28
	s_delay_alu instid0(VALU_DEP_2) | instid1(SALU_CYCLE_1)
	v_cndmask_b32_e64 v57, 0, v59, s28
	s_mov_b32 s28, 0x55555555
	s_delay_alu instid0(VALU_DEP_2) | instskip(SKIP_1) | instid1(VALU_DEP_1)
	v_cndmask_b32_e64 v58, 0, v60, s29
	s_mov_b32 s29, 0x3fe55555
	v_add_f64 v[59:60], v[57:58], 1.0
	s_delay_alu instid0(VALU_DEP_1) | instskip(SKIP_2) | instid1(VALU_DEP_3)
	v_frexp_mant_f64_e32 v[61:62], v[59:60]
	v_frexp_exp_i32_f64_e32 v71, v[59:60]
	v_add_f64 v[69:70], v[59:60], -1.0
	v_cmp_gt_f64_e64 s28, s[28:29], v[61:62]
	s_delay_alu instid0(VALU_DEP_2) | instskip(SKIP_1) | instid1(VALU_DEP_3)
	v_add_f64 v[61:62], v[69:70], -v[59:60]
	v_add_f64 v[69:70], v[57:58], -v[69:70]
	v_subrev_co_ci_u32_e64 v106, s28, 0, v71, s28
	s_delay_alu instid0(VALU_DEP_3) | instskip(SKIP_1) | instid1(VALU_DEP_2)
	v_add_f64 v[61:62], v[61:62], 1.0
	s_mov_b32 s28, 0x55555780
	v_sub_nc_u32_e32 v73, 0, v106
	s_delay_alu instid0(VALU_DEP_1) | instskip(NEXT) | instid1(VALU_DEP_3)
	v_ldexp_f64 v[59:60], v[59:60], v73
	v_add_f64 v[61:62], v[69:70], v[61:62]
	s_delay_alu instid0(VALU_DEP_2) | instskip(SKIP_1) | instid1(VALU_DEP_3)
	v_add_f64 v[71:72], v[59:60], 1.0
	v_add_f64 v[96:97], v[59:60], -1.0
	v_ldexp_f64 v[61:62], v[61:62], v73
	s_delay_alu instid0(VALU_DEP_3) | instskip(NEXT) | instid1(VALU_DEP_3)
	v_add_f64 v[69:70], v[71:72], -1.0
	v_add_f64 v[98:99], v[96:97], 1.0
	s_delay_alu instid0(VALU_DEP_2) | instskip(NEXT) | instid1(VALU_DEP_2)
	v_add_f64 v[69:70], v[59:60], -v[69:70]
	v_add_f64 v[59:60], v[59:60], -v[98:99]
	s_delay_alu instid0(VALU_DEP_2) | instskip(NEXT) | instid1(VALU_DEP_2)
	v_add_f64 v[69:70], v[61:62], v[69:70]
	v_add_f64 v[59:60], v[61:62], v[59:60]
	s_delay_alu instid0(VALU_DEP_2) | instskip(NEXT) | instid1(VALU_DEP_2)
	v_add_f64 v[73:74], v[71:72], v[69:70]
	v_add_f64 v[98:99], v[96:97], v[59:60]
	s_delay_alu instid0(VALU_DEP_2) | instskip(SKIP_1) | instid1(VALU_DEP_2)
	v_rcp_f64_e32 v[75:76], v[73:74]
	v_add_f64 v[71:72], v[73:74], -v[71:72]
	v_add_f64 v[96:97], v[98:99], -v[96:97]
	s_delay_alu instid0(VALU_DEP_2) | instskip(SKIP_3) | instid1(VALU_DEP_2)
	v_add_f64 v[69:70], v[69:70], -v[71:72]
	s_waitcnt_depctr 0xfff
	v_fma_f64 v[100:101], -v[73:74], v[75:76], 1.0
	v_add_f64 v[59:60], v[59:60], -v[96:97]
	v_fma_f64 v[75:76], v[100:101], v[75:76], v[75:76]
	s_delay_alu instid0(VALU_DEP_1) | instskip(NEXT) | instid1(VALU_DEP_1)
	v_fma_f64 v[61:62], -v[73:74], v[75:76], 1.0
	v_fma_f64 v[61:62], v[61:62], v[75:76], v[75:76]
	s_delay_alu instid0(VALU_DEP_1) | instskip(NEXT) | instid1(VALU_DEP_1)
	v_mul_f64 v[75:76], v[98:99], v[61:62]
	v_mul_f64 v[100:101], v[73:74], v[75:76]
	s_delay_alu instid0(VALU_DEP_1) | instskip(NEXT) | instid1(VALU_DEP_1)
	v_fma_f64 v[71:72], v[75:76], v[73:74], -v[100:101]
	v_fma_f64 v[71:72], v[75:76], v[69:70], v[71:72]
	s_delay_alu instid0(VALU_DEP_1) | instskip(NEXT) | instid1(VALU_DEP_1)
	v_add_f64 v[102:103], v[100:101], v[71:72]
	v_add_f64 v[104:105], v[98:99], -v[102:103]
	v_add_f64 v[96:97], v[102:103], -v[100:101]
	s_delay_alu instid0(VALU_DEP_2) | instskip(NEXT) | instid1(VALU_DEP_2)
	v_add_f64 v[98:99], v[98:99], -v[104:105]
	v_add_f64 v[71:72], v[96:97], -v[71:72]
	s_delay_alu instid0(VALU_DEP_2) | instskip(NEXT) | instid1(VALU_DEP_1)
	v_add_f64 v[98:99], v[98:99], -v[102:103]
	v_add_f64 v[59:60], v[59:60], v[98:99]
	s_delay_alu instid0(VALU_DEP_1) | instskip(NEXT) | instid1(VALU_DEP_1)
	v_add_f64 v[59:60], v[71:72], v[59:60]
	v_add_f64 v[71:72], v[104:105], v[59:60]
	s_delay_alu instid0(VALU_DEP_1) | instskip(SKIP_1) | instid1(VALU_DEP_2)
	v_mul_f64 v[96:97], v[61:62], v[71:72]
	v_add_f64 v[102:103], v[104:105], -v[71:72]
	v_mul_f64 v[98:99], v[73:74], v[96:97]
	s_delay_alu instid0(VALU_DEP_2) | instskip(NEXT) | instid1(VALU_DEP_2)
	v_add_f64 v[59:60], v[59:60], v[102:103]
	v_fma_f64 v[73:74], v[96:97], v[73:74], -v[98:99]
	s_delay_alu instid0(VALU_DEP_1) | instskip(NEXT) | instid1(VALU_DEP_1)
	v_fma_f64 v[69:70], v[96:97], v[69:70], v[73:74]
	v_add_f64 v[73:74], v[98:99], v[69:70]
	s_delay_alu instid0(VALU_DEP_1) | instskip(SKIP_1) | instid1(VALU_DEP_2)
	v_add_f64 v[100:101], v[71:72], -v[73:74]
	v_add_f64 v[98:99], v[73:74], -v[98:99]
	;; [unrolled: 1-line block ×3, first 2 shown]
	s_delay_alu instid0(VALU_DEP_2) | instskip(NEXT) | instid1(VALU_DEP_2)
	v_add_f64 v[69:70], v[98:99], -v[69:70]
	v_add_f64 v[71:72], v[71:72], -v[73:74]
	s_delay_alu instid0(VALU_DEP_1) | instskip(SKIP_1) | instid1(VALU_DEP_2)
	v_add_f64 v[59:60], v[59:60], v[71:72]
	v_add_f64 v[71:72], v[75:76], v[96:97]
	;; [unrolled: 1-line block ×3, first 2 shown]
	s_delay_alu instid0(VALU_DEP_2) | instskip(NEXT) | instid1(VALU_DEP_2)
	v_add_f64 v[69:70], v[71:72], -v[75:76]
	v_add_f64 v[59:60], v[100:101], v[59:60]
	s_delay_alu instid0(VALU_DEP_2) | instskip(NEXT) | instid1(VALU_DEP_2)
	v_add_f64 v[69:70], v[96:97], -v[69:70]
	v_mul_f64 v[59:60], v[61:62], v[59:60]
	s_delay_alu instid0(VALU_DEP_1) | instskip(NEXT) | instid1(VALU_DEP_1)
	v_add_f64 v[59:60], v[69:70], v[59:60]
	v_add_f64 v[61:62], v[71:72], v[59:60]
	s_delay_alu instid0(VALU_DEP_1) | instskip(NEXT) | instid1(VALU_DEP_1)
	v_mul_f64 v[69:70], v[61:62], v[61:62]
	v_fma_f64 v[73:74], v[69:70], s[40:41], s[38:39]
	s_mov_b32 s38, 0xd7f4df2e
	s_mov_b32 s39, 0x3fc7474d
	v_mul_f64 v[75:76], v[61:62], v[69:70]
	s_delay_alu instid0(VALU_DEP_2)
	v_fma_f64 v[73:74], v[69:70], v[73:74], s[38:39]
	s_mov_b32 s38, 0x16291751
	s_mov_b32 s39, 0x3fcc71c0
	s_delay_alu instid0(VALU_DEP_1) | instid1(SALU_CYCLE_1)
	v_fma_f64 v[73:74], v[69:70], v[73:74], s[38:39]
	s_mov_b32 s38, 0x9b27acf1
	s_mov_b32 s39, 0x3fd24924
	s_delay_alu instid0(VALU_DEP_1) | instid1(SALU_CYCLE_1)
	;; [unrolled: 4-line block ×3, first 2 shown]
	v_fma_f64 v[73:74], v[69:70], v[73:74], s[38:39]
	s_delay_alu instid0(VALU_DEP_1) | instskip(SKIP_3) | instid1(VALU_DEP_4)
	v_fma_f64 v[69:70], v[69:70], v[73:74], s[28:29]
	v_ldexp_f64 v[73:74], v[61:62], 1
	v_add_f64 v[61:62], v[61:62], -v[71:72]
	v_cmp_eq_f64_e64 s28, 0x7ff00000, v[57:58]
	v_mul_f64 v[69:70], v[75:76], v[69:70]
	v_cvt_f64_i32_e32 v[75:76], v106
	s_delay_alu instid0(VALU_DEP_4) | instskip(NEXT) | instid1(VALU_DEP_3)
	v_add_f64 v[59:60], v[59:60], -v[61:62]
	v_add_f64 v[71:72], v[73:74], v[69:70]
	s_delay_alu instid0(VALU_DEP_3) | instskip(NEXT) | instid1(VALU_DEP_3)
	v_mul_f64 v[96:97], v[75:76], s[30:31]
	v_ldexp_f64 v[59:60], v[59:60], 1
	s_delay_alu instid0(VALU_DEP_3) | instskip(NEXT) | instid1(VALU_DEP_3)
	v_add_f64 v[61:62], v[71:72], -v[73:74]
	v_fma_f64 v[73:74], v[75:76], s[30:31], -v[96:97]
	s_delay_alu instid0(VALU_DEP_2) | instskip(NEXT) | instid1(VALU_DEP_2)
	v_add_f64 v[61:62], v[69:70], -v[61:62]
	v_fma_f64 v[69:70], v[75:76], s[34:35], v[73:74]
	s_delay_alu instid0(VALU_DEP_2) | instskip(NEXT) | instid1(VALU_DEP_2)
	v_add_f64 v[59:60], v[59:60], v[61:62]
	v_add_f64 v[61:62], v[96:97], v[69:70]
	s_delay_alu instid0(VALU_DEP_2) | instskip(NEXT) | instid1(VALU_DEP_2)
	v_add_f64 v[73:74], v[71:72], v[59:60]
	v_add_f64 v[96:97], v[61:62], -v[96:97]
	s_delay_alu instid0(VALU_DEP_2) | instskip(SKIP_1) | instid1(VALU_DEP_3)
	v_add_f64 v[75:76], v[61:62], v[73:74]
	v_add_f64 v[71:72], v[73:74], -v[71:72]
	v_add_f64 v[69:70], v[69:70], -v[96:97]
	s_delay_alu instid0(VALU_DEP_3) | instskip(NEXT) | instid1(VALU_DEP_3)
	v_add_f64 v[98:99], v[75:76], -v[61:62]
	v_add_f64 v[59:60], v[59:60], -v[71:72]
	s_delay_alu instid0(VALU_DEP_2) | instskip(SKIP_1) | instid1(VALU_DEP_3)
	v_add_f64 v[100:101], v[75:76], -v[98:99]
	v_add_f64 v[71:72], v[73:74], -v[98:99]
	v_add_f64 v[73:74], v[69:70], v[59:60]
	s_delay_alu instid0(VALU_DEP_3) | instskip(NEXT) | instid1(VALU_DEP_1)
	v_add_f64 v[61:62], v[61:62], -v[100:101]
	v_add_f64 v[61:62], v[71:72], v[61:62]
	s_delay_alu instid0(VALU_DEP_3) | instskip(NEXT) | instid1(VALU_DEP_2)
	v_add_f64 v[71:72], v[73:74], -v[69:70]
	v_add_f64 v[61:62], v[73:74], v[61:62]
	s_delay_alu instid0(VALU_DEP_2) | instskip(SKIP_1) | instid1(VALU_DEP_3)
	v_add_f64 v[73:74], v[73:74], -v[71:72]
	v_add_f64 v[59:60], v[59:60], -v[71:72]
	v_add_f64 v[96:97], v[75:76], v[61:62]
	s_delay_alu instid0(VALU_DEP_3) | instskip(NEXT) | instid1(VALU_DEP_2)
	v_add_f64 v[69:70], v[69:70], -v[73:74]
	v_add_f64 v[71:72], v[96:97], -v[75:76]
	s_delay_alu instid0(VALU_DEP_2) | instskip(NEXT) | instid1(VALU_DEP_2)
	v_add_f64 v[59:60], v[59:60], v[69:70]
	v_add_f64 v[61:62], v[61:62], -v[71:72]
	s_delay_alu instid0(VALU_DEP_1) | instskip(NEXT) | instid1(VALU_DEP_1)
	v_add_f64 v[59:60], v[59:60], v[61:62]
	v_add_f64 v[59:60], v[96:97], v[59:60]
	s_delay_alu instid0(VALU_DEP_1) | instskip(NEXT) | instid1(VALU_DEP_2)
	v_cndmask_b32_e64 v59, v59, v57, s28
	v_cndmask_b32_e64 v60, v60, v58, s28
	v_cmp_ngt_f64_e64 s28, -1.0, v[57:58]
	s_delay_alu instid0(VALU_DEP_1) | instskip(SKIP_1) | instid1(VALU_DEP_1)
	v_cndmask_b32_e64 v60, 0x7ff80000, v60, s28
	v_cmp_nge_f64_e64 s28, -1.0, v[57:58]
	v_cndmask_b32_e64 v59, 0, v59, s28
	v_cmp_neq_f64_e64 s28, -1.0, v[57:58]
	s_delay_alu instid0(VALU_DEP_1) | instskip(NEXT) | instid1(VALU_DEP_1)
	v_cndmask_b32_e64 v60, 0xfff00000, v60, s28
	v_add_f64 v[69:70], v[55:56], v[59:60]
.LBB26_54:
	s_or_b32 exec_lo, exec_lo, s36
	v_max_f64 v[55:56], v[9:10], v[9:10]
	s_delay_alu instid0(VALU_DEP_2) | instskip(SKIP_2) | instid1(VALU_DEP_3)
	v_max_f64 v[57:58], v[69:70], v[69:70]
	v_cmp_u_f64_e64 s29, v[69:70], v[69:70]
	v_cmp_u_f64_e64 s28, v[9:10], v[9:10]
	v_min_f64 v[59:60], v[57:58], v[55:56]
	v_max_f64 v[57:58], v[57:58], v[55:56]
	s_delay_alu instid0(VALU_DEP_2) | instskip(NEXT) | instid1(VALU_DEP_3)
	v_cndmask_b32_e64 v59, v59, v69, s29
	v_cndmask_b32_e64 v60, v60, v70, s29
	s_delay_alu instid0(VALU_DEP_3) | instskip(NEXT) | instid1(VALU_DEP_4)
	v_cndmask_b32_e64 v58, v58, v70, s29
	v_cndmask_b32_e64 v57, v57, v69, s29
	s_delay_alu instid0(VALU_DEP_4) | instskip(NEXT) | instid1(VALU_DEP_4)
	v_cndmask_b32_e64 v59, v59, v9, s28
	v_cndmask_b32_e64 v60, v60, v10, s28
	s_delay_alu instid0(VALU_DEP_4) | instskip(NEXT) | instid1(VALU_DEP_4)
	v_cndmask_b32_e64 v58, v58, v10, s28
	v_cndmask_b32_e64 v57, v57, v9, s28
	s_delay_alu instid0(VALU_DEP_3) | instskip(NEXT) | instid1(VALU_DEP_2)
	v_cmp_class_f64_e64 s30, v[59:60], 0x1f8
	v_cmp_neq_f64_e64 s29, v[59:60], v[57:58]
	s_delay_alu instid0(VALU_DEP_1) | instskip(NEXT) | instid1(SALU_CYCLE_1)
	s_or_b32 s29, s29, s30
	s_and_saveexec_b32 s38, s29
	s_cbranch_execz .LBB26_56
; %bb.55:
	v_add_f64 v[59:60], v[59:60], -v[57:58]
	s_mov_b32 s30, 0x652b82fe
	s_mov_b32 s31, 0x3ff71547
	;; [unrolled: 1-line block ×10, first 2 shown]
	s_delay_alu instid0(VALU_DEP_1) | instskip(SKIP_3) | instid1(VALU_DEP_2)
	v_mul_f64 v[61:62], v[59:60], s[30:31]
	s_mov_b32 s30, 0xfca7ab0c
	s_mov_b32 s31, 0x3e928af3
	v_cmp_nlt_f64_e64 s29, 0x40900000, v[59:60]
	v_rndne_f64_e32 v[61:62], v[61:62]
	s_delay_alu instid0(VALU_DEP_1) | instskip(SKIP_2) | instid1(VALU_DEP_2)
	v_fma_f64 v[69:70], v[61:62], s[34:35], v[59:60]
	v_cvt_i32_f64_e32 v73, v[61:62]
	s_mov_b32 s35, 0x3fe62e42
	v_fma_f64 v[69:70], v[61:62], s[36:37], v[69:70]
	s_mov_b32 s37, 0x3c7abc9e
	s_delay_alu instid0(VALU_DEP_1) | instskip(SKIP_4) | instid1(VALU_DEP_1)
	v_fma_f64 v[71:72], v[69:70], s[40:41], s[30:31]
	s_mov_b32 s30, 0x623fde64
	s_mov_b32 s31, 0x3ec71dee
	;; [unrolled: 1-line block ×4, first 2 shown]
	v_fma_f64 v[71:72], v[69:70], v[71:72], s[30:31]
	s_mov_b32 s30, 0x7c89e6b0
	s_mov_b32 s31, 0x3efa0199
	s_delay_alu instid0(VALU_DEP_1) | instid1(SALU_CYCLE_1)
	v_fma_f64 v[71:72], v[69:70], v[71:72], s[30:31]
	s_mov_b32 s30, 0x14761f6e
	s_mov_b32 s31, 0x3f2a01a0
	s_delay_alu instid0(VALU_DEP_1) | instid1(SALU_CYCLE_1)
	;; [unrolled: 4-line block ×7, first 2 shown]
	v_fma_f64 v[71:72], v[69:70], v[71:72], s[30:31]
	v_cmp_ngt_f64_e64 s30, 0xc090cc00, v[59:60]
	s_mov_b32 s31, 0x3fe55555
	s_delay_alu instid0(VALU_DEP_2) | instskip(NEXT) | instid1(VALU_DEP_1)
	v_fma_f64 v[71:72], v[69:70], v[71:72], 1.0
	v_fma_f64 v[61:62], v[69:70], v[71:72], 1.0
	s_delay_alu instid0(VALU_DEP_1) | instskip(NEXT) | instid1(VALU_DEP_1)
	v_ldexp_f64 v[61:62], v[61:62], v73
	v_cndmask_b32_e64 v62, 0x7ff00000, v62, s29
	s_and_b32 s29, s30, s29
	s_delay_alu instid0(VALU_DEP_2) | instid1(SALU_CYCLE_1)
	v_cndmask_b32_e64 v59, 0, v61, s29
	s_delay_alu instid0(VALU_DEP_2) | instskip(SKIP_1) | instid1(VALU_DEP_1)
	v_cndmask_b32_e64 v60, 0, v62, s30
	s_mov_b32 s30, 0x55555555
	v_add_f64 v[61:62], v[59:60], 1.0
	s_delay_alu instid0(VALU_DEP_1) | instskip(SKIP_2) | instid1(VALU_DEP_3)
	v_frexp_mant_f64_e32 v[69:70], v[61:62]
	v_frexp_exp_i32_f64_e32 v73, v[61:62]
	v_add_f64 v[71:72], v[61:62], -1.0
	v_cmp_gt_f64_e64 s29, s[30:31], v[69:70]
	s_mov_b32 s30, 0x55555780
	s_delay_alu instid0(VALU_DEP_2) | instskip(SKIP_1) | instid1(VALU_DEP_3)
	v_add_f64 v[69:70], v[71:72], -v[61:62]
	v_add_f64 v[71:72], v[59:60], -v[71:72]
	v_subrev_co_ci_u32_e64 v108, s29, 0, v73, s29
	s_delay_alu instid0(VALU_DEP_3) | instskip(SKIP_1) | instid1(VALU_DEP_3)
	v_add_f64 v[69:70], v[69:70], 1.0
	v_cmp_eq_f64_e64 s29, 0x7ff00000, v[59:60]
	v_sub_nc_u32_e32 v75, 0, v108
	s_delay_alu instid0(VALU_DEP_1) | instskip(NEXT) | instid1(VALU_DEP_4)
	v_ldexp_f64 v[61:62], v[61:62], v75
	v_add_f64 v[69:70], v[71:72], v[69:70]
	s_delay_alu instid0(VALU_DEP_2) | instskip(SKIP_1) | instid1(VALU_DEP_3)
	v_add_f64 v[73:74], v[61:62], 1.0
	v_add_f64 v[98:99], v[61:62], -1.0
	v_ldexp_f64 v[69:70], v[69:70], v75
	s_delay_alu instid0(VALU_DEP_3) | instskip(NEXT) | instid1(VALU_DEP_3)
	v_add_f64 v[71:72], v[73:74], -1.0
	v_add_f64 v[100:101], v[98:99], 1.0
	s_delay_alu instid0(VALU_DEP_2) | instskip(NEXT) | instid1(VALU_DEP_2)
	v_add_f64 v[71:72], v[61:62], -v[71:72]
	v_add_f64 v[61:62], v[61:62], -v[100:101]
	s_delay_alu instid0(VALU_DEP_2) | instskip(NEXT) | instid1(VALU_DEP_2)
	v_add_f64 v[71:72], v[69:70], v[71:72]
	v_add_f64 v[61:62], v[69:70], v[61:62]
	s_delay_alu instid0(VALU_DEP_2) | instskip(NEXT) | instid1(VALU_DEP_2)
	v_add_f64 v[75:76], v[73:74], v[71:72]
	v_add_f64 v[100:101], v[98:99], v[61:62]
	s_delay_alu instid0(VALU_DEP_2) | instskip(SKIP_1) | instid1(VALU_DEP_2)
	v_rcp_f64_e32 v[96:97], v[75:76]
	v_add_f64 v[73:74], v[75:76], -v[73:74]
	v_add_f64 v[98:99], v[100:101], -v[98:99]
	s_delay_alu instid0(VALU_DEP_2) | instskip(SKIP_3) | instid1(VALU_DEP_2)
	v_add_f64 v[71:72], v[71:72], -v[73:74]
	s_waitcnt_depctr 0xfff
	v_fma_f64 v[102:103], -v[75:76], v[96:97], 1.0
	v_add_f64 v[61:62], v[61:62], -v[98:99]
	v_fma_f64 v[96:97], v[102:103], v[96:97], v[96:97]
	s_delay_alu instid0(VALU_DEP_1) | instskip(NEXT) | instid1(VALU_DEP_1)
	v_fma_f64 v[69:70], -v[75:76], v[96:97], 1.0
	v_fma_f64 v[69:70], v[69:70], v[96:97], v[96:97]
	s_delay_alu instid0(VALU_DEP_1) | instskip(NEXT) | instid1(VALU_DEP_1)
	v_mul_f64 v[96:97], v[100:101], v[69:70]
	v_mul_f64 v[102:103], v[75:76], v[96:97]
	s_delay_alu instid0(VALU_DEP_1) | instskip(NEXT) | instid1(VALU_DEP_1)
	v_fma_f64 v[73:74], v[96:97], v[75:76], -v[102:103]
	v_fma_f64 v[73:74], v[96:97], v[71:72], v[73:74]
	s_delay_alu instid0(VALU_DEP_1) | instskip(NEXT) | instid1(VALU_DEP_1)
	v_add_f64 v[104:105], v[102:103], v[73:74]
	v_add_f64 v[106:107], v[100:101], -v[104:105]
	v_add_f64 v[98:99], v[104:105], -v[102:103]
	s_delay_alu instid0(VALU_DEP_2) | instskip(NEXT) | instid1(VALU_DEP_2)
	v_add_f64 v[100:101], v[100:101], -v[106:107]
	v_add_f64 v[73:74], v[98:99], -v[73:74]
	s_delay_alu instid0(VALU_DEP_2) | instskip(NEXT) | instid1(VALU_DEP_1)
	v_add_f64 v[100:101], v[100:101], -v[104:105]
	v_add_f64 v[61:62], v[61:62], v[100:101]
	s_delay_alu instid0(VALU_DEP_1) | instskip(NEXT) | instid1(VALU_DEP_1)
	v_add_f64 v[61:62], v[73:74], v[61:62]
	v_add_f64 v[73:74], v[106:107], v[61:62]
	s_delay_alu instid0(VALU_DEP_1) | instskip(SKIP_1) | instid1(VALU_DEP_2)
	v_mul_f64 v[98:99], v[69:70], v[73:74]
	v_add_f64 v[104:105], v[106:107], -v[73:74]
	v_mul_f64 v[100:101], v[75:76], v[98:99]
	s_delay_alu instid0(VALU_DEP_2) | instskip(NEXT) | instid1(VALU_DEP_2)
	v_add_f64 v[61:62], v[61:62], v[104:105]
	v_fma_f64 v[75:76], v[98:99], v[75:76], -v[100:101]
	s_delay_alu instid0(VALU_DEP_1) | instskip(NEXT) | instid1(VALU_DEP_1)
	v_fma_f64 v[71:72], v[98:99], v[71:72], v[75:76]
	v_add_f64 v[75:76], v[100:101], v[71:72]
	s_delay_alu instid0(VALU_DEP_1) | instskip(SKIP_1) | instid1(VALU_DEP_2)
	v_add_f64 v[102:103], v[73:74], -v[75:76]
	v_add_f64 v[100:101], v[75:76], -v[100:101]
	;; [unrolled: 1-line block ×3, first 2 shown]
	s_delay_alu instid0(VALU_DEP_2) | instskip(NEXT) | instid1(VALU_DEP_2)
	v_add_f64 v[71:72], v[100:101], -v[71:72]
	v_add_f64 v[73:74], v[73:74], -v[75:76]
	s_delay_alu instid0(VALU_DEP_1) | instskip(SKIP_1) | instid1(VALU_DEP_2)
	v_add_f64 v[61:62], v[61:62], v[73:74]
	v_add_f64 v[73:74], v[96:97], v[98:99]
	v_add_f64 v[61:62], v[71:72], v[61:62]
	s_delay_alu instid0(VALU_DEP_2) | instskip(NEXT) | instid1(VALU_DEP_2)
	v_add_f64 v[71:72], v[73:74], -v[96:97]
	v_add_f64 v[61:62], v[102:103], v[61:62]
	s_delay_alu instid0(VALU_DEP_2) | instskip(NEXT) | instid1(VALU_DEP_2)
	v_add_f64 v[71:72], v[98:99], -v[71:72]
	v_mul_f64 v[61:62], v[69:70], v[61:62]
	s_delay_alu instid0(VALU_DEP_1) | instskip(NEXT) | instid1(VALU_DEP_1)
	v_add_f64 v[61:62], v[71:72], v[61:62]
	v_add_f64 v[69:70], v[73:74], v[61:62]
	s_delay_alu instid0(VALU_DEP_1) | instskip(NEXT) | instid1(VALU_DEP_1)
	v_mul_f64 v[71:72], v[69:70], v[69:70]
	v_fma_f64 v[75:76], v[71:72], s[42:43], s[40:41]
	s_mov_b32 s40, 0xd7f4df2e
	s_mov_b32 s41, 0x3fc7474d
	v_mul_f64 v[96:97], v[69:70], v[71:72]
	s_delay_alu instid0(VALU_DEP_2)
	v_fma_f64 v[75:76], v[71:72], v[75:76], s[40:41]
	s_mov_b32 s40, 0x16291751
	s_mov_b32 s41, 0x3fcc71c0
	s_delay_alu instid0(VALU_DEP_1) | instid1(SALU_CYCLE_1)
	v_fma_f64 v[75:76], v[71:72], v[75:76], s[40:41]
	s_mov_b32 s40, 0x9b27acf1
	s_mov_b32 s41, 0x3fd24924
	s_delay_alu instid0(VALU_DEP_1) | instid1(SALU_CYCLE_1)
	;; [unrolled: 4-line block ×3, first 2 shown]
	v_fma_f64 v[75:76], v[71:72], v[75:76], s[40:41]
	s_delay_alu instid0(VALU_DEP_1) | instskip(SKIP_2) | instid1(VALU_DEP_3)
	v_fma_f64 v[71:72], v[71:72], v[75:76], s[30:31]
	v_ldexp_f64 v[75:76], v[69:70], 1
	v_add_f64 v[69:70], v[69:70], -v[73:74]
	v_mul_f64 v[71:72], v[96:97], v[71:72]
	v_cvt_f64_i32_e32 v[96:97], v108
	s_delay_alu instid0(VALU_DEP_3) | instskip(NEXT) | instid1(VALU_DEP_3)
	v_add_f64 v[61:62], v[61:62], -v[69:70]
	v_add_f64 v[73:74], v[75:76], v[71:72]
	s_delay_alu instid0(VALU_DEP_3) | instskip(NEXT) | instid1(VALU_DEP_3)
	v_mul_f64 v[98:99], v[96:97], s[34:35]
	v_ldexp_f64 v[61:62], v[61:62], 1
	s_delay_alu instid0(VALU_DEP_3) | instskip(NEXT) | instid1(VALU_DEP_3)
	v_add_f64 v[69:70], v[73:74], -v[75:76]
	v_fma_f64 v[75:76], v[96:97], s[34:35], -v[98:99]
	s_delay_alu instid0(VALU_DEP_2) | instskip(NEXT) | instid1(VALU_DEP_2)
	v_add_f64 v[69:70], v[71:72], -v[69:70]
	v_fma_f64 v[71:72], v[96:97], s[36:37], v[75:76]
	s_delay_alu instid0(VALU_DEP_2) | instskip(NEXT) | instid1(VALU_DEP_2)
	v_add_f64 v[61:62], v[61:62], v[69:70]
	v_add_f64 v[69:70], v[98:99], v[71:72]
	s_delay_alu instid0(VALU_DEP_2) | instskip(NEXT) | instid1(VALU_DEP_2)
	v_add_f64 v[75:76], v[73:74], v[61:62]
	v_add_f64 v[98:99], v[69:70], -v[98:99]
	s_delay_alu instid0(VALU_DEP_2) | instskip(SKIP_1) | instid1(VALU_DEP_3)
	v_add_f64 v[96:97], v[69:70], v[75:76]
	v_add_f64 v[73:74], v[75:76], -v[73:74]
	v_add_f64 v[71:72], v[71:72], -v[98:99]
	s_delay_alu instid0(VALU_DEP_3) | instskip(NEXT) | instid1(VALU_DEP_3)
	v_add_f64 v[100:101], v[96:97], -v[69:70]
	v_add_f64 v[61:62], v[61:62], -v[73:74]
	s_delay_alu instid0(VALU_DEP_2) | instskip(SKIP_1) | instid1(VALU_DEP_3)
	v_add_f64 v[102:103], v[96:97], -v[100:101]
	v_add_f64 v[73:74], v[75:76], -v[100:101]
	v_add_f64 v[75:76], v[71:72], v[61:62]
	s_delay_alu instid0(VALU_DEP_3) | instskip(NEXT) | instid1(VALU_DEP_1)
	v_add_f64 v[69:70], v[69:70], -v[102:103]
	v_add_f64 v[69:70], v[73:74], v[69:70]
	s_delay_alu instid0(VALU_DEP_3) | instskip(NEXT) | instid1(VALU_DEP_2)
	v_add_f64 v[73:74], v[75:76], -v[71:72]
	v_add_f64 v[69:70], v[75:76], v[69:70]
	s_delay_alu instid0(VALU_DEP_2) | instskip(SKIP_1) | instid1(VALU_DEP_3)
	v_add_f64 v[75:76], v[75:76], -v[73:74]
	v_add_f64 v[61:62], v[61:62], -v[73:74]
	v_add_f64 v[98:99], v[96:97], v[69:70]
	s_delay_alu instid0(VALU_DEP_3) | instskip(NEXT) | instid1(VALU_DEP_2)
	v_add_f64 v[71:72], v[71:72], -v[75:76]
	v_add_f64 v[73:74], v[98:99], -v[96:97]
	s_delay_alu instid0(VALU_DEP_2) | instskip(NEXT) | instid1(VALU_DEP_2)
	v_add_f64 v[61:62], v[61:62], v[71:72]
	v_add_f64 v[69:70], v[69:70], -v[73:74]
	s_delay_alu instid0(VALU_DEP_1) | instskip(NEXT) | instid1(VALU_DEP_1)
	v_add_f64 v[61:62], v[61:62], v[69:70]
	v_add_f64 v[61:62], v[98:99], v[61:62]
	s_delay_alu instid0(VALU_DEP_1) | instskip(NEXT) | instid1(VALU_DEP_2)
	v_cndmask_b32_e64 v61, v61, v59, s29
	v_cndmask_b32_e64 v62, v62, v60, s29
	v_cmp_ngt_f64_e64 s29, -1.0, v[59:60]
	s_delay_alu instid0(VALU_DEP_1) | instskip(SKIP_1) | instid1(VALU_DEP_1)
	v_cndmask_b32_e64 v62, 0x7ff80000, v62, s29
	v_cmp_nge_f64_e64 s29, -1.0, v[59:60]
	v_cndmask_b32_e64 v61, 0, v61, s29
	v_cmp_neq_f64_e64 s29, -1.0, v[59:60]
	s_delay_alu instid0(VALU_DEP_1) | instskip(NEXT) | instid1(VALU_DEP_1)
	v_cndmask_b32_e64 v62, 0xfff00000, v62, s29
	v_add_f64 v[69:70], v[57:58], v[61:62]
.LBB26_56:
	s_or_b32 exec_lo, exec_lo, s38
	v_max_f64 v[57:58], v[11:12], v[11:12]
	s_delay_alu instid0(VALU_DEP_2) | instskip(SKIP_2) | instid1(VALU_DEP_3)
	v_max_f64 v[59:60], v[69:70], v[69:70]
	v_cmp_u_f64_e64 s30, v[69:70], v[69:70]
	v_cmp_u_f64_e64 s29, v[11:12], v[11:12]
	v_min_f64 v[61:62], v[59:60], v[57:58]
	v_max_f64 v[59:60], v[59:60], v[57:58]
	s_delay_alu instid0(VALU_DEP_2) | instskip(NEXT) | instid1(VALU_DEP_3)
	v_cndmask_b32_e64 v61, v61, v69, s30
	v_cndmask_b32_e64 v62, v62, v70, s30
	s_delay_alu instid0(VALU_DEP_3) | instskip(NEXT) | instid1(VALU_DEP_4)
	v_cndmask_b32_e64 v60, v60, v70, s30
	v_cndmask_b32_e64 v59, v59, v69, s30
	s_delay_alu instid0(VALU_DEP_4) | instskip(NEXT) | instid1(VALU_DEP_4)
	v_cndmask_b32_e64 v61, v61, v11, s29
	v_cndmask_b32_e64 v62, v62, v12, s29
	s_delay_alu instid0(VALU_DEP_4) | instskip(NEXT) | instid1(VALU_DEP_4)
	v_cndmask_b32_e64 v60, v60, v12, s29
	v_cndmask_b32_e64 v59, v59, v11, s29
	s_delay_alu instid0(VALU_DEP_3) | instskip(NEXT) | instid1(VALU_DEP_2)
	v_cmp_class_f64_e64 s31, v[61:62], 0x1f8
	v_cmp_neq_f64_e64 s30, v[61:62], v[59:60]
	s_delay_alu instid0(VALU_DEP_1) | instskip(NEXT) | instid1(SALU_CYCLE_1)
	s_or_b32 s30, s30, s31
	s_and_saveexec_b32 s38, s30
	s_cbranch_execz .LBB26_58
; %bb.57:
	v_add_f64 v[61:62], v[61:62], -v[59:60]
	s_mov_b32 s30, 0x652b82fe
	s_mov_b32 s31, 0x3ff71547
	;; [unrolled: 1-line block ×10, first 2 shown]
	s_delay_alu instid0(VALU_DEP_1) | instskip(SKIP_2) | instid1(VALU_DEP_1)
	v_mul_f64 v[69:70], v[61:62], s[30:31]
	s_mov_b32 s30, 0xfca7ab0c
	s_mov_b32 s31, 0x3e928af3
	v_rndne_f64_e32 v[69:70], v[69:70]
	s_delay_alu instid0(VALU_DEP_1) | instskip(SKIP_2) | instid1(VALU_DEP_2)
	v_fma_f64 v[71:72], v[69:70], s[34:35], v[61:62]
	v_cvt_i32_f64_e32 v75, v[69:70]
	s_mov_b32 s35, 0x3fe62e42
	v_fma_f64 v[71:72], v[69:70], s[36:37], v[71:72]
	s_mov_b32 s37, 0x3c7abc9e
	s_delay_alu instid0(VALU_DEP_1) | instskip(SKIP_4) | instid1(VALU_DEP_1)
	v_fma_f64 v[73:74], v[71:72], s[40:41], s[30:31]
	s_mov_b32 s30, 0x623fde64
	s_mov_b32 s31, 0x3ec71dee
	;; [unrolled: 1-line block ×4, first 2 shown]
	v_fma_f64 v[73:74], v[71:72], v[73:74], s[30:31]
	s_mov_b32 s30, 0x7c89e6b0
	s_mov_b32 s31, 0x3efa0199
	s_delay_alu instid0(VALU_DEP_1) | instid1(SALU_CYCLE_1)
	v_fma_f64 v[73:74], v[71:72], v[73:74], s[30:31]
	s_mov_b32 s30, 0x14761f6e
	s_mov_b32 s31, 0x3f2a01a0
	s_delay_alu instid0(VALU_DEP_1) | instid1(SALU_CYCLE_1)
	;; [unrolled: 4-line block ×7, first 2 shown]
	v_fma_f64 v[73:74], v[71:72], v[73:74], s[30:31]
	v_cmp_nlt_f64_e64 s30, 0x40900000, v[61:62]
	v_cmp_ngt_f64_e64 s31, 0xc090cc00, v[61:62]
	s_delay_alu instid0(VALU_DEP_3) | instskip(NEXT) | instid1(VALU_DEP_1)
	v_fma_f64 v[73:74], v[71:72], v[73:74], 1.0
	v_fma_f64 v[69:70], v[71:72], v[73:74], 1.0
	s_delay_alu instid0(VALU_DEP_1) | instskip(NEXT) | instid1(VALU_DEP_1)
	v_ldexp_f64 v[69:70], v[69:70], v75
	v_cndmask_b32_e64 v70, 0x7ff00000, v70, s30
	s_and_b32 s30, s31, s30
	s_delay_alu instid0(VALU_DEP_2) | instid1(SALU_CYCLE_1)
	v_cndmask_b32_e64 v61, 0, v69, s30
	s_mov_b32 s30, 0x55555555
	s_delay_alu instid0(VALU_DEP_2) | instskip(SKIP_1) | instid1(VALU_DEP_1)
	v_cndmask_b32_e64 v62, 0, v70, s31
	s_mov_b32 s31, 0x3fe55555
	v_add_f64 v[69:70], v[61:62], 1.0
	s_delay_alu instid0(VALU_DEP_1) | instskip(SKIP_2) | instid1(VALU_DEP_3)
	v_frexp_mant_f64_e32 v[71:72], v[69:70]
	v_frexp_exp_i32_f64_e32 v75, v[69:70]
	v_add_f64 v[73:74], v[69:70], -1.0
	v_cmp_gt_f64_e64 s30, s[30:31], v[71:72]
	s_delay_alu instid0(VALU_DEP_2) | instskip(SKIP_1) | instid1(VALU_DEP_3)
	v_add_f64 v[71:72], v[73:74], -v[69:70]
	v_add_f64 v[73:74], v[61:62], -v[73:74]
	v_subrev_co_ci_u32_e64 v110, s30, 0, v75, s30
	s_delay_alu instid0(VALU_DEP_3) | instskip(SKIP_1) | instid1(VALU_DEP_2)
	v_add_f64 v[71:72], v[71:72], 1.0
	s_mov_b32 s30, 0x55555780
	v_sub_nc_u32_e32 v96, 0, v110
	s_delay_alu instid0(VALU_DEP_1) | instskip(NEXT) | instid1(VALU_DEP_3)
	v_ldexp_f64 v[69:70], v[69:70], v96
	v_add_f64 v[71:72], v[73:74], v[71:72]
	s_delay_alu instid0(VALU_DEP_2) | instskip(SKIP_1) | instid1(VALU_DEP_3)
	v_add_f64 v[75:76], v[69:70], 1.0
	v_add_f64 v[100:101], v[69:70], -1.0
	v_ldexp_f64 v[71:72], v[71:72], v96
	s_delay_alu instid0(VALU_DEP_3) | instskip(NEXT) | instid1(VALU_DEP_3)
	v_add_f64 v[73:74], v[75:76], -1.0
	v_add_f64 v[102:103], v[100:101], 1.0
	s_delay_alu instid0(VALU_DEP_2) | instskip(NEXT) | instid1(VALU_DEP_2)
	v_add_f64 v[73:74], v[69:70], -v[73:74]
	v_add_f64 v[69:70], v[69:70], -v[102:103]
	s_delay_alu instid0(VALU_DEP_2) | instskip(NEXT) | instid1(VALU_DEP_2)
	v_add_f64 v[73:74], v[71:72], v[73:74]
	v_add_f64 v[69:70], v[71:72], v[69:70]
	s_delay_alu instid0(VALU_DEP_2) | instskip(NEXT) | instid1(VALU_DEP_2)
	v_add_f64 v[96:97], v[75:76], v[73:74]
	v_add_f64 v[102:103], v[100:101], v[69:70]
	s_delay_alu instid0(VALU_DEP_2) | instskip(SKIP_1) | instid1(VALU_DEP_2)
	v_rcp_f64_e32 v[98:99], v[96:97]
	v_add_f64 v[75:76], v[96:97], -v[75:76]
	v_add_f64 v[100:101], v[102:103], -v[100:101]
	s_delay_alu instid0(VALU_DEP_2) | instskip(SKIP_3) | instid1(VALU_DEP_2)
	v_add_f64 v[73:74], v[73:74], -v[75:76]
	s_waitcnt_depctr 0xfff
	v_fma_f64 v[104:105], -v[96:97], v[98:99], 1.0
	v_add_f64 v[69:70], v[69:70], -v[100:101]
	v_fma_f64 v[98:99], v[104:105], v[98:99], v[98:99]
	s_delay_alu instid0(VALU_DEP_1) | instskip(NEXT) | instid1(VALU_DEP_1)
	v_fma_f64 v[71:72], -v[96:97], v[98:99], 1.0
	v_fma_f64 v[71:72], v[71:72], v[98:99], v[98:99]
	s_delay_alu instid0(VALU_DEP_1) | instskip(NEXT) | instid1(VALU_DEP_1)
	v_mul_f64 v[98:99], v[102:103], v[71:72]
	v_mul_f64 v[104:105], v[96:97], v[98:99]
	s_delay_alu instid0(VALU_DEP_1) | instskip(NEXT) | instid1(VALU_DEP_1)
	v_fma_f64 v[75:76], v[98:99], v[96:97], -v[104:105]
	v_fma_f64 v[75:76], v[98:99], v[73:74], v[75:76]
	s_delay_alu instid0(VALU_DEP_1) | instskip(NEXT) | instid1(VALU_DEP_1)
	v_add_f64 v[106:107], v[104:105], v[75:76]
	v_add_f64 v[108:109], v[102:103], -v[106:107]
	v_add_f64 v[100:101], v[106:107], -v[104:105]
	s_delay_alu instid0(VALU_DEP_2) | instskip(NEXT) | instid1(VALU_DEP_2)
	v_add_f64 v[102:103], v[102:103], -v[108:109]
	v_add_f64 v[75:76], v[100:101], -v[75:76]
	s_delay_alu instid0(VALU_DEP_2) | instskip(NEXT) | instid1(VALU_DEP_1)
	v_add_f64 v[102:103], v[102:103], -v[106:107]
	v_add_f64 v[69:70], v[69:70], v[102:103]
	s_delay_alu instid0(VALU_DEP_1) | instskip(NEXT) | instid1(VALU_DEP_1)
	v_add_f64 v[69:70], v[75:76], v[69:70]
	v_add_f64 v[75:76], v[108:109], v[69:70]
	s_delay_alu instid0(VALU_DEP_1) | instskip(SKIP_1) | instid1(VALU_DEP_2)
	v_mul_f64 v[100:101], v[71:72], v[75:76]
	v_add_f64 v[106:107], v[108:109], -v[75:76]
	v_mul_f64 v[102:103], v[96:97], v[100:101]
	s_delay_alu instid0(VALU_DEP_2) | instskip(NEXT) | instid1(VALU_DEP_2)
	v_add_f64 v[69:70], v[69:70], v[106:107]
	v_fma_f64 v[96:97], v[100:101], v[96:97], -v[102:103]
	s_delay_alu instid0(VALU_DEP_1) | instskip(NEXT) | instid1(VALU_DEP_1)
	v_fma_f64 v[73:74], v[100:101], v[73:74], v[96:97]
	v_add_f64 v[96:97], v[102:103], v[73:74]
	s_delay_alu instid0(VALU_DEP_1) | instskip(SKIP_1) | instid1(VALU_DEP_2)
	v_add_f64 v[104:105], v[75:76], -v[96:97]
	v_add_f64 v[102:103], v[96:97], -v[102:103]
	;; [unrolled: 1-line block ×3, first 2 shown]
	s_delay_alu instid0(VALU_DEP_2) | instskip(NEXT) | instid1(VALU_DEP_2)
	v_add_f64 v[73:74], v[102:103], -v[73:74]
	v_add_f64 v[75:76], v[75:76], -v[96:97]
	s_delay_alu instid0(VALU_DEP_1) | instskip(SKIP_1) | instid1(VALU_DEP_2)
	v_add_f64 v[69:70], v[69:70], v[75:76]
	v_add_f64 v[75:76], v[98:99], v[100:101]
	v_add_f64 v[69:70], v[73:74], v[69:70]
	s_delay_alu instid0(VALU_DEP_2) | instskip(NEXT) | instid1(VALU_DEP_2)
	v_add_f64 v[73:74], v[75:76], -v[98:99]
	v_add_f64 v[69:70], v[104:105], v[69:70]
	s_delay_alu instid0(VALU_DEP_2) | instskip(NEXT) | instid1(VALU_DEP_2)
	v_add_f64 v[73:74], v[100:101], -v[73:74]
	v_mul_f64 v[69:70], v[71:72], v[69:70]
	s_delay_alu instid0(VALU_DEP_1) | instskip(NEXT) | instid1(VALU_DEP_1)
	v_add_f64 v[69:70], v[73:74], v[69:70]
	v_add_f64 v[71:72], v[75:76], v[69:70]
	s_delay_alu instid0(VALU_DEP_1) | instskip(NEXT) | instid1(VALU_DEP_1)
	v_mul_f64 v[73:74], v[71:72], v[71:72]
	v_fma_f64 v[96:97], v[73:74], s[42:43], s[40:41]
	s_mov_b32 s40, 0xd7f4df2e
	s_mov_b32 s41, 0x3fc7474d
	v_mul_f64 v[98:99], v[71:72], v[73:74]
	s_delay_alu instid0(VALU_DEP_2)
	v_fma_f64 v[96:97], v[73:74], v[96:97], s[40:41]
	s_mov_b32 s40, 0x16291751
	s_mov_b32 s41, 0x3fcc71c0
	s_delay_alu instid0(VALU_DEP_1) | instid1(SALU_CYCLE_1)
	v_fma_f64 v[96:97], v[73:74], v[96:97], s[40:41]
	s_mov_b32 s40, 0x9b27acf1
	s_mov_b32 s41, 0x3fd24924
	s_delay_alu instid0(VALU_DEP_1) | instid1(SALU_CYCLE_1)
	;; [unrolled: 4-line block ×3, first 2 shown]
	v_fma_f64 v[96:97], v[73:74], v[96:97], s[40:41]
	s_delay_alu instid0(VALU_DEP_1) | instskip(SKIP_3) | instid1(VALU_DEP_4)
	v_fma_f64 v[73:74], v[73:74], v[96:97], s[30:31]
	v_ldexp_f64 v[96:97], v[71:72], 1
	v_add_f64 v[71:72], v[71:72], -v[75:76]
	v_cmp_eq_f64_e64 s30, 0x7ff00000, v[61:62]
	v_mul_f64 v[73:74], v[98:99], v[73:74]
	v_cvt_f64_i32_e32 v[98:99], v110
	s_delay_alu instid0(VALU_DEP_4) | instskip(NEXT) | instid1(VALU_DEP_3)
	v_add_f64 v[69:70], v[69:70], -v[71:72]
	v_add_f64 v[75:76], v[96:97], v[73:74]
	s_delay_alu instid0(VALU_DEP_3) | instskip(NEXT) | instid1(VALU_DEP_3)
	v_mul_f64 v[100:101], v[98:99], s[34:35]
	v_ldexp_f64 v[69:70], v[69:70], 1
	s_delay_alu instid0(VALU_DEP_3) | instskip(NEXT) | instid1(VALU_DEP_3)
	v_add_f64 v[71:72], v[75:76], -v[96:97]
	v_fma_f64 v[96:97], v[98:99], s[34:35], -v[100:101]
	s_delay_alu instid0(VALU_DEP_2) | instskip(NEXT) | instid1(VALU_DEP_2)
	v_add_f64 v[71:72], v[73:74], -v[71:72]
	v_fma_f64 v[73:74], v[98:99], s[36:37], v[96:97]
	s_delay_alu instid0(VALU_DEP_2) | instskip(NEXT) | instid1(VALU_DEP_2)
	v_add_f64 v[69:70], v[69:70], v[71:72]
	v_add_f64 v[71:72], v[100:101], v[73:74]
	s_delay_alu instid0(VALU_DEP_2) | instskip(NEXT) | instid1(VALU_DEP_2)
	v_add_f64 v[96:97], v[75:76], v[69:70]
	v_add_f64 v[100:101], v[71:72], -v[100:101]
	s_delay_alu instid0(VALU_DEP_2) | instskip(SKIP_1) | instid1(VALU_DEP_3)
	v_add_f64 v[98:99], v[71:72], v[96:97]
	v_add_f64 v[75:76], v[96:97], -v[75:76]
	v_add_f64 v[73:74], v[73:74], -v[100:101]
	s_delay_alu instid0(VALU_DEP_3) | instskip(NEXT) | instid1(VALU_DEP_3)
	v_add_f64 v[102:103], v[98:99], -v[71:72]
	v_add_f64 v[69:70], v[69:70], -v[75:76]
	s_delay_alu instid0(VALU_DEP_2) | instskip(SKIP_1) | instid1(VALU_DEP_3)
	v_add_f64 v[104:105], v[98:99], -v[102:103]
	v_add_f64 v[75:76], v[96:97], -v[102:103]
	v_add_f64 v[96:97], v[73:74], v[69:70]
	s_delay_alu instid0(VALU_DEP_3) | instskip(NEXT) | instid1(VALU_DEP_1)
	v_add_f64 v[71:72], v[71:72], -v[104:105]
	v_add_f64 v[71:72], v[75:76], v[71:72]
	s_delay_alu instid0(VALU_DEP_3) | instskip(NEXT) | instid1(VALU_DEP_2)
	v_add_f64 v[75:76], v[96:97], -v[73:74]
	v_add_f64 v[71:72], v[96:97], v[71:72]
	s_delay_alu instid0(VALU_DEP_2) | instskip(SKIP_1) | instid1(VALU_DEP_3)
	v_add_f64 v[96:97], v[96:97], -v[75:76]
	v_add_f64 v[69:70], v[69:70], -v[75:76]
	v_add_f64 v[100:101], v[98:99], v[71:72]
	s_delay_alu instid0(VALU_DEP_3) | instskip(NEXT) | instid1(VALU_DEP_2)
	v_add_f64 v[73:74], v[73:74], -v[96:97]
	v_add_f64 v[75:76], v[100:101], -v[98:99]
	s_delay_alu instid0(VALU_DEP_2) | instskip(NEXT) | instid1(VALU_DEP_2)
	v_add_f64 v[69:70], v[69:70], v[73:74]
	v_add_f64 v[71:72], v[71:72], -v[75:76]
	s_delay_alu instid0(VALU_DEP_1) | instskip(NEXT) | instid1(VALU_DEP_1)
	v_add_f64 v[69:70], v[69:70], v[71:72]
	v_add_f64 v[69:70], v[100:101], v[69:70]
	s_delay_alu instid0(VALU_DEP_1) | instskip(NEXT) | instid1(VALU_DEP_2)
	v_cndmask_b32_e64 v69, v69, v61, s30
	v_cndmask_b32_e64 v70, v70, v62, s30
	v_cmp_ngt_f64_e64 s30, -1.0, v[61:62]
	s_delay_alu instid0(VALU_DEP_1) | instskip(SKIP_1) | instid1(VALU_DEP_1)
	v_cndmask_b32_e64 v70, 0x7ff80000, v70, s30
	v_cmp_nge_f64_e64 s30, -1.0, v[61:62]
	v_cndmask_b32_e64 v69, 0, v69, s30
	v_cmp_neq_f64_e64 s30, -1.0, v[61:62]
	s_delay_alu instid0(VALU_DEP_1) | instskip(NEXT) | instid1(VALU_DEP_1)
	v_cndmask_b32_e64 v70, 0xfff00000, v70, s30
	v_add_f64 v[69:70], v[59:60], v[69:70]
.LBB26_58:
	s_or_b32 exec_lo, exec_lo, s38
	v_max_f64 v[59:60], v[5:6], v[5:6]
	s_delay_alu instid0(VALU_DEP_2) | instskip(SKIP_2) | instid1(VALU_DEP_3)
	v_max_f64 v[61:62], v[69:70], v[69:70]
	v_cmp_u_f64_e64 s31, v[69:70], v[69:70]
	v_cmp_u_f64_e64 s30, v[5:6], v[5:6]
	v_min_f64 v[71:72], v[61:62], v[59:60]
	v_max_f64 v[61:62], v[61:62], v[59:60]
	s_delay_alu instid0(VALU_DEP_2) | instskip(NEXT) | instid1(VALU_DEP_3)
	v_cndmask_b32_e64 v71, v71, v69, s31
	v_cndmask_b32_e64 v72, v72, v70, s31
	s_delay_alu instid0(VALU_DEP_3) | instskip(NEXT) | instid1(VALU_DEP_4)
	v_cndmask_b32_e64 v62, v62, v70, s31
	v_cndmask_b32_e64 v61, v61, v69, s31
	s_delay_alu instid0(VALU_DEP_4) | instskip(NEXT) | instid1(VALU_DEP_4)
	v_cndmask_b32_e64 v71, v71, v5, s30
	v_cndmask_b32_e64 v72, v72, v6, s30
	s_delay_alu instid0(VALU_DEP_4) | instskip(NEXT) | instid1(VALU_DEP_4)
	v_cndmask_b32_e64 v62, v62, v6, s30
	v_cndmask_b32_e64 v61, v61, v5, s30
	s_delay_alu instid0(VALU_DEP_3) | instskip(NEXT) | instid1(VALU_DEP_2)
	v_cmp_class_f64_e64 s34, v[71:72], 0x1f8
	v_cmp_neq_f64_e64 s31, v[71:72], v[61:62]
	s_delay_alu instid0(VALU_DEP_1) | instskip(NEXT) | instid1(SALU_CYCLE_1)
	s_or_b32 s31, s31, s34
	s_and_saveexec_b32 s40, s31
	s_cbranch_execz .LBB26_60
; %bb.59:
	v_add_f64 v[69:70], v[71:72], -v[61:62]
	s_mov_b32 s34, 0x652b82fe
	s_mov_b32 s35, 0x3ff71547
	;; [unrolled: 1-line block ×10, first 2 shown]
	s_delay_alu instid0(VALU_DEP_1) | instskip(SKIP_3) | instid1(VALU_DEP_2)
	v_mul_f64 v[71:72], v[69:70], s[34:35]
	s_mov_b32 s34, 0xfca7ab0c
	s_mov_b32 s35, 0x3e928af3
	v_cmp_nlt_f64_e64 s31, 0x40900000, v[69:70]
	v_rndne_f64_e32 v[71:72], v[71:72]
	s_delay_alu instid0(VALU_DEP_1) | instskip(SKIP_2) | instid1(VALU_DEP_2)
	v_fma_f64 v[73:74], v[71:72], s[36:37], v[69:70]
	v_cvt_i32_f64_e32 v96, v[71:72]
	s_mov_b32 s37, 0x3fe62e42
	v_fma_f64 v[73:74], v[71:72], s[38:39], v[73:74]
	s_mov_b32 s39, 0x3c7abc9e
	s_delay_alu instid0(VALU_DEP_1) | instskip(SKIP_4) | instid1(VALU_DEP_1)
	v_fma_f64 v[75:76], v[73:74], s[42:43], s[34:35]
	s_mov_b32 s34, 0x623fde64
	s_mov_b32 s35, 0x3ec71dee
	;; [unrolled: 1-line block ×4, first 2 shown]
	v_fma_f64 v[75:76], v[73:74], v[75:76], s[34:35]
	s_mov_b32 s34, 0x7c89e6b0
	s_mov_b32 s35, 0x3efa0199
	s_delay_alu instid0(VALU_DEP_1) | instid1(SALU_CYCLE_1)
	v_fma_f64 v[75:76], v[73:74], v[75:76], s[34:35]
	s_mov_b32 s34, 0x14761f6e
	s_mov_b32 s35, 0x3f2a01a0
	s_delay_alu instid0(VALU_DEP_1) | instid1(SALU_CYCLE_1)
	v_fma_f64 v[75:76], v[73:74], v[75:76], s[34:35]
	s_mov_b32 s34, 0x1852b7b0
	s_mov_b32 s35, 0x3f56c16c
	s_delay_alu instid0(VALU_DEP_1) | instid1(SALU_CYCLE_1)
	v_fma_f64 v[75:76], v[73:74], v[75:76], s[34:35]
	s_mov_b32 s34, 0x11122322
	s_mov_b32 s35, 0x3f811111
	s_delay_alu instid0(VALU_DEP_1) | instid1(SALU_CYCLE_1)
	v_fma_f64 v[75:76], v[73:74], v[75:76], s[34:35]
	s_mov_b32 s34, 0x555502a1
	s_mov_b32 s35, 0x3fa55555
	s_delay_alu instid0(VALU_DEP_1) | instid1(SALU_CYCLE_1)
	v_fma_f64 v[75:76], v[73:74], v[75:76], s[34:35]
	s_mov_b32 s34, 0x55555511
	s_mov_b32 s35, 0x3fc55555
	s_delay_alu instid0(VALU_DEP_1) | instid1(SALU_CYCLE_1)
	v_fma_f64 v[75:76], v[73:74], v[75:76], s[34:35]
	s_mov_b32 s34, 11
	s_mov_b32 s35, 0x3fe00000
	s_delay_alu instid0(VALU_DEP_1) | instid1(SALU_CYCLE_1)
	v_fma_f64 v[75:76], v[73:74], v[75:76], s[34:35]
	v_cmp_ngt_f64_e64 s34, 0xc090cc00, v[69:70]
	s_mov_b32 s35, 0x3fe55555
	s_delay_alu instid0(VALU_DEP_2) | instskip(NEXT) | instid1(VALU_DEP_1)
	v_fma_f64 v[75:76], v[73:74], v[75:76], 1.0
	v_fma_f64 v[71:72], v[73:74], v[75:76], 1.0
	s_delay_alu instid0(VALU_DEP_1) | instskip(NEXT) | instid1(VALU_DEP_1)
	v_ldexp_f64 v[71:72], v[71:72], v96
	v_cndmask_b32_e64 v72, 0x7ff00000, v72, s31
	s_and_b32 s31, s34, s31
	s_delay_alu instid0(VALU_DEP_2) | instid1(SALU_CYCLE_1)
	v_cndmask_b32_e64 v69, 0, v71, s31
	s_delay_alu instid0(VALU_DEP_2) | instskip(SKIP_1) | instid1(VALU_DEP_1)
	v_cndmask_b32_e64 v70, 0, v72, s34
	s_mov_b32 s34, 0x55555555
	v_add_f64 v[71:72], v[69:70], 1.0
	s_delay_alu instid0(VALU_DEP_1) | instskip(SKIP_2) | instid1(VALU_DEP_3)
	v_frexp_mant_f64_e32 v[73:74], v[71:72]
	v_frexp_exp_i32_f64_e32 v96, v[71:72]
	v_add_f64 v[75:76], v[71:72], -1.0
	v_cmp_gt_f64_e64 s31, s[34:35], v[73:74]
	s_mov_b32 s34, 0x55555780
	s_delay_alu instid0(VALU_DEP_2) | instskip(SKIP_1) | instid1(VALU_DEP_3)
	v_add_f64 v[73:74], v[75:76], -v[71:72]
	v_add_f64 v[75:76], v[69:70], -v[75:76]
	v_subrev_co_ci_u32_e64 v112, s31, 0, v96, s31
	s_delay_alu instid0(VALU_DEP_3) | instskip(SKIP_1) | instid1(VALU_DEP_3)
	v_add_f64 v[73:74], v[73:74], 1.0
	v_cmp_eq_f64_e64 s31, 0x7ff00000, v[69:70]
	v_sub_nc_u32_e32 v98, 0, v112
	s_delay_alu instid0(VALU_DEP_1) | instskip(NEXT) | instid1(VALU_DEP_4)
	v_ldexp_f64 v[71:72], v[71:72], v98
	v_add_f64 v[73:74], v[75:76], v[73:74]
	s_delay_alu instid0(VALU_DEP_2) | instskip(SKIP_1) | instid1(VALU_DEP_3)
	v_add_f64 v[96:97], v[71:72], 1.0
	v_add_f64 v[102:103], v[71:72], -1.0
	v_ldexp_f64 v[73:74], v[73:74], v98
	s_delay_alu instid0(VALU_DEP_3) | instskip(NEXT) | instid1(VALU_DEP_3)
	v_add_f64 v[75:76], v[96:97], -1.0
	v_add_f64 v[104:105], v[102:103], 1.0
	s_delay_alu instid0(VALU_DEP_2) | instskip(NEXT) | instid1(VALU_DEP_2)
	v_add_f64 v[75:76], v[71:72], -v[75:76]
	v_add_f64 v[71:72], v[71:72], -v[104:105]
	s_delay_alu instid0(VALU_DEP_2) | instskip(NEXT) | instid1(VALU_DEP_2)
	v_add_f64 v[75:76], v[73:74], v[75:76]
	v_add_f64 v[71:72], v[73:74], v[71:72]
	s_delay_alu instid0(VALU_DEP_2) | instskip(NEXT) | instid1(VALU_DEP_2)
	v_add_f64 v[98:99], v[96:97], v[75:76]
	v_add_f64 v[104:105], v[102:103], v[71:72]
	s_delay_alu instid0(VALU_DEP_2) | instskip(SKIP_1) | instid1(VALU_DEP_2)
	v_rcp_f64_e32 v[100:101], v[98:99]
	v_add_f64 v[96:97], v[98:99], -v[96:97]
	v_add_f64 v[102:103], v[104:105], -v[102:103]
	s_delay_alu instid0(VALU_DEP_2) | instskip(SKIP_3) | instid1(VALU_DEP_2)
	v_add_f64 v[75:76], v[75:76], -v[96:97]
	s_waitcnt_depctr 0xfff
	v_fma_f64 v[106:107], -v[98:99], v[100:101], 1.0
	v_add_f64 v[71:72], v[71:72], -v[102:103]
	v_fma_f64 v[100:101], v[106:107], v[100:101], v[100:101]
	s_delay_alu instid0(VALU_DEP_1) | instskip(NEXT) | instid1(VALU_DEP_1)
	v_fma_f64 v[73:74], -v[98:99], v[100:101], 1.0
	v_fma_f64 v[73:74], v[73:74], v[100:101], v[100:101]
	s_delay_alu instid0(VALU_DEP_1) | instskip(NEXT) | instid1(VALU_DEP_1)
	v_mul_f64 v[100:101], v[104:105], v[73:74]
	v_mul_f64 v[106:107], v[98:99], v[100:101]
	s_delay_alu instid0(VALU_DEP_1) | instskip(NEXT) | instid1(VALU_DEP_1)
	v_fma_f64 v[96:97], v[100:101], v[98:99], -v[106:107]
	v_fma_f64 v[96:97], v[100:101], v[75:76], v[96:97]
	s_delay_alu instid0(VALU_DEP_1) | instskip(NEXT) | instid1(VALU_DEP_1)
	v_add_f64 v[108:109], v[106:107], v[96:97]
	v_add_f64 v[110:111], v[104:105], -v[108:109]
	v_add_f64 v[102:103], v[108:109], -v[106:107]
	s_delay_alu instid0(VALU_DEP_2) | instskip(NEXT) | instid1(VALU_DEP_2)
	v_add_f64 v[104:105], v[104:105], -v[110:111]
	v_add_f64 v[96:97], v[102:103], -v[96:97]
	s_delay_alu instid0(VALU_DEP_2) | instskip(NEXT) | instid1(VALU_DEP_1)
	v_add_f64 v[104:105], v[104:105], -v[108:109]
	v_add_f64 v[71:72], v[71:72], v[104:105]
	s_delay_alu instid0(VALU_DEP_1) | instskip(NEXT) | instid1(VALU_DEP_1)
	v_add_f64 v[71:72], v[96:97], v[71:72]
	v_add_f64 v[96:97], v[110:111], v[71:72]
	s_delay_alu instid0(VALU_DEP_1) | instskip(SKIP_1) | instid1(VALU_DEP_2)
	v_mul_f64 v[102:103], v[73:74], v[96:97]
	v_add_f64 v[108:109], v[110:111], -v[96:97]
	v_mul_f64 v[104:105], v[98:99], v[102:103]
	s_delay_alu instid0(VALU_DEP_2) | instskip(NEXT) | instid1(VALU_DEP_2)
	v_add_f64 v[71:72], v[71:72], v[108:109]
	v_fma_f64 v[98:99], v[102:103], v[98:99], -v[104:105]
	s_delay_alu instid0(VALU_DEP_1) | instskip(NEXT) | instid1(VALU_DEP_1)
	v_fma_f64 v[75:76], v[102:103], v[75:76], v[98:99]
	v_add_f64 v[98:99], v[104:105], v[75:76]
	s_delay_alu instid0(VALU_DEP_1) | instskip(SKIP_1) | instid1(VALU_DEP_2)
	v_add_f64 v[106:107], v[96:97], -v[98:99]
	v_add_f64 v[104:105], v[98:99], -v[104:105]
	;; [unrolled: 1-line block ×3, first 2 shown]
	s_delay_alu instid0(VALU_DEP_2) | instskip(NEXT) | instid1(VALU_DEP_2)
	v_add_f64 v[75:76], v[104:105], -v[75:76]
	v_add_f64 v[96:97], v[96:97], -v[98:99]
	s_delay_alu instid0(VALU_DEP_1) | instskip(SKIP_1) | instid1(VALU_DEP_2)
	v_add_f64 v[71:72], v[71:72], v[96:97]
	v_add_f64 v[96:97], v[100:101], v[102:103]
	;; [unrolled: 1-line block ×3, first 2 shown]
	s_delay_alu instid0(VALU_DEP_2) | instskip(NEXT) | instid1(VALU_DEP_2)
	v_add_f64 v[75:76], v[96:97], -v[100:101]
	v_add_f64 v[71:72], v[106:107], v[71:72]
	s_delay_alu instid0(VALU_DEP_2) | instskip(NEXT) | instid1(VALU_DEP_2)
	v_add_f64 v[75:76], v[102:103], -v[75:76]
	v_mul_f64 v[71:72], v[73:74], v[71:72]
	s_delay_alu instid0(VALU_DEP_1) | instskip(NEXT) | instid1(VALU_DEP_1)
	v_add_f64 v[71:72], v[75:76], v[71:72]
	v_add_f64 v[73:74], v[96:97], v[71:72]
	s_delay_alu instid0(VALU_DEP_1) | instskip(NEXT) | instid1(VALU_DEP_1)
	v_mul_f64 v[75:76], v[73:74], v[73:74]
	v_fma_f64 v[98:99], v[75:76], s[44:45], s[42:43]
	s_mov_b32 s42, 0xd7f4df2e
	s_mov_b32 s43, 0x3fc7474d
	v_mul_f64 v[100:101], v[73:74], v[75:76]
	s_delay_alu instid0(VALU_DEP_2)
	v_fma_f64 v[98:99], v[75:76], v[98:99], s[42:43]
	s_mov_b32 s42, 0x16291751
	s_mov_b32 s43, 0x3fcc71c0
	s_delay_alu instid0(VALU_DEP_1) | instid1(SALU_CYCLE_1)
	v_fma_f64 v[98:99], v[75:76], v[98:99], s[42:43]
	s_mov_b32 s42, 0x9b27acf1
	s_mov_b32 s43, 0x3fd24924
	s_delay_alu instid0(VALU_DEP_1) | instid1(SALU_CYCLE_1)
	;; [unrolled: 4-line block ×3, first 2 shown]
	v_fma_f64 v[98:99], v[75:76], v[98:99], s[42:43]
	s_delay_alu instid0(VALU_DEP_1) | instskip(SKIP_2) | instid1(VALU_DEP_3)
	v_fma_f64 v[75:76], v[75:76], v[98:99], s[34:35]
	v_ldexp_f64 v[98:99], v[73:74], 1
	v_add_f64 v[73:74], v[73:74], -v[96:97]
	v_mul_f64 v[75:76], v[100:101], v[75:76]
	v_cvt_f64_i32_e32 v[100:101], v112
	s_delay_alu instid0(VALU_DEP_3) | instskip(NEXT) | instid1(VALU_DEP_3)
	v_add_f64 v[71:72], v[71:72], -v[73:74]
	v_add_f64 v[96:97], v[98:99], v[75:76]
	s_delay_alu instid0(VALU_DEP_3) | instskip(NEXT) | instid1(VALU_DEP_3)
	v_mul_f64 v[102:103], v[100:101], s[36:37]
	v_ldexp_f64 v[71:72], v[71:72], 1
	s_delay_alu instid0(VALU_DEP_3) | instskip(NEXT) | instid1(VALU_DEP_3)
	v_add_f64 v[73:74], v[96:97], -v[98:99]
	v_fma_f64 v[98:99], v[100:101], s[36:37], -v[102:103]
	s_delay_alu instid0(VALU_DEP_2) | instskip(NEXT) | instid1(VALU_DEP_2)
	v_add_f64 v[73:74], v[75:76], -v[73:74]
	v_fma_f64 v[75:76], v[100:101], s[38:39], v[98:99]
	s_delay_alu instid0(VALU_DEP_2) | instskip(NEXT) | instid1(VALU_DEP_2)
	v_add_f64 v[71:72], v[71:72], v[73:74]
	v_add_f64 v[73:74], v[102:103], v[75:76]
	s_delay_alu instid0(VALU_DEP_2) | instskip(NEXT) | instid1(VALU_DEP_2)
	v_add_f64 v[98:99], v[96:97], v[71:72]
	v_add_f64 v[102:103], v[73:74], -v[102:103]
	s_delay_alu instid0(VALU_DEP_2) | instskip(SKIP_1) | instid1(VALU_DEP_3)
	v_add_f64 v[100:101], v[73:74], v[98:99]
	v_add_f64 v[96:97], v[98:99], -v[96:97]
	v_add_f64 v[75:76], v[75:76], -v[102:103]
	s_delay_alu instid0(VALU_DEP_3) | instskip(NEXT) | instid1(VALU_DEP_3)
	v_add_f64 v[104:105], v[100:101], -v[73:74]
	v_add_f64 v[71:72], v[71:72], -v[96:97]
	s_delay_alu instid0(VALU_DEP_2) | instskip(SKIP_1) | instid1(VALU_DEP_3)
	v_add_f64 v[106:107], v[100:101], -v[104:105]
	v_add_f64 v[96:97], v[98:99], -v[104:105]
	v_add_f64 v[98:99], v[75:76], v[71:72]
	s_delay_alu instid0(VALU_DEP_3) | instskip(NEXT) | instid1(VALU_DEP_1)
	v_add_f64 v[73:74], v[73:74], -v[106:107]
	v_add_f64 v[73:74], v[96:97], v[73:74]
	s_delay_alu instid0(VALU_DEP_3) | instskip(NEXT) | instid1(VALU_DEP_2)
	v_add_f64 v[96:97], v[98:99], -v[75:76]
	v_add_f64 v[73:74], v[98:99], v[73:74]
	s_delay_alu instid0(VALU_DEP_2) | instskip(SKIP_1) | instid1(VALU_DEP_3)
	v_add_f64 v[98:99], v[98:99], -v[96:97]
	v_add_f64 v[71:72], v[71:72], -v[96:97]
	v_add_f64 v[102:103], v[100:101], v[73:74]
	s_delay_alu instid0(VALU_DEP_3) | instskip(NEXT) | instid1(VALU_DEP_2)
	v_add_f64 v[75:76], v[75:76], -v[98:99]
	v_add_f64 v[96:97], v[102:103], -v[100:101]
	s_delay_alu instid0(VALU_DEP_2) | instskip(NEXT) | instid1(VALU_DEP_2)
	v_add_f64 v[71:72], v[71:72], v[75:76]
	v_add_f64 v[73:74], v[73:74], -v[96:97]
	s_delay_alu instid0(VALU_DEP_1) | instskip(NEXT) | instid1(VALU_DEP_1)
	v_add_f64 v[71:72], v[71:72], v[73:74]
	v_add_f64 v[71:72], v[102:103], v[71:72]
	s_delay_alu instid0(VALU_DEP_1) | instskip(NEXT) | instid1(VALU_DEP_2)
	v_cndmask_b32_e64 v71, v71, v69, s31
	v_cndmask_b32_e64 v72, v72, v70, s31
	v_cmp_ngt_f64_e64 s31, -1.0, v[69:70]
	s_delay_alu instid0(VALU_DEP_1) | instskip(SKIP_1) | instid1(VALU_DEP_1)
	v_cndmask_b32_e64 v72, 0x7ff80000, v72, s31
	v_cmp_nge_f64_e64 s31, -1.0, v[69:70]
	v_cndmask_b32_e64 v71, 0, v71, s31
	v_cmp_neq_f64_e64 s31, -1.0, v[69:70]
	s_delay_alu instid0(VALU_DEP_1) | instskip(NEXT) | instid1(VALU_DEP_1)
	v_cndmask_b32_e64 v72, 0xfff00000, v72, s31
	v_add_f64 v[69:70], v[61:62], v[71:72]
.LBB26_60:
	s_or_b32 exec_lo, exec_lo, s40
	v_max_f64 v[61:62], v[7:8], v[7:8]
	s_delay_alu instid0(VALU_DEP_2) | instskip(SKIP_2) | instid1(VALU_DEP_3)
	v_max_f64 v[71:72], v[69:70], v[69:70]
	v_cmp_u_f64_e64 s34, v[69:70], v[69:70]
	v_cmp_u_f64_e64 s31, v[7:8], v[7:8]
	v_min_f64 v[73:74], v[71:72], v[61:62]
	v_max_f64 v[71:72], v[71:72], v[61:62]
	s_delay_alu instid0(VALU_DEP_2) | instskip(NEXT) | instid1(VALU_DEP_3)
	v_cndmask_b32_e64 v73, v73, v69, s34
	v_cndmask_b32_e64 v74, v74, v70, s34
	s_delay_alu instid0(VALU_DEP_3) | instskip(NEXT) | instid1(VALU_DEP_4)
	v_cndmask_b32_e64 v72, v72, v70, s34
	v_cndmask_b32_e64 v71, v71, v69, s34
	s_delay_alu instid0(VALU_DEP_4) | instskip(NEXT) | instid1(VALU_DEP_4)
	v_cndmask_b32_e64 v73, v73, v7, s31
	v_cndmask_b32_e64 v74, v74, v8, s31
	s_delay_alu instid0(VALU_DEP_4) | instskip(NEXT) | instid1(VALU_DEP_4)
	v_cndmask_b32_e64 v72, v72, v8, s31
	v_cndmask_b32_e64 v71, v71, v7, s31
	s_delay_alu instid0(VALU_DEP_3) | instskip(NEXT) | instid1(VALU_DEP_2)
	v_cmp_class_f64_e64 s35, v[73:74], 0x1f8
	v_cmp_neq_f64_e64 s34, v[73:74], v[71:72]
	s_delay_alu instid0(VALU_DEP_1) | instskip(NEXT) | instid1(SALU_CYCLE_1)
	s_or_b32 s34, s34, s35
	s_and_saveexec_b32 s40, s34
	s_cbranch_execz .LBB26_62
; %bb.61:
	v_add_f64 v[69:70], v[73:74], -v[71:72]
	s_mov_b32 s34, 0x652b82fe
	s_mov_b32 s35, 0x3ff71547
	;; [unrolled: 1-line block ×10, first 2 shown]
	s_delay_alu instid0(VALU_DEP_1) | instskip(SKIP_2) | instid1(VALU_DEP_1)
	v_mul_f64 v[73:74], v[69:70], s[34:35]
	s_mov_b32 s34, 0xfca7ab0c
	s_mov_b32 s35, 0x3e928af3
	v_rndne_f64_e32 v[73:74], v[73:74]
	s_delay_alu instid0(VALU_DEP_1) | instskip(SKIP_2) | instid1(VALU_DEP_2)
	v_fma_f64 v[75:76], v[73:74], s[36:37], v[69:70]
	v_cvt_i32_f64_e32 v98, v[73:74]
	s_mov_b32 s37, 0x3fe62e42
	v_fma_f64 v[75:76], v[73:74], s[38:39], v[75:76]
	s_mov_b32 s39, 0x3c7abc9e
	s_delay_alu instid0(VALU_DEP_1) | instskip(SKIP_4) | instid1(VALU_DEP_1)
	v_fma_f64 v[96:97], v[75:76], s[42:43], s[34:35]
	s_mov_b32 s34, 0x623fde64
	s_mov_b32 s35, 0x3ec71dee
	;; [unrolled: 1-line block ×4, first 2 shown]
	v_fma_f64 v[96:97], v[75:76], v[96:97], s[34:35]
	s_mov_b32 s34, 0x7c89e6b0
	s_mov_b32 s35, 0x3efa0199
	s_delay_alu instid0(VALU_DEP_1) | instid1(SALU_CYCLE_1)
	v_fma_f64 v[96:97], v[75:76], v[96:97], s[34:35]
	s_mov_b32 s34, 0x14761f6e
	s_mov_b32 s35, 0x3f2a01a0
	s_delay_alu instid0(VALU_DEP_1) | instid1(SALU_CYCLE_1)
	;; [unrolled: 4-line block ×7, first 2 shown]
	v_fma_f64 v[96:97], v[75:76], v[96:97], s[34:35]
	v_cmp_nlt_f64_e64 s34, 0x40900000, v[69:70]
	v_cmp_ngt_f64_e64 s35, 0xc090cc00, v[69:70]
	s_delay_alu instid0(VALU_DEP_3) | instskip(NEXT) | instid1(VALU_DEP_1)
	v_fma_f64 v[96:97], v[75:76], v[96:97], 1.0
	v_fma_f64 v[73:74], v[75:76], v[96:97], 1.0
	s_delay_alu instid0(VALU_DEP_1) | instskip(NEXT) | instid1(VALU_DEP_1)
	v_ldexp_f64 v[73:74], v[73:74], v98
	v_cndmask_b32_e64 v74, 0x7ff00000, v74, s34
	s_and_b32 s34, s35, s34
	s_delay_alu instid0(VALU_DEP_2) | instid1(SALU_CYCLE_1)
	v_cndmask_b32_e64 v69, 0, v73, s34
	s_mov_b32 s34, 0x55555555
	s_delay_alu instid0(VALU_DEP_2) | instskip(SKIP_1) | instid1(VALU_DEP_1)
	v_cndmask_b32_e64 v70, 0, v74, s35
	s_mov_b32 s35, 0x3fe55555
	v_add_f64 v[73:74], v[69:70], 1.0
	s_delay_alu instid0(VALU_DEP_1) | instskip(SKIP_2) | instid1(VALU_DEP_3)
	v_frexp_mant_f64_e32 v[75:76], v[73:74]
	v_frexp_exp_i32_f64_e32 v98, v[73:74]
	v_add_f64 v[96:97], v[73:74], -1.0
	v_cmp_gt_f64_e64 s34, s[34:35], v[75:76]
	s_delay_alu instid0(VALU_DEP_2) | instskip(SKIP_1) | instid1(VALU_DEP_3)
	v_add_f64 v[75:76], v[96:97], -v[73:74]
	v_add_f64 v[96:97], v[69:70], -v[96:97]
	v_subrev_co_ci_u32_e64 v114, s34, 0, v98, s34
	s_delay_alu instid0(VALU_DEP_3) | instskip(SKIP_1) | instid1(VALU_DEP_2)
	v_add_f64 v[75:76], v[75:76], 1.0
	s_mov_b32 s34, 0x55555780
	v_sub_nc_u32_e32 v100, 0, v114
	s_delay_alu instid0(VALU_DEP_1) | instskip(NEXT) | instid1(VALU_DEP_3)
	v_ldexp_f64 v[73:74], v[73:74], v100
	v_add_f64 v[75:76], v[96:97], v[75:76]
	s_delay_alu instid0(VALU_DEP_2) | instskip(SKIP_1) | instid1(VALU_DEP_3)
	v_add_f64 v[98:99], v[73:74], 1.0
	v_add_f64 v[104:105], v[73:74], -1.0
	v_ldexp_f64 v[75:76], v[75:76], v100
	s_delay_alu instid0(VALU_DEP_3) | instskip(NEXT) | instid1(VALU_DEP_3)
	v_add_f64 v[96:97], v[98:99], -1.0
	v_add_f64 v[106:107], v[104:105], 1.0
	s_delay_alu instid0(VALU_DEP_2) | instskip(NEXT) | instid1(VALU_DEP_2)
	v_add_f64 v[96:97], v[73:74], -v[96:97]
	v_add_f64 v[73:74], v[73:74], -v[106:107]
	s_delay_alu instid0(VALU_DEP_2) | instskip(NEXT) | instid1(VALU_DEP_2)
	v_add_f64 v[96:97], v[75:76], v[96:97]
	v_add_f64 v[73:74], v[75:76], v[73:74]
	s_delay_alu instid0(VALU_DEP_2) | instskip(NEXT) | instid1(VALU_DEP_2)
	v_add_f64 v[100:101], v[98:99], v[96:97]
	v_add_f64 v[106:107], v[104:105], v[73:74]
	s_delay_alu instid0(VALU_DEP_2) | instskip(SKIP_1) | instid1(VALU_DEP_2)
	v_rcp_f64_e32 v[102:103], v[100:101]
	v_add_f64 v[98:99], v[100:101], -v[98:99]
	v_add_f64 v[104:105], v[106:107], -v[104:105]
	s_delay_alu instid0(VALU_DEP_2) | instskip(SKIP_3) | instid1(VALU_DEP_2)
	v_add_f64 v[96:97], v[96:97], -v[98:99]
	s_waitcnt_depctr 0xfff
	v_fma_f64 v[108:109], -v[100:101], v[102:103], 1.0
	v_add_f64 v[73:74], v[73:74], -v[104:105]
	v_fma_f64 v[102:103], v[108:109], v[102:103], v[102:103]
	s_delay_alu instid0(VALU_DEP_1) | instskip(NEXT) | instid1(VALU_DEP_1)
	v_fma_f64 v[75:76], -v[100:101], v[102:103], 1.0
	v_fma_f64 v[75:76], v[75:76], v[102:103], v[102:103]
	s_delay_alu instid0(VALU_DEP_1) | instskip(NEXT) | instid1(VALU_DEP_1)
	v_mul_f64 v[102:103], v[106:107], v[75:76]
	v_mul_f64 v[108:109], v[100:101], v[102:103]
	s_delay_alu instid0(VALU_DEP_1) | instskip(NEXT) | instid1(VALU_DEP_1)
	v_fma_f64 v[98:99], v[102:103], v[100:101], -v[108:109]
	v_fma_f64 v[98:99], v[102:103], v[96:97], v[98:99]
	s_delay_alu instid0(VALU_DEP_1) | instskip(NEXT) | instid1(VALU_DEP_1)
	v_add_f64 v[110:111], v[108:109], v[98:99]
	v_add_f64 v[112:113], v[106:107], -v[110:111]
	v_add_f64 v[104:105], v[110:111], -v[108:109]
	s_delay_alu instid0(VALU_DEP_2) | instskip(NEXT) | instid1(VALU_DEP_2)
	v_add_f64 v[106:107], v[106:107], -v[112:113]
	v_add_f64 v[98:99], v[104:105], -v[98:99]
	s_delay_alu instid0(VALU_DEP_2) | instskip(NEXT) | instid1(VALU_DEP_1)
	v_add_f64 v[106:107], v[106:107], -v[110:111]
	v_add_f64 v[73:74], v[73:74], v[106:107]
	s_delay_alu instid0(VALU_DEP_1) | instskip(NEXT) | instid1(VALU_DEP_1)
	v_add_f64 v[73:74], v[98:99], v[73:74]
	v_add_f64 v[98:99], v[112:113], v[73:74]
	s_delay_alu instid0(VALU_DEP_1) | instskip(SKIP_1) | instid1(VALU_DEP_2)
	v_mul_f64 v[104:105], v[75:76], v[98:99]
	v_add_f64 v[110:111], v[112:113], -v[98:99]
	v_mul_f64 v[106:107], v[100:101], v[104:105]
	s_delay_alu instid0(VALU_DEP_2) | instskip(NEXT) | instid1(VALU_DEP_2)
	v_add_f64 v[73:74], v[73:74], v[110:111]
	v_fma_f64 v[100:101], v[104:105], v[100:101], -v[106:107]
	s_delay_alu instid0(VALU_DEP_1) | instskip(NEXT) | instid1(VALU_DEP_1)
	v_fma_f64 v[96:97], v[104:105], v[96:97], v[100:101]
	v_add_f64 v[100:101], v[106:107], v[96:97]
	s_delay_alu instid0(VALU_DEP_1) | instskip(SKIP_1) | instid1(VALU_DEP_2)
	v_add_f64 v[108:109], v[98:99], -v[100:101]
	v_add_f64 v[106:107], v[100:101], -v[106:107]
	;; [unrolled: 1-line block ×3, first 2 shown]
	s_delay_alu instid0(VALU_DEP_2) | instskip(NEXT) | instid1(VALU_DEP_2)
	v_add_f64 v[96:97], v[106:107], -v[96:97]
	v_add_f64 v[98:99], v[98:99], -v[100:101]
	s_delay_alu instid0(VALU_DEP_1) | instskip(SKIP_1) | instid1(VALU_DEP_2)
	v_add_f64 v[73:74], v[73:74], v[98:99]
	v_add_f64 v[98:99], v[102:103], v[104:105]
	v_add_f64 v[73:74], v[96:97], v[73:74]
	s_delay_alu instid0(VALU_DEP_2) | instskip(NEXT) | instid1(VALU_DEP_2)
	v_add_f64 v[96:97], v[98:99], -v[102:103]
	v_add_f64 v[73:74], v[108:109], v[73:74]
	s_delay_alu instid0(VALU_DEP_2) | instskip(NEXT) | instid1(VALU_DEP_2)
	v_add_f64 v[96:97], v[104:105], -v[96:97]
	v_mul_f64 v[73:74], v[75:76], v[73:74]
	s_delay_alu instid0(VALU_DEP_1) | instskip(NEXT) | instid1(VALU_DEP_1)
	v_add_f64 v[73:74], v[96:97], v[73:74]
	v_add_f64 v[75:76], v[98:99], v[73:74]
	s_delay_alu instid0(VALU_DEP_1) | instskip(NEXT) | instid1(VALU_DEP_1)
	v_mul_f64 v[96:97], v[75:76], v[75:76]
	v_fma_f64 v[100:101], v[96:97], s[44:45], s[42:43]
	s_mov_b32 s42, 0xd7f4df2e
	s_mov_b32 s43, 0x3fc7474d
	v_mul_f64 v[102:103], v[75:76], v[96:97]
	s_delay_alu instid0(VALU_DEP_2)
	v_fma_f64 v[100:101], v[96:97], v[100:101], s[42:43]
	s_mov_b32 s42, 0x16291751
	s_mov_b32 s43, 0x3fcc71c0
	s_delay_alu instid0(VALU_DEP_1) | instid1(SALU_CYCLE_1)
	v_fma_f64 v[100:101], v[96:97], v[100:101], s[42:43]
	s_mov_b32 s42, 0x9b27acf1
	s_mov_b32 s43, 0x3fd24924
	s_delay_alu instid0(VALU_DEP_1) | instid1(SALU_CYCLE_1)
	;; [unrolled: 4-line block ×3, first 2 shown]
	v_fma_f64 v[100:101], v[96:97], v[100:101], s[42:43]
	s_delay_alu instid0(VALU_DEP_1) | instskip(SKIP_3) | instid1(VALU_DEP_4)
	v_fma_f64 v[96:97], v[96:97], v[100:101], s[34:35]
	v_ldexp_f64 v[100:101], v[75:76], 1
	v_add_f64 v[75:76], v[75:76], -v[98:99]
	v_cmp_eq_f64_e64 s34, 0x7ff00000, v[69:70]
	v_mul_f64 v[96:97], v[102:103], v[96:97]
	v_cvt_f64_i32_e32 v[102:103], v114
	s_delay_alu instid0(VALU_DEP_4) | instskip(NEXT) | instid1(VALU_DEP_3)
	v_add_f64 v[73:74], v[73:74], -v[75:76]
	v_add_f64 v[98:99], v[100:101], v[96:97]
	s_delay_alu instid0(VALU_DEP_3) | instskip(NEXT) | instid1(VALU_DEP_3)
	v_mul_f64 v[104:105], v[102:103], s[36:37]
	v_ldexp_f64 v[73:74], v[73:74], 1
	s_delay_alu instid0(VALU_DEP_3) | instskip(NEXT) | instid1(VALU_DEP_3)
	v_add_f64 v[75:76], v[98:99], -v[100:101]
	v_fma_f64 v[100:101], v[102:103], s[36:37], -v[104:105]
	s_delay_alu instid0(VALU_DEP_2) | instskip(NEXT) | instid1(VALU_DEP_2)
	v_add_f64 v[75:76], v[96:97], -v[75:76]
	v_fma_f64 v[96:97], v[102:103], s[38:39], v[100:101]
	s_delay_alu instid0(VALU_DEP_2) | instskip(NEXT) | instid1(VALU_DEP_2)
	v_add_f64 v[73:74], v[73:74], v[75:76]
	v_add_f64 v[75:76], v[104:105], v[96:97]
	s_delay_alu instid0(VALU_DEP_2) | instskip(NEXT) | instid1(VALU_DEP_2)
	v_add_f64 v[100:101], v[98:99], v[73:74]
	v_add_f64 v[104:105], v[75:76], -v[104:105]
	s_delay_alu instid0(VALU_DEP_2) | instskip(SKIP_1) | instid1(VALU_DEP_3)
	v_add_f64 v[102:103], v[75:76], v[100:101]
	v_add_f64 v[98:99], v[100:101], -v[98:99]
	v_add_f64 v[96:97], v[96:97], -v[104:105]
	s_delay_alu instid0(VALU_DEP_3) | instskip(NEXT) | instid1(VALU_DEP_3)
	v_add_f64 v[106:107], v[102:103], -v[75:76]
	v_add_f64 v[73:74], v[73:74], -v[98:99]
	s_delay_alu instid0(VALU_DEP_2) | instskip(SKIP_1) | instid1(VALU_DEP_3)
	v_add_f64 v[108:109], v[102:103], -v[106:107]
	v_add_f64 v[98:99], v[100:101], -v[106:107]
	v_add_f64 v[100:101], v[96:97], v[73:74]
	s_delay_alu instid0(VALU_DEP_3) | instskip(NEXT) | instid1(VALU_DEP_1)
	v_add_f64 v[75:76], v[75:76], -v[108:109]
	v_add_f64 v[75:76], v[98:99], v[75:76]
	s_delay_alu instid0(VALU_DEP_3) | instskip(NEXT) | instid1(VALU_DEP_2)
	v_add_f64 v[98:99], v[100:101], -v[96:97]
	v_add_f64 v[75:76], v[100:101], v[75:76]
	s_delay_alu instid0(VALU_DEP_2) | instskip(SKIP_1) | instid1(VALU_DEP_3)
	v_add_f64 v[100:101], v[100:101], -v[98:99]
	v_add_f64 v[73:74], v[73:74], -v[98:99]
	v_add_f64 v[104:105], v[102:103], v[75:76]
	s_delay_alu instid0(VALU_DEP_3) | instskip(NEXT) | instid1(VALU_DEP_2)
	v_add_f64 v[96:97], v[96:97], -v[100:101]
	v_add_f64 v[98:99], v[104:105], -v[102:103]
	s_delay_alu instid0(VALU_DEP_2) | instskip(NEXT) | instid1(VALU_DEP_2)
	v_add_f64 v[73:74], v[73:74], v[96:97]
	v_add_f64 v[75:76], v[75:76], -v[98:99]
	s_delay_alu instid0(VALU_DEP_1) | instskip(NEXT) | instid1(VALU_DEP_1)
	v_add_f64 v[73:74], v[73:74], v[75:76]
	v_add_f64 v[73:74], v[104:105], v[73:74]
	s_delay_alu instid0(VALU_DEP_1) | instskip(NEXT) | instid1(VALU_DEP_2)
	v_cndmask_b32_e64 v73, v73, v69, s34
	v_cndmask_b32_e64 v74, v74, v70, s34
	v_cmp_ngt_f64_e64 s34, -1.0, v[69:70]
	s_delay_alu instid0(VALU_DEP_1) | instskip(SKIP_1) | instid1(VALU_DEP_1)
	v_cndmask_b32_e64 v74, 0x7ff80000, v74, s34
	v_cmp_nge_f64_e64 s34, -1.0, v[69:70]
	v_cndmask_b32_e64 v73, 0, v73, s34
	v_cmp_neq_f64_e64 s34, -1.0, v[69:70]
	s_delay_alu instid0(VALU_DEP_1) | instskip(NEXT) | instid1(VALU_DEP_1)
	v_cndmask_b32_e64 v74, 0xfff00000, v74, s34
	v_add_f64 v[69:70], v[71:72], v[73:74]
.LBB26_62:
	s_or_b32 exec_lo, exec_lo, s40
	s_load_b64 s[34:35], s[0:1], 0x20
	v_mbcnt_lo_u32_b32 v96, -1, 0
	s_delay_alu instid0(VALU_DEP_2) | instskip(NEXT) | instid1(VALU_DEP_3)
	v_mov_b32_dpp v71, v69 row_shr:1 row_mask:0xf bank_mask:0xf
	v_mov_b32_dpp v72, v70 row_shr:1 row_mask:0xf bank_mask:0xf
	v_dual_mov_b32 v73, v69 :: v_dual_mov_b32 v74, v70
	s_delay_alu instid0(VALU_DEP_4) | instskip(SKIP_1) | instid1(VALU_DEP_1)
	v_and_b32_e32 v75, 15, v96
	s_mov_b32 s40, exec_lo
	v_cmpx_ne_u32_e32 0, v75
	s_cbranch_execz .LBB26_66
; %bb.63:
	v_max_f64 v[73:74], v[71:72], v[71:72]
	v_max_f64 v[97:98], v[69:70], v[69:70]
	v_cmp_u_f64_e64 s0, v[71:72], v[71:72]
	v_cmp_u_f64_e64 s1, v[69:70], v[69:70]
	s_delay_alu instid0(VALU_DEP_3) | instskip(SKIP_1) | instid1(VALU_DEP_2)
	v_min_f64 v[99:100], v[73:74], v[97:98]
	v_max_f64 v[73:74], v[73:74], v[97:98]
	v_cndmask_b32_e64 v76, v99, v71, s0
	s_delay_alu instid0(VALU_DEP_3) | instskip(NEXT) | instid1(VALU_DEP_3)
	v_cndmask_b32_e64 v97, v100, v72, s0
	v_cndmask_b32_e64 v98, v74, v72, s0
	s_delay_alu instid0(VALU_DEP_4) | instskip(NEXT) | instid1(VALU_DEP_4)
	v_cndmask_b32_e64 v99, v73, v71, s0
	v_cndmask_b32_e64 v73, v76, v69, s1
	s_delay_alu instid0(VALU_DEP_4) | instskip(NEXT) | instid1(VALU_DEP_4)
	v_cndmask_b32_e64 v74, v97, v70, s1
	v_cndmask_b32_e64 v70, v98, v70, s1
	s_delay_alu instid0(VALU_DEP_4) | instskip(NEXT) | instid1(VALU_DEP_3)
	v_cndmask_b32_e64 v69, v99, v69, s1
	v_cmp_class_f64_e64 s1, v[73:74], 0x1f8
	s_delay_alu instid0(VALU_DEP_2) | instskip(NEXT) | instid1(VALU_DEP_1)
	v_cmp_neq_f64_e64 s0, v[73:74], v[69:70]
	s_or_b32 s0, s0, s1
	s_delay_alu instid0(SALU_CYCLE_1)
	s_and_saveexec_b32 s41, s0
	s_cbranch_execz .LBB26_65
; %bb.64:
	v_add_f64 v[71:72], v[73:74], -v[69:70]
	s_mov_b32 s0, 0x652b82fe
	s_mov_b32 s1, 0x3ff71547
	;; [unrolled: 1-line block ×10, first 2 shown]
	s_delay_alu instid0(VALU_DEP_1) | instskip(SKIP_2) | instid1(VALU_DEP_1)
	v_mul_f64 v[73:74], v[71:72], s[0:1]
	s_mov_b32 s0, 0xfca7ab0c
	s_mov_b32 s1, 0x3e928af3
	v_rndne_f64_e32 v[73:74], v[73:74]
	s_delay_alu instid0(VALU_DEP_1) | instskip(SKIP_2) | instid1(VALU_DEP_2)
	v_fma_f64 v[97:98], v[73:74], s[36:37], v[71:72]
	v_cvt_i32_f64_e32 v76, v[73:74]
	s_mov_b32 s37, 0x3fe62e42
	v_fma_f64 v[97:98], v[73:74], s[38:39], v[97:98]
	s_mov_b32 s39, 0x3c7abc9e
	s_delay_alu instid0(VALU_DEP_1) | instskip(SKIP_4) | instid1(VALU_DEP_1)
	v_fma_f64 v[99:100], v[97:98], s[42:43], s[0:1]
	s_mov_b32 s0, 0x623fde64
	s_mov_b32 s1, 0x3ec71dee
	;; [unrolled: 1-line block ×4, first 2 shown]
	v_fma_f64 v[99:100], v[97:98], v[99:100], s[0:1]
	s_mov_b32 s0, 0x7c89e6b0
	s_mov_b32 s1, 0x3efa0199
	s_delay_alu instid0(VALU_DEP_1) | instid1(SALU_CYCLE_1)
	v_fma_f64 v[99:100], v[97:98], v[99:100], s[0:1]
	s_mov_b32 s0, 0x14761f6e
	s_mov_b32 s1, 0x3f2a01a0
	s_delay_alu instid0(VALU_DEP_1) | instid1(SALU_CYCLE_1)
	;; [unrolled: 4-line block ×7, first 2 shown]
	v_fma_f64 v[99:100], v[97:98], v[99:100], s[0:1]
	v_cmp_nlt_f64_e64 s0, 0x40900000, v[71:72]
	v_cmp_ngt_f64_e64 s1, 0xc090cc00, v[71:72]
	s_delay_alu instid0(VALU_DEP_3) | instskip(NEXT) | instid1(VALU_DEP_1)
	v_fma_f64 v[99:100], v[97:98], v[99:100], 1.0
	v_fma_f64 v[73:74], v[97:98], v[99:100], 1.0
	s_delay_alu instid0(VALU_DEP_1) | instskip(NEXT) | instid1(VALU_DEP_1)
	v_ldexp_f64 v[73:74], v[73:74], v76
	v_cndmask_b32_e64 v74, 0x7ff00000, v74, s0
	s_and_b32 s0, s1, s0
	s_delay_alu instid0(VALU_DEP_2) | instid1(SALU_CYCLE_1)
	v_cndmask_b32_e64 v71, 0, v73, s0
	s_mov_b32 s0, 0x55555555
	s_delay_alu instid0(VALU_DEP_2) | instskip(SKIP_1) | instid1(VALU_DEP_1)
	v_cndmask_b32_e64 v72, 0, v74, s1
	s_mov_b32 s1, 0x3fe55555
	v_add_f64 v[73:74], v[71:72], 1.0
	s_delay_alu instid0(VALU_DEP_1) | instskip(SKIP_2) | instid1(VALU_DEP_3)
	v_frexp_mant_f64_e32 v[97:98], v[73:74]
	v_frexp_exp_i32_f64_e32 v76, v[73:74]
	v_add_f64 v[99:100], v[73:74], -1.0
	v_cmp_gt_f64_e64 s0, s[0:1], v[97:98]
	s_delay_alu instid0(VALU_DEP_2) | instskip(SKIP_1) | instid1(VALU_DEP_3)
	v_add_f64 v[97:98], v[99:100], -v[73:74]
	v_add_f64 v[99:100], v[71:72], -v[99:100]
	v_subrev_co_ci_u32_e64 v76, s0, 0, v76, s0
	s_delay_alu instid0(VALU_DEP_3) | instskip(SKIP_1) | instid1(VALU_DEP_2)
	v_add_f64 v[97:98], v[97:98], 1.0
	s_mov_b32 s0, 0x55555780
	v_sub_nc_u32_e32 v103, 0, v76
	s_delay_alu instid0(VALU_DEP_1) | instskip(NEXT) | instid1(VALU_DEP_3)
	v_ldexp_f64 v[73:74], v[73:74], v103
	v_add_f64 v[97:98], v[99:100], v[97:98]
	s_delay_alu instid0(VALU_DEP_2) | instskip(SKIP_1) | instid1(VALU_DEP_3)
	v_add_f64 v[101:102], v[73:74], 1.0
	v_add_f64 v[107:108], v[73:74], -1.0
	v_ldexp_f64 v[97:98], v[97:98], v103
	s_delay_alu instid0(VALU_DEP_3) | instskip(NEXT) | instid1(VALU_DEP_3)
	v_add_f64 v[99:100], v[101:102], -1.0
	v_add_f64 v[109:110], v[107:108], 1.0
	s_delay_alu instid0(VALU_DEP_2) | instskip(NEXT) | instid1(VALU_DEP_2)
	v_add_f64 v[99:100], v[73:74], -v[99:100]
	v_add_f64 v[73:74], v[73:74], -v[109:110]
	s_delay_alu instid0(VALU_DEP_2) | instskip(NEXT) | instid1(VALU_DEP_2)
	v_add_f64 v[99:100], v[97:98], v[99:100]
	v_add_f64 v[73:74], v[97:98], v[73:74]
	s_delay_alu instid0(VALU_DEP_2) | instskip(NEXT) | instid1(VALU_DEP_2)
	v_add_f64 v[103:104], v[101:102], v[99:100]
	v_add_f64 v[109:110], v[107:108], v[73:74]
	s_delay_alu instid0(VALU_DEP_2) | instskip(SKIP_1) | instid1(VALU_DEP_2)
	v_rcp_f64_e32 v[105:106], v[103:104]
	v_add_f64 v[101:102], v[103:104], -v[101:102]
	v_add_f64 v[107:108], v[109:110], -v[107:108]
	s_delay_alu instid0(VALU_DEP_2) | instskip(SKIP_3) | instid1(VALU_DEP_2)
	v_add_f64 v[99:100], v[99:100], -v[101:102]
	s_waitcnt_depctr 0xfff
	v_fma_f64 v[111:112], -v[103:104], v[105:106], 1.0
	v_add_f64 v[73:74], v[73:74], -v[107:108]
	v_fma_f64 v[105:106], v[111:112], v[105:106], v[105:106]
	s_delay_alu instid0(VALU_DEP_1) | instskip(NEXT) | instid1(VALU_DEP_1)
	v_fma_f64 v[97:98], -v[103:104], v[105:106], 1.0
	v_fma_f64 v[97:98], v[97:98], v[105:106], v[105:106]
	s_delay_alu instid0(VALU_DEP_1) | instskip(NEXT) | instid1(VALU_DEP_1)
	v_mul_f64 v[105:106], v[109:110], v[97:98]
	v_mul_f64 v[111:112], v[103:104], v[105:106]
	s_delay_alu instid0(VALU_DEP_1) | instskip(NEXT) | instid1(VALU_DEP_1)
	v_fma_f64 v[101:102], v[105:106], v[103:104], -v[111:112]
	v_fma_f64 v[101:102], v[105:106], v[99:100], v[101:102]
	s_delay_alu instid0(VALU_DEP_1) | instskip(NEXT) | instid1(VALU_DEP_1)
	v_add_f64 v[113:114], v[111:112], v[101:102]
	v_add_f64 v[115:116], v[109:110], -v[113:114]
	v_add_f64 v[107:108], v[113:114], -v[111:112]
	s_delay_alu instid0(VALU_DEP_2) | instskip(NEXT) | instid1(VALU_DEP_2)
	v_add_f64 v[109:110], v[109:110], -v[115:116]
	v_add_f64 v[101:102], v[107:108], -v[101:102]
	s_delay_alu instid0(VALU_DEP_2) | instskip(NEXT) | instid1(VALU_DEP_1)
	v_add_f64 v[109:110], v[109:110], -v[113:114]
	v_add_f64 v[73:74], v[73:74], v[109:110]
	s_delay_alu instid0(VALU_DEP_1) | instskip(NEXT) | instid1(VALU_DEP_1)
	v_add_f64 v[73:74], v[101:102], v[73:74]
	v_add_f64 v[101:102], v[115:116], v[73:74]
	s_delay_alu instid0(VALU_DEP_1) | instskip(SKIP_1) | instid1(VALU_DEP_2)
	v_mul_f64 v[107:108], v[97:98], v[101:102]
	v_add_f64 v[113:114], v[115:116], -v[101:102]
	v_mul_f64 v[109:110], v[103:104], v[107:108]
	s_delay_alu instid0(VALU_DEP_2) | instskip(NEXT) | instid1(VALU_DEP_2)
	v_add_f64 v[73:74], v[73:74], v[113:114]
	v_fma_f64 v[103:104], v[107:108], v[103:104], -v[109:110]
	s_delay_alu instid0(VALU_DEP_1) | instskip(NEXT) | instid1(VALU_DEP_1)
	v_fma_f64 v[99:100], v[107:108], v[99:100], v[103:104]
	v_add_f64 v[103:104], v[109:110], v[99:100]
	s_delay_alu instid0(VALU_DEP_1) | instskip(SKIP_1) | instid1(VALU_DEP_2)
	v_add_f64 v[111:112], v[101:102], -v[103:104]
	v_add_f64 v[109:110], v[103:104], -v[109:110]
	v_add_f64 v[101:102], v[101:102], -v[111:112]
	s_delay_alu instid0(VALU_DEP_2) | instskip(NEXT) | instid1(VALU_DEP_2)
	v_add_f64 v[99:100], v[109:110], -v[99:100]
	v_add_f64 v[101:102], v[101:102], -v[103:104]
	s_delay_alu instid0(VALU_DEP_1) | instskip(SKIP_1) | instid1(VALU_DEP_2)
	v_add_f64 v[73:74], v[73:74], v[101:102]
	v_add_f64 v[101:102], v[105:106], v[107:108]
	;; [unrolled: 1-line block ×3, first 2 shown]
	s_delay_alu instid0(VALU_DEP_2) | instskip(NEXT) | instid1(VALU_DEP_2)
	v_add_f64 v[99:100], v[101:102], -v[105:106]
	v_add_f64 v[73:74], v[111:112], v[73:74]
	s_delay_alu instid0(VALU_DEP_2) | instskip(NEXT) | instid1(VALU_DEP_2)
	v_add_f64 v[99:100], v[107:108], -v[99:100]
	v_mul_f64 v[73:74], v[97:98], v[73:74]
	s_delay_alu instid0(VALU_DEP_1) | instskip(NEXT) | instid1(VALU_DEP_1)
	v_add_f64 v[73:74], v[99:100], v[73:74]
	v_add_f64 v[97:98], v[101:102], v[73:74]
	s_delay_alu instid0(VALU_DEP_1) | instskip(NEXT) | instid1(VALU_DEP_1)
	v_mul_f64 v[99:100], v[97:98], v[97:98]
	v_fma_f64 v[103:104], v[99:100], s[44:45], s[42:43]
	s_mov_b32 s42, 0xd7f4df2e
	s_mov_b32 s43, 0x3fc7474d
	v_mul_f64 v[105:106], v[97:98], v[99:100]
	s_delay_alu instid0(VALU_DEP_2)
	v_fma_f64 v[103:104], v[99:100], v[103:104], s[42:43]
	s_mov_b32 s42, 0x16291751
	s_mov_b32 s43, 0x3fcc71c0
	s_delay_alu instid0(VALU_DEP_1) | instid1(SALU_CYCLE_1)
	v_fma_f64 v[103:104], v[99:100], v[103:104], s[42:43]
	s_mov_b32 s42, 0x9b27acf1
	s_mov_b32 s43, 0x3fd24924
	s_delay_alu instid0(VALU_DEP_1) | instid1(SALU_CYCLE_1)
	;; [unrolled: 4-line block ×3, first 2 shown]
	v_fma_f64 v[103:104], v[99:100], v[103:104], s[42:43]
	s_delay_alu instid0(VALU_DEP_1) | instskip(SKIP_3) | instid1(VALU_DEP_4)
	v_fma_f64 v[99:100], v[99:100], v[103:104], s[0:1]
	v_ldexp_f64 v[103:104], v[97:98], 1
	v_add_f64 v[97:98], v[97:98], -v[101:102]
	v_cmp_eq_f64_e64 s0, 0x7ff00000, v[71:72]
	v_mul_f64 v[99:100], v[105:106], v[99:100]
	v_cvt_f64_i32_e32 v[105:106], v76
	s_delay_alu instid0(VALU_DEP_4) | instskip(NEXT) | instid1(VALU_DEP_3)
	v_add_f64 v[73:74], v[73:74], -v[97:98]
	v_add_f64 v[101:102], v[103:104], v[99:100]
	s_delay_alu instid0(VALU_DEP_3) | instskip(NEXT) | instid1(VALU_DEP_3)
	v_mul_f64 v[107:108], v[105:106], s[36:37]
	v_ldexp_f64 v[73:74], v[73:74], 1
	s_delay_alu instid0(VALU_DEP_3) | instskip(NEXT) | instid1(VALU_DEP_3)
	v_add_f64 v[97:98], v[101:102], -v[103:104]
	v_fma_f64 v[103:104], v[105:106], s[36:37], -v[107:108]
	s_delay_alu instid0(VALU_DEP_2) | instskip(NEXT) | instid1(VALU_DEP_2)
	v_add_f64 v[97:98], v[99:100], -v[97:98]
	v_fma_f64 v[99:100], v[105:106], s[38:39], v[103:104]
	s_delay_alu instid0(VALU_DEP_2) | instskip(NEXT) | instid1(VALU_DEP_2)
	v_add_f64 v[73:74], v[73:74], v[97:98]
	v_add_f64 v[97:98], v[107:108], v[99:100]
	s_delay_alu instid0(VALU_DEP_2) | instskip(NEXT) | instid1(VALU_DEP_2)
	v_add_f64 v[103:104], v[101:102], v[73:74]
	v_add_f64 v[107:108], v[97:98], -v[107:108]
	s_delay_alu instid0(VALU_DEP_2) | instskip(SKIP_1) | instid1(VALU_DEP_3)
	v_add_f64 v[105:106], v[97:98], v[103:104]
	v_add_f64 v[101:102], v[103:104], -v[101:102]
	v_add_f64 v[99:100], v[99:100], -v[107:108]
	s_delay_alu instid0(VALU_DEP_3) | instskip(NEXT) | instid1(VALU_DEP_3)
	v_add_f64 v[109:110], v[105:106], -v[97:98]
	v_add_f64 v[73:74], v[73:74], -v[101:102]
	s_delay_alu instid0(VALU_DEP_2) | instskip(SKIP_1) | instid1(VALU_DEP_3)
	v_add_f64 v[111:112], v[105:106], -v[109:110]
	v_add_f64 v[101:102], v[103:104], -v[109:110]
	v_add_f64 v[103:104], v[99:100], v[73:74]
	s_delay_alu instid0(VALU_DEP_3) | instskip(NEXT) | instid1(VALU_DEP_1)
	v_add_f64 v[97:98], v[97:98], -v[111:112]
	v_add_f64 v[97:98], v[101:102], v[97:98]
	s_delay_alu instid0(VALU_DEP_3) | instskip(NEXT) | instid1(VALU_DEP_2)
	v_add_f64 v[101:102], v[103:104], -v[99:100]
	v_add_f64 v[97:98], v[103:104], v[97:98]
	s_delay_alu instid0(VALU_DEP_2) | instskip(SKIP_1) | instid1(VALU_DEP_3)
	v_add_f64 v[103:104], v[103:104], -v[101:102]
	v_add_f64 v[73:74], v[73:74], -v[101:102]
	v_add_f64 v[107:108], v[105:106], v[97:98]
	s_delay_alu instid0(VALU_DEP_3) | instskip(NEXT) | instid1(VALU_DEP_2)
	v_add_f64 v[99:100], v[99:100], -v[103:104]
	v_add_f64 v[101:102], v[107:108], -v[105:106]
	s_delay_alu instid0(VALU_DEP_2) | instskip(NEXT) | instid1(VALU_DEP_2)
	v_add_f64 v[73:74], v[73:74], v[99:100]
	v_add_f64 v[97:98], v[97:98], -v[101:102]
	s_delay_alu instid0(VALU_DEP_1) | instskip(NEXT) | instid1(VALU_DEP_1)
	v_add_f64 v[73:74], v[73:74], v[97:98]
	v_add_f64 v[73:74], v[107:108], v[73:74]
	s_delay_alu instid0(VALU_DEP_1) | instskip(NEXT) | instid1(VALU_DEP_2)
	v_cndmask_b32_e64 v73, v73, v71, s0
	v_cndmask_b32_e64 v74, v74, v72, s0
	v_cmp_ngt_f64_e64 s0, -1.0, v[71:72]
	s_delay_alu instid0(VALU_DEP_1) | instskip(SKIP_1) | instid1(VALU_DEP_1)
	v_cndmask_b32_e64 v74, 0x7ff80000, v74, s0
	v_cmp_nge_f64_e64 s0, -1.0, v[71:72]
	v_cndmask_b32_e64 v73, 0, v73, s0
	v_cmp_neq_f64_e64 s0, -1.0, v[71:72]
	s_delay_alu instid0(VALU_DEP_1) | instskip(NEXT) | instid1(VALU_DEP_1)
	v_cndmask_b32_e64 v74, 0xfff00000, v74, s0
	v_add_f64 v[71:72], v[69:70], v[73:74]
.LBB26_65:
	s_or_b32 exec_lo, exec_lo, s41
	s_delay_alu instid0(VALU_DEP_1)
	v_dual_mov_b32 v73, v71 :: v_dual_mov_b32 v74, v72
	v_dual_mov_b32 v69, v71 :: v_dual_mov_b32 v70, v72
.LBB26_66:
	s_or_b32 exec_lo, exec_lo, s40
	s_delay_alu instid0(VALU_DEP_2) | instskip(NEXT) | instid1(VALU_DEP_3)
	v_mov_b32_dpp v71, v73 row_shr:2 row_mask:0xf bank_mask:0xf
	v_mov_b32_dpp v72, v74 row_shr:2 row_mask:0xf bank_mask:0xf
	s_mov_b32 s40, exec_lo
	v_cmpx_lt_u32_e32 1, v75
	s_cbranch_execz .LBB26_70
; %bb.67:
	s_delay_alu instid0(VALU_DEP_2) | instskip(SKIP_3) | instid1(VALU_DEP_3)
	v_max_f64 v[73:74], v[71:72], v[71:72]
	v_max_f64 v[97:98], v[69:70], v[69:70]
	v_cmp_u_f64_e64 s0, v[71:72], v[71:72]
	v_cmp_u_f64_e64 s1, v[69:70], v[69:70]
	v_min_f64 v[99:100], v[73:74], v[97:98]
	v_max_f64 v[73:74], v[73:74], v[97:98]
	s_delay_alu instid0(VALU_DEP_2) | instskip(NEXT) | instid1(VALU_DEP_3)
	v_cndmask_b32_e64 v76, v99, v71, s0
	v_cndmask_b32_e64 v97, v100, v72, s0
	s_delay_alu instid0(VALU_DEP_3) | instskip(NEXT) | instid1(VALU_DEP_4)
	v_cndmask_b32_e64 v98, v74, v72, s0
	v_cndmask_b32_e64 v99, v73, v71, s0
	s_delay_alu instid0(VALU_DEP_4) | instskip(NEXT) | instid1(VALU_DEP_4)
	v_cndmask_b32_e64 v73, v76, v69, s1
	v_cndmask_b32_e64 v74, v97, v70, s1
	s_delay_alu instid0(VALU_DEP_4) | instskip(NEXT) | instid1(VALU_DEP_4)
	v_cndmask_b32_e64 v70, v98, v70, s1
	v_cndmask_b32_e64 v69, v99, v69, s1
	s_delay_alu instid0(VALU_DEP_3) | instskip(NEXT) | instid1(VALU_DEP_2)
	v_cmp_class_f64_e64 s1, v[73:74], 0x1f8
	v_cmp_neq_f64_e64 s0, v[73:74], v[69:70]
	s_delay_alu instid0(VALU_DEP_1) | instskip(NEXT) | instid1(SALU_CYCLE_1)
	s_or_b32 s0, s0, s1
	s_and_saveexec_b32 s41, s0
	s_cbranch_execz .LBB26_69
; %bb.68:
	v_add_f64 v[71:72], v[73:74], -v[69:70]
	s_mov_b32 s0, 0x652b82fe
	s_mov_b32 s1, 0x3ff71547
	;; [unrolled: 1-line block ×10, first 2 shown]
	s_delay_alu instid0(VALU_DEP_1) | instskip(SKIP_2) | instid1(VALU_DEP_1)
	v_mul_f64 v[73:74], v[71:72], s[0:1]
	s_mov_b32 s0, 0xfca7ab0c
	s_mov_b32 s1, 0x3e928af3
	v_rndne_f64_e32 v[73:74], v[73:74]
	s_delay_alu instid0(VALU_DEP_1) | instskip(SKIP_2) | instid1(VALU_DEP_2)
	v_fma_f64 v[97:98], v[73:74], s[36:37], v[71:72]
	v_cvt_i32_f64_e32 v76, v[73:74]
	s_mov_b32 s37, 0x3fe62e42
	v_fma_f64 v[97:98], v[73:74], s[38:39], v[97:98]
	s_mov_b32 s39, 0x3c7abc9e
	s_delay_alu instid0(VALU_DEP_1) | instskip(SKIP_4) | instid1(VALU_DEP_1)
	v_fma_f64 v[99:100], v[97:98], s[42:43], s[0:1]
	s_mov_b32 s0, 0x623fde64
	s_mov_b32 s1, 0x3ec71dee
	;; [unrolled: 1-line block ×4, first 2 shown]
	v_fma_f64 v[99:100], v[97:98], v[99:100], s[0:1]
	s_mov_b32 s0, 0x7c89e6b0
	s_mov_b32 s1, 0x3efa0199
	s_delay_alu instid0(VALU_DEP_1) | instid1(SALU_CYCLE_1)
	v_fma_f64 v[99:100], v[97:98], v[99:100], s[0:1]
	s_mov_b32 s0, 0x14761f6e
	s_mov_b32 s1, 0x3f2a01a0
	s_delay_alu instid0(VALU_DEP_1) | instid1(SALU_CYCLE_1)
	;; [unrolled: 4-line block ×7, first 2 shown]
	v_fma_f64 v[99:100], v[97:98], v[99:100], s[0:1]
	v_cmp_nlt_f64_e64 s0, 0x40900000, v[71:72]
	v_cmp_ngt_f64_e64 s1, 0xc090cc00, v[71:72]
	s_delay_alu instid0(VALU_DEP_3) | instskip(NEXT) | instid1(VALU_DEP_1)
	v_fma_f64 v[99:100], v[97:98], v[99:100], 1.0
	v_fma_f64 v[73:74], v[97:98], v[99:100], 1.0
	s_delay_alu instid0(VALU_DEP_1) | instskip(NEXT) | instid1(VALU_DEP_1)
	v_ldexp_f64 v[73:74], v[73:74], v76
	v_cndmask_b32_e64 v74, 0x7ff00000, v74, s0
	s_and_b32 s0, s1, s0
	s_delay_alu instid0(VALU_DEP_2) | instid1(SALU_CYCLE_1)
	v_cndmask_b32_e64 v71, 0, v73, s0
	s_mov_b32 s0, 0x55555555
	s_delay_alu instid0(VALU_DEP_2) | instskip(SKIP_1) | instid1(VALU_DEP_1)
	v_cndmask_b32_e64 v72, 0, v74, s1
	s_mov_b32 s1, 0x3fe55555
	v_add_f64 v[73:74], v[71:72], 1.0
	s_delay_alu instid0(VALU_DEP_1) | instskip(SKIP_2) | instid1(VALU_DEP_3)
	v_frexp_mant_f64_e32 v[97:98], v[73:74]
	v_frexp_exp_i32_f64_e32 v76, v[73:74]
	v_add_f64 v[99:100], v[73:74], -1.0
	v_cmp_gt_f64_e64 s0, s[0:1], v[97:98]
	s_delay_alu instid0(VALU_DEP_2) | instskip(SKIP_1) | instid1(VALU_DEP_3)
	v_add_f64 v[97:98], v[99:100], -v[73:74]
	v_add_f64 v[99:100], v[71:72], -v[99:100]
	v_subrev_co_ci_u32_e64 v76, s0, 0, v76, s0
	s_delay_alu instid0(VALU_DEP_3) | instskip(SKIP_1) | instid1(VALU_DEP_2)
	v_add_f64 v[97:98], v[97:98], 1.0
	s_mov_b32 s0, 0x55555780
	v_sub_nc_u32_e32 v103, 0, v76
	s_delay_alu instid0(VALU_DEP_1) | instskip(NEXT) | instid1(VALU_DEP_3)
	v_ldexp_f64 v[73:74], v[73:74], v103
	v_add_f64 v[97:98], v[99:100], v[97:98]
	s_delay_alu instid0(VALU_DEP_2) | instskip(SKIP_1) | instid1(VALU_DEP_3)
	v_add_f64 v[101:102], v[73:74], 1.0
	v_add_f64 v[107:108], v[73:74], -1.0
	v_ldexp_f64 v[97:98], v[97:98], v103
	s_delay_alu instid0(VALU_DEP_3) | instskip(NEXT) | instid1(VALU_DEP_3)
	v_add_f64 v[99:100], v[101:102], -1.0
	v_add_f64 v[109:110], v[107:108], 1.0
	s_delay_alu instid0(VALU_DEP_2) | instskip(NEXT) | instid1(VALU_DEP_2)
	v_add_f64 v[99:100], v[73:74], -v[99:100]
	v_add_f64 v[73:74], v[73:74], -v[109:110]
	s_delay_alu instid0(VALU_DEP_2) | instskip(NEXT) | instid1(VALU_DEP_2)
	v_add_f64 v[99:100], v[97:98], v[99:100]
	v_add_f64 v[73:74], v[97:98], v[73:74]
	s_delay_alu instid0(VALU_DEP_2) | instskip(NEXT) | instid1(VALU_DEP_2)
	v_add_f64 v[103:104], v[101:102], v[99:100]
	v_add_f64 v[109:110], v[107:108], v[73:74]
	s_delay_alu instid0(VALU_DEP_2) | instskip(SKIP_1) | instid1(VALU_DEP_2)
	v_rcp_f64_e32 v[105:106], v[103:104]
	v_add_f64 v[101:102], v[103:104], -v[101:102]
	v_add_f64 v[107:108], v[109:110], -v[107:108]
	s_delay_alu instid0(VALU_DEP_2) | instskip(SKIP_3) | instid1(VALU_DEP_2)
	v_add_f64 v[99:100], v[99:100], -v[101:102]
	s_waitcnt_depctr 0xfff
	v_fma_f64 v[111:112], -v[103:104], v[105:106], 1.0
	v_add_f64 v[73:74], v[73:74], -v[107:108]
	v_fma_f64 v[105:106], v[111:112], v[105:106], v[105:106]
	s_delay_alu instid0(VALU_DEP_1) | instskip(NEXT) | instid1(VALU_DEP_1)
	v_fma_f64 v[97:98], -v[103:104], v[105:106], 1.0
	v_fma_f64 v[97:98], v[97:98], v[105:106], v[105:106]
	s_delay_alu instid0(VALU_DEP_1) | instskip(NEXT) | instid1(VALU_DEP_1)
	v_mul_f64 v[105:106], v[109:110], v[97:98]
	v_mul_f64 v[111:112], v[103:104], v[105:106]
	s_delay_alu instid0(VALU_DEP_1) | instskip(NEXT) | instid1(VALU_DEP_1)
	v_fma_f64 v[101:102], v[105:106], v[103:104], -v[111:112]
	v_fma_f64 v[101:102], v[105:106], v[99:100], v[101:102]
	s_delay_alu instid0(VALU_DEP_1) | instskip(NEXT) | instid1(VALU_DEP_1)
	v_add_f64 v[113:114], v[111:112], v[101:102]
	v_add_f64 v[115:116], v[109:110], -v[113:114]
	v_add_f64 v[107:108], v[113:114], -v[111:112]
	s_delay_alu instid0(VALU_DEP_2) | instskip(NEXT) | instid1(VALU_DEP_2)
	v_add_f64 v[109:110], v[109:110], -v[115:116]
	v_add_f64 v[101:102], v[107:108], -v[101:102]
	s_delay_alu instid0(VALU_DEP_2) | instskip(NEXT) | instid1(VALU_DEP_1)
	v_add_f64 v[109:110], v[109:110], -v[113:114]
	v_add_f64 v[73:74], v[73:74], v[109:110]
	s_delay_alu instid0(VALU_DEP_1) | instskip(NEXT) | instid1(VALU_DEP_1)
	v_add_f64 v[73:74], v[101:102], v[73:74]
	v_add_f64 v[101:102], v[115:116], v[73:74]
	s_delay_alu instid0(VALU_DEP_1) | instskip(SKIP_1) | instid1(VALU_DEP_2)
	v_mul_f64 v[107:108], v[97:98], v[101:102]
	v_add_f64 v[113:114], v[115:116], -v[101:102]
	v_mul_f64 v[109:110], v[103:104], v[107:108]
	s_delay_alu instid0(VALU_DEP_2) | instskip(NEXT) | instid1(VALU_DEP_2)
	v_add_f64 v[73:74], v[73:74], v[113:114]
	v_fma_f64 v[103:104], v[107:108], v[103:104], -v[109:110]
	s_delay_alu instid0(VALU_DEP_1) | instskip(NEXT) | instid1(VALU_DEP_1)
	v_fma_f64 v[99:100], v[107:108], v[99:100], v[103:104]
	v_add_f64 v[103:104], v[109:110], v[99:100]
	s_delay_alu instid0(VALU_DEP_1) | instskip(SKIP_1) | instid1(VALU_DEP_2)
	v_add_f64 v[111:112], v[101:102], -v[103:104]
	v_add_f64 v[109:110], v[103:104], -v[109:110]
	;; [unrolled: 1-line block ×3, first 2 shown]
	s_delay_alu instid0(VALU_DEP_2) | instskip(NEXT) | instid1(VALU_DEP_2)
	v_add_f64 v[99:100], v[109:110], -v[99:100]
	v_add_f64 v[101:102], v[101:102], -v[103:104]
	s_delay_alu instid0(VALU_DEP_1) | instskip(SKIP_1) | instid1(VALU_DEP_2)
	v_add_f64 v[73:74], v[73:74], v[101:102]
	v_add_f64 v[101:102], v[105:106], v[107:108]
	;; [unrolled: 1-line block ×3, first 2 shown]
	s_delay_alu instid0(VALU_DEP_2) | instskip(NEXT) | instid1(VALU_DEP_2)
	v_add_f64 v[99:100], v[101:102], -v[105:106]
	v_add_f64 v[73:74], v[111:112], v[73:74]
	s_delay_alu instid0(VALU_DEP_2) | instskip(NEXT) | instid1(VALU_DEP_2)
	v_add_f64 v[99:100], v[107:108], -v[99:100]
	v_mul_f64 v[73:74], v[97:98], v[73:74]
	s_delay_alu instid0(VALU_DEP_1) | instskip(NEXT) | instid1(VALU_DEP_1)
	v_add_f64 v[73:74], v[99:100], v[73:74]
	v_add_f64 v[97:98], v[101:102], v[73:74]
	s_delay_alu instid0(VALU_DEP_1) | instskip(NEXT) | instid1(VALU_DEP_1)
	v_mul_f64 v[99:100], v[97:98], v[97:98]
	v_fma_f64 v[103:104], v[99:100], s[44:45], s[42:43]
	s_mov_b32 s42, 0xd7f4df2e
	s_mov_b32 s43, 0x3fc7474d
	v_mul_f64 v[105:106], v[97:98], v[99:100]
	s_delay_alu instid0(VALU_DEP_2)
	v_fma_f64 v[103:104], v[99:100], v[103:104], s[42:43]
	s_mov_b32 s42, 0x16291751
	s_mov_b32 s43, 0x3fcc71c0
	s_delay_alu instid0(VALU_DEP_1) | instid1(SALU_CYCLE_1)
	v_fma_f64 v[103:104], v[99:100], v[103:104], s[42:43]
	s_mov_b32 s42, 0x9b27acf1
	s_mov_b32 s43, 0x3fd24924
	s_delay_alu instid0(VALU_DEP_1) | instid1(SALU_CYCLE_1)
	;; [unrolled: 4-line block ×3, first 2 shown]
	v_fma_f64 v[103:104], v[99:100], v[103:104], s[42:43]
	s_delay_alu instid0(VALU_DEP_1) | instskip(SKIP_3) | instid1(VALU_DEP_4)
	v_fma_f64 v[99:100], v[99:100], v[103:104], s[0:1]
	v_ldexp_f64 v[103:104], v[97:98], 1
	v_add_f64 v[97:98], v[97:98], -v[101:102]
	v_cmp_eq_f64_e64 s0, 0x7ff00000, v[71:72]
	v_mul_f64 v[99:100], v[105:106], v[99:100]
	v_cvt_f64_i32_e32 v[105:106], v76
	s_delay_alu instid0(VALU_DEP_4) | instskip(NEXT) | instid1(VALU_DEP_3)
	v_add_f64 v[73:74], v[73:74], -v[97:98]
	v_add_f64 v[101:102], v[103:104], v[99:100]
	s_delay_alu instid0(VALU_DEP_3) | instskip(NEXT) | instid1(VALU_DEP_3)
	v_mul_f64 v[107:108], v[105:106], s[36:37]
	v_ldexp_f64 v[73:74], v[73:74], 1
	s_delay_alu instid0(VALU_DEP_3) | instskip(NEXT) | instid1(VALU_DEP_3)
	v_add_f64 v[97:98], v[101:102], -v[103:104]
	v_fma_f64 v[103:104], v[105:106], s[36:37], -v[107:108]
	s_delay_alu instid0(VALU_DEP_2) | instskip(NEXT) | instid1(VALU_DEP_2)
	v_add_f64 v[97:98], v[99:100], -v[97:98]
	v_fma_f64 v[99:100], v[105:106], s[38:39], v[103:104]
	s_delay_alu instid0(VALU_DEP_2) | instskip(NEXT) | instid1(VALU_DEP_2)
	v_add_f64 v[73:74], v[73:74], v[97:98]
	v_add_f64 v[97:98], v[107:108], v[99:100]
	s_delay_alu instid0(VALU_DEP_2) | instskip(NEXT) | instid1(VALU_DEP_2)
	v_add_f64 v[103:104], v[101:102], v[73:74]
	v_add_f64 v[107:108], v[97:98], -v[107:108]
	s_delay_alu instid0(VALU_DEP_2) | instskip(SKIP_1) | instid1(VALU_DEP_3)
	v_add_f64 v[105:106], v[97:98], v[103:104]
	v_add_f64 v[101:102], v[103:104], -v[101:102]
	v_add_f64 v[99:100], v[99:100], -v[107:108]
	s_delay_alu instid0(VALU_DEP_3) | instskip(NEXT) | instid1(VALU_DEP_3)
	v_add_f64 v[109:110], v[105:106], -v[97:98]
	v_add_f64 v[73:74], v[73:74], -v[101:102]
	s_delay_alu instid0(VALU_DEP_2) | instskip(SKIP_1) | instid1(VALU_DEP_3)
	v_add_f64 v[111:112], v[105:106], -v[109:110]
	v_add_f64 v[101:102], v[103:104], -v[109:110]
	v_add_f64 v[103:104], v[99:100], v[73:74]
	s_delay_alu instid0(VALU_DEP_3) | instskip(NEXT) | instid1(VALU_DEP_1)
	v_add_f64 v[97:98], v[97:98], -v[111:112]
	v_add_f64 v[97:98], v[101:102], v[97:98]
	s_delay_alu instid0(VALU_DEP_3) | instskip(NEXT) | instid1(VALU_DEP_2)
	v_add_f64 v[101:102], v[103:104], -v[99:100]
	v_add_f64 v[97:98], v[103:104], v[97:98]
	s_delay_alu instid0(VALU_DEP_2) | instskip(SKIP_1) | instid1(VALU_DEP_3)
	v_add_f64 v[103:104], v[103:104], -v[101:102]
	v_add_f64 v[73:74], v[73:74], -v[101:102]
	v_add_f64 v[107:108], v[105:106], v[97:98]
	s_delay_alu instid0(VALU_DEP_3) | instskip(NEXT) | instid1(VALU_DEP_2)
	v_add_f64 v[99:100], v[99:100], -v[103:104]
	v_add_f64 v[101:102], v[107:108], -v[105:106]
	s_delay_alu instid0(VALU_DEP_2) | instskip(NEXT) | instid1(VALU_DEP_2)
	v_add_f64 v[73:74], v[73:74], v[99:100]
	v_add_f64 v[97:98], v[97:98], -v[101:102]
	s_delay_alu instid0(VALU_DEP_1) | instskip(NEXT) | instid1(VALU_DEP_1)
	v_add_f64 v[73:74], v[73:74], v[97:98]
	v_add_f64 v[73:74], v[107:108], v[73:74]
	s_delay_alu instid0(VALU_DEP_1) | instskip(NEXT) | instid1(VALU_DEP_2)
	v_cndmask_b32_e64 v73, v73, v71, s0
	v_cndmask_b32_e64 v74, v74, v72, s0
	v_cmp_ngt_f64_e64 s0, -1.0, v[71:72]
	s_delay_alu instid0(VALU_DEP_1) | instskip(SKIP_1) | instid1(VALU_DEP_1)
	v_cndmask_b32_e64 v74, 0x7ff80000, v74, s0
	v_cmp_nge_f64_e64 s0, -1.0, v[71:72]
	v_cndmask_b32_e64 v73, 0, v73, s0
	v_cmp_neq_f64_e64 s0, -1.0, v[71:72]
	s_delay_alu instid0(VALU_DEP_1) | instskip(NEXT) | instid1(VALU_DEP_1)
	v_cndmask_b32_e64 v74, 0xfff00000, v74, s0
	v_add_f64 v[71:72], v[69:70], v[73:74]
.LBB26_69:
	s_or_b32 exec_lo, exec_lo, s41
	s_delay_alu instid0(VALU_DEP_1)
	v_dual_mov_b32 v69, v71 :: v_dual_mov_b32 v70, v72
	v_dual_mov_b32 v73, v71 :: v_dual_mov_b32 v74, v72
.LBB26_70:
	s_or_b32 exec_lo, exec_lo, s40
	s_delay_alu instid0(VALU_DEP_1) | instskip(NEXT) | instid1(VALU_DEP_2)
	v_mov_b32_dpp v71, v73 row_shr:4 row_mask:0xf bank_mask:0xf
	v_mov_b32_dpp v72, v74 row_shr:4 row_mask:0xf bank_mask:0xf
	s_mov_b32 s40, exec_lo
	v_cmpx_lt_u32_e32 3, v75
	s_cbranch_execz .LBB26_74
; %bb.71:
	s_delay_alu instid0(VALU_DEP_2) | instskip(SKIP_3) | instid1(VALU_DEP_3)
	v_max_f64 v[73:74], v[71:72], v[71:72]
	v_max_f64 v[97:98], v[69:70], v[69:70]
	v_cmp_u_f64_e64 s0, v[71:72], v[71:72]
	v_cmp_u_f64_e64 s1, v[69:70], v[69:70]
	v_min_f64 v[99:100], v[73:74], v[97:98]
	v_max_f64 v[73:74], v[73:74], v[97:98]
	s_delay_alu instid0(VALU_DEP_2) | instskip(NEXT) | instid1(VALU_DEP_3)
	v_cndmask_b32_e64 v76, v99, v71, s0
	v_cndmask_b32_e64 v97, v100, v72, s0
	s_delay_alu instid0(VALU_DEP_3) | instskip(NEXT) | instid1(VALU_DEP_4)
	v_cndmask_b32_e64 v98, v74, v72, s0
	v_cndmask_b32_e64 v99, v73, v71, s0
	s_delay_alu instid0(VALU_DEP_4) | instskip(NEXT) | instid1(VALU_DEP_4)
	v_cndmask_b32_e64 v73, v76, v69, s1
	v_cndmask_b32_e64 v74, v97, v70, s1
	s_delay_alu instid0(VALU_DEP_4) | instskip(NEXT) | instid1(VALU_DEP_4)
	v_cndmask_b32_e64 v70, v98, v70, s1
	v_cndmask_b32_e64 v69, v99, v69, s1
	s_delay_alu instid0(VALU_DEP_3) | instskip(NEXT) | instid1(VALU_DEP_2)
	v_cmp_class_f64_e64 s1, v[73:74], 0x1f8
	v_cmp_neq_f64_e64 s0, v[73:74], v[69:70]
	s_delay_alu instid0(VALU_DEP_1) | instskip(NEXT) | instid1(SALU_CYCLE_1)
	s_or_b32 s0, s0, s1
	s_and_saveexec_b32 s41, s0
	s_cbranch_execz .LBB26_73
; %bb.72:
	v_add_f64 v[71:72], v[73:74], -v[69:70]
	s_mov_b32 s0, 0x652b82fe
	s_mov_b32 s1, 0x3ff71547
	;; [unrolled: 1-line block ×10, first 2 shown]
	s_delay_alu instid0(VALU_DEP_1) | instskip(SKIP_2) | instid1(VALU_DEP_1)
	v_mul_f64 v[73:74], v[71:72], s[0:1]
	s_mov_b32 s0, 0xfca7ab0c
	s_mov_b32 s1, 0x3e928af3
	v_rndne_f64_e32 v[73:74], v[73:74]
	s_delay_alu instid0(VALU_DEP_1) | instskip(SKIP_2) | instid1(VALU_DEP_2)
	v_fma_f64 v[97:98], v[73:74], s[36:37], v[71:72]
	v_cvt_i32_f64_e32 v76, v[73:74]
	s_mov_b32 s37, 0x3fe62e42
	v_fma_f64 v[97:98], v[73:74], s[38:39], v[97:98]
	s_mov_b32 s39, 0x3c7abc9e
	s_delay_alu instid0(VALU_DEP_1) | instskip(SKIP_4) | instid1(VALU_DEP_1)
	v_fma_f64 v[99:100], v[97:98], s[42:43], s[0:1]
	s_mov_b32 s0, 0x623fde64
	s_mov_b32 s1, 0x3ec71dee
	;; [unrolled: 1-line block ×4, first 2 shown]
	v_fma_f64 v[99:100], v[97:98], v[99:100], s[0:1]
	s_mov_b32 s0, 0x7c89e6b0
	s_mov_b32 s1, 0x3efa0199
	s_delay_alu instid0(VALU_DEP_1) | instid1(SALU_CYCLE_1)
	v_fma_f64 v[99:100], v[97:98], v[99:100], s[0:1]
	s_mov_b32 s0, 0x14761f6e
	s_mov_b32 s1, 0x3f2a01a0
	s_delay_alu instid0(VALU_DEP_1) | instid1(SALU_CYCLE_1)
	;; [unrolled: 4-line block ×7, first 2 shown]
	v_fma_f64 v[99:100], v[97:98], v[99:100], s[0:1]
	v_cmp_nlt_f64_e64 s0, 0x40900000, v[71:72]
	v_cmp_ngt_f64_e64 s1, 0xc090cc00, v[71:72]
	s_delay_alu instid0(VALU_DEP_3) | instskip(NEXT) | instid1(VALU_DEP_1)
	v_fma_f64 v[99:100], v[97:98], v[99:100], 1.0
	v_fma_f64 v[73:74], v[97:98], v[99:100], 1.0
	s_delay_alu instid0(VALU_DEP_1) | instskip(NEXT) | instid1(VALU_DEP_1)
	v_ldexp_f64 v[73:74], v[73:74], v76
	v_cndmask_b32_e64 v74, 0x7ff00000, v74, s0
	s_and_b32 s0, s1, s0
	s_delay_alu instid0(VALU_DEP_2) | instid1(SALU_CYCLE_1)
	v_cndmask_b32_e64 v71, 0, v73, s0
	s_mov_b32 s0, 0x55555555
	s_delay_alu instid0(VALU_DEP_2) | instskip(SKIP_1) | instid1(VALU_DEP_1)
	v_cndmask_b32_e64 v72, 0, v74, s1
	s_mov_b32 s1, 0x3fe55555
	v_add_f64 v[73:74], v[71:72], 1.0
	s_delay_alu instid0(VALU_DEP_1) | instskip(SKIP_2) | instid1(VALU_DEP_3)
	v_frexp_mant_f64_e32 v[97:98], v[73:74]
	v_frexp_exp_i32_f64_e32 v76, v[73:74]
	v_add_f64 v[99:100], v[73:74], -1.0
	v_cmp_gt_f64_e64 s0, s[0:1], v[97:98]
	s_delay_alu instid0(VALU_DEP_2) | instskip(SKIP_1) | instid1(VALU_DEP_3)
	v_add_f64 v[97:98], v[99:100], -v[73:74]
	v_add_f64 v[99:100], v[71:72], -v[99:100]
	v_subrev_co_ci_u32_e64 v76, s0, 0, v76, s0
	s_delay_alu instid0(VALU_DEP_3) | instskip(SKIP_1) | instid1(VALU_DEP_2)
	v_add_f64 v[97:98], v[97:98], 1.0
	s_mov_b32 s0, 0x55555780
	v_sub_nc_u32_e32 v103, 0, v76
	s_delay_alu instid0(VALU_DEP_1) | instskip(NEXT) | instid1(VALU_DEP_3)
	v_ldexp_f64 v[73:74], v[73:74], v103
	v_add_f64 v[97:98], v[99:100], v[97:98]
	s_delay_alu instid0(VALU_DEP_2) | instskip(SKIP_1) | instid1(VALU_DEP_3)
	v_add_f64 v[101:102], v[73:74], 1.0
	v_add_f64 v[107:108], v[73:74], -1.0
	v_ldexp_f64 v[97:98], v[97:98], v103
	s_delay_alu instid0(VALU_DEP_3) | instskip(NEXT) | instid1(VALU_DEP_3)
	v_add_f64 v[99:100], v[101:102], -1.0
	v_add_f64 v[109:110], v[107:108], 1.0
	s_delay_alu instid0(VALU_DEP_2) | instskip(NEXT) | instid1(VALU_DEP_2)
	v_add_f64 v[99:100], v[73:74], -v[99:100]
	v_add_f64 v[73:74], v[73:74], -v[109:110]
	s_delay_alu instid0(VALU_DEP_2) | instskip(NEXT) | instid1(VALU_DEP_2)
	v_add_f64 v[99:100], v[97:98], v[99:100]
	v_add_f64 v[73:74], v[97:98], v[73:74]
	s_delay_alu instid0(VALU_DEP_2) | instskip(NEXT) | instid1(VALU_DEP_2)
	v_add_f64 v[103:104], v[101:102], v[99:100]
	v_add_f64 v[109:110], v[107:108], v[73:74]
	s_delay_alu instid0(VALU_DEP_2) | instskip(SKIP_1) | instid1(VALU_DEP_2)
	v_rcp_f64_e32 v[105:106], v[103:104]
	v_add_f64 v[101:102], v[103:104], -v[101:102]
	v_add_f64 v[107:108], v[109:110], -v[107:108]
	s_delay_alu instid0(VALU_DEP_2) | instskip(SKIP_3) | instid1(VALU_DEP_2)
	v_add_f64 v[99:100], v[99:100], -v[101:102]
	s_waitcnt_depctr 0xfff
	v_fma_f64 v[111:112], -v[103:104], v[105:106], 1.0
	v_add_f64 v[73:74], v[73:74], -v[107:108]
	v_fma_f64 v[105:106], v[111:112], v[105:106], v[105:106]
	s_delay_alu instid0(VALU_DEP_1) | instskip(NEXT) | instid1(VALU_DEP_1)
	v_fma_f64 v[97:98], -v[103:104], v[105:106], 1.0
	v_fma_f64 v[97:98], v[97:98], v[105:106], v[105:106]
	s_delay_alu instid0(VALU_DEP_1) | instskip(NEXT) | instid1(VALU_DEP_1)
	v_mul_f64 v[105:106], v[109:110], v[97:98]
	v_mul_f64 v[111:112], v[103:104], v[105:106]
	s_delay_alu instid0(VALU_DEP_1) | instskip(NEXT) | instid1(VALU_DEP_1)
	v_fma_f64 v[101:102], v[105:106], v[103:104], -v[111:112]
	v_fma_f64 v[101:102], v[105:106], v[99:100], v[101:102]
	s_delay_alu instid0(VALU_DEP_1) | instskip(NEXT) | instid1(VALU_DEP_1)
	v_add_f64 v[113:114], v[111:112], v[101:102]
	v_add_f64 v[115:116], v[109:110], -v[113:114]
	v_add_f64 v[107:108], v[113:114], -v[111:112]
	s_delay_alu instid0(VALU_DEP_2) | instskip(NEXT) | instid1(VALU_DEP_2)
	v_add_f64 v[109:110], v[109:110], -v[115:116]
	v_add_f64 v[101:102], v[107:108], -v[101:102]
	s_delay_alu instid0(VALU_DEP_2) | instskip(NEXT) | instid1(VALU_DEP_1)
	v_add_f64 v[109:110], v[109:110], -v[113:114]
	v_add_f64 v[73:74], v[73:74], v[109:110]
	s_delay_alu instid0(VALU_DEP_1) | instskip(NEXT) | instid1(VALU_DEP_1)
	v_add_f64 v[73:74], v[101:102], v[73:74]
	v_add_f64 v[101:102], v[115:116], v[73:74]
	s_delay_alu instid0(VALU_DEP_1) | instskip(SKIP_1) | instid1(VALU_DEP_2)
	v_mul_f64 v[107:108], v[97:98], v[101:102]
	v_add_f64 v[113:114], v[115:116], -v[101:102]
	v_mul_f64 v[109:110], v[103:104], v[107:108]
	s_delay_alu instid0(VALU_DEP_2) | instskip(NEXT) | instid1(VALU_DEP_2)
	v_add_f64 v[73:74], v[73:74], v[113:114]
	v_fma_f64 v[103:104], v[107:108], v[103:104], -v[109:110]
	s_delay_alu instid0(VALU_DEP_1) | instskip(NEXT) | instid1(VALU_DEP_1)
	v_fma_f64 v[99:100], v[107:108], v[99:100], v[103:104]
	v_add_f64 v[103:104], v[109:110], v[99:100]
	s_delay_alu instid0(VALU_DEP_1) | instskip(SKIP_1) | instid1(VALU_DEP_2)
	v_add_f64 v[111:112], v[101:102], -v[103:104]
	v_add_f64 v[109:110], v[103:104], -v[109:110]
	v_add_f64 v[101:102], v[101:102], -v[111:112]
	s_delay_alu instid0(VALU_DEP_2) | instskip(NEXT) | instid1(VALU_DEP_2)
	v_add_f64 v[99:100], v[109:110], -v[99:100]
	v_add_f64 v[101:102], v[101:102], -v[103:104]
	s_delay_alu instid0(VALU_DEP_1) | instskip(SKIP_1) | instid1(VALU_DEP_2)
	v_add_f64 v[73:74], v[73:74], v[101:102]
	v_add_f64 v[101:102], v[105:106], v[107:108]
	;; [unrolled: 1-line block ×3, first 2 shown]
	s_delay_alu instid0(VALU_DEP_2) | instskip(NEXT) | instid1(VALU_DEP_2)
	v_add_f64 v[99:100], v[101:102], -v[105:106]
	v_add_f64 v[73:74], v[111:112], v[73:74]
	s_delay_alu instid0(VALU_DEP_2) | instskip(NEXT) | instid1(VALU_DEP_2)
	v_add_f64 v[99:100], v[107:108], -v[99:100]
	v_mul_f64 v[73:74], v[97:98], v[73:74]
	s_delay_alu instid0(VALU_DEP_1) | instskip(NEXT) | instid1(VALU_DEP_1)
	v_add_f64 v[73:74], v[99:100], v[73:74]
	v_add_f64 v[97:98], v[101:102], v[73:74]
	s_delay_alu instid0(VALU_DEP_1) | instskip(NEXT) | instid1(VALU_DEP_1)
	v_mul_f64 v[99:100], v[97:98], v[97:98]
	v_fma_f64 v[103:104], v[99:100], s[44:45], s[42:43]
	s_mov_b32 s42, 0xd7f4df2e
	s_mov_b32 s43, 0x3fc7474d
	v_mul_f64 v[105:106], v[97:98], v[99:100]
	s_delay_alu instid0(VALU_DEP_2)
	v_fma_f64 v[103:104], v[99:100], v[103:104], s[42:43]
	s_mov_b32 s42, 0x16291751
	s_mov_b32 s43, 0x3fcc71c0
	s_delay_alu instid0(VALU_DEP_1) | instid1(SALU_CYCLE_1)
	v_fma_f64 v[103:104], v[99:100], v[103:104], s[42:43]
	s_mov_b32 s42, 0x9b27acf1
	s_mov_b32 s43, 0x3fd24924
	s_delay_alu instid0(VALU_DEP_1) | instid1(SALU_CYCLE_1)
	;; [unrolled: 4-line block ×3, first 2 shown]
	v_fma_f64 v[103:104], v[99:100], v[103:104], s[42:43]
	s_delay_alu instid0(VALU_DEP_1) | instskip(SKIP_3) | instid1(VALU_DEP_4)
	v_fma_f64 v[99:100], v[99:100], v[103:104], s[0:1]
	v_ldexp_f64 v[103:104], v[97:98], 1
	v_add_f64 v[97:98], v[97:98], -v[101:102]
	v_cmp_eq_f64_e64 s0, 0x7ff00000, v[71:72]
	v_mul_f64 v[99:100], v[105:106], v[99:100]
	v_cvt_f64_i32_e32 v[105:106], v76
	s_delay_alu instid0(VALU_DEP_4) | instskip(NEXT) | instid1(VALU_DEP_3)
	v_add_f64 v[73:74], v[73:74], -v[97:98]
	v_add_f64 v[101:102], v[103:104], v[99:100]
	s_delay_alu instid0(VALU_DEP_3) | instskip(NEXT) | instid1(VALU_DEP_3)
	v_mul_f64 v[107:108], v[105:106], s[36:37]
	v_ldexp_f64 v[73:74], v[73:74], 1
	s_delay_alu instid0(VALU_DEP_3) | instskip(NEXT) | instid1(VALU_DEP_3)
	v_add_f64 v[97:98], v[101:102], -v[103:104]
	v_fma_f64 v[103:104], v[105:106], s[36:37], -v[107:108]
	s_delay_alu instid0(VALU_DEP_2) | instskip(NEXT) | instid1(VALU_DEP_2)
	v_add_f64 v[97:98], v[99:100], -v[97:98]
	v_fma_f64 v[99:100], v[105:106], s[38:39], v[103:104]
	s_delay_alu instid0(VALU_DEP_2) | instskip(NEXT) | instid1(VALU_DEP_2)
	v_add_f64 v[73:74], v[73:74], v[97:98]
	v_add_f64 v[97:98], v[107:108], v[99:100]
	s_delay_alu instid0(VALU_DEP_2) | instskip(NEXT) | instid1(VALU_DEP_2)
	v_add_f64 v[103:104], v[101:102], v[73:74]
	v_add_f64 v[107:108], v[97:98], -v[107:108]
	s_delay_alu instid0(VALU_DEP_2) | instskip(SKIP_1) | instid1(VALU_DEP_3)
	v_add_f64 v[105:106], v[97:98], v[103:104]
	v_add_f64 v[101:102], v[103:104], -v[101:102]
	v_add_f64 v[99:100], v[99:100], -v[107:108]
	s_delay_alu instid0(VALU_DEP_3) | instskip(NEXT) | instid1(VALU_DEP_3)
	v_add_f64 v[109:110], v[105:106], -v[97:98]
	v_add_f64 v[73:74], v[73:74], -v[101:102]
	s_delay_alu instid0(VALU_DEP_2) | instskip(SKIP_1) | instid1(VALU_DEP_3)
	v_add_f64 v[111:112], v[105:106], -v[109:110]
	v_add_f64 v[101:102], v[103:104], -v[109:110]
	v_add_f64 v[103:104], v[99:100], v[73:74]
	s_delay_alu instid0(VALU_DEP_3) | instskip(NEXT) | instid1(VALU_DEP_1)
	v_add_f64 v[97:98], v[97:98], -v[111:112]
	v_add_f64 v[97:98], v[101:102], v[97:98]
	s_delay_alu instid0(VALU_DEP_3) | instskip(NEXT) | instid1(VALU_DEP_2)
	v_add_f64 v[101:102], v[103:104], -v[99:100]
	v_add_f64 v[97:98], v[103:104], v[97:98]
	s_delay_alu instid0(VALU_DEP_2) | instskip(SKIP_1) | instid1(VALU_DEP_3)
	v_add_f64 v[103:104], v[103:104], -v[101:102]
	v_add_f64 v[73:74], v[73:74], -v[101:102]
	v_add_f64 v[107:108], v[105:106], v[97:98]
	s_delay_alu instid0(VALU_DEP_3) | instskip(NEXT) | instid1(VALU_DEP_2)
	v_add_f64 v[99:100], v[99:100], -v[103:104]
	v_add_f64 v[101:102], v[107:108], -v[105:106]
	s_delay_alu instid0(VALU_DEP_2) | instskip(NEXT) | instid1(VALU_DEP_2)
	v_add_f64 v[73:74], v[73:74], v[99:100]
	v_add_f64 v[97:98], v[97:98], -v[101:102]
	s_delay_alu instid0(VALU_DEP_1) | instskip(NEXT) | instid1(VALU_DEP_1)
	v_add_f64 v[73:74], v[73:74], v[97:98]
	v_add_f64 v[73:74], v[107:108], v[73:74]
	s_delay_alu instid0(VALU_DEP_1) | instskip(NEXT) | instid1(VALU_DEP_2)
	v_cndmask_b32_e64 v73, v73, v71, s0
	v_cndmask_b32_e64 v74, v74, v72, s0
	v_cmp_ngt_f64_e64 s0, -1.0, v[71:72]
	s_delay_alu instid0(VALU_DEP_1) | instskip(SKIP_1) | instid1(VALU_DEP_1)
	v_cndmask_b32_e64 v74, 0x7ff80000, v74, s0
	v_cmp_nge_f64_e64 s0, -1.0, v[71:72]
	v_cndmask_b32_e64 v73, 0, v73, s0
	v_cmp_neq_f64_e64 s0, -1.0, v[71:72]
	s_delay_alu instid0(VALU_DEP_1) | instskip(NEXT) | instid1(VALU_DEP_1)
	v_cndmask_b32_e64 v74, 0xfff00000, v74, s0
	v_add_f64 v[71:72], v[69:70], v[73:74]
.LBB26_73:
	s_or_b32 exec_lo, exec_lo, s41
	s_delay_alu instid0(VALU_DEP_1)
	v_dual_mov_b32 v69, v71 :: v_dual_mov_b32 v70, v72
	v_dual_mov_b32 v73, v71 :: v_dual_mov_b32 v74, v72
.LBB26_74:
	s_or_b32 exec_lo, exec_lo, s40
	s_delay_alu instid0(VALU_DEP_1) | instskip(NEXT) | instid1(VALU_DEP_2)
	v_mov_b32_dpp v71, v73 row_shr:8 row_mask:0xf bank_mask:0xf
	v_mov_b32_dpp v72, v74 row_shr:8 row_mask:0xf bank_mask:0xf
	s_mov_b32 s40, exec_lo
	v_cmpx_lt_u32_e32 7, v75
	s_cbranch_execz .LBB26_78
; %bb.75:
	s_delay_alu instid0(VALU_DEP_2) | instskip(SKIP_3) | instid1(VALU_DEP_3)
	v_max_f64 v[73:74], v[71:72], v[71:72]
	v_max_f64 v[75:76], v[69:70], v[69:70]
	v_cmp_u_f64_e64 s0, v[71:72], v[71:72]
	v_cmp_u_f64_e64 s1, v[69:70], v[69:70]
	v_min_f64 v[97:98], v[73:74], v[75:76]
	v_max_f64 v[73:74], v[73:74], v[75:76]
	s_delay_alu instid0(VALU_DEP_2) | instskip(NEXT) | instid1(VALU_DEP_3)
	v_cndmask_b32_e64 v75, v97, v71, s0
	v_cndmask_b32_e64 v76, v98, v72, s0
	s_delay_alu instid0(VALU_DEP_3) | instskip(NEXT) | instid1(VALU_DEP_4)
	v_cndmask_b32_e64 v97, v74, v72, s0
	v_cndmask_b32_e64 v98, v73, v71, s0
	s_delay_alu instid0(VALU_DEP_4) | instskip(NEXT) | instid1(VALU_DEP_4)
	v_cndmask_b32_e64 v73, v75, v69, s1
	v_cndmask_b32_e64 v74, v76, v70, s1
	s_delay_alu instid0(VALU_DEP_4) | instskip(NEXT) | instid1(VALU_DEP_4)
	v_cndmask_b32_e64 v70, v97, v70, s1
	v_cndmask_b32_e64 v69, v98, v69, s1
	s_delay_alu instid0(VALU_DEP_3) | instskip(NEXT) | instid1(VALU_DEP_2)
	v_cmp_class_f64_e64 s1, v[73:74], 0x1f8
	v_cmp_neq_f64_e64 s0, v[73:74], v[69:70]
	s_delay_alu instid0(VALU_DEP_1) | instskip(NEXT) | instid1(SALU_CYCLE_1)
	s_or_b32 s0, s0, s1
	s_and_saveexec_b32 s41, s0
	s_cbranch_execz .LBB26_77
; %bb.76:
	v_add_f64 v[71:72], v[73:74], -v[69:70]
	s_mov_b32 s0, 0x652b82fe
	s_mov_b32 s1, 0x3ff71547
	s_mov_b32 s37, 0xbfe62e42
	s_mov_b32 s36, 0xfefa39ef
	s_mov_b32 s39, 0xbc7abc9e
	s_mov_b32 s38, 0x3b39803f
	s_mov_b32 s42, 0x6a5dcb37
	s_mov_b32 s43, 0x3e5ade15
	s_mov_b32 s44, 0xbf559e2b
	s_mov_b32 s45, 0x3fc3ab76
	s_delay_alu instid0(VALU_DEP_1) | instskip(SKIP_2) | instid1(VALU_DEP_1)
	v_mul_f64 v[73:74], v[71:72], s[0:1]
	s_mov_b32 s0, 0xfca7ab0c
	s_mov_b32 s1, 0x3e928af3
	v_rndne_f64_e32 v[73:74], v[73:74]
	s_delay_alu instid0(VALU_DEP_1) | instskip(SKIP_2) | instid1(VALU_DEP_2)
	v_fma_f64 v[75:76], v[73:74], s[36:37], v[71:72]
	v_cvt_i32_f64_e32 v99, v[73:74]
	s_mov_b32 s37, 0x3fe62e42
	v_fma_f64 v[75:76], v[73:74], s[38:39], v[75:76]
	s_mov_b32 s39, 0x3c7abc9e
	s_delay_alu instid0(VALU_DEP_1) | instskip(SKIP_4) | instid1(VALU_DEP_1)
	v_fma_f64 v[97:98], v[75:76], s[42:43], s[0:1]
	s_mov_b32 s0, 0x623fde64
	s_mov_b32 s1, 0x3ec71dee
	;; [unrolled: 1-line block ×4, first 2 shown]
	v_fma_f64 v[97:98], v[75:76], v[97:98], s[0:1]
	s_mov_b32 s0, 0x7c89e6b0
	s_mov_b32 s1, 0x3efa0199
	s_delay_alu instid0(VALU_DEP_1) | instid1(SALU_CYCLE_1)
	v_fma_f64 v[97:98], v[75:76], v[97:98], s[0:1]
	s_mov_b32 s0, 0x14761f6e
	s_mov_b32 s1, 0x3f2a01a0
	s_delay_alu instid0(VALU_DEP_1) | instid1(SALU_CYCLE_1)
	;; [unrolled: 4-line block ×7, first 2 shown]
	v_fma_f64 v[97:98], v[75:76], v[97:98], s[0:1]
	v_cmp_nlt_f64_e64 s0, 0x40900000, v[71:72]
	v_cmp_ngt_f64_e64 s1, 0xc090cc00, v[71:72]
	s_delay_alu instid0(VALU_DEP_3) | instskip(NEXT) | instid1(VALU_DEP_1)
	v_fma_f64 v[97:98], v[75:76], v[97:98], 1.0
	v_fma_f64 v[73:74], v[75:76], v[97:98], 1.0
	s_delay_alu instid0(VALU_DEP_1) | instskip(NEXT) | instid1(VALU_DEP_1)
	v_ldexp_f64 v[73:74], v[73:74], v99
	v_cndmask_b32_e64 v74, 0x7ff00000, v74, s0
	s_and_b32 s0, s1, s0
	s_delay_alu instid0(VALU_DEP_2) | instid1(SALU_CYCLE_1)
	v_cndmask_b32_e64 v71, 0, v73, s0
	s_mov_b32 s0, 0x55555555
	s_delay_alu instid0(VALU_DEP_2) | instskip(SKIP_1) | instid1(VALU_DEP_1)
	v_cndmask_b32_e64 v72, 0, v74, s1
	s_mov_b32 s1, 0x3fe55555
	v_add_f64 v[73:74], v[71:72], 1.0
	s_delay_alu instid0(VALU_DEP_1) | instskip(SKIP_2) | instid1(VALU_DEP_3)
	v_frexp_mant_f64_e32 v[75:76], v[73:74]
	v_frexp_exp_i32_f64_e32 v99, v[73:74]
	v_add_f64 v[97:98], v[73:74], -1.0
	v_cmp_gt_f64_e64 s0, s[0:1], v[75:76]
	s_delay_alu instid0(VALU_DEP_2) | instskip(SKIP_1) | instid1(VALU_DEP_3)
	v_add_f64 v[75:76], v[97:98], -v[73:74]
	v_add_f64 v[97:98], v[71:72], -v[97:98]
	v_subrev_co_ci_u32_e64 v115, s0, 0, v99, s0
	s_delay_alu instid0(VALU_DEP_3) | instskip(SKIP_1) | instid1(VALU_DEP_2)
	v_add_f64 v[75:76], v[75:76], 1.0
	s_mov_b32 s0, 0x55555780
	v_sub_nc_u32_e32 v101, 0, v115
	s_delay_alu instid0(VALU_DEP_1) | instskip(NEXT) | instid1(VALU_DEP_3)
	v_ldexp_f64 v[73:74], v[73:74], v101
	v_add_f64 v[75:76], v[97:98], v[75:76]
	s_delay_alu instid0(VALU_DEP_2) | instskip(SKIP_1) | instid1(VALU_DEP_3)
	v_add_f64 v[99:100], v[73:74], 1.0
	v_add_f64 v[105:106], v[73:74], -1.0
	v_ldexp_f64 v[75:76], v[75:76], v101
	s_delay_alu instid0(VALU_DEP_3) | instskip(NEXT) | instid1(VALU_DEP_3)
	v_add_f64 v[97:98], v[99:100], -1.0
	v_add_f64 v[107:108], v[105:106], 1.0
	s_delay_alu instid0(VALU_DEP_2) | instskip(NEXT) | instid1(VALU_DEP_2)
	v_add_f64 v[97:98], v[73:74], -v[97:98]
	v_add_f64 v[73:74], v[73:74], -v[107:108]
	s_delay_alu instid0(VALU_DEP_2) | instskip(NEXT) | instid1(VALU_DEP_2)
	v_add_f64 v[97:98], v[75:76], v[97:98]
	v_add_f64 v[73:74], v[75:76], v[73:74]
	s_delay_alu instid0(VALU_DEP_2) | instskip(NEXT) | instid1(VALU_DEP_2)
	v_add_f64 v[101:102], v[99:100], v[97:98]
	v_add_f64 v[107:108], v[105:106], v[73:74]
	s_delay_alu instid0(VALU_DEP_2) | instskip(SKIP_1) | instid1(VALU_DEP_2)
	v_rcp_f64_e32 v[103:104], v[101:102]
	v_add_f64 v[99:100], v[101:102], -v[99:100]
	v_add_f64 v[105:106], v[107:108], -v[105:106]
	s_delay_alu instid0(VALU_DEP_2) | instskip(SKIP_3) | instid1(VALU_DEP_2)
	v_add_f64 v[97:98], v[97:98], -v[99:100]
	s_waitcnt_depctr 0xfff
	v_fma_f64 v[109:110], -v[101:102], v[103:104], 1.0
	v_add_f64 v[73:74], v[73:74], -v[105:106]
	v_fma_f64 v[103:104], v[109:110], v[103:104], v[103:104]
	s_delay_alu instid0(VALU_DEP_1) | instskip(NEXT) | instid1(VALU_DEP_1)
	v_fma_f64 v[75:76], -v[101:102], v[103:104], 1.0
	v_fma_f64 v[75:76], v[75:76], v[103:104], v[103:104]
	s_delay_alu instid0(VALU_DEP_1) | instskip(NEXT) | instid1(VALU_DEP_1)
	v_mul_f64 v[103:104], v[107:108], v[75:76]
	v_mul_f64 v[109:110], v[101:102], v[103:104]
	s_delay_alu instid0(VALU_DEP_1) | instskip(NEXT) | instid1(VALU_DEP_1)
	v_fma_f64 v[99:100], v[103:104], v[101:102], -v[109:110]
	v_fma_f64 v[99:100], v[103:104], v[97:98], v[99:100]
	s_delay_alu instid0(VALU_DEP_1) | instskip(NEXT) | instid1(VALU_DEP_1)
	v_add_f64 v[111:112], v[109:110], v[99:100]
	v_add_f64 v[113:114], v[107:108], -v[111:112]
	v_add_f64 v[105:106], v[111:112], -v[109:110]
	s_delay_alu instid0(VALU_DEP_2) | instskip(NEXT) | instid1(VALU_DEP_2)
	v_add_f64 v[107:108], v[107:108], -v[113:114]
	v_add_f64 v[99:100], v[105:106], -v[99:100]
	s_delay_alu instid0(VALU_DEP_2) | instskip(NEXT) | instid1(VALU_DEP_1)
	v_add_f64 v[107:108], v[107:108], -v[111:112]
	v_add_f64 v[73:74], v[73:74], v[107:108]
	s_delay_alu instid0(VALU_DEP_1) | instskip(NEXT) | instid1(VALU_DEP_1)
	v_add_f64 v[73:74], v[99:100], v[73:74]
	v_add_f64 v[99:100], v[113:114], v[73:74]
	s_delay_alu instid0(VALU_DEP_1) | instskip(SKIP_1) | instid1(VALU_DEP_2)
	v_mul_f64 v[105:106], v[75:76], v[99:100]
	v_add_f64 v[111:112], v[113:114], -v[99:100]
	v_mul_f64 v[107:108], v[101:102], v[105:106]
	s_delay_alu instid0(VALU_DEP_2) | instskip(NEXT) | instid1(VALU_DEP_2)
	v_add_f64 v[73:74], v[73:74], v[111:112]
	v_fma_f64 v[101:102], v[105:106], v[101:102], -v[107:108]
	s_delay_alu instid0(VALU_DEP_1) | instskip(NEXT) | instid1(VALU_DEP_1)
	v_fma_f64 v[97:98], v[105:106], v[97:98], v[101:102]
	v_add_f64 v[101:102], v[107:108], v[97:98]
	s_delay_alu instid0(VALU_DEP_1) | instskip(SKIP_1) | instid1(VALU_DEP_2)
	v_add_f64 v[109:110], v[99:100], -v[101:102]
	v_add_f64 v[107:108], v[101:102], -v[107:108]
	;; [unrolled: 1-line block ×3, first 2 shown]
	s_delay_alu instid0(VALU_DEP_2) | instskip(NEXT) | instid1(VALU_DEP_2)
	v_add_f64 v[97:98], v[107:108], -v[97:98]
	v_add_f64 v[99:100], v[99:100], -v[101:102]
	s_delay_alu instid0(VALU_DEP_1) | instskip(SKIP_1) | instid1(VALU_DEP_2)
	v_add_f64 v[73:74], v[73:74], v[99:100]
	v_add_f64 v[99:100], v[103:104], v[105:106]
	;; [unrolled: 1-line block ×3, first 2 shown]
	s_delay_alu instid0(VALU_DEP_2) | instskip(NEXT) | instid1(VALU_DEP_2)
	v_add_f64 v[97:98], v[99:100], -v[103:104]
	v_add_f64 v[73:74], v[109:110], v[73:74]
	s_delay_alu instid0(VALU_DEP_2) | instskip(NEXT) | instid1(VALU_DEP_2)
	v_add_f64 v[97:98], v[105:106], -v[97:98]
	v_mul_f64 v[73:74], v[75:76], v[73:74]
	s_delay_alu instid0(VALU_DEP_1) | instskip(NEXT) | instid1(VALU_DEP_1)
	v_add_f64 v[73:74], v[97:98], v[73:74]
	v_add_f64 v[75:76], v[99:100], v[73:74]
	s_delay_alu instid0(VALU_DEP_1) | instskip(NEXT) | instid1(VALU_DEP_1)
	v_mul_f64 v[97:98], v[75:76], v[75:76]
	v_fma_f64 v[101:102], v[97:98], s[44:45], s[42:43]
	s_mov_b32 s42, 0xd7f4df2e
	s_mov_b32 s43, 0x3fc7474d
	v_mul_f64 v[103:104], v[75:76], v[97:98]
	s_delay_alu instid0(VALU_DEP_2)
	v_fma_f64 v[101:102], v[97:98], v[101:102], s[42:43]
	s_mov_b32 s42, 0x16291751
	s_mov_b32 s43, 0x3fcc71c0
	s_delay_alu instid0(VALU_DEP_1) | instid1(SALU_CYCLE_1)
	v_fma_f64 v[101:102], v[97:98], v[101:102], s[42:43]
	s_mov_b32 s42, 0x9b27acf1
	s_mov_b32 s43, 0x3fd24924
	s_delay_alu instid0(VALU_DEP_1) | instid1(SALU_CYCLE_1)
	;; [unrolled: 4-line block ×3, first 2 shown]
	v_fma_f64 v[101:102], v[97:98], v[101:102], s[42:43]
	s_delay_alu instid0(VALU_DEP_1) | instskip(SKIP_3) | instid1(VALU_DEP_4)
	v_fma_f64 v[97:98], v[97:98], v[101:102], s[0:1]
	v_ldexp_f64 v[101:102], v[75:76], 1
	v_add_f64 v[75:76], v[75:76], -v[99:100]
	v_cmp_eq_f64_e64 s0, 0x7ff00000, v[71:72]
	v_mul_f64 v[97:98], v[103:104], v[97:98]
	v_cvt_f64_i32_e32 v[103:104], v115
	s_delay_alu instid0(VALU_DEP_4) | instskip(NEXT) | instid1(VALU_DEP_3)
	v_add_f64 v[73:74], v[73:74], -v[75:76]
	v_add_f64 v[99:100], v[101:102], v[97:98]
	s_delay_alu instid0(VALU_DEP_3) | instskip(NEXT) | instid1(VALU_DEP_3)
	v_mul_f64 v[105:106], v[103:104], s[36:37]
	v_ldexp_f64 v[73:74], v[73:74], 1
	s_delay_alu instid0(VALU_DEP_3) | instskip(NEXT) | instid1(VALU_DEP_3)
	v_add_f64 v[75:76], v[99:100], -v[101:102]
	v_fma_f64 v[101:102], v[103:104], s[36:37], -v[105:106]
	s_delay_alu instid0(VALU_DEP_2) | instskip(NEXT) | instid1(VALU_DEP_2)
	v_add_f64 v[75:76], v[97:98], -v[75:76]
	v_fma_f64 v[97:98], v[103:104], s[38:39], v[101:102]
	s_delay_alu instid0(VALU_DEP_2) | instskip(NEXT) | instid1(VALU_DEP_2)
	v_add_f64 v[73:74], v[73:74], v[75:76]
	v_add_f64 v[75:76], v[105:106], v[97:98]
	s_delay_alu instid0(VALU_DEP_2) | instskip(NEXT) | instid1(VALU_DEP_2)
	v_add_f64 v[101:102], v[99:100], v[73:74]
	v_add_f64 v[105:106], v[75:76], -v[105:106]
	s_delay_alu instid0(VALU_DEP_2) | instskip(SKIP_1) | instid1(VALU_DEP_3)
	v_add_f64 v[103:104], v[75:76], v[101:102]
	v_add_f64 v[99:100], v[101:102], -v[99:100]
	v_add_f64 v[97:98], v[97:98], -v[105:106]
	s_delay_alu instid0(VALU_DEP_3) | instskip(NEXT) | instid1(VALU_DEP_3)
	v_add_f64 v[107:108], v[103:104], -v[75:76]
	v_add_f64 v[73:74], v[73:74], -v[99:100]
	s_delay_alu instid0(VALU_DEP_2) | instskip(SKIP_1) | instid1(VALU_DEP_3)
	v_add_f64 v[109:110], v[103:104], -v[107:108]
	v_add_f64 v[99:100], v[101:102], -v[107:108]
	v_add_f64 v[101:102], v[97:98], v[73:74]
	s_delay_alu instid0(VALU_DEP_3) | instskip(NEXT) | instid1(VALU_DEP_1)
	v_add_f64 v[75:76], v[75:76], -v[109:110]
	v_add_f64 v[75:76], v[99:100], v[75:76]
	s_delay_alu instid0(VALU_DEP_3) | instskip(NEXT) | instid1(VALU_DEP_2)
	v_add_f64 v[99:100], v[101:102], -v[97:98]
	v_add_f64 v[75:76], v[101:102], v[75:76]
	s_delay_alu instid0(VALU_DEP_2) | instskip(SKIP_1) | instid1(VALU_DEP_3)
	v_add_f64 v[101:102], v[101:102], -v[99:100]
	v_add_f64 v[73:74], v[73:74], -v[99:100]
	v_add_f64 v[105:106], v[103:104], v[75:76]
	s_delay_alu instid0(VALU_DEP_3) | instskip(NEXT) | instid1(VALU_DEP_2)
	v_add_f64 v[97:98], v[97:98], -v[101:102]
	v_add_f64 v[99:100], v[105:106], -v[103:104]
	s_delay_alu instid0(VALU_DEP_2) | instskip(NEXT) | instid1(VALU_DEP_2)
	v_add_f64 v[73:74], v[73:74], v[97:98]
	v_add_f64 v[75:76], v[75:76], -v[99:100]
	s_delay_alu instid0(VALU_DEP_1) | instskip(NEXT) | instid1(VALU_DEP_1)
	v_add_f64 v[73:74], v[73:74], v[75:76]
	v_add_f64 v[73:74], v[105:106], v[73:74]
	s_delay_alu instid0(VALU_DEP_1) | instskip(NEXT) | instid1(VALU_DEP_2)
	v_cndmask_b32_e64 v73, v73, v71, s0
	v_cndmask_b32_e64 v74, v74, v72, s0
	v_cmp_ngt_f64_e64 s0, -1.0, v[71:72]
	s_delay_alu instid0(VALU_DEP_1) | instskip(SKIP_1) | instid1(VALU_DEP_1)
	v_cndmask_b32_e64 v74, 0x7ff80000, v74, s0
	v_cmp_nge_f64_e64 s0, -1.0, v[71:72]
	v_cndmask_b32_e64 v73, 0, v73, s0
	v_cmp_neq_f64_e64 s0, -1.0, v[71:72]
	s_delay_alu instid0(VALU_DEP_1) | instskip(NEXT) | instid1(VALU_DEP_1)
	v_cndmask_b32_e64 v74, 0xfff00000, v74, s0
	v_add_f64 v[71:72], v[69:70], v[73:74]
.LBB26_77:
	s_or_b32 exec_lo, exec_lo, s41
	s_delay_alu instid0(VALU_DEP_1)
	v_dual_mov_b32 v73, v71 :: v_dual_mov_b32 v74, v72
	v_dual_mov_b32 v69, v71 :: v_dual_mov_b32 v70, v72
.LBB26_78:
	s_or_b32 exec_lo, exec_lo, s40
	ds_swizzle_b32 v71, v73 offset:swizzle(BROADCAST,32,15)
	ds_swizzle_b32 v72, v74 offset:swizzle(BROADCAST,32,15)
	v_and_b32_e32 v73, 16, v96
	s_mov_b32 s40, exec_lo
	s_delay_alu instid0(VALU_DEP_1)
	v_cmpx_ne_u32_e32 0, v73
	s_cbranch_execz .LBB26_82
; %bb.79:
	s_waitcnt lgkmcnt(0)
	v_max_f64 v[73:74], v[71:72], v[71:72]
	v_max_f64 v[75:76], v[69:70], v[69:70]
	v_cmp_u_f64_e64 s0, v[71:72], v[71:72]
	v_cmp_u_f64_e64 s1, v[69:70], v[69:70]
	s_delay_alu instid0(VALU_DEP_3) | instskip(SKIP_1) | instid1(VALU_DEP_2)
	v_min_f64 v[97:98], v[73:74], v[75:76]
	v_max_f64 v[73:74], v[73:74], v[75:76]
	v_cndmask_b32_e64 v75, v97, v71, s0
	s_delay_alu instid0(VALU_DEP_3) | instskip(NEXT) | instid1(VALU_DEP_3)
	v_cndmask_b32_e64 v76, v98, v72, s0
	v_cndmask_b32_e64 v97, v74, v72, s0
	s_delay_alu instid0(VALU_DEP_4) | instskip(NEXT) | instid1(VALU_DEP_4)
	v_cndmask_b32_e64 v98, v73, v71, s0
	v_cndmask_b32_e64 v73, v75, v69, s1
	s_delay_alu instid0(VALU_DEP_4) | instskip(NEXT) | instid1(VALU_DEP_4)
	v_cndmask_b32_e64 v74, v76, v70, s1
	v_cndmask_b32_e64 v70, v97, v70, s1
	s_delay_alu instid0(VALU_DEP_4) | instskip(NEXT) | instid1(VALU_DEP_3)
	v_cndmask_b32_e64 v69, v98, v69, s1
	v_cmp_class_f64_e64 s1, v[73:74], 0x1f8
	s_delay_alu instid0(VALU_DEP_2) | instskip(NEXT) | instid1(VALU_DEP_1)
	v_cmp_neq_f64_e64 s0, v[73:74], v[69:70]
	s_or_b32 s0, s0, s1
	s_delay_alu instid0(SALU_CYCLE_1)
	s_and_saveexec_b32 s41, s0
	s_cbranch_execz .LBB26_81
; %bb.80:
	v_add_f64 v[71:72], v[73:74], -v[69:70]
	s_mov_b32 s0, 0x652b82fe
	s_mov_b32 s1, 0x3ff71547
	;; [unrolled: 1-line block ×10, first 2 shown]
	s_delay_alu instid0(VALU_DEP_1) | instskip(SKIP_2) | instid1(VALU_DEP_1)
	v_mul_f64 v[73:74], v[71:72], s[0:1]
	s_mov_b32 s0, 0xfca7ab0c
	s_mov_b32 s1, 0x3e928af3
	v_rndne_f64_e32 v[73:74], v[73:74]
	s_delay_alu instid0(VALU_DEP_1) | instskip(SKIP_2) | instid1(VALU_DEP_2)
	v_fma_f64 v[75:76], v[73:74], s[36:37], v[71:72]
	v_cvt_i32_f64_e32 v99, v[73:74]
	s_mov_b32 s37, 0x3fe62e42
	v_fma_f64 v[75:76], v[73:74], s[38:39], v[75:76]
	s_mov_b32 s39, 0x3c7abc9e
	s_delay_alu instid0(VALU_DEP_1) | instskip(SKIP_4) | instid1(VALU_DEP_1)
	v_fma_f64 v[97:98], v[75:76], s[42:43], s[0:1]
	s_mov_b32 s0, 0x623fde64
	s_mov_b32 s1, 0x3ec71dee
	;; [unrolled: 1-line block ×4, first 2 shown]
	v_fma_f64 v[97:98], v[75:76], v[97:98], s[0:1]
	s_mov_b32 s0, 0x7c89e6b0
	s_mov_b32 s1, 0x3efa0199
	s_delay_alu instid0(VALU_DEP_1) | instid1(SALU_CYCLE_1)
	v_fma_f64 v[97:98], v[75:76], v[97:98], s[0:1]
	s_mov_b32 s0, 0x14761f6e
	s_mov_b32 s1, 0x3f2a01a0
	s_delay_alu instid0(VALU_DEP_1) | instid1(SALU_CYCLE_1)
	v_fma_f64 v[97:98], v[75:76], v[97:98], s[0:1]
	s_mov_b32 s0, 0x1852b7b0
	s_mov_b32 s1, 0x3f56c16c
	s_delay_alu instid0(VALU_DEP_1) | instid1(SALU_CYCLE_1)
	v_fma_f64 v[97:98], v[75:76], v[97:98], s[0:1]
	s_mov_b32 s0, 0x11122322
	s_mov_b32 s1, 0x3f811111
	s_delay_alu instid0(VALU_DEP_1) | instid1(SALU_CYCLE_1)
	v_fma_f64 v[97:98], v[75:76], v[97:98], s[0:1]
	s_mov_b32 s0, 0x555502a1
	s_mov_b32 s1, 0x3fa55555
	s_delay_alu instid0(VALU_DEP_1) | instid1(SALU_CYCLE_1)
	v_fma_f64 v[97:98], v[75:76], v[97:98], s[0:1]
	s_mov_b32 s0, 0x55555511
	s_mov_b32 s1, 0x3fc55555
	s_delay_alu instid0(VALU_DEP_1) | instid1(SALU_CYCLE_1)
	v_fma_f64 v[97:98], v[75:76], v[97:98], s[0:1]
	s_mov_b32 s0, 11
	s_mov_b32 s1, 0x3fe00000
	s_delay_alu instid0(VALU_DEP_1) | instid1(SALU_CYCLE_1)
	v_fma_f64 v[97:98], v[75:76], v[97:98], s[0:1]
	v_cmp_nlt_f64_e64 s0, 0x40900000, v[71:72]
	v_cmp_ngt_f64_e64 s1, 0xc090cc00, v[71:72]
	s_delay_alu instid0(VALU_DEP_3) | instskip(NEXT) | instid1(VALU_DEP_1)
	v_fma_f64 v[97:98], v[75:76], v[97:98], 1.0
	v_fma_f64 v[73:74], v[75:76], v[97:98], 1.0
	s_delay_alu instid0(VALU_DEP_1) | instskip(NEXT) | instid1(VALU_DEP_1)
	v_ldexp_f64 v[73:74], v[73:74], v99
	v_cndmask_b32_e64 v74, 0x7ff00000, v74, s0
	s_and_b32 s0, s1, s0
	s_delay_alu instid0(VALU_DEP_2) | instid1(SALU_CYCLE_1)
	v_cndmask_b32_e64 v71, 0, v73, s0
	s_mov_b32 s0, 0x55555555
	s_delay_alu instid0(VALU_DEP_2) | instskip(SKIP_1) | instid1(VALU_DEP_1)
	v_cndmask_b32_e64 v72, 0, v74, s1
	s_mov_b32 s1, 0x3fe55555
	v_add_f64 v[73:74], v[71:72], 1.0
	s_delay_alu instid0(VALU_DEP_1) | instskip(SKIP_2) | instid1(VALU_DEP_3)
	v_frexp_mant_f64_e32 v[75:76], v[73:74]
	v_frexp_exp_i32_f64_e32 v99, v[73:74]
	v_add_f64 v[97:98], v[73:74], -1.0
	v_cmp_gt_f64_e64 s0, s[0:1], v[75:76]
	s_delay_alu instid0(VALU_DEP_2) | instskip(SKIP_1) | instid1(VALU_DEP_3)
	v_add_f64 v[75:76], v[97:98], -v[73:74]
	v_add_f64 v[97:98], v[71:72], -v[97:98]
	v_subrev_co_ci_u32_e64 v115, s0, 0, v99, s0
	s_delay_alu instid0(VALU_DEP_3) | instskip(SKIP_1) | instid1(VALU_DEP_2)
	v_add_f64 v[75:76], v[75:76], 1.0
	s_mov_b32 s0, 0x55555780
	v_sub_nc_u32_e32 v101, 0, v115
	s_delay_alu instid0(VALU_DEP_1) | instskip(NEXT) | instid1(VALU_DEP_3)
	v_ldexp_f64 v[73:74], v[73:74], v101
	v_add_f64 v[75:76], v[97:98], v[75:76]
	s_delay_alu instid0(VALU_DEP_2) | instskip(SKIP_1) | instid1(VALU_DEP_3)
	v_add_f64 v[99:100], v[73:74], 1.0
	v_add_f64 v[105:106], v[73:74], -1.0
	v_ldexp_f64 v[75:76], v[75:76], v101
	s_delay_alu instid0(VALU_DEP_3) | instskip(NEXT) | instid1(VALU_DEP_3)
	v_add_f64 v[97:98], v[99:100], -1.0
	v_add_f64 v[107:108], v[105:106], 1.0
	s_delay_alu instid0(VALU_DEP_2) | instskip(NEXT) | instid1(VALU_DEP_2)
	v_add_f64 v[97:98], v[73:74], -v[97:98]
	v_add_f64 v[73:74], v[73:74], -v[107:108]
	s_delay_alu instid0(VALU_DEP_2) | instskip(NEXT) | instid1(VALU_DEP_2)
	v_add_f64 v[97:98], v[75:76], v[97:98]
	v_add_f64 v[73:74], v[75:76], v[73:74]
	s_delay_alu instid0(VALU_DEP_2) | instskip(NEXT) | instid1(VALU_DEP_2)
	v_add_f64 v[101:102], v[99:100], v[97:98]
	v_add_f64 v[107:108], v[105:106], v[73:74]
	s_delay_alu instid0(VALU_DEP_2) | instskip(SKIP_1) | instid1(VALU_DEP_2)
	v_rcp_f64_e32 v[103:104], v[101:102]
	v_add_f64 v[99:100], v[101:102], -v[99:100]
	v_add_f64 v[105:106], v[107:108], -v[105:106]
	s_delay_alu instid0(VALU_DEP_2) | instskip(SKIP_3) | instid1(VALU_DEP_2)
	v_add_f64 v[97:98], v[97:98], -v[99:100]
	s_waitcnt_depctr 0xfff
	v_fma_f64 v[109:110], -v[101:102], v[103:104], 1.0
	v_add_f64 v[73:74], v[73:74], -v[105:106]
	v_fma_f64 v[103:104], v[109:110], v[103:104], v[103:104]
	s_delay_alu instid0(VALU_DEP_1) | instskip(NEXT) | instid1(VALU_DEP_1)
	v_fma_f64 v[75:76], -v[101:102], v[103:104], 1.0
	v_fma_f64 v[75:76], v[75:76], v[103:104], v[103:104]
	s_delay_alu instid0(VALU_DEP_1) | instskip(NEXT) | instid1(VALU_DEP_1)
	v_mul_f64 v[103:104], v[107:108], v[75:76]
	v_mul_f64 v[109:110], v[101:102], v[103:104]
	s_delay_alu instid0(VALU_DEP_1) | instskip(NEXT) | instid1(VALU_DEP_1)
	v_fma_f64 v[99:100], v[103:104], v[101:102], -v[109:110]
	v_fma_f64 v[99:100], v[103:104], v[97:98], v[99:100]
	s_delay_alu instid0(VALU_DEP_1) | instskip(NEXT) | instid1(VALU_DEP_1)
	v_add_f64 v[111:112], v[109:110], v[99:100]
	v_add_f64 v[113:114], v[107:108], -v[111:112]
	v_add_f64 v[105:106], v[111:112], -v[109:110]
	s_delay_alu instid0(VALU_DEP_2) | instskip(NEXT) | instid1(VALU_DEP_2)
	v_add_f64 v[107:108], v[107:108], -v[113:114]
	v_add_f64 v[99:100], v[105:106], -v[99:100]
	s_delay_alu instid0(VALU_DEP_2) | instskip(NEXT) | instid1(VALU_DEP_1)
	v_add_f64 v[107:108], v[107:108], -v[111:112]
	v_add_f64 v[73:74], v[73:74], v[107:108]
	s_delay_alu instid0(VALU_DEP_1) | instskip(NEXT) | instid1(VALU_DEP_1)
	v_add_f64 v[73:74], v[99:100], v[73:74]
	v_add_f64 v[99:100], v[113:114], v[73:74]
	s_delay_alu instid0(VALU_DEP_1) | instskip(SKIP_1) | instid1(VALU_DEP_2)
	v_mul_f64 v[105:106], v[75:76], v[99:100]
	v_add_f64 v[111:112], v[113:114], -v[99:100]
	v_mul_f64 v[107:108], v[101:102], v[105:106]
	s_delay_alu instid0(VALU_DEP_2) | instskip(NEXT) | instid1(VALU_DEP_2)
	v_add_f64 v[73:74], v[73:74], v[111:112]
	v_fma_f64 v[101:102], v[105:106], v[101:102], -v[107:108]
	s_delay_alu instid0(VALU_DEP_1) | instskip(NEXT) | instid1(VALU_DEP_1)
	v_fma_f64 v[97:98], v[105:106], v[97:98], v[101:102]
	v_add_f64 v[101:102], v[107:108], v[97:98]
	s_delay_alu instid0(VALU_DEP_1) | instskip(SKIP_1) | instid1(VALU_DEP_2)
	v_add_f64 v[109:110], v[99:100], -v[101:102]
	v_add_f64 v[107:108], v[101:102], -v[107:108]
	;; [unrolled: 1-line block ×3, first 2 shown]
	s_delay_alu instid0(VALU_DEP_2) | instskip(NEXT) | instid1(VALU_DEP_2)
	v_add_f64 v[97:98], v[107:108], -v[97:98]
	v_add_f64 v[99:100], v[99:100], -v[101:102]
	s_delay_alu instid0(VALU_DEP_1) | instskip(SKIP_1) | instid1(VALU_DEP_2)
	v_add_f64 v[73:74], v[73:74], v[99:100]
	v_add_f64 v[99:100], v[103:104], v[105:106]
	;; [unrolled: 1-line block ×3, first 2 shown]
	s_delay_alu instid0(VALU_DEP_2) | instskip(NEXT) | instid1(VALU_DEP_2)
	v_add_f64 v[97:98], v[99:100], -v[103:104]
	v_add_f64 v[73:74], v[109:110], v[73:74]
	s_delay_alu instid0(VALU_DEP_2) | instskip(NEXT) | instid1(VALU_DEP_2)
	v_add_f64 v[97:98], v[105:106], -v[97:98]
	v_mul_f64 v[73:74], v[75:76], v[73:74]
	s_delay_alu instid0(VALU_DEP_1) | instskip(NEXT) | instid1(VALU_DEP_1)
	v_add_f64 v[73:74], v[97:98], v[73:74]
	v_add_f64 v[75:76], v[99:100], v[73:74]
	s_delay_alu instid0(VALU_DEP_1) | instskip(NEXT) | instid1(VALU_DEP_1)
	v_mul_f64 v[97:98], v[75:76], v[75:76]
	v_fma_f64 v[101:102], v[97:98], s[44:45], s[42:43]
	s_mov_b32 s42, 0xd7f4df2e
	s_mov_b32 s43, 0x3fc7474d
	v_mul_f64 v[103:104], v[75:76], v[97:98]
	s_delay_alu instid0(VALU_DEP_2)
	v_fma_f64 v[101:102], v[97:98], v[101:102], s[42:43]
	s_mov_b32 s42, 0x16291751
	s_mov_b32 s43, 0x3fcc71c0
	s_delay_alu instid0(VALU_DEP_1) | instid1(SALU_CYCLE_1)
	v_fma_f64 v[101:102], v[97:98], v[101:102], s[42:43]
	s_mov_b32 s42, 0x9b27acf1
	s_mov_b32 s43, 0x3fd24924
	s_delay_alu instid0(VALU_DEP_1) | instid1(SALU_CYCLE_1)
	;; [unrolled: 4-line block ×3, first 2 shown]
	v_fma_f64 v[101:102], v[97:98], v[101:102], s[42:43]
	s_delay_alu instid0(VALU_DEP_1) | instskip(SKIP_3) | instid1(VALU_DEP_4)
	v_fma_f64 v[97:98], v[97:98], v[101:102], s[0:1]
	v_ldexp_f64 v[101:102], v[75:76], 1
	v_add_f64 v[75:76], v[75:76], -v[99:100]
	v_cmp_eq_f64_e64 s0, 0x7ff00000, v[71:72]
	v_mul_f64 v[97:98], v[103:104], v[97:98]
	v_cvt_f64_i32_e32 v[103:104], v115
	s_delay_alu instid0(VALU_DEP_4) | instskip(NEXT) | instid1(VALU_DEP_3)
	v_add_f64 v[73:74], v[73:74], -v[75:76]
	v_add_f64 v[99:100], v[101:102], v[97:98]
	s_delay_alu instid0(VALU_DEP_3) | instskip(NEXT) | instid1(VALU_DEP_3)
	v_mul_f64 v[105:106], v[103:104], s[36:37]
	v_ldexp_f64 v[73:74], v[73:74], 1
	s_delay_alu instid0(VALU_DEP_3) | instskip(NEXT) | instid1(VALU_DEP_3)
	v_add_f64 v[75:76], v[99:100], -v[101:102]
	v_fma_f64 v[101:102], v[103:104], s[36:37], -v[105:106]
	s_delay_alu instid0(VALU_DEP_2) | instskip(NEXT) | instid1(VALU_DEP_2)
	v_add_f64 v[75:76], v[97:98], -v[75:76]
	v_fma_f64 v[97:98], v[103:104], s[38:39], v[101:102]
	s_delay_alu instid0(VALU_DEP_2) | instskip(NEXT) | instid1(VALU_DEP_2)
	v_add_f64 v[73:74], v[73:74], v[75:76]
	v_add_f64 v[75:76], v[105:106], v[97:98]
	s_delay_alu instid0(VALU_DEP_2) | instskip(NEXT) | instid1(VALU_DEP_2)
	v_add_f64 v[101:102], v[99:100], v[73:74]
	v_add_f64 v[105:106], v[75:76], -v[105:106]
	s_delay_alu instid0(VALU_DEP_2) | instskip(SKIP_1) | instid1(VALU_DEP_3)
	v_add_f64 v[103:104], v[75:76], v[101:102]
	v_add_f64 v[99:100], v[101:102], -v[99:100]
	v_add_f64 v[97:98], v[97:98], -v[105:106]
	s_delay_alu instid0(VALU_DEP_3) | instskip(NEXT) | instid1(VALU_DEP_3)
	v_add_f64 v[107:108], v[103:104], -v[75:76]
	v_add_f64 v[73:74], v[73:74], -v[99:100]
	s_delay_alu instid0(VALU_DEP_2) | instskip(SKIP_1) | instid1(VALU_DEP_3)
	v_add_f64 v[109:110], v[103:104], -v[107:108]
	v_add_f64 v[99:100], v[101:102], -v[107:108]
	v_add_f64 v[101:102], v[97:98], v[73:74]
	s_delay_alu instid0(VALU_DEP_3) | instskip(NEXT) | instid1(VALU_DEP_1)
	v_add_f64 v[75:76], v[75:76], -v[109:110]
	v_add_f64 v[75:76], v[99:100], v[75:76]
	s_delay_alu instid0(VALU_DEP_3) | instskip(NEXT) | instid1(VALU_DEP_2)
	v_add_f64 v[99:100], v[101:102], -v[97:98]
	v_add_f64 v[75:76], v[101:102], v[75:76]
	s_delay_alu instid0(VALU_DEP_2) | instskip(SKIP_1) | instid1(VALU_DEP_3)
	v_add_f64 v[101:102], v[101:102], -v[99:100]
	v_add_f64 v[73:74], v[73:74], -v[99:100]
	v_add_f64 v[105:106], v[103:104], v[75:76]
	s_delay_alu instid0(VALU_DEP_3) | instskip(NEXT) | instid1(VALU_DEP_2)
	v_add_f64 v[97:98], v[97:98], -v[101:102]
	v_add_f64 v[99:100], v[105:106], -v[103:104]
	s_delay_alu instid0(VALU_DEP_2) | instskip(NEXT) | instid1(VALU_DEP_2)
	v_add_f64 v[73:74], v[73:74], v[97:98]
	v_add_f64 v[75:76], v[75:76], -v[99:100]
	s_delay_alu instid0(VALU_DEP_1) | instskip(NEXT) | instid1(VALU_DEP_1)
	v_add_f64 v[73:74], v[73:74], v[75:76]
	v_add_f64 v[73:74], v[105:106], v[73:74]
	s_delay_alu instid0(VALU_DEP_1) | instskip(NEXT) | instid1(VALU_DEP_2)
	v_cndmask_b32_e64 v73, v73, v71, s0
	v_cndmask_b32_e64 v74, v74, v72, s0
	v_cmp_ngt_f64_e64 s0, -1.0, v[71:72]
	s_delay_alu instid0(VALU_DEP_1) | instskip(SKIP_1) | instid1(VALU_DEP_1)
	v_cndmask_b32_e64 v74, 0x7ff80000, v74, s0
	v_cmp_nge_f64_e64 s0, -1.0, v[71:72]
	v_cndmask_b32_e64 v73, 0, v73, s0
	v_cmp_neq_f64_e64 s0, -1.0, v[71:72]
	s_delay_alu instid0(VALU_DEP_1) | instskip(NEXT) | instid1(VALU_DEP_1)
	v_cndmask_b32_e64 v74, 0xfff00000, v74, s0
	v_add_f64 v[71:72], v[69:70], v[73:74]
.LBB26_81:
	s_or_b32 exec_lo, exec_lo, s41
	s_delay_alu instid0(VALU_DEP_1)
	v_dual_mov_b32 v69, v71 :: v_dual_mov_b32 v70, v72
.LBB26_82:
	s_or_b32 exec_lo, exec_lo, s40
	s_waitcnt lgkmcnt(0)
	v_or_b32_e32 v71, 31, v0
	s_mov_b32 s1, exec_lo
	s_delay_alu instid0(VALU_DEP_1)
	v_cmpx_eq_u32_e64 v71, v0
	s_cbranch_execz .LBB26_84
; %bb.83:
	ds_store_b64 v95, v[69:70]
.LBB26_84:
	s_or_b32 exec_lo, exec_lo, s1
	s_delay_alu instid0(SALU_CYCLE_1)
	s_mov_b32 s40, exec_lo
	s_waitcnt lgkmcnt(0)
	s_barrier
	buffer_gl0_inv
	v_cmpx_gt_u32_e32 8, v0
	s_cbranch_execz .LBB26_98
; %bb.85:
	ds_load_b64 v[71:72], v77
	v_and_b32_e32 v97, 7, v96
	s_mov_b32 s41, exec_lo
	s_waitcnt lgkmcnt(0)
	v_mov_b32_e32 v76, v72
	v_mov_b32_dpp v73, v71 row_shr:1 row_mask:0xf bank_mask:0xf
	v_mov_b32_dpp v74, v72 row_shr:1 row_mask:0xf bank_mask:0xf
	v_mov_b32_e32 v75, v71
	v_cmpx_ne_u32_e32 0, v97
	s_cbranch_execz .LBB26_89
; %bb.86:
	s_delay_alu instid0(VALU_DEP_3) | instskip(SKIP_3) | instid1(VALU_DEP_3)
	v_max_f64 v[75:76], v[73:74], v[73:74]
	v_max_f64 v[98:99], v[71:72], v[71:72]
	v_cmp_u_f64_e64 s0, v[73:74], v[73:74]
	v_cmp_u_f64_e64 s1, v[71:72], v[71:72]
	v_min_f64 v[100:101], v[75:76], v[98:99]
	v_max_f64 v[75:76], v[75:76], v[98:99]
	s_delay_alu instid0(VALU_DEP_2) | instskip(NEXT) | instid1(VALU_DEP_3)
	v_cndmask_b32_e64 v98, v100, v73, s0
	v_cndmask_b32_e64 v99, v101, v74, s0
	s_delay_alu instid0(VALU_DEP_3) | instskip(NEXT) | instid1(VALU_DEP_4)
	v_cndmask_b32_e64 v100, v76, v74, s0
	v_cndmask_b32_e64 v101, v75, v73, s0
	s_delay_alu instid0(VALU_DEP_4) | instskip(NEXT) | instid1(VALU_DEP_4)
	v_cndmask_b32_e64 v75, v98, v71, s1
	v_cndmask_b32_e64 v76, v99, v72, s1
	s_delay_alu instid0(VALU_DEP_4) | instskip(NEXT) | instid1(VALU_DEP_4)
	v_cndmask_b32_e64 v72, v100, v72, s1
	v_cndmask_b32_e64 v71, v101, v71, s1
	s_delay_alu instid0(VALU_DEP_3) | instskip(NEXT) | instid1(VALU_DEP_2)
	v_cmp_class_f64_e64 s1, v[75:76], 0x1f8
	v_cmp_neq_f64_e64 s0, v[75:76], v[71:72]
	s_delay_alu instid0(VALU_DEP_1) | instskip(NEXT) | instid1(SALU_CYCLE_1)
	s_or_b32 s0, s0, s1
	s_and_saveexec_b32 s42, s0
	s_cbranch_execz .LBB26_88
; %bb.87:
	v_add_f64 v[73:74], v[75:76], -v[71:72]
	s_mov_b32 s0, 0x652b82fe
	s_mov_b32 s1, 0x3ff71547
	;; [unrolled: 1-line block ×10, first 2 shown]
	s_delay_alu instid0(VALU_DEP_1) | instskip(SKIP_2) | instid1(VALU_DEP_1)
	v_mul_f64 v[75:76], v[73:74], s[0:1]
	s_mov_b32 s0, 0xfca7ab0c
	s_mov_b32 s1, 0x3e928af3
	v_rndne_f64_e32 v[75:76], v[75:76]
	s_delay_alu instid0(VALU_DEP_1) | instskip(SKIP_2) | instid1(VALU_DEP_2)
	v_fma_f64 v[98:99], v[75:76], s[36:37], v[73:74]
	v_cvt_i32_f64_e32 v102, v[75:76]
	s_mov_b32 s37, 0x3fe62e42
	v_fma_f64 v[98:99], v[75:76], s[38:39], v[98:99]
	s_mov_b32 s39, 0x3c7abc9e
	s_delay_alu instid0(VALU_DEP_1) | instskip(SKIP_4) | instid1(VALU_DEP_1)
	v_fma_f64 v[100:101], v[98:99], s[44:45], s[0:1]
	s_mov_b32 s0, 0x623fde64
	s_mov_b32 s1, 0x3ec71dee
	;; [unrolled: 1-line block ×4, first 2 shown]
	v_fma_f64 v[100:101], v[98:99], v[100:101], s[0:1]
	s_mov_b32 s0, 0x7c89e6b0
	s_mov_b32 s1, 0x3efa0199
	s_delay_alu instid0(VALU_DEP_1) | instid1(SALU_CYCLE_1)
	v_fma_f64 v[100:101], v[98:99], v[100:101], s[0:1]
	s_mov_b32 s0, 0x14761f6e
	s_mov_b32 s1, 0x3f2a01a0
	s_delay_alu instid0(VALU_DEP_1) | instid1(SALU_CYCLE_1)
	;; [unrolled: 4-line block ×7, first 2 shown]
	v_fma_f64 v[100:101], v[98:99], v[100:101], s[0:1]
	v_cmp_nlt_f64_e64 s0, 0x40900000, v[73:74]
	v_cmp_ngt_f64_e64 s1, 0xc090cc00, v[73:74]
	s_delay_alu instid0(VALU_DEP_3) | instskip(NEXT) | instid1(VALU_DEP_1)
	v_fma_f64 v[100:101], v[98:99], v[100:101], 1.0
	v_fma_f64 v[75:76], v[98:99], v[100:101], 1.0
	s_delay_alu instid0(VALU_DEP_1) | instskip(NEXT) | instid1(VALU_DEP_1)
	v_ldexp_f64 v[75:76], v[75:76], v102
	v_cndmask_b32_e64 v76, 0x7ff00000, v76, s0
	s_and_b32 s0, s1, s0
	s_delay_alu instid0(VALU_DEP_2) | instid1(SALU_CYCLE_1)
	v_cndmask_b32_e64 v73, 0, v75, s0
	s_mov_b32 s0, 0x55555555
	s_delay_alu instid0(VALU_DEP_2) | instskip(SKIP_1) | instid1(VALU_DEP_1)
	v_cndmask_b32_e64 v74, 0, v76, s1
	s_mov_b32 s1, 0x3fe55555
	v_add_f64 v[75:76], v[73:74], 1.0
	s_delay_alu instid0(VALU_DEP_1) | instskip(SKIP_2) | instid1(VALU_DEP_3)
	v_frexp_mant_f64_e32 v[98:99], v[75:76]
	v_frexp_exp_i32_f64_e32 v102, v[75:76]
	v_add_f64 v[100:101], v[75:76], -1.0
	v_cmp_gt_f64_e64 s0, s[0:1], v[98:99]
	s_delay_alu instid0(VALU_DEP_2) | instskip(SKIP_1) | instid1(VALU_DEP_3)
	v_add_f64 v[98:99], v[100:101], -v[75:76]
	v_add_f64 v[100:101], v[73:74], -v[100:101]
	v_subrev_co_ci_u32_e64 v118, s0, 0, v102, s0
	s_delay_alu instid0(VALU_DEP_3) | instskip(SKIP_1) | instid1(VALU_DEP_2)
	v_add_f64 v[98:99], v[98:99], 1.0
	s_mov_b32 s0, 0x55555780
	v_sub_nc_u32_e32 v104, 0, v118
	s_delay_alu instid0(VALU_DEP_1) | instskip(NEXT) | instid1(VALU_DEP_3)
	v_ldexp_f64 v[75:76], v[75:76], v104
	v_add_f64 v[98:99], v[100:101], v[98:99]
	s_delay_alu instid0(VALU_DEP_2) | instskip(SKIP_1) | instid1(VALU_DEP_3)
	v_add_f64 v[102:103], v[75:76], 1.0
	v_add_f64 v[108:109], v[75:76], -1.0
	v_ldexp_f64 v[98:99], v[98:99], v104
	s_delay_alu instid0(VALU_DEP_3) | instskip(NEXT) | instid1(VALU_DEP_3)
	v_add_f64 v[100:101], v[102:103], -1.0
	v_add_f64 v[110:111], v[108:109], 1.0
	s_delay_alu instid0(VALU_DEP_2) | instskip(NEXT) | instid1(VALU_DEP_2)
	v_add_f64 v[100:101], v[75:76], -v[100:101]
	v_add_f64 v[75:76], v[75:76], -v[110:111]
	s_delay_alu instid0(VALU_DEP_2) | instskip(NEXT) | instid1(VALU_DEP_2)
	v_add_f64 v[100:101], v[98:99], v[100:101]
	v_add_f64 v[75:76], v[98:99], v[75:76]
	s_delay_alu instid0(VALU_DEP_2) | instskip(NEXT) | instid1(VALU_DEP_2)
	v_add_f64 v[104:105], v[102:103], v[100:101]
	v_add_f64 v[110:111], v[108:109], v[75:76]
	s_delay_alu instid0(VALU_DEP_2) | instskip(SKIP_1) | instid1(VALU_DEP_2)
	v_rcp_f64_e32 v[106:107], v[104:105]
	v_add_f64 v[102:103], v[104:105], -v[102:103]
	v_add_f64 v[108:109], v[110:111], -v[108:109]
	s_delay_alu instid0(VALU_DEP_2) | instskip(SKIP_3) | instid1(VALU_DEP_2)
	v_add_f64 v[100:101], v[100:101], -v[102:103]
	s_waitcnt_depctr 0xfff
	v_fma_f64 v[112:113], -v[104:105], v[106:107], 1.0
	v_add_f64 v[75:76], v[75:76], -v[108:109]
	v_fma_f64 v[106:107], v[112:113], v[106:107], v[106:107]
	s_delay_alu instid0(VALU_DEP_1) | instskip(NEXT) | instid1(VALU_DEP_1)
	v_fma_f64 v[98:99], -v[104:105], v[106:107], 1.0
	v_fma_f64 v[98:99], v[98:99], v[106:107], v[106:107]
	s_delay_alu instid0(VALU_DEP_1) | instskip(NEXT) | instid1(VALU_DEP_1)
	v_mul_f64 v[106:107], v[110:111], v[98:99]
	v_mul_f64 v[112:113], v[104:105], v[106:107]
	s_delay_alu instid0(VALU_DEP_1) | instskip(NEXT) | instid1(VALU_DEP_1)
	v_fma_f64 v[102:103], v[106:107], v[104:105], -v[112:113]
	v_fma_f64 v[102:103], v[106:107], v[100:101], v[102:103]
	s_delay_alu instid0(VALU_DEP_1) | instskip(NEXT) | instid1(VALU_DEP_1)
	v_add_f64 v[114:115], v[112:113], v[102:103]
	v_add_f64 v[116:117], v[110:111], -v[114:115]
	v_add_f64 v[108:109], v[114:115], -v[112:113]
	s_delay_alu instid0(VALU_DEP_2) | instskip(NEXT) | instid1(VALU_DEP_2)
	v_add_f64 v[110:111], v[110:111], -v[116:117]
	v_add_f64 v[102:103], v[108:109], -v[102:103]
	s_delay_alu instid0(VALU_DEP_2) | instskip(NEXT) | instid1(VALU_DEP_1)
	v_add_f64 v[110:111], v[110:111], -v[114:115]
	v_add_f64 v[75:76], v[75:76], v[110:111]
	s_delay_alu instid0(VALU_DEP_1) | instskip(NEXT) | instid1(VALU_DEP_1)
	v_add_f64 v[75:76], v[102:103], v[75:76]
	v_add_f64 v[102:103], v[116:117], v[75:76]
	s_delay_alu instid0(VALU_DEP_1) | instskip(SKIP_1) | instid1(VALU_DEP_2)
	v_mul_f64 v[108:109], v[98:99], v[102:103]
	v_add_f64 v[114:115], v[116:117], -v[102:103]
	v_mul_f64 v[110:111], v[104:105], v[108:109]
	s_delay_alu instid0(VALU_DEP_2) | instskip(NEXT) | instid1(VALU_DEP_2)
	v_add_f64 v[75:76], v[75:76], v[114:115]
	v_fma_f64 v[104:105], v[108:109], v[104:105], -v[110:111]
	s_delay_alu instid0(VALU_DEP_1) | instskip(NEXT) | instid1(VALU_DEP_1)
	v_fma_f64 v[100:101], v[108:109], v[100:101], v[104:105]
	v_add_f64 v[104:105], v[110:111], v[100:101]
	s_delay_alu instid0(VALU_DEP_1) | instskip(SKIP_1) | instid1(VALU_DEP_2)
	v_add_f64 v[112:113], v[102:103], -v[104:105]
	v_add_f64 v[110:111], v[104:105], -v[110:111]
	;; [unrolled: 1-line block ×3, first 2 shown]
	s_delay_alu instid0(VALU_DEP_2) | instskip(NEXT) | instid1(VALU_DEP_2)
	v_add_f64 v[100:101], v[110:111], -v[100:101]
	v_add_f64 v[102:103], v[102:103], -v[104:105]
	s_delay_alu instid0(VALU_DEP_1) | instskip(SKIP_1) | instid1(VALU_DEP_2)
	v_add_f64 v[75:76], v[75:76], v[102:103]
	v_add_f64 v[102:103], v[106:107], v[108:109]
	;; [unrolled: 1-line block ×3, first 2 shown]
	s_delay_alu instid0(VALU_DEP_2) | instskip(NEXT) | instid1(VALU_DEP_2)
	v_add_f64 v[100:101], v[102:103], -v[106:107]
	v_add_f64 v[75:76], v[112:113], v[75:76]
	s_delay_alu instid0(VALU_DEP_2) | instskip(NEXT) | instid1(VALU_DEP_2)
	v_add_f64 v[100:101], v[108:109], -v[100:101]
	v_mul_f64 v[75:76], v[98:99], v[75:76]
	s_delay_alu instid0(VALU_DEP_1) | instskip(NEXT) | instid1(VALU_DEP_1)
	v_add_f64 v[75:76], v[100:101], v[75:76]
	v_add_f64 v[98:99], v[102:103], v[75:76]
	s_delay_alu instid0(VALU_DEP_1) | instskip(NEXT) | instid1(VALU_DEP_1)
	v_mul_f64 v[100:101], v[98:99], v[98:99]
	v_fma_f64 v[104:105], v[100:101], s[46:47], s[44:45]
	s_mov_b32 s44, 0xd7f4df2e
	s_mov_b32 s45, 0x3fc7474d
	v_mul_f64 v[106:107], v[98:99], v[100:101]
	s_delay_alu instid0(VALU_DEP_2)
	v_fma_f64 v[104:105], v[100:101], v[104:105], s[44:45]
	s_mov_b32 s44, 0x16291751
	s_mov_b32 s45, 0x3fcc71c0
	s_delay_alu instid0(VALU_DEP_1) | instid1(SALU_CYCLE_1)
	v_fma_f64 v[104:105], v[100:101], v[104:105], s[44:45]
	s_mov_b32 s44, 0x9b27acf1
	s_mov_b32 s45, 0x3fd24924
	s_delay_alu instid0(VALU_DEP_1) | instid1(SALU_CYCLE_1)
	;; [unrolled: 4-line block ×3, first 2 shown]
	v_fma_f64 v[104:105], v[100:101], v[104:105], s[44:45]
	s_delay_alu instid0(VALU_DEP_1) | instskip(SKIP_3) | instid1(VALU_DEP_4)
	v_fma_f64 v[100:101], v[100:101], v[104:105], s[0:1]
	v_ldexp_f64 v[104:105], v[98:99], 1
	v_add_f64 v[98:99], v[98:99], -v[102:103]
	v_cmp_eq_f64_e64 s0, 0x7ff00000, v[73:74]
	v_mul_f64 v[100:101], v[106:107], v[100:101]
	v_cvt_f64_i32_e32 v[106:107], v118
	s_delay_alu instid0(VALU_DEP_4) | instskip(NEXT) | instid1(VALU_DEP_3)
	v_add_f64 v[75:76], v[75:76], -v[98:99]
	v_add_f64 v[102:103], v[104:105], v[100:101]
	s_delay_alu instid0(VALU_DEP_3) | instskip(NEXT) | instid1(VALU_DEP_3)
	v_mul_f64 v[108:109], v[106:107], s[36:37]
	v_ldexp_f64 v[75:76], v[75:76], 1
	s_delay_alu instid0(VALU_DEP_3) | instskip(NEXT) | instid1(VALU_DEP_3)
	v_add_f64 v[98:99], v[102:103], -v[104:105]
	v_fma_f64 v[104:105], v[106:107], s[36:37], -v[108:109]
	s_delay_alu instid0(VALU_DEP_2) | instskip(NEXT) | instid1(VALU_DEP_2)
	v_add_f64 v[98:99], v[100:101], -v[98:99]
	v_fma_f64 v[100:101], v[106:107], s[38:39], v[104:105]
	s_delay_alu instid0(VALU_DEP_2) | instskip(NEXT) | instid1(VALU_DEP_2)
	v_add_f64 v[75:76], v[75:76], v[98:99]
	v_add_f64 v[98:99], v[108:109], v[100:101]
	s_delay_alu instid0(VALU_DEP_2) | instskip(NEXT) | instid1(VALU_DEP_2)
	v_add_f64 v[104:105], v[102:103], v[75:76]
	v_add_f64 v[108:109], v[98:99], -v[108:109]
	s_delay_alu instid0(VALU_DEP_2) | instskip(SKIP_1) | instid1(VALU_DEP_3)
	v_add_f64 v[106:107], v[98:99], v[104:105]
	v_add_f64 v[102:103], v[104:105], -v[102:103]
	v_add_f64 v[100:101], v[100:101], -v[108:109]
	s_delay_alu instid0(VALU_DEP_3) | instskip(NEXT) | instid1(VALU_DEP_3)
	v_add_f64 v[110:111], v[106:107], -v[98:99]
	v_add_f64 v[75:76], v[75:76], -v[102:103]
	s_delay_alu instid0(VALU_DEP_2) | instskip(SKIP_1) | instid1(VALU_DEP_3)
	v_add_f64 v[112:113], v[106:107], -v[110:111]
	v_add_f64 v[102:103], v[104:105], -v[110:111]
	v_add_f64 v[104:105], v[100:101], v[75:76]
	s_delay_alu instid0(VALU_DEP_3) | instskip(NEXT) | instid1(VALU_DEP_1)
	v_add_f64 v[98:99], v[98:99], -v[112:113]
	v_add_f64 v[98:99], v[102:103], v[98:99]
	s_delay_alu instid0(VALU_DEP_3) | instskip(NEXT) | instid1(VALU_DEP_2)
	v_add_f64 v[102:103], v[104:105], -v[100:101]
	v_add_f64 v[98:99], v[104:105], v[98:99]
	s_delay_alu instid0(VALU_DEP_2) | instskip(SKIP_1) | instid1(VALU_DEP_3)
	v_add_f64 v[104:105], v[104:105], -v[102:103]
	v_add_f64 v[75:76], v[75:76], -v[102:103]
	v_add_f64 v[108:109], v[106:107], v[98:99]
	s_delay_alu instid0(VALU_DEP_3) | instskip(NEXT) | instid1(VALU_DEP_2)
	v_add_f64 v[100:101], v[100:101], -v[104:105]
	v_add_f64 v[102:103], v[108:109], -v[106:107]
	s_delay_alu instid0(VALU_DEP_2) | instskip(NEXT) | instid1(VALU_DEP_2)
	v_add_f64 v[75:76], v[75:76], v[100:101]
	v_add_f64 v[98:99], v[98:99], -v[102:103]
	s_delay_alu instid0(VALU_DEP_1) | instskip(NEXT) | instid1(VALU_DEP_1)
	v_add_f64 v[75:76], v[75:76], v[98:99]
	v_add_f64 v[75:76], v[108:109], v[75:76]
	s_delay_alu instid0(VALU_DEP_1) | instskip(NEXT) | instid1(VALU_DEP_2)
	v_cndmask_b32_e64 v75, v75, v73, s0
	v_cndmask_b32_e64 v76, v76, v74, s0
	v_cmp_ngt_f64_e64 s0, -1.0, v[73:74]
	s_delay_alu instid0(VALU_DEP_1) | instskip(SKIP_1) | instid1(VALU_DEP_1)
	v_cndmask_b32_e64 v76, 0x7ff80000, v76, s0
	v_cmp_nge_f64_e64 s0, -1.0, v[73:74]
	v_cndmask_b32_e64 v75, 0, v75, s0
	v_cmp_neq_f64_e64 s0, -1.0, v[73:74]
	s_delay_alu instid0(VALU_DEP_1) | instskip(NEXT) | instid1(VALU_DEP_1)
	v_cndmask_b32_e64 v76, 0xfff00000, v76, s0
	v_add_f64 v[73:74], v[71:72], v[75:76]
.LBB26_88:
	s_or_b32 exec_lo, exec_lo, s42
	s_delay_alu instid0(VALU_DEP_1)
	v_dual_mov_b32 v75, v73 :: v_dual_mov_b32 v76, v74
	v_dual_mov_b32 v71, v73 :: v_dual_mov_b32 v72, v74
.LBB26_89:
	s_or_b32 exec_lo, exec_lo, s41
	s_delay_alu instid0(VALU_DEP_2) | instskip(NEXT) | instid1(VALU_DEP_3)
	v_mov_b32_dpp v73, v75 row_shr:2 row_mask:0xf bank_mask:0xf
	v_mov_b32_dpp v74, v76 row_shr:2 row_mask:0xf bank_mask:0xf
	s_mov_b32 s41, exec_lo
	v_cmpx_lt_u32_e32 1, v97
	s_cbranch_execz .LBB26_93
; %bb.90:
	s_delay_alu instid0(VALU_DEP_2) | instskip(SKIP_3) | instid1(VALU_DEP_3)
	v_max_f64 v[75:76], v[73:74], v[73:74]
	v_max_f64 v[98:99], v[71:72], v[71:72]
	v_cmp_u_f64_e64 s0, v[73:74], v[73:74]
	v_cmp_u_f64_e64 s1, v[71:72], v[71:72]
	v_min_f64 v[100:101], v[75:76], v[98:99]
	v_max_f64 v[75:76], v[75:76], v[98:99]
	s_delay_alu instid0(VALU_DEP_2) | instskip(NEXT) | instid1(VALU_DEP_3)
	v_cndmask_b32_e64 v98, v100, v73, s0
	v_cndmask_b32_e64 v99, v101, v74, s0
	s_delay_alu instid0(VALU_DEP_3) | instskip(NEXT) | instid1(VALU_DEP_4)
	v_cndmask_b32_e64 v100, v76, v74, s0
	v_cndmask_b32_e64 v101, v75, v73, s0
	s_delay_alu instid0(VALU_DEP_4) | instskip(NEXT) | instid1(VALU_DEP_4)
	v_cndmask_b32_e64 v75, v98, v71, s1
	v_cndmask_b32_e64 v76, v99, v72, s1
	s_delay_alu instid0(VALU_DEP_4) | instskip(NEXT) | instid1(VALU_DEP_4)
	v_cndmask_b32_e64 v72, v100, v72, s1
	v_cndmask_b32_e64 v71, v101, v71, s1
	s_delay_alu instid0(VALU_DEP_3) | instskip(NEXT) | instid1(VALU_DEP_2)
	v_cmp_class_f64_e64 s1, v[75:76], 0x1f8
	v_cmp_neq_f64_e64 s0, v[75:76], v[71:72]
	s_delay_alu instid0(VALU_DEP_1) | instskip(NEXT) | instid1(SALU_CYCLE_1)
	s_or_b32 s0, s0, s1
	s_and_saveexec_b32 s42, s0
	s_cbranch_execz .LBB26_92
; %bb.91:
	v_add_f64 v[73:74], v[75:76], -v[71:72]
	s_mov_b32 s0, 0x652b82fe
	s_mov_b32 s1, 0x3ff71547
	;; [unrolled: 1-line block ×10, first 2 shown]
	s_delay_alu instid0(VALU_DEP_1) | instskip(SKIP_2) | instid1(VALU_DEP_1)
	v_mul_f64 v[75:76], v[73:74], s[0:1]
	s_mov_b32 s0, 0xfca7ab0c
	s_mov_b32 s1, 0x3e928af3
	v_rndne_f64_e32 v[75:76], v[75:76]
	s_delay_alu instid0(VALU_DEP_1) | instskip(SKIP_2) | instid1(VALU_DEP_2)
	v_fma_f64 v[98:99], v[75:76], s[36:37], v[73:74]
	v_cvt_i32_f64_e32 v102, v[75:76]
	s_mov_b32 s37, 0x3fe62e42
	v_fma_f64 v[98:99], v[75:76], s[38:39], v[98:99]
	s_mov_b32 s39, 0x3c7abc9e
	s_delay_alu instid0(VALU_DEP_1) | instskip(SKIP_4) | instid1(VALU_DEP_1)
	v_fma_f64 v[100:101], v[98:99], s[44:45], s[0:1]
	s_mov_b32 s0, 0x623fde64
	s_mov_b32 s1, 0x3ec71dee
	;; [unrolled: 1-line block ×4, first 2 shown]
	v_fma_f64 v[100:101], v[98:99], v[100:101], s[0:1]
	s_mov_b32 s0, 0x7c89e6b0
	s_mov_b32 s1, 0x3efa0199
	s_delay_alu instid0(VALU_DEP_1) | instid1(SALU_CYCLE_1)
	v_fma_f64 v[100:101], v[98:99], v[100:101], s[0:1]
	s_mov_b32 s0, 0x14761f6e
	s_mov_b32 s1, 0x3f2a01a0
	s_delay_alu instid0(VALU_DEP_1) | instid1(SALU_CYCLE_1)
	;; [unrolled: 4-line block ×7, first 2 shown]
	v_fma_f64 v[100:101], v[98:99], v[100:101], s[0:1]
	v_cmp_nlt_f64_e64 s0, 0x40900000, v[73:74]
	v_cmp_ngt_f64_e64 s1, 0xc090cc00, v[73:74]
	s_delay_alu instid0(VALU_DEP_3) | instskip(NEXT) | instid1(VALU_DEP_1)
	v_fma_f64 v[100:101], v[98:99], v[100:101], 1.0
	v_fma_f64 v[75:76], v[98:99], v[100:101], 1.0
	s_delay_alu instid0(VALU_DEP_1) | instskip(NEXT) | instid1(VALU_DEP_1)
	v_ldexp_f64 v[75:76], v[75:76], v102
	v_cndmask_b32_e64 v76, 0x7ff00000, v76, s0
	s_and_b32 s0, s1, s0
	s_delay_alu instid0(VALU_DEP_2) | instid1(SALU_CYCLE_1)
	v_cndmask_b32_e64 v73, 0, v75, s0
	s_mov_b32 s0, 0x55555555
	s_delay_alu instid0(VALU_DEP_2) | instskip(SKIP_1) | instid1(VALU_DEP_1)
	v_cndmask_b32_e64 v74, 0, v76, s1
	s_mov_b32 s1, 0x3fe55555
	v_add_f64 v[75:76], v[73:74], 1.0
	s_delay_alu instid0(VALU_DEP_1) | instskip(SKIP_2) | instid1(VALU_DEP_3)
	v_frexp_mant_f64_e32 v[98:99], v[75:76]
	v_frexp_exp_i32_f64_e32 v102, v[75:76]
	v_add_f64 v[100:101], v[75:76], -1.0
	v_cmp_gt_f64_e64 s0, s[0:1], v[98:99]
	s_delay_alu instid0(VALU_DEP_2) | instskip(SKIP_1) | instid1(VALU_DEP_3)
	v_add_f64 v[98:99], v[100:101], -v[75:76]
	v_add_f64 v[100:101], v[73:74], -v[100:101]
	v_subrev_co_ci_u32_e64 v118, s0, 0, v102, s0
	s_delay_alu instid0(VALU_DEP_3) | instskip(SKIP_1) | instid1(VALU_DEP_2)
	v_add_f64 v[98:99], v[98:99], 1.0
	s_mov_b32 s0, 0x55555780
	v_sub_nc_u32_e32 v104, 0, v118
	s_delay_alu instid0(VALU_DEP_1) | instskip(NEXT) | instid1(VALU_DEP_3)
	v_ldexp_f64 v[75:76], v[75:76], v104
	v_add_f64 v[98:99], v[100:101], v[98:99]
	s_delay_alu instid0(VALU_DEP_2) | instskip(SKIP_1) | instid1(VALU_DEP_3)
	v_add_f64 v[102:103], v[75:76], 1.0
	v_add_f64 v[108:109], v[75:76], -1.0
	v_ldexp_f64 v[98:99], v[98:99], v104
	s_delay_alu instid0(VALU_DEP_3) | instskip(NEXT) | instid1(VALU_DEP_3)
	v_add_f64 v[100:101], v[102:103], -1.0
	v_add_f64 v[110:111], v[108:109], 1.0
	s_delay_alu instid0(VALU_DEP_2) | instskip(NEXT) | instid1(VALU_DEP_2)
	v_add_f64 v[100:101], v[75:76], -v[100:101]
	v_add_f64 v[75:76], v[75:76], -v[110:111]
	s_delay_alu instid0(VALU_DEP_2) | instskip(NEXT) | instid1(VALU_DEP_2)
	v_add_f64 v[100:101], v[98:99], v[100:101]
	v_add_f64 v[75:76], v[98:99], v[75:76]
	s_delay_alu instid0(VALU_DEP_2) | instskip(NEXT) | instid1(VALU_DEP_2)
	v_add_f64 v[104:105], v[102:103], v[100:101]
	v_add_f64 v[110:111], v[108:109], v[75:76]
	s_delay_alu instid0(VALU_DEP_2) | instskip(SKIP_1) | instid1(VALU_DEP_2)
	v_rcp_f64_e32 v[106:107], v[104:105]
	v_add_f64 v[102:103], v[104:105], -v[102:103]
	v_add_f64 v[108:109], v[110:111], -v[108:109]
	s_delay_alu instid0(VALU_DEP_2) | instskip(SKIP_3) | instid1(VALU_DEP_2)
	v_add_f64 v[100:101], v[100:101], -v[102:103]
	s_waitcnt_depctr 0xfff
	v_fma_f64 v[112:113], -v[104:105], v[106:107], 1.0
	v_add_f64 v[75:76], v[75:76], -v[108:109]
	v_fma_f64 v[106:107], v[112:113], v[106:107], v[106:107]
	s_delay_alu instid0(VALU_DEP_1) | instskip(NEXT) | instid1(VALU_DEP_1)
	v_fma_f64 v[98:99], -v[104:105], v[106:107], 1.0
	v_fma_f64 v[98:99], v[98:99], v[106:107], v[106:107]
	s_delay_alu instid0(VALU_DEP_1) | instskip(NEXT) | instid1(VALU_DEP_1)
	v_mul_f64 v[106:107], v[110:111], v[98:99]
	v_mul_f64 v[112:113], v[104:105], v[106:107]
	s_delay_alu instid0(VALU_DEP_1) | instskip(NEXT) | instid1(VALU_DEP_1)
	v_fma_f64 v[102:103], v[106:107], v[104:105], -v[112:113]
	v_fma_f64 v[102:103], v[106:107], v[100:101], v[102:103]
	s_delay_alu instid0(VALU_DEP_1) | instskip(NEXT) | instid1(VALU_DEP_1)
	v_add_f64 v[114:115], v[112:113], v[102:103]
	v_add_f64 v[116:117], v[110:111], -v[114:115]
	v_add_f64 v[108:109], v[114:115], -v[112:113]
	s_delay_alu instid0(VALU_DEP_2) | instskip(NEXT) | instid1(VALU_DEP_2)
	v_add_f64 v[110:111], v[110:111], -v[116:117]
	v_add_f64 v[102:103], v[108:109], -v[102:103]
	s_delay_alu instid0(VALU_DEP_2) | instskip(NEXT) | instid1(VALU_DEP_1)
	v_add_f64 v[110:111], v[110:111], -v[114:115]
	v_add_f64 v[75:76], v[75:76], v[110:111]
	s_delay_alu instid0(VALU_DEP_1) | instskip(NEXT) | instid1(VALU_DEP_1)
	v_add_f64 v[75:76], v[102:103], v[75:76]
	v_add_f64 v[102:103], v[116:117], v[75:76]
	s_delay_alu instid0(VALU_DEP_1) | instskip(SKIP_1) | instid1(VALU_DEP_2)
	v_mul_f64 v[108:109], v[98:99], v[102:103]
	v_add_f64 v[114:115], v[116:117], -v[102:103]
	v_mul_f64 v[110:111], v[104:105], v[108:109]
	s_delay_alu instid0(VALU_DEP_2) | instskip(NEXT) | instid1(VALU_DEP_2)
	v_add_f64 v[75:76], v[75:76], v[114:115]
	v_fma_f64 v[104:105], v[108:109], v[104:105], -v[110:111]
	s_delay_alu instid0(VALU_DEP_1) | instskip(NEXT) | instid1(VALU_DEP_1)
	v_fma_f64 v[100:101], v[108:109], v[100:101], v[104:105]
	v_add_f64 v[104:105], v[110:111], v[100:101]
	s_delay_alu instid0(VALU_DEP_1) | instskip(SKIP_1) | instid1(VALU_DEP_2)
	v_add_f64 v[112:113], v[102:103], -v[104:105]
	v_add_f64 v[110:111], v[104:105], -v[110:111]
	;; [unrolled: 1-line block ×3, first 2 shown]
	s_delay_alu instid0(VALU_DEP_2) | instskip(NEXT) | instid1(VALU_DEP_2)
	v_add_f64 v[100:101], v[110:111], -v[100:101]
	v_add_f64 v[102:103], v[102:103], -v[104:105]
	s_delay_alu instid0(VALU_DEP_1) | instskip(SKIP_1) | instid1(VALU_DEP_2)
	v_add_f64 v[75:76], v[75:76], v[102:103]
	v_add_f64 v[102:103], v[106:107], v[108:109]
	;; [unrolled: 1-line block ×3, first 2 shown]
	s_delay_alu instid0(VALU_DEP_2) | instskip(NEXT) | instid1(VALU_DEP_2)
	v_add_f64 v[100:101], v[102:103], -v[106:107]
	v_add_f64 v[75:76], v[112:113], v[75:76]
	s_delay_alu instid0(VALU_DEP_2) | instskip(NEXT) | instid1(VALU_DEP_2)
	v_add_f64 v[100:101], v[108:109], -v[100:101]
	v_mul_f64 v[75:76], v[98:99], v[75:76]
	s_delay_alu instid0(VALU_DEP_1) | instskip(NEXT) | instid1(VALU_DEP_1)
	v_add_f64 v[75:76], v[100:101], v[75:76]
	v_add_f64 v[98:99], v[102:103], v[75:76]
	s_delay_alu instid0(VALU_DEP_1) | instskip(NEXT) | instid1(VALU_DEP_1)
	v_mul_f64 v[100:101], v[98:99], v[98:99]
	v_fma_f64 v[104:105], v[100:101], s[46:47], s[44:45]
	s_mov_b32 s44, 0xd7f4df2e
	s_mov_b32 s45, 0x3fc7474d
	v_mul_f64 v[106:107], v[98:99], v[100:101]
	s_delay_alu instid0(VALU_DEP_2)
	v_fma_f64 v[104:105], v[100:101], v[104:105], s[44:45]
	s_mov_b32 s44, 0x16291751
	s_mov_b32 s45, 0x3fcc71c0
	s_delay_alu instid0(VALU_DEP_1) | instid1(SALU_CYCLE_1)
	v_fma_f64 v[104:105], v[100:101], v[104:105], s[44:45]
	s_mov_b32 s44, 0x9b27acf1
	s_mov_b32 s45, 0x3fd24924
	s_delay_alu instid0(VALU_DEP_1) | instid1(SALU_CYCLE_1)
	;; [unrolled: 4-line block ×3, first 2 shown]
	v_fma_f64 v[104:105], v[100:101], v[104:105], s[44:45]
	s_delay_alu instid0(VALU_DEP_1) | instskip(SKIP_3) | instid1(VALU_DEP_4)
	v_fma_f64 v[100:101], v[100:101], v[104:105], s[0:1]
	v_ldexp_f64 v[104:105], v[98:99], 1
	v_add_f64 v[98:99], v[98:99], -v[102:103]
	v_cmp_eq_f64_e64 s0, 0x7ff00000, v[73:74]
	v_mul_f64 v[100:101], v[106:107], v[100:101]
	v_cvt_f64_i32_e32 v[106:107], v118
	s_delay_alu instid0(VALU_DEP_4) | instskip(NEXT) | instid1(VALU_DEP_3)
	v_add_f64 v[75:76], v[75:76], -v[98:99]
	v_add_f64 v[102:103], v[104:105], v[100:101]
	s_delay_alu instid0(VALU_DEP_3) | instskip(NEXT) | instid1(VALU_DEP_3)
	v_mul_f64 v[108:109], v[106:107], s[36:37]
	v_ldexp_f64 v[75:76], v[75:76], 1
	s_delay_alu instid0(VALU_DEP_3) | instskip(NEXT) | instid1(VALU_DEP_3)
	v_add_f64 v[98:99], v[102:103], -v[104:105]
	v_fma_f64 v[104:105], v[106:107], s[36:37], -v[108:109]
	s_delay_alu instid0(VALU_DEP_2) | instskip(NEXT) | instid1(VALU_DEP_2)
	v_add_f64 v[98:99], v[100:101], -v[98:99]
	v_fma_f64 v[100:101], v[106:107], s[38:39], v[104:105]
	s_delay_alu instid0(VALU_DEP_2) | instskip(NEXT) | instid1(VALU_DEP_2)
	v_add_f64 v[75:76], v[75:76], v[98:99]
	v_add_f64 v[98:99], v[108:109], v[100:101]
	s_delay_alu instid0(VALU_DEP_2) | instskip(NEXT) | instid1(VALU_DEP_2)
	v_add_f64 v[104:105], v[102:103], v[75:76]
	v_add_f64 v[108:109], v[98:99], -v[108:109]
	s_delay_alu instid0(VALU_DEP_2) | instskip(SKIP_1) | instid1(VALU_DEP_3)
	v_add_f64 v[106:107], v[98:99], v[104:105]
	v_add_f64 v[102:103], v[104:105], -v[102:103]
	v_add_f64 v[100:101], v[100:101], -v[108:109]
	s_delay_alu instid0(VALU_DEP_3) | instskip(NEXT) | instid1(VALU_DEP_3)
	v_add_f64 v[110:111], v[106:107], -v[98:99]
	v_add_f64 v[75:76], v[75:76], -v[102:103]
	s_delay_alu instid0(VALU_DEP_2) | instskip(SKIP_1) | instid1(VALU_DEP_3)
	v_add_f64 v[112:113], v[106:107], -v[110:111]
	v_add_f64 v[102:103], v[104:105], -v[110:111]
	v_add_f64 v[104:105], v[100:101], v[75:76]
	s_delay_alu instid0(VALU_DEP_3) | instskip(NEXT) | instid1(VALU_DEP_1)
	v_add_f64 v[98:99], v[98:99], -v[112:113]
	v_add_f64 v[98:99], v[102:103], v[98:99]
	s_delay_alu instid0(VALU_DEP_3) | instskip(NEXT) | instid1(VALU_DEP_2)
	v_add_f64 v[102:103], v[104:105], -v[100:101]
	v_add_f64 v[98:99], v[104:105], v[98:99]
	s_delay_alu instid0(VALU_DEP_2) | instskip(SKIP_1) | instid1(VALU_DEP_3)
	v_add_f64 v[104:105], v[104:105], -v[102:103]
	v_add_f64 v[75:76], v[75:76], -v[102:103]
	v_add_f64 v[108:109], v[106:107], v[98:99]
	s_delay_alu instid0(VALU_DEP_3) | instskip(NEXT) | instid1(VALU_DEP_2)
	v_add_f64 v[100:101], v[100:101], -v[104:105]
	v_add_f64 v[102:103], v[108:109], -v[106:107]
	s_delay_alu instid0(VALU_DEP_2) | instskip(NEXT) | instid1(VALU_DEP_2)
	v_add_f64 v[75:76], v[75:76], v[100:101]
	v_add_f64 v[98:99], v[98:99], -v[102:103]
	s_delay_alu instid0(VALU_DEP_1) | instskip(NEXT) | instid1(VALU_DEP_1)
	v_add_f64 v[75:76], v[75:76], v[98:99]
	v_add_f64 v[75:76], v[108:109], v[75:76]
	s_delay_alu instid0(VALU_DEP_1) | instskip(NEXT) | instid1(VALU_DEP_2)
	v_cndmask_b32_e64 v75, v75, v73, s0
	v_cndmask_b32_e64 v76, v76, v74, s0
	v_cmp_ngt_f64_e64 s0, -1.0, v[73:74]
	s_delay_alu instid0(VALU_DEP_1) | instskip(SKIP_1) | instid1(VALU_DEP_1)
	v_cndmask_b32_e64 v76, 0x7ff80000, v76, s0
	v_cmp_nge_f64_e64 s0, -1.0, v[73:74]
	v_cndmask_b32_e64 v75, 0, v75, s0
	v_cmp_neq_f64_e64 s0, -1.0, v[73:74]
	s_delay_alu instid0(VALU_DEP_1) | instskip(NEXT) | instid1(VALU_DEP_1)
	v_cndmask_b32_e64 v76, 0xfff00000, v76, s0
	v_add_f64 v[73:74], v[71:72], v[75:76]
.LBB26_92:
	s_or_b32 exec_lo, exec_lo, s42
	s_delay_alu instid0(VALU_DEP_1)
	v_dual_mov_b32 v75, v73 :: v_dual_mov_b32 v76, v74
	v_dual_mov_b32 v71, v73 :: v_dual_mov_b32 v72, v74
.LBB26_93:
	s_or_b32 exec_lo, exec_lo, s41
	s_delay_alu instid0(VALU_DEP_2) | instskip(NEXT) | instid1(VALU_DEP_3)
	v_mov_b32_dpp v73, v75 row_shr:4 row_mask:0xf bank_mask:0xf
	v_mov_b32_dpp v74, v76 row_shr:4 row_mask:0xf bank_mask:0xf
	s_mov_b32 s41, exec_lo
	v_cmpx_lt_u32_e32 3, v97
	s_cbranch_execz .LBB26_97
; %bb.94:
	s_delay_alu instid0(VALU_DEP_2) | instskip(SKIP_3) | instid1(VALU_DEP_3)
	v_max_f64 v[75:76], v[73:74], v[73:74]
	v_max_f64 v[97:98], v[71:72], v[71:72]
	v_cmp_u_f64_e64 s0, v[73:74], v[73:74]
	v_cmp_u_f64_e64 s1, v[71:72], v[71:72]
	v_min_f64 v[99:100], v[75:76], v[97:98]
	v_max_f64 v[75:76], v[75:76], v[97:98]
	s_delay_alu instid0(VALU_DEP_2) | instskip(NEXT) | instid1(VALU_DEP_3)
	v_cndmask_b32_e64 v97, v99, v73, s0
	v_cndmask_b32_e64 v98, v100, v74, s0
	s_delay_alu instid0(VALU_DEP_3) | instskip(NEXT) | instid1(VALU_DEP_4)
	v_cndmask_b32_e64 v99, v76, v74, s0
	v_cndmask_b32_e64 v100, v75, v73, s0
	s_delay_alu instid0(VALU_DEP_4) | instskip(NEXT) | instid1(VALU_DEP_4)
	v_cndmask_b32_e64 v75, v97, v71, s1
	v_cndmask_b32_e64 v76, v98, v72, s1
	s_delay_alu instid0(VALU_DEP_4) | instskip(NEXT) | instid1(VALU_DEP_4)
	v_cndmask_b32_e64 v72, v99, v72, s1
	v_cndmask_b32_e64 v71, v100, v71, s1
	s_delay_alu instid0(VALU_DEP_3) | instskip(NEXT) | instid1(VALU_DEP_2)
	v_cmp_class_f64_e64 s1, v[75:76], 0x1f8
	v_cmp_neq_f64_e64 s0, v[75:76], v[71:72]
	s_delay_alu instid0(VALU_DEP_1) | instskip(NEXT) | instid1(SALU_CYCLE_1)
	s_or_b32 s0, s0, s1
	s_and_saveexec_b32 s42, s0
	s_cbranch_execz .LBB26_96
; %bb.95:
	v_add_f64 v[73:74], v[75:76], -v[71:72]
	s_mov_b32 s0, 0x652b82fe
	s_mov_b32 s1, 0x3ff71547
	;; [unrolled: 1-line block ×10, first 2 shown]
	s_delay_alu instid0(VALU_DEP_1) | instskip(SKIP_2) | instid1(VALU_DEP_1)
	v_mul_f64 v[75:76], v[73:74], s[0:1]
	s_mov_b32 s0, 0xfca7ab0c
	s_mov_b32 s1, 0x3e928af3
	v_rndne_f64_e32 v[75:76], v[75:76]
	s_delay_alu instid0(VALU_DEP_1) | instskip(SKIP_2) | instid1(VALU_DEP_2)
	v_fma_f64 v[97:98], v[75:76], s[36:37], v[73:74]
	v_cvt_i32_f64_e32 v101, v[75:76]
	s_mov_b32 s37, 0x3fe62e42
	v_fma_f64 v[97:98], v[75:76], s[38:39], v[97:98]
	s_mov_b32 s39, 0x3c7abc9e
	s_delay_alu instid0(VALU_DEP_1) | instskip(SKIP_4) | instid1(VALU_DEP_1)
	v_fma_f64 v[99:100], v[97:98], s[44:45], s[0:1]
	s_mov_b32 s0, 0x623fde64
	s_mov_b32 s1, 0x3ec71dee
	;; [unrolled: 1-line block ×4, first 2 shown]
	v_fma_f64 v[99:100], v[97:98], v[99:100], s[0:1]
	s_mov_b32 s0, 0x7c89e6b0
	s_mov_b32 s1, 0x3efa0199
	s_delay_alu instid0(VALU_DEP_1) | instid1(SALU_CYCLE_1)
	v_fma_f64 v[99:100], v[97:98], v[99:100], s[0:1]
	s_mov_b32 s0, 0x14761f6e
	s_mov_b32 s1, 0x3f2a01a0
	s_delay_alu instid0(VALU_DEP_1) | instid1(SALU_CYCLE_1)
	;; [unrolled: 4-line block ×7, first 2 shown]
	v_fma_f64 v[99:100], v[97:98], v[99:100], s[0:1]
	v_cmp_nlt_f64_e64 s0, 0x40900000, v[73:74]
	v_cmp_ngt_f64_e64 s1, 0xc090cc00, v[73:74]
	s_delay_alu instid0(VALU_DEP_3) | instskip(NEXT) | instid1(VALU_DEP_1)
	v_fma_f64 v[99:100], v[97:98], v[99:100], 1.0
	v_fma_f64 v[75:76], v[97:98], v[99:100], 1.0
	s_delay_alu instid0(VALU_DEP_1) | instskip(NEXT) | instid1(VALU_DEP_1)
	v_ldexp_f64 v[75:76], v[75:76], v101
	v_cndmask_b32_e64 v76, 0x7ff00000, v76, s0
	s_and_b32 s0, s1, s0
	s_delay_alu instid0(VALU_DEP_2) | instid1(SALU_CYCLE_1)
	v_cndmask_b32_e64 v73, 0, v75, s0
	s_mov_b32 s0, 0x55555555
	s_delay_alu instid0(VALU_DEP_2) | instskip(SKIP_1) | instid1(VALU_DEP_1)
	v_cndmask_b32_e64 v74, 0, v76, s1
	s_mov_b32 s1, 0x3fe55555
	v_add_f64 v[75:76], v[73:74], 1.0
	s_delay_alu instid0(VALU_DEP_1) | instskip(SKIP_2) | instid1(VALU_DEP_3)
	v_frexp_mant_f64_e32 v[97:98], v[75:76]
	v_frexp_exp_i32_f64_e32 v101, v[75:76]
	v_add_f64 v[99:100], v[75:76], -1.0
	v_cmp_gt_f64_e64 s0, s[0:1], v[97:98]
	s_delay_alu instid0(VALU_DEP_2) | instskip(SKIP_1) | instid1(VALU_DEP_3)
	v_add_f64 v[97:98], v[99:100], -v[75:76]
	v_add_f64 v[99:100], v[73:74], -v[99:100]
	v_subrev_co_ci_u32_e64 v117, s0, 0, v101, s0
	s_delay_alu instid0(VALU_DEP_3) | instskip(SKIP_1) | instid1(VALU_DEP_2)
	v_add_f64 v[97:98], v[97:98], 1.0
	s_mov_b32 s0, 0x55555780
	v_sub_nc_u32_e32 v103, 0, v117
	s_delay_alu instid0(VALU_DEP_1) | instskip(NEXT) | instid1(VALU_DEP_3)
	v_ldexp_f64 v[75:76], v[75:76], v103
	v_add_f64 v[97:98], v[99:100], v[97:98]
	s_delay_alu instid0(VALU_DEP_2) | instskip(SKIP_1) | instid1(VALU_DEP_3)
	v_add_f64 v[101:102], v[75:76], 1.0
	v_add_f64 v[107:108], v[75:76], -1.0
	v_ldexp_f64 v[97:98], v[97:98], v103
	s_delay_alu instid0(VALU_DEP_3) | instskip(NEXT) | instid1(VALU_DEP_3)
	v_add_f64 v[99:100], v[101:102], -1.0
	v_add_f64 v[109:110], v[107:108], 1.0
	s_delay_alu instid0(VALU_DEP_2) | instskip(NEXT) | instid1(VALU_DEP_2)
	v_add_f64 v[99:100], v[75:76], -v[99:100]
	v_add_f64 v[75:76], v[75:76], -v[109:110]
	s_delay_alu instid0(VALU_DEP_2) | instskip(NEXT) | instid1(VALU_DEP_2)
	v_add_f64 v[99:100], v[97:98], v[99:100]
	v_add_f64 v[75:76], v[97:98], v[75:76]
	s_delay_alu instid0(VALU_DEP_2) | instskip(NEXT) | instid1(VALU_DEP_2)
	v_add_f64 v[103:104], v[101:102], v[99:100]
	v_add_f64 v[109:110], v[107:108], v[75:76]
	s_delay_alu instid0(VALU_DEP_2) | instskip(SKIP_1) | instid1(VALU_DEP_2)
	v_rcp_f64_e32 v[105:106], v[103:104]
	v_add_f64 v[101:102], v[103:104], -v[101:102]
	v_add_f64 v[107:108], v[109:110], -v[107:108]
	s_delay_alu instid0(VALU_DEP_2) | instskip(SKIP_3) | instid1(VALU_DEP_2)
	v_add_f64 v[99:100], v[99:100], -v[101:102]
	s_waitcnt_depctr 0xfff
	v_fma_f64 v[111:112], -v[103:104], v[105:106], 1.0
	v_add_f64 v[75:76], v[75:76], -v[107:108]
	v_fma_f64 v[105:106], v[111:112], v[105:106], v[105:106]
	s_delay_alu instid0(VALU_DEP_1) | instskip(NEXT) | instid1(VALU_DEP_1)
	v_fma_f64 v[97:98], -v[103:104], v[105:106], 1.0
	v_fma_f64 v[97:98], v[97:98], v[105:106], v[105:106]
	s_delay_alu instid0(VALU_DEP_1) | instskip(NEXT) | instid1(VALU_DEP_1)
	v_mul_f64 v[105:106], v[109:110], v[97:98]
	v_mul_f64 v[111:112], v[103:104], v[105:106]
	s_delay_alu instid0(VALU_DEP_1) | instskip(NEXT) | instid1(VALU_DEP_1)
	v_fma_f64 v[101:102], v[105:106], v[103:104], -v[111:112]
	v_fma_f64 v[101:102], v[105:106], v[99:100], v[101:102]
	s_delay_alu instid0(VALU_DEP_1) | instskip(NEXT) | instid1(VALU_DEP_1)
	v_add_f64 v[113:114], v[111:112], v[101:102]
	v_add_f64 v[115:116], v[109:110], -v[113:114]
	v_add_f64 v[107:108], v[113:114], -v[111:112]
	s_delay_alu instid0(VALU_DEP_2) | instskip(NEXT) | instid1(VALU_DEP_2)
	v_add_f64 v[109:110], v[109:110], -v[115:116]
	v_add_f64 v[101:102], v[107:108], -v[101:102]
	s_delay_alu instid0(VALU_DEP_2) | instskip(NEXT) | instid1(VALU_DEP_1)
	v_add_f64 v[109:110], v[109:110], -v[113:114]
	v_add_f64 v[75:76], v[75:76], v[109:110]
	s_delay_alu instid0(VALU_DEP_1) | instskip(NEXT) | instid1(VALU_DEP_1)
	v_add_f64 v[75:76], v[101:102], v[75:76]
	v_add_f64 v[101:102], v[115:116], v[75:76]
	s_delay_alu instid0(VALU_DEP_1) | instskip(SKIP_1) | instid1(VALU_DEP_2)
	v_mul_f64 v[107:108], v[97:98], v[101:102]
	v_add_f64 v[113:114], v[115:116], -v[101:102]
	v_mul_f64 v[109:110], v[103:104], v[107:108]
	s_delay_alu instid0(VALU_DEP_2) | instskip(NEXT) | instid1(VALU_DEP_2)
	v_add_f64 v[75:76], v[75:76], v[113:114]
	v_fma_f64 v[103:104], v[107:108], v[103:104], -v[109:110]
	s_delay_alu instid0(VALU_DEP_1) | instskip(NEXT) | instid1(VALU_DEP_1)
	v_fma_f64 v[99:100], v[107:108], v[99:100], v[103:104]
	v_add_f64 v[103:104], v[109:110], v[99:100]
	s_delay_alu instid0(VALU_DEP_1) | instskip(SKIP_1) | instid1(VALU_DEP_2)
	v_add_f64 v[111:112], v[101:102], -v[103:104]
	v_add_f64 v[109:110], v[103:104], -v[109:110]
	;; [unrolled: 1-line block ×3, first 2 shown]
	s_delay_alu instid0(VALU_DEP_2) | instskip(NEXT) | instid1(VALU_DEP_2)
	v_add_f64 v[99:100], v[109:110], -v[99:100]
	v_add_f64 v[101:102], v[101:102], -v[103:104]
	s_delay_alu instid0(VALU_DEP_1) | instskip(SKIP_1) | instid1(VALU_DEP_2)
	v_add_f64 v[75:76], v[75:76], v[101:102]
	v_add_f64 v[101:102], v[105:106], v[107:108]
	;; [unrolled: 1-line block ×3, first 2 shown]
	s_delay_alu instid0(VALU_DEP_2) | instskip(NEXT) | instid1(VALU_DEP_2)
	v_add_f64 v[99:100], v[101:102], -v[105:106]
	v_add_f64 v[75:76], v[111:112], v[75:76]
	s_delay_alu instid0(VALU_DEP_2) | instskip(NEXT) | instid1(VALU_DEP_2)
	v_add_f64 v[99:100], v[107:108], -v[99:100]
	v_mul_f64 v[75:76], v[97:98], v[75:76]
	s_delay_alu instid0(VALU_DEP_1) | instskip(NEXT) | instid1(VALU_DEP_1)
	v_add_f64 v[75:76], v[99:100], v[75:76]
	v_add_f64 v[97:98], v[101:102], v[75:76]
	s_delay_alu instid0(VALU_DEP_1) | instskip(NEXT) | instid1(VALU_DEP_1)
	v_mul_f64 v[99:100], v[97:98], v[97:98]
	v_fma_f64 v[103:104], v[99:100], s[46:47], s[44:45]
	s_mov_b32 s44, 0xd7f4df2e
	s_mov_b32 s45, 0x3fc7474d
	v_mul_f64 v[105:106], v[97:98], v[99:100]
	s_delay_alu instid0(VALU_DEP_2)
	v_fma_f64 v[103:104], v[99:100], v[103:104], s[44:45]
	s_mov_b32 s44, 0x16291751
	s_mov_b32 s45, 0x3fcc71c0
	s_delay_alu instid0(VALU_DEP_1) | instid1(SALU_CYCLE_1)
	v_fma_f64 v[103:104], v[99:100], v[103:104], s[44:45]
	s_mov_b32 s44, 0x9b27acf1
	s_mov_b32 s45, 0x3fd24924
	s_delay_alu instid0(VALU_DEP_1) | instid1(SALU_CYCLE_1)
	;; [unrolled: 4-line block ×3, first 2 shown]
	v_fma_f64 v[103:104], v[99:100], v[103:104], s[44:45]
	s_delay_alu instid0(VALU_DEP_1) | instskip(SKIP_3) | instid1(VALU_DEP_4)
	v_fma_f64 v[99:100], v[99:100], v[103:104], s[0:1]
	v_ldexp_f64 v[103:104], v[97:98], 1
	v_add_f64 v[97:98], v[97:98], -v[101:102]
	v_cmp_eq_f64_e64 s0, 0x7ff00000, v[73:74]
	v_mul_f64 v[99:100], v[105:106], v[99:100]
	v_cvt_f64_i32_e32 v[105:106], v117
	s_delay_alu instid0(VALU_DEP_4) | instskip(NEXT) | instid1(VALU_DEP_3)
	v_add_f64 v[75:76], v[75:76], -v[97:98]
	v_add_f64 v[101:102], v[103:104], v[99:100]
	s_delay_alu instid0(VALU_DEP_3) | instskip(NEXT) | instid1(VALU_DEP_3)
	v_mul_f64 v[107:108], v[105:106], s[36:37]
	v_ldexp_f64 v[75:76], v[75:76], 1
	s_delay_alu instid0(VALU_DEP_3) | instskip(NEXT) | instid1(VALU_DEP_3)
	v_add_f64 v[97:98], v[101:102], -v[103:104]
	v_fma_f64 v[103:104], v[105:106], s[36:37], -v[107:108]
	s_delay_alu instid0(VALU_DEP_2) | instskip(NEXT) | instid1(VALU_DEP_2)
	v_add_f64 v[97:98], v[99:100], -v[97:98]
	v_fma_f64 v[99:100], v[105:106], s[38:39], v[103:104]
	s_delay_alu instid0(VALU_DEP_2) | instskip(NEXT) | instid1(VALU_DEP_2)
	v_add_f64 v[75:76], v[75:76], v[97:98]
	v_add_f64 v[97:98], v[107:108], v[99:100]
	s_delay_alu instid0(VALU_DEP_2) | instskip(NEXT) | instid1(VALU_DEP_2)
	v_add_f64 v[103:104], v[101:102], v[75:76]
	v_add_f64 v[107:108], v[97:98], -v[107:108]
	s_delay_alu instid0(VALU_DEP_2) | instskip(SKIP_1) | instid1(VALU_DEP_3)
	v_add_f64 v[105:106], v[97:98], v[103:104]
	v_add_f64 v[101:102], v[103:104], -v[101:102]
	v_add_f64 v[99:100], v[99:100], -v[107:108]
	s_delay_alu instid0(VALU_DEP_3) | instskip(NEXT) | instid1(VALU_DEP_3)
	v_add_f64 v[109:110], v[105:106], -v[97:98]
	v_add_f64 v[75:76], v[75:76], -v[101:102]
	s_delay_alu instid0(VALU_DEP_2) | instskip(SKIP_1) | instid1(VALU_DEP_3)
	v_add_f64 v[111:112], v[105:106], -v[109:110]
	v_add_f64 v[101:102], v[103:104], -v[109:110]
	v_add_f64 v[103:104], v[99:100], v[75:76]
	s_delay_alu instid0(VALU_DEP_3) | instskip(NEXT) | instid1(VALU_DEP_1)
	v_add_f64 v[97:98], v[97:98], -v[111:112]
	v_add_f64 v[97:98], v[101:102], v[97:98]
	s_delay_alu instid0(VALU_DEP_3) | instskip(NEXT) | instid1(VALU_DEP_2)
	v_add_f64 v[101:102], v[103:104], -v[99:100]
	v_add_f64 v[97:98], v[103:104], v[97:98]
	s_delay_alu instid0(VALU_DEP_2) | instskip(SKIP_1) | instid1(VALU_DEP_3)
	v_add_f64 v[103:104], v[103:104], -v[101:102]
	v_add_f64 v[75:76], v[75:76], -v[101:102]
	v_add_f64 v[107:108], v[105:106], v[97:98]
	s_delay_alu instid0(VALU_DEP_3) | instskip(NEXT) | instid1(VALU_DEP_2)
	v_add_f64 v[99:100], v[99:100], -v[103:104]
	v_add_f64 v[101:102], v[107:108], -v[105:106]
	s_delay_alu instid0(VALU_DEP_2) | instskip(NEXT) | instid1(VALU_DEP_2)
	v_add_f64 v[75:76], v[75:76], v[99:100]
	v_add_f64 v[97:98], v[97:98], -v[101:102]
	s_delay_alu instid0(VALU_DEP_1) | instskip(NEXT) | instid1(VALU_DEP_1)
	v_add_f64 v[75:76], v[75:76], v[97:98]
	v_add_f64 v[75:76], v[107:108], v[75:76]
	s_delay_alu instid0(VALU_DEP_1) | instskip(NEXT) | instid1(VALU_DEP_2)
	v_cndmask_b32_e64 v75, v75, v73, s0
	v_cndmask_b32_e64 v76, v76, v74, s0
	v_cmp_ngt_f64_e64 s0, -1.0, v[73:74]
	s_delay_alu instid0(VALU_DEP_1) | instskip(SKIP_1) | instid1(VALU_DEP_1)
	v_cndmask_b32_e64 v76, 0x7ff80000, v76, s0
	v_cmp_nge_f64_e64 s0, -1.0, v[73:74]
	v_cndmask_b32_e64 v75, 0, v75, s0
	v_cmp_neq_f64_e64 s0, -1.0, v[73:74]
	s_delay_alu instid0(VALU_DEP_1) | instskip(NEXT) | instid1(VALU_DEP_1)
	v_cndmask_b32_e64 v76, 0xfff00000, v76, s0
	v_add_f64 v[73:74], v[71:72], v[75:76]
.LBB26_96:
	s_or_b32 exec_lo, exec_lo, s42
	s_delay_alu instid0(VALU_DEP_1)
	v_dual_mov_b32 v71, v73 :: v_dual_mov_b32 v72, v74
.LBB26_97:
	s_or_b32 exec_lo, exec_lo, s41
	ds_store_b64 v77, v[71:72]
.LBB26_98:
	s_or_b32 exec_lo, exec_lo, s40
	s_delay_alu instid0(SALU_CYCLE_1)
	s_mov_b32 s40, exec_lo
	s_waitcnt lgkmcnt(0)
	s_barrier
	buffer_gl0_inv
                                        ; implicit-def: $vgpr71_vgpr72
	v_cmpx_lt_u32_e32 31, v0
	s_cbranch_execz .LBB26_102
; %bb.99:
	v_add_nc_u32_e32 v71, -8, v95
	v_max_f64 v[73:74], v[69:70], v[69:70]
	v_cmp_u_f64_e64 s1, v[69:70], v[69:70]
	ds_load_b64 v[71:72], v71
	s_waitcnt lgkmcnt(0)
	v_max_f64 v[75:76], v[71:72], v[71:72]
	v_cmp_u_f64_e64 s0, v[71:72], v[71:72]
	s_delay_alu instid0(VALU_DEP_2) | instskip(SKIP_1) | instid1(VALU_DEP_2)
	v_min_f64 v[97:98], v[75:76], v[73:74]
	v_max_f64 v[73:74], v[75:76], v[73:74]
	v_cndmask_b32_e64 v75, v97, v71, s0
	s_delay_alu instid0(VALU_DEP_3) | instskip(NEXT) | instid1(VALU_DEP_3)
	v_cndmask_b32_e64 v76, v98, v72, s0
	v_cndmask_b32_e64 v74, v74, v72, s0
	s_delay_alu instid0(VALU_DEP_4) | instskip(NEXT) | instid1(VALU_DEP_4)
	v_cndmask_b32_e64 v73, v73, v71, s0
	v_cndmask_b32_e64 v75, v75, v69, s1
	s_delay_alu instid0(VALU_DEP_4) | instskip(NEXT) | instid1(VALU_DEP_4)
	v_cndmask_b32_e64 v76, v76, v70, s1
	v_cndmask_b32_e64 v74, v74, v70, s1
	s_delay_alu instid0(VALU_DEP_4) | instskip(SKIP_1) | instid1(VALU_DEP_4)
	v_cndmask_b32_e64 v73, v73, v69, s1
	v_dual_mov_b32 v69, v71 :: v_dual_mov_b32 v70, v72
	v_cmp_class_f64_e64 s1, v[75:76], 0x1f8
	s_delay_alu instid0(VALU_DEP_3) | instskip(NEXT) | instid1(VALU_DEP_1)
	v_cmp_neq_f64_e64 s0, v[75:76], v[73:74]
	s_or_b32 s0, s0, s1
	s_delay_alu instid0(SALU_CYCLE_1)
	s_and_saveexec_b32 s41, s0
	s_cbranch_execz .LBB26_101
; %bb.100:
	v_add_f64 v[69:70], v[75:76], -v[73:74]
	s_mov_b32 s0, 0x652b82fe
	s_mov_b32 s1, 0x3ff71547
	;; [unrolled: 1-line block ×10, first 2 shown]
	s_delay_alu instid0(VALU_DEP_1) | instskip(SKIP_2) | instid1(VALU_DEP_1)
	v_mul_f64 v[75:76], v[69:70], s[0:1]
	s_mov_b32 s0, 0xfca7ab0c
	s_mov_b32 s1, 0x3e928af3
	v_rndne_f64_e32 v[75:76], v[75:76]
	s_delay_alu instid0(VALU_DEP_1) | instskip(SKIP_2) | instid1(VALU_DEP_2)
	v_fma_f64 v[97:98], v[75:76], s[36:37], v[69:70]
	v_cvt_i32_f64_e32 v95, v[75:76]
	s_mov_b32 s37, 0x3fe62e42
	v_fma_f64 v[97:98], v[75:76], s[38:39], v[97:98]
	s_mov_b32 s39, 0x3c7abc9e
	s_delay_alu instid0(VALU_DEP_1) | instskip(SKIP_4) | instid1(VALU_DEP_1)
	v_fma_f64 v[99:100], v[97:98], s[42:43], s[0:1]
	s_mov_b32 s0, 0x623fde64
	s_mov_b32 s1, 0x3ec71dee
	;; [unrolled: 1-line block ×4, first 2 shown]
	v_fma_f64 v[99:100], v[97:98], v[99:100], s[0:1]
	s_mov_b32 s0, 0x7c89e6b0
	s_mov_b32 s1, 0x3efa0199
	s_delay_alu instid0(VALU_DEP_1) | instid1(SALU_CYCLE_1)
	v_fma_f64 v[99:100], v[97:98], v[99:100], s[0:1]
	s_mov_b32 s0, 0x14761f6e
	s_mov_b32 s1, 0x3f2a01a0
	s_delay_alu instid0(VALU_DEP_1) | instid1(SALU_CYCLE_1)
	;; [unrolled: 4-line block ×7, first 2 shown]
	v_fma_f64 v[99:100], v[97:98], v[99:100], s[0:1]
	v_cmp_nlt_f64_e64 s0, 0x40900000, v[69:70]
	v_cmp_ngt_f64_e64 s1, 0xc090cc00, v[69:70]
	s_delay_alu instid0(VALU_DEP_3) | instskip(NEXT) | instid1(VALU_DEP_1)
	v_fma_f64 v[99:100], v[97:98], v[99:100], 1.0
	v_fma_f64 v[75:76], v[97:98], v[99:100], 1.0
	s_delay_alu instid0(VALU_DEP_1) | instskip(NEXT) | instid1(VALU_DEP_1)
	v_ldexp_f64 v[75:76], v[75:76], v95
	v_cndmask_b32_e64 v76, 0x7ff00000, v76, s0
	s_and_b32 s0, s1, s0
	s_delay_alu instid0(VALU_DEP_2) | instid1(SALU_CYCLE_1)
	v_cndmask_b32_e64 v69, 0, v75, s0
	s_mov_b32 s0, 0x55555555
	s_delay_alu instid0(VALU_DEP_2) | instskip(SKIP_1) | instid1(VALU_DEP_1)
	v_cndmask_b32_e64 v70, 0, v76, s1
	s_mov_b32 s1, 0x3fe55555
	v_add_f64 v[75:76], v[69:70], 1.0
	s_delay_alu instid0(VALU_DEP_1) | instskip(SKIP_2) | instid1(VALU_DEP_3)
	v_frexp_mant_f64_e32 v[97:98], v[75:76]
	v_frexp_exp_i32_f64_e32 v95, v[75:76]
	v_add_f64 v[99:100], v[75:76], -1.0
	v_cmp_gt_f64_e64 s0, s[0:1], v[97:98]
	s_delay_alu instid0(VALU_DEP_2) | instskip(SKIP_1) | instid1(VALU_DEP_3)
	v_add_f64 v[97:98], v[99:100], -v[75:76]
	v_add_f64 v[99:100], v[69:70], -v[99:100]
	v_subrev_co_ci_u32_e64 v95, s0, 0, v95, s0
	s_delay_alu instid0(VALU_DEP_3) | instskip(SKIP_1) | instid1(VALU_DEP_2)
	v_add_f64 v[97:98], v[97:98], 1.0
	s_mov_b32 s0, 0x55555780
	v_sub_nc_u32_e32 v103, 0, v95
	s_delay_alu instid0(VALU_DEP_1) | instskip(NEXT) | instid1(VALU_DEP_3)
	v_ldexp_f64 v[75:76], v[75:76], v103
	v_add_f64 v[97:98], v[99:100], v[97:98]
	s_delay_alu instid0(VALU_DEP_2) | instskip(SKIP_1) | instid1(VALU_DEP_3)
	v_add_f64 v[101:102], v[75:76], 1.0
	v_add_f64 v[107:108], v[75:76], -1.0
	v_ldexp_f64 v[97:98], v[97:98], v103
	s_delay_alu instid0(VALU_DEP_3) | instskip(NEXT) | instid1(VALU_DEP_3)
	v_add_f64 v[99:100], v[101:102], -1.0
	v_add_f64 v[109:110], v[107:108], 1.0
	s_delay_alu instid0(VALU_DEP_2) | instskip(NEXT) | instid1(VALU_DEP_2)
	v_add_f64 v[99:100], v[75:76], -v[99:100]
	v_add_f64 v[75:76], v[75:76], -v[109:110]
	s_delay_alu instid0(VALU_DEP_2) | instskip(NEXT) | instid1(VALU_DEP_2)
	v_add_f64 v[99:100], v[97:98], v[99:100]
	v_add_f64 v[75:76], v[97:98], v[75:76]
	s_delay_alu instid0(VALU_DEP_2) | instskip(NEXT) | instid1(VALU_DEP_2)
	v_add_f64 v[103:104], v[101:102], v[99:100]
	v_add_f64 v[109:110], v[107:108], v[75:76]
	s_delay_alu instid0(VALU_DEP_2) | instskip(SKIP_1) | instid1(VALU_DEP_2)
	v_rcp_f64_e32 v[105:106], v[103:104]
	v_add_f64 v[101:102], v[103:104], -v[101:102]
	v_add_f64 v[107:108], v[109:110], -v[107:108]
	s_delay_alu instid0(VALU_DEP_2) | instskip(SKIP_3) | instid1(VALU_DEP_2)
	v_add_f64 v[99:100], v[99:100], -v[101:102]
	s_waitcnt_depctr 0xfff
	v_fma_f64 v[111:112], -v[103:104], v[105:106], 1.0
	v_add_f64 v[75:76], v[75:76], -v[107:108]
	v_fma_f64 v[105:106], v[111:112], v[105:106], v[105:106]
	s_delay_alu instid0(VALU_DEP_1) | instskip(NEXT) | instid1(VALU_DEP_1)
	v_fma_f64 v[97:98], -v[103:104], v[105:106], 1.0
	v_fma_f64 v[97:98], v[97:98], v[105:106], v[105:106]
	s_delay_alu instid0(VALU_DEP_1) | instskip(NEXT) | instid1(VALU_DEP_1)
	v_mul_f64 v[105:106], v[109:110], v[97:98]
	v_mul_f64 v[111:112], v[103:104], v[105:106]
	s_delay_alu instid0(VALU_DEP_1) | instskip(NEXT) | instid1(VALU_DEP_1)
	v_fma_f64 v[101:102], v[105:106], v[103:104], -v[111:112]
	v_fma_f64 v[101:102], v[105:106], v[99:100], v[101:102]
	s_delay_alu instid0(VALU_DEP_1) | instskip(NEXT) | instid1(VALU_DEP_1)
	v_add_f64 v[113:114], v[111:112], v[101:102]
	v_add_f64 v[115:116], v[109:110], -v[113:114]
	v_add_f64 v[107:108], v[113:114], -v[111:112]
	s_delay_alu instid0(VALU_DEP_2) | instskip(NEXT) | instid1(VALU_DEP_2)
	v_add_f64 v[109:110], v[109:110], -v[115:116]
	v_add_f64 v[101:102], v[107:108], -v[101:102]
	s_delay_alu instid0(VALU_DEP_2) | instskip(NEXT) | instid1(VALU_DEP_1)
	v_add_f64 v[109:110], v[109:110], -v[113:114]
	v_add_f64 v[75:76], v[75:76], v[109:110]
	s_delay_alu instid0(VALU_DEP_1) | instskip(NEXT) | instid1(VALU_DEP_1)
	v_add_f64 v[75:76], v[101:102], v[75:76]
	v_add_f64 v[101:102], v[115:116], v[75:76]
	s_delay_alu instid0(VALU_DEP_1) | instskip(SKIP_1) | instid1(VALU_DEP_2)
	v_mul_f64 v[107:108], v[97:98], v[101:102]
	v_add_f64 v[113:114], v[115:116], -v[101:102]
	v_mul_f64 v[109:110], v[103:104], v[107:108]
	s_delay_alu instid0(VALU_DEP_2) | instskip(NEXT) | instid1(VALU_DEP_2)
	v_add_f64 v[75:76], v[75:76], v[113:114]
	v_fma_f64 v[103:104], v[107:108], v[103:104], -v[109:110]
	s_delay_alu instid0(VALU_DEP_1) | instskip(NEXT) | instid1(VALU_DEP_1)
	v_fma_f64 v[99:100], v[107:108], v[99:100], v[103:104]
	v_add_f64 v[103:104], v[109:110], v[99:100]
	s_delay_alu instid0(VALU_DEP_1) | instskip(SKIP_1) | instid1(VALU_DEP_2)
	v_add_f64 v[111:112], v[101:102], -v[103:104]
	v_add_f64 v[109:110], v[103:104], -v[109:110]
	;; [unrolled: 1-line block ×3, first 2 shown]
	s_delay_alu instid0(VALU_DEP_2) | instskip(NEXT) | instid1(VALU_DEP_2)
	v_add_f64 v[99:100], v[109:110], -v[99:100]
	v_add_f64 v[101:102], v[101:102], -v[103:104]
	s_delay_alu instid0(VALU_DEP_1) | instskip(SKIP_1) | instid1(VALU_DEP_2)
	v_add_f64 v[75:76], v[75:76], v[101:102]
	v_add_f64 v[101:102], v[105:106], v[107:108]
	;; [unrolled: 1-line block ×3, first 2 shown]
	s_delay_alu instid0(VALU_DEP_2) | instskip(NEXT) | instid1(VALU_DEP_2)
	v_add_f64 v[99:100], v[101:102], -v[105:106]
	v_add_f64 v[75:76], v[111:112], v[75:76]
	s_delay_alu instid0(VALU_DEP_2) | instskip(NEXT) | instid1(VALU_DEP_2)
	v_add_f64 v[99:100], v[107:108], -v[99:100]
	v_mul_f64 v[75:76], v[97:98], v[75:76]
	s_delay_alu instid0(VALU_DEP_1) | instskip(NEXT) | instid1(VALU_DEP_1)
	v_add_f64 v[75:76], v[99:100], v[75:76]
	v_add_f64 v[97:98], v[101:102], v[75:76]
	s_delay_alu instid0(VALU_DEP_1) | instskip(NEXT) | instid1(VALU_DEP_1)
	v_mul_f64 v[99:100], v[97:98], v[97:98]
	v_fma_f64 v[103:104], v[99:100], s[44:45], s[42:43]
	s_mov_b32 s42, 0xd7f4df2e
	s_mov_b32 s43, 0x3fc7474d
	v_mul_f64 v[105:106], v[97:98], v[99:100]
	s_delay_alu instid0(VALU_DEP_2)
	v_fma_f64 v[103:104], v[99:100], v[103:104], s[42:43]
	s_mov_b32 s42, 0x16291751
	s_mov_b32 s43, 0x3fcc71c0
	s_delay_alu instid0(VALU_DEP_1) | instid1(SALU_CYCLE_1)
	v_fma_f64 v[103:104], v[99:100], v[103:104], s[42:43]
	s_mov_b32 s42, 0x9b27acf1
	s_mov_b32 s43, 0x3fd24924
	s_delay_alu instid0(VALU_DEP_1) | instid1(SALU_CYCLE_1)
	;; [unrolled: 4-line block ×3, first 2 shown]
	v_fma_f64 v[103:104], v[99:100], v[103:104], s[42:43]
	s_delay_alu instid0(VALU_DEP_1) | instskip(SKIP_3) | instid1(VALU_DEP_4)
	v_fma_f64 v[99:100], v[99:100], v[103:104], s[0:1]
	v_ldexp_f64 v[103:104], v[97:98], 1
	v_add_f64 v[97:98], v[97:98], -v[101:102]
	v_cmp_eq_f64_e64 s0, 0x7ff00000, v[69:70]
	v_mul_f64 v[99:100], v[105:106], v[99:100]
	v_cvt_f64_i32_e32 v[105:106], v95
	s_delay_alu instid0(VALU_DEP_4) | instskip(NEXT) | instid1(VALU_DEP_3)
	v_add_f64 v[75:76], v[75:76], -v[97:98]
	v_add_f64 v[101:102], v[103:104], v[99:100]
	s_delay_alu instid0(VALU_DEP_3) | instskip(NEXT) | instid1(VALU_DEP_3)
	v_mul_f64 v[107:108], v[105:106], s[36:37]
	v_ldexp_f64 v[75:76], v[75:76], 1
	s_delay_alu instid0(VALU_DEP_3) | instskip(NEXT) | instid1(VALU_DEP_3)
	v_add_f64 v[97:98], v[101:102], -v[103:104]
	v_fma_f64 v[103:104], v[105:106], s[36:37], -v[107:108]
	s_delay_alu instid0(VALU_DEP_2) | instskip(NEXT) | instid1(VALU_DEP_2)
	v_add_f64 v[97:98], v[99:100], -v[97:98]
	v_fma_f64 v[99:100], v[105:106], s[38:39], v[103:104]
	s_delay_alu instid0(VALU_DEP_2) | instskip(NEXT) | instid1(VALU_DEP_2)
	v_add_f64 v[75:76], v[75:76], v[97:98]
	v_add_f64 v[97:98], v[107:108], v[99:100]
	s_delay_alu instid0(VALU_DEP_2) | instskip(NEXT) | instid1(VALU_DEP_2)
	v_add_f64 v[103:104], v[101:102], v[75:76]
	v_add_f64 v[107:108], v[97:98], -v[107:108]
	s_delay_alu instid0(VALU_DEP_2) | instskip(SKIP_1) | instid1(VALU_DEP_3)
	v_add_f64 v[105:106], v[97:98], v[103:104]
	v_add_f64 v[101:102], v[103:104], -v[101:102]
	v_add_f64 v[99:100], v[99:100], -v[107:108]
	s_delay_alu instid0(VALU_DEP_3) | instskip(NEXT) | instid1(VALU_DEP_3)
	v_add_f64 v[109:110], v[105:106], -v[97:98]
	v_add_f64 v[75:76], v[75:76], -v[101:102]
	s_delay_alu instid0(VALU_DEP_2) | instskip(SKIP_1) | instid1(VALU_DEP_3)
	v_add_f64 v[111:112], v[105:106], -v[109:110]
	v_add_f64 v[101:102], v[103:104], -v[109:110]
	v_add_f64 v[103:104], v[99:100], v[75:76]
	s_delay_alu instid0(VALU_DEP_3) | instskip(NEXT) | instid1(VALU_DEP_1)
	v_add_f64 v[97:98], v[97:98], -v[111:112]
	v_add_f64 v[97:98], v[101:102], v[97:98]
	s_delay_alu instid0(VALU_DEP_3) | instskip(NEXT) | instid1(VALU_DEP_2)
	v_add_f64 v[101:102], v[103:104], -v[99:100]
	v_add_f64 v[97:98], v[103:104], v[97:98]
	s_delay_alu instid0(VALU_DEP_2) | instskip(SKIP_1) | instid1(VALU_DEP_3)
	v_add_f64 v[103:104], v[103:104], -v[101:102]
	v_add_f64 v[75:76], v[75:76], -v[101:102]
	v_add_f64 v[107:108], v[105:106], v[97:98]
	s_delay_alu instid0(VALU_DEP_3) | instskip(NEXT) | instid1(VALU_DEP_2)
	v_add_f64 v[99:100], v[99:100], -v[103:104]
	v_add_f64 v[101:102], v[107:108], -v[105:106]
	s_delay_alu instid0(VALU_DEP_2) | instskip(NEXT) | instid1(VALU_DEP_2)
	v_add_f64 v[75:76], v[75:76], v[99:100]
	v_add_f64 v[97:98], v[97:98], -v[101:102]
	s_delay_alu instid0(VALU_DEP_1) | instskip(NEXT) | instid1(VALU_DEP_1)
	v_add_f64 v[75:76], v[75:76], v[97:98]
	v_add_f64 v[75:76], v[107:108], v[75:76]
	s_delay_alu instid0(VALU_DEP_1) | instskip(NEXT) | instid1(VALU_DEP_2)
	v_cndmask_b32_e64 v75, v75, v69, s0
	v_cndmask_b32_e64 v76, v76, v70, s0
	v_cmp_ngt_f64_e64 s0, -1.0, v[69:70]
	s_delay_alu instid0(VALU_DEP_1) | instskip(SKIP_1) | instid1(VALU_DEP_1)
	v_cndmask_b32_e64 v76, 0x7ff80000, v76, s0
	v_cmp_nge_f64_e64 s0, -1.0, v[69:70]
	v_cndmask_b32_e64 v75, 0, v75, s0
	v_cmp_neq_f64_e64 s0, -1.0, v[69:70]
	s_delay_alu instid0(VALU_DEP_1) | instskip(NEXT) | instid1(VALU_DEP_1)
	v_cndmask_b32_e64 v76, 0xfff00000, v76, s0
	v_add_f64 v[69:70], v[73:74], v[75:76]
.LBB26_101:
	s_or_b32 exec_lo, exec_lo, s41
.LBB26_102:
	s_delay_alu instid0(SALU_CYCLE_1) | instskip(SKIP_2) | instid1(VALU_DEP_1)
	s_or_b32 exec_lo, exec_lo, s40
	v_add_nc_u32_e32 v73, -1, v96
	s_mov_b32 s40, exec_lo
	v_cmp_gt_i32_e64 s0, 0, v73
	s_delay_alu instid0(VALU_DEP_1) | instskip(NEXT) | instid1(VALU_DEP_1)
	v_cndmask_b32_e64 v73, v73, v96, s0
	v_lshlrev_b32_e32 v73, 2, v73
	ds_bpermute_b32 v69, v73, v69
	ds_bpermute_b32 v70, v73, v70
	v_cmpx_ne_u32_e32 0, v0
	s_cbranch_execz .LBB26_106
; %bb.103:
	v_cmp_eq_u32_e64 s0, 0, v96
	s_waitcnt lgkmcnt(0)
	s_delay_alu instid0(VALU_DEP_1) | instskip(SKIP_1) | instid1(VALU_DEP_1)
	v_cndmask_b32_e64 v70, v70, v72, s0
	v_cndmask_b32_e64 v69, v69, v71, s0
	v_max_f64 v[65:66], v[69:70], v[69:70]
	v_cmp_u_f64_e64 s0, v[69:70], v[69:70]
	s_delay_alu instid0(VALU_DEP_2) | instskip(SKIP_1) | instid1(VALU_DEP_2)
	v_min_f64 v[67:68], v[65:66], v[63:64]
	v_max_f64 v[63:64], v[65:66], v[63:64]
	v_cndmask_b32_e64 v0, v67, v69, s0
	s_delay_alu instid0(VALU_DEP_3) | instskip(NEXT) | instid1(VALU_DEP_3)
	v_cndmask_b32_e64 v65, v68, v70, s0
	v_cndmask_b32_e64 v66, v64, v70, s0
	s_delay_alu instid0(VALU_DEP_4) | instskip(NEXT) | instid1(VALU_DEP_4)
	v_cndmask_b32_e64 v67, v63, v69, s0
	v_cndmask_b32_e64 v63, v0, v1, s33
	s_delay_alu instid0(VALU_DEP_4) | instskip(NEXT) | instid1(VALU_DEP_4)
	v_cndmask_b32_e64 v64, v65, v2, s33
	v_cndmask_b32_e64 v2, v66, v2, s33
	s_delay_alu instid0(VALU_DEP_4) | instskip(NEXT) | instid1(VALU_DEP_3)
	v_cndmask_b32_e64 v1, v67, v1, s33
	v_cmp_class_f64_e64 s1, v[63:64], 0x1f8
	s_delay_alu instid0(VALU_DEP_2) | instskip(NEXT) | instid1(VALU_DEP_1)
	v_cmp_neq_f64_e64 s0, v[63:64], v[1:2]
	s_or_b32 s0, s0, s1
	s_delay_alu instid0(SALU_CYCLE_1)
	s_and_saveexec_b32 s33, s0
	s_cbranch_execz .LBB26_105
; %bb.104:
	v_add_f64 v[63:64], v[63:64], -v[1:2]
	s_mov_b32 s0, 0x652b82fe
	s_mov_b32 s1, 0x3ff71547
	;; [unrolled: 1-line block ×10, first 2 shown]
	s_delay_alu instid0(VALU_DEP_1) | instskip(SKIP_2) | instid1(VALU_DEP_1)
	v_mul_f64 v[65:66], v[63:64], s[0:1]
	s_mov_b32 s0, 0xfca7ab0c
	s_mov_b32 s1, 0x3e928af3
	v_rndne_f64_e32 v[65:66], v[65:66]
	s_delay_alu instid0(VALU_DEP_1) | instskip(SKIP_2) | instid1(VALU_DEP_2)
	v_fma_f64 v[67:68], v[65:66], s[36:37], v[63:64]
	v_cvt_i32_f64_e32 v0, v[65:66]
	s_mov_b32 s37, 0x3fe62e42
	v_fma_f64 v[67:68], v[65:66], s[38:39], v[67:68]
	s_mov_b32 s39, 0x3c7abc9e
	s_delay_alu instid0(VALU_DEP_1) | instskip(SKIP_4) | instid1(VALU_DEP_1)
	v_fma_f64 v[69:70], v[67:68], s[42:43], s[0:1]
	s_mov_b32 s0, 0x623fde64
	s_mov_b32 s1, 0x3ec71dee
	;; [unrolled: 1-line block ×4, first 2 shown]
	v_fma_f64 v[69:70], v[67:68], v[69:70], s[0:1]
	s_mov_b32 s0, 0x7c89e6b0
	s_mov_b32 s1, 0x3efa0199
	s_delay_alu instid0(VALU_DEP_1) | instid1(SALU_CYCLE_1)
	v_fma_f64 v[69:70], v[67:68], v[69:70], s[0:1]
	s_mov_b32 s0, 0x14761f6e
	s_mov_b32 s1, 0x3f2a01a0
	s_delay_alu instid0(VALU_DEP_1) | instid1(SALU_CYCLE_1)
	;; [unrolled: 4-line block ×7, first 2 shown]
	v_fma_f64 v[69:70], v[67:68], v[69:70], s[0:1]
	v_cmp_nlt_f64_e64 s0, 0x40900000, v[63:64]
	v_cmp_ngt_f64_e64 s1, 0xc090cc00, v[63:64]
	s_delay_alu instid0(VALU_DEP_3) | instskip(NEXT) | instid1(VALU_DEP_1)
	v_fma_f64 v[69:70], v[67:68], v[69:70], 1.0
	v_fma_f64 v[65:66], v[67:68], v[69:70], 1.0
	s_delay_alu instid0(VALU_DEP_1) | instskip(NEXT) | instid1(VALU_DEP_1)
	v_ldexp_f64 v[65:66], v[65:66], v0
	v_cndmask_b32_e64 v0, 0x7ff00000, v66, s0
	s_and_b32 s0, s1, s0
	s_delay_alu instid0(VALU_DEP_2) | instid1(SALU_CYCLE_1)
	v_cndmask_b32_e64 v63, 0, v65, s0
	s_mov_b32 s0, 0x55555555
	s_delay_alu instid0(VALU_DEP_2) | instskip(SKIP_1) | instid1(VALU_DEP_1)
	v_cndmask_b32_e64 v64, 0, v0, s1
	s_mov_b32 s1, 0x3fe55555
	v_add_f64 v[65:66], v[63:64], 1.0
	s_delay_alu instid0(VALU_DEP_1) | instskip(SKIP_2) | instid1(VALU_DEP_3)
	v_frexp_mant_f64_e32 v[67:68], v[65:66]
	v_frexp_exp_i32_f64_e32 v0, v[65:66]
	v_add_f64 v[69:70], v[65:66], -1.0
	v_cmp_gt_f64_e64 s0, s[0:1], v[67:68]
	s_delay_alu instid0(VALU_DEP_2) | instskip(SKIP_1) | instid1(VALU_DEP_3)
	v_add_f64 v[67:68], v[69:70], -v[65:66]
	v_add_f64 v[69:70], v[63:64], -v[69:70]
	v_subrev_co_ci_u32_e64 v0, s0, 0, v0, s0
	s_delay_alu instid0(VALU_DEP_3) | instskip(SKIP_1) | instid1(VALU_DEP_2)
	v_add_f64 v[67:68], v[67:68], 1.0
	s_mov_b32 s0, 0x55555780
	v_sub_nc_u32_e32 v73, 0, v0
	s_delay_alu instid0(VALU_DEP_1) | instskip(NEXT) | instid1(VALU_DEP_3)
	v_ldexp_f64 v[65:66], v[65:66], v73
	v_add_f64 v[67:68], v[69:70], v[67:68]
	s_delay_alu instid0(VALU_DEP_2) | instskip(SKIP_1) | instid1(VALU_DEP_3)
	v_add_f64 v[71:72], v[65:66], 1.0
	v_add_f64 v[95:96], v[65:66], -1.0
	v_ldexp_f64 v[67:68], v[67:68], v73
	s_delay_alu instid0(VALU_DEP_3) | instskip(NEXT) | instid1(VALU_DEP_3)
	v_add_f64 v[69:70], v[71:72], -1.0
	v_add_f64 v[97:98], v[95:96], 1.0
	s_delay_alu instid0(VALU_DEP_2) | instskip(NEXT) | instid1(VALU_DEP_2)
	v_add_f64 v[69:70], v[65:66], -v[69:70]
	v_add_f64 v[65:66], v[65:66], -v[97:98]
	s_delay_alu instid0(VALU_DEP_2) | instskip(NEXT) | instid1(VALU_DEP_2)
	v_add_f64 v[69:70], v[67:68], v[69:70]
	v_add_f64 v[65:66], v[67:68], v[65:66]
	s_delay_alu instid0(VALU_DEP_2) | instskip(NEXT) | instid1(VALU_DEP_2)
	v_add_f64 v[73:74], v[71:72], v[69:70]
	v_add_f64 v[97:98], v[95:96], v[65:66]
	s_delay_alu instid0(VALU_DEP_2) | instskip(SKIP_1) | instid1(VALU_DEP_2)
	v_rcp_f64_e32 v[75:76], v[73:74]
	v_add_f64 v[71:72], v[73:74], -v[71:72]
	v_add_f64 v[95:96], v[97:98], -v[95:96]
	s_delay_alu instid0(VALU_DEP_2) | instskip(SKIP_3) | instid1(VALU_DEP_2)
	v_add_f64 v[69:70], v[69:70], -v[71:72]
	s_waitcnt_depctr 0xfff
	v_fma_f64 v[99:100], -v[73:74], v[75:76], 1.0
	v_add_f64 v[65:66], v[65:66], -v[95:96]
	v_fma_f64 v[75:76], v[99:100], v[75:76], v[75:76]
	s_delay_alu instid0(VALU_DEP_1) | instskip(NEXT) | instid1(VALU_DEP_1)
	v_fma_f64 v[67:68], -v[73:74], v[75:76], 1.0
	v_fma_f64 v[67:68], v[67:68], v[75:76], v[75:76]
	s_delay_alu instid0(VALU_DEP_1) | instskip(NEXT) | instid1(VALU_DEP_1)
	v_mul_f64 v[75:76], v[97:98], v[67:68]
	v_mul_f64 v[99:100], v[73:74], v[75:76]
	s_delay_alu instid0(VALU_DEP_1) | instskip(NEXT) | instid1(VALU_DEP_1)
	v_fma_f64 v[71:72], v[75:76], v[73:74], -v[99:100]
	v_fma_f64 v[71:72], v[75:76], v[69:70], v[71:72]
	s_delay_alu instid0(VALU_DEP_1) | instskip(NEXT) | instid1(VALU_DEP_1)
	v_add_f64 v[101:102], v[99:100], v[71:72]
	v_add_f64 v[103:104], v[97:98], -v[101:102]
	v_add_f64 v[95:96], v[101:102], -v[99:100]
	s_delay_alu instid0(VALU_DEP_2) | instskip(NEXT) | instid1(VALU_DEP_2)
	v_add_f64 v[97:98], v[97:98], -v[103:104]
	v_add_f64 v[71:72], v[95:96], -v[71:72]
	s_delay_alu instid0(VALU_DEP_2) | instskip(NEXT) | instid1(VALU_DEP_1)
	v_add_f64 v[97:98], v[97:98], -v[101:102]
	v_add_f64 v[65:66], v[65:66], v[97:98]
	s_delay_alu instid0(VALU_DEP_1) | instskip(NEXT) | instid1(VALU_DEP_1)
	v_add_f64 v[65:66], v[71:72], v[65:66]
	v_add_f64 v[71:72], v[103:104], v[65:66]
	s_delay_alu instid0(VALU_DEP_1) | instskip(SKIP_1) | instid1(VALU_DEP_2)
	v_mul_f64 v[95:96], v[67:68], v[71:72]
	v_add_f64 v[101:102], v[103:104], -v[71:72]
	v_mul_f64 v[97:98], v[73:74], v[95:96]
	s_delay_alu instid0(VALU_DEP_2) | instskip(NEXT) | instid1(VALU_DEP_2)
	v_add_f64 v[65:66], v[65:66], v[101:102]
	v_fma_f64 v[73:74], v[95:96], v[73:74], -v[97:98]
	s_delay_alu instid0(VALU_DEP_1) | instskip(NEXT) | instid1(VALU_DEP_1)
	v_fma_f64 v[69:70], v[95:96], v[69:70], v[73:74]
	v_add_f64 v[73:74], v[97:98], v[69:70]
	s_delay_alu instid0(VALU_DEP_1) | instskip(SKIP_1) | instid1(VALU_DEP_2)
	v_add_f64 v[99:100], v[71:72], -v[73:74]
	v_add_f64 v[97:98], v[73:74], -v[97:98]
	;; [unrolled: 1-line block ×3, first 2 shown]
	s_delay_alu instid0(VALU_DEP_2) | instskip(NEXT) | instid1(VALU_DEP_2)
	v_add_f64 v[69:70], v[97:98], -v[69:70]
	v_add_f64 v[71:72], v[71:72], -v[73:74]
	s_delay_alu instid0(VALU_DEP_1) | instskip(SKIP_1) | instid1(VALU_DEP_2)
	v_add_f64 v[65:66], v[65:66], v[71:72]
	v_add_f64 v[71:72], v[75:76], v[95:96]
	;; [unrolled: 1-line block ×3, first 2 shown]
	s_delay_alu instid0(VALU_DEP_2) | instskip(NEXT) | instid1(VALU_DEP_2)
	v_add_f64 v[69:70], v[71:72], -v[75:76]
	v_add_f64 v[65:66], v[99:100], v[65:66]
	s_delay_alu instid0(VALU_DEP_2) | instskip(NEXT) | instid1(VALU_DEP_2)
	v_add_f64 v[69:70], v[95:96], -v[69:70]
	v_mul_f64 v[65:66], v[67:68], v[65:66]
	s_delay_alu instid0(VALU_DEP_1) | instskip(NEXT) | instid1(VALU_DEP_1)
	v_add_f64 v[65:66], v[69:70], v[65:66]
	v_add_f64 v[67:68], v[71:72], v[65:66]
	s_delay_alu instid0(VALU_DEP_1) | instskip(NEXT) | instid1(VALU_DEP_1)
	v_mul_f64 v[69:70], v[67:68], v[67:68]
	v_fma_f64 v[73:74], v[69:70], s[44:45], s[42:43]
	s_mov_b32 s42, 0xd7f4df2e
	s_mov_b32 s43, 0x3fc7474d
	v_mul_f64 v[75:76], v[67:68], v[69:70]
	s_delay_alu instid0(VALU_DEP_2)
	v_fma_f64 v[73:74], v[69:70], v[73:74], s[42:43]
	s_mov_b32 s42, 0x16291751
	s_mov_b32 s43, 0x3fcc71c0
	s_delay_alu instid0(VALU_DEP_1) | instid1(SALU_CYCLE_1)
	v_fma_f64 v[73:74], v[69:70], v[73:74], s[42:43]
	s_mov_b32 s42, 0x9b27acf1
	s_mov_b32 s43, 0x3fd24924
	s_delay_alu instid0(VALU_DEP_1) | instid1(SALU_CYCLE_1)
	;; [unrolled: 4-line block ×3, first 2 shown]
	v_fma_f64 v[73:74], v[69:70], v[73:74], s[42:43]
	s_delay_alu instid0(VALU_DEP_1) | instskip(SKIP_3) | instid1(VALU_DEP_4)
	v_fma_f64 v[69:70], v[69:70], v[73:74], s[0:1]
	v_ldexp_f64 v[73:74], v[67:68], 1
	v_add_f64 v[67:68], v[67:68], -v[71:72]
	v_cmp_eq_f64_e64 s0, 0x7ff00000, v[63:64]
	v_mul_f64 v[69:70], v[75:76], v[69:70]
	v_cvt_f64_i32_e32 v[75:76], v0
	s_delay_alu instid0(VALU_DEP_4) | instskip(NEXT) | instid1(VALU_DEP_3)
	v_add_f64 v[65:66], v[65:66], -v[67:68]
	v_add_f64 v[71:72], v[73:74], v[69:70]
	s_delay_alu instid0(VALU_DEP_3) | instskip(NEXT) | instid1(VALU_DEP_3)
	v_mul_f64 v[95:96], v[75:76], s[36:37]
	v_ldexp_f64 v[65:66], v[65:66], 1
	s_delay_alu instid0(VALU_DEP_3) | instskip(NEXT) | instid1(VALU_DEP_3)
	v_add_f64 v[67:68], v[71:72], -v[73:74]
	v_fma_f64 v[73:74], v[75:76], s[36:37], -v[95:96]
	s_delay_alu instid0(VALU_DEP_2) | instskip(NEXT) | instid1(VALU_DEP_2)
	v_add_f64 v[67:68], v[69:70], -v[67:68]
	v_fma_f64 v[69:70], v[75:76], s[38:39], v[73:74]
	s_delay_alu instid0(VALU_DEP_2) | instskip(NEXT) | instid1(VALU_DEP_2)
	v_add_f64 v[65:66], v[65:66], v[67:68]
	v_add_f64 v[67:68], v[95:96], v[69:70]
	s_delay_alu instid0(VALU_DEP_2) | instskip(NEXT) | instid1(VALU_DEP_2)
	v_add_f64 v[73:74], v[71:72], v[65:66]
	v_add_f64 v[95:96], v[67:68], -v[95:96]
	s_delay_alu instid0(VALU_DEP_2) | instskip(SKIP_1) | instid1(VALU_DEP_3)
	v_add_f64 v[75:76], v[67:68], v[73:74]
	v_add_f64 v[71:72], v[73:74], -v[71:72]
	v_add_f64 v[69:70], v[69:70], -v[95:96]
	s_delay_alu instid0(VALU_DEP_3) | instskip(NEXT) | instid1(VALU_DEP_3)
	v_add_f64 v[97:98], v[75:76], -v[67:68]
	v_add_f64 v[65:66], v[65:66], -v[71:72]
	s_delay_alu instid0(VALU_DEP_2) | instskip(SKIP_1) | instid1(VALU_DEP_3)
	v_add_f64 v[99:100], v[75:76], -v[97:98]
	v_add_f64 v[71:72], v[73:74], -v[97:98]
	v_add_f64 v[73:74], v[69:70], v[65:66]
	s_delay_alu instid0(VALU_DEP_3) | instskip(NEXT) | instid1(VALU_DEP_1)
	v_add_f64 v[67:68], v[67:68], -v[99:100]
	v_add_f64 v[67:68], v[71:72], v[67:68]
	s_delay_alu instid0(VALU_DEP_3) | instskip(NEXT) | instid1(VALU_DEP_2)
	v_add_f64 v[71:72], v[73:74], -v[69:70]
	v_add_f64 v[67:68], v[73:74], v[67:68]
	s_delay_alu instid0(VALU_DEP_2) | instskip(SKIP_1) | instid1(VALU_DEP_3)
	v_add_f64 v[73:74], v[73:74], -v[71:72]
	v_add_f64 v[65:66], v[65:66], -v[71:72]
	v_add_f64 v[95:96], v[75:76], v[67:68]
	s_delay_alu instid0(VALU_DEP_3) | instskip(NEXT) | instid1(VALU_DEP_2)
	v_add_f64 v[69:70], v[69:70], -v[73:74]
	v_add_f64 v[71:72], v[95:96], -v[75:76]
	s_delay_alu instid0(VALU_DEP_2) | instskip(NEXT) | instid1(VALU_DEP_2)
	v_add_f64 v[65:66], v[65:66], v[69:70]
	v_add_f64 v[67:68], v[67:68], -v[71:72]
	s_delay_alu instid0(VALU_DEP_1) | instskip(NEXT) | instid1(VALU_DEP_1)
	v_add_f64 v[65:66], v[65:66], v[67:68]
	v_add_f64 v[65:66], v[95:96], v[65:66]
	s_delay_alu instid0(VALU_DEP_1) | instskip(NEXT) | instid1(VALU_DEP_2)
	v_cndmask_b32_e64 v0, v65, v63, s0
	v_cndmask_b32_e64 v65, v66, v64, s0
	v_cmp_ngt_f64_e64 s0, -1.0, v[63:64]
	s_delay_alu instid0(VALU_DEP_1) | instskip(SKIP_1) | instid1(VALU_DEP_1)
	v_cndmask_b32_e64 v66, 0x7ff80000, v65, s0
	v_cmp_nge_f64_e64 s0, -1.0, v[63:64]
	v_cndmask_b32_e64 v65, 0, v0, s0
	v_cmp_neq_f64_e64 s0, -1.0, v[63:64]
	s_delay_alu instid0(VALU_DEP_1) | instskip(NEXT) | instid1(VALU_DEP_1)
	v_cndmask_b32_e64 v66, 0xfff00000, v66, s0
	v_add_f64 v[69:70], v[1:2], v[65:66]
.LBB26_105:
	s_or_b32 exec_lo, exec_lo, s33
	s_delay_alu instid0(VALU_DEP_1) | instskip(SKIP_1) | instid1(VALU_DEP_1)
	v_max_f64 v[0:1], v[69:70], v[69:70]
	;;#ASMSTART
	;;#ASMEND
	v_min_f64 v[65:66], v[0:1], v[35:36]
	v_max_f64 v[67:68], v[0:1], v[35:36]
	v_dual_mov_b32 v1, v69 :: v_dual_mov_b32 v2, v70
.LBB26_106:
	s_or_b32 exec_lo, exec_lo, s40
	s_delay_alu instid0(VALU_DEP_1) | instskip(NEXT) | instid1(VALU_DEP_1)
	v_cmp_u_f64_e64 s0, v[1:2], v[1:2]
	v_cndmask_b32_e64 v0, v65, v1, s0
	v_cndmask_b32_e64 v35, v66, v2, s0
	;; [unrolled: 1-line block ×4, first 2 shown]
	s_delay_alu instid0(VALU_DEP_4) | instskip(NEXT) | instid1(VALU_DEP_4)
	v_cndmask_b32_e64 v63, v0, v3, s17
	v_cndmask_b32_e64 v64, v35, v4, s17
	s_delay_alu instid0(VALU_DEP_4) | instskip(NEXT) | instid1(VALU_DEP_4)
	v_cndmask_b32_e64 v36, v36, v4, s17
	v_cndmask_b32_e64 v35, v65, v3, s17
	v_dual_mov_b32 v4, v2 :: v_dual_mov_b32 v3, v1
	s_delay_alu instid0(VALU_DEP_4) | instskip(NEXT) | instid1(VALU_DEP_3)
	v_cmp_class_f64_e64 s1, v[63:64], 0x1f8
	v_cmp_neq_f64_e64 s0, v[63:64], v[35:36]
	s_delay_alu instid0(VALU_DEP_1) | instskip(NEXT) | instid1(SALU_CYCLE_1)
	s_or_b32 s0, s0, s1
	s_and_saveexec_b32 s17, s0
	s_cbranch_execz .LBB26_108
; %bb.107:
	v_add_f64 v[3:4], v[63:64], -v[35:36]
	s_mov_b32 s0, 0x652b82fe
	s_mov_b32 s1, 0x3ff71547
	;; [unrolled: 1-line block ×10, first 2 shown]
	s_delay_alu instid0(VALU_DEP_1) | instskip(SKIP_2) | instid1(VALU_DEP_1)
	v_mul_f64 v[63:64], v[3:4], s[0:1]
	s_mov_b32 s0, 0xfca7ab0c
	s_mov_b32 s1, 0x3e928af3
	v_rndne_f64_e32 v[63:64], v[63:64]
	s_delay_alu instid0(VALU_DEP_1) | instskip(SKIP_2) | instid1(VALU_DEP_2)
	v_fma_f64 v[65:66], v[63:64], s[36:37], v[3:4]
	v_cvt_i32_f64_e32 v0, v[63:64]
	s_mov_b32 s37, 0x3fe62e42
	v_fma_f64 v[65:66], v[63:64], s[38:39], v[65:66]
	s_mov_b32 s39, 0x3c7abc9e
	s_delay_alu instid0(VALU_DEP_1) | instskip(SKIP_4) | instid1(VALU_DEP_1)
	v_fma_f64 v[67:68], v[65:66], s[40:41], s[0:1]
	s_mov_b32 s0, 0x623fde64
	s_mov_b32 s1, 0x3ec71dee
	;; [unrolled: 1-line block ×4, first 2 shown]
	v_fma_f64 v[67:68], v[65:66], v[67:68], s[0:1]
	s_mov_b32 s0, 0x7c89e6b0
	s_mov_b32 s1, 0x3efa0199
	s_delay_alu instid0(VALU_DEP_1) | instid1(SALU_CYCLE_1)
	v_fma_f64 v[67:68], v[65:66], v[67:68], s[0:1]
	s_mov_b32 s0, 0x14761f6e
	s_mov_b32 s1, 0x3f2a01a0
	s_delay_alu instid0(VALU_DEP_1) | instid1(SALU_CYCLE_1)
	;; [unrolled: 4-line block ×7, first 2 shown]
	v_fma_f64 v[67:68], v[65:66], v[67:68], s[0:1]
	v_cmp_nlt_f64_e64 s0, 0x40900000, v[3:4]
	v_cmp_ngt_f64_e64 s1, 0xc090cc00, v[3:4]
	s_delay_alu instid0(VALU_DEP_3) | instskip(NEXT) | instid1(VALU_DEP_1)
	v_fma_f64 v[67:68], v[65:66], v[67:68], 1.0
	v_fma_f64 v[63:64], v[65:66], v[67:68], 1.0
	s_delay_alu instid0(VALU_DEP_1) | instskip(NEXT) | instid1(VALU_DEP_1)
	v_ldexp_f64 v[63:64], v[63:64], v0
	v_cndmask_b32_e64 v0, 0x7ff00000, v64, s0
	s_and_b32 s0, s1, s0
	s_delay_alu instid0(VALU_DEP_2) | instid1(SALU_CYCLE_1)
	v_cndmask_b32_e64 v3, 0, v63, s0
	s_mov_b32 s0, 0x55555555
	s_delay_alu instid0(VALU_DEP_2) | instskip(SKIP_1) | instid1(VALU_DEP_1)
	v_cndmask_b32_e64 v4, 0, v0, s1
	s_mov_b32 s1, 0x3fe55555
	v_add_f64 v[63:64], v[3:4], 1.0
	s_delay_alu instid0(VALU_DEP_1) | instskip(SKIP_2) | instid1(VALU_DEP_3)
	v_frexp_mant_f64_e32 v[65:66], v[63:64]
	v_frexp_exp_i32_f64_e32 v0, v[63:64]
	v_add_f64 v[67:68], v[63:64], -1.0
	v_cmp_gt_f64_e64 s0, s[0:1], v[65:66]
	s_delay_alu instid0(VALU_DEP_2) | instskip(SKIP_1) | instid1(VALU_DEP_3)
	v_add_f64 v[65:66], v[67:68], -v[63:64]
	v_add_f64 v[67:68], v[3:4], -v[67:68]
	v_subrev_co_ci_u32_e64 v0, s0, 0, v0, s0
	s_delay_alu instid0(VALU_DEP_3) | instskip(SKIP_1) | instid1(VALU_DEP_2)
	v_add_f64 v[65:66], v[65:66], 1.0
	s_mov_b32 s0, 0x55555780
	v_sub_nc_u32_e32 v71, 0, v0
	s_delay_alu instid0(VALU_DEP_1) | instskip(NEXT) | instid1(VALU_DEP_3)
	v_ldexp_f64 v[63:64], v[63:64], v71
	v_add_f64 v[65:66], v[67:68], v[65:66]
	s_waitcnt lgkmcnt(0)
	s_delay_alu instid0(VALU_DEP_2) | instskip(SKIP_1) | instid1(VALU_DEP_3)
	v_add_f64 v[69:70], v[63:64], 1.0
	v_add_f64 v[75:76], v[63:64], -1.0
	v_ldexp_f64 v[65:66], v[65:66], v71
	s_delay_alu instid0(VALU_DEP_3) | instskip(NEXT) | instid1(VALU_DEP_3)
	v_add_f64 v[67:68], v[69:70], -1.0
	v_add_f64 v[95:96], v[75:76], 1.0
	s_delay_alu instid0(VALU_DEP_2) | instskip(NEXT) | instid1(VALU_DEP_2)
	v_add_f64 v[67:68], v[63:64], -v[67:68]
	v_add_f64 v[63:64], v[63:64], -v[95:96]
	s_delay_alu instid0(VALU_DEP_2) | instskip(NEXT) | instid1(VALU_DEP_2)
	v_add_f64 v[67:68], v[65:66], v[67:68]
	v_add_f64 v[63:64], v[65:66], v[63:64]
	s_delay_alu instid0(VALU_DEP_2) | instskip(NEXT) | instid1(VALU_DEP_2)
	v_add_f64 v[71:72], v[69:70], v[67:68]
	v_add_f64 v[95:96], v[75:76], v[63:64]
	s_delay_alu instid0(VALU_DEP_2) | instskip(SKIP_1) | instid1(VALU_DEP_2)
	v_rcp_f64_e32 v[73:74], v[71:72]
	v_add_f64 v[69:70], v[71:72], -v[69:70]
	v_add_f64 v[75:76], v[95:96], -v[75:76]
	s_delay_alu instid0(VALU_DEP_2) | instskip(SKIP_3) | instid1(VALU_DEP_2)
	v_add_f64 v[67:68], v[67:68], -v[69:70]
	s_waitcnt_depctr 0xfff
	v_fma_f64 v[97:98], -v[71:72], v[73:74], 1.0
	v_add_f64 v[63:64], v[63:64], -v[75:76]
	v_fma_f64 v[73:74], v[97:98], v[73:74], v[73:74]
	s_delay_alu instid0(VALU_DEP_1) | instskip(NEXT) | instid1(VALU_DEP_1)
	v_fma_f64 v[65:66], -v[71:72], v[73:74], 1.0
	v_fma_f64 v[65:66], v[65:66], v[73:74], v[73:74]
	s_delay_alu instid0(VALU_DEP_1) | instskip(NEXT) | instid1(VALU_DEP_1)
	v_mul_f64 v[73:74], v[95:96], v[65:66]
	v_mul_f64 v[97:98], v[71:72], v[73:74]
	s_delay_alu instid0(VALU_DEP_1) | instskip(NEXT) | instid1(VALU_DEP_1)
	v_fma_f64 v[69:70], v[73:74], v[71:72], -v[97:98]
	v_fma_f64 v[69:70], v[73:74], v[67:68], v[69:70]
	s_delay_alu instid0(VALU_DEP_1) | instskip(NEXT) | instid1(VALU_DEP_1)
	v_add_f64 v[99:100], v[97:98], v[69:70]
	v_add_f64 v[101:102], v[95:96], -v[99:100]
	v_add_f64 v[75:76], v[99:100], -v[97:98]
	s_delay_alu instid0(VALU_DEP_2) | instskip(NEXT) | instid1(VALU_DEP_2)
	v_add_f64 v[95:96], v[95:96], -v[101:102]
	v_add_f64 v[69:70], v[75:76], -v[69:70]
	s_delay_alu instid0(VALU_DEP_2) | instskip(NEXT) | instid1(VALU_DEP_1)
	v_add_f64 v[95:96], v[95:96], -v[99:100]
	v_add_f64 v[63:64], v[63:64], v[95:96]
	s_delay_alu instid0(VALU_DEP_1) | instskip(NEXT) | instid1(VALU_DEP_1)
	v_add_f64 v[63:64], v[69:70], v[63:64]
	v_add_f64 v[69:70], v[101:102], v[63:64]
	s_delay_alu instid0(VALU_DEP_1) | instskip(SKIP_1) | instid1(VALU_DEP_2)
	v_mul_f64 v[75:76], v[65:66], v[69:70]
	v_add_f64 v[99:100], v[101:102], -v[69:70]
	v_mul_f64 v[95:96], v[71:72], v[75:76]
	s_delay_alu instid0(VALU_DEP_2) | instskip(NEXT) | instid1(VALU_DEP_2)
	v_add_f64 v[63:64], v[63:64], v[99:100]
	v_fma_f64 v[71:72], v[75:76], v[71:72], -v[95:96]
	s_delay_alu instid0(VALU_DEP_1) | instskip(NEXT) | instid1(VALU_DEP_1)
	v_fma_f64 v[67:68], v[75:76], v[67:68], v[71:72]
	v_add_f64 v[71:72], v[95:96], v[67:68]
	s_delay_alu instid0(VALU_DEP_1) | instskip(SKIP_1) | instid1(VALU_DEP_2)
	v_add_f64 v[97:98], v[69:70], -v[71:72]
	v_add_f64 v[95:96], v[71:72], -v[95:96]
	;; [unrolled: 1-line block ×3, first 2 shown]
	s_delay_alu instid0(VALU_DEP_2) | instskip(NEXT) | instid1(VALU_DEP_2)
	v_add_f64 v[67:68], v[95:96], -v[67:68]
	v_add_f64 v[69:70], v[69:70], -v[71:72]
	s_delay_alu instid0(VALU_DEP_1) | instskip(SKIP_1) | instid1(VALU_DEP_2)
	v_add_f64 v[63:64], v[63:64], v[69:70]
	v_add_f64 v[69:70], v[73:74], v[75:76]
	;; [unrolled: 1-line block ×3, first 2 shown]
	s_delay_alu instid0(VALU_DEP_2) | instskip(NEXT) | instid1(VALU_DEP_2)
	v_add_f64 v[67:68], v[69:70], -v[73:74]
	v_add_f64 v[63:64], v[97:98], v[63:64]
	s_delay_alu instid0(VALU_DEP_2) | instskip(NEXT) | instid1(VALU_DEP_2)
	v_add_f64 v[67:68], v[75:76], -v[67:68]
	v_mul_f64 v[63:64], v[65:66], v[63:64]
	s_delay_alu instid0(VALU_DEP_1) | instskip(NEXT) | instid1(VALU_DEP_1)
	v_add_f64 v[63:64], v[67:68], v[63:64]
	v_add_f64 v[65:66], v[69:70], v[63:64]
	s_delay_alu instid0(VALU_DEP_1) | instskip(NEXT) | instid1(VALU_DEP_1)
	v_mul_f64 v[67:68], v[65:66], v[65:66]
	v_fma_f64 v[71:72], v[67:68], s[42:43], s[40:41]
	s_mov_b32 s40, 0xd7f4df2e
	s_mov_b32 s41, 0x3fc7474d
	v_mul_f64 v[73:74], v[65:66], v[67:68]
	s_delay_alu instid0(VALU_DEP_2)
	v_fma_f64 v[71:72], v[67:68], v[71:72], s[40:41]
	s_mov_b32 s40, 0x16291751
	s_mov_b32 s41, 0x3fcc71c0
	s_delay_alu instid0(VALU_DEP_1) | instid1(SALU_CYCLE_1)
	v_fma_f64 v[71:72], v[67:68], v[71:72], s[40:41]
	s_mov_b32 s40, 0x9b27acf1
	s_mov_b32 s41, 0x3fd24924
	s_delay_alu instid0(VALU_DEP_1) | instid1(SALU_CYCLE_1)
	v_fma_f64 v[71:72], v[67:68], v[71:72], s[40:41]
	s_mov_b32 s40, 0x998ef7b6
	s_mov_b32 s41, 0x3fd99999
	s_delay_alu instid0(VALU_DEP_1) | instid1(SALU_CYCLE_1)
	v_fma_f64 v[71:72], v[67:68], v[71:72], s[40:41]
	s_delay_alu instid0(VALU_DEP_1) | instskip(SKIP_3) | instid1(VALU_DEP_4)
	v_fma_f64 v[67:68], v[67:68], v[71:72], s[0:1]
	v_ldexp_f64 v[71:72], v[65:66], 1
	v_add_f64 v[65:66], v[65:66], -v[69:70]
	v_cmp_eq_f64_e64 s0, 0x7ff00000, v[3:4]
	v_mul_f64 v[67:68], v[73:74], v[67:68]
	v_cvt_f64_i32_e32 v[73:74], v0
	s_delay_alu instid0(VALU_DEP_4) | instskip(NEXT) | instid1(VALU_DEP_3)
	v_add_f64 v[63:64], v[63:64], -v[65:66]
	v_add_f64 v[69:70], v[71:72], v[67:68]
	s_delay_alu instid0(VALU_DEP_3) | instskip(NEXT) | instid1(VALU_DEP_3)
	v_mul_f64 v[75:76], v[73:74], s[36:37]
	v_ldexp_f64 v[63:64], v[63:64], 1
	s_delay_alu instid0(VALU_DEP_3) | instskip(NEXT) | instid1(VALU_DEP_3)
	v_add_f64 v[65:66], v[69:70], -v[71:72]
	v_fma_f64 v[71:72], v[73:74], s[36:37], -v[75:76]
	s_delay_alu instid0(VALU_DEP_2) | instskip(NEXT) | instid1(VALU_DEP_2)
	v_add_f64 v[65:66], v[67:68], -v[65:66]
	v_fma_f64 v[67:68], v[73:74], s[38:39], v[71:72]
	s_delay_alu instid0(VALU_DEP_2) | instskip(NEXT) | instid1(VALU_DEP_2)
	v_add_f64 v[63:64], v[63:64], v[65:66]
	v_add_f64 v[65:66], v[75:76], v[67:68]
	s_delay_alu instid0(VALU_DEP_2) | instskip(NEXT) | instid1(VALU_DEP_2)
	v_add_f64 v[71:72], v[69:70], v[63:64]
	v_add_f64 v[75:76], v[65:66], -v[75:76]
	s_delay_alu instid0(VALU_DEP_2) | instskip(SKIP_1) | instid1(VALU_DEP_3)
	v_add_f64 v[73:74], v[65:66], v[71:72]
	v_add_f64 v[69:70], v[71:72], -v[69:70]
	v_add_f64 v[67:68], v[67:68], -v[75:76]
	s_delay_alu instid0(VALU_DEP_3) | instskip(NEXT) | instid1(VALU_DEP_3)
	v_add_f64 v[95:96], v[73:74], -v[65:66]
	v_add_f64 v[63:64], v[63:64], -v[69:70]
	s_delay_alu instid0(VALU_DEP_2) | instskip(SKIP_1) | instid1(VALU_DEP_3)
	v_add_f64 v[97:98], v[73:74], -v[95:96]
	v_add_f64 v[69:70], v[71:72], -v[95:96]
	v_add_f64 v[71:72], v[67:68], v[63:64]
	s_delay_alu instid0(VALU_DEP_3) | instskip(NEXT) | instid1(VALU_DEP_1)
	v_add_f64 v[65:66], v[65:66], -v[97:98]
	v_add_f64 v[65:66], v[69:70], v[65:66]
	s_delay_alu instid0(VALU_DEP_3) | instskip(NEXT) | instid1(VALU_DEP_2)
	v_add_f64 v[69:70], v[71:72], -v[67:68]
	v_add_f64 v[65:66], v[71:72], v[65:66]
	s_delay_alu instid0(VALU_DEP_2) | instskip(SKIP_1) | instid1(VALU_DEP_3)
	v_add_f64 v[71:72], v[71:72], -v[69:70]
	v_add_f64 v[63:64], v[63:64], -v[69:70]
	v_add_f64 v[75:76], v[73:74], v[65:66]
	s_delay_alu instid0(VALU_DEP_3) | instskip(NEXT) | instid1(VALU_DEP_2)
	v_add_f64 v[67:68], v[67:68], -v[71:72]
	v_add_f64 v[69:70], v[75:76], -v[73:74]
	s_delay_alu instid0(VALU_DEP_2) | instskip(NEXT) | instid1(VALU_DEP_2)
	v_add_f64 v[63:64], v[63:64], v[67:68]
	v_add_f64 v[65:66], v[65:66], -v[69:70]
	s_delay_alu instid0(VALU_DEP_1) | instskip(NEXT) | instid1(VALU_DEP_1)
	v_add_f64 v[63:64], v[63:64], v[65:66]
	v_add_f64 v[63:64], v[75:76], v[63:64]
	s_delay_alu instid0(VALU_DEP_1) | instskip(NEXT) | instid1(VALU_DEP_2)
	v_cndmask_b32_e64 v0, v63, v3, s0
	v_cndmask_b32_e64 v63, v64, v4, s0
	v_cmp_ngt_f64_e64 s0, -1.0, v[3:4]
	s_delay_alu instid0(VALU_DEP_1) | instskip(SKIP_1) | instid1(VALU_DEP_1)
	v_cndmask_b32_e64 v64, 0x7ff80000, v63, s0
	v_cmp_nge_f64_e64 s0, -1.0, v[3:4]
	v_cndmask_b32_e64 v63, 0, v0, s0
	v_cmp_neq_f64_e64 s0, -1.0, v[3:4]
	s_delay_alu instid0(VALU_DEP_1) | instskip(NEXT) | instid1(VALU_DEP_1)
	v_cndmask_b32_e64 v64, 0xfff00000, v64, s0
	v_add_f64 v[3:4], v[35:36], v[63:64]
.LBB26_108:
	s_or_b32 exec_lo, exec_lo, s17
	s_delay_alu instid0(VALU_DEP_1) | instskip(SKIP_1) | instid1(VALU_DEP_2)
	v_max_f64 v[35:36], v[3:4], v[3:4]
	v_cmp_u_f64_e64 s0, v[3:4], v[3:4]
	v_min_f64 v[63:64], v[35:36], v[33:34]
	v_max_f64 v[33:34], v[35:36], v[33:34]
	s_delay_alu instid0(VALU_DEP_2) | instskip(NEXT) | instid1(VALU_DEP_3)
	v_cndmask_b32_e64 v0, v63, v3, s0
	v_cndmask_b32_e64 v35, v64, v4, s0
	s_delay_alu instid0(VALU_DEP_3) | instskip(NEXT) | instid1(VALU_DEP_4)
	v_cndmask_b32_e64 v34, v34, v4, s0
	v_cndmask_b32_e64 v33, v33, v3, s0
	s_delay_alu instid0(VALU_DEP_3) | instskip(SKIP_1) | instid1(VALU_DEP_4)
	v_cndmask_b32_e64 v36, v35, v30, s18
	v_cndmask_b32_e64 v35, v0, v29, s18
	;; [unrolled: 1-line block ×3, first 2 shown]
	s_delay_alu instid0(VALU_DEP_4) | instskip(SKIP_1) | instid1(VALU_DEP_4)
	v_cndmask_b32_e64 v33, v33, v29, s18
	v_dual_mov_b32 v30, v4 :: v_dual_mov_b32 v29, v3
	v_cmp_class_f64_e64 s1, v[35:36], 0x1f8
	s_delay_alu instid0(VALU_DEP_3) | instskip(NEXT) | instid1(VALU_DEP_1)
	v_cmp_neq_f64_e64 s0, v[35:36], v[33:34]
	s_or_b32 s0, s0, s1
	s_delay_alu instid0(SALU_CYCLE_1)
	s_and_saveexec_b32 s17, s0
	s_cbranch_execz .LBB26_110
; %bb.109:
	v_add_f64 v[29:30], v[35:36], -v[33:34]
	s_mov_b32 s0, 0x652b82fe
	s_mov_b32 s1, 0x3ff71547
	s_mov_b32 s37, 0xbfe62e42
	s_mov_b32 s36, 0xfefa39ef
	s_mov_b32 s39, 0xbc7abc9e
	s_mov_b32 s38, 0x3b39803f
	s_mov_b32 s40, 0x6a5dcb37
	s_mov_b32 s41, 0x3e5ade15
	s_mov_b32 s42, 0xbf559e2b
	s_mov_b32 s43, 0x3fc3ab76
	s_delay_alu instid0(VALU_DEP_1) | instskip(SKIP_2) | instid1(VALU_DEP_1)
	v_mul_f64 v[35:36], v[29:30], s[0:1]
	s_mov_b32 s0, 0xfca7ab0c
	s_mov_b32 s1, 0x3e928af3
	v_rndne_f64_e32 v[35:36], v[35:36]
	s_delay_alu instid0(VALU_DEP_1) | instskip(SKIP_2) | instid1(VALU_DEP_2)
	v_fma_f64 v[63:64], v[35:36], s[36:37], v[29:30]
	v_cvt_i32_f64_e32 v0, v[35:36]
	s_mov_b32 s37, 0x3fe62e42
	v_fma_f64 v[63:64], v[35:36], s[38:39], v[63:64]
	s_mov_b32 s39, 0x3c7abc9e
	s_delay_alu instid0(VALU_DEP_1) | instskip(SKIP_4) | instid1(VALU_DEP_1)
	v_fma_f64 v[65:66], v[63:64], s[40:41], s[0:1]
	s_mov_b32 s0, 0x623fde64
	s_mov_b32 s1, 0x3ec71dee
	s_mov_b32 s40, 0x6b47b09a
	s_mov_b32 s41, 0x3fc38538
	v_fma_f64 v[65:66], v[63:64], v[65:66], s[0:1]
	s_mov_b32 s0, 0x7c89e6b0
	s_mov_b32 s1, 0x3efa0199
	s_delay_alu instid0(VALU_DEP_1) | instid1(SALU_CYCLE_1)
	v_fma_f64 v[65:66], v[63:64], v[65:66], s[0:1]
	s_mov_b32 s0, 0x14761f6e
	s_mov_b32 s1, 0x3f2a01a0
	s_delay_alu instid0(VALU_DEP_1) | instid1(SALU_CYCLE_1)
	;; [unrolled: 4-line block ×7, first 2 shown]
	v_fma_f64 v[65:66], v[63:64], v[65:66], s[0:1]
	v_cmp_nlt_f64_e64 s0, 0x40900000, v[29:30]
	v_cmp_ngt_f64_e64 s1, 0xc090cc00, v[29:30]
	s_delay_alu instid0(VALU_DEP_3) | instskip(NEXT) | instid1(VALU_DEP_1)
	v_fma_f64 v[65:66], v[63:64], v[65:66], 1.0
	v_fma_f64 v[35:36], v[63:64], v[65:66], 1.0
	s_delay_alu instid0(VALU_DEP_1) | instskip(NEXT) | instid1(VALU_DEP_1)
	v_ldexp_f64 v[35:36], v[35:36], v0
	v_cndmask_b32_e64 v0, 0x7ff00000, v36, s0
	s_and_b32 s0, s1, s0
	s_delay_alu instid0(VALU_DEP_2) | instid1(SALU_CYCLE_1)
	v_cndmask_b32_e64 v29, 0, v35, s0
	s_mov_b32 s0, 0x55555555
	s_delay_alu instid0(VALU_DEP_2) | instskip(SKIP_1) | instid1(VALU_DEP_1)
	v_cndmask_b32_e64 v30, 0, v0, s1
	s_mov_b32 s1, 0x3fe55555
	v_add_f64 v[35:36], v[29:30], 1.0
	s_delay_alu instid0(VALU_DEP_1) | instskip(SKIP_2) | instid1(VALU_DEP_3)
	v_frexp_mant_f64_e32 v[63:64], v[35:36]
	v_frexp_exp_i32_f64_e32 v0, v[35:36]
	v_add_f64 v[65:66], v[35:36], -1.0
	v_cmp_gt_f64_e64 s0, s[0:1], v[63:64]
	s_delay_alu instid0(VALU_DEP_2) | instskip(SKIP_1) | instid1(VALU_DEP_3)
	v_add_f64 v[63:64], v[65:66], -v[35:36]
	v_add_f64 v[65:66], v[29:30], -v[65:66]
	v_subrev_co_ci_u32_e64 v0, s0, 0, v0, s0
	s_delay_alu instid0(VALU_DEP_3) | instskip(SKIP_2) | instid1(VALU_DEP_2)
	v_add_f64 v[63:64], v[63:64], 1.0
	s_mov_b32 s0, 0x55555780
	s_waitcnt lgkmcnt(1)
	v_sub_nc_u32_e32 v69, 0, v0
	s_delay_alu instid0(VALU_DEP_1) | instskip(NEXT) | instid1(VALU_DEP_3)
	v_ldexp_f64 v[35:36], v[35:36], v69
	v_add_f64 v[63:64], v[65:66], v[63:64]
	s_delay_alu instid0(VALU_DEP_2) | instskip(SKIP_1) | instid1(VALU_DEP_3)
	v_add_f64 v[67:68], v[35:36], 1.0
	v_add_f64 v[73:74], v[35:36], -1.0
	v_ldexp_f64 v[63:64], v[63:64], v69
	s_delay_alu instid0(VALU_DEP_3) | instskip(NEXT) | instid1(VALU_DEP_3)
	v_add_f64 v[65:66], v[67:68], -1.0
	v_add_f64 v[75:76], v[73:74], 1.0
	s_delay_alu instid0(VALU_DEP_2) | instskip(NEXT) | instid1(VALU_DEP_2)
	v_add_f64 v[65:66], v[35:36], -v[65:66]
	v_add_f64 v[35:36], v[35:36], -v[75:76]
	s_delay_alu instid0(VALU_DEP_2) | instskip(NEXT) | instid1(VALU_DEP_2)
	v_add_f64 v[65:66], v[63:64], v[65:66]
	v_add_f64 v[35:36], v[63:64], v[35:36]
	s_waitcnt lgkmcnt(0)
	s_delay_alu instid0(VALU_DEP_2) | instskip(NEXT) | instid1(VALU_DEP_2)
	v_add_f64 v[69:70], v[67:68], v[65:66]
	v_add_f64 v[75:76], v[73:74], v[35:36]
	s_delay_alu instid0(VALU_DEP_2) | instskip(SKIP_1) | instid1(VALU_DEP_2)
	v_rcp_f64_e32 v[71:72], v[69:70]
	v_add_f64 v[67:68], v[69:70], -v[67:68]
	v_add_f64 v[73:74], v[75:76], -v[73:74]
	s_delay_alu instid0(VALU_DEP_2) | instskip(SKIP_3) | instid1(VALU_DEP_2)
	v_add_f64 v[65:66], v[65:66], -v[67:68]
	s_waitcnt_depctr 0xfff
	v_fma_f64 v[95:96], -v[69:70], v[71:72], 1.0
	v_add_f64 v[35:36], v[35:36], -v[73:74]
	v_fma_f64 v[71:72], v[95:96], v[71:72], v[71:72]
	s_delay_alu instid0(VALU_DEP_1) | instskip(NEXT) | instid1(VALU_DEP_1)
	v_fma_f64 v[63:64], -v[69:70], v[71:72], 1.0
	v_fma_f64 v[63:64], v[63:64], v[71:72], v[71:72]
	s_delay_alu instid0(VALU_DEP_1) | instskip(NEXT) | instid1(VALU_DEP_1)
	v_mul_f64 v[71:72], v[75:76], v[63:64]
	v_mul_f64 v[95:96], v[69:70], v[71:72]
	s_delay_alu instid0(VALU_DEP_1) | instskip(NEXT) | instid1(VALU_DEP_1)
	v_fma_f64 v[67:68], v[71:72], v[69:70], -v[95:96]
	v_fma_f64 v[67:68], v[71:72], v[65:66], v[67:68]
	s_delay_alu instid0(VALU_DEP_1) | instskip(NEXT) | instid1(VALU_DEP_1)
	v_add_f64 v[97:98], v[95:96], v[67:68]
	v_add_f64 v[99:100], v[75:76], -v[97:98]
	v_add_f64 v[73:74], v[97:98], -v[95:96]
	s_delay_alu instid0(VALU_DEP_2) | instskip(NEXT) | instid1(VALU_DEP_2)
	v_add_f64 v[75:76], v[75:76], -v[99:100]
	v_add_f64 v[67:68], v[73:74], -v[67:68]
	s_delay_alu instid0(VALU_DEP_2) | instskip(NEXT) | instid1(VALU_DEP_1)
	v_add_f64 v[75:76], v[75:76], -v[97:98]
	v_add_f64 v[35:36], v[35:36], v[75:76]
	s_delay_alu instid0(VALU_DEP_1) | instskip(NEXT) | instid1(VALU_DEP_1)
	v_add_f64 v[35:36], v[67:68], v[35:36]
	v_add_f64 v[67:68], v[99:100], v[35:36]
	s_delay_alu instid0(VALU_DEP_1) | instskip(SKIP_1) | instid1(VALU_DEP_2)
	v_mul_f64 v[73:74], v[63:64], v[67:68]
	v_add_f64 v[97:98], v[99:100], -v[67:68]
	v_mul_f64 v[75:76], v[69:70], v[73:74]
	s_delay_alu instid0(VALU_DEP_2) | instskip(NEXT) | instid1(VALU_DEP_2)
	v_add_f64 v[35:36], v[35:36], v[97:98]
	v_fma_f64 v[69:70], v[73:74], v[69:70], -v[75:76]
	s_delay_alu instid0(VALU_DEP_1) | instskip(NEXT) | instid1(VALU_DEP_1)
	v_fma_f64 v[65:66], v[73:74], v[65:66], v[69:70]
	v_add_f64 v[69:70], v[75:76], v[65:66]
	s_delay_alu instid0(VALU_DEP_1) | instskip(SKIP_1) | instid1(VALU_DEP_2)
	v_add_f64 v[95:96], v[67:68], -v[69:70]
	v_add_f64 v[75:76], v[69:70], -v[75:76]
	;; [unrolled: 1-line block ×3, first 2 shown]
	s_delay_alu instid0(VALU_DEP_2) | instskip(NEXT) | instid1(VALU_DEP_2)
	v_add_f64 v[65:66], v[75:76], -v[65:66]
	v_add_f64 v[67:68], v[67:68], -v[69:70]
	s_delay_alu instid0(VALU_DEP_1) | instskip(SKIP_1) | instid1(VALU_DEP_2)
	v_add_f64 v[35:36], v[35:36], v[67:68]
	v_add_f64 v[67:68], v[71:72], v[73:74]
	;; [unrolled: 1-line block ×3, first 2 shown]
	s_delay_alu instid0(VALU_DEP_2) | instskip(NEXT) | instid1(VALU_DEP_2)
	v_add_f64 v[65:66], v[67:68], -v[71:72]
	v_add_f64 v[35:36], v[95:96], v[35:36]
	s_delay_alu instid0(VALU_DEP_2) | instskip(NEXT) | instid1(VALU_DEP_2)
	v_add_f64 v[65:66], v[73:74], -v[65:66]
	v_mul_f64 v[35:36], v[63:64], v[35:36]
	s_delay_alu instid0(VALU_DEP_1) | instskip(NEXT) | instid1(VALU_DEP_1)
	v_add_f64 v[35:36], v[65:66], v[35:36]
	v_add_f64 v[63:64], v[67:68], v[35:36]
	s_delay_alu instid0(VALU_DEP_1) | instskip(NEXT) | instid1(VALU_DEP_1)
	v_mul_f64 v[65:66], v[63:64], v[63:64]
	v_fma_f64 v[69:70], v[65:66], s[42:43], s[40:41]
	s_mov_b32 s40, 0xd7f4df2e
	s_mov_b32 s41, 0x3fc7474d
	v_mul_f64 v[71:72], v[63:64], v[65:66]
	s_delay_alu instid0(VALU_DEP_2)
	v_fma_f64 v[69:70], v[65:66], v[69:70], s[40:41]
	s_mov_b32 s40, 0x16291751
	s_mov_b32 s41, 0x3fcc71c0
	s_delay_alu instid0(VALU_DEP_1) | instid1(SALU_CYCLE_1)
	v_fma_f64 v[69:70], v[65:66], v[69:70], s[40:41]
	s_mov_b32 s40, 0x9b27acf1
	s_mov_b32 s41, 0x3fd24924
	s_delay_alu instid0(VALU_DEP_1) | instid1(SALU_CYCLE_1)
	;; [unrolled: 4-line block ×3, first 2 shown]
	v_fma_f64 v[69:70], v[65:66], v[69:70], s[40:41]
	s_delay_alu instid0(VALU_DEP_1) | instskip(SKIP_3) | instid1(VALU_DEP_4)
	v_fma_f64 v[65:66], v[65:66], v[69:70], s[0:1]
	v_ldexp_f64 v[69:70], v[63:64], 1
	v_add_f64 v[63:64], v[63:64], -v[67:68]
	v_cmp_eq_f64_e64 s0, 0x7ff00000, v[29:30]
	v_mul_f64 v[65:66], v[71:72], v[65:66]
	v_cvt_f64_i32_e32 v[71:72], v0
	s_delay_alu instid0(VALU_DEP_4) | instskip(NEXT) | instid1(VALU_DEP_3)
	v_add_f64 v[35:36], v[35:36], -v[63:64]
	v_add_f64 v[67:68], v[69:70], v[65:66]
	s_delay_alu instid0(VALU_DEP_3) | instskip(NEXT) | instid1(VALU_DEP_3)
	v_mul_f64 v[73:74], v[71:72], s[36:37]
	v_ldexp_f64 v[35:36], v[35:36], 1
	s_delay_alu instid0(VALU_DEP_3) | instskip(NEXT) | instid1(VALU_DEP_3)
	v_add_f64 v[63:64], v[67:68], -v[69:70]
	v_fma_f64 v[69:70], v[71:72], s[36:37], -v[73:74]
	s_delay_alu instid0(VALU_DEP_2) | instskip(NEXT) | instid1(VALU_DEP_2)
	v_add_f64 v[63:64], v[65:66], -v[63:64]
	v_fma_f64 v[65:66], v[71:72], s[38:39], v[69:70]
	s_delay_alu instid0(VALU_DEP_2) | instskip(NEXT) | instid1(VALU_DEP_2)
	v_add_f64 v[35:36], v[35:36], v[63:64]
	v_add_f64 v[63:64], v[73:74], v[65:66]
	s_delay_alu instid0(VALU_DEP_2) | instskip(NEXT) | instid1(VALU_DEP_2)
	v_add_f64 v[69:70], v[67:68], v[35:36]
	v_add_f64 v[73:74], v[63:64], -v[73:74]
	s_delay_alu instid0(VALU_DEP_2) | instskip(SKIP_1) | instid1(VALU_DEP_3)
	v_add_f64 v[71:72], v[63:64], v[69:70]
	v_add_f64 v[67:68], v[69:70], -v[67:68]
	v_add_f64 v[65:66], v[65:66], -v[73:74]
	s_delay_alu instid0(VALU_DEP_3) | instskip(NEXT) | instid1(VALU_DEP_3)
	v_add_f64 v[75:76], v[71:72], -v[63:64]
	v_add_f64 v[35:36], v[35:36], -v[67:68]
	s_delay_alu instid0(VALU_DEP_2) | instskip(SKIP_1) | instid1(VALU_DEP_3)
	v_add_f64 v[95:96], v[71:72], -v[75:76]
	v_add_f64 v[67:68], v[69:70], -v[75:76]
	v_add_f64 v[69:70], v[65:66], v[35:36]
	s_delay_alu instid0(VALU_DEP_3) | instskip(NEXT) | instid1(VALU_DEP_1)
	v_add_f64 v[63:64], v[63:64], -v[95:96]
	v_add_f64 v[63:64], v[67:68], v[63:64]
	s_delay_alu instid0(VALU_DEP_3) | instskip(NEXT) | instid1(VALU_DEP_2)
	v_add_f64 v[67:68], v[69:70], -v[65:66]
	v_add_f64 v[63:64], v[69:70], v[63:64]
	s_delay_alu instid0(VALU_DEP_2) | instskip(SKIP_1) | instid1(VALU_DEP_3)
	v_add_f64 v[69:70], v[69:70], -v[67:68]
	v_add_f64 v[35:36], v[35:36], -v[67:68]
	v_add_f64 v[73:74], v[71:72], v[63:64]
	s_delay_alu instid0(VALU_DEP_3) | instskip(NEXT) | instid1(VALU_DEP_2)
	v_add_f64 v[65:66], v[65:66], -v[69:70]
	v_add_f64 v[67:68], v[73:74], -v[71:72]
	s_delay_alu instid0(VALU_DEP_2) | instskip(NEXT) | instid1(VALU_DEP_2)
	v_add_f64 v[35:36], v[35:36], v[65:66]
	v_add_f64 v[63:64], v[63:64], -v[67:68]
	s_delay_alu instid0(VALU_DEP_1) | instskip(NEXT) | instid1(VALU_DEP_1)
	v_add_f64 v[35:36], v[35:36], v[63:64]
	v_add_f64 v[35:36], v[73:74], v[35:36]
	s_delay_alu instid0(VALU_DEP_1) | instskip(NEXT) | instid1(VALU_DEP_2)
	v_cndmask_b32_e64 v0, v35, v29, s0
	v_cndmask_b32_e64 v35, v36, v30, s0
	v_cmp_ngt_f64_e64 s0, -1.0, v[29:30]
	s_delay_alu instid0(VALU_DEP_1) | instskip(SKIP_1) | instid1(VALU_DEP_1)
	v_cndmask_b32_e64 v36, 0x7ff80000, v35, s0
	v_cmp_nge_f64_e64 s0, -1.0, v[29:30]
	v_cndmask_b32_e64 v35, 0, v0, s0
	v_cmp_neq_f64_e64 s0, -1.0, v[29:30]
	s_delay_alu instid0(VALU_DEP_1) | instskip(NEXT) | instid1(VALU_DEP_1)
	v_cndmask_b32_e64 v36, 0xfff00000, v36, s0
	v_add_f64 v[29:30], v[33:34], v[35:36]
.LBB26_110:
	s_or_b32 exec_lo, exec_lo, s17
	s_delay_alu instid0(VALU_DEP_1) | instskip(SKIP_1) | instid1(VALU_DEP_2)
	v_max_f64 v[33:34], v[29:30], v[29:30]
	v_cmp_u_f64_e64 s0, v[29:30], v[29:30]
	v_min_f64 v[35:36], v[33:34], v[37:38]
	v_max_f64 v[33:34], v[33:34], v[37:38]
	s_delay_alu instid0(VALU_DEP_2) | instskip(NEXT) | instid1(VALU_DEP_3)
	v_cndmask_b32_e64 v0, v35, v29, s0
	v_cndmask_b32_e64 v35, v36, v30, s0
	s_delay_alu instid0(VALU_DEP_3) | instskip(NEXT) | instid1(VALU_DEP_4)
	v_cndmask_b32_e64 v34, v34, v30, s0
	v_cndmask_b32_e64 v33, v33, v29, s0
	s_delay_alu instid0(VALU_DEP_3) | instskip(SKIP_1) | instid1(VALU_DEP_4)
	v_cndmask_b32_e64 v36, v35, v32, s19
	v_cndmask_b32_e64 v35, v0, v31, s19
	;; [unrolled: 1-line block ×3, first 2 shown]
	s_delay_alu instid0(VALU_DEP_4) | instskip(SKIP_1) | instid1(VALU_DEP_4)
	v_cndmask_b32_e64 v33, v33, v31, s19
	v_dual_mov_b32 v32, v30 :: v_dual_mov_b32 v31, v29
	v_cmp_class_f64_e64 s1, v[35:36], 0x1f8
	s_delay_alu instid0(VALU_DEP_3) | instskip(NEXT) | instid1(VALU_DEP_1)
	v_cmp_neq_f64_e64 s0, v[35:36], v[33:34]
	s_or_b32 s0, s0, s1
	s_delay_alu instid0(SALU_CYCLE_1)
	s_and_saveexec_b32 s17, s0
	s_cbranch_execz .LBB26_112
; %bb.111:
	v_add_f64 v[31:32], v[35:36], -v[33:34]
	s_mov_b32 s0, 0x652b82fe
	s_mov_b32 s1, 0x3ff71547
	;; [unrolled: 1-line block ×10, first 2 shown]
	s_delay_alu instid0(VALU_DEP_1) | instskip(SKIP_2) | instid1(VALU_DEP_1)
	v_mul_f64 v[35:36], v[31:32], s[0:1]
	s_mov_b32 s0, 0xfca7ab0c
	s_mov_b32 s1, 0x3e928af3
	v_rndne_f64_e32 v[35:36], v[35:36]
	s_delay_alu instid0(VALU_DEP_1) | instskip(SKIP_2) | instid1(VALU_DEP_2)
	v_fma_f64 v[37:38], v[35:36], s[18:19], v[31:32]
	v_cvt_i32_f64_e32 v0, v[35:36]
	s_mov_b32 s19, 0x3fe62e42
	v_fma_f64 v[37:38], v[35:36], s[36:37], v[37:38]
	s_mov_b32 s37, 0x3c7abc9e
	s_delay_alu instid0(VALU_DEP_1) | instskip(SKIP_4) | instid1(VALU_DEP_1)
	v_fma_f64 v[63:64], v[37:38], s[38:39], s[0:1]
	s_mov_b32 s0, 0x623fde64
	s_mov_b32 s1, 0x3ec71dee
	;; [unrolled: 1-line block ×4, first 2 shown]
	v_fma_f64 v[63:64], v[37:38], v[63:64], s[0:1]
	s_mov_b32 s0, 0x7c89e6b0
	s_mov_b32 s1, 0x3efa0199
	s_delay_alu instid0(VALU_DEP_1) | instid1(SALU_CYCLE_1)
	v_fma_f64 v[63:64], v[37:38], v[63:64], s[0:1]
	s_mov_b32 s0, 0x14761f6e
	s_mov_b32 s1, 0x3f2a01a0
	s_delay_alu instid0(VALU_DEP_1) | instid1(SALU_CYCLE_1)
	;; [unrolled: 4-line block ×7, first 2 shown]
	v_fma_f64 v[63:64], v[37:38], v[63:64], s[0:1]
	v_cmp_nlt_f64_e64 s0, 0x40900000, v[31:32]
	v_cmp_ngt_f64_e64 s1, 0xc090cc00, v[31:32]
	s_delay_alu instid0(VALU_DEP_3) | instskip(NEXT) | instid1(VALU_DEP_1)
	v_fma_f64 v[63:64], v[37:38], v[63:64], 1.0
	v_fma_f64 v[35:36], v[37:38], v[63:64], 1.0
	s_delay_alu instid0(VALU_DEP_1) | instskip(NEXT) | instid1(VALU_DEP_1)
	v_ldexp_f64 v[35:36], v[35:36], v0
	v_cndmask_b32_e64 v0, 0x7ff00000, v36, s0
	s_and_b32 s0, s1, s0
	s_delay_alu instid0(VALU_DEP_2) | instid1(SALU_CYCLE_1)
	v_cndmask_b32_e64 v31, 0, v35, s0
	s_mov_b32 s0, 0x55555555
	s_delay_alu instid0(VALU_DEP_2) | instskip(SKIP_1) | instid1(VALU_DEP_1)
	v_cndmask_b32_e64 v32, 0, v0, s1
	s_mov_b32 s1, 0x3fe55555
	v_add_f64 v[35:36], v[31:32], 1.0
	s_delay_alu instid0(VALU_DEP_1) | instskip(SKIP_2) | instid1(VALU_DEP_3)
	v_frexp_mant_f64_e32 v[37:38], v[35:36]
	v_frexp_exp_i32_f64_e32 v0, v[35:36]
	v_add_f64 v[63:64], v[35:36], -1.0
	v_cmp_gt_f64_e64 s0, s[0:1], v[37:38]
	s_delay_alu instid0(VALU_DEP_2) | instskip(SKIP_1) | instid1(VALU_DEP_3)
	v_add_f64 v[37:38], v[63:64], -v[35:36]
	v_add_f64 v[63:64], v[31:32], -v[63:64]
	v_subrev_co_ci_u32_e64 v0, s0, 0, v0, s0
	s_delay_alu instid0(VALU_DEP_3) | instskip(SKIP_1) | instid1(VALU_DEP_2)
	v_add_f64 v[37:38], v[37:38], 1.0
	s_mov_b32 s0, 0x55555780
	v_sub_nc_u32_e32 v67, 0, v0
	s_delay_alu instid0(VALU_DEP_1) | instskip(NEXT) | instid1(VALU_DEP_3)
	v_ldexp_f64 v[35:36], v[35:36], v67
	v_add_f64 v[37:38], v[63:64], v[37:38]
	s_delay_alu instid0(VALU_DEP_2) | instskip(SKIP_1) | instid1(VALU_DEP_3)
	v_add_f64 v[65:66], v[35:36], 1.0
	v_add_f64 v[71:72], v[35:36], -1.0
	v_ldexp_f64 v[37:38], v[37:38], v67
	s_delay_alu instid0(VALU_DEP_3) | instskip(NEXT) | instid1(VALU_DEP_3)
	v_add_f64 v[63:64], v[65:66], -1.0
	v_add_f64 v[73:74], v[71:72], 1.0
	s_delay_alu instid0(VALU_DEP_2) | instskip(NEXT) | instid1(VALU_DEP_2)
	v_add_f64 v[63:64], v[35:36], -v[63:64]
	v_add_f64 v[35:36], v[35:36], -v[73:74]
	s_delay_alu instid0(VALU_DEP_2) | instskip(NEXT) | instid1(VALU_DEP_2)
	v_add_f64 v[63:64], v[37:38], v[63:64]
	v_add_f64 v[35:36], v[37:38], v[35:36]
	s_delay_alu instid0(VALU_DEP_2) | instskip(NEXT) | instid1(VALU_DEP_2)
	v_add_f64 v[67:68], v[65:66], v[63:64]
	v_add_f64 v[73:74], v[71:72], v[35:36]
	s_waitcnt lgkmcnt(0)
	s_delay_alu instid0(VALU_DEP_2) | instskip(SKIP_1) | instid1(VALU_DEP_2)
	v_rcp_f64_e32 v[69:70], v[67:68]
	v_add_f64 v[65:66], v[67:68], -v[65:66]
	v_add_f64 v[71:72], v[73:74], -v[71:72]
	s_delay_alu instid0(VALU_DEP_2) | instskip(SKIP_3) | instid1(VALU_DEP_2)
	v_add_f64 v[63:64], v[63:64], -v[65:66]
	s_waitcnt_depctr 0xfff
	v_fma_f64 v[75:76], -v[67:68], v[69:70], 1.0
	v_add_f64 v[35:36], v[35:36], -v[71:72]
	v_fma_f64 v[69:70], v[75:76], v[69:70], v[69:70]
	s_delay_alu instid0(VALU_DEP_1) | instskip(NEXT) | instid1(VALU_DEP_1)
	v_fma_f64 v[37:38], -v[67:68], v[69:70], 1.0
	v_fma_f64 v[37:38], v[37:38], v[69:70], v[69:70]
	s_delay_alu instid0(VALU_DEP_1) | instskip(NEXT) | instid1(VALU_DEP_1)
	v_mul_f64 v[69:70], v[73:74], v[37:38]
	v_mul_f64 v[75:76], v[67:68], v[69:70]
	s_delay_alu instid0(VALU_DEP_1) | instskip(NEXT) | instid1(VALU_DEP_1)
	v_fma_f64 v[65:66], v[69:70], v[67:68], -v[75:76]
	v_fma_f64 v[65:66], v[69:70], v[63:64], v[65:66]
	s_delay_alu instid0(VALU_DEP_1) | instskip(NEXT) | instid1(VALU_DEP_1)
	v_add_f64 v[95:96], v[75:76], v[65:66]
	v_add_f64 v[97:98], v[73:74], -v[95:96]
	v_add_f64 v[71:72], v[95:96], -v[75:76]
	s_delay_alu instid0(VALU_DEP_2) | instskip(NEXT) | instid1(VALU_DEP_2)
	v_add_f64 v[73:74], v[73:74], -v[97:98]
	v_add_f64 v[65:66], v[71:72], -v[65:66]
	s_delay_alu instid0(VALU_DEP_2) | instskip(NEXT) | instid1(VALU_DEP_1)
	v_add_f64 v[73:74], v[73:74], -v[95:96]
	v_add_f64 v[35:36], v[35:36], v[73:74]
	s_delay_alu instid0(VALU_DEP_1) | instskip(NEXT) | instid1(VALU_DEP_1)
	v_add_f64 v[35:36], v[65:66], v[35:36]
	v_add_f64 v[65:66], v[97:98], v[35:36]
	s_delay_alu instid0(VALU_DEP_1) | instskip(SKIP_1) | instid1(VALU_DEP_2)
	v_mul_f64 v[71:72], v[37:38], v[65:66]
	v_add_f64 v[95:96], v[97:98], -v[65:66]
	v_mul_f64 v[73:74], v[67:68], v[71:72]
	s_delay_alu instid0(VALU_DEP_2) | instskip(NEXT) | instid1(VALU_DEP_2)
	v_add_f64 v[35:36], v[35:36], v[95:96]
	v_fma_f64 v[67:68], v[71:72], v[67:68], -v[73:74]
	s_delay_alu instid0(VALU_DEP_1) | instskip(NEXT) | instid1(VALU_DEP_1)
	v_fma_f64 v[63:64], v[71:72], v[63:64], v[67:68]
	v_add_f64 v[67:68], v[73:74], v[63:64]
	s_delay_alu instid0(VALU_DEP_1) | instskip(SKIP_1) | instid1(VALU_DEP_2)
	v_add_f64 v[75:76], v[65:66], -v[67:68]
	v_add_f64 v[73:74], v[67:68], -v[73:74]
	;; [unrolled: 1-line block ×3, first 2 shown]
	s_delay_alu instid0(VALU_DEP_2) | instskip(NEXT) | instid1(VALU_DEP_2)
	v_add_f64 v[63:64], v[73:74], -v[63:64]
	v_add_f64 v[65:66], v[65:66], -v[67:68]
	s_delay_alu instid0(VALU_DEP_1) | instskip(SKIP_1) | instid1(VALU_DEP_2)
	v_add_f64 v[35:36], v[35:36], v[65:66]
	v_add_f64 v[65:66], v[69:70], v[71:72]
	;; [unrolled: 1-line block ×3, first 2 shown]
	s_delay_alu instid0(VALU_DEP_2) | instskip(NEXT) | instid1(VALU_DEP_2)
	v_add_f64 v[63:64], v[65:66], -v[69:70]
	v_add_f64 v[35:36], v[75:76], v[35:36]
	s_delay_alu instid0(VALU_DEP_2) | instskip(NEXT) | instid1(VALU_DEP_2)
	v_add_f64 v[63:64], v[71:72], -v[63:64]
	v_mul_f64 v[35:36], v[37:38], v[35:36]
	s_delay_alu instid0(VALU_DEP_1) | instskip(NEXT) | instid1(VALU_DEP_1)
	v_add_f64 v[35:36], v[63:64], v[35:36]
	v_add_f64 v[37:38], v[65:66], v[35:36]
	s_delay_alu instid0(VALU_DEP_1) | instskip(NEXT) | instid1(VALU_DEP_1)
	v_mul_f64 v[63:64], v[37:38], v[37:38]
	v_fma_f64 v[67:68], v[63:64], s[40:41], s[38:39]
	s_mov_b32 s38, 0xd7f4df2e
	s_mov_b32 s39, 0x3fc7474d
	v_mul_f64 v[69:70], v[37:38], v[63:64]
	s_delay_alu instid0(VALU_DEP_2)
	v_fma_f64 v[67:68], v[63:64], v[67:68], s[38:39]
	s_mov_b32 s38, 0x16291751
	s_mov_b32 s39, 0x3fcc71c0
	s_delay_alu instid0(VALU_DEP_1) | instid1(SALU_CYCLE_1)
	v_fma_f64 v[67:68], v[63:64], v[67:68], s[38:39]
	s_mov_b32 s38, 0x9b27acf1
	s_mov_b32 s39, 0x3fd24924
	s_delay_alu instid0(VALU_DEP_1) | instid1(SALU_CYCLE_1)
	v_fma_f64 v[67:68], v[63:64], v[67:68], s[38:39]
	s_mov_b32 s38, 0x998ef7b6
	s_mov_b32 s39, 0x3fd99999
	s_delay_alu instid0(VALU_DEP_1) | instid1(SALU_CYCLE_1)
	v_fma_f64 v[67:68], v[63:64], v[67:68], s[38:39]
	s_delay_alu instid0(VALU_DEP_1) | instskip(SKIP_3) | instid1(VALU_DEP_4)
	v_fma_f64 v[63:64], v[63:64], v[67:68], s[0:1]
	v_ldexp_f64 v[67:68], v[37:38], 1
	v_add_f64 v[37:38], v[37:38], -v[65:66]
	v_cmp_eq_f64_e64 s0, 0x7ff00000, v[31:32]
	v_mul_f64 v[63:64], v[69:70], v[63:64]
	v_cvt_f64_i32_e32 v[69:70], v0
	s_delay_alu instid0(VALU_DEP_4) | instskip(NEXT) | instid1(VALU_DEP_3)
	v_add_f64 v[35:36], v[35:36], -v[37:38]
	v_add_f64 v[65:66], v[67:68], v[63:64]
	s_delay_alu instid0(VALU_DEP_3) | instskip(NEXT) | instid1(VALU_DEP_3)
	v_mul_f64 v[71:72], v[69:70], s[18:19]
	v_ldexp_f64 v[35:36], v[35:36], 1
	s_delay_alu instid0(VALU_DEP_3) | instskip(NEXT) | instid1(VALU_DEP_3)
	v_add_f64 v[37:38], v[65:66], -v[67:68]
	v_fma_f64 v[67:68], v[69:70], s[18:19], -v[71:72]
	s_delay_alu instid0(VALU_DEP_2) | instskip(NEXT) | instid1(VALU_DEP_2)
	v_add_f64 v[37:38], v[63:64], -v[37:38]
	v_fma_f64 v[63:64], v[69:70], s[36:37], v[67:68]
	s_delay_alu instid0(VALU_DEP_2) | instskip(NEXT) | instid1(VALU_DEP_2)
	v_add_f64 v[35:36], v[35:36], v[37:38]
	v_add_f64 v[37:38], v[71:72], v[63:64]
	s_delay_alu instid0(VALU_DEP_2) | instskip(NEXT) | instid1(VALU_DEP_2)
	v_add_f64 v[67:68], v[65:66], v[35:36]
	v_add_f64 v[71:72], v[37:38], -v[71:72]
	s_delay_alu instid0(VALU_DEP_2) | instskip(SKIP_1) | instid1(VALU_DEP_3)
	v_add_f64 v[69:70], v[37:38], v[67:68]
	v_add_f64 v[65:66], v[67:68], -v[65:66]
	v_add_f64 v[63:64], v[63:64], -v[71:72]
	s_delay_alu instid0(VALU_DEP_3) | instskip(NEXT) | instid1(VALU_DEP_3)
	v_add_f64 v[73:74], v[69:70], -v[37:38]
	v_add_f64 v[35:36], v[35:36], -v[65:66]
	s_delay_alu instid0(VALU_DEP_2) | instskip(SKIP_1) | instid1(VALU_DEP_3)
	v_add_f64 v[75:76], v[69:70], -v[73:74]
	v_add_f64 v[65:66], v[67:68], -v[73:74]
	v_add_f64 v[67:68], v[63:64], v[35:36]
	s_delay_alu instid0(VALU_DEP_3) | instskip(NEXT) | instid1(VALU_DEP_1)
	v_add_f64 v[37:38], v[37:38], -v[75:76]
	v_add_f64 v[37:38], v[65:66], v[37:38]
	s_delay_alu instid0(VALU_DEP_3) | instskip(NEXT) | instid1(VALU_DEP_2)
	v_add_f64 v[65:66], v[67:68], -v[63:64]
	v_add_f64 v[37:38], v[67:68], v[37:38]
	s_delay_alu instid0(VALU_DEP_2) | instskip(SKIP_1) | instid1(VALU_DEP_3)
	v_add_f64 v[67:68], v[67:68], -v[65:66]
	v_add_f64 v[35:36], v[35:36], -v[65:66]
	v_add_f64 v[71:72], v[69:70], v[37:38]
	s_delay_alu instid0(VALU_DEP_3) | instskip(NEXT) | instid1(VALU_DEP_2)
	v_add_f64 v[63:64], v[63:64], -v[67:68]
	v_add_f64 v[65:66], v[71:72], -v[69:70]
	s_delay_alu instid0(VALU_DEP_2) | instskip(NEXT) | instid1(VALU_DEP_2)
	v_add_f64 v[35:36], v[35:36], v[63:64]
	v_add_f64 v[37:38], v[37:38], -v[65:66]
	s_delay_alu instid0(VALU_DEP_1) | instskip(NEXT) | instid1(VALU_DEP_1)
	v_add_f64 v[35:36], v[35:36], v[37:38]
	v_add_f64 v[35:36], v[71:72], v[35:36]
	s_delay_alu instid0(VALU_DEP_1) | instskip(NEXT) | instid1(VALU_DEP_2)
	v_cndmask_b32_e64 v0, v35, v31, s0
	v_cndmask_b32_e64 v35, v36, v32, s0
	v_cmp_ngt_f64_e64 s0, -1.0, v[31:32]
	s_delay_alu instid0(VALU_DEP_1) | instskip(SKIP_1) | instid1(VALU_DEP_1)
	v_cndmask_b32_e64 v36, 0x7ff80000, v35, s0
	v_cmp_nge_f64_e64 s0, -1.0, v[31:32]
	v_cndmask_b32_e64 v35, 0, v0, s0
	v_cmp_neq_f64_e64 s0, -1.0, v[31:32]
	s_delay_alu instid0(VALU_DEP_1) | instskip(NEXT) | instid1(VALU_DEP_1)
	v_cndmask_b32_e64 v36, 0xfff00000, v36, s0
	v_add_f64 v[31:32], v[33:34], v[35:36]
.LBB26_112:
	s_or_b32 exec_lo, exec_lo, s17
	s_delay_alu instid0(VALU_DEP_1) | instskip(SKIP_1) | instid1(VALU_DEP_2)
	v_max_f64 v[33:34], v[31:32], v[31:32]
	v_cmp_u_f64_e64 s0, v[31:32], v[31:32]
	v_min_f64 v[35:36], v[33:34], v[39:40]
	v_max_f64 v[33:34], v[33:34], v[39:40]
	s_delay_alu instid0(VALU_DEP_2) | instskip(NEXT) | instid1(VALU_DEP_3)
	v_cndmask_b32_e64 v0, v35, v31, s0
	v_cndmask_b32_e64 v35, v36, v32, s0
	s_delay_alu instid0(VALU_DEP_3) | instskip(NEXT) | instid1(VALU_DEP_4)
	v_cndmask_b32_e64 v34, v34, v32, s0
	v_cndmask_b32_e64 v33, v33, v31, s0
	s_delay_alu instid0(VALU_DEP_3) | instskip(SKIP_1) | instid1(VALU_DEP_4)
	v_cndmask_b32_e64 v36, v35, v26, s20
	v_cndmask_b32_e64 v35, v0, v25, s20
	;; [unrolled: 1-line block ×3, first 2 shown]
	s_delay_alu instid0(VALU_DEP_4) | instskip(SKIP_1) | instid1(VALU_DEP_4)
	v_cndmask_b32_e64 v33, v33, v25, s20
	v_dual_mov_b32 v25, v31 :: v_dual_mov_b32 v26, v32
	v_cmp_class_f64_e64 s1, v[35:36], 0x1f8
	s_delay_alu instid0(VALU_DEP_3) | instskip(NEXT) | instid1(VALU_DEP_1)
	v_cmp_neq_f64_e64 s0, v[35:36], v[33:34]
	s_or_b32 s0, s0, s1
	s_delay_alu instid0(SALU_CYCLE_1)
	s_and_saveexec_b32 s17, s0
	s_cbranch_execz .LBB26_114
; %bb.113:
	v_add_f64 v[25:26], v[35:36], -v[33:34]
	s_mov_b32 s0, 0x652b82fe
	s_mov_b32 s1, 0x3ff71547
	;; [unrolled: 1-line block ×10, first 2 shown]
	s_delay_alu instid0(VALU_DEP_1) | instskip(SKIP_2) | instid1(VALU_DEP_1)
	v_mul_f64 v[35:36], v[25:26], s[0:1]
	s_mov_b32 s0, 0xfca7ab0c
	s_mov_b32 s1, 0x3e928af3
	v_rndne_f64_e32 v[35:36], v[35:36]
	s_delay_alu instid0(VALU_DEP_1) | instskip(SKIP_2) | instid1(VALU_DEP_2)
	v_fma_f64 v[37:38], v[35:36], s[18:19], v[25:26]
	v_cvt_i32_f64_e32 v0, v[35:36]
	s_mov_b32 s19, 0x3fe62e42
	v_fma_f64 v[37:38], v[35:36], s[36:37], v[37:38]
	s_mov_b32 s37, 0x3c7abc9e
	s_delay_alu instid0(VALU_DEP_1) | instskip(SKIP_4) | instid1(VALU_DEP_1)
	v_fma_f64 v[39:40], v[37:38], s[38:39], s[0:1]
	s_mov_b32 s0, 0x623fde64
	s_mov_b32 s1, 0x3ec71dee
	;; [unrolled: 1-line block ×4, first 2 shown]
	v_fma_f64 v[39:40], v[37:38], v[39:40], s[0:1]
	s_mov_b32 s0, 0x7c89e6b0
	s_mov_b32 s1, 0x3efa0199
	s_delay_alu instid0(VALU_DEP_1) | instid1(SALU_CYCLE_1)
	v_fma_f64 v[39:40], v[37:38], v[39:40], s[0:1]
	s_mov_b32 s0, 0x14761f6e
	s_mov_b32 s1, 0x3f2a01a0
	s_delay_alu instid0(VALU_DEP_1) | instid1(SALU_CYCLE_1)
	;; [unrolled: 4-line block ×7, first 2 shown]
	v_fma_f64 v[39:40], v[37:38], v[39:40], s[0:1]
	v_cmp_nlt_f64_e64 s0, 0x40900000, v[25:26]
	v_cmp_ngt_f64_e64 s1, 0xc090cc00, v[25:26]
	s_delay_alu instid0(VALU_DEP_3) | instskip(NEXT) | instid1(VALU_DEP_1)
	v_fma_f64 v[39:40], v[37:38], v[39:40], 1.0
	v_fma_f64 v[35:36], v[37:38], v[39:40], 1.0
	s_delay_alu instid0(VALU_DEP_1) | instskip(NEXT) | instid1(VALU_DEP_1)
	v_ldexp_f64 v[35:36], v[35:36], v0
	v_cndmask_b32_e64 v0, 0x7ff00000, v36, s0
	s_and_b32 s0, s1, s0
	s_delay_alu instid0(VALU_DEP_2) | instid1(SALU_CYCLE_1)
	v_cndmask_b32_e64 v25, 0, v35, s0
	s_mov_b32 s0, 0x55555555
	s_delay_alu instid0(VALU_DEP_2) | instskip(SKIP_1) | instid1(VALU_DEP_1)
	v_cndmask_b32_e64 v26, 0, v0, s1
	s_mov_b32 s1, 0x3fe55555
	v_add_f64 v[35:36], v[25:26], 1.0
	s_delay_alu instid0(VALU_DEP_1) | instskip(SKIP_2) | instid1(VALU_DEP_3)
	v_frexp_mant_f64_e32 v[37:38], v[35:36]
	v_frexp_exp_i32_f64_e32 v0, v[35:36]
	v_add_f64 v[39:40], v[35:36], -1.0
	v_cmp_gt_f64_e64 s0, s[0:1], v[37:38]
	s_delay_alu instid0(VALU_DEP_2) | instskip(SKIP_1) | instid1(VALU_DEP_3)
	v_add_f64 v[37:38], v[39:40], -v[35:36]
	v_add_f64 v[39:40], v[25:26], -v[39:40]
	v_subrev_co_ci_u32_e64 v0, s0, 0, v0, s0
	s_delay_alu instid0(VALU_DEP_3) | instskip(SKIP_1) | instid1(VALU_DEP_2)
	v_add_f64 v[37:38], v[37:38], 1.0
	s_mov_b32 s0, 0x55555780
	v_sub_nc_u32_e32 v65, 0, v0
	s_delay_alu instid0(VALU_DEP_1) | instskip(NEXT) | instid1(VALU_DEP_3)
	v_ldexp_f64 v[35:36], v[35:36], v65
	v_add_f64 v[37:38], v[39:40], v[37:38]
	s_delay_alu instid0(VALU_DEP_2) | instskip(SKIP_2) | instid1(VALU_DEP_3)
	v_add_f64 v[63:64], v[35:36], 1.0
	s_waitcnt lgkmcnt(0)
	v_add_f64 v[69:70], v[35:36], -1.0
	v_ldexp_f64 v[37:38], v[37:38], v65
	s_delay_alu instid0(VALU_DEP_3) | instskip(NEXT) | instid1(VALU_DEP_3)
	v_add_f64 v[39:40], v[63:64], -1.0
	v_add_f64 v[71:72], v[69:70], 1.0
	s_delay_alu instid0(VALU_DEP_2) | instskip(NEXT) | instid1(VALU_DEP_2)
	v_add_f64 v[39:40], v[35:36], -v[39:40]
	v_add_f64 v[35:36], v[35:36], -v[71:72]
	s_delay_alu instid0(VALU_DEP_2) | instskip(NEXT) | instid1(VALU_DEP_2)
	v_add_f64 v[39:40], v[37:38], v[39:40]
	v_add_f64 v[35:36], v[37:38], v[35:36]
	s_delay_alu instid0(VALU_DEP_2) | instskip(NEXT) | instid1(VALU_DEP_2)
	v_add_f64 v[65:66], v[63:64], v[39:40]
	v_add_f64 v[71:72], v[69:70], v[35:36]
	s_delay_alu instid0(VALU_DEP_2) | instskip(SKIP_1) | instid1(VALU_DEP_2)
	v_rcp_f64_e32 v[67:68], v[65:66]
	v_add_f64 v[63:64], v[65:66], -v[63:64]
	v_add_f64 v[69:70], v[71:72], -v[69:70]
	s_delay_alu instid0(VALU_DEP_2) | instskip(SKIP_3) | instid1(VALU_DEP_2)
	v_add_f64 v[39:40], v[39:40], -v[63:64]
	s_waitcnt_depctr 0xfff
	v_fma_f64 v[73:74], -v[65:66], v[67:68], 1.0
	v_add_f64 v[35:36], v[35:36], -v[69:70]
	v_fma_f64 v[67:68], v[73:74], v[67:68], v[67:68]
	s_delay_alu instid0(VALU_DEP_1) | instskip(NEXT) | instid1(VALU_DEP_1)
	v_fma_f64 v[37:38], -v[65:66], v[67:68], 1.0
	v_fma_f64 v[37:38], v[37:38], v[67:68], v[67:68]
	s_delay_alu instid0(VALU_DEP_1) | instskip(NEXT) | instid1(VALU_DEP_1)
	v_mul_f64 v[67:68], v[71:72], v[37:38]
	v_mul_f64 v[73:74], v[65:66], v[67:68]
	s_delay_alu instid0(VALU_DEP_1) | instskip(NEXT) | instid1(VALU_DEP_1)
	v_fma_f64 v[63:64], v[67:68], v[65:66], -v[73:74]
	v_fma_f64 v[63:64], v[67:68], v[39:40], v[63:64]
	s_delay_alu instid0(VALU_DEP_1) | instskip(NEXT) | instid1(VALU_DEP_1)
	v_add_f64 v[75:76], v[73:74], v[63:64]
	v_add_f64 v[95:96], v[71:72], -v[75:76]
	v_add_f64 v[69:70], v[75:76], -v[73:74]
	s_delay_alu instid0(VALU_DEP_2) | instskip(NEXT) | instid1(VALU_DEP_2)
	v_add_f64 v[71:72], v[71:72], -v[95:96]
	v_add_f64 v[63:64], v[69:70], -v[63:64]
	s_delay_alu instid0(VALU_DEP_2) | instskip(NEXT) | instid1(VALU_DEP_1)
	v_add_f64 v[71:72], v[71:72], -v[75:76]
	v_add_f64 v[35:36], v[35:36], v[71:72]
	s_delay_alu instid0(VALU_DEP_1) | instskip(NEXT) | instid1(VALU_DEP_1)
	v_add_f64 v[35:36], v[63:64], v[35:36]
	v_add_f64 v[63:64], v[95:96], v[35:36]
	s_delay_alu instid0(VALU_DEP_1) | instskip(SKIP_1) | instid1(VALU_DEP_2)
	v_mul_f64 v[69:70], v[37:38], v[63:64]
	v_add_f64 v[75:76], v[95:96], -v[63:64]
	v_mul_f64 v[71:72], v[65:66], v[69:70]
	s_delay_alu instid0(VALU_DEP_2) | instskip(NEXT) | instid1(VALU_DEP_2)
	v_add_f64 v[35:36], v[35:36], v[75:76]
	v_fma_f64 v[65:66], v[69:70], v[65:66], -v[71:72]
	s_delay_alu instid0(VALU_DEP_1) | instskip(NEXT) | instid1(VALU_DEP_1)
	v_fma_f64 v[39:40], v[69:70], v[39:40], v[65:66]
	v_add_f64 v[65:66], v[71:72], v[39:40]
	s_delay_alu instid0(VALU_DEP_1) | instskip(SKIP_1) | instid1(VALU_DEP_2)
	v_add_f64 v[73:74], v[63:64], -v[65:66]
	v_add_f64 v[71:72], v[65:66], -v[71:72]
	;; [unrolled: 1-line block ×3, first 2 shown]
	s_delay_alu instid0(VALU_DEP_2) | instskip(NEXT) | instid1(VALU_DEP_2)
	v_add_f64 v[39:40], v[71:72], -v[39:40]
	v_add_f64 v[63:64], v[63:64], -v[65:66]
	s_delay_alu instid0(VALU_DEP_1) | instskip(SKIP_1) | instid1(VALU_DEP_2)
	v_add_f64 v[35:36], v[35:36], v[63:64]
	v_add_f64 v[63:64], v[67:68], v[69:70]
	;; [unrolled: 1-line block ×3, first 2 shown]
	s_delay_alu instid0(VALU_DEP_2) | instskip(NEXT) | instid1(VALU_DEP_2)
	v_add_f64 v[39:40], v[63:64], -v[67:68]
	v_add_f64 v[35:36], v[73:74], v[35:36]
	s_delay_alu instid0(VALU_DEP_2) | instskip(NEXT) | instid1(VALU_DEP_2)
	v_add_f64 v[39:40], v[69:70], -v[39:40]
	v_mul_f64 v[35:36], v[37:38], v[35:36]
	s_delay_alu instid0(VALU_DEP_1) | instskip(NEXT) | instid1(VALU_DEP_1)
	v_add_f64 v[35:36], v[39:40], v[35:36]
	v_add_f64 v[37:38], v[63:64], v[35:36]
	s_delay_alu instid0(VALU_DEP_1) | instskip(NEXT) | instid1(VALU_DEP_1)
	v_mul_f64 v[39:40], v[37:38], v[37:38]
	v_fma_f64 v[65:66], v[39:40], s[40:41], s[38:39]
	s_mov_b32 s38, 0xd7f4df2e
	s_mov_b32 s39, 0x3fc7474d
	v_mul_f64 v[67:68], v[37:38], v[39:40]
	s_delay_alu instid0(VALU_DEP_2)
	v_fma_f64 v[65:66], v[39:40], v[65:66], s[38:39]
	s_mov_b32 s38, 0x16291751
	s_mov_b32 s39, 0x3fcc71c0
	s_delay_alu instid0(VALU_DEP_1) | instid1(SALU_CYCLE_1)
	v_fma_f64 v[65:66], v[39:40], v[65:66], s[38:39]
	s_mov_b32 s38, 0x9b27acf1
	s_mov_b32 s39, 0x3fd24924
	s_delay_alu instid0(VALU_DEP_1) | instid1(SALU_CYCLE_1)
	;; [unrolled: 4-line block ×3, first 2 shown]
	v_fma_f64 v[65:66], v[39:40], v[65:66], s[38:39]
	s_delay_alu instid0(VALU_DEP_1) | instskip(SKIP_3) | instid1(VALU_DEP_4)
	v_fma_f64 v[39:40], v[39:40], v[65:66], s[0:1]
	v_ldexp_f64 v[65:66], v[37:38], 1
	v_add_f64 v[37:38], v[37:38], -v[63:64]
	v_cmp_eq_f64_e64 s0, 0x7ff00000, v[25:26]
	v_mul_f64 v[39:40], v[67:68], v[39:40]
	v_cvt_f64_i32_e32 v[67:68], v0
	s_delay_alu instid0(VALU_DEP_4) | instskip(NEXT) | instid1(VALU_DEP_3)
	v_add_f64 v[35:36], v[35:36], -v[37:38]
	v_add_f64 v[63:64], v[65:66], v[39:40]
	s_delay_alu instid0(VALU_DEP_3) | instskip(NEXT) | instid1(VALU_DEP_3)
	v_mul_f64 v[69:70], v[67:68], s[18:19]
	v_ldexp_f64 v[35:36], v[35:36], 1
	s_delay_alu instid0(VALU_DEP_3) | instskip(NEXT) | instid1(VALU_DEP_3)
	v_add_f64 v[37:38], v[63:64], -v[65:66]
	v_fma_f64 v[65:66], v[67:68], s[18:19], -v[69:70]
	s_delay_alu instid0(VALU_DEP_2) | instskip(NEXT) | instid1(VALU_DEP_2)
	v_add_f64 v[37:38], v[39:40], -v[37:38]
	v_fma_f64 v[39:40], v[67:68], s[36:37], v[65:66]
	s_delay_alu instid0(VALU_DEP_2) | instskip(NEXT) | instid1(VALU_DEP_2)
	v_add_f64 v[35:36], v[35:36], v[37:38]
	v_add_f64 v[37:38], v[69:70], v[39:40]
	s_delay_alu instid0(VALU_DEP_2) | instskip(NEXT) | instid1(VALU_DEP_2)
	v_add_f64 v[65:66], v[63:64], v[35:36]
	v_add_f64 v[69:70], v[37:38], -v[69:70]
	s_delay_alu instid0(VALU_DEP_2) | instskip(SKIP_1) | instid1(VALU_DEP_3)
	v_add_f64 v[67:68], v[37:38], v[65:66]
	v_add_f64 v[63:64], v[65:66], -v[63:64]
	v_add_f64 v[39:40], v[39:40], -v[69:70]
	s_delay_alu instid0(VALU_DEP_3) | instskip(NEXT) | instid1(VALU_DEP_3)
	v_add_f64 v[71:72], v[67:68], -v[37:38]
	v_add_f64 v[35:36], v[35:36], -v[63:64]
	s_delay_alu instid0(VALU_DEP_2) | instskip(SKIP_1) | instid1(VALU_DEP_3)
	v_add_f64 v[73:74], v[67:68], -v[71:72]
	v_add_f64 v[63:64], v[65:66], -v[71:72]
	v_add_f64 v[65:66], v[39:40], v[35:36]
	s_delay_alu instid0(VALU_DEP_3) | instskip(NEXT) | instid1(VALU_DEP_1)
	v_add_f64 v[37:38], v[37:38], -v[73:74]
	v_add_f64 v[37:38], v[63:64], v[37:38]
	s_delay_alu instid0(VALU_DEP_3) | instskip(NEXT) | instid1(VALU_DEP_2)
	v_add_f64 v[63:64], v[65:66], -v[39:40]
	v_add_f64 v[37:38], v[65:66], v[37:38]
	s_delay_alu instid0(VALU_DEP_2) | instskip(SKIP_1) | instid1(VALU_DEP_3)
	v_add_f64 v[65:66], v[65:66], -v[63:64]
	v_add_f64 v[35:36], v[35:36], -v[63:64]
	v_add_f64 v[69:70], v[67:68], v[37:38]
	s_delay_alu instid0(VALU_DEP_3) | instskip(NEXT) | instid1(VALU_DEP_2)
	v_add_f64 v[39:40], v[39:40], -v[65:66]
	v_add_f64 v[63:64], v[69:70], -v[67:68]
	s_delay_alu instid0(VALU_DEP_2) | instskip(NEXT) | instid1(VALU_DEP_2)
	v_add_f64 v[35:36], v[35:36], v[39:40]
	v_add_f64 v[37:38], v[37:38], -v[63:64]
	s_delay_alu instid0(VALU_DEP_1) | instskip(NEXT) | instid1(VALU_DEP_1)
	v_add_f64 v[35:36], v[35:36], v[37:38]
	v_add_f64 v[35:36], v[69:70], v[35:36]
	s_delay_alu instid0(VALU_DEP_1) | instskip(NEXT) | instid1(VALU_DEP_2)
	v_cndmask_b32_e64 v0, v35, v25, s0
	v_cndmask_b32_e64 v35, v36, v26, s0
	v_cmp_ngt_f64_e64 s0, -1.0, v[25:26]
	s_delay_alu instid0(VALU_DEP_1) | instskip(SKIP_1) | instid1(VALU_DEP_1)
	v_cndmask_b32_e64 v36, 0x7ff80000, v35, s0
	v_cmp_nge_f64_e64 s0, -1.0, v[25:26]
	v_cndmask_b32_e64 v35, 0, v0, s0
	v_cmp_neq_f64_e64 s0, -1.0, v[25:26]
	s_delay_alu instid0(VALU_DEP_1) | instskip(NEXT) | instid1(VALU_DEP_1)
	v_cndmask_b32_e64 v36, 0xfff00000, v36, s0
	v_add_f64 v[25:26], v[33:34], v[35:36]
.LBB26_114:
	s_or_b32 exec_lo, exec_lo, s17
	s_delay_alu instid0(VALU_DEP_1) | instskip(SKIP_1) | instid1(VALU_DEP_2)
	v_max_f64 v[33:34], v[25:26], v[25:26]
	v_cmp_u_f64_e64 s0, v[25:26], v[25:26]
	v_min_f64 v[35:36], v[33:34], v[41:42]
	v_max_f64 v[33:34], v[33:34], v[41:42]
	s_delay_alu instid0(VALU_DEP_2) | instskip(NEXT) | instid1(VALU_DEP_3)
	v_cndmask_b32_e64 v0, v35, v25, s0
	v_cndmask_b32_e64 v35, v36, v26, s0
	s_delay_alu instid0(VALU_DEP_3) | instskip(NEXT) | instid1(VALU_DEP_4)
	v_cndmask_b32_e64 v34, v34, v26, s0
	v_cndmask_b32_e64 v33, v33, v25, s0
	s_delay_alu instid0(VALU_DEP_3) | instskip(SKIP_1) | instid1(VALU_DEP_4)
	v_cndmask_b32_e64 v36, v35, v28, s21
	v_cndmask_b32_e64 v35, v0, v27, s21
	;; [unrolled: 1-line block ×3, first 2 shown]
	s_delay_alu instid0(VALU_DEP_4) | instskip(SKIP_1) | instid1(VALU_DEP_4)
	v_cndmask_b32_e64 v33, v33, v27, s21
	v_dual_mov_b32 v28, v26 :: v_dual_mov_b32 v27, v25
	v_cmp_class_f64_e64 s1, v[35:36], 0x1f8
	s_delay_alu instid0(VALU_DEP_3) | instskip(NEXT) | instid1(VALU_DEP_1)
	v_cmp_neq_f64_e64 s0, v[35:36], v[33:34]
	s_or_b32 s0, s0, s1
	s_delay_alu instid0(SALU_CYCLE_1)
	s_and_saveexec_b32 s17, s0
	s_cbranch_execz .LBB26_116
; %bb.115:
	v_add_f64 v[27:28], v[35:36], -v[33:34]
	s_mov_b32 s0, 0x652b82fe
	s_mov_b32 s1, 0x3ff71547
	;; [unrolled: 1-line block ×10, first 2 shown]
	s_delay_alu instid0(VALU_DEP_1) | instskip(SKIP_2) | instid1(VALU_DEP_1)
	v_mul_f64 v[35:36], v[27:28], s[0:1]
	s_mov_b32 s0, 0xfca7ab0c
	s_mov_b32 s1, 0x3e928af3
	v_rndne_f64_e32 v[35:36], v[35:36]
	s_delay_alu instid0(VALU_DEP_1) | instskip(SKIP_2) | instid1(VALU_DEP_2)
	v_fma_f64 v[37:38], v[35:36], s[18:19], v[27:28]
	v_cvt_i32_f64_e32 v0, v[35:36]
	s_mov_b32 s19, 0x3fe62e42
	v_fma_f64 v[37:38], v[35:36], s[20:21], v[37:38]
	s_mov_b32 s21, 0x3c7abc9e
	s_delay_alu instid0(VALU_DEP_1) | instskip(SKIP_4) | instid1(VALU_DEP_1)
	v_fma_f64 v[39:40], v[37:38], s[36:37], s[0:1]
	s_mov_b32 s0, 0x623fde64
	s_mov_b32 s1, 0x3ec71dee
	;; [unrolled: 1-line block ×4, first 2 shown]
	v_fma_f64 v[39:40], v[37:38], v[39:40], s[0:1]
	s_mov_b32 s0, 0x7c89e6b0
	s_mov_b32 s1, 0x3efa0199
	s_delay_alu instid0(VALU_DEP_1) | instid1(SALU_CYCLE_1)
	v_fma_f64 v[39:40], v[37:38], v[39:40], s[0:1]
	s_mov_b32 s0, 0x14761f6e
	s_mov_b32 s1, 0x3f2a01a0
	s_delay_alu instid0(VALU_DEP_1) | instid1(SALU_CYCLE_1)
	;; [unrolled: 4-line block ×7, first 2 shown]
	v_fma_f64 v[39:40], v[37:38], v[39:40], s[0:1]
	v_cmp_nlt_f64_e64 s0, 0x40900000, v[27:28]
	v_cmp_ngt_f64_e64 s1, 0xc090cc00, v[27:28]
	s_delay_alu instid0(VALU_DEP_3) | instskip(NEXT) | instid1(VALU_DEP_1)
	v_fma_f64 v[39:40], v[37:38], v[39:40], 1.0
	v_fma_f64 v[35:36], v[37:38], v[39:40], 1.0
	s_delay_alu instid0(VALU_DEP_1) | instskip(NEXT) | instid1(VALU_DEP_1)
	v_ldexp_f64 v[35:36], v[35:36], v0
	v_cndmask_b32_e64 v0, 0x7ff00000, v36, s0
	s_and_b32 s0, s1, s0
	s_delay_alu instid0(VALU_DEP_2) | instid1(SALU_CYCLE_1)
	v_cndmask_b32_e64 v27, 0, v35, s0
	s_mov_b32 s0, 0x55555555
	s_delay_alu instid0(VALU_DEP_2) | instskip(SKIP_1) | instid1(VALU_DEP_1)
	v_cndmask_b32_e64 v28, 0, v0, s1
	s_mov_b32 s1, 0x3fe55555
	v_add_f64 v[35:36], v[27:28], 1.0
	s_delay_alu instid0(VALU_DEP_1) | instskip(SKIP_2) | instid1(VALU_DEP_3)
	v_frexp_mant_f64_e32 v[37:38], v[35:36]
	v_frexp_exp_i32_f64_e32 v0, v[35:36]
	v_add_f64 v[39:40], v[35:36], -1.0
	v_cmp_gt_f64_e64 s0, s[0:1], v[37:38]
	s_delay_alu instid0(VALU_DEP_2) | instskip(SKIP_1) | instid1(VALU_DEP_3)
	v_add_f64 v[37:38], v[39:40], -v[35:36]
	v_add_f64 v[39:40], v[27:28], -v[39:40]
	v_subrev_co_ci_u32_e64 v0, s0, 0, v0, s0
	s_delay_alu instid0(VALU_DEP_3) | instskip(SKIP_1) | instid1(VALU_DEP_2)
	v_add_f64 v[37:38], v[37:38], 1.0
	s_mov_b32 s0, 0x55555780
	v_sub_nc_u32_e32 v63, 0, v0
	s_delay_alu instid0(VALU_DEP_1) | instskip(NEXT) | instid1(VALU_DEP_3)
	v_ldexp_f64 v[35:36], v[35:36], v63
	v_add_f64 v[37:38], v[39:40], v[37:38]
	s_delay_alu instid0(VALU_DEP_2) | instskip(SKIP_1) | instid1(VALU_DEP_3)
	v_add_f64 v[41:42], v[35:36], 1.0
	v_add_f64 v[67:68], v[35:36], -1.0
	v_ldexp_f64 v[37:38], v[37:38], v63
	s_delay_alu instid0(VALU_DEP_3) | instskip(SKIP_1) | instid1(VALU_DEP_3)
	v_add_f64 v[39:40], v[41:42], -1.0
	s_waitcnt lgkmcnt(0)
	v_add_f64 v[69:70], v[67:68], 1.0
	s_delay_alu instid0(VALU_DEP_2) | instskip(NEXT) | instid1(VALU_DEP_2)
	v_add_f64 v[39:40], v[35:36], -v[39:40]
	v_add_f64 v[35:36], v[35:36], -v[69:70]
	s_delay_alu instid0(VALU_DEP_2) | instskip(NEXT) | instid1(VALU_DEP_2)
	v_add_f64 v[39:40], v[37:38], v[39:40]
	v_add_f64 v[35:36], v[37:38], v[35:36]
	s_delay_alu instid0(VALU_DEP_2) | instskip(NEXT) | instid1(VALU_DEP_2)
	v_add_f64 v[63:64], v[41:42], v[39:40]
	v_add_f64 v[69:70], v[67:68], v[35:36]
	s_delay_alu instid0(VALU_DEP_2) | instskip(SKIP_1) | instid1(VALU_DEP_2)
	v_rcp_f64_e32 v[65:66], v[63:64]
	v_add_f64 v[41:42], v[63:64], -v[41:42]
	v_add_f64 v[67:68], v[69:70], -v[67:68]
	s_delay_alu instid0(VALU_DEP_2) | instskip(SKIP_3) | instid1(VALU_DEP_2)
	v_add_f64 v[39:40], v[39:40], -v[41:42]
	s_waitcnt_depctr 0xfff
	v_fma_f64 v[71:72], -v[63:64], v[65:66], 1.0
	v_add_f64 v[35:36], v[35:36], -v[67:68]
	v_fma_f64 v[65:66], v[71:72], v[65:66], v[65:66]
	s_delay_alu instid0(VALU_DEP_1) | instskip(NEXT) | instid1(VALU_DEP_1)
	v_fma_f64 v[37:38], -v[63:64], v[65:66], 1.0
	v_fma_f64 v[37:38], v[37:38], v[65:66], v[65:66]
	s_delay_alu instid0(VALU_DEP_1) | instskip(NEXT) | instid1(VALU_DEP_1)
	v_mul_f64 v[65:66], v[69:70], v[37:38]
	v_mul_f64 v[71:72], v[63:64], v[65:66]
	s_delay_alu instid0(VALU_DEP_1) | instskip(NEXT) | instid1(VALU_DEP_1)
	v_fma_f64 v[41:42], v[65:66], v[63:64], -v[71:72]
	v_fma_f64 v[41:42], v[65:66], v[39:40], v[41:42]
	s_delay_alu instid0(VALU_DEP_1) | instskip(NEXT) | instid1(VALU_DEP_1)
	v_add_f64 v[73:74], v[71:72], v[41:42]
	v_add_f64 v[75:76], v[69:70], -v[73:74]
	v_add_f64 v[67:68], v[73:74], -v[71:72]
	s_delay_alu instid0(VALU_DEP_2) | instskip(NEXT) | instid1(VALU_DEP_2)
	v_add_f64 v[69:70], v[69:70], -v[75:76]
	v_add_f64 v[41:42], v[67:68], -v[41:42]
	s_delay_alu instid0(VALU_DEP_2) | instskip(NEXT) | instid1(VALU_DEP_1)
	v_add_f64 v[69:70], v[69:70], -v[73:74]
	v_add_f64 v[35:36], v[35:36], v[69:70]
	s_delay_alu instid0(VALU_DEP_1) | instskip(NEXT) | instid1(VALU_DEP_1)
	v_add_f64 v[35:36], v[41:42], v[35:36]
	v_add_f64 v[41:42], v[75:76], v[35:36]
	s_delay_alu instid0(VALU_DEP_1) | instskip(SKIP_1) | instid1(VALU_DEP_2)
	v_mul_f64 v[67:68], v[37:38], v[41:42]
	v_add_f64 v[73:74], v[75:76], -v[41:42]
	v_mul_f64 v[69:70], v[63:64], v[67:68]
	s_delay_alu instid0(VALU_DEP_2) | instskip(NEXT) | instid1(VALU_DEP_2)
	v_add_f64 v[35:36], v[35:36], v[73:74]
	v_fma_f64 v[63:64], v[67:68], v[63:64], -v[69:70]
	s_delay_alu instid0(VALU_DEP_1) | instskip(NEXT) | instid1(VALU_DEP_1)
	v_fma_f64 v[39:40], v[67:68], v[39:40], v[63:64]
	v_add_f64 v[63:64], v[69:70], v[39:40]
	s_delay_alu instid0(VALU_DEP_1) | instskip(SKIP_1) | instid1(VALU_DEP_2)
	v_add_f64 v[71:72], v[41:42], -v[63:64]
	v_add_f64 v[69:70], v[63:64], -v[69:70]
	v_add_f64 v[41:42], v[41:42], -v[71:72]
	s_delay_alu instid0(VALU_DEP_2) | instskip(NEXT) | instid1(VALU_DEP_2)
	v_add_f64 v[39:40], v[69:70], -v[39:40]
	v_add_f64 v[41:42], v[41:42], -v[63:64]
	s_delay_alu instid0(VALU_DEP_1) | instskip(SKIP_1) | instid1(VALU_DEP_2)
	v_add_f64 v[35:36], v[35:36], v[41:42]
	v_add_f64 v[41:42], v[65:66], v[67:68]
	;; [unrolled: 1-line block ×3, first 2 shown]
	s_delay_alu instid0(VALU_DEP_2) | instskip(NEXT) | instid1(VALU_DEP_2)
	v_add_f64 v[39:40], v[41:42], -v[65:66]
	v_add_f64 v[35:36], v[71:72], v[35:36]
	s_delay_alu instid0(VALU_DEP_2) | instskip(NEXT) | instid1(VALU_DEP_2)
	v_add_f64 v[39:40], v[67:68], -v[39:40]
	v_mul_f64 v[35:36], v[37:38], v[35:36]
	s_delay_alu instid0(VALU_DEP_1) | instskip(NEXT) | instid1(VALU_DEP_1)
	v_add_f64 v[35:36], v[39:40], v[35:36]
	v_add_f64 v[37:38], v[41:42], v[35:36]
	s_delay_alu instid0(VALU_DEP_1) | instskip(NEXT) | instid1(VALU_DEP_1)
	v_mul_f64 v[39:40], v[37:38], v[37:38]
	v_fma_f64 v[63:64], v[39:40], s[38:39], s[36:37]
	s_mov_b32 s36, 0xd7f4df2e
	s_mov_b32 s37, 0x3fc7474d
	v_mul_f64 v[65:66], v[37:38], v[39:40]
	s_delay_alu instid0(VALU_DEP_2)
	v_fma_f64 v[63:64], v[39:40], v[63:64], s[36:37]
	s_mov_b32 s36, 0x16291751
	s_mov_b32 s37, 0x3fcc71c0
	s_delay_alu instid0(VALU_DEP_1) | instid1(SALU_CYCLE_1)
	v_fma_f64 v[63:64], v[39:40], v[63:64], s[36:37]
	s_mov_b32 s36, 0x9b27acf1
	s_mov_b32 s37, 0x3fd24924
	s_delay_alu instid0(VALU_DEP_1) | instid1(SALU_CYCLE_1)
	;; [unrolled: 4-line block ×3, first 2 shown]
	v_fma_f64 v[63:64], v[39:40], v[63:64], s[36:37]
	s_delay_alu instid0(VALU_DEP_1) | instskip(SKIP_3) | instid1(VALU_DEP_4)
	v_fma_f64 v[39:40], v[39:40], v[63:64], s[0:1]
	v_ldexp_f64 v[63:64], v[37:38], 1
	v_add_f64 v[37:38], v[37:38], -v[41:42]
	v_cmp_eq_f64_e64 s0, 0x7ff00000, v[27:28]
	v_mul_f64 v[39:40], v[65:66], v[39:40]
	v_cvt_f64_i32_e32 v[65:66], v0
	s_delay_alu instid0(VALU_DEP_4) | instskip(NEXT) | instid1(VALU_DEP_3)
	v_add_f64 v[35:36], v[35:36], -v[37:38]
	v_add_f64 v[41:42], v[63:64], v[39:40]
	s_delay_alu instid0(VALU_DEP_3) | instskip(NEXT) | instid1(VALU_DEP_3)
	v_mul_f64 v[67:68], v[65:66], s[18:19]
	v_ldexp_f64 v[35:36], v[35:36], 1
	s_delay_alu instid0(VALU_DEP_3) | instskip(NEXT) | instid1(VALU_DEP_3)
	v_add_f64 v[37:38], v[41:42], -v[63:64]
	v_fma_f64 v[63:64], v[65:66], s[18:19], -v[67:68]
	s_delay_alu instid0(VALU_DEP_2) | instskip(NEXT) | instid1(VALU_DEP_2)
	v_add_f64 v[37:38], v[39:40], -v[37:38]
	v_fma_f64 v[39:40], v[65:66], s[20:21], v[63:64]
	s_delay_alu instid0(VALU_DEP_2) | instskip(NEXT) | instid1(VALU_DEP_2)
	v_add_f64 v[35:36], v[35:36], v[37:38]
	v_add_f64 v[37:38], v[67:68], v[39:40]
	s_delay_alu instid0(VALU_DEP_2) | instskip(NEXT) | instid1(VALU_DEP_2)
	v_add_f64 v[63:64], v[41:42], v[35:36]
	v_add_f64 v[67:68], v[37:38], -v[67:68]
	s_delay_alu instid0(VALU_DEP_2) | instskip(SKIP_1) | instid1(VALU_DEP_3)
	v_add_f64 v[65:66], v[37:38], v[63:64]
	v_add_f64 v[41:42], v[63:64], -v[41:42]
	v_add_f64 v[39:40], v[39:40], -v[67:68]
	s_delay_alu instid0(VALU_DEP_3) | instskip(NEXT) | instid1(VALU_DEP_3)
	v_add_f64 v[69:70], v[65:66], -v[37:38]
	v_add_f64 v[35:36], v[35:36], -v[41:42]
	s_delay_alu instid0(VALU_DEP_2) | instskip(SKIP_1) | instid1(VALU_DEP_3)
	v_add_f64 v[71:72], v[65:66], -v[69:70]
	v_add_f64 v[41:42], v[63:64], -v[69:70]
	v_add_f64 v[63:64], v[39:40], v[35:36]
	s_delay_alu instid0(VALU_DEP_3) | instskip(NEXT) | instid1(VALU_DEP_1)
	v_add_f64 v[37:38], v[37:38], -v[71:72]
	v_add_f64 v[37:38], v[41:42], v[37:38]
	s_delay_alu instid0(VALU_DEP_3) | instskip(NEXT) | instid1(VALU_DEP_2)
	v_add_f64 v[41:42], v[63:64], -v[39:40]
	v_add_f64 v[37:38], v[63:64], v[37:38]
	s_delay_alu instid0(VALU_DEP_2) | instskip(SKIP_1) | instid1(VALU_DEP_3)
	v_add_f64 v[63:64], v[63:64], -v[41:42]
	v_add_f64 v[35:36], v[35:36], -v[41:42]
	v_add_f64 v[67:68], v[65:66], v[37:38]
	s_delay_alu instid0(VALU_DEP_3) | instskip(NEXT) | instid1(VALU_DEP_2)
	v_add_f64 v[39:40], v[39:40], -v[63:64]
	v_add_f64 v[41:42], v[67:68], -v[65:66]
	s_delay_alu instid0(VALU_DEP_2) | instskip(NEXT) | instid1(VALU_DEP_2)
	v_add_f64 v[35:36], v[35:36], v[39:40]
	v_add_f64 v[37:38], v[37:38], -v[41:42]
	s_delay_alu instid0(VALU_DEP_1) | instskip(NEXT) | instid1(VALU_DEP_1)
	v_add_f64 v[35:36], v[35:36], v[37:38]
	v_add_f64 v[35:36], v[67:68], v[35:36]
	s_delay_alu instid0(VALU_DEP_1) | instskip(NEXT) | instid1(VALU_DEP_2)
	v_cndmask_b32_e64 v0, v35, v27, s0
	v_cndmask_b32_e64 v35, v36, v28, s0
	v_cmp_ngt_f64_e64 s0, -1.0, v[27:28]
	s_delay_alu instid0(VALU_DEP_1) | instskip(SKIP_1) | instid1(VALU_DEP_1)
	v_cndmask_b32_e64 v36, 0x7ff80000, v35, s0
	v_cmp_nge_f64_e64 s0, -1.0, v[27:28]
	v_cndmask_b32_e64 v35, 0, v0, s0
	v_cmp_neq_f64_e64 s0, -1.0, v[27:28]
	s_delay_alu instid0(VALU_DEP_1) | instskip(NEXT) | instid1(VALU_DEP_1)
	v_cndmask_b32_e64 v36, 0xfff00000, v36, s0
	v_add_f64 v[27:28], v[33:34], v[35:36]
.LBB26_116:
	s_or_b32 exec_lo, exec_lo, s17
	s_delay_alu instid0(VALU_DEP_1) | instskip(SKIP_1) | instid1(VALU_DEP_2)
	v_max_f64 v[33:34], v[27:28], v[27:28]
	v_cmp_u_f64_e64 s0, v[27:28], v[27:28]
	v_min_f64 v[35:36], v[33:34], v[43:44]
	v_max_f64 v[33:34], v[33:34], v[43:44]
	s_delay_alu instid0(VALU_DEP_2) | instskip(NEXT) | instid1(VALU_DEP_3)
	v_cndmask_b32_e64 v0, v35, v27, s0
	v_cndmask_b32_e64 v35, v36, v28, s0
	s_delay_alu instid0(VALU_DEP_3) | instskip(NEXT) | instid1(VALU_DEP_4)
	v_cndmask_b32_e64 v34, v34, v28, s0
	v_cndmask_b32_e64 v33, v33, v27, s0
	s_delay_alu instid0(VALU_DEP_3) | instskip(SKIP_1) | instid1(VALU_DEP_4)
	v_cndmask_b32_e64 v36, v35, v22, s22
	v_cndmask_b32_e64 v35, v0, v21, s22
	;; [unrolled: 1-line block ×3, first 2 shown]
	s_delay_alu instid0(VALU_DEP_4) | instskip(SKIP_1) | instid1(VALU_DEP_4)
	v_cndmask_b32_e64 v33, v33, v21, s22
	v_dual_mov_b32 v21, v27 :: v_dual_mov_b32 v22, v28
	v_cmp_class_f64_e64 s1, v[35:36], 0x1f8
	s_delay_alu instid0(VALU_DEP_3) | instskip(NEXT) | instid1(VALU_DEP_1)
	v_cmp_neq_f64_e64 s0, v[35:36], v[33:34]
	s_or_b32 s0, s0, s1
	s_delay_alu instid0(SALU_CYCLE_1)
	s_and_saveexec_b32 s17, s0
	s_cbranch_execz .LBB26_118
; %bb.117:
	v_add_f64 v[21:22], v[35:36], -v[33:34]
	s_mov_b32 s0, 0x652b82fe
	s_mov_b32 s1, 0x3ff71547
	;; [unrolled: 1-line block ×10, first 2 shown]
	s_delay_alu instid0(VALU_DEP_1) | instskip(SKIP_2) | instid1(VALU_DEP_1)
	v_mul_f64 v[35:36], v[21:22], s[0:1]
	s_mov_b32 s0, 0xfca7ab0c
	s_mov_b32 s1, 0x3e928af3
	v_rndne_f64_e32 v[35:36], v[35:36]
	s_delay_alu instid0(VALU_DEP_1) | instskip(SKIP_2) | instid1(VALU_DEP_2)
	v_fma_f64 v[37:38], v[35:36], s[18:19], v[21:22]
	v_cvt_i32_f64_e32 v0, v[35:36]
	s_mov_b32 s19, 0x3fe62e42
	v_fma_f64 v[37:38], v[35:36], s[20:21], v[37:38]
	s_mov_b32 s21, 0x3c7abc9e
	s_delay_alu instid0(VALU_DEP_1) | instskip(SKIP_4) | instid1(VALU_DEP_1)
	v_fma_f64 v[39:40], v[37:38], s[36:37], s[0:1]
	s_mov_b32 s0, 0x623fde64
	s_mov_b32 s1, 0x3ec71dee
	;; [unrolled: 1-line block ×4, first 2 shown]
	v_fma_f64 v[39:40], v[37:38], v[39:40], s[0:1]
	s_mov_b32 s0, 0x7c89e6b0
	s_mov_b32 s1, 0x3efa0199
	s_delay_alu instid0(VALU_DEP_1) | instid1(SALU_CYCLE_1)
	v_fma_f64 v[39:40], v[37:38], v[39:40], s[0:1]
	s_mov_b32 s0, 0x14761f6e
	s_mov_b32 s1, 0x3f2a01a0
	s_delay_alu instid0(VALU_DEP_1) | instid1(SALU_CYCLE_1)
	;; [unrolled: 4-line block ×7, first 2 shown]
	v_fma_f64 v[39:40], v[37:38], v[39:40], s[0:1]
	v_cmp_nlt_f64_e64 s0, 0x40900000, v[21:22]
	v_cmp_ngt_f64_e64 s1, 0xc090cc00, v[21:22]
	s_delay_alu instid0(VALU_DEP_3) | instskip(NEXT) | instid1(VALU_DEP_1)
	v_fma_f64 v[39:40], v[37:38], v[39:40], 1.0
	v_fma_f64 v[35:36], v[37:38], v[39:40], 1.0
	s_delay_alu instid0(VALU_DEP_1) | instskip(NEXT) | instid1(VALU_DEP_1)
	v_ldexp_f64 v[35:36], v[35:36], v0
	v_cndmask_b32_e64 v0, 0x7ff00000, v36, s0
	s_and_b32 s0, s1, s0
	s_delay_alu instid0(VALU_DEP_2) | instid1(SALU_CYCLE_1)
	v_cndmask_b32_e64 v21, 0, v35, s0
	s_mov_b32 s0, 0x55555555
	s_delay_alu instid0(VALU_DEP_2) | instskip(SKIP_1) | instid1(VALU_DEP_1)
	v_cndmask_b32_e64 v22, 0, v0, s1
	s_mov_b32 s1, 0x3fe55555
	v_add_f64 v[35:36], v[21:22], 1.0
	s_delay_alu instid0(VALU_DEP_1) | instskip(SKIP_2) | instid1(VALU_DEP_3)
	v_frexp_mant_f64_e32 v[37:38], v[35:36]
	v_frexp_exp_i32_f64_e32 v0, v[35:36]
	v_add_f64 v[39:40], v[35:36], -1.0
	v_cmp_gt_f64_e64 s0, s[0:1], v[37:38]
	s_delay_alu instid0(VALU_DEP_2) | instskip(SKIP_1) | instid1(VALU_DEP_3)
	v_add_f64 v[37:38], v[39:40], -v[35:36]
	v_add_f64 v[39:40], v[21:22], -v[39:40]
	v_subrev_co_ci_u32_e64 v0, s0, 0, v0, s0
	s_delay_alu instid0(VALU_DEP_3) | instskip(SKIP_1) | instid1(VALU_DEP_2)
	v_add_f64 v[37:38], v[37:38], 1.0
	s_mov_b32 s0, 0x55555780
	v_sub_nc_u32_e32 v43, 0, v0
	s_delay_alu instid0(VALU_DEP_1) | instskip(NEXT) | instid1(VALU_DEP_3)
	v_ldexp_f64 v[35:36], v[35:36], v43
	v_add_f64 v[37:38], v[39:40], v[37:38]
	s_delay_alu instid0(VALU_DEP_2) | instskip(SKIP_1) | instid1(VALU_DEP_3)
	v_add_f64 v[41:42], v[35:36], 1.0
	v_add_f64 v[65:66], v[35:36], -1.0
	v_ldexp_f64 v[37:38], v[37:38], v43
	s_delay_alu instid0(VALU_DEP_3) | instskip(NEXT) | instid1(VALU_DEP_3)
	v_add_f64 v[39:40], v[41:42], -1.0
	v_add_f64 v[67:68], v[65:66], 1.0
	s_delay_alu instid0(VALU_DEP_2) | instskip(NEXT) | instid1(VALU_DEP_2)
	v_add_f64 v[39:40], v[35:36], -v[39:40]
	v_add_f64 v[35:36], v[35:36], -v[67:68]
	s_delay_alu instid0(VALU_DEP_2) | instskip(NEXT) | instid1(VALU_DEP_2)
	v_add_f64 v[39:40], v[37:38], v[39:40]
	v_add_f64 v[35:36], v[37:38], v[35:36]
	s_delay_alu instid0(VALU_DEP_2) | instskip(NEXT) | instid1(VALU_DEP_2)
	v_add_f64 v[43:44], v[41:42], v[39:40]
	v_add_f64 v[67:68], v[65:66], v[35:36]
	s_delay_alu instid0(VALU_DEP_2) | instskip(SKIP_1) | instid1(VALU_DEP_2)
	v_rcp_f64_e32 v[63:64], v[43:44]
	v_add_f64 v[41:42], v[43:44], -v[41:42]
	v_add_f64 v[65:66], v[67:68], -v[65:66]
	s_delay_alu instid0(VALU_DEP_2) | instskip(SKIP_4) | instid1(VALU_DEP_2)
	v_add_f64 v[39:40], v[39:40], -v[41:42]
	s_waitcnt lgkmcnt(0)
	s_waitcnt_depctr 0xfff
	v_fma_f64 v[69:70], -v[43:44], v[63:64], 1.0
	v_add_f64 v[35:36], v[35:36], -v[65:66]
	v_fma_f64 v[63:64], v[69:70], v[63:64], v[63:64]
	s_delay_alu instid0(VALU_DEP_1) | instskip(NEXT) | instid1(VALU_DEP_1)
	v_fma_f64 v[37:38], -v[43:44], v[63:64], 1.0
	v_fma_f64 v[37:38], v[37:38], v[63:64], v[63:64]
	s_delay_alu instid0(VALU_DEP_1) | instskip(NEXT) | instid1(VALU_DEP_1)
	v_mul_f64 v[63:64], v[67:68], v[37:38]
	v_mul_f64 v[69:70], v[43:44], v[63:64]
	s_delay_alu instid0(VALU_DEP_1) | instskip(NEXT) | instid1(VALU_DEP_1)
	v_fma_f64 v[41:42], v[63:64], v[43:44], -v[69:70]
	v_fma_f64 v[41:42], v[63:64], v[39:40], v[41:42]
	s_delay_alu instid0(VALU_DEP_1) | instskip(NEXT) | instid1(VALU_DEP_1)
	v_add_f64 v[71:72], v[69:70], v[41:42]
	v_add_f64 v[73:74], v[67:68], -v[71:72]
	v_add_f64 v[65:66], v[71:72], -v[69:70]
	s_delay_alu instid0(VALU_DEP_2) | instskip(NEXT) | instid1(VALU_DEP_2)
	v_add_f64 v[67:68], v[67:68], -v[73:74]
	v_add_f64 v[41:42], v[65:66], -v[41:42]
	s_delay_alu instid0(VALU_DEP_2) | instskip(NEXT) | instid1(VALU_DEP_1)
	v_add_f64 v[67:68], v[67:68], -v[71:72]
	v_add_f64 v[35:36], v[35:36], v[67:68]
	s_delay_alu instid0(VALU_DEP_1) | instskip(NEXT) | instid1(VALU_DEP_1)
	v_add_f64 v[35:36], v[41:42], v[35:36]
	v_add_f64 v[41:42], v[73:74], v[35:36]
	s_delay_alu instid0(VALU_DEP_1) | instskip(SKIP_1) | instid1(VALU_DEP_2)
	v_mul_f64 v[65:66], v[37:38], v[41:42]
	v_add_f64 v[71:72], v[73:74], -v[41:42]
	v_mul_f64 v[67:68], v[43:44], v[65:66]
	s_delay_alu instid0(VALU_DEP_2) | instskip(NEXT) | instid1(VALU_DEP_2)
	v_add_f64 v[35:36], v[35:36], v[71:72]
	v_fma_f64 v[43:44], v[65:66], v[43:44], -v[67:68]
	s_delay_alu instid0(VALU_DEP_1) | instskip(NEXT) | instid1(VALU_DEP_1)
	v_fma_f64 v[39:40], v[65:66], v[39:40], v[43:44]
	v_add_f64 v[43:44], v[67:68], v[39:40]
	s_delay_alu instid0(VALU_DEP_1) | instskip(SKIP_1) | instid1(VALU_DEP_2)
	v_add_f64 v[69:70], v[41:42], -v[43:44]
	v_add_f64 v[67:68], v[43:44], -v[67:68]
	;; [unrolled: 1-line block ×3, first 2 shown]
	s_delay_alu instid0(VALU_DEP_2) | instskip(NEXT) | instid1(VALU_DEP_2)
	v_add_f64 v[39:40], v[67:68], -v[39:40]
	v_add_f64 v[41:42], v[41:42], -v[43:44]
	s_delay_alu instid0(VALU_DEP_1) | instskip(SKIP_1) | instid1(VALU_DEP_2)
	v_add_f64 v[35:36], v[35:36], v[41:42]
	v_add_f64 v[41:42], v[63:64], v[65:66]
	;; [unrolled: 1-line block ×3, first 2 shown]
	s_delay_alu instid0(VALU_DEP_2) | instskip(NEXT) | instid1(VALU_DEP_2)
	v_add_f64 v[39:40], v[41:42], -v[63:64]
	v_add_f64 v[35:36], v[69:70], v[35:36]
	s_delay_alu instid0(VALU_DEP_2) | instskip(NEXT) | instid1(VALU_DEP_2)
	v_add_f64 v[39:40], v[65:66], -v[39:40]
	v_mul_f64 v[35:36], v[37:38], v[35:36]
	s_delay_alu instid0(VALU_DEP_1) | instskip(NEXT) | instid1(VALU_DEP_1)
	v_add_f64 v[35:36], v[39:40], v[35:36]
	v_add_f64 v[37:38], v[41:42], v[35:36]
	s_delay_alu instid0(VALU_DEP_1) | instskip(NEXT) | instid1(VALU_DEP_1)
	v_mul_f64 v[39:40], v[37:38], v[37:38]
	v_fma_f64 v[43:44], v[39:40], s[38:39], s[36:37]
	s_mov_b32 s36, 0xd7f4df2e
	s_mov_b32 s37, 0x3fc7474d
	v_mul_f64 v[63:64], v[37:38], v[39:40]
	s_delay_alu instid0(VALU_DEP_2)
	v_fma_f64 v[43:44], v[39:40], v[43:44], s[36:37]
	s_mov_b32 s36, 0x16291751
	s_mov_b32 s37, 0x3fcc71c0
	s_delay_alu instid0(VALU_DEP_1) | instid1(SALU_CYCLE_1)
	v_fma_f64 v[43:44], v[39:40], v[43:44], s[36:37]
	s_mov_b32 s36, 0x9b27acf1
	s_mov_b32 s37, 0x3fd24924
	s_delay_alu instid0(VALU_DEP_1) | instid1(SALU_CYCLE_1)
	;; [unrolled: 4-line block ×3, first 2 shown]
	v_fma_f64 v[43:44], v[39:40], v[43:44], s[36:37]
	s_delay_alu instid0(VALU_DEP_1) | instskip(SKIP_3) | instid1(VALU_DEP_4)
	v_fma_f64 v[39:40], v[39:40], v[43:44], s[0:1]
	v_ldexp_f64 v[43:44], v[37:38], 1
	v_add_f64 v[37:38], v[37:38], -v[41:42]
	v_cmp_eq_f64_e64 s0, 0x7ff00000, v[21:22]
	v_mul_f64 v[39:40], v[63:64], v[39:40]
	v_cvt_f64_i32_e32 v[63:64], v0
	s_delay_alu instid0(VALU_DEP_4) | instskip(NEXT) | instid1(VALU_DEP_3)
	v_add_f64 v[35:36], v[35:36], -v[37:38]
	v_add_f64 v[41:42], v[43:44], v[39:40]
	s_delay_alu instid0(VALU_DEP_3) | instskip(NEXT) | instid1(VALU_DEP_3)
	v_mul_f64 v[65:66], v[63:64], s[18:19]
	v_ldexp_f64 v[35:36], v[35:36], 1
	s_delay_alu instid0(VALU_DEP_3) | instskip(NEXT) | instid1(VALU_DEP_3)
	v_add_f64 v[37:38], v[41:42], -v[43:44]
	v_fma_f64 v[43:44], v[63:64], s[18:19], -v[65:66]
	s_delay_alu instid0(VALU_DEP_2) | instskip(NEXT) | instid1(VALU_DEP_2)
	v_add_f64 v[37:38], v[39:40], -v[37:38]
	v_fma_f64 v[39:40], v[63:64], s[20:21], v[43:44]
	s_delay_alu instid0(VALU_DEP_2) | instskip(NEXT) | instid1(VALU_DEP_2)
	v_add_f64 v[35:36], v[35:36], v[37:38]
	v_add_f64 v[37:38], v[65:66], v[39:40]
	s_delay_alu instid0(VALU_DEP_2) | instskip(NEXT) | instid1(VALU_DEP_2)
	v_add_f64 v[43:44], v[41:42], v[35:36]
	v_add_f64 v[65:66], v[37:38], -v[65:66]
	s_delay_alu instid0(VALU_DEP_2) | instskip(SKIP_1) | instid1(VALU_DEP_3)
	v_add_f64 v[63:64], v[37:38], v[43:44]
	v_add_f64 v[41:42], v[43:44], -v[41:42]
	v_add_f64 v[39:40], v[39:40], -v[65:66]
	s_delay_alu instid0(VALU_DEP_3) | instskip(NEXT) | instid1(VALU_DEP_3)
	v_add_f64 v[67:68], v[63:64], -v[37:38]
	v_add_f64 v[35:36], v[35:36], -v[41:42]
	s_delay_alu instid0(VALU_DEP_2) | instskip(SKIP_1) | instid1(VALU_DEP_3)
	v_add_f64 v[69:70], v[63:64], -v[67:68]
	v_add_f64 v[41:42], v[43:44], -v[67:68]
	v_add_f64 v[43:44], v[39:40], v[35:36]
	s_delay_alu instid0(VALU_DEP_3) | instskip(NEXT) | instid1(VALU_DEP_1)
	v_add_f64 v[37:38], v[37:38], -v[69:70]
	v_add_f64 v[37:38], v[41:42], v[37:38]
	s_delay_alu instid0(VALU_DEP_3) | instskip(NEXT) | instid1(VALU_DEP_2)
	v_add_f64 v[41:42], v[43:44], -v[39:40]
	v_add_f64 v[37:38], v[43:44], v[37:38]
	s_delay_alu instid0(VALU_DEP_2) | instskip(SKIP_1) | instid1(VALU_DEP_3)
	v_add_f64 v[43:44], v[43:44], -v[41:42]
	v_add_f64 v[35:36], v[35:36], -v[41:42]
	v_add_f64 v[65:66], v[63:64], v[37:38]
	s_delay_alu instid0(VALU_DEP_3) | instskip(NEXT) | instid1(VALU_DEP_2)
	v_add_f64 v[39:40], v[39:40], -v[43:44]
	v_add_f64 v[41:42], v[65:66], -v[63:64]
	s_delay_alu instid0(VALU_DEP_2) | instskip(NEXT) | instid1(VALU_DEP_2)
	v_add_f64 v[35:36], v[35:36], v[39:40]
	v_add_f64 v[37:38], v[37:38], -v[41:42]
	s_delay_alu instid0(VALU_DEP_1) | instskip(NEXT) | instid1(VALU_DEP_1)
	v_add_f64 v[35:36], v[35:36], v[37:38]
	v_add_f64 v[35:36], v[65:66], v[35:36]
	s_delay_alu instid0(VALU_DEP_1) | instskip(NEXT) | instid1(VALU_DEP_2)
	v_cndmask_b32_e64 v0, v35, v21, s0
	v_cndmask_b32_e64 v35, v36, v22, s0
	v_cmp_ngt_f64_e64 s0, -1.0, v[21:22]
	s_delay_alu instid0(VALU_DEP_1) | instskip(SKIP_1) | instid1(VALU_DEP_1)
	v_cndmask_b32_e64 v36, 0x7ff80000, v35, s0
	v_cmp_nge_f64_e64 s0, -1.0, v[21:22]
	v_cndmask_b32_e64 v35, 0, v0, s0
	v_cmp_neq_f64_e64 s0, -1.0, v[21:22]
	s_delay_alu instid0(VALU_DEP_1) | instskip(NEXT) | instid1(VALU_DEP_1)
	v_cndmask_b32_e64 v36, 0xfff00000, v36, s0
	v_add_f64 v[21:22], v[33:34], v[35:36]
.LBB26_118:
	s_or_b32 exec_lo, exec_lo, s17
	s_delay_alu instid0(VALU_DEP_1) | instskip(SKIP_1) | instid1(VALU_DEP_2)
	v_max_f64 v[33:34], v[21:22], v[21:22]
	v_cmp_u_f64_e64 s0, v[21:22], v[21:22]
	v_min_f64 v[35:36], v[33:34], v[45:46]
	v_max_f64 v[33:34], v[33:34], v[45:46]
	s_delay_alu instid0(VALU_DEP_2) | instskip(NEXT) | instid1(VALU_DEP_3)
	v_cndmask_b32_e64 v0, v35, v21, s0
	v_cndmask_b32_e64 v35, v36, v22, s0
	s_delay_alu instid0(VALU_DEP_3) | instskip(NEXT) | instid1(VALU_DEP_4)
	v_cndmask_b32_e64 v34, v34, v22, s0
	v_cndmask_b32_e64 v33, v33, v21, s0
	s_delay_alu instid0(VALU_DEP_3) | instskip(SKIP_1) | instid1(VALU_DEP_4)
	v_cndmask_b32_e64 v36, v35, v24, s23
	v_cndmask_b32_e64 v35, v0, v23, s23
	;; [unrolled: 1-line block ×3, first 2 shown]
	s_delay_alu instid0(VALU_DEP_4) | instskip(SKIP_1) | instid1(VALU_DEP_4)
	v_cndmask_b32_e64 v33, v33, v23, s23
	v_dual_mov_b32 v24, v22 :: v_dual_mov_b32 v23, v21
	v_cmp_class_f64_e64 s1, v[35:36], 0x1f8
	s_delay_alu instid0(VALU_DEP_3) | instskip(NEXT) | instid1(VALU_DEP_1)
	v_cmp_neq_f64_e64 s0, v[35:36], v[33:34]
	s_or_b32 s0, s0, s1
	s_delay_alu instid0(SALU_CYCLE_1)
	s_and_saveexec_b32 s17, s0
	s_cbranch_execz .LBB26_120
; %bb.119:
	v_add_f64 v[23:24], v[35:36], -v[33:34]
	s_mov_b32 s0, 0x652b82fe
	s_mov_b32 s1, 0x3ff71547
	;; [unrolled: 1-line block ×10, first 2 shown]
	s_delay_alu instid0(VALU_DEP_1) | instskip(SKIP_2) | instid1(VALU_DEP_1)
	v_mul_f64 v[35:36], v[23:24], s[0:1]
	s_mov_b32 s0, 0xfca7ab0c
	s_mov_b32 s1, 0x3e928af3
	v_rndne_f64_e32 v[35:36], v[35:36]
	s_delay_alu instid0(VALU_DEP_1) | instskip(SKIP_2) | instid1(VALU_DEP_2)
	v_fma_f64 v[37:38], v[35:36], s[18:19], v[23:24]
	v_cvt_i32_f64_e32 v0, v[35:36]
	s_mov_b32 s19, 0x3fe62e42
	v_fma_f64 v[37:38], v[35:36], s[20:21], v[37:38]
	s_mov_b32 s21, 0x3c7abc9e
	s_delay_alu instid0(VALU_DEP_1) | instskip(SKIP_4) | instid1(VALU_DEP_1)
	v_fma_f64 v[39:40], v[37:38], s[22:23], s[0:1]
	s_mov_b32 s0, 0x623fde64
	s_mov_b32 s1, 0x3ec71dee
	;; [unrolled: 1-line block ×4, first 2 shown]
	v_fma_f64 v[39:40], v[37:38], v[39:40], s[0:1]
	s_mov_b32 s0, 0x7c89e6b0
	s_mov_b32 s1, 0x3efa0199
	s_delay_alu instid0(VALU_DEP_1) | instid1(SALU_CYCLE_1)
	v_fma_f64 v[39:40], v[37:38], v[39:40], s[0:1]
	s_mov_b32 s0, 0x14761f6e
	s_mov_b32 s1, 0x3f2a01a0
	s_delay_alu instid0(VALU_DEP_1) | instid1(SALU_CYCLE_1)
	;; [unrolled: 4-line block ×7, first 2 shown]
	v_fma_f64 v[39:40], v[37:38], v[39:40], s[0:1]
	v_cmp_nlt_f64_e64 s0, 0x40900000, v[23:24]
	v_cmp_ngt_f64_e64 s1, 0xc090cc00, v[23:24]
	s_delay_alu instid0(VALU_DEP_3) | instskip(NEXT) | instid1(VALU_DEP_1)
	v_fma_f64 v[39:40], v[37:38], v[39:40], 1.0
	v_fma_f64 v[35:36], v[37:38], v[39:40], 1.0
	s_delay_alu instid0(VALU_DEP_1) | instskip(NEXT) | instid1(VALU_DEP_1)
	v_ldexp_f64 v[35:36], v[35:36], v0
	v_cndmask_b32_e64 v0, 0x7ff00000, v36, s0
	s_and_b32 s0, s1, s0
	s_delay_alu instid0(VALU_DEP_2) | instid1(SALU_CYCLE_1)
	v_cndmask_b32_e64 v23, 0, v35, s0
	s_mov_b32 s0, 0x55555555
	s_delay_alu instid0(VALU_DEP_2) | instskip(SKIP_1) | instid1(VALU_DEP_1)
	v_cndmask_b32_e64 v24, 0, v0, s1
	s_mov_b32 s1, 0x3fe55555
	v_add_f64 v[35:36], v[23:24], 1.0
	s_delay_alu instid0(VALU_DEP_1) | instskip(SKIP_2) | instid1(VALU_DEP_3)
	v_frexp_mant_f64_e32 v[37:38], v[35:36]
	v_frexp_exp_i32_f64_e32 v0, v[35:36]
	v_add_f64 v[39:40], v[35:36], -1.0
	v_cmp_gt_f64_e64 s0, s[0:1], v[37:38]
	s_delay_alu instid0(VALU_DEP_2) | instskip(SKIP_1) | instid1(VALU_DEP_3)
	v_add_f64 v[37:38], v[39:40], -v[35:36]
	v_add_f64 v[39:40], v[23:24], -v[39:40]
	v_subrev_co_ci_u32_e64 v0, s0, 0, v0, s0
	s_delay_alu instid0(VALU_DEP_3) | instskip(SKIP_1) | instid1(VALU_DEP_2)
	v_add_f64 v[37:38], v[37:38], 1.0
	s_mov_b32 s0, 0x55555780
	v_sub_nc_u32_e32 v43, 0, v0
	s_delay_alu instid0(VALU_DEP_1) | instskip(NEXT) | instid1(VALU_DEP_3)
	v_ldexp_f64 v[35:36], v[35:36], v43
	v_add_f64 v[37:38], v[39:40], v[37:38]
	s_delay_alu instid0(VALU_DEP_2) | instskip(SKIP_1) | instid1(VALU_DEP_3)
	v_add_f64 v[41:42], v[35:36], 1.0
	v_add_f64 v[63:64], v[35:36], -1.0
	v_ldexp_f64 v[37:38], v[37:38], v43
	s_delay_alu instid0(VALU_DEP_3) | instskip(NEXT) | instid1(VALU_DEP_3)
	v_add_f64 v[39:40], v[41:42], -1.0
	v_add_f64 v[65:66], v[63:64], 1.0
	s_delay_alu instid0(VALU_DEP_2) | instskip(NEXT) | instid1(VALU_DEP_2)
	v_add_f64 v[39:40], v[35:36], -v[39:40]
	v_add_f64 v[35:36], v[35:36], -v[65:66]
	s_delay_alu instid0(VALU_DEP_2) | instskip(NEXT) | instid1(VALU_DEP_2)
	v_add_f64 v[39:40], v[37:38], v[39:40]
	v_add_f64 v[35:36], v[37:38], v[35:36]
	s_delay_alu instid0(VALU_DEP_2) | instskip(NEXT) | instid1(VALU_DEP_2)
	v_add_f64 v[43:44], v[41:42], v[39:40]
	v_add_f64 v[65:66], v[63:64], v[35:36]
	s_delay_alu instid0(VALU_DEP_2) | instskip(SKIP_1) | instid1(VALU_DEP_2)
	v_rcp_f64_e32 v[45:46], v[43:44]
	v_add_f64 v[41:42], v[43:44], -v[41:42]
	v_add_f64 v[63:64], v[65:66], -v[63:64]
	s_delay_alu instid0(VALU_DEP_2) | instskip(SKIP_3) | instid1(VALU_DEP_2)
	v_add_f64 v[39:40], v[39:40], -v[41:42]
	s_waitcnt_depctr 0xfff
	v_fma_f64 v[67:68], -v[43:44], v[45:46], 1.0
	v_add_f64 v[35:36], v[35:36], -v[63:64]
	v_fma_f64 v[45:46], v[67:68], v[45:46], v[45:46]
	s_delay_alu instid0(VALU_DEP_1) | instskip(NEXT) | instid1(VALU_DEP_1)
	v_fma_f64 v[37:38], -v[43:44], v[45:46], 1.0
	v_fma_f64 v[37:38], v[37:38], v[45:46], v[45:46]
	s_delay_alu instid0(VALU_DEP_1) | instskip(NEXT) | instid1(VALU_DEP_1)
	v_mul_f64 v[45:46], v[65:66], v[37:38]
	v_mul_f64 v[67:68], v[43:44], v[45:46]
	s_delay_alu instid0(VALU_DEP_1) | instskip(NEXT) | instid1(VALU_DEP_1)
	v_fma_f64 v[41:42], v[45:46], v[43:44], -v[67:68]
	v_fma_f64 v[41:42], v[45:46], v[39:40], v[41:42]
	s_waitcnt lgkmcnt(0)
	s_delay_alu instid0(VALU_DEP_1) | instskip(NEXT) | instid1(VALU_DEP_1)
	v_add_f64 v[69:70], v[67:68], v[41:42]
	v_add_f64 v[71:72], v[65:66], -v[69:70]
	v_add_f64 v[63:64], v[69:70], -v[67:68]
	s_delay_alu instid0(VALU_DEP_2) | instskip(NEXT) | instid1(VALU_DEP_2)
	v_add_f64 v[65:66], v[65:66], -v[71:72]
	v_add_f64 v[41:42], v[63:64], -v[41:42]
	s_delay_alu instid0(VALU_DEP_2) | instskip(NEXT) | instid1(VALU_DEP_1)
	v_add_f64 v[65:66], v[65:66], -v[69:70]
	v_add_f64 v[35:36], v[35:36], v[65:66]
	s_delay_alu instid0(VALU_DEP_1) | instskip(NEXT) | instid1(VALU_DEP_1)
	v_add_f64 v[35:36], v[41:42], v[35:36]
	v_add_f64 v[41:42], v[71:72], v[35:36]
	s_delay_alu instid0(VALU_DEP_1) | instskip(SKIP_1) | instid1(VALU_DEP_2)
	v_mul_f64 v[63:64], v[37:38], v[41:42]
	v_add_f64 v[69:70], v[71:72], -v[41:42]
	v_mul_f64 v[65:66], v[43:44], v[63:64]
	s_delay_alu instid0(VALU_DEP_2) | instskip(NEXT) | instid1(VALU_DEP_2)
	v_add_f64 v[35:36], v[35:36], v[69:70]
	v_fma_f64 v[43:44], v[63:64], v[43:44], -v[65:66]
	s_delay_alu instid0(VALU_DEP_1) | instskip(NEXT) | instid1(VALU_DEP_1)
	v_fma_f64 v[39:40], v[63:64], v[39:40], v[43:44]
	v_add_f64 v[43:44], v[65:66], v[39:40]
	s_delay_alu instid0(VALU_DEP_1) | instskip(SKIP_1) | instid1(VALU_DEP_2)
	v_add_f64 v[67:68], v[41:42], -v[43:44]
	v_add_f64 v[65:66], v[43:44], -v[65:66]
	;; [unrolled: 1-line block ×3, first 2 shown]
	s_delay_alu instid0(VALU_DEP_2) | instskip(NEXT) | instid1(VALU_DEP_2)
	v_add_f64 v[39:40], v[65:66], -v[39:40]
	v_add_f64 v[41:42], v[41:42], -v[43:44]
	s_delay_alu instid0(VALU_DEP_1) | instskip(SKIP_1) | instid1(VALU_DEP_2)
	v_add_f64 v[35:36], v[35:36], v[41:42]
	v_add_f64 v[41:42], v[45:46], v[63:64]
	;; [unrolled: 1-line block ×3, first 2 shown]
	s_delay_alu instid0(VALU_DEP_2) | instskip(NEXT) | instid1(VALU_DEP_2)
	v_add_f64 v[39:40], v[41:42], -v[45:46]
	v_add_f64 v[35:36], v[67:68], v[35:36]
	s_delay_alu instid0(VALU_DEP_2) | instskip(NEXT) | instid1(VALU_DEP_2)
	v_add_f64 v[39:40], v[63:64], -v[39:40]
	v_mul_f64 v[35:36], v[37:38], v[35:36]
	s_delay_alu instid0(VALU_DEP_1) | instskip(NEXT) | instid1(VALU_DEP_1)
	v_add_f64 v[35:36], v[39:40], v[35:36]
	v_add_f64 v[37:38], v[41:42], v[35:36]
	s_delay_alu instid0(VALU_DEP_1) | instskip(NEXT) | instid1(VALU_DEP_1)
	v_mul_f64 v[39:40], v[37:38], v[37:38]
	v_fma_f64 v[43:44], v[39:40], s[36:37], s[22:23]
	s_mov_b32 s22, 0xd7f4df2e
	s_mov_b32 s23, 0x3fc7474d
	v_mul_f64 v[45:46], v[37:38], v[39:40]
	s_delay_alu instid0(VALU_DEP_2)
	v_fma_f64 v[43:44], v[39:40], v[43:44], s[22:23]
	s_mov_b32 s22, 0x16291751
	s_mov_b32 s23, 0x3fcc71c0
	s_delay_alu instid0(VALU_DEP_1) | instid1(SALU_CYCLE_1)
	v_fma_f64 v[43:44], v[39:40], v[43:44], s[22:23]
	s_mov_b32 s22, 0x9b27acf1
	s_mov_b32 s23, 0x3fd24924
	s_delay_alu instid0(VALU_DEP_1) | instid1(SALU_CYCLE_1)
	;; [unrolled: 4-line block ×3, first 2 shown]
	v_fma_f64 v[43:44], v[39:40], v[43:44], s[22:23]
	s_delay_alu instid0(VALU_DEP_1) | instskip(SKIP_3) | instid1(VALU_DEP_4)
	v_fma_f64 v[39:40], v[39:40], v[43:44], s[0:1]
	v_ldexp_f64 v[43:44], v[37:38], 1
	v_add_f64 v[37:38], v[37:38], -v[41:42]
	v_cmp_eq_f64_e64 s0, 0x7ff00000, v[23:24]
	v_mul_f64 v[39:40], v[45:46], v[39:40]
	v_cvt_f64_i32_e32 v[45:46], v0
	s_delay_alu instid0(VALU_DEP_4) | instskip(NEXT) | instid1(VALU_DEP_3)
	v_add_f64 v[35:36], v[35:36], -v[37:38]
	v_add_f64 v[41:42], v[43:44], v[39:40]
	s_delay_alu instid0(VALU_DEP_3) | instskip(NEXT) | instid1(VALU_DEP_3)
	v_mul_f64 v[63:64], v[45:46], s[18:19]
	v_ldexp_f64 v[35:36], v[35:36], 1
	s_delay_alu instid0(VALU_DEP_3) | instskip(NEXT) | instid1(VALU_DEP_3)
	v_add_f64 v[37:38], v[41:42], -v[43:44]
	v_fma_f64 v[43:44], v[45:46], s[18:19], -v[63:64]
	s_delay_alu instid0(VALU_DEP_2) | instskip(NEXT) | instid1(VALU_DEP_2)
	v_add_f64 v[37:38], v[39:40], -v[37:38]
	v_fma_f64 v[39:40], v[45:46], s[20:21], v[43:44]
	s_delay_alu instid0(VALU_DEP_2) | instskip(NEXT) | instid1(VALU_DEP_2)
	v_add_f64 v[35:36], v[35:36], v[37:38]
	v_add_f64 v[37:38], v[63:64], v[39:40]
	s_delay_alu instid0(VALU_DEP_2) | instskip(NEXT) | instid1(VALU_DEP_2)
	v_add_f64 v[43:44], v[41:42], v[35:36]
	v_add_f64 v[63:64], v[37:38], -v[63:64]
	s_delay_alu instid0(VALU_DEP_2) | instskip(SKIP_1) | instid1(VALU_DEP_3)
	v_add_f64 v[45:46], v[37:38], v[43:44]
	v_add_f64 v[41:42], v[43:44], -v[41:42]
	v_add_f64 v[39:40], v[39:40], -v[63:64]
	s_delay_alu instid0(VALU_DEP_3) | instskip(NEXT) | instid1(VALU_DEP_3)
	v_add_f64 v[65:66], v[45:46], -v[37:38]
	v_add_f64 v[35:36], v[35:36], -v[41:42]
	s_delay_alu instid0(VALU_DEP_2) | instskip(SKIP_1) | instid1(VALU_DEP_3)
	v_add_f64 v[67:68], v[45:46], -v[65:66]
	v_add_f64 v[41:42], v[43:44], -v[65:66]
	v_add_f64 v[43:44], v[39:40], v[35:36]
	s_delay_alu instid0(VALU_DEP_3) | instskip(NEXT) | instid1(VALU_DEP_1)
	v_add_f64 v[37:38], v[37:38], -v[67:68]
	v_add_f64 v[37:38], v[41:42], v[37:38]
	s_delay_alu instid0(VALU_DEP_3) | instskip(NEXT) | instid1(VALU_DEP_2)
	v_add_f64 v[41:42], v[43:44], -v[39:40]
	v_add_f64 v[37:38], v[43:44], v[37:38]
	s_delay_alu instid0(VALU_DEP_2) | instskip(SKIP_1) | instid1(VALU_DEP_3)
	v_add_f64 v[43:44], v[43:44], -v[41:42]
	v_add_f64 v[35:36], v[35:36], -v[41:42]
	v_add_f64 v[63:64], v[45:46], v[37:38]
	s_delay_alu instid0(VALU_DEP_3) | instskip(NEXT) | instid1(VALU_DEP_2)
	v_add_f64 v[39:40], v[39:40], -v[43:44]
	v_add_f64 v[41:42], v[63:64], -v[45:46]
	s_delay_alu instid0(VALU_DEP_2) | instskip(NEXT) | instid1(VALU_DEP_2)
	v_add_f64 v[35:36], v[35:36], v[39:40]
	v_add_f64 v[37:38], v[37:38], -v[41:42]
	s_delay_alu instid0(VALU_DEP_1) | instskip(NEXT) | instid1(VALU_DEP_1)
	v_add_f64 v[35:36], v[35:36], v[37:38]
	v_add_f64 v[35:36], v[63:64], v[35:36]
	s_delay_alu instid0(VALU_DEP_1) | instskip(NEXT) | instid1(VALU_DEP_2)
	v_cndmask_b32_e64 v0, v35, v23, s0
	v_cndmask_b32_e64 v35, v36, v24, s0
	v_cmp_ngt_f64_e64 s0, -1.0, v[23:24]
	s_delay_alu instid0(VALU_DEP_1) | instskip(SKIP_1) | instid1(VALU_DEP_1)
	v_cndmask_b32_e64 v36, 0x7ff80000, v35, s0
	v_cmp_nge_f64_e64 s0, -1.0, v[23:24]
	v_cndmask_b32_e64 v35, 0, v0, s0
	v_cmp_neq_f64_e64 s0, -1.0, v[23:24]
	s_delay_alu instid0(VALU_DEP_1) | instskip(NEXT) | instid1(VALU_DEP_1)
	v_cndmask_b32_e64 v36, 0xfff00000, v36, s0
	v_add_f64 v[23:24], v[33:34], v[35:36]
.LBB26_120:
	s_or_b32 exec_lo, exec_lo, s17
	s_delay_alu instid0(VALU_DEP_1) | instskip(SKIP_1) | instid1(VALU_DEP_2)
	v_max_f64 v[33:34], v[23:24], v[23:24]
	v_cmp_u_f64_e64 s0, v[23:24], v[23:24]
	v_min_f64 v[35:36], v[33:34], v[47:48]
	v_max_f64 v[33:34], v[33:34], v[47:48]
	s_delay_alu instid0(VALU_DEP_2) | instskip(NEXT) | instid1(VALU_DEP_3)
	v_cndmask_b32_e64 v0, v35, v23, s0
	v_cndmask_b32_e64 v35, v36, v24, s0
	s_delay_alu instid0(VALU_DEP_3) | instskip(NEXT) | instid1(VALU_DEP_4)
	v_cndmask_b32_e64 v34, v34, v24, s0
	v_cndmask_b32_e64 v33, v33, v23, s0
	s_delay_alu instid0(VALU_DEP_3) | instskip(SKIP_1) | instid1(VALU_DEP_4)
	v_cndmask_b32_e64 v36, v35, v18, s24
	v_cndmask_b32_e64 v35, v0, v17, s24
	v_cndmask_b32_e64 v34, v34, v18, s24
	s_delay_alu instid0(VALU_DEP_4) | instskip(SKIP_1) | instid1(VALU_DEP_4)
	v_cndmask_b32_e64 v33, v33, v17, s24
	v_dual_mov_b32 v17, v23 :: v_dual_mov_b32 v18, v24
	v_cmp_class_f64_e64 s1, v[35:36], 0x1f8
	s_delay_alu instid0(VALU_DEP_3) | instskip(NEXT) | instid1(VALU_DEP_1)
	v_cmp_neq_f64_e64 s0, v[35:36], v[33:34]
	s_or_b32 s0, s0, s1
	s_delay_alu instid0(SALU_CYCLE_1)
	s_and_saveexec_b32 s17, s0
	s_cbranch_execz .LBB26_122
; %bb.121:
	v_add_f64 v[17:18], v[35:36], -v[33:34]
	s_mov_b32 s0, 0x652b82fe
	s_mov_b32 s1, 0x3ff71547
	;; [unrolled: 1-line block ×10, first 2 shown]
	s_delay_alu instid0(VALU_DEP_1) | instskip(SKIP_2) | instid1(VALU_DEP_1)
	v_mul_f64 v[35:36], v[17:18], s[0:1]
	s_mov_b32 s0, 0xfca7ab0c
	s_mov_b32 s1, 0x3e928af3
	v_rndne_f64_e32 v[35:36], v[35:36]
	s_delay_alu instid0(VALU_DEP_1) | instskip(SKIP_2) | instid1(VALU_DEP_2)
	v_fma_f64 v[37:38], v[35:36], s[18:19], v[17:18]
	v_cvt_i32_f64_e32 v0, v[35:36]
	s_mov_b32 s19, 0x3fe62e42
	v_fma_f64 v[37:38], v[35:36], s[20:21], v[37:38]
	s_mov_b32 s21, 0x3c7abc9e
	s_delay_alu instid0(VALU_DEP_1) | instskip(SKIP_4) | instid1(VALU_DEP_1)
	v_fma_f64 v[39:40], v[37:38], s[22:23], s[0:1]
	s_mov_b32 s0, 0x623fde64
	s_mov_b32 s1, 0x3ec71dee
	;; [unrolled: 1-line block ×4, first 2 shown]
	v_fma_f64 v[39:40], v[37:38], v[39:40], s[0:1]
	s_mov_b32 s0, 0x7c89e6b0
	s_mov_b32 s1, 0x3efa0199
	s_delay_alu instid0(VALU_DEP_1) | instid1(SALU_CYCLE_1)
	v_fma_f64 v[39:40], v[37:38], v[39:40], s[0:1]
	s_mov_b32 s0, 0x14761f6e
	s_mov_b32 s1, 0x3f2a01a0
	s_delay_alu instid0(VALU_DEP_1) | instid1(SALU_CYCLE_1)
	;; [unrolled: 4-line block ×7, first 2 shown]
	v_fma_f64 v[39:40], v[37:38], v[39:40], s[0:1]
	v_cmp_nlt_f64_e64 s0, 0x40900000, v[17:18]
	v_cmp_ngt_f64_e64 s1, 0xc090cc00, v[17:18]
	s_delay_alu instid0(VALU_DEP_3) | instskip(NEXT) | instid1(VALU_DEP_1)
	v_fma_f64 v[39:40], v[37:38], v[39:40], 1.0
	v_fma_f64 v[35:36], v[37:38], v[39:40], 1.0
	s_delay_alu instid0(VALU_DEP_1) | instskip(NEXT) | instid1(VALU_DEP_1)
	v_ldexp_f64 v[35:36], v[35:36], v0
	v_cndmask_b32_e64 v0, 0x7ff00000, v36, s0
	s_and_b32 s0, s1, s0
	s_delay_alu instid0(VALU_DEP_2) | instid1(SALU_CYCLE_1)
	v_cndmask_b32_e64 v17, 0, v35, s0
	s_mov_b32 s0, 0x55555555
	s_delay_alu instid0(VALU_DEP_2) | instskip(SKIP_1) | instid1(VALU_DEP_1)
	v_cndmask_b32_e64 v18, 0, v0, s1
	s_mov_b32 s1, 0x3fe55555
	v_add_f64 v[35:36], v[17:18], 1.0
	s_delay_alu instid0(VALU_DEP_1) | instskip(SKIP_2) | instid1(VALU_DEP_3)
	v_frexp_mant_f64_e32 v[37:38], v[35:36]
	v_frexp_exp_i32_f64_e32 v0, v[35:36]
	v_add_f64 v[39:40], v[35:36], -1.0
	v_cmp_gt_f64_e64 s0, s[0:1], v[37:38]
	s_delay_alu instid0(VALU_DEP_2) | instskip(SKIP_1) | instid1(VALU_DEP_3)
	v_add_f64 v[37:38], v[39:40], -v[35:36]
	v_add_f64 v[39:40], v[17:18], -v[39:40]
	v_subrev_co_ci_u32_e64 v0, s0, 0, v0, s0
	s_delay_alu instid0(VALU_DEP_3) | instskip(SKIP_1) | instid1(VALU_DEP_2)
	v_add_f64 v[37:38], v[37:38], 1.0
	s_mov_b32 s0, 0x55555780
	v_sub_nc_u32_e32 v43, 0, v0
	s_delay_alu instid0(VALU_DEP_1) | instskip(NEXT) | instid1(VALU_DEP_3)
	v_ldexp_f64 v[35:36], v[35:36], v43
	v_add_f64 v[37:38], v[39:40], v[37:38]
	s_delay_alu instid0(VALU_DEP_2) | instskip(SKIP_1) | instid1(VALU_DEP_3)
	v_add_f64 v[41:42], v[35:36], 1.0
	v_add_f64 v[47:48], v[35:36], -1.0
	v_ldexp_f64 v[37:38], v[37:38], v43
	s_delay_alu instid0(VALU_DEP_3) | instskip(NEXT) | instid1(VALU_DEP_3)
	v_add_f64 v[39:40], v[41:42], -1.0
	v_add_f64 v[63:64], v[47:48], 1.0
	s_delay_alu instid0(VALU_DEP_2) | instskip(NEXT) | instid1(VALU_DEP_2)
	v_add_f64 v[39:40], v[35:36], -v[39:40]
	v_add_f64 v[35:36], v[35:36], -v[63:64]
	s_delay_alu instid0(VALU_DEP_2) | instskip(NEXT) | instid1(VALU_DEP_2)
	v_add_f64 v[39:40], v[37:38], v[39:40]
	v_add_f64 v[35:36], v[37:38], v[35:36]
	s_delay_alu instid0(VALU_DEP_2) | instskip(NEXT) | instid1(VALU_DEP_2)
	v_add_f64 v[43:44], v[41:42], v[39:40]
	v_add_f64 v[63:64], v[47:48], v[35:36]
	s_delay_alu instid0(VALU_DEP_2) | instskip(SKIP_1) | instid1(VALU_DEP_2)
	v_rcp_f64_e32 v[45:46], v[43:44]
	v_add_f64 v[41:42], v[43:44], -v[41:42]
	v_add_f64 v[47:48], v[63:64], -v[47:48]
	s_delay_alu instid0(VALU_DEP_2) | instskip(SKIP_3) | instid1(VALU_DEP_2)
	v_add_f64 v[39:40], v[39:40], -v[41:42]
	s_waitcnt_depctr 0xfff
	v_fma_f64 v[65:66], -v[43:44], v[45:46], 1.0
	v_add_f64 v[35:36], v[35:36], -v[47:48]
	v_fma_f64 v[45:46], v[65:66], v[45:46], v[45:46]
	s_delay_alu instid0(VALU_DEP_1) | instskip(NEXT) | instid1(VALU_DEP_1)
	v_fma_f64 v[37:38], -v[43:44], v[45:46], 1.0
	v_fma_f64 v[37:38], v[37:38], v[45:46], v[45:46]
	s_delay_alu instid0(VALU_DEP_1) | instskip(NEXT) | instid1(VALU_DEP_1)
	v_mul_f64 v[45:46], v[63:64], v[37:38]
	v_mul_f64 v[65:66], v[43:44], v[45:46]
	s_delay_alu instid0(VALU_DEP_1) | instskip(NEXT) | instid1(VALU_DEP_1)
	v_fma_f64 v[41:42], v[45:46], v[43:44], -v[65:66]
	v_fma_f64 v[41:42], v[45:46], v[39:40], v[41:42]
	s_delay_alu instid0(VALU_DEP_1) | instskip(SKIP_1) | instid1(VALU_DEP_1)
	v_add_f64 v[67:68], v[65:66], v[41:42]
	s_waitcnt lgkmcnt(0)
	v_add_f64 v[69:70], v[63:64], -v[67:68]
	v_add_f64 v[47:48], v[67:68], -v[65:66]
	s_delay_alu instid0(VALU_DEP_2) | instskip(NEXT) | instid1(VALU_DEP_2)
	v_add_f64 v[63:64], v[63:64], -v[69:70]
	v_add_f64 v[41:42], v[47:48], -v[41:42]
	s_delay_alu instid0(VALU_DEP_2) | instskip(NEXT) | instid1(VALU_DEP_1)
	v_add_f64 v[63:64], v[63:64], -v[67:68]
	v_add_f64 v[35:36], v[35:36], v[63:64]
	s_delay_alu instid0(VALU_DEP_1) | instskip(NEXT) | instid1(VALU_DEP_1)
	v_add_f64 v[35:36], v[41:42], v[35:36]
	v_add_f64 v[41:42], v[69:70], v[35:36]
	s_delay_alu instid0(VALU_DEP_1) | instskip(SKIP_1) | instid1(VALU_DEP_2)
	v_mul_f64 v[47:48], v[37:38], v[41:42]
	v_add_f64 v[67:68], v[69:70], -v[41:42]
	v_mul_f64 v[63:64], v[43:44], v[47:48]
	s_delay_alu instid0(VALU_DEP_2) | instskip(NEXT) | instid1(VALU_DEP_2)
	v_add_f64 v[35:36], v[35:36], v[67:68]
	v_fma_f64 v[43:44], v[47:48], v[43:44], -v[63:64]
	s_delay_alu instid0(VALU_DEP_1) | instskip(NEXT) | instid1(VALU_DEP_1)
	v_fma_f64 v[39:40], v[47:48], v[39:40], v[43:44]
	v_add_f64 v[43:44], v[63:64], v[39:40]
	s_delay_alu instid0(VALU_DEP_1) | instskip(SKIP_1) | instid1(VALU_DEP_2)
	v_add_f64 v[65:66], v[41:42], -v[43:44]
	v_add_f64 v[63:64], v[43:44], -v[63:64]
	;; [unrolled: 1-line block ×3, first 2 shown]
	s_delay_alu instid0(VALU_DEP_2) | instskip(NEXT) | instid1(VALU_DEP_2)
	v_add_f64 v[39:40], v[63:64], -v[39:40]
	v_add_f64 v[41:42], v[41:42], -v[43:44]
	s_delay_alu instid0(VALU_DEP_1) | instskip(SKIP_1) | instid1(VALU_DEP_2)
	v_add_f64 v[35:36], v[35:36], v[41:42]
	v_add_f64 v[41:42], v[45:46], v[47:48]
	;; [unrolled: 1-line block ×3, first 2 shown]
	s_delay_alu instid0(VALU_DEP_2) | instskip(NEXT) | instid1(VALU_DEP_2)
	v_add_f64 v[39:40], v[41:42], -v[45:46]
	v_add_f64 v[35:36], v[65:66], v[35:36]
	s_delay_alu instid0(VALU_DEP_2) | instskip(NEXT) | instid1(VALU_DEP_2)
	v_add_f64 v[39:40], v[47:48], -v[39:40]
	v_mul_f64 v[35:36], v[37:38], v[35:36]
	s_delay_alu instid0(VALU_DEP_1) | instskip(NEXT) | instid1(VALU_DEP_1)
	v_add_f64 v[35:36], v[39:40], v[35:36]
	v_add_f64 v[37:38], v[41:42], v[35:36]
	s_delay_alu instid0(VALU_DEP_1) | instskip(NEXT) | instid1(VALU_DEP_1)
	v_mul_f64 v[39:40], v[37:38], v[37:38]
	v_fma_f64 v[43:44], v[39:40], s[36:37], s[22:23]
	s_mov_b32 s22, 0xd7f4df2e
	s_mov_b32 s23, 0x3fc7474d
	v_mul_f64 v[45:46], v[37:38], v[39:40]
	s_delay_alu instid0(VALU_DEP_2)
	v_fma_f64 v[43:44], v[39:40], v[43:44], s[22:23]
	s_mov_b32 s22, 0x16291751
	s_mov_b32 s23, 0x3fcc71c0
	s_delay_alu instid0(VALU_DEP_1) | instid1(SALU_CYCLE_1)
	v_fma_f64 v[43:44], v[39:40], v[43:44], s[22:23]
	s_mov_b32 s22, 0x9b27acf1
	s_mov_b32 s23, 0x3fd24924
	s_delay_alu instid0(VALU_DEP_1) | instid1(SALU_CYCLE_1)
	;; [unrolled: 4-line block ×3, first 2 shown]
	v_fma_f64 v[43:44], v[39:40], v[43:44], s[22:23]
	s_delay_alu instid0(VALU_DEP_1) | instskip(SKIP_3) | instid1(VALU_DEP_4)
	v_fma_f64 v[39:40], v[39:40], v[43:44], s[0:1]
	v_ldexp_f64 v[43:44], v[37:38], 1
	v_add_f64 v[37:38], v[37:38], -v[41:42]
	v_cmp_eq_f64_e64 s0, 0x7ff00000, v[17:18]
	v_mul_f64 v[39:40], v[45:46], v[39:40]
	v_cvt_f64_i32_e32 v[45:46], v0
	s_delay_alu instid0(VALU_DEP_4) | instskip(NEXT) | instid1(VALU_DEP_3)
	v_add_f64 v[35:36], v[35:36], -v[37:38]
	v_add_f64 v[41:42], v[43:44], v[39:40]
	s_delay_alu instid0(VALU_DEP_3) | instskip(NEXT) | instid1(VALU_DEP_3)
	v_mul_f64 v[47:48], v[45:46], s[18:19]
	v_ldexp_f64 v[35:36], v[35:36], 1
	s_delay_alu instid0(VALU_DEP_3) | instskip(NEXT) | instid1(VALU_DEP_3)
	v_add_f64 v[37:38], v[41:42], -v[43:44]
	v_fma_f64 v[43:44], v[45:46], s[18:19], -v[47:48]
	s_delay_alu instid0(VALU_DEP_2) | instskip(NEXT) | instid1(VALU_DEP_2)
	v_add_f64 v[37:38], v[39:40], -v[37:38]
	v_fma_f64 v[39:40], v[45:46], s[20:21], v[43:44]
	s_delay_alu instid0(VALU_DEP_2) | instskip(NEXT) | instid1(VALU_DEP_2)
	v_add_f64 v[35:36], v[35:36], v[37:38]
	v_add_f64 v[37:38], v[47:48], v[39:40]
	s_delay_alu instid0(VALU_DEP_2) | instskip(NEXT) | instid1(VALU_DEP_2)
	v_add_f64 v[43:44], v[41:42], v[35:36]
	v_add_f64 v[47:48], v[37:38], -v[47:48]
	s_delay_alu instid0(VALU_DEP_2) | instskip(SKIP_1) | instid1(VALU_DEP_3)
	v_add_f64 v[45:46], v[37:38], v[43:44]
	v_add_f64 v[41:42], v[43:44], -v[41:42]
	v_add_f64 v[39:40], v[39:40], -v[47:48]
	s_delay_alu instid0(VALU_DEP_3) | instskip(NEXT) | instid1(VALU_DEP_3)
	v_add_f64 v[63:64], v[45:46], -v[37:38]
	v_add_f64 v[35:36], v[35:36], -v[41:42]
	s_delay_alu instid0(VALU_DEP_2) | instskip(SKIP_1) | instid1(VALU_DEP_3)
	v_add_f64 v[65:66], v[45:46], -v[63:64]
	v_add_f64 v[41:42], v[43:44], -v[63:64]
	v_add_f64 v[43:44], v[39:40], v[35:36]
	s_delay_alu instid0(VALU_DEP_3) | instskip(NEXT) | instid1(VALU_DEP_1)
	v_add_f64 v[37:38], v[37:38], -v[65:66]
	v_add_f64 v[37:38], v[41:42], v[37:38]
	s_delay_alu instid0(VALU_DEP_3) | instskip(NEXT) | instid1(VALU_DEP_2)
	v_add_f64 v[41:42], v[43:44], -v[39:40]
	v_add_f64 v[37:38], v[43:44], v[37:38]
	s_delay_alu instid0(VALU_DEP_2) | instskip(SKIP_1) | instid1(VALU_DEP_3)
	v_add_f64 v[43:44], v[43:44], -v[41:42]
	v_add_f64 v[35:36], v[35:36], -v[41:42]
	v_add_f64 v[47:48], v[45:46], v[37:38]
	s_delay_alu instid0(VALU_DEP_3) | instskip(NEXT) | instid1(VALU_DEP_2)
	v_add_f64 v[39:40], v[39:40], -v[43:44]
	v_add_f64 v[41:42], v[47:48], -v[45:46]
	s_delay_alu instid0(VALU_DEP_2) | instskip(NEXT) | instid1(VALU_DEP_2)
	v_add_f64 v[35:36], v[35:36], v[39:40]
	v_add_f64 v[37:38], v[37:38], -v[41:42]
	s_delay_alu instid0(VALU_DEP_1) | instskip(NEXT) | instid1(VALU_DEP_1)
	v_add_f64 v[35:36], v[35:36], v[37:38]
	v_add_f64 v[35:36], v[47:48], v[35:36]
	s_delay_alu instid0(VALU_DEP_1) | instskip(NEXT) | instid1(VALU_DEP_2)
	v_cndmask_b32_e64 v0, v35, v17, s0
	v_cndmask_b32_e64 v35, v36, v18, s0
	v_cmp_ngt_f64_e64 s0, -1.0, v[17:18]
	s_delay_alu instid0(VALU_DEP_1) | instskip(SKIP_1) | instid1(VALU_DEP_1)
	v_cndmask_b32_e64 v36, 0x7ff80000, v35, s0
	v_cmp_nge_f64_e64 s0, -1.0, v[17:18]
	v_cndmask_b32_e64 v35, 0, v0, s0
	v_cmp_neq_f64_e64 s0, -1.0, v[17:18]
	s_delay_alu instid0(VALU_DEP_1) | instskip(NEXT) | instid1(VALU_DEP_1)
	v_cndmask_b32_e64 v36, 0xfff00000, v36, s0
	v_add_f64 v[17:18], v[33:34], v[35:36]
.LBB26_122:
	s_or_b32 exec_lo, exec_lo, s17
	s_delay_alu instid0(VALU_DEP_1) | instskip(SKIP_1) | instid1(VALU_DEP_2)
	v_max_f64 v[33:34], v[17:18], v[17:18]
	v_cmp_u_f64_e64 s0, v[17:18], v[17:18]
	v_min_f64 v[35:36], v[33:34], v[49:50]
	v_max_f64 v[33:34], v[33:34], v[49:50]
	s_delay_alu instid0(VALU_DEP_2) | instskip(NEXT) | instid1(VALU_DEP_3)
	v_cndmask_b32_e64 v0, v35, v17, s0
	v_cndmask_b32_e64 v35, v36, v18, s0
	s_delay_alu instid0(VALU_DEP_3) | instskip(NEXT) | instid1(VALU_DEP_4)
	v_cndmask_b32_e64 v34, v34, v18, s0
	v_cndmask_b32_e64 v33, v33, v17, s0
	s_delay_alu instid0(VALU_DEP_3) | instskip(SKIP_1) | instid1(VALU_DEP_4)
	v_cndmask_b32_e64 v36, v35, v20, s25
	v_cndmask_b32_e64 v35, v0, v19, s25
	;; [unrolled: 1-line block ×3, first 2 shown]
	s_delay_alu instid0(VALU_DEP_4) | instskip(SKIP_1) | instid1(VALU_DEP_4)
	v_cndmask_b32_e64 v33, v33, v19, s25
	v_dual_mov_b32 v20, v18 :: v_dual_mov_b32 v19, v17
	v_cmp_class_f64_e64 s1, v[35:36], 0x1f8
	s_delay_alu instid0(VALU_DEP_3) | instskip(NEXT) | instid1(VALU_DEP_1)
	v_cmp_neq_f64_e64 s0, v[35:36], v[33:34]
	s_or_b32 s0, s0, s1
	s_delay_alu instid0(SALU_CYCLE_1)
	s_and_saveexec_b32 s17, s0
	s_cbranch_execz .LBB26_124
; %bb.123:
	v_add_f64 v[19:20], v[35:36], -v[33:34]
	s_mov_b32 s0, 0x652b82fe
	s_mov_b32 s1, 0x3ff71547
	;; [unrolled: 1-line block ×10, first 2 shown]
	s_delay_alu instid0(VALU_DEP_1) | instskip(SKIP_2) | instid1(VALU_DEP_1)
	v_mul_f64 v[35:36], v[19:20], s[0:1]
	s_mov_b32 s0, 0xfca7ab0c
	s_mov_b32 s1, 0x3e928af3
	v_rndne_f64_e32 v[35:36], v[35:36]
	s_delay_alu instid0(VALU_DEP_1) | instskip(SKIP_2) | instid1(VALU_DEP_2)
	v_fma_f64 v[37:38], v[35:36], s[18:19], v[19:20]
	v_cvt_i32_f64_e32 v0, v[35:36]
	s_mov_b32 s19, 0x3fe62e42
	v_fma_f64 v[37:38], v[35:36], s[20:21], v[37:38]
	s_mov_b32 s21, 0x3c7abc9e
	s_delay_alu instid0(VALU_DEP_1) | instskip(SKIP_4) | instid1(VALU_DEP_1)
	v_fma_f64 v[39:40], v[37:38], s[22:23], s[0:1]
	s_mov_b32 s0, 0x623fde64
	s_mov_b32 s1, 0x3ec71dee
	;; [unrolled: 1-line block ×4, first 2 shown]
	v_fma_f64 v[39:40], v[37:38], v[39:40], s[0:1]
	s_mov_b32 s0, 0x7c89e6b0
	s_mov_b32 s1, 0x3efa0199
	s_delay_alu instid0(VALU_DEP_1) | instid1(SALU_CYCLE_1)
	v_fma_f64 v[39:40], v[37:38], v[39:40], s[0:1]
	s_mov_b32 s0, 0x14761f6e
	s_mov_b32 s1, 0x3f2a01a0
	s_delay_alu instid0(VALU_DEP_1) | instid1(SALU_CYCLE_1)
	;; [unrolled: 4-line block ×7, first 2 shown]
	v_fma_f64 v[39:40], v[37:38], v[39:40], s[0:1]
	v_cmp_nlt_f64_e64 s0, 0x40900000, v[19:20]
	v_cmp_ngt_f64_e64 s1, 0xc090cc00, v[19:20]
	s_delay_alu instid0(VALU_DEP_3) | instskip(NEXT) | instid1(VALU_DEP_1)
	v_fma_f64 v[39:40], v[37:38], v[39:40], 1.0
	v_fma_f64 v[35:36], v[37:38], v[39:40], 1.0
	s_delay_alu instid0(VALU_DEP_1) | instskip(NEXT) | instid1(VALU_DEP_1)
	v_ldexp_f64 v[35:36], v[35:36], v0
	v_cndmask_b32_e64 v0, 0x7ff00000, v36, s0
	s_and_b32 s0, s1, s0
	s_delay_alu instid0(VALU_DEP_2) | instid1(SALU_CYCLE_1)
	v_cndmask_b32_e64 v19, 0, v35, s0
	s_mov_b32 s0, 0x55555555
	s_delay_alu instid0(VALU_DEP_2) | instskip(SKIP_1) | instid1(VALU_DEP_1)
	v_cndmask_b32_e64 v20, 0, v0, s1
	s_mov_b32 s1, 0x3fe55555
	v_add_f64 v[35:36], v[19:20], 1.0
	s_delay_alu instid0(VALU_DEP_1) | instskip(SKIP_2) | instid1(VALU_DEP_3)
	v_frexp_mant_f64_e32 v[37:38], v[35:36]
	v_frexp_exp_i32_f64_e32 v0, v[35:36]
	v_add_f64 v[39:40], v[35:36], -1.0
	v_cmp_gt_f64_e64 s0, s[0:1], v[37:38]
	s_delay_alu instid0(VALU_DEP_2) | instskip(SKIP_1) | instid1(VALU_DEP_3)
	v_add_f64 v[37:38], v[39:40], -v[35:36]
	v_add_f64 v[39:40], v[19:20], -v[39:40]
	v_subrev_co_ci_u32_e64 v0, s0, 0, v0, s0
	s_delay_alu instid0(VALU_DEP_3) | instskip(SKIP_1) | instid1(VALU_DEP_2)
	v_add_f64 v[37:38], v[37:38], 1.0
	s_mov_b32 s0, 0x55555780
	v_sub_nc_u32_e32 v43, 0, v0
	s_delay_alu instid0(VALU_DEP_1) | instskip(NEXT) | instid1(VALU_DEP_3)
	v_ldexp_f64 v[35:36], v[35:36], v43
	v_add_f64 v[37:38], v[39:40], v[37:38]
	s_delay_alu instid0(VALU_DEP_2) | instskip(SKIP_1) | instid1(VALU_DEP_3)
	v_add_f64 v[41:42], v[35:36], 1.0
	v_add_f64 v[47:48], v[35:36], -1.0
	v_ldexp_f64 v[37:38], v[37:38], v43
	s_delay_alu instid0(VALU_DEP_3) | instskip(NEXT) | instid1(VALU_DEP_3)
	v_add_f64 v[39:40], v[41:42], -1.0
	v_add_f64 v[49:50], v[47:48], 1.0
	s_delay_alu instid0(VALU_DEP_2) | instskip(NEXT) | instid1(VALU_DEP_2)
	v_add_f64 v[39:40], v[35:36], -v[39:40]
	v_add_f64 v[35:36], v[35:36], -v[49:50]
	s_delay_alu instid0(VALU_DEP_2) | instskip(NEXT) | instid1(VALU_DEP_2)
	v_add_f64 v[39:40], v[37:38], v[39:40]
	v_add_f64 v[35:36], v[37:38], v[35:36]
	s_delay_alu instid0(VALU_DEP_2) | instskip(NEXT) | instid1(VALU_DEP_2)
	v_add_f64 v[43:44], v[41:42], v[39:40]
	v_add_f64 v[49:50], v[47:48], v[35:36]
	s_delay_alu instid0(VALU_DEP_2) | instskip(SKIP_1) | instid1(VALU_DEP_2)
	v_rcp_f64_e32 v[45:46], v[43:44]
	v_add_f64 v[41:42], v[43:44], -v[41:42]
	v_add_f64 v[47:48], v[49:50], -v[47:48]
	s_delay_alu instid0(VALU_DEP_2) | instskip(SKIP_3) | instid1(VALU_DEP_2)
	v_add_f64 v[39:40], v[39:40], -v[41:42]
	s_waitcnt_depctr 0xfff
	v_fma_f64 v[63:64], -v[43:44], v[45:46], 1.0
	v_add_f64 v[35:36], v[35:36], -v[47:48]
	v_fma_f64 v[45:46], v[63:64], v[45:46], v[45:46]
	s_delay_alu instid0(VALU_DEP_1) | instskip(NEXT) | instid1(VALU_DEP_1)
	v_fma_f64 v[37:38], -v[43:44], v[45:46], 1.0
	v_fma_f64 v[37:38], v[37:38], v[45:46], v[45:46]
	s_delay_alu instid0(VALU_DEP_1) | instskip(NEXT) | instid1(VALU_DEP_1)
	v_mul_f64 v[45:46], v[49:50], v[37:38]
	v_mul_f64 v[63:64], v[43:44], v[45:46]
	s_delay_alu instid0(VALU_DEP_1) | instskip(NEXT) | instid1(VALU_DEP_1)
	v_fma_f64 v[41:42], v[45:46], v[43:44], -v[63:64]
	v_fma_f64 v[41:42], v[45:46], v[39:40], v[41:42]
	s_delay_alu instid0(VALU_DEP_1) | instskip(NEXT) | instid1(VALU_DEP_1)
	v_add_f64 v[65:66], v[63:64], v[41:42]
	v_add_f64 v[67:68], v[49:50], -v[65:66]
	v_add_f64 v[47:48], v[65:66], -v[63:64]
	s_delay_alu instid0(VALU_DEP_2) | instskip(NEXT) | instid1(VALU_DEP_2)
	v_add_f64 v[49:50], v[49:50], -v[67:68]
	v_add_f64 v[41:42], v[47:48], -v[41:42]
	s_delay_alu instid0(VALU_DEP_2) | instskip(NEXT) | instid1(VALU_DEP_1)
	v_add_f64 v[49:50], v[49:50], -v[65:66]
	v_add_f64 v[35:36], v[35:36], v[49:50]
	s_delay_alu instid0(VALU_DEP_1) | instskip(NEXT) | instid1(VALU_DEP_1)
	v_add_f64 v[35:36], v[41:42], v[35:36]
	v_add_f64 v[41:42], v[67:68], v[35:36]
	s_delay_alu instid0(VALU_DEP_1) | instskip(SKIP_1) | instid1(VALU_DEP_2)
	v_mul_f64 v[47:48], v[37:38], v[41:42]
	v_add_f64 v[65:66], v[67:68], -v[41:42]
	v_mul_f64 v[49:50], v[43:44], v[47:48]
	s_delay_alu instid0(VALU_DEP_2) | instskip(NEXT) | instid1(VALU_DEP_2)
	v_add_f64 v[35:36], v[35:36], v[65:66]
	v_fma_f64 v[43:44], v[47:48], v[43:44], -v[49:50]
	s_delay_alu instid0(VALU_DEP_1) | instskip(NEXT) | instid1(VALU_DEP_1)
	v_fma_f64 v[39:40], v[47:48], v[39:40], v[43:44]
	v_add_f64 v[43:44], v[49:50], v[39:40]
	s_delay_alu instid0(VALU_DEP_1) | instskip(SKIP_1) | instid1(VALU_DEP_2)
	v_add_f64 v[63:64], v[41:42], -v[43:44]
	v_add_f64 v[49:50], v[43:44], -v[49:50]
	;; [unrolled: 1-line block ×3, first 2 shown]
	s_delay_alu instid0(VALU_DEP_2) | instskip(NEXT) | instid1(VALU_DEP_2)
	v_add_f64 v[39:40], v[49:50], -v[39:40]
	v_add_f64 v[41:42], v[41:42], -v[43:44]
	s_delay_alu instid0(VALU_DEP_1) | instskip(SKIP_1) | instid1(VALU_DEP_2)
	v_add_f64 v[35:36], v[35:36], v[41:42]
	v_add_f64 v[41:42], v[45:46], v[47:48]
	v_add_f64 v[35:36], v[39:40], v[35:36]
	s_delay_alu instid0(VALU_DEP_2) | instskip(NEXT) | instid1(VALU_DEP_2)
	v_add_f64 v[39:40], v[41:42], -v[45:46]
	v_add_f64 v[35:36], v[63:64], v[35:36]
	s_delay_alu instid0(VALU_DEP_2) | instskip(NEXT) | instid1(VALU_DEP_2)
	v_add_f64 v[39:40], v[47:48], -v[39:40]
	v_mul_f64 v[35:36], v[37:38], v[35:36]
	s_delay_alu instid0(VALU_DEP_1) | instskip(NEXT) | instid1(VALU_DEP_1)
	v_add_f64 v[35:36], v[39:40], v[35:36]
	v_add_f64 v[37:38], v[41:42], v[35:36]
	s_delay_alu instid0(VALU_DEP_1) | instskip(NEXT) | instid1(VALU_DEP_1)
	v_mul_f64 v[39:40], v[37:38], v[37:38]
	v_fma_f64 v[43:44], v[39:40], s[24:25], s[22:23]
	s_mov_b32 s22, 0xd7f4df2e
	s_mov_b32 s23, 0x3fc7474d
	v_mul_f64 v[45:46], v[37:38], v[39:40]
	s_delay_alu instid0(VALU_DEP_2)
	v_fma_f64 v[43:44], v[39:40], v[43:44], s[22:23]
	s_mov_b32 s22, 0x16291751
	s_mov_b32 s23, 0x3fcc71c0
	s_delay_alu instid0(VALU_DEP_1) | instid1(SALU_CYCLE_1)
	v_fma_f64 v[43:44], v[39:40], v[43:44], s[22:23]
	s_mov_b32 s22, 0x9b27acf1
	s_mov_b32 s23, 0x3fd24924
	s_delay_alu instid0(VALU_DEP_1) | instid1(SALU_CYCLE_1)
	;; [unrolled: 4-line block ×3, first 2 shown]
	v_fma_f64 v[43:44], v[39:40], v[43:44], s[22:23]
	s_delay_alu instid0(VALU_DEP_1) | instskip(SKIP_3) | instid1(VALU_DEP_4)
	v_fma_f64 v[39:40], v[39:40], v[43:44], s[0:1]
	v_ldexp_f64 v[43:44], v[37:38], 1
	v_add_f64 v[37:38], v[37:38], -v[41:42]
	v_cmp_eq_f64_e64 s0, 0x7ff00000, v[19:20]
	v_mul_f64 v[39:40], v[45:46], v[39:40]
	v_cvt_f64_i32_e32 v[45:46], v0
	s_delay_alu instid0(VALU_DEP_4) | instskip(NEXT) | instid1(VALU_DEP_3)
	v_add_f64 v[35:36], v[35:36], -v[37:38]
	v_add_f64 v[41:42], v[43:44], v[39:40]
	s_delay_alu instid0(VALU_DEP_3) | instskip(NEXT) | instid1(VALU_DEP_3)
	v_mul_f64 v[47:48], v[45:46], s[18:19]
	v_ldexp_f64 v[35:36], v[35:36], 1
	s_delay_alu instid0(VALU_DEP_3) | instskip(NEXT) | instid1(VALU_DEP_3)
	v_add_f64 v[37:38], v[41:42], -v[43:44]
	v_fma_f64 v[43:44], v[45:46], s[18:19], -v[47:48]
	s_delay_alu instid0(VALU_DEP_2) | instskip(NEXT) | instid1(VALU_DEP_2)
	v_add_f64 v[37:38], v[39:40], -v[37:38]
	v_fma_f64 v[39:40], v[45:46], s[20:21], v[43:44]
	s_delay_alu instid0(VALU_DEP_2) | instskip(NEXT) | instid1(VALU_DEP_2)
	v_add_f64 v[35:36], v[35:36], v[37:38]
	v_add_f64 v[37:38], v[47:48], v[39:40]
	s_delay_alu instid0(VALU_DEP_2) | instskip(NEXT) | instid1(VALU_DEP_2)
	v_add_f64 v[43:44], v[41:42], v[35:36]
	v_add_f64 v[47:48], v[37:38], -v[47:48]
	s_delay_alu instid0(VALU_DEP_2) | instskip(SKIP_1) | instid1(VALU_DEP_3)
	v_add_f64 v[45:46], v[37:38], v[43:44]
	v_add_f64 v[41:42], v[43:44], -v[41:42]
	v_add_f64 v[39:40], v[39:40], -v[47:48]
	s_delay_alu instid0(VALU_DEP_3) | instskip(NEXT) | instid1(VALU_DEP_3)
	v_add_f64 v[49:50], v[45:46], -v[37:38]
	v_add_f64 v[35:36], v[35:36], -v[41:42]
	s_delay_alu instid0(VALU_DEP_2) | instskip(SKIP_1) | instid1(VALU_DEP_3)
	v_add_f64 v[63:64], v[45:46], -v[49:50]
	v_add_f64 v[41:42], v[43:44], -v[49:50]
	v_add_f64 v[43:44], v[39:40], v[35:36]
	s_delay_alu instid0(VALU_DEP_3) | instskip(NEXT) | instid1(VALU_DEP_1)
	v_add_f64 v[37:38], v[37:38], -v[63:64]
	v_add_f64 v[37:38], v[41:42], v[37:38]
	s_delay_alu instid0(VALU_DEP_3) | instskip(NEXT) | instid1(VALU_DEP_2)
	v_add_f64 v[41:42], v[43:44], -v[39:40]
	v_add_f64 v[37:38], v[43:44], v[37:38]
	s_delay_alu instid0(VALU_DEP_2) | instskip(SKIP_1) | instid1(VALU_DEP_3)
	v_add_f64 v[43:44], v[43:44], -v[41:42]
	v_add_f64 v[35:36], v[35:36], -v[41:42]
	v_add_f64 v[47:48], v[45:46], v[37:38]
	s_delay_alu instid0(VALU_DEP_3) | instskip(NEXT) | instid1(VALU_DEP_2)
	v_add_f64 v[39:40], v[39:40], -v[43:44]
	v_add_f64 v[41:42], v[47:48], -v[45:46]
	s_delay_alu instid0(VALU_DEP_2) | instskip(NEXT) | instid1(VALU_DEP_2)
	v_add_f64 v[35:36], v[35:36], v[39:40]
	v_add_f64 v[37:38], v[37:38], -v[41:42]
	s_delay_alu instid0(VALU_DEP_1) | instskip(NEXT) | instid1(VALU_DEP_1)
	v_add_f64 v[35:36], v[35:36], v[37:38]
	v_add_f64 v[35:36], v[47:48], v[35:36]
	s_delay_alu instid0(VALU_DEP_1) | instskip(NEXT) | instid1(VALU_DEP_2)
	v_cndmask_b32_e64 v0, v35, v19, s0
	v_cndmask_b32_e64 v35, v36, v20, s0
	v_cmp_ngt_f64_e64 s0, -1.0, v[19:20]
	s_delay_alu instid0(VALU_DEP_1) | instskip(SKIP_1) | instid1(VALU_DEP_1)
	v_cndmask_b32_e64 v36, 0x7ff80000, v35, s0
	v_cmp_nge_f64_e64 s0, -1.0, v[19:20]
	v_cndmask_b32_e64 v35, 0, v0, s0
	v_cmp_neq_f64_e64 s0, -1.0, v[19:20]
	s_delay_alu instid0(VALU_DEP_1) | instskip(NEXT) | instid1(VALU_DEP_1)
	v_cndmask_b32_e64 v36, 0xfff00000, v36, s0
	v_add_f64 v[19:20], v[33:34], v[35:36]
.LBB26_124:
	s_or_b32 exec_lo, exec_lo, s17
	s_delay_alu instid0(VALU_DEP_1) | instskip(SKIP_1) | instid1(VALU_DEP_2)
	v_max_f64 v[33:34], v[19:20], v[19:20]
	v_cmp_u_f64_e64 s0, v[19:20], v[19:20]
	v_min_f64 v[35:36], v[33:34], v[51:52]
	v_max_f64 v[33:34], v[33:34], v[51:52]
	s_delay_alu instid0(VALU_DEP_2) | instskip(NEXT) | instid1(VALU_DEP_3)
	v_cndmask_b32_e64 v0, v35, v19, s0
	v_cndmask_b32_e64 v35, v36, v20, s0
	s_delay_alu instid0(VALU_DEP_3) | instskip(NEXT) | instid1(VALU_DEP_4)
	v_cndmask_b32_e64 v34, v34, v20, s0
	v_cndmask_b32_e64 v33, v33, v19, s0
	s_delay_alu instid0(VALU_DEP_3) | instskip(SKIP_1) | instid1(VALU_DEP_4)
	v_cndmask_b32_e64 v36, v35, v14, s26
	v_cndmask_b32_e64 v35, v0, v13, s26
	;; [unrolled: 1-line block ×3, first 2 shown]
	s_delay_alu instid0(VALU_DEP_4) | instskip(SKIP_1) | instid1(VALU_DEP_4)
	v_cndmask_b32_e64 v33, v33, v13, s26
	v_dual_mov_b32 v13, v19 :: v_dual_mov_b32 v14, v20
	v_cmp_class_f64_e64 s1, v[35:36], 0x1f8
	s_delay_alu instid0(VALU_DEP_3) | instskip(NEXT) | instid1(VALU_DEP_1)
	v_cmp_neq_f64_e64 s0, v[35:36], v[33:34]
	s_or_b32 s0, s0, s1
	s_delay_alu instid0(SALU_CYCLE_1)
	s_and_saveexec_b32 s17, s0
	s_cbranch_execz .LBB26_126
; %bb.125:
	v_add_f64 v[13:14], v[35:36], -v[33:34]
	s_mov_b32 s0, 0x652b82fe
	s_mov_b32 s1, 0x3ff71547
	;; [unrolled: 1-line block ×10, first 2 shown]
	s_delay_alu instid0(VALU_DEP_1) | instskip(SKIP_2) | instid1(VALU_DEP_1)
	v_mul_f64 v[35:36], v[13:14], s[0:1]
	s_mov_b32 s0, 0xfca7ab0c
	s_mov_b32 s1, 0x3e928af3
	v_rndne_f64_e32 v[35:36], v[35:36]
	s_delay_alu instid0(VALU_DEP_1) | instskip(SKIP_2) | instid1(VALU_DEP_2)
	v_fma_f64 v[37:38], v[35:36], s[18:19], v[13:14]
	v_cvt_i32_f64_e32 v0, v[35:36]
	s_mov_b32 s19, 0x3fe62e42
	v_fma_f64 v[37:38], v[35:36], s[20:21], v[37:38]
	s_mov_b32 s21, 0x3c7abc9e
	s_delay_alu instid0(VALU_DEP_1) | instskip(SKIP_4) | instid1(VALU_DEP_1)
	v_fma_f64 v[39:40], v[37:38], s[22:23], s[0:1]
	s_mov_b32 s0, 0x623fde64
	s_mov_b32 s1, 0x3ec71dee
	s_mov_b32 s22, 0x6b47b09a
	s_mov_b32 s23, 0x3fc38538
	v_fma_f64 v[39:40], v[37:38], v[39:40], s[0:1]
	s_mov_b32 s0, 0x7c89e6b0
	s_mov_b32 s1, 0x3efa0199
	s_delay_alu instid0(VALU_DEP_1) | instid1(SALU_CYCLE_1)
	v_fma_f64 v[39:40], v[37:38], v[39:40], s[0:1]
	s_mov_b32 s0, 0x14761f6e
	s_mov_b32 s1, 0x3f2a01a0
	s_delay_alu instid0(VALU_DEP_1) | instid1(SALU_CYCLE_1)
	;; [unrolled: 4-line block ×7, first 2 shown]
	v_fma_f64 v[39:40], v[37:38], v[39:40], s[0:1]
	v_cmp_nlt_f64_e64 s0, 0x40900000, v[13:14]
	v_cmp_ngt_f64_e64 s1, 0xc090cc00, v[13:14]
	s_delay_alu instid0(VALU_DEP_3) | instskip(NEXT) | instid1(VALU_DEP_1)
	v_fma_f64 v[39:40], v[37:38], v[39:40], 1.0
	v_fma_f64 v[35:36], v[37:38], v[39:40], 1.0
	s_delay_alu instid0(VALU_DEP_1) | instskip(NEXT) | instid1(VALU_DEP_1)
	v_ldexp_f64 v[35:36], v[35:36], v0
	v_cndmask_b32_e64 v0, 0x7ff00000, v36, s0
	s_and_b32 s0, s1, s0
	s_delay_alu instid0(VALU_DEP_2) | instid1(SALU_CYCLE_1)
	v_cndmask_b32_e64 v13, 0, v35, s0
	s_mov_b32 s0, 0x55555555
	s_delay_alu instid0(VALU_DEP_2) | instskip(SKIP_1) | instid1(VALU_DEP_1)
	v_cndmask_b32_e64 v14, 0, v0, s1
	s_mov_b32 s1, 0x3fe55555
	v_add_f64 v[35:36], v[13:14], 1.0
	s_delay_alu instid0(VALU_DEP_1) | instskip(SKIP_2) | instid1(VALU_DEP_3)
	v_frexp_mant_f64_e32 v[37:38], v[35:36]
	v_frexp_exp_i32_f64_e32 v0, v[35:36]
	v_add_f64 v[39:40], v[35:36], -1.0
	v_cmp_gt_f64_e64 s0, s[0:1], v[37:38]
	s_delay_alu instid0(VALU_DEP_2) | instskip(SKIP_1) | instid1(VALU_DEP_3)
	v_add_f64 v[37:38], v[39:40], -v[35:36]
	v_add_f64 v[39:40], v[13:14], -v[39:40]
	v_subrev_co_ci_u32_e64 v0, s0, 0, v0, s0
	s_delay_alu instid0(VALU_DEP_3) | instskip(SKIP_1) | instid1(VALU_DEP_2)
	v_add_f64 v[37:38], v[37:38], 1.0
	s_mov_b32 s0, 0x55555780
	v_sub_nc_u32_e32 v43, 0, v0
	s_delay_alu instid0(VALU_DEP_1) | instskip(NEXT) | instid1(VALU_DEP_3)
	v_ldexp_f64 v[35:36], v[35:36], v43
	v_add_f64 v[37:38], v[39:40], v[37:38]
	s_delay_alu instid0(VALU_DEP_2) | instskip(SKIP_1) | instid1(VALU_DEP_3)
	v_add_f64 v[41:42], v[35:36], 1.0
	v_add_f64 v[47:48], v[35:36], -1.0
	v_ldexp_f64 v[37:38], v[37:38], v43
	s_delay_alu instid0(VALU_DEP_3) | instskip(NEXT) | instid1(VALU_DEP_3)
	v_add_f64 v[39:40], v[41:42], -1.0
	v_add_f64 v[49:50], v[47:48], 1.0
	s_delay_alu instid0(VALU_DEP_2) | instskip(NEXT) | instid1(VALU_DEP_2)
	v_add_f64 v[39:40], v[35:36], -v[39:40]
	v_add_f64 v[35:36], v[35:36], -v[49:50]
	s_delay_alu instid0(VALU_DEP_2) | instskip(NEXT) | instid1(VALU_DEP_2)
	v_add_f64 v[39:40], v[37:38], v[39:40]
	v_add_f64 v[35:36], v[37:38], v[35:36]
	s_delay_alu instid0(VALU_DEP_2) | instskip(NEXT) | instid1(VALU_DEP_2)
	v_add_f64 v[43:44], v[41:42], v[39:40]
	v_add_f64 v[49:50], v[47:48], v[35:36]
	s_delay_alu instid0(VALU_DEP_2) | instskip(SKIP_1) | instid1(VALU_DEP_2)
	v_rcp_f64_e32 v[45:46], v[43:44]
	v_add_f64 v[41:42], v[43:44], -v[41:42]
	v_add_f64 v[47:48], v[49:50], -v[47:48]
	s_delay_alu instid0(VALU_DEP_2) | instskip(SKIP_3) | instid1(VALU_DEP_2)
	v_add_f64 v[39:40], v[39:40], -v[41:42]
	s_waitcnt_depctr 0xfff
	v_fma_f64 v[51:52], -v[43:44], v[45:46], 1.0
	v_add_f64 v[35:36], v[35:36], -v[47:48]
	v_fma_f64 v[45:46], v[51:52], v[45:46], v[45:46]
	s_delay_alu instid0(VALU_DEP_1) | instskip(NEXT) | instid1(VALU_DEP_1)
	v_fma_f64 v[37:38], -v[43:44], v[45:46], 1.0
	v_fma_f64 v[37:38], v[37:38], v[45:46], v[45:46]
	s_delay_alu instid0(VALU_DEP_1) | instskip(NEXT) | instid1(VALU_DEP_1)
	v_mul_f64 v[45:46], v[49:50], v[37:38]
	v_mul_f64 v[51:52], v[43:44], v[45:46]
	s_delay_alu instid0(VALU_DEP_1) | instskip(NEXT) | instid1(VALU_DEP_1)
	v_fma_f64 v[41:42], v[45:46], v[43:44], -v[51:52]
	v_fma_f64 v[41:42], v[45:46], v[39:40], v[41:42]
	s_delay_alu instid0(VALU_DEP_1) | instskip(NEXT) | instid1(VALU_DEP_1)
	v_add_f64 v[63:64], v[51:52], v[41:42]
	v_add_f64 v[65:66], v[49:50], -v[63:64]
	v_add_f64 v[47:48], v[63:64], -v[51:52]
	s_delay_alu instid0(VALU_DEP_2) | instskip(NEXT) | instid1(VALU_DEP_2)
	v_add_f64 v[49:50], v[49:50], -v[65:66]
	v_add_f64 v[41:42], v[47:48], -v[41:42]
	s_delay_alu instid0(VALU_DEP_2) | instskip(NEXT) | instid1(VALU_DEP_1)
	v_add_f64 v[49:50], v[49:50], -v[63:64]
	v_add_f64 v[35:36], v[35:36], v[49:50]
	s_delay_alu instid0(VALU_DEP_1) | instskip(NEXT) | instid1(VALU_DEP_1)
	v_add_f64 v[35:36], v[41:42], v[35:36]
	v_add_f64 v[41:42], v[65:66], v[35:36]
	s_delay_alu instid0(VALU_DEP_1) | instskip(SKIP_1) | instid1(VALU_DEP_2)
	v_mul_f64 v[47:48], v[37:38], v[41:42]
	v_add_f64 v[63:64], v[65:66], -v[41:42]
	v_mul_f64 v[49:50], v[43:44], v[47:48]
	s_delay_alu instid0(VALU_DEP_2) | instskip(NEXT) | instid1(VALU_DEP_2)
	v_add_f64 v[35:36], v[35:36], v[63:64]
	v_fma_f64 v[43:44], v[47:48], v[43:44], -v[49:50]
	s_delay_alu instid0(VALU_DEP_1) | instskip(NEXT) | instid1(VALU_DEP_1)
	v_fma_f64 v[39:40], v[47:48], v[39:40], v[43:44]
	v_add_f64 v[43:44], v[49:50], v[39:40]
	s_delay_alu instid0(VALU_DEP_1) | instskip(SKIP_1) | instid1(VALU_DEP_2)
	v_add_f64 v[51:52], v[41:42], -v[43:44]
	v_add_f64 v[49:50], v[43:44], -v[49:50]
	;; [unrolled: 1-line block ×3, first 2 shown]
	s_delay_alu instid0(VALU_DEP_2) | instskip(NEXT) | instid1(VALU_DEP_2)
	v_add_f64 v[39:40], v[49:50], -v[39:40]
	v_add_f64 v[41:42], v[41:42], -v[43:44]
	s_delay_alu instid0(VALU_DEP_1) | instskip(SKIP_1) | instid1(VALU_DEP_2)
	v_add_f64 v[35:36], v[35:36], v[41:42]
	v_add_f64 v[41:42], v[45:46], v[47:48]
	;; [unrolled: 1-line block ×3, first 2 shown]
	s_delay_alu instid0(VALU_DEP_2) | instskip(NEXT) | instid1(VALU_DEP_2)
	v_add_f64 v[39:40], v[41:42], -v[45:46]
	v_add_f64 v[35:36], v[51:52], v[35:36]
	s_delay_alu instid0(VALU_DEP_2) | instskip(NEXT) | instid1(VALU_DEP_2)
	v_add_f64 v[39:40], v[47:48], -v[39:40]
	v_mul_f64 v[35:36], v[37:38], v[35:36]
	s_delay_alu instid0(VALU_DEP_1) | instskip(NEXT) | instid1(VALU_DEP_1)
	v_add_f64 v[35:36], v[39:40], v[35:36]
	v_add_f64 v[37:38], v[41:42], v[35:36]
	s_delay_alu instid0(VALU_DEP_1) | instskip(NEXT) | instid1(VALU_DEP_1)
	v_mul_f64 v[39:40], v[37:38], v[37:38]
	v_fma_f64 v[43:44], v[39:40], s[24:25], s[22:23]
	s_mov_b32 s22, 0xd7f4df2e
	s_mov_b32 s23, 0x3fc7474d
	v_mul_f64 v[45:46], v[37:38], v[39:40]
	s_delay_alu instid0(VALU_DEP_2)
	v_fma_f64 v[43:44], v[39:40], v[43:44], s[22:23]
	s_mov_b32 s22, 0x16291751
	s_mov_b32 s23, 0x3fcc71c0
	s_delay_alu instid0(VALU_DEP_1) | instid1(SALU_CYCLE_1)
	v_fma_f64 v[43:44], v[39:40], v[43:44], s[22:23]
	s_mov_b32 s22, 0x9b27acf1
	s_mov_b32 s23, 0x3fd24924
	s_delay_alu instid0(VALU_DEP_1) | instid1(SALU_CYCLE_1)
	v_fma_f64 v[43:44], v[39:40], v[43:44], s[22:23]
	s_mov_b32 s22, 0x998ef7b6
	s_mov_b32 s23, 0x3fd99999
	s_delay_alu instid0(VALU_DEP_1) | instid1(SALU_CYCLE_1)
	v_fma_f64 v[43:44], v[39:40], v[43:44], s[22:23]
	s_delay_alu instid0(VALU_DEP_1) | instskip(SKIP_3) | instid1(VALU_DEP_4)
	v_fma_f64 v[39:40], v[39:40], v[43:44], s[0:1]
	v_ldexp_f64 v[43:44], v[37:38], 1
	v_add_f64 v[37:38], v[37:38], -v[41:42]
	v_cmp_eq_f64_e64 s0, 0x7ff00000, v[13:14]
	v_mul_f64 v[39:40], v[45:46], v[39:40]
	v_cvt_f64_i32_e32 v[45:46], v0
	s_delay_alu instid0(VALU_DEP_4) | instskip(NEXT) | instid1(VALU_DEP_3)
	v_add_f64 v[35:36], v[35:36], -v[37:38]
	v_add_f64 v[41:42], v[43:44], v[39:40]
	s_delay_alu instid0(VALU_DEP_3) | instskip(NEXT) | instid1(VALU_DEP_3)
	v_mul_f64 v[47:48], v[45:46], s[18:19]
	v_ldexp_f64 v[35:36], v[35:36], 1
	s_delay_alu instid0(VALU_DEP_3) | instskip(NEXT) | instid1(VALU_DEP_3)
	v_add_f64 v[37:38], v[41:42], -v[43:44]
	v_fma_f64 v[43:44], v[45:46], s[18:19], -v[47:48]
	s_delay_alu instid0(VALU_DEP_2) | instskip(NEXT) | instid1(VALU_DEP_2)
	v_add_f64 v[37:38], v[39:40], -v[37:38]
	v_fma_f64 v[39:40], v[45:46], s[20:21], v[43:44]
	s_delay_alu instid0(VALU_DEP_2) | instskip(NEXT) | instid1(VALU_DEP_2)
	v_add_f64 v[35:36], v[35:36], v[37:38]
	v_add_f64 v[37:38], v[47:48], v[39:40]
	s_delay_alu instid0(VALU_DEP_2) | instskip(NEXT) | instid1(VALU_DEP_2)
	v_add_f64 v[43:44], v[41:42], v[35:36]
	v_add_f64 v[47:48], v[37:38], -v[47:48]
	s_delay_alu instid0(VALU_DEP_2) | instskip(SKIP_1) | instid1(VALU_DEP_3)
	v_add_f64 v[45:46], v[37:38], v[43:44]
	v_add_f64 v[41:42], v[43:44], -v[41:42]
	v_add_f64 v[39:40], v[39:40], -v[47:48]
	s_delay_alu instid0(VALU_DEP_3) | instskip(NEXT) | instid1(VALU_DEP_3)
	v_add_f64 v[49:50], v[45:46], -v[37:38]
	v_add_f64 v[35:36], v[35:36], -v[41:42]
	s_delay_alu instid0(VALU_DEP_2) | instskip(SKIP_1) | instid1(VALU_DEP_3)
	v_add_f64 v[51:52], v[45:46], -v[49:50]
	v_add_f64 v[41:42], v[43:44], -v[49:50]
	v_add_f64 v[43:44], v[39:40], v[35:36]
	s_delay_alu instid0(VALU_DEP_3) | instskip(NEXT) | instid1(VALU_DEP_1)
	v_add_f64 v[37:38], v[37:38], -v[51:52]
	v_add_f64 v[37:38], v[41:42], v[37:38]
	s_delay_alu instid0(VALU_DEP_3) | instskip(NEXT) | instid1(VALU_DEP_2)
	v_add_f64 v[41:42], v[43:44], -v[39:40]
	v_add_f64 v[37:38], v[43:44], v[37:38]
	s_delay_alu instid0(VALU_DEP_2) | instskip(SKIP_1) | instid1(VALU_DEP_3)
	v_add_f64 v[43:44], v[43:44], -v[41:42]
	v_add_f64 v[35:36], v[35:36], -v[41:42]
	v_add_f64 v[47:48], v[45:46], v[37:38]
	s_delay_alu instid0(VALU_DEP_3) | instskip(NEXT) | instid1(VALU_DEP_2)
	v_add_f64 v[39:40], v[39:40], -v[43:44]
	v_add_f64 v[41:42], v[47:48], -v[45:46]
	s_delay_alu instid0(VALU_DEP_2) | instskip(NEXT) | instid1(VALU_DEP_2)
	v_add_f64 v[35:36], v[35:36], v[39:40]
	v_add_f64 v[37:38], v[37:38], -v[41:42]
	s_delay_alu instid0(VALU_DEP_1) | instskip(NEXT) | instid1(VALU_DEP_1)
	v_add_f64 v[35:36], v[35:36], v[37:38]
	v_add_f64 v[35:36], v[47:48], v[35:36]
	s_delay_alu instid0(VALU_DEP_1) | instskip(NEXT) | instid1(VALU_DEP_2)
	v_cndmask_b32_e64 v0, v35, v13, s0
	v_cndmask_b32_e64 v35, v36, v14, s0
	v_cmp_ngt_f64_e64 s0, -1.0, v[13:14]
	s_delay_alu instid0(VALU_DEP_1) | instskip(SKIP_1) | instid1(VALU_DEP_1)
	v_cndmask_b32_e64 v36, 0x7ff80000, v35, s0
	v_cmp_nge_f64_e64 s0, -1.0, v[13:14]
	v_cndmask_b32_e64 v35, 0, v0, s0
	v_cmp_neq_f64_e64 s0, -1.0, v[13:14]
	s_delay_alu instid0(VALU_DEP_1) | instskip(NEXT) | instid1(VALU_DEP_1)
	v_cndmask_b32_e64 v36, 0xfff00000, v36, s0
	v_add_f64 v[13:14], v[33:34], v[35:36]
.LBB26_126:
	s_or_b32 exec_lo, exec_lo, s17
	s_delay_alu instid0(VALU_DEP_1) | instskip(SKIP_1) | instid1(VALU_DEP_2)
	v_max_f64 v[33:34], v[13:14], v[13:14]
	v_cmp_u_f64_e64 s0, v[13:14], v[13:14]
	v_min_f64 v[35:36], v[33:34], v[53:54]
	v_max_f64 v[33:34], v[33:34], v[53:54]
	s_delay_alu instid0(VALU_DEP_2) | instskip(NEXT) | instid1(VALU_DEP_3)
	v_cndmask_b32_e64 v0, v35, v13, s0
	v_cndmask_b32_e64 v35, v36, v14, s0
	s_delay_alu instid0(VALU_DEP_3) | instskip(NEXT) | instid1(VALU_DEP_4)
	v_cndmask_b32_e64 v34, v34, v14, s0
	v_cndmask_b32_e64 v33, v33, v13, s0
	s_delay_alu instid0(VALU_DEP_3) | instskip(SKIP_1) | instid1(VALU_DEP_4)
	v_cndmask_b32_e64 v36, v35, v16, s27
	v_cndmask_b32_e64 v35, v0, v15, s27
	;; [unrolled: 1-line block ×3, first 2 shown]
	s_delay_alu instid0(VALU_DEP_4) | instskip(SKIP_1) | instid1(VALU_DEP_4)
	v_cndmask_b32_e64 v33, v33, v15, s27
	v_dual_mov_b32 v16, v14 :: v_dual_mov_b32 v15, v13
	v_cmp_class_f64_e64 s1, v[35:36], 0x1f8
	s_delay_alu instid0(VALU_DEP_3) | instskip(NEXT) | instid1(VALU_DEP_1)
	v_cmp_neq_f64_e64 s0, v[35:36], v[33:34]
	s_or_b32 s0, s0, s1
	s_delay_alu instid0(SALU_CYCLE_1)
	s_and_saveexec_b32 s17, s0
	s_cbranch_execz .LBB26_128
; %bb.127:
	v_add_f64 v[15:16], v[35:36], -v[33:34]
	s_mov_b32 s0, 0x652b82fe
	s_mov_b32 s1, 0x3ff71547
	;; [unrolled: 1-line block ×10, first 2 shown]
	s_delay_alu instid0(VALU_DEP_1) | instskip(SKIP_2) | instid1(VALU_DEP_1)
	v_mul_f64 v[35:36], v[15:16], s[0:1]
	s_mov_b32 s0, 0xfca7ab0c
	s_mov_b32 s1, 0x3e928af3
	v_rndne_f64_e32 v[35:36], v[35:36]
	s_delay_alu instid0(VALU_DEP_1) | instskip(SKIP_2) | instid1(VALU_DEP_2)
	v_fma_f64 v[37:38], v[35:36], s[18:19], v[15:16]
	v_cvt_i32_f64_e32 v0, v[35:36]
	s_mov_b32 s19, 0x3fe62e42
	v_fma_f64 v[37:38], v[35:36], s[20:21], v[37:38]
	s_mov_b32 s21, 0x3c7abc9e
	s_delay_alu instid0(VALU_DEP_1) | instskip(SKIP_4) | instid1(VALU_DEP_1)
	v_fma_f64 v[39:40], v[37:38], s[22:23], s[0:1]
	s_mov_b32 s0, 0x623fde64
	s_mov_b32 s1, 0x3ec71dee
	s_mov_b32 s22, 0x6b47b09a
	s_mov_b32 s23, 0x3fc38538
	v_fma_f64 v[39:40], v[37:38], v[39:40], s[0:1]
	s_mov_b32 s0, 0x7c89e6b0
	s_mov_b32 s1, 0x3efa0199
	s_delay_alu instid0(VALU_DEP_1) | instid1(SALU_CYCLE_1)
	v_fma_f64 v[39:40], v[37:38], v[39:40], s[0:1]
	s_mov_b32 s0, 0x14761f6e
	s_mov_b32 s1, 0x3f2a01a0
	s_delay_alu instid0(VALU_DEP_1) | instid1(SALU_CYCLE_1)
	;; [unrolled: 4-line block ×7, first 2 shown]
	v_fma_f64 v[39:40], v[37:38], v[39:40], s[0:1]
	v_cmp_nlt_f64_e64 s0, 0x40900000, v[15:16]
	v_cmp_ngt_f64_e64 s1, 0xc090cc00, v[15:16]
	s_delay_alu instid0(VALU_DEP_3) | instskip(NEXT) | instid1(VALU_DEP_1)
	v_fma_f64 v[39:40], v[37:38], v[39:40], 1.0
	v_fma_f64 v[35:36], v[37:38], v[39:40], 1.0
	s_delay_alu instid0(VALU_DEP_1) | instskip(NEXT) | instid1(VALU_DEP_1)
	v_ldexp_f64 v[35:36], v[35:36], v0
	v_cndmask_b32_e64 v0, 0x7ff00000, v36, s0
	s_and_b32 s0, s1, s0
	s_delay_alu instid0(VALU_DEP_2) | instid1(SALU_CYCLE_1)
	v_cndmask_b32_e64 v15, 0, v35, s0
	s_mov_b32 s0, 0x55555555
	s_delay_alu instid0(VALU_DEP_2) | instskip(SKIP_1) | instid1(VALU_DEP_1)
	v_cndmask_b32_e64 v16, 0, v0, s1
	s_mov_b32 s1, 0x3fe55555
	v_add_f64 v[35:36], v[15:16], 1.0
	s_delay_alu instid0(VALU_DEP_1) | instskip(SKIP_2) | instid1(VALU_DEP_3)
	v_frexp_mant_f64_e32 v[37:38], v[35:36]
	v_frexp_exp_i32_f64_e32 v0, v[35:36]
	v_add_f64 v[39:40], v[35:36], -1.0
	v_cmp_gt_f64_e64 s0, s[0:1], v[37:38]
	s_delay_alu instid0(VALU_DEP_2) | instskip(SKIP_1) | instid1(VALU_DEP_3)
	v_add_f64 v[37:38], v[39:40], -v[35:36]
	v_add_f64 v[39:40], v[15:16], -v[39:40]
	v_subrev_co_ci_u32_e64 v0, s0, 0, v0, s0
	s_delay_alu instid0(VALU_DEP_3) | instskip(SKIP_1) | instid1(VALU_DEP_2)
	v_add_f64 v[37:38], v[37:38], 1.0
	s_mov_b32 s0, 0x55555780
	v_sub_nc_u32_e32 v43, 0, v0
	s_delay_alu instid0(VALU_DEP_1) | instskip(NEXT) | instid1(VALU_DEP_3)
	v_ldexp_f64 v[35:36], v[35:36], v43
	v_add_f64 v[37:38], v[39:40], v[37:38]
	s_delay_alu instid0(VALU_DEP_2) | instskip(SKIP_1) | instid1(VALU_DEP_3)
	v_add_f64 v[41:42], v[35:36], 1.0
	v_add_f64 v[47:48], v[35:36], -1.0
	v_ldexp_f64 v[37:38], v[37:38], v43
	s_delay_alu instid0(VALU_DEP_3) | instskip(NEXT) | instid1(VALU_DEP_3)
	v_add_f64 v[39:40], v[41:42], -1.0
	v_add_f64 v[49:50], v[47:48], 1.0
	s_delay_alu instid0(VALU_DEP_2) | instskip(NEXT) | instid1(VALU_DEP_2)
	v_add_f64 v[39:40], v[35:36], -v[39:40]
	v_add_f64 v[35:36], v[35:36], -v[49:50]
	s_delay_alu instid0(VALU_DEP_2) | instskip(NEXT) | instid1(VALU_DEP_2)
	v_add_f64 v[39:40], v[37:38], v[39:40]
	v_add_f64 v[35:36], v[37:38], v[35:36]
	s_delay_alu instid0(VALU_DEP_2) | instskip(NEXT) | instid1(VALU_DEP_2)
	v_add_f64 v[43:44], v[41:42], v[39:40]
	v_add_f64 v[49:50], v[47:48], v[35:36]
	s_delay_alu instid0(VALU_DEP_2) | instskip(SKIP_1) | instid1(VALU_DEP_2)
	v_rcp_f64_e32 v[45:46], v[43:44]
	v_add_f64 v[41:42], v[43:44], -v[41:42]
	v_add_f64 v[47:48], v[49:50], -v[47:48]
	s_delay_alu instid0(VALU_DEP_2) | instskip(SKIP_3) | instid1(VALU_DEP_2)
	v_add_f64 v[39:40], v[39:40], -v[41:42]
	s_waitcnt_depctr 0xfff
	v_fma_f64 v[51:52], -v[43:44], v[45:46], 1.0
	v_add_f64 v[35:36], v[35:36], -v[47:48]
	v_fma_f64 v[45:46], v[51:52], v[45:46], v[45:46]
	s_delay_alu instid0(VALU_DEP_1) | instskip(NEXT) | instid1(VALU_DEP_1)
	v_fma_f64 v[37:38], -v[43:44], v[45:46], 1.0
	v_fma_f64 v[37:38], v[37:38], v[45:46], v[45:46]
	s_delay_alu instid0(VALU_DEP_1) | instskip(NEXT) | instid1(VALU_DEP_1)
	v_mul_f64 v[45:46], v[49:50], v[37:38]
	v_mul_f64 v[51:52], v[43:44], v[45:46]
	s_delay_alu instid0(VALU_DEP_1) | instskip(NEXT) | instid1(VALU_DEP_1)
	v_fma_f64 v[41:42], v[45:46], v[43:44], -v[51:52]
	v_fma_f64 v[41:42], v[45:46], v[39:40], v[41:42]
	s_delay_alu instid0(VALU_DEP_1) | instskip(NEXT) | instid1(VALU_DEP_1)
	v_add_f64 v[53:54], v[51:52], v[41:42]
	v_add_f64 v[63:64], v[49:50], -v[53:54]
	v_add_f64 v[47:48], v[53:54], -v[51:52]
	s_delay_alu instid0(VALU_DEP_2) | instskip(NEXT) | instid1(VALU_DEP_2)
	v_add_f64 v[49:50], v[49:50], -v[63:64]
	v_add_f64 v[41:42], v[47:48], -v[41:42]
	s_delay_alu instid0(VALU_DEP_2) | instskip(NEXT) | instid1(VALU_DEP_1)
	v_add_f64 v[49:50], v[49:50], -v[53:54]
	v_add_f64 v[35:36], v[35:36], v[49:50]
	s_delay_alu instid0(VALU_DEP_1) | instskip(NEXT) | instid1(VALU_DEP_1)
	v_add_f64 v[35:36], v[41:42], v[35:36]
	v_add_f64 v[41:42], v[63:64], v[35:36]
	s_delay_alu instid0(VALU_DEP_1) | instskip(SKIP_1) | instid1(VALU_DEP_2)
	v_mul_f64 v[47:48], v[37:38], v[41:42]
	v_add_f64 v[53:54], v[63:64], -v[41:42]
	v_mul_f64 v[49:50], v[43:44], v[47:48]
	s_delay_alu instid0(VALU_DEP_2) | instskip(NEXT) | instid1(VALU_DEP_2)
	v_add_f64 v[35:36], v[35:36], v[53:54]
	v_fma_f64 v[43:44], v[47:48], v[43:44], -v[49:50]
	s_delay_alu instid0(VALU_DEP_1) | instskip(NEXT) | instid1(VALU_DEP_1)
	v_fma_f64 v[39:40], v[47:48], v[39:40], v[43:44]
	v_add_f64 v[43:44], v[49:50], v[39:40]
	s_delay_alu instid0(VALU_DEP_1) | instskip(SKIP_1) | instid1(VALU_DEP_2)
	v_add_f64 v[51:52], v[41:42], -v[43:44]
	v_add_f64 v[49:50], v[43:44], -v[49:50]
	;; [unrolled: 1-line block ×3, first 2 shown]
	s_delay_alu instid0(VALU_DEP_2) | instskip(NEXT) | instid1(VALU_DEP_2)
	v_add_f64 v[39:40], v[49:50], -v[39:40]
	v_add_f64 v[41:42], v[41:42], -v[43:44]
	s_delay_alu instid0(VALU_DEP_1) | instskip(SKIP_1) | instid1(VALU_DEP_2)
	v_add_f64 v[35:36], v[35:36], v[41:42]
	v_add_f64 v[41:42], v[45:46], v[47:48]
	;; [unrolled: 1-line block ×3, first 2 shown]
	s_delay_alu instid0(VALU_DEP_2) | instskip(NEXT) | instid1(VALU_DEP_2)
	v_add_f64 v[39:40], v[41:42], -v[45:46]
	v_add_f64 v[35:36], v[51:52], v[35:36]
	s_delay_alu instid0(VALU_DEP_2) | instskip(NEXT) | instid1(VALU_DEP_2)
	v_add_f64 v[39:40], v[47:48], -v[39:40]
	v_mul_f64 v[35:36], v[37:38], v[35:36]
	s_delay_alu instid0(VALU_DEP_1) | instskip(NEXT) | instid1(VALU_DEP_1)
	v_add_f64 v[35:36], v[39:40], v[35:36]
	v_add_f64 v[37:38], v[41:42], v[35:36]
	s_delay_alu instid0(VALU_DEP_1) | instskip(NEXT) | instid1(VALU_DEP_1)
	v_mul_f64 v[39:40], v[37:38], v[37:38]
	v_fma_f64 v[43:44], v[39:40], s[24:25], s[22:23]
	s_mov_b32 s22, 0xd7f4df2e
	s_mov_b32 s23, 0x3fc7474d
	v_mul_f64 v[45:46], v[37:38], v[39:40]
	s_delay_alu instid0(VALU_DEP_2)
	v_fma_f64 v[43:44], v[39:40], v[43:44], s[22:23]
	s_mov_b32 s22, 0x16291751
	s_mov_b32 s23, 0x3fcc71c0
	s_delay_alu instid0(VALU_DEP_1) | instid1(SALU_CYCLE_1)
	v_fma_f64 v[43:44], v[39:40], v[43:44], s[22:23]
	s_mov_b32 s22, 0x9b27acf1
	s_mov_b32 s23, 0x3fd24924
	s_delay_alu instid0(VALU_DEP_1) | instid1(SALU_CYCLE_1)
	;; [unrolled: 4-line block ×3, first 2 shown]
	v_fma_f64 v[43:44], v[39:40], v[43:44], s[22:23]
	s_delay_alu instid0(VALU_DEP_1) | instskip(SKIP_3) | instid1(VALU_DEP_4)
	v_fma_f64 v[39:40], v[39:40], v[43:44], s[0:1]
	v_ldexp_f64 v[43:44], v[37:38], 1
	v_add_f64 v[37:38], v[37:38], -v[41:42]
	v_cmp_eq_f64_e64 s0, 0x7ff00000, v[15:16]
	v_mul_f64 v[39:40], v[45:46], v[39:40]
	v_cvt_f64_i32_e32 v[45:46], v0
	s_delay_alu instid0(VALU_DEP_4) | instskip(NEXT) | instid1(VALU_DEP_3)
	v_add_f64 v[35:36], v[35:36], -v[37:38]
	v_add_f64 v[41:42], v[43:44], v[39:40]
	s_delay_alu instid0(VALU_DEP_3) | instskip(NEXT) | instid1(VALU_DEP_3)
	v_mul_f64 v[47:48], v[45:46], s[18:19]
	v_ldexp_f64 v[35:36], v[35:36], 1
	s_delay_alu instid0(VALU_DEP_3) | instskip(NEXT) | instid1(VALU_DEP_3)
	v_add_f64 v[37:38], v[41:42], -v[43:44]
	v_fma_f64 v[43:44], v[45:46], s[18:19], -v[47:48]
	s_delay_alu instid0(VALU_DEP_2) | instskip(NEXT) | instid1(VALU_DEP_2)
	v_add_f64 v[37:38], v[39:40], -v[37:38]
	v_fma_f64 v[39:40], v[45:46], s[20:21], v[43:44]
	s_delay_alu instid0(VALU_DEP_2) | instskip(NEXT) | instid1(VALU_DEP_2)
	v_add_f64 v[35:36], v[35:36], v[37:38]
	v_add_f64 v[37:38], v[47:48], v[39:40]
	s_delay_alu instid0(VALU_DEP_2) | instskip(NEXT) | instid1(VALU_DEP_2)
	v_add_f64 v[43:44], v[41:42], v[35:36]
	v_add_f64 v[47:48], v[37:38], -v[47:48]
	s_delay_alu instid0(VALU_DEP_2) | instskip(SKIP_1) | instid1(VALU_DEP_3)
	v_add_f64 v[45:46], v[37:38], v[43:44]
	v_add_f64 v[41:42], v[43:44], -v[41:42]
	v_add_f64 v[39:40], v[39:40], -v[47:48]
	s_delay_alu instid0(VALU_DEP_3) | instskip(NEXT) | instid1(VALU_DEP_3)
	v_add_f64 v[49:50], v[45:46], -v[37:38]
	v_add_f64 v[35:36], v[35:36], -v[41:42]
	s_delay_alu instid0(VALU_DEP_2) | instskip(SKIP_1) | instid1(VALU_DEP_3)
	v_add_f64 v[51:52], v[45:46], -v[49:50]
	v_add_f64 v[41:42], v[43:44], -v[49:50]
	v_add_f64 v[43:44], v[39:40], v[35:36]
	s_delay_alu instid0(VALU_DEP_3) | instskip(NEXT) | instid1(VALU_DEP_1)
	v_add_f64 v[37:38], v[37:38], -v[51:52]
	v_add_f64 v[37:38], v[41:42], v[37:38]
	s_delay_alu instid0(VALU_DEP_3) | instskip(NEXT) | instid1(VALU_DEP_2)
	v_add_f64 v[41:42], v[43:44], -v[39:40]
	v_add_f64 v[37:38], v[43:44], v[37:38]
	s_delay_alu instid0(VALU_DEP_2) | instskip(SKIP_1) | instid1(VALU_DEP_3)
	v_add_f64 v[43:44], v[43:44], -v[41:42]
	v_add_f64 v[35:36], v[35:36], -v[41:42]
	v_add_f64 v[47:48], v[45:46], v[37:38]
	s_delay_alu instid0(VALU_DEP_3) | instskip(NEXT) | instid1(VALU_DEP_2)
	v_add_f64 v[39:40], v[39:40], -v[43:44]
	v_add_f64 v[41:42], v[47:48], -v[45:46]
	s_delay_alu instid0(VALU_DEP_2) | instskip(NEXT) | instid1(VALU_DEP_2)
	v_add_f64 v[35:36], v[35:36], v[39:40]
	v_add_f64 v[37:38], v[37:38], -v[41:42]
	s_delay_alu instid0(VALU_DEP_1) | instskip(NEXT) | instid1(VALU_DEP_1)
	v_add_f64 v[35:36], v[35:36], v[37:38]
	v_add_f64 v[35:36], v[47:48], v[35:36]
	s_delay_alu instid0(VALU_DEP_1) | instskip(NEXT) | instid1(VALU_DEP_2)
	v_cndmask_b32_e64 v0, v35, v15, s0
	v_cndmask_b32_e64 v35, v36, v16, s0
	v_cmp_ngt_f64_e64 s0, -1.0, v[15:16]
	s_delay_alu instid0(VALU_DEP_1) | instskip(SKIP_1) | instid1(VALU_DEP_1)
	v_cndmask_b32_e64 v36, 0x7ff80000, v35, s0
	v_cmp_nge_f64_e64 s0, -1.0, v[15:16]
	v_cndmask_b32_e64 v35, 0, v0, s0
	v_cmp_neq_f64_e64 s0, -1.0, v[15:16]
	s_delay_alu instid0(VALU_DEP_1) | instskip(NEXT) | instid1(VALU_DEP_1)
	v_cndmask_b32_e64 v36, 0xfff00000, v36, s0
	v_add_f64 v[15:16], v[33:34], v[35:36]
.LBB26_128:
	s_or_b32 exec_lo, exec_lo, s17
	s_delay_alu instid0(VALU_DEP_1) | instskip(SKIP_1) | instid1(VALU_DEP_2)
	v_max_f64 v[33:34], v[15:16], v[15:16]
	v_cmp_u_f64_e64 s0, v[15:16], v[15:16]
	v_min_f64 v[35:36], v[33:34], v[55:56]
	v_max_f64 v[33:34], v[33:34], v[55:56]
	s_delay_alu instid0(VALU_DEP_2) | instskip(NEXT) | instid1(VALU_DEP_3)
	v_cndmask_b32_e64 v0, v35, v15, s0
	v_cndmask_b32_e64 v35, v36, v16, s0
	s_delay_alu instid0(VALU_DEP_3) | instskip(NEXT) | instid1(VALU_DEP_4)
	v_cndmask_b32_e64 v34, v34, v16, s0
	v_cndmask_b32_e64 v33, v33, v15, s0
	s_delay_alu instid0(VALU_DEP_3) | instskip(SKIP_1) | instid1(VALU_DEP_4)
	v_cndmask_b32_e64 v36, v35, v10, s28
	v_cndmask_b32_e64 v35, v0, v9, s28
	;; [unrolled: 1-line block ×3, first 2 shown]
	s_delay_alu instid0(VALU_DEP_4) | instskip(SKIP_1) | instid1(VALU_DEP_4)
	v_cndmask_b32_e64 v33, v33, v9, s28
	v_dual_mov_b32 v9, v15 :: v_dual_mov_b32 v10, v16
	v_cmp_class_f64_e64 s1, v[35:36], 0x1f8
	s_delay_alu instid0(VALU_DEP_3) | instskip(NEXT) | instid1(VALU_DEP_1)
	v_cmp_neq_f64_e64 s0, v[35:36], v[33:34]
	s_or_b32 s0, s0, s1
	s_delay_alu instid0(SALU_CYCLE_1)
	s_and_saveexec_b32 s17, s0
	s_cbranch_execz .LBB26_130
; %bb.129:
	v_add_f64 v[9:10], v[35:36], -v[33:34]
	s_mov_b32 s0, 0x652b82fe
	s_mov_b32 s1, 0x3ff71547
	s_mov_b32 s19, 0xbfe62e42
	s_mov_b32 s18, 0xfefa39ef
	s_mov_b32 s21, 0xbc7abc9e
	s_mov_b32 s20, 0x3b39803f
	s_mov_b32 s22, 0x6a5dcb37
	s_mov_b32 s23, 0x3e5ade15
	s_mov_b32 s24, 0xbf559e2b
	s_mov_b32 s25, 0x3fc3ab76
	s_delay_alu instid0(VALU_DEP_1) | instskip(SKIP_2) | instid1(VALU_DEP_1)
	v_mul_f64 v[35:36], v[9:10], s[0:1]
	s_mov_b32 s0, 0xfca7ab0c
	s_mov_b32 s1, 0x3e928af3
	v_rndne_f64_e32 v[35:36], v[35:36]
	s_delay_alu instid0(VALU_DEP_1) | instskip(SKIP_2) | instid1(VALU_DEP_2)
	v_fma_f64 v[37:38], v[35:36], s[18:19], v[9:10]
	v_cvt_i32_f64_e32 v0, v[35:36]
	s_mov_b32 s19, 0x3fe62e42
	v_fma_f64 v[37:38], v[35:36], s[20:21], v[37:38]
	s_mov_b32 s21, 0x3c7abc9e
	s_delay_alu instid0(VALU_DEP_1) | instskip(SKIP_4) | instid1(VALU_DEP_1)
	v_fma_f64 v[39:40], v[37:38], s[22:23], s[0:1]
	s_mov_b32 s0, 0x623fde64
	s_mov_b32 s1, 0x3ec71dee
	;; [unrolled: 1-line block ×4, first 2 shown]
	v_fma_f64 v[39:40], v[37:38], v[39:40], s[0:1]
	s_mov_b32 s0, 0x7c89e6b0
	s_mov_b32 s1, 0x3efa0199
	s_delay_alu instid0(VALU_DEP_1) | instid1(SALU_CYCLE_1)
	v_fma_f64 v[39:40], v[37:38], v[39:40], s[0:1]
	s_mov_b32 s0, 0x14761f6e
	s_mov_b32 s1, 0x3f2a01a0
	s_delay_alu instid0(VALU_DEP_1) | instid1(SALU_CYCLE_1)
	;; [unrolled: 4-line block ×7, first 2 shown]
	v_fma_f64 v[39:40], v[37:38], v[39:40], s[0:1]
	v_cmp_nlt_f64_e64 s0, 0x40900000, v[9:10]
	v_cmp_ngt_f64_e64 s1, 0xc090cc00, v[9:10]
	s_delay_alu instid0(VALU_DEP_3) | instskip(NEXT) | instid1(VALU_DEP_1)
	v_fma_f64 v[39:40], v[37:38], v[39:40], 1.0
	v_fma_f64 v[35:36], v[37:38], v[39:40], 1.0
	s_delay_alu instid0(VALU_DEP_1) | instskip(NEXT) | instid1(VALU_DEP_1)
	v_ldexp_f64 v[35:36], v[35:36], v0
	v_cndmask_b32_e64 v0, 0x7ff00000, v36, s0
	s_and_b32 s0, s1, s0
	s_delay_alu instid0(VALU_DEP_2) | instid1(SALU_CYCLE_1)
	v_cndmask_b32_e64 v9, 0, v35, s0
	s_mov_b32 s0, 0x55555555
	s_delay_alu instid0(VALU_DEP_2) | instskip(SKIP_1) | instid1(VALU_DEP_1)
	v_cndmask_b32_e64 v10, 0, v0, s1
	s_mov_b32 s1, 0x3fe55555
	v_add_f64 v[35:36], v[9:10], 1.0
	s_delay_alu instid0(VALU_DEP_1) | instskip(SKIP_2) | instid1(VALU_DEP_3)
	v_frexp_mant_f64_e32 v[37:38], v[35:36]
	v_frexp_exp_i32_f64_e32 v0, v[35:36]
	v_add_f64 v[39:40], v[35:36], -1.0
	v_cmp_gt_f64_e64 s0, s[0:1], v[37:38]
	s_delay_alu instid0(VALU_DEP_2) | instskip(SKIP_1) | instid1(VALU_DEP_3)
	v_add_f64 v[37:38], v[39:40], -v[35:36]
	v_add_f64 v[39:40], v[9:10], -v[39:40]
	v_subrev_co_ci_u32_e64 v0, s0, 0, v0, s0
	s_delay_alu instid0(VALU_DEP_3) | instskip(SKIP_1) | instid1(VALU_DEP_2)
	v_add_f64 v[37:38], v[37:38], 1.0
	s_mov_b32 s0, 0x55555780
	v_sub_nc_u32_e32 v43, 0, v0
	s_delay_alu instid0(VALU_DEP_1) | instskip(NEXT) | instid1(VALU_DEP_3)
	v_ldexp_f64 v[35:36], v[35:36], v43
	v_add_f64 v[37:38], v[39:40], v[37:38]
	s_delay_alu instid0(VALU_DEP_2) | instskip(SKIP_1) | instid1(VALU_DEP_3)
	v_add_f64 v[41:42], v[35:36], 1.0
	v_add_f64 v[47:48], v[35:36], -1.0
	v_ldexp_f64 v[37:38], v[37:38], v43
	s_delay_alu instid0(VALU_DEP_3) | instskip(NEXT) | instid1(VALU_DEP_3)
	v_add_f64 v[39:40], v[41:42], -1.0
	v_add_f64 v[49:50], v[47:48], 1.0
	s_delay_alu instid0(VALU_DEP_2) | instskip(NEXT) | instid1(VALU_DEP_2)
	v_add_f64 v[39:40], v[35:36], -v[39:40]
	v_add_f64 v[35:36], v[35:36], -v[49:50]
	s_delay_alu instid0(VALU_DEP_2) | instskip(NEXT) | instid1(VALU_DEP_2)
	v_add_f64 v[39:40], v[37:38], v[39:40]
	v_add_f64 v[35:36], v[37:38], v[35:36]
	s_delay_alu instid0(VALU_DEP_2) | instskip(NEXT) | instid1(VALU_DEP_2)
	v_add_f64 v[43:44], v[41:42], v[39:40]
	v_add_f64 v[49:50], v[47:48], v[35:36]
	s_delay_alu instid0(VALU_DEP_2) | instskip(SKIP_1) | instid1(VALU_DEP_2)
	v_rcp_f64_e32 v[45:46], v[43:44]
	v_add_f64 v[41:42], v[43:44], -v[41:42]
	v_add_f64 v[47:48], v[49:50], -v[47:48]
	s_delay_alu instid0(VALU_DEP_2) | instskip(SKIP_3) | instid1(VALU_DEP_2)
	v_add_f64 v[39:40], v[39:40], -v[41:42]
	s_waitcnt_depctr 0xfff
	v_fma_f64 v[51:52], -v[43:44], v[45:46], 1.0
	v_add_f64 v[35:36], v[35:36], -v[47:48]
	v_fma_f64 v[45:46], v[51:52], v[45:46], v[45:46]
	s_delay_alu instid0(VALU_DEP_1) | instskip(NEXT) | instid1(VALU_DEP_1)
	v_fma_f64 v[37:38], -v[43:44], v[45:46], 1.0
	v_fma_f64 v[37:38], v[37:38], v[45:46], v[45:46]
	s_delay_alu instid0(VALU_DEP_1) | instskip(NEXT) | instid1(VALU_DEP_1)
	v_mul_f64 v[45:46], v[49:50], v[37:38]
	v_mul_f64 v[51:52], v[43:44], v[45:46]
	s_delay_alu instid0(VALU_DEP_1) | instskip(NEXT) | instid1(VALU_DEP_1)
	v_fma_f64 v[41:42], v[45:46], v[43:44], -v[51:52]
	v_fma_f64 v[41:42], v[45:46], v[39:40], v[41:42]
	s_delay_alu instid0(VALU_DEP_1) | instskip(NEXT) | instid1(VALU_DEP_1)
	v_add_f64 v[53:54], v[51:52], v[41:42]
	v_add_f64 v[55:56], v[49:50], -v[53:54]
	v_add_f64 v[47:48], v[53:54], -v[51:52]
	s_delay_alu instid0(VALU_DEP_2) | instskip(NEXT) | instid1(VALU_DEP_2)
	v_add_f64 v[49:50], v[49:50], -v[55:56]
	v_add_f64 v[41:42], v[47:48], -v[41:42]
	s_delay_alu instid0(VALU_DEP_2) | instskip(NEXT) | instid1(VALU_DEP_1)
	v_add_f64 v[49:50], v[49:50], -v[53:54]
	v_add_f64 v[35:36], v[35:36], v[49:50]
	s_delay_alu instid0(VALU_DEP_1) | instskip(NEXT) | instid1(VALU_DEP_1)
	v_add_f64 v[35:36], v[41:42], v[35:36]
	v_add_f64 v[41:42], v[55:56], v[35:36]
	s_delay_alu instid0(VALU_DEP_1) | instskip(SKIP_1) | instid1(VALU_DEP_2)
	v_mul_f64 v[47:48], v[37:38], v[41:42]
	v_add_f64 v[53:54], v[55:56], -v[41:42]
	v_mul_f64 v[49:50], v[43:44], v[47:48]
	s_delay_alu instid0(VALU_DEP_2) | instskip(NEXT) | instid1(VALU_DEP_2)
	v_add_f64 v[35:36], v[35:36], v[53:54]
	v_fma_f64 v[43:44], v[47:48], v[43:44], -v[49:50]
	s_delay_alu instid0(VALU_DEP_1) | instskip(NEXT) | instid1(VALU_DEP_1)
	v_fma_f64 v[39:40], v[47:48], v[39:40], v[43:44]
	v_add_f64 v[43:44], v[49:50], v[39:40]
	s_delay_alu instid0(VALU_DEP_1) | instskip(SKIP_1) | instid1(VALU_DEP_2)
	v_add_f64 v[51:52], v[41:42], -v[43:44]
	v_add_f64 v[49:50], v[43:44], -v[49:50]
	;; [unrolled: 1-line block ×3, first 2 shown]
	s_delay_alu instid0(VALU_DEP_2) | instskip(NEXT) | instid1(VALU_DEP_2)
	v_add_f64 v[39:40], v[49:50], -v[39:40]
	v_add_f64 v[41:42], v[41:42], -v[43:44]
	s_delay_alu instid0(VALU_DEP_1) | instskip(SKIP_1) | instid1(VALU_DEP_2)
	v_add_f64 v[35:36], v[35:36], v[41:42]
	v_add_f64 v[41:42], v[45:46], v[47:48]
	;; [unrolled: 1-line block ×3, first 2 shown]
	s_delay_alu instid0(VALU_DEP_2) | instskip(NEXT) | instid1(VALU_DEP_2)
	v_add_f64 v[39:40], v[41:42], -v[45:46]
	v_add_f64 v[35:36], v[51:52], v[35:36]
	s_delay_alu instid0(VALU_DEP_2) | instskip(NEXT) | instid1(VALU_DEP_2)
	v_add_f64 v[39:40], v[47:48], -v[39:40]
	v_mul_f64 v[35:36], v[37:38], v[35:36]
	s_delay_alu instid0(VALU_DEP_1) | instskip(NEXT) | instid1(VALU_DEP_1)
	v_add_f64 v[35:36], v[39:40], v[35:36]
	v_add_f64 v[37:38], v[41:42], v[35:36]
	s_delay_alu instid0(VALU_DEP_1) | instskip(NEXT) | instid1(VALU_DEP_1)
	v_mul_f64 v[39:40], v[37:38], v[37:38]
	v_fma_f64 v[43:44], v[39:40], s[24:25], s[22:23]
	s_mov_b32 s22, 0xd7f4df2e
	s_mov_b32 s23, 0x3fc7474d
	v_mul_f64 v[45:46], v[37:38], v[39:40]
	s_delay_alu instid0(VALU_DEP_2)
	v_fma_f64 v[43:44], v[39:40], v[43:44], s[22:23]
	s_mov_b32 s22, 0x16291751
	s_mov_b32 s23, 0x3fcc71c0
	s_delay_alu instid0(VALU_DEP_1) | instid1(SALU_CYCLE_1)
	v_fma_f64 v[43:44], v[39:40], v[43:44], s[22:23]
	s_mov_b32 s22, 0x9b27acf1
	s_mov_b32 s23, 0x3fd24924
	s_delay_alu instid0(VALU_DEP_1) | instid1(SALU_CYCLE_1)
	;; [unrolled: 4-line block ×3, first 2 shown]
	v_fma_f64 v[43:44], v[39:40], v[43:44], s[22:23]
	s_delay_alu instid0(VALU_DEP_1) | instskip(SKIP_3) | instid1(VALU_DEP_4)
	v_fma_f64 v[39:40], v[39:40], v[43:44], s[0:1]
	v_ldexp_f64 v[43:44], v[37:38], 1
	v_add_f64 v[37:38], v[37:38], -v[41:42]
	v_cmp_eq_f64_e64 s0, 0x7ff00000, v[9:10]
	v_mul_f64 v[39:40], v[45:46], v[39:40]
	v_cvt_f64_i32_e32 v[45:46], v0
	s_delay_alu instid0(VALU_DEP_4) | instskip(NEXT) | instid1(VALU_DEP_3)
	v_add_f64 v[35:36], v[35:36], -v[37:38]
	v_add_f64 v[41:42], v[43:44], v[39:40]
	s_delay_alu instid0(VALU_DEP_3) | instskip(NEXT) | instid1(VALU_DEP_3)
	v_mul_f64 v[47:48], v[45:46], s[18:19]
	v_ldexp_f64 v[35:36], v[35:36], 1
	s_delay_alu instid0(VALU_DEP_3) | instskip(NEXT) | instid1(VALU_DEP_3)
	v_add_f64 v[37:38], v[41:42], -v[43:44]
	v_fma_f64 v[43:44], v[45:46], s[18:19], -v[47:48]
	s_delay_alu instid0(VALU_DEP_2) | instskip(NEXT) | instid1(VALU_DEP_2)
	v_add_f64 v[37:38], v[39:40], -v[37:38]
	v_fma_f64 v[39:40], v[45:46], s[20:21], v[43:44]
	s_delay_alu instid0(VALU_DEP_2) | instskip(NEXT) | instid1(VALU_DEP_2)
	v_add_f64 v[35:36], v[35:36], v[37:38]
	v_add_f64 v[37:38], v[47:48], v[39:40]
	s_delay_alu instid0(VALU_DEP_2) | instskip(NEXT) | instid1(VALU_DEP_2)
	v_add_f64 v[43:44], v[41:42], v[35:36]
	v_add_f64 v[47:48], v[37:38], -v[47:48]
	s_delay_alu instid0(VALU_DEP_2) | instskip(SKIP_1) | instid1(VALU_DEP_3)
	v_add_f64 v[45:46], v[37:38], v[43:44]
	v_add_f64 v[41:42], v[43:44], -v[41:42]
	v_add_f64 v[39:40], v[39:40], -v[47:48]
	s_delay_alu instid0(VALU_DEP_3) | instskip(NEXT) | instid1(VALU_DEP_3)
	v_add_f64 v[49:50], v[45:46], -v[37:38]
	v_add_f64 v[35:36], v[35:36], -v[41:42]
	s_delay_alu instid0(VALU_DEP_2) | instskip(SKIP_1) | instid1(VALU_DEP_3)
	v_add_f64 v[51:52], v[45:46], -v[49:50]
	v_add_f64 v[41:42], v[43:44], -v[49:50]
	v_add_f64 v[43:44], v[39:40], v[35:36]
	s_delay_alu instid0(VALU_DEP_3) | instskip(NEXT) | instid1(VALU_DEP_1)
	v_add_f64 v[37:38], v[37:38], -v[51:52]
	v_add_f64 v[37:38], v[41:42], v[37:38]
	s_delay_alu instid0(VALU_DEP_3) | instskip(NEXT) | instid1(VALU_DEP_2)
	v_add_f64 v[41:42], v[43:44], -v[39:40]
	v_add_f64 v[37:38], v[43:44], v[37:38]
	s_delay_alu instid0(VALU_DEP_2) | instskip(SKIP_1) | instid1(VALU_DEP_3)
	v_add_f64 v[43:44], v[43:44], -v[41:42]
	v_add_f64 v[35:36], v[35:36], -v[41:42]
	v_add_f64 v[47:48], v[45:46], v[37:38]
	s_delay_alu instid0(VALU_DEP_3) | instskip(NEXT) | instid1(VALU_DEP_2)
	v_add_f64 v[39:40], v[39:40], -v[43:44]
	v_add_f64 v[41:42], v[47:48], -v[45:46]
	s_delay_alu instid0(VALU_DEP_2) | instskip(NEXT) | instid1(VALU_DEP_2)
	v_add_f64 v[35:36], v[35:36], v[39:40]
	v_add_f64 v[37:38], v[37:38], -v[41:42]
	s_delay_alu instid0(VALU_DEP_1) | instskip(NEXT) | instid1(VALU_DEP_1)
	v_add_f64 v[35:36], v[35:36], v[37:38]
	v_add_f64 v[35:36], v[47:48], v[35:36]
	s_delay_alu instid0(VALU_DEP_1) | instskip(NEXT) | instid1(VALU_DEP_2)
	v_cndmask_b32_e64 v0, v35, v9, s0
	v_cndmask_b32_e64 v35, v36, v10, s0
	v_cmp_ngt_f64_e64 s0, -1.0, v[9:10]
	s_delay_alu instid0(VALU_DEP_1) | instskip(SKIP_1) | instid1(VALU_DEP_1)
	v_cndmask_b32_e64 v36, 0x7ff80000, v35, s0
	v_cmp_nge_f64_e64 s0, -1.0, v[9:10]
	v_cndmask_b32_e64 v35, 0, v0, s0
	v_cmp_neq_f64_e64 s0, -1.0, v[9:10]
	s_delay_alu instid0(VALU_DEP_1) | instskip(NEXT) | instid1(VALU_DEP_1)
	v_cndmask_b32_e64 v36, 0xfff00000, v36, s0
	v_add_f64 v[9:10], v[33:34], v[35:36]
.LBB26_130:
	s_or_b32 exec_lo, exec_lo, s17
	s_delay_alu instid0(VALU_DEP_1) | instskip(SKIP_1) | instid1(VALU_DEP_2)
	v_max_f64 v[33:34], v[9:10], v[9:10]
	v_cmp_u_f64_e64 s0, v[9:10], v[9:10]
	v_min_f64 v[35:36], v[33:34], v[57:58]
	v_max_f64 v[33:34], v[33:34], v[57:58]
	s_delay_alu instid0(VALU_DEP_2) | instskip(NEXT) | instid1(VALU_DEP_3)
	v_cndmask_b32_e64 v0, v35, v9, s0
	v_cndmask_b32_e64 v35, v36, v10, s0
	s_delay_alu instid0(VALU_DEP_3) | instskip(NEXT) | instid1(VALU_DEP_4)
	v_cndmask_b32_e64 v34, v34, v10, s0
	v_cndmask_b32_e64 v33, v33, v9, s0
	s_delay_alu instid0(VALU_DEP_3) | instskip(SKIP_1) | instid1(VALU_DEP_4)
	v_cndmask_b32_e64 v36, v35, v12, s29
	v_cndmask_b32_e64 v35, v0, v11, s29
	;; [unrolled: 1-line block ×3, first 2 shown]
	s_delay_alu instid0(VALU_DEP_4) | instskip(SKIP_1) | instid1(VALU_DEP_4)
	v_cndmask_b32_e64 v33, v33, v11, s29
	v_dual_mov_b32 v12, v10 :: v_dual_mov_b32 v11, v9
	v_cmp_class_f64_e64 s1, v[35:36], 0x1f8
	s_delay_alu instid0(VALU_DEP_3) | instskip(NEXT) | instid1(VALU_DEP_1)
	v_cmp_neq_f64_e64 s0, v[35:36], v[33:34]
	s_or_b32 s0, s0, s1
	s_delay_alu instid0(SALU_CYCLE_1)
	s_and_saveexec_b32 s17, s0
	s_cbranch_execz .LBB26_132
; %bb.131:
	v_add_f64 v[11:12], v[35:36], -v[33:34]
	s_mov_b32 s0, 0x652b82fe
	s_mov_b32 s1, 0x3ff71547
	;; [unrolled: 1-line block ×10, first 2 shown]
	s_delay_alu instid0(VALU_DEP_1) | instskip(SKIP_2) | instid1(VALU_DEP_1)
	v_mul_f64 v[35:36], v[11:12], s[0:1]
	s_mov_b32 s0, 0xfca7ab0c
	s_mov_b32 s1, 0x3e928af3
	v_rndne_f64_e32 v[35:36], v[35:36]
	s_delay_alu instid0(VALU_DEP_1) | instskip(SKIP_2) | instid1(VALU_DEP_2)
	v_fma_f64 v[37:38], v[35:36], s[18:19], v[11:12]
	v_cvt_i32_f64_e32 v0, v[35:36]
	s_mov_b32 s19, 0x3fe62e42
	v_fma_f64 v[37:38], v[35:36], s[20:21], v[37:38]
	s_mov_b32 s21, 0x3c7abc9e
	s_delay_alu instid0(VALU_DEP_1) | instskip(SKIP_4) | instid1(VALU_DEP_1)
	v_fma_f64 v[39:40], v[37:38], s[22:23], s[0:1]
	s_mov_b32 s0, 0x623fde64
	s_mov_b32 s1, 0x3ec71dee
	;; [unrolled: 1-line block ×4, first 2 shown]
	v_fma_f64 v[39:40], v[37:38], v[39:40], s[0:1]
	s_mov_b32 s0, 0x7c89e6b0
	s_mov_b32 s1, 0x3efa0199
	s_delay_alu instid0(VALU_DEP_1) | instid1(SALU_CYCLE_1)
	v_fma_f64 v[39:40], v[37:38], v[39:40], s[0:1]
	s_mov_b32 s0, 0x14761f6e
	s_mov_b32 s1, 0x3f2a01a0
	s_delay_alu instid0(VALU_DEP_1) | instid1(SALU_CYCLE_1)
	;; [unrolled: 4-line block ×7, first 2 shown]
	v_fma_f64 v[39:40], v[37:38], v[39:40], s[0:1]
	v_cmp_nlt_f64_e64 s0, 0x40900000, v[11:12]
	v_cmp_ngt_f64_e64 s1, 0xc090cc00, v[11:12]
	s_delay_alu instid0(VALU_DEP_3) | instskip(NEXT) | instid1(VALU_DEP_1)
	v_fma_f64 v[39:40], v[37:38], v[39:40], 1.0
	v_fma_f64 v[35:36], v[37:38], v[39:40], 1.0
	s_delay_alu instid0(VALU_DEP_1) | instskip(NEXT) | instid1(VALU_DEP_1)
	v_ldexp_f64 v[35:36], v[35:36], v0
	v_cndmask_b32_e64 v0, 0x7ff00000, v36, s0
	s_and_b32 s0, s1, s0
	s_delay_alu instid0(VALU_DEP_2) | instid1(SALU_CYCLE_1)
	v_cndmask_b32_e64 v11, 0, v35, s0
	s_mov_b32 s0, 0x55555555
	s_delay_alu instid0(VALU_DEP_2) | instskip(SKIP_1) | instid1(VALU_DEP_1)
	v_cndmask_b32_e64 v12, 0, v0, s1
	s_mov_b32 s1, 0x3fe55555
	v_add_f64 v[35:36], v[11:12], 1.0
	s_delay_alu instid0(VALU_DEP_1) | instskip(SKIP_2) | instid1(VALU_DEP_3)
	v_frexp_mant_f64_e32 v[37:38], v[35:36]
	v_frexp_exp_i32_f64_e32 v0, v[35:36]
	v_add_f64 v[39:40], v[35:36], -1.0
	v_cmp_gt_f64_e64 s0, s[0:1], v[37:38]
	s_delay_alu instid0(VALU_DEP_2) | instskip(SKIP_1) | instid1(VALU_DEP_3)
	v_add_f64 v[37:38], v[39:40], -v[35:36]
	v_add_f64 v[39:40], v[11:12], -v[39:40]
	v_subrev_co_ci_u32_e64 v0, s0, 0, v0, s0
	s_delay_alu instid0(VALU_DEP_3) | instskip(SKIP_1) | instid1(VALU_DEP_2)
	v_add_f64 v[37:38], v[37:38], 1.0
	s_mov_b32 s0, 0x55555780
	v_sub_nc_u32_e32 v43, 0, v0
	s_delay_alu instid0(VALU_DEP_1) | instskip(NEXT) | instid1(VALU_DEP_3)
	v_ldexp_f64 v[35:36], v[35:36], v43
	v_add_f64 v[37:38], v[39:40], v[37:38]
	s_delay_alu instid0(VALU_DEP_2) | instskip(SKIP_1) | instid1(VALU_DEP_3)
	v_add_f64 v[41:42], v[35:36], 1.0
	v_add_f64 v[47:48], v[35:36], -1.0
	v_ldexp_f64 v[37:38], v[37:38], v43
	s_delay_alu instid0(VALU_DEP_3) | instskip(NEXT) | instid1(VALU_DEP_3)
	v_add_f64 v[39:40], v[41:42], -1.0
	v_add_f64 v[49:50], v[47:48], 1.0
	s_delay_alu instid0(VALU_DEP_2) | instskip(NEXT) | instid1(VALU_DEP_2)
	v_add_f64 v[39:40], v[35:36], -v[39:40]
	v_add_f64 v[35:36], v[35:36], -v[49:50]
	s_delay_alu instid0(VALU_DEP_2) | instskip(NEXT) | instid1(VALU_DEP_2)
	v_add_f64 v[39:40], v[37:38], v[39:40]
	v_add_f64 v[35:36], v[37:38], v[35:36]
	s_delay_alu instid0(VALU_DEP_2) | instskip(NEXT) | instid1(VALU_DEP_2)
	v_add_f64 v[43:44], v[41:42], v[39:40]
	v_add_f64 v[49:50], v[47:48], v[35:36]
	s_delay_alu instid0(VALU_DEP_2) | instskip(SKIP_1) | instid1(VALU_DEP_2)
	v_rcp_f64_e32 v[45:46], v[43:44]
	v_add_f64 v[41:42], v[43:44], -v[41:42]
	v_add_f64 v[47:48], v[49:50], -v[47:48]
	s_delay_alu instid0(VALU_DEP_2) | instskip(SKIP_3) | instid1(VALU_DEP_2)
	v_add_f64 v[39:40], v[39:40], -v[41:42]
	s_waitcnt_depctr 0xfff
	v_fma_f64 v[51:52], -v[43:44], v[45:46], 1.0
	v_add_f64 v[35:36], v[35:36], -v[47:48]
	v_fma_f64 v[45:46], v[51:52], v[45:46], v[45:46]
	s_delay_alu instid0(VALU_DEP_1) | instskip(NEXT) | instid1(VALU_DEP_1)
	v_fma_f64 v[37:38], -v[43:44], v[45:46], 1.0
	v_fma_f64 v[37:38], v[37:38], v[45:46], v[45:46]
	s_delay_alu instid0(VALU_DEP_1) | instskip(NEXT) | instid1(VALU_DEP_1)
	v_mul_f64 v[45:46], v[49:50], v[37:38]
	v_mul_f64 v[51:52], v[43:44], v[45:46]
	s_delay_alu instid0(VALU_DEP_1) | instskip(NEXT) | instid1(VALU_DEP_1)
	v_fma_f64 v[41:42], v[45:46], v[43:44], -v[51:52]
	v_fma_f64 v[41:42], v[45:46], v[39:40], v[41:42]
	s_delay_alu instid0(VALU_DEP_1) | instskip(NEXT) | instid1(VALU_DEP_1)
	v_add_f64 v[53:54], v[51:52], v[41:42]
	v_add_f64 v[55:56], v[49:50], -v[53:54]
	v_add_f64 v[47:48], v[53:54], -v[51:52]
	s_delay_alu instid0(VALU_DEP_2) | instskip(NEXT) | instid1(VALU_DEP_2)
	v_add_f64 v[49:50], v[49:50], -v[55:56]
	v_add_f64 v[41:42], v[47:48], -v[41:42]
	s_delay_alu instid0(VALU_DEP_2) | instskip(NEXT) | instid1(VALU_DEP_1)
	v_add_f64 v[49:50], v[49:50], -v[53:54]
	v_add_f64 v[35:36], v[35:36], v[49:50]
	s_delay_alu instid0(VALU_DEP_1) | instskip(NEXT) | instid1(VALU_DEP_1)
	v_add_f64 v[35:36], v[41:42], v[35:36]
	v_add_f64 v[41:42], v[55:56], v[35:36]
	s_delay_alu instid0(VALU_DEP_1) | instskip(SKIP_1) | instid1(VALU_DEP_2)
	v_mul_f64 v[47:48], v[37:38], v[41:42]
	v_add_f64 v[53:54], v[55:56], -v[41:42]
	v_mul_f64 v[49:50], v[43:44], v[47:48]
	s_delay_alu instid0(VALU_DEP_2) | instskip(NEXT) | instid1(VALU_DEP_2)
	v_add_f64 v[35:36], v[35:36], v[53:54]
	v_fma_f64 v[43:44], v[47:48], v[43:44], -v[49:50]
	s_delay_alu instid0(VALU_DEP_1) | instskip(NEXT) | instid1(VALU_DEP_1)
	v_fma_f64 v[39:40], v[47:48], v[39:40], v[43:44]
	v_add_f64 v[43:44], v[49:50], v[39:40]
	s_delay_alu instid0(VALU_DEP_1) | instskip(SKIP_1) | instid1(VALU_DEP_2)
	v_add_f64 v[51:52], v[41:42], -v[43:44]
	v_add_f64 v[49:50], v[43:44], -v[49:50]
	;; [unrolled: 1-line block ×3, first 2 shown]
	s_delay_alu instid0(VALU_DEP_2) | instskip(NEXT) | instid1(VALU_DEP_2)
	v_add_f64 v[39:40], v[49:50], -v[39:40]
	v_add_f64 v[41:42], v[41:42], -v[43:44]
	s_delay_alu instid0(VALU_DEP_1) | instskip(SKIP_1) | instid1(VALU_DEP_2)
	v_add_f64 v[35:36], v[35:36], v[41:42]
	v_add_f64 v[41:42], v[45:46], v[47:48]
	;; [unrolled: 1-line block ×3, first 2 shown]
	s_delay_alu instid0(VALU_DEP_2) | instskip(NEXT) | instid1(VALU_DEP_2)
	v_add_f64 v[39:40], v[41:42], -v[45:46]
	v_add_f64 v[35:36], v[51:52], v[35:36]
	s_delay_alu instid0(VALU_DEP_2) | instskip(NEXT) | instid1(VALU_DEP_2)
	v_add_f64 v[39:40], v[47:48], -v[39:40]
	v_mul_f64 v[35:36], v[37:38], v[35:36]
	s_delay_alu instid0(VALU_DEP_1) | instskip(NEXT) | instid1(VALU_DEP_1)
	v_add_f64 v[35:36], v[39:40], v[35:36]
	v_add_f64 v[37:38], v[41:42], v[35:36]
	s_delay_alu instid0(VALU_DEP_1) | instskip(NEXT) | instid1(VALU_DEP_1)
	v_mul_f64 v[39:40], v[37:38], v[37:38]
	v_fma_f64 v[43:44], v[39:40], s[24:25], s[22:23]
	s_mov_b32 s22, 0xd7f4df2e
	s_mov_b32 s23, 0x3fc7474d
	v_mul_f64 v[45:46], v[37:38], v[39:40]
	s_delay_alu instid0(VALU_DEP_2)
	v_fma_f64 v[43:44], v[39:40], v[43:44], s[22:23]
	s_mov_b32 s22, 0x16291751
	s_mov_b32 s23, 0x3fcc71c0
	s_delay_alu instid0(VALU_DEP_1) | instid1(SALU_CYCLE_1)
	v_fma_f64 v[43:44], v[39:40], v[43:44], s[22:23]
	s_mov_b32 s22, 0x9b27acf1
	s_mov_b32 s23, 0x3fd24924
	s_delay_alu instid0(VALU_DEP_1) | instid1(SALU_CYCLE_1)
	;; [unrolled: 4-line block ×3, first 2 shown]
	v_fma_f64 v[43:44], v[39:40], v[43:44], s[22:23]
	s_delay_alu instid0(VALU_DEP_1) | instskip(SKIP_3) | instid1(VALU_DEP_4)
	v_fma_f64 v[39:40], v[39:40], v[43:44], s[0:1]
	v_ldexp_f64 v[43:44], v[37:38], 1
	v_add_f64 v[37:38], v[37:38], -v[41:42]
	v_cmp_eq_f64_e64 s0, 0x7ff00000, v[11:12]
	v_mul_f64 v[39:40], v[45:46], v[39:40]
	v_cvt_f64_i32_e32 v[45:46], v0
	s_delay_alu instid0(VALU_DEP_4) | instskip(NEXT) | instid1(VALU_DEP_3)
	v_add_f64 v[35:36], v[35:36], -v[37:38]
	v_add_f64 v[41:42], v[43:44], v[39:40]
	s_delay_alu instid0(VALU_DEP_3) | instskip(NEXT) | instid1(VALU_DEP_3)
	v_mul_f64 v[47:48], v[45:46], s[18:19]
	v_ldexp_f64 v[35:36], v[35:36], 1
	s_delay_alu instid0(VALU_DEP_3) | instskip(NEXT) | instid1(VALU_DEP_3)
	v_add_f64 v[37:38], v[41:42], -v[43:44]
	v_fma_f64 v[43:44], v[45:46], s[18:19], -v[47:48]
	s_delay_alu instid0(VALU_DEP_2) | instskip(NEXT) | instid1(VALU_DEP_2)
	v_add_f64 v[37:38], v[39:40], -v[37:38]
	v_fma_f64 v[39:40], v[45:46], s[20:21], v[43:44]
	s_delay_alu instid0(VALU_DEP_2) | instskip(NEXT) | instid1(VALU_DEP_2)
	v_add_f64 v[35:36], v[35:36], v[37:38]
	v_add_f64 v[37:38], v[47:48], v[39:40]
	s_delay_alu instid0(VALU_DEP_2) | instskip(NEXT) | instid1(VALU_DEP_2)
	v_add_f64 v[43:44], v[41:42], v[35:36]
	v_add_f64 v[47:48], v[37:38], -v[47:48]
	s_delay_alu instid0(VALU_DEP_2) | instskip(SKIP_1) | instid1(VALU_DEP_3)
	v_add_f64 v[45:46], v[37:38], v[43:44]
	v_add_f64 v[41:42], v[43:44], -v[41:42]
	v_add_f64 v[39:40], v[39:40], -v[47:48]
	s_delay_alu instid0(VALU_DEP_3) | instskip(NEXT) | instid1(VALU_DEP_3)
	v_add_f64 v[49:50], v[45:46], -v[37:38]
	v_add_f64 v[35:36], v[35:36], -v[41:42]
	s_delay_alu instid0(VALU_DEP_2) | instskip(SKIP_1) | instid1(VALU_DEP_3)
	v_add_f64 v[51:52], v[45:46], -v[49:50]
	v_add_f64 v[41:42], v[43:44], -v[49:50]
	v_add_f64 v[43:44], v[39:40], v[35:36]
	s_delay_alu instid0(VALU_DEP_3) | instskip(NEXT) | instid1(VALU_DEP_1)
	v_add_f64 v[37:38], v[37:38], -v[51:52]
	v_add_f64 v[37:38], v[41:42], v[37:38]
	s_delay_alu instid0(VALU_DEP_3) | instskip(NEXT) | instid1(VALU_DEP_2)
	v_add_f64 v[41:42], v[43:44], -v[39:40]
	v_add_f64 v[37:38], v[43:44], v[37:38]
	s_delay_alu instid0(VALU_DEP_2) | instskip(SKIP_1) | instid1(VALU_DEP_3)
	v_add_f64 v[43:44], v[43:44], -v[41:42]
	v_add_f64 v[35:36], v[35:36], -v[41:42]
	v_add_f64 v[47:48], v[45:46], v[37:38]
	s_delay_alu instid0(VALU_DEP_3) | instskip(NEXT) | instid1(VALU_DEP_2)
	v_add_f64 v[39:40], v[39:40], -v[43:44]
	v_add_f64 v[41:42], v[47:48], -v[45:46]
	s_delay_alu instid0(VALU_DEP_2) | instskip(NEXT) | instid1(VALU_DEP_2)
	v_add_f64 v[35:36], v[35:36], v[39:40]
	v_add_f64 v[37:38], v[37:38], -v[41:42]
	s_delay_alu instid0(VALU_DEP_1) | instskip(NEXT) | instid1(VALU_DEP_1)
	v_add_f64 v[35:36], v[35:36], v[37:38]
	v_add_f64 v[35:36], v[47:48], v[35:36]
	s_delay_alu instid0(VALU_DEP_1) | instskip(NEXT) | instid1(VALU_DEP_2)
	v_cndmask_b32_e64 v0, v35, v11, s0
	v_cndmask_b32_e64 v35, v36, v12, s0
	v_cmp_ngt_f64_e64 s0, -1.0, v[11:12]
	s_delay_alu instid0(VALU_DEP_1) | instskip(SKIP_1) | instid1(VALU_DEP_1)
	v_cndmask_b32_e64 v36, 0x7ff80000, v35, s0
	v_cmp_nge_f64_e64 s0, -1.0, v[11:12]
	v_cndmask_b32_e64 v35, 0, v0, s0
	v_cmp_neq_f64_e64 s0, -1.0, v[11:12]
	s_delay_alu instid0(VALU_DEP_1) | instskip(NEXT) | instid1(VALU_DEP_1)
	v_cndmask_b32_e64 v36, 0xfff00000, v36, s0
	v_add_f64 v[11:12], v[33:34], v[35:36]
.LBB26_132:
	s_or_b32 exec_lo, exec_lo, s17
	s_delay_alu instid0(VALU_DEP_1) | instskip(SKIP_1) | instid1(VALU_DEP_2)
	v_max_f64 v[33:34], v[11:12], v[11:12]
	v_cmp_u_f64_e64 s0, v[11:12], v[11:12]
	v_min_f64 v[35:36], v[33:34], v[59:60]
	v_max_f64 v[33:34], v[33:34], v[59:60]
	s_delay_alu instid0(VALU_DEP_2) | instskip(NEXT) | instid1(VALU_DEP_3)
	v_cndmask_b32_e64 v0, v35, v11, s0
	v_cndmask_b32_e64 v35, v36, v12, s0
	s_delay_alu instid0(VALU_DEP_3) | instskip(NEXT) | instid1(VALU_DEP_4)
	v_cndmask_b32_e64 v34, v34, v12, s0
	v_cndmask_b32_e64 v33, v33, v11, s0
	s_delay_alu instid0(VALU_DEP_3) | instskip(SKIP_1) | instid1(VALU_DEP_4)
	v_cndmask_b32_e64 v36, v35, v6, s30
	v_cndmask_b32_e64 v35, v0, v5, s30
	;; [unrolled: 1-line block ×3, first 2 shown]
	s_delay_alu instid0(VALU_DEP_4) | instskip(SKIP_1) | instid1(VALU_DEP_4)
	v_cndmask_b32_e64 v33, v33, v5, s30
	v_dual_mov_b32 v5, v11 :: v_dual_mov_b32 v6, v12
	v_cmp_class_f64_e64 s1, v[35:36], 0x1f8
	s_delay_alu instid0(VALU_DEP_3) | instskip(NEXT) | instid1(VALU_DEP_1)
	v_cmp_neq_f64_e64 s0, v[35:36], v[33:34]
	s_or_b32 s0, s0, s1
	s_delay_alu instid0(SALU_CYCLE_1)
	s_and_saveexec_b32 s17, s0
	s_cbranch_execz .LBB26_134
; %bb.133:
	v_add_f64 v[5:6], v[35:36], -v[33:34]
	s_mov_b32 s0, 0x652b82fe
	s_mov_b32 s1, 0x3ff71547
	;; [unrolled: 1-line block ×10, first 2 shown]
	s_delay_alu instid0(VALU_DEP_1) | instskip(SKIP_2) | instid1(VALU_DEP_1)
	v_mul_f64 v[35:36], v[5:6], s[0:1]
	s_mov_b32 s0, 0xfca7ab0c
	s_mov_b32 s1, 0x3e928af3
	v_rndne_f64_e32 v[35:36], v[35:36]
	s_delay_alu instid0(VALU_DEP_1) | instskip(SKIP_2) | instid1(VALU_DEP_2)
	v_fma_f64 v[37:38], v[35:36], s[18:19], v[5:6]
	v_cvt_i32_f64_e32 v0, v[35:36]
	s_mov_b32 s19, 0x3fe62e42
	v_fma_f64 v[37:38], v[35:36], s[20:21], v[37:38]
	s_mov_b32 s21, 0x3c7abc9e
	s_delay_alu instid0(VALU_DEP_1) | instskip(SKIP_4) | instid1(VALU_DEP_1)
	v_fma_f64 v[39:40], v[37:38], s[22:23], s[0:1]
	s_mov_b32 s0, 0x623fde64
	s_mov_b32 s1, 0x3ec71dee
	;; [unrolled: 1-line block ×4, first 2 shown]
	v_fma_f64 v[39:40], v[37:38], v[39:40], s[0:1]
	s_mov_b32 s0, 0x7c89e6b0
	s_mov_b32 s1, 0x3efa0199
	s_delay_alu instid0(VALU_DEP_1) | instid1(SALU_CYCLE_1)
	v_fma_f64 v[39:40], v[37:38], v[39:40], s[0:1]
	s_mov_b32 s0, 0x14761f6e
	s_mov_b32 s1, 0x3f2a01a0
	s_delay_alu instid0(VALU_DEP_1) | instid1(SALU_CYCLE_1)
	;; [unrolled: 4-line block ×7, first 2 shown]
	v_fma_f64 v[39:40], v[37:38], v[39:40], s[0:1]
	v_cmp_nlt_f64_e64 s0, 0x40900000, v[5:6]
	v_cmp_ngt_f64_e64 s1, 0xc090cc00, v[5:6]
	s_delay_alu instid0(VALU_DEP_3) | instskip(NEXT) | instid1(VALU_DEP_1)
	v_fma_f64 v[39:40], v[37:38], v[39:40], 1.0
	v_fma_f64 v[35:36], v[37:38], v[39:40], 1.0
	s_delay_alu instid0(VALU_DEP_1) | instskip(NEXT) | instid1(VALU_DEP_1)
	v_ldexp_f64 v[35:36], v[35:36], v0
	v_cndmask_b32_e64 v0, 0x7ff00000, v36, s0
	s_and_b32 s0, s1, s0
	s_delay_alu instid0(VALU_DEP_2) | instid1(SALU_CYCLE_1)
	v_cndmask_b32_e64 v5, 0, v35, s0
	s_mov_b32 s0, 0x55555555
	s_delay_alu instid0(VALU_DEP_2) | instskip(SKIP_1) | instid1(VALU_DEP_1)
	v_cndmask_b32_e64 v6, 0, v0, s1
	s_mov_b32 s1, 0x3fe55555
	v_add_f64 v[35:36], v[5:6], 1.0
	s_delay_alu instid0(VALU_DEP_1) | instskip(SKIP_2) | instid1(VALU_DEP_3)
	v_frexp_mant_f64_e32 v[37:38], v[35:36]
	v_frexp_exp_i32_f64_e32 v0, v[35:36]
	v_add_f64 v[39:40], v[35:36], -1.0
	v_cmp_gt_f64_e64 s0, s[0:1], v[37:38]
	s_delay_alu instid0(VALU_DEP_2) | instskip(SKIP_1) | instid1(VALU_DEP_3)
	v_add_f64 v[37:38], v[39:40], -v[35:36]
	v_add_f64 v[39:40], v[5:6], -v[39:40]
	v_subrev_co_ci_u32_e64 v0, s0, 0, v0, s0
	s_delay_alu instid0(VALU_DEP_3) | instskip(SKIP_1) | instid1(VALU_DEP_2)
	v_add_f64 v[37:38], v[37:38], 1.0
	s_mov_b32 s0, 0x55555780
	v_sub_nc_u32_e32 v43, 0, v0
	s_delay_alu instid0(VALU_DEP_1) | instskip(NEXT) | instid1(VALU_DEP_3)
	v_ldexp_f64 v[35:36], v[35:36], v43
	v_add_f64 v[37:38], v[39:40], v[37:38]
	s_delay_alu instid0(VALU_DEP_2) | instskip(SKIP_1) | instid1(VALU_DEP_3)
	v_add_f64 v[41:42], v[35:36], 1.0
	v_add_f64 v[47:48], v[35:36], -1.0
	v_ldexp_f64 v[37:38], v[37:38], v43
	s_delay_alu instid0(VALU_DEP_3) | instskip(NEXT) | instid1(VALU_DEP_3)
	v_add_f64 v[39:40], v[41:42], -1.0
	v_add_f64 v[49:50], v[47:48], 1.0
	s_delay_alu instid0(VALU_DEP_2) | instskip(NEXT) | instid1(VALU_DEP_2)
	v_add_f64 v[39:40], v[35:36], -v[39:40]
	v_add_f64 v[35:36], v[35:36], -v[49:50]
	s_delay_alu instid0(VALU_DEP_2) | instskip(NEXT) | instid1(VALU_DEP_2)
	v_add_f64 v[39:40], v[37:38], v[39:40]
	v_add_f64 v[35:36], v[37:38], v[35:36]
	s_delay_alu instid0(VALU_DEP_2) | instskip(NEXT) | instid1(VALU_DEP_2)
	v_add_f64 v[43:44], v[41:42], v[39:40]
	v_add_f64 v[49:50], v[47:48], v[35:36]
	s_delay_alu instid0(VALU_DEP_2) | instskip(SKIP_1) | instid1(VALU_DEP_2)
	v_rcp_f64_e32 v[45:46], v[43:44]
	v_add_f64 v[41:42], v[43:44], -v[41:42]
	v_add_f64 v[47:48], v[49:50], -v[47:48]
	s_delay_alu instid0(VALU_DEP_2) | instskip(SKIP_3) | instid1(VALU_DEP_2)
	v_add_f64 v[39:40], v[39:40], -v[41:42]
	s_waitcnt_depctr 0xfff
	v_fma_f64 v[51:52], -v[43:44], v[45:46], 1.0
	v_add_f64 v[35:36], v[35:36], -v[47:48]
	v_fma_f64 v[45:46], v[51:52], v[45:46], v[45:46]
	s_delay_alu instid0(VALU_DEP_1) | instskip(NEXT) | instid1(VALU_DEP_1)
	v_fma_f64 v[37:38], -v[43:44], v[45:46], 1.0
	v_fma_f64 v[37:38], v[37:38], v[45:46], v[45:46]
	s_delay_alu instid0(VALU_DEP_1) | instskip(NEXT) | instid1(VALU_DEP_1)
	v_mul_f64 v[45:46], v[49:50], v[37:38]
	v_mul_f64 v[51:52], v[43:44], v[45:46]
	s_delay_alu instid0(VALU_DEP_1) | instskip(NEXT) | instid1(VALU_DEP_1)
	v_fma_f64 v[41:42], v[45:46], v[43:44], -v[51:52]
	v_fma_f64 v[41:42], v[45:46], v[39:40], v[41:42]
	s_delay_alu instid0(VALU_DEP_1) | instskip(NEXT) | instid1(VALU_DEP_1)
	v_add_f64 v[53:54], v[51:52], v[41:42]
	v_add_f64 v[55:56], v[49:50], -v[53:54]
	v_add_f64 v[47:48], v[53:54], -v[51:52]
	s_delay_alu instid0(VALU_DEP_2) | instskip(NEXT) | instid1(VALU_DEP_2)
	v_add_f64 v[49:50], v[49:50], -v[55:56]
	v_add_f64 v[41:42], v[47:48], -v[41:42]
	s_delay_alu instid0(VALU_DEP_2) | instskip(NEXT) | instid1(VALU_DEP_1)
	v_add_f64 v[49:50], v[49:50], -v[53:54]
	v_add_f64 v[35:36], v[35:36], v[49:50]
	s_delay_alu instid0(VALU_DEP_1) | instskip(NEXT) | instid1(VALU_DEP_1)
	v_add_f64 v[35:36], v[41:42], v[35:36]
	v_add_f64 v[41:42], v[55:56], v[35:36]
	s_delay_alu instid0(VALU_DEP_1) | instskip(SKIP_1) | instid1(VALU_DEP_2)
	v_mul_f64 v[47:48], v[37:38], v[41:42]
	v_add_f64 v[53:54], v[55:56], -v[41:42]
	v_mul_f64 v[49:50], v[43:44], v[47:48]
	s_delay_alu instid0(VALU_DEP_2) | instskip(NEXT) | instid1(VALU_DEP_2)
	v_add_f64 v[35:36], v[35:36], v[53:54]
	v_fma_f64 v[43:44], v[47:48], v[43:44], -v[49:50]
	s_delay_alu instid0(VALU_DEP_1) | instskip(NEXT) | instid1(VALU_DEP_1)
	v_fma_f64 v[39:40], v[47:48], v[39:40], v[43:44]
	v_add_f64 v[43:44], v[49:50], v[39:40]
	s_delay_alu instid0(VALU_DEP_1) | instskip(SKIP_1) | instid1(VALU_DEP_2)
	v_add_f64 v[51:52], v[41:42], -v[43:44]
	v_add_f64 v[49:50], v[43:44], -v[49:50]
	v_add_f64 v[41:42], v[41:42], -v[51:52]
	s_delay_alu instid0(VALU_DEP_2) | instskip(NEXT) | instid1(VALU_DEP_2)
	v_add_f64 v[39:40], v[49:50], -v[39:40]
	v_add_f64 v[41:42], v[41:42], -v[43:44]
	s_delay_alu instid0(VALU_DEP_1) | instskip(SKIP_1) | instid1(VALU_DEP_2)
	v_add_f64 v[35:36], v[35:36], v[41:42]
	v_add_f64 v[41:42], v[45:46], v[47:48]
	;; [unrolled: 1-line block ×3, first 2 shown]
	s_delay_alu instid0(VALU_DEP_2) | instskip(NEXT) | instid1(VALU_DEP_2)
	v_add_f64 v[39:40], v[41:42], -v[45:46]
	v_add_f64 v[35:36], v[51:52], v[35:36]
	s_delay_alu instid0(VALU_DEP_2) | instskip(NEXT) | instid1(VALU_DEP_2)
	v_add_f64 v[39:40], v[47:48], -v[39:40]
	v_mul_f64 v[35:36], v[37:38], v[35:36]
	s_delay_alu instid0(VALU_DEP_1) | instskip(NEXT) | instid1(VALU_DEP_1)
	v_add_f64 v[35:36], v[39:40], v[35:36]
	v_add_f64 v[37:38], v[41:42], v[35:36]
	s_delay_alu instid0(VALU_DEP_1) | instskip(NEXT) | instid1(VALU_DEP_1)
	v_mul_f64 v[39:40], v[37:38], v[37:38]
	v_fma_f64 v[43:44], v[39:40], s[24:25], s[22:23]
	s_mov_b32 s22, 0xd7f4df2e
	s_mov_b32 s23, 0x3fc7474d
	v_mul_f64 v[45:46], v[37:38], v[39:40]
	s_delay_alu instid0(VALU_DEP_2)
	v_fma_f64 v[43:44], v[39:40], v[43:44], s[22:23]
	s_mov_b32 s22, 0x16291751
	s_mov_b32 s23, 0x3fcc71c0
	s_delay_alu instid0(VALU_DEP_1) | instid1(SALU_CYCLE_1)
	v_fma_f64 v[43:44], v[39:40], v[43:44], s[22:23]
	s_mov_b32 s22, 0x9b27acf1
	s_mov_b32 s23, 0x3fd24924
	s_delay_alu instid0(VALU_DEP_1) | instid1(SALU_CYCLE_1)
	;; [unrolled: 4-line block ×3, first 2 shown]
	v_fma_f64 v[43:44], v[39:40], v[43:44], s[22:23]
	s_delay_alu instid0(VALU_DEP_1) | instskip(SKIP_3) | instid1(VALU_DEP_4)
	v_fma_f64 v[39:40], v[39:40], v[43:44], s[0:1]
	v_ldexp_f64 v[43:44], v[37:38], 1
	v_add_f64 v[37:38], v[37:38], -v[41:42]
	v_cmp_eq_f64_e64 s0, 0x7ff00000, v[5:6]
	v_mul_f64 v[39:40], v[45:46], v[39:40]
	v_cvt_f64_i32_e32 v[45:46], v0
	s_delay_alu instid0(VALU_DEP_4) | instskip(NEXT) | instid1(VALU_DEP_3)
	v_add_f64 v[35:36], v[35:36], -v[37:38]
	v_add_f64 v[41:42], v[43:44], v[39:40]
	s_delay_alu instid0(VALU_DEP_3) | instskip(NEXT) | instid1(VALU_DEP_3)
	v_mul_f64 v[47:48], v[45:46], s[18:19]
	v_ldexp_f64 v[35:36], v[35:36], 1
	s_delay_alu instid0(VALU_DEP_3) | instskip(NEXT) | instid1(VALU_DEP_3)
	v_add_f64 v[37:38], v[41:42], -v[43:44]
	v_fma_f64 v[43:44], v[45:46], s[18:19], -v[47:48]
	s_delay_alu instid0(VALU_DEP_2) | instskip(NEXT) | instid1(VALU_DEP_2)
	v_add_f64 v[37:38], v[39:40], -v[37:38]
	v_fma_f64 v[39:40], v[45:46], s[20:21], v[43:44]
	s_delay_alu instid0(VALU_DEP_2) | instskip(NEXT) | instid1(VALU_DEP_2)
	v_add_f64 v[35:36], v[35:36], v[37:38]
	v_add_f64 v[37:38], v[47:48], v[39:40]
	s_delay_alu instid0(VALU_DEP_2) | instskip(NEXT) | instid1(VALU_DEP_2)
	v_add_f64 v[43:44], v[41:42], v[35:36]
	v_add_f64 v[47:48], v[37:38], -v[47:48]
	s_delay_alu instid0(VALU_DEP_2) | instskip(SKIP_1) | instid1(VALU_DEP_3)
	v_add_f64 v[45:46], v[37:38], v[43:44]
	v_add_f64 v[41:42], v[43:44], -v[41:42]
	v_add_f64 v[39:40], v[39:40], -v[47:48]
	s_delay_alu instid0(VALU_DEP_3) | instskip(NEXT) | instid1(VALU_DEP_3)
	v_add_f64 v[49:50], v[45:46], -v[37:38]
	v_add_f64 v[35:36], v[35:36], -v[41:42]
	s_delay_alu instid0(VALU_DEP_2) | instskip(SKIP_1) | instid1(VALU_DEP_3)
	v_add_f64 v[51:52], v[45:46], -v[49:50]
	v_add_f64 v[41:42], v[43:44], -v[49:50]
	v_add_f64 v[43:44], v[39:40], v[35:36]
	s_delay_alu instid0(VALU_DEP_3) | instskip(NEXT) | instid1(VALU_DEP_1)
	v_add_f64 v[37:38], v[37:38], -v[51:52]
	v_add_f64 v[37:38], v[41:42], v[37:38]
	s_delay_alu instid0(VALU_DEP_3) | instskip(NEXT) | instid1(VALU_DEP_2)
	v_add_f64 v[41:42], v[43:44], -v[39:40]
	v_add_f64 v[37:38], v[43:44], v[37:38]
	s_delay_alu instid0(VALU_DEP_2) | instskip(SKIP_1) | instid1(VALU_DEP_3)
	v_add_f64 v[43:44], v[43:44], -v[41:42]
	v_add_f64 v[35:36], v[35:36], -v[41:42]
	v_add_f64 v[47:48], v[45:46], v[37:38]
	s_delay_alu instid0(VALU_DEP_3) | instskip(NEXT) | instid1(VALU_DEP_2)
	v_add_f64 v[39:40], v[39:40], -v[43:44]
	v_add_f64 v[41:42], v[47:48], -v[45:46]
	s_delay_alu instid0(VALU_DEP_2) | instskip(NEXT) | instid1(VALU_DEP_2)
	v_add_f64 v[35:36], v[35:36], v[39:40]
	v_add_f64 v[37:38], v[37:38], -v[41:42]
	s_delay_alu instid0(VALU_DEP_1) | instskip(NEXT) | instid1(VALU_DEP_1)
	v_add_f64 v[35:36], v[35:36], v[37:38]
	v_add_f64 v[35:36], v[47:48], v[35:36]
	s_delay_alu instid0(VALU_DEP_1) | instskip(NEXT) | instid1(VALU_DEP_2)
	v_cndmask_b32_e64 v0, v35, v5, s0
	v_cndmask_b32_e64 v35, v36, v6, s0
	v_cmp_ngt_f64_e64 s0, -1.0, v[5:6]
	s_delay_alu instid0(VALU_DEP_1) | instskip(SKIP_1) | instid1(VALU_DEP_1)
	v_cndmask_b32_e64 v36, 0x7ff80000, v35, s0
	v_cmp_nge_f64_e64 s0, -1.0, v[5:6]
	v_cndmask_b32_e64 v35, 0, v0, s0
	v_cmp_neq_f64_e64 s0, -1.0, v[5:6]
	s_delay_alu instid0(VALU_DEP_1) | instskip(NEXT) | instid1(VALU_DEP_1)
	v_cndmask_b32_e64 v36, 0xfff00000, v36, s0
	v_add_f64 v[5:6], v[33:34], v[35:36]
.LBB26_134:
	s_or_b32 exec_lo, exec_lo, s17
	s_delay_alu instid0(VALU_DEP_1) | instskip(SKIP_1) | instid1(VALU_DEP_2)
	v_max_f64 v[33:34], v[5:6], v[5:6]
	v_cmp_u_f64_e64 s0, v[5:6], v[5:6]
	v_min_f64 v[35:36], v[33:34], v[61:62]
	v_max_f64 v[33:34], v[33:34], v[61:62]
	s_delay_alu instid0(VALU_DEP_2) | instskip(NEXT) | instid1(VALU_DEP_3)
	v_cndmask_b32_e64 v0, v35, v5, s0
	v_cndmask_b32_e64 v35, v36, v6, s0
	s_delay_alu instid0(VALU_DEP_3) | instskip(NEXT) | instid1(VALU_DEP_4)
	v_cndmask_b32_e64 v34, v34, v6, s0
	v_cndmask_b32_e64 v33, v33, v5, s0
	s_delay_alu instid0(VALU_DEP_3) | instskip(SKIP_1) | instid1(VALU_DEP_4)
	v_cndmask_b32_e64 v36, v35, v8, s31
	v_cndmask_b32_e64 v35, v0, v7, s31
	;; [unrolled: 1-line block ×3, first 2 shown]
	s_delay_alu instid0(VALU_DEP_4) | instskip(SKIP_1) | instid1(VALU_DEP_4)
	v_cndmask_b32_e64 v7, v33, v7, s31
	v_dual_mov_b32 v34, v6 :: v_dual_mov_b32 v33, v5
	v_cmp_class_f64_e64 s1, v[35:36], 0x1f8
	s_delay_alu instid0(VALU_DEP_3) | instskip(NEXT) | instid1(VALU_DEP_1)
	v_cmp_neq_f64_e64 s0, v[35:36], v[7:8]
	s_or_b32 s0, s0, s1
	s_delay_alu instid0(SALU_CYCLE_1)
	s_and_saveexec_b32 s17, s0
	s_cbranch_execz .LBB26_136
; %bb.135:
	v_add_f64 v[33:34], v[35:36], -v[7:8]
	s_mov_b32 s0, 0x652b82fe
	s_mov_b32 s1, 0x3ff71547
	;; [unrolled: 1-line block ×10, first 2 shown]
	s_delay_alu instid0(VALU_DEP_1) | instskip(SKIP_2) | instid1(VALU_DEP_1)
	v_mul_f64 v[35:36], v[33:34], s[0:1]
	s_mov_b32 s0, 0xfca7ab0c
	s_mov_b32 s1, 0x3e928af3
	v_rndne_f64_e32 v[35:36], v[35:36]
	s_delay_alu instid0(VALU_DEP_1) | instskip(SKIP_2) | instid1(VALU_DEP_2)
	v_fma_f64 v[37:38], v[35:36], s[18:19], v[33:34]
	v_cvt_i32_f64_e32 v0, v[35:36]
	s_mov_b32 s19, 0x3fe62e42
	v_fma_f64 v[37:38], v[35:36], s[20:21], v[37:38]
	s_mov_b32 s21, 0x3c7abc9e
	s_delay_alu instid0(VALU_DEP_1) | instskip(SKIP_4) | instid1(VALU_DEP_1)
	v_fma_f64 v[39:40], v[37:38], s[22:23], s[0:1]
	s_mov_b32 s0, 0x623fde64
	s_mov_b32 s1, 0x3ec71dee
	;; [unrolled: 1-line block ×4, first 2 shown]
	v_fma_f64 v[39:40], v[37:38], v[39:40], s[0:1]
	s_mov_b32 s0, 0x7c89e6b0
	s_mov_b32 s1, 0x3efa0199
	s_delay_alu instid0(VALU_DEP_1) | instid1(SALU_CYCLE_1)
	v_fma_f64 v[39:40], v[37:38], v[39:40], s[0:1]
	s_mov_b32 s0, 0x14761f6e
	s_mov_b32 s1, 0x3f2a01a0
	s_delay_alu instid0(VALU_DEP_1) | instid1(SALU_CYCLE_1)
	;; [unrolled: 4-line block ×7, first 2 shown]
	v_fma_f64 v[39:40], v[37:38], v[39:40], s[0:1]
	v_cmp_nlt_f64_e64 s0, 0x40900000, v[33:34]
	v_cmp_ngt_f64_e64 s1, 0xc090cc00, v[33:34]
	s_delay_alu instid0(VALU_DEP_3) | instskip(NEXT) | instid1(VALU_DEP_1)
	v_fma_f64 v[39:40], v[37:38], v[39:40], 1.0
	v_fma_f64 v[35:36], v[37:38], v[39:40], 1.0
	s_delay_alu instid0(VALU_DEP_1) | instskip(NEXT) | instid1(VALU_DEP_1)
	v_ldexp_f64 v[35:36], v[35:36], v0
	v_cndmask_b32_e64 v0, 0x7ff00000, v36, s0
	s_and_b32 s0, s1, s0
	s_delay_alu instid0(VALU_DEP_2) | instid1(SALU_CYCLE_1)
	v_cndmask_b32_e64 v33, 0, v35, s0
	s_mov_b32 s0, 0x55555555
	s_delay_alu instid0(VALU_DEP_2) | instskip(SKIP_1) | instid1(VALU_DEP_1)
	v_cndmask_b32_e64 v34, 0, v0, s1
	s_mov_b32 s1, 0x3fe55555
	v_add_f64 v[35:36], v[33:34], 1.0
	s_delay_alu instid0(VALU_DEP_1) | instskip(SKIP_2) | instid1(VALU_DEP_3)
	v_frexp_mant_f64_e32 v[37:38], v[35:36]
	v_frexp_exp_i32_f64_e32 v0, v[35:36]
	v_add_f64 v[39:40], v[35:36], -1.0
	v_cmp_gt_f64_e64 s0, s[0:1], v[37:38]
	s_delay_alu instid0(VALU_DEP_2) | instskip(SKIP_1) | instid1(VALU_DEP_3)
	v_add_f64 v[37:38], v[39:40], -v[35:36]
	v_add_f64 v[39:40], v[33:34], -v[39:40]
	v_subrev_co_ci_u32_e64 v0, s0, 0, v0, s0
	s_delay_alu instid0(VALU_DEP_3) | instskip(SKIP_1) | instid1(VALU_DEP_2)
	v_add_f64 v[37:38], v[37:38], 1.0
	s_mov_b32 s0, 0x55555780
	v_sub_nc_u32_e32 v43, 0, v0
	s_delay_alu instid0(VALU_DEP_1) | instskip(NEXT) | instid1(VALU_DEP_3)
	v_ldexp_f64 v[35:36], v[35:36], v43
	v_add_f64 v[37:38], v[39:40], v[37:38]
	s_delay_alu instid0(VALU_DEP_2) | instskip(SKIP_1) | instid1(VALU_DEP_3)
	v_add_f64 v[41:42], v[35:36], 1.0
	v_add_f64 v[47:48], v[35:36], -1.0
	v_ldexp_f64 v[37:38], v[37:38], v43
	s_delay_alu instid0(VALU_DEP_3) | instskip(NEXT) | instid1(VALU_DEP_3)
	v_add_f64 v[39:40], v[41:42], -1.0
	v_add_f64 v[49:50], v[47:48], 1.0
	s_delay_alu instid0(VALU_DEP_2) | instskip(NEXT) | instid1(VALU_DEP_2)
	v_add_f64 v[39:40], v[35:36], -v[39:40]
	v_add_f64 v[35:36], v[35:36], -v[49:50]
	s_delay_alu instid0(VALU_DEP_2) | instskip(NEXT) | instid1(VALU_DEP_2)
	v_add_f64 v[39:40], v[37:38], v[39:40]
	v_add_f64 v[35:36], v[37:38], v[35:36]
	s_delay_alu instid0(VALU_DEP_2) | instskip(NEXT) | instid1(VALU_DEP_2)
	v_add_f64 v[43:44], v[41:42], v[39:40]
	v_add_f64 v[49:50], v[47:48], v[35:36]
	s_delay_alu instid0(VALU_DEP_2) | instskip(SKIP_1) | instid1(VALU_DEP_2)
	v_rcp_f64_e32 v[45:46], v[43:44]
	v_add_f64 v[41:42], v[43:44], -v[41:42]
	v_add_f64 v[47:48], v[49:50], -v[47:48]
	s_delay_alu instid0(VALU_DEP_2) | instskip(SKIP_3) | instid1(VALU_DEP_2)
	v_add_f64 v[39:40], v[39:40], -v[41:42]
	s_waitcnt_depctr 0xfff
	v_fma_f64 v[51:52], -v[43:44], v[45:46], 1.0
	v_add_f64 v[35:36], v[35:36], -v[47:48]
	v_fma_f64 v[45:46], v[51:52], v[45:46], v[45:46]
	s_delay_alu instid0(VALU_DEP_1) | instskip(NEXT) | instid1(VALU_DEP_1)
	v_fma_f64 v[37:38], -v[43:44], v[45:46], 1.0
	v_fma_f64 v[37:38], v[37:38], v[45:46], v[45:46]
	s_delay_alu instid0(VALU_DEP_1) | instskip(NEXT) | instid1(VALU_DEP_1)
	v_mul_f64 v[45:46], v[49:50], v[37:38]
	v_mul_f64 v[51:52], v[43:44], v[45:46]
	s_delay_alu instid0(VALU_DEP_1) | instskip(NEXT) | instid1(VALU_DEP_1)
	v_fma_f64 v[41:42], v[45:46], v[43:44], -v[51:52]
	v_fma_f64 v[41:42], v[45:46], v[39:40], v[41:42]
	s_delay_alu instid0(VALU_DEP_1) | instskip(NEXT) | instid1(VALU_DEP_1)
	v_add_f64 v[53:54], v[51:52], v[41:42]
	v_add_f64 v[55:56], v[49:50], -v[53:54]
	v_add_f64 v[47:48], v[53:54], -v[51:52]
	s_delay_alu instid0(VALU_DEP_2) | instskip(NEXT) | instid1(VALU_DEP_2)
	v_add_f64 v[49:50], v[49:50], -v[55:56]
	v_add_f64 v[41:42], v[47:48], -v[41:42]
	s_delay_alu instid0(VALU_DEP_2) | instskip(NEXT) | instid1(VALU_DEP_1)
	v_add_f64 v[49:50], v[49:50], -v[53:54]
	v_add_f64 v[35:36], v[35:36], v[49:50]
	s_delay_alu instid0(VALU_DEP_1) | instskip(NEXT) | instid1(VALU_DEP_1)
	v_add_f64 v[35:36], v[41:42], v[35:36]
	v_add_f64 v[41:42], v[55:56], v[35:36]
	s_delay_alu instid0(VALU_DEP_1) | instskip(SKIP_1) | instid1(VALU_DEP_2)
	v_mul_f64 v[47:48], v[37:38], v[41:42]
	v_add_f64 v[53:54], v[55:56], -v[41:42]
	v_mul_f64 v[49:50], v[43:44], v[47:48]
	s_delay_alu instid0(VALU_DEP_2) | instskip(NEXT) | instid1(VALU_DEP_2)
	v_add_f64 v[35:36], v[35:36], v[53:54]
	v_fma_f64 v[43:44], v[47:48], v[43:44], -v[49:50]
	s_delay_alu instid0(VALU_DEP_1) | instskip(NEXT) | instid1(VALU_DEP_1)
	v_fma_f64 v[39:40], v[47:48], v[39:40], v[43:44]
	v_add_f64 v[43:44], v[49:50], v[39:40]
	s_delay_alu instid0(VALU_DEP_1) | instskip(SKIP_1) | instid1(VALU_DEP_2)
	v_add_f64 v[51:52], v[41:42], -v[43:44]
	v_add_f64 v[49:50], v[43:44], -v[49:50]
	;; [unrolled: 1-line block ×3, first 2 shown]
	s_delay_alu instid0(VALU_DEP_2) | instskip(NEXT) | instid1(VALU_DEP_2)
	v_add_f64 v[39:40], v[49:50], -v[39:40]
	v_add_f64 v[41:42], v[41:42], -v[43:44]
	s_delay_alu instid0(VALU_DEP_1) | instskip(SKIP_1) | instid1(VALU_DEP_2)
	v_add_f64 v[35:36], v[35:36], v[41:42]
	v_add_f64 v[41:42], v[45:46], v[47:48]
	v_add_f64 v[35:36], v[39:40], v[35:36]
	s_delay_alu instid0(VALU_DEP_2) | instskip(NEXT) | instid1(VALU_DEP_2)
	v_add_f64 v[39:40], v[41:42], -v[45:46]
	v_add_f64 v[35:36], v[51:52], v[35:36]
	s_delay_alu instid0(VALU_DEP_2) | instskip(NEXT) | instid1(VALU_DEP_2)
	v_add_f64 v[39:40], v[47:48], -v[39:40]
	v_mul_f64 v[35:36], v[37:38], v[35:36]
	s_delay_alu instid0(VALU_DEP_1) | instskip(NEXT) | instid1(VALU_DEP_1)
	v_add_f64 v[35:36], v[39:40], v[35:36]
	v_add_f64 v[37:38], v[41:42], v[35:36]
	s_delay_alu instid0(VALU_DEP_1) | instskip(NEXT) | instid1(VALU_DEP_1)
	v_mul_f64 v[39:40], v[37:38], v[37:38]
	v_fma_f64 v[43:44], v[39:40], s[24:25], s[22:23]
	s_mov_b32 s22, 0xd7f4df2e
	s_mov_b32 s23, 0x3fc7474d
	v_mul_f64 v[45:46], v[37:38], v[39:40]
	s_delay_alu instid0(VALU_DEP_2)
	v_fma_f64 v[43:44], v[39:40], v[43:44], s[22:23]
	s_mov_b32 s22, 0x16291751
	s_mov_b32 s23, 0x3fcc71c0
	s_delay_alu instid0(VALU_DEP_1) | instid1(SALU_CYCLE_1)
	v_fma_f64 v[43:44], v[39:40], v[43:44], s[22:23]
	s_mov_b32 s22, 0x9b27acf1
	s_mov_b32 s23, 0x3fd24924
	s_delay_alu instid0(VALU_DEP_1) | instid1(SALU_CYCLE_1)
	;; [unrolled: 4-line block ×3, first 2 shown]
	v_fma_f64 v[43:44], v[39:40], v[43:44], s[22:23]
	s_delay_alu instid0(VALU_DEP_1) | instskip(SKIP_3) | instid1(VALU_DEP_4)
	v_fma_f64 v[39:40], v[39:40], v[43:44], s[0:1]
	v_ldexp_f64 v[43:44], v[37:38], 1
	v_add_f64 v[37:38], v[37:38], -v[41:42]
	v_cmp_eq_f64_e64 s0, 0x7ff00000, v[33:34]
	v_mul_f64 v[39:40], v[45:46], v[39:40]
	v_cvt_f64_i32_e32 v[45:46], v0
	s_delay_alu instid0(VALU_DEP_4) | instskip(NEXT) | instid1(VALU_DEP_3)
	v_add_f64 v[35:36], v[35:36], -v[37:38]
	v_add_f64 v[41:42], v[43:44], v[39:40]
	s_delay_alu instid0(VALU_DEP_3) | instskip(NEXT) | instid1(VALU_DEP_3)
	v_mul_f64 v[47:48], v[45:46], s[18:19]
	v_ldexp_f64 v[35:36], v[35:36], 1
	s_delay_alu instid0(VALU_DEP_3) | instskip(NEXT) | instid1(VALU_DEP_3)
	v_add_f64 v[37:38], v[41:42], -v[43:44]
	v_fma_f64 v[43:44], v[45:46], s[18:19], -v[47:48]
	s_delay_alu instid0(VALU_DEP_2) | instskip(NEXT) | instid1(VALU_DEP_2)
	v_add_f64 v[37:38], v[39:40], -v[37:38]
	v_fma_f64 v[39:40], v[45:46], s[20:21], v[43:44]
	s_delay_alu instid0(VALU_DEP_2) | instskip(NEXT) | instid1(VALU_DEP_2)
	v_add_f64 v[35:36], v[35:36], v[37:38]
	v_add_f64 v[37:38], v[47:48], v[39:40]
	s_delay_alu instid0(VALU_DEP_2) | instskip(NEXT) | instid1(VALU_DEP_2)
	v_add_f64 v[43:44], v[41:42], v[35:36]
	v_add_f64 v[47:48], v[37:38], -v[47:48]
	s_delay_alu instid0(VALU_DEP_2) | instskip(SKIP_1) | instid1(VALU_DEP_3)
	v_add_f64 v[45:46], v[37:38], v[43:44]
	v_add_f64 v[41:42], v[43:44], -v[41:42]
	v_add_f64 v[39:40], v[39:40], -v[47:48]
	s_delay_alu instid0(VALU_DEP_3) | instskip(NEXT) | instid1(VALU_DEP_3)
	v_add_f64 v[49:50], v[45:46], -v[37:38]
	v_add_f64 v[35:36], v[35:36], -v[41:42]
	s_delay_alu instid0(VALU_DEP_2) | instskip(SKIP_1) | instid1(VALU_DEP_3)
	v_add_f64 v[51:52], v[45:46], -v[49:50]
	v_add_f64 v[41:42], v[43:44], -v[49:50]
	v_add_f64 v[43:44], v[39:40], v[35:36]
	s_delay_alu instid0(VALU_DEP_3) | instskip(NEXT) | instid1(VALU_DEP_1)
	v_add_f64 v[37:38], v[37:38], -v[51:52]
	v_add_f64 v[37:38], v[41:42], v[37:38]
	s_delay_alu instid0(VALU_DEP_3) | instskip(NEXT) | instid1(VALU_DEP_2)
	v_add_f64 v[41:42], v[43:44], -v[39:40]
	v_add_f64 v[37:38], v[43:44], v[37:38]
	s_delay_alu instid0(VALU_DEP_2) | instskip(SKIP_1) | instid1(VALU_DEP_3)
	v_add_f64 v[43:44], v[43:44], -v[41:42]
	v_add_f64 v[35:36], v[35:36], -v[41:42]
	v_add_f64 v[47:48], v[45:46], v[37:38]
	s_delay_alu instid0(VALU_DEP_3) | instskip(NEXT) | instid1(VALU_DEP_2)
	v_add_f64 v[39:40], v[39:40], -v[43:44]
	v_add_f64 v[41:42], v[47:48], -v[45:46]
	s_delay_alu instid0(VALU_DEP_2) | instskip(NEXT) | instid1(VALU_DEP_2)
	v_add_f64 v[35:36], v[35:36], v[39:40]
	v_add_f64 v[37:38], v[37:38], -v[41:42]
	s_delay_alu instid0(VALU_DEP_1) | instskip(NEXT) | instid1(VALU_DEP_1)
	v_add_f64 v[35:36], v[35:36], v[37:38]
	v_add_f64 v[35:36], v[47:48], v[35:36]
	s_delay_alu instid0(VALU_DEP_1) | instskip(NEXT) | instid1(VALU_DEP_2)
	v_cndmask_b32_e64 v0, v35, v33, s0
	v_cndmask_b32_e64 v35, v36, v34, s0
	v_cmp_ngt_f64_e64 s0, -1.0, v[33:34]
	s_delay_alu instid0(VALU_DEP_1) | instskip(SKIP_1) | instid1(VALU_DEP_1)
	v_cndmask_b32_e64 v36, 0x7ff80000, v35, s0
	v_cmp_nge_f64_e64 s0, -1.0, v[33:34]
	v_cndmask_b32_e64 v35, 0, v0, s0
	v_cmp_neq_f64_e64 s0, -1.0, v[33:34]
	s_delay_alu instid0(VALU_DEP_1) | instskip(NEXT) | instid1(VALU_DEP_1)
	v_cndmask_b32_e64 v36, 0xfff00000, v36, s0
	v_add_f64 v[33:34], v[7:8], v[35:36]
.LBB26_136:
	s_or_b32 exec_lo, exec_lo, s17
	s_waitcnt lgkmcnt(0)
	s_barrier
	buffer_gl0_inv
	ds_store_2addr_b64 v94, v[1:2], v[3:4] offset1:1
	ds_store_2addr_b64 v94, v[29:30], v[31:32] offset0:2 offset1:3
	ds_store_2addr_b64 v94, v[25:26], v[27:28] offset0:4 offset1:5
	;; [unrolled: 1-line block ×7, first 2 shown]
	s_waitcnt lgkmcnt(0)
	s_barrier
	buffer_gl0_inv
	ds_load_b64 v[30:31], v79 offset:2048
	ds_load_b64 v[28:29], v80 offset:4096
	;; [unrolled: 1-line block ×15, first 2 shown]
	v_add_co_u32 v2, s0, s34, v77
	s_delay_alu instid0(VALU_DEP_1)
	v_add_co_ci_u32_e64 v3, null, s35, 0, s0
	s_and_saveexec_b32 s0, vcc_lo
	s_cbranch_execnz .LBB26_153
; %bb.137:
	s_or_b32 exec_lo, exec_lo, s0
	s_and_saveexec_b32 s0, s2
	s_cbranch_execnz .LBB26_154
.LBB26_138:
	s_or_b32 exec_lo, exec_lo, s0
	s_and_saveexec_b32 s0, s3
	s_cbranch_execnz .LBB26_155
.LBB26_139:
	s_or_b32 exec_lo, exec_lo, s0
	s_and_saveexec_b32 s0, s4
	s_cbranch_execnz .LBB26_156
.LBB26_140:
	s_or_b32 exec_lo, exec_lo, s0
	s_and_saveexec_b32 s0, s5
	s_cbranch_execnz .LBB26_157
.LBB26_141:
	s_or_b32 exec_lo, exec_lo, s0
	s_and_saveexec_b32 s0, s6
	s_cbranch_execnz .LBB26_158
.LBB26_142:
	s_or_b32 exec_lo, exec_lo, s0
	s_and_saveexec_b32 s0, s7
	s_cbranch_execnz .LBB26_159
.LBB26_143:
	s_or_b32 exec_lo, exec_lo, s0
	s_and_saveexec_b32 s0, s8
	s_cbranch_execnz .LBB26_160
.LBB26_144:
	s_or_b32 exec_lo, exec_lo, s0
	s_and_saveexec_b32 s0, s9
	s_cbranch_execnz .LBB26_161
.LBB26_145:
	s_or_b32 exec_lo, exec_lo, s0
	s_and_saveexec_b32 s0, s10
	s_cbranch_execnz .LBB26_162
.LBB26_146:
	s_or_b32 exec_lo, exec_lo, s0
	s_and_saveexec_b32 s0, s11
	s_cbranch_execnz .LBB26_163
.LBB26_147:
	s_or_b32 exec_lo, exec_lo, s0
	s_and_saveexec_b32 s0, s12
	s_cbranch_execnz .LBB26_164
.LBB26_148:
	s_or_b32 exec_lo, exec_lo, s0
	s_and_saveexec_b32 s0, s13
	s_cbranch_execnz .LBB26_165
.LBB26_149:
	s_or_b32 exec_lo, exec_lo, s0
	s_and_saveexec_b32 s0, s14
	s_cbranch_execnz .LBB26_166
.LBB26_150:
	s_or_b32 exec_lo, exec_lo, s0
	s_and_saveexec_b32 s0, s15
	s_cbranch_execnz .LBB26_167
.LBB26_151:
	s_or_b32 exec_lo, exec_lo, s0
	s_and_saveexec_b32 s0, s16
	s_cbranch_execnz .LBB26_168
.LBB26_152:
	s_nop 0
	s_sendmsg sendmsg(MSG_DEALLOC_VGPRS)
	s_endpgm
.LBB26_153:
	ds_load_b64 v[32:33], v78
	s_waitcnt lgkmcnt(0)
	global_store_b64 v[2:3], v[32:33], off
	s_or_b32 exec_lo, exec_lo, s0
	s_and_saveexec_b32 s0, s2
	s_cbranch_execz .LBB26_138
.LBB26_154:
	s_waitcnt lgkmcnt(14)
	global_store_b64 v[2:3], v[30:31], off offset:2048
	s_or_b32 exec_lo, exec_lo, s0
	s_and_saveexec_b32 s0, s3
	s_cbranch_execz .LBB26_139
.LBB26_155:
	s_waitcnt lgkmcnt(14)
	v_add_co_u32 v30, vcc_lo, 0x1000, v2
	v_add_co_ci_u32_e32 v31, vcc_lo, 0, v3, vcc_lo
	s_waitcnt lgkmcnt(13)
	global_store_b64 v[30:31], v[28:29], off
	s_or_b32 exec_lo, exec_lo, s0
	s_and_saveexec_b32 s0, s4
	s_cbranch_execz .LBB26_140
.LBB26_156:
	s_waitcnt lgkmcnt(13)
	v_add_co_u32 v28, vcc_lo, 0x1000, v2
	v_add_co_ci_u32_e32 v29, vcc_lo, 0, v3, vcc_lo
	s_waitcnt lgkmcnt(12)
	global_store_b64 v[28:29], v[26:27], off offset:2048
	s_or_b32 exec_lo, exec_lo, s0
	s_and_saveexec_b32 s0, s5
	s_cbranch_execz .LBB26_141
.LBB26_157:
	s_waitcnt lgkmcnt(12)
	v_add_co_u32 v26, vcc_lo, 0x2000, v2
	v_add_co_ci_u32_e32 v27, vcc_lo, 0, v3, vcc_lo
	s_waitcnt lgkmcnt(11)
	global_store_b64 v[26:27], v[24:25], off
	s_or_b32 exec_lo, exec_lo, s0
	s_and_saveexec_b32 s0, s6
	s_cbranch_execz .LBB26_142
.LBB26_158:
	s_waitcnt lgkmcnt(11)
	v_add_co_u32 v24, vcc_lo, 0x2000, v2
	v_add_co_ci_u32_e32 v25, vcc_lo, 0, v3, vcc_lo
	s_waitcnt lgkmcnt(10)
	global_store_b64 v[24:25], v[22:23], off offset:2048
	s_or_b32 exec_lo, exec_lo, s0
	s_and_saveexec_b32 s0, s7
	s_cbranch_execz .LBB26_143
.LBB26_159:
	s_waitcnt lgkmcnt(10)
	v_add_co_u32 v22, vcc_lo, 0x3000, v2
	v_add_co_ci_u32_e32 v23, vcc_lo, 0, v3, vcc_lo
	s_waitcnt lgkmcnt(9)
	global_store_b64 v[22:23], v[20:21], off
	s_or_b32 exec_lo, exec_lo, s0
	s_and_saveexec_b32 s0, s8
	s_cbranch_execz .LBB26_144
.LBB26_160:
	s_waitcnt lgkmcnt(9)
	v_add_co_u32 v20, vcc_lo, 0x3000, v2
	v_add_co_ci_u32_e32 v21, vcc_lo, 0, v3, vcc_lo
	s_waitcnt lgkmcnt(8)
	global_store_b64 v[20:21], v[18:19], off offset:2048
	s_or_b32 exec_lo, exec_lo, s0
	s_and_saveexec_b32 s0, s9
	s_cbranch_execz .LBB26_145
.LBB26_161:
	s_waitcnt lgkmcnt(8)
	v_add_co_u32 v18, vcc_lo, 0x4000, v2
	v_add_co_ci_u32_e32 v19, vcc_lo, 0, v3, vcc_lo
	s_waitcnt lgkmcnt(7)
	global_store_b64 v[18:19], v[16:17], off
	s_or_b32 exec_lo, exec_lo, s0
	s_and_saveexec_b32 s0, s10
	s_cbranch_execz .LBB26_146
.LBB26_162:
	s_waitcnt lgkmcnt(7)
	v_add_co_u32 v16, vcc_lo, 0x4000, v2
	v_add_co_ci_u32_e32 v17, vcc_lo, 0, v3, vcc_lo
	s_waitcnt lgkmcnt(6)
	global_store_b64 v[16:17], v[14:15], off offset:2048
	s_or_b32 exec_lo, exec_lo, s0
	s_and_saveexec_b32 s0, s11
	s_cbranch_execz .LBB26_147
.LBB26_163:
	s_waitcnt lgkmcnt(6)
	v_add_co_u32 v14, vcc_lo, 0x5000, v2
	v_add_co_ci_u32_e32 v15, vcc_lo, 0, v3, vcc_lo
	s_waitcnt lgkmcnt(5)
	global_store_b64 v[14:15], v[12:13], off
	s_or_b32 exec_lo, exec_lo, s0
	s_and_saveexec_b32 s0, s12
	s_cbranch_execz .LBB26_148
.LBB26_164:
	s_waitcnt lgkmcnt(5)
	v_add_co_u32 v12, vcc_lo, 0x5000, v2
	v_add_co_ci_u32_e32 v13, vcc_lo, 0, v3, vcc_lo
	s_waitcnt lgkmcnt(4)
	global_store_b64 v[12:13], v[10:11], off offset:2048
	s_or_b32 exec_lo, exec_lo, s0
	s_and_saveexec_b32 s0, s13
	s_cbranch_execz .LBB26_149
.LBB26_165:
	s_waitcnt lgkmcnt(4)
	v_add_co_u32 v10, vcc_lo, 0x6000, v2
	v_add_co_ci_u32_e32 v11, vcc_lo, 0, v3, vcc_lo
	s_waitcnt lgkmcnt(3)
	global_store_b64 v[10:11], v[8:9], off
	s_or_b32 exec_lo, exec_lo, s0
	s_and_saveexec_b32 s0, s14
	s_cbranch_execz .LBB26_150
.LBB26_166:
	s_waitcnt lgkmcnt(3)
	v_add_co_u32 v8, vcc_lo, 0x6000, v2
	v_add_co_ci_u32_e32 v9, vcc_lo, 0, v3, vcc_lo
	s_waitcnt lgkmcnt(2)
	global_store_b64 v[8:9], v[6:7], off offset:2048
	s_or_b32 exec_lo, exec_lo, s0
	s_and_saveexec_b32 s0, s15
	s_cbranch_execz .LBB26_151
.LBB26_167:
	s_waitcnt lgkmcnt(2)
	v_add_co_u32 v6, vcc_lo, 0x7000, v2
	v_add_co_ci_u32_e32 v7, vcc_lo, 0, v3, vcc_lo
	s_waitcnt lgkmcnt(1)
	global_store_b64 v[6:7], v[4:5], off
	s_or_b32 exec_lo, exec_lo, s0
	s_and_saveexec_b32 s0, s16
	s_cbranch_execz .LBB26_152
.LBB26_168:
	v_add_co_u32 v2, vcc_lo, 0x7000, v2
	v_add_co_ci_u32_e32 v3, vcc_lo, 0, v3, vcc_lo
	s_waitcnt lgkmcnt(0)
	global_store_b64 v[2:3], v[0:1], off offset:2048
	s_nop 0
	s_sendmsg sendmsg(MSG_DEALLOC_VGPRS)
	s_endpgm
	.section	.rodata,"a",@progbits
	.p2align	6, 0x0
	.amdhsa_kernel _ZN7rocprim17ROCPRIM_400000_NS6detail17trampoline_kernelINS0_14default_configENS1_20scan_config_selectorIdEEZZNS1_9scan_implILNS1_25lookback_scan_determinismE0ELb0ELb0ES3_PKdPddZZZN2at6native31launch_logcumsumexp_cuda_kernelERKNSB_10TensorBaseESF_lENKUlvE_clEvENKUlvE_clEvEUlddE_dEEDaPvRmT3_T4_T5_mT6_P12ihipStream_tbENKUlT_T0_E_clISt17integral_constantIbLb0EESW_EEDaSR_SS_EUlSR_E0_NS1_11comp_targetILNS1_3genE9ELNS1_11target_archE1100ELNS1_3gpuE3ELNS1_3repE0EEENS1_30default_config_static_selectorELNS0_4arch9wavefront6targetE0EEEvT1_
		.amdhsa_group_segment_fixed_size 33792
		.amdhsa_private_segment_fixed_size 0
		.amdhsa_kernarg_size 40
		.amdhsa_user_sgpr_count 15
		.amdhsa_user_sgpr_dispatch_ptr 0
		.amdhsa_user_sgpr_queue_ptr 0
		.amdhsa_user_sgpr_kernarg_segment_ptr 1
		.amdhsa_user_sgpr_dispatch_id 0
		.amdhsa_user_sgpr_private_segment_size 0
		.amdhsa_wavefront_size32 1
		.amdhsa_uses_dynamic_stack 0
		.amdhsa_enable_private_segment 0
		.amdhsa_system_sgpr_workgroup_id_x 1
		.amdhsa_system_sgpr_workgroup_id_y 0
		.amdhsa_system_sgpr_workgroup_id_z 0
		.amdhsa_system_sgpr_workgroup_info 0
		.amdhsa_system_vgpr_workitem_id 0
		.amdhsa_next_free_vgpr 119
		.amdhsa_next_free_sgpr 48
		.amdhsa_reserve_vcc 1
		.amdhsa_float_round_mode_32 0
		.amdhsa_float_round_mode_16_64 0
		.amdhsa_float_denorm_mode_32 3
		.amdhsa_float_denorm_mode_16_64 3
		.amdhsa_dx10_clamp 1
		.amdhsa_ieee_mode 1
		.amdhsa_fp16_overflow 0
		.amdhsa_workgroup_processor_mode 1
		.amdhsa_memory_ordered 1
		.amdhsa_forward_progress 0
		.amdhsa_shared_vgpr_count 0
		.amdhsa_exception_fp_ieee_invalid_op 0
		.amdhsa_exception_fp_denorm_src 0
		.amdhsa_exception_fp_ieee_div_zero 0
		.amdhsa_exception_fp_ieee_overflow 0
		.amdhsa_exception_fp_ieee_underflow 0
		.amdhsa_exception_fp_ieee_inexact 0
		.amdhsa_exception_int_div_zero 0
	.end_amdhsa_kernel
	.section	.text._ZN7rocprim17ROCPRIM_400000_NS6detail17trampoline_kernelINS0_14default_configENS1_20scan_config_selectorIdEEZZNS1_9scan_implILNS1_25lookback_scan_determinismE0ELb0ELb0ES3_PKdPddZZZN2at6native31launch_logcumsumexp_cuda_kernelERKNSB_10TensorBaseESF_lENKUlvE_clEvENKUlvE_clEvEUlddE_dEEDaPvRmT3_T4_T5_mT6_P12ihipStream_tbENKUlT_T0_E_clISt17integral_constantIbLb0EESW_EEDaSR_SS_EUlSR_E0_NS1_11comp_targetILNS1_3genE9ELNS1_11target_archE1100ELNS1_3gpuE3ELNS1_3repE0EEENS1_30default_config_static_selectorELNS0_4arch9wavefront6targetE0EEEvT1_,"axG",@progbits,_ZN7rocprim17ROCPRIM_400000_NS6detail17trampoline_kernelINS0_14default_configENS1_20scan_config_selectorIdEEZZNS1_9scan_implILNS1_25lookback_scan_determinismE0ELb0ELb0ES3_PKdPddZZZN2at6native31launch_logcumsumexp_cuda_kernelERKNSB_10TensorBaseESF_lENKUlvE_clEvENKUlvE_clEvEUlddE_dEEDaPvRmT3_T4_T5_mT6_P12ihipStream_tbENKUlT_T0_E_clISt17integral_constantIbLb0EESW_EEDaSR_SS_EUlSR_E0_NS1_11comp_targetILNS1_3genE9ELNS1_11target_archE1100ELNS1_3gpuE3ELNS1_3repE0EEENS1_30default_config_static_selectorELNS0_4arch9wavefront6targetE0EEEvT1_,comdat
.Lfunc_end26:
	.size	_ZN7rocprim17ROCPRIM_400000_NS6detail17trampoline_kernelINS0_14default_configENS1_20scan_config_selectorIdEEZZNS1_9scan_implILNS1_25lookback_scan_determinismE0ELb0ELb0ES3_PKdPddZZZN2at6native31launch_logcumsumexp_cuda_kernelERKNSB_10TensorBaseESF_lENKUlvE_clEvENKUlvE_clEvEUlddE_dEEDaPvRmT3_T4_T5_mT6_P12ihipStream_tbENKUlT_T0_E_clISt17integral_constantIbLb0EESW_EEDaSR_SS_EUlSR_E0_NS1_11comp_targetILNS1_3genE9ELNS1_11target_archE1100ELNS1_3gpuE3ELNS1_3repE0EEENS1_30default_config_static_selectorELNS0_4arch9wavefront6targetE0EEEvT1_, .Lfunc_end26-_ZN7rocprim17ROCPRIM_400000_NS6detail17trampoline_kernelINS0_14default_configENS1_20scan_config_selectorIdEEZZNS1_9scan_implILNS1_25lookback_scan_determinismE0ELb0ELb0ES3_PKdPddZZZN2at6native31launch_logcumsumexp_cuda_kernelERKNSB_10TensorBaseESF_lENKUlvE_clEvENKUlvE_clEvEUlddE_dEEDaPvRmT3_T4_T5_mT6_P12ihipStream_tbENKUlT_T0_E_clISt17integral_constantIbLb0EESW_EEDaSR_SS_EUlSR_E0_NS1_11comp_targetILNS1_3genE9ELNS1_11target_archE1100ELNS1_3gpuE3ELNS1_3repE0EEENS1_30default_config_static_selectorELNS0_4arch9wavefront6targetE0EEEvT1_
                                        ; -- End function
	.section	.AMDGPU.csdata,"",@progbits
; Kernel info:
; codeLenInByte = 80364
; NumSgprs: 50
; NumVgprs: 119
; ScratchSize: 0
; MemoryBound: 0
; FloatMode: 240
; IeeeMode: 1
; LDSByteSize: 33792 bytes/workgroup (compile time only)
; SGPRBlocks: 6
; VGPRBlocks: 14
; NumSGPRsForWavesPerEU: 50
; NumVGPRsForWavesPerEU: 119
; Occupancy: 6
; WaveLimiterHint : 0
; COMPUTE_PGM_RSRC2:SCRATCH_EN: 0
; COMPUTE_PGM_RSRC2:USER_SGPR: 15
; COMPUTE_PGM_RSRC2:TRAP_HANDLER: 0
; COMPUTE_PGM_RSRC2:TGID_X_EN: 1
; COMPUTE_PGM_RSRC2:TGID_Y_EN: 0
; COMPUTE_PGM_RSRC2:TGID_Z_EN: 0
; COMPUTE_PGM_RSRC2:TIDIG_COMP_CNT: 0
	.section	.text._ZN7rocprim17ROCPRIM_400000_NS6detail17trampoline_kernelINS0_14default_configENS1_20scan_config_selectorIdEEZZNS1_9scan_implILNS1_25lookback_scan_determinismE0ELb0ELb0ES3_PKdPddZZZN2at6native31launch_logcumsumexp_cuda_kernelERKNSB_10TensorBaseESF_lENKUlvE_clEvENKUlvE_clEvEUlddE_dEEDaPvRmT3_T4_T5_mT6_P12ihipStream_tbENKUlT_T0_E_clISt17integral_constantIbLb0EESW_EEDaSR_SS_EUlSR_E0_NS1_11comp_targetILNS1_3genE8ELNS1_11target_archE1030ELNS1_3gpuE2ELNS1_3repE0EEENS1_30default_config_static_selectorELNS0_4arch9wavefront6targetE0EEEvT1_,"axG",@progbits,_ZN7rocprim17ROCPRIM_400000_NS6detail17trampoline_kernelINS0_14default_configENS1_20scan_config_selectorIdEEZZNS1_9scan_implILNS1_25lookback_scan_determinismE0ELb0ELb0ES3_PKdPddZZZN2at6native31launch_logcumsumexp_cuda_kernelERKNSB_10TensorBaseESF_lENKUlvE_clEvENKUlvE_clEvEUlddE_dEEDaPvRmT3_T4_T5_mT6_P12ihipStream_tbENKUlT_T0_E_clISt17integral_constantIbLb0EESW_EEDaSR_SS_EUlSR_E0_NS1_11comp_targetILNS1_3genE8ELNS1_11target_archE1030ELNS1_3gpuE2ELNS1_3repE0EEENS1_30default_config_static_selectorELNS0_4arch9wavefront6targetE0EEEvT1_,comdat
	.globl	_ZN7rocprim17ROCPRIM_400000_NS6detail17trampoline_kernelINS0_14default_configENS1_20scan_config_selectorIdEEZZNS1_9scan_implILNS1_25lookback_scan_determinismE0ELb0ELb0ES3_PKdPddZZZN2at6native31launch_logcumsumexp_cuda_kernelERKNSB_10TensorBaseESF_lENKUlvE_clEvENKUlvE_clEvEUlddE_dEEDaPvRmT3_T4_T5_mT6_P12ihipStream_tbENKUlT_T0_E_clISt17integral_constantIbLb0EESW_EEDaSR_SS_EUlSR_E0_NS1_11comp_targetILNS1_3genE8ELNS1_11target_archE1030ELNS1_3gpuE2ELNS1_3repE0EEENS1_30default_config_static_selectorELNS0_4arch9wavefront6targetE0EEEvT1_ ; -- Begin function _ZN7rocprim17ROCPRIM_400000_NS6detail17trampoline_kernelINS0_14default_configENS1_20scan_config_selectorIdEEZZNS1_9scan_implILNS1_25lookback_scan_determinismE0ELb0ELb0ES3_PKdPddZZZN2at6native31launch_logcumsumexp_cuda_kernelERKNSB_10TensorBaseESF_lENKUlvE_clEvENKUlvE_clEvEUlddE_dEEDaPvRmT3_T4_T5_mT6_P12ihipStream_tbENKUlT_T0_E_clISt17integral_constantIbLb0EESW_EEDaSR_SS_EUlSR_E0_NS1_11comp_targetILNS1_3genE8ELNS1_11target_archE1030ELNS1_3gpuE2ELNS1_3repE0EEENS1_30default_config_static_selectorELNS0_4arch9wavefront6targetE0EEEvT1_
	.p2align	8
	.type	_ZN7rocprim17ROCPRIM_400000_NS6detail17trampoline_kernelINS0_14default_configENS1_20scan_config_selectorIdEEZZNS1_9scan_implILNS1_25lookback_scan_determinismE0ELb0ELb0ES3_PKdPddZZZN2at6native31launch_logcumsumexp_cuda_kernelERKNSB_10TensorBaseESF_lENKUlvE_clEvENKUlvE_clEvEUlddE_dEEDaPvRmT3_T4_T5_mT6_P12ihipStream_tbENKUlT_T0_E_clISt17integral_constantIbLb0EESW_EEDaSR_SS_EUlSR_E0_NS1_11comp_targetILNS1_3genE8ELNS1_11target_archE1030ELNS1_3gpuE2ELNS1_3repE0EEENS1_30default_config_static_selectorELNS0_4arch9wavefront6targetE0EEEvT1_,@function
_ZN7rocprim17ROCPRIM_400000_NS6detail17trampoline_kernelINS0_14default_configENS1_20scan_config_selectorIdEEZZNS1_9scan_implILNS1_25lookback_scan_determinismE0ELb0ELb0ES3_PKdPddZZZN2at6native31launch_logcumsumexp_cuda_kernelERKNSB_10TensorBaseESF_lENKUlvE_clEvENKUlvE_clEvEUlddE_dEEDaPvRmT3_T4_T5_mT6_P12ihipStream_tbENKUlT_T0_E_clISt17integral_constantIbLb0EESW_EEDaSR_SS_EUlSR_E0_NS1_11comp_targetILNS1_3genE8ELNS1_11target_archE1030ELNS1_3gpuE2ELNS1_3repE0EEENS1_30default_config_static_selectorELNS0_4arch9wavefront6targetE0EEEvT1_: ; @_ZN7rocprim17ROCPRIM_400000_NS6detail17trampoline_kernelINS0_14default_configENS1_20scan_config_selectorIdEEZZNS1_9scan_implILNS1_25lookback_scan_determinismE0ELb0ELb0ES3_PKdPddZZZN2at6native31launch_logcumsumexp_cuda_kernelERKNSB_10TensorBaseESF_lENKUlvE_clEvENKUlvE_clEvEUlddE_dEEDaPvRmT3_T4_T5_mT6_P12ihipStream_tbENKUlT_T0_E_clISt17integral_constantIbLb0EESW_EEDaSR_SS_EUlSR_E0_NS1_11comp_targetILNS1_3genE8ELNS1_11target_archE1030ELNS1_3gpuE2ELNS1_3repE0EEENS1_30default_config_static_selectorELNS0_4arch9wavefront6targetE0EEEvT1_
; %bb.0:
	.section	.rodata,"a",@progbits
	.p2align	6, 0x0
	.amdhsa_kernel _ZN7rocprim17ROCPRIM_400000_NS6detail17trampoline_kernelINS0_14default_configENS1_20scan_config_selectorIdEEZZNS1_9scan_implILNS1_25lookback_scan_determinismE0ELb0ELb0ES3_PKdPddZZZN2at6native31launch_logcumsumexp_cuda_kernelERKNSB_10TensorBaseESF_lENKUlvE_clEvENKUlvE_clEvEUlddE_dEEDaPvRmT3_T4_T5_mT6_P12ihipStream_tbENKUlT_T0_E_clISt17integral_constantIbLb0EESW_EEDaSR_SS_EUlSR_E0_NS1_11comp_targetILNS1_3genE8ELNS1_11target_archE1030ELNS1_3gpuE2ELNS1_3repE0EEENS1_30default_config_static_selectorELNS0_4arch9wavefront6targetE0EEEvT1_
		.amdhsa_group_segment_fixed_size 0
		.amdhsa_private_segment_fixed_size 0
		.amdhsa_kernarg_size 40
		.amdhsa_user_sgpr_count 15
		.amdhsa_user_sgpr_dispatch_ptr 0
		.amdhsa_user_sgpr_queue_ptr 0
		.amdhsa_user_sgpr_kernarg_segment_ptr 1
		.amdhsa_user_sgpr_dispatch_id 0
		.amdhsa_user_sgpr_private_segment_size 0
		.amdhsa_wavefront_size32 1
		.amdhsa_uses_dynamic_stack 0
		.amdhsa_enable_private_segment 0
		.amdhsa_system_sgpr_workgroup_id_x 1
		.amdhsa_system_sgpr_workgroup_id_y 0
		.amdhsa_system_sgpr_workgroup_id_z 0
		.amdhsa_system_sgpr_workgroup_info 0
		.amdhsa_system_vgpr_workitem_id 0
		.amdhsa_next_free_vgpr 1
		.amdhsa_next_free_sgpr 1
		.amdhsa_reserve_vcc 0
		.amdhsa_float_round_mode_32 0
		.amdhsa_float_round_mode_16_64 0
		.amdhsa_float_denorm_mode_32 3
		.amdhsa_float_denorm_mode_16_64 3
		.amdhsa_dx10_clamp 1
		.amdhsa_ieee_mode 1
		.amdhsa_fp16_overflow 0
		.amdhsa_workgroup_processor_mode 1
		.amdhsa_memory_ordered 1
		.amdhsa_forward_progress 0
		.amdhsa_shared_vgpr_count 0
		.amdhsa_exception_fp_ieee_invalid_op 0
		.amdhsa_exception_fp_denorm_src 0
		.amdhsa_exception_fp_ieee_div_zero 0
		.amdhsa_exception_fp_ieee_overflow 0
		.amdhsa_exception_fp_ieee_underflow 0
		.amdhsa_exception_fp_ieee_inexact 0
		.amdhsa_exception_int_div_zero 0
	.end_amdhsa_kernel
	.section	.text._ZN7rocprim17ROCPRIM_400000_NS6detail17trampoline_kernelINS0_14default_configENS1_20scan_config_selectorIdEEZZNS1_9scan_implILNS1_25lookback_scan_determinismE0ELb0ELb0ES3_PKdPddZZZN2at6native31launch_logcumsumexp_cuda_kernelERKNSB_10TensorBaseESF_lENKUlvE_clEvENKUlvE_clEvEUlddE_dEEDaPvRmT3_T4_T5_mT6_P12ihipStream_tbENKUlT_T0_E_clISt17integral_constantIbLb0EESW_EEDaSR_SS_EUlSR_E0_NS1_11comp_targetILNS1_3genE8ELNS1_11target_archE1030ELNS1_3gpuE2ELNS1_3repE0EEENS1_30default_config_static_selectorELNS0_4arch9wavefront6targetE0EEEvT1_,"axG",@progbits,_ZN7rocprim17ROCPRIM_400000_NS6detail17trampoline_kernelINS0_14default_configENS1_20scan_config_selectorIdEEZZNS1_9scan_implILNS1_25lookback_scan_determinismE0ELb0ELb0ES3_PKdPddZZZN2at6native31launch_logcumsumexp_cuda_kernelERKNSB_10TensorBaseESF_lENKUlvE_clEvENKUlvE_clEvEUlddE_dEEDaPvRmT3_T4_T5_mT6_P12ihipStream_tbENKUlT_T0_E_clISt17integral_constantIbLb0EESW_EEDaSR_SS_EUlSR_E0_NS1_11comp_targetILNS1_3genE8ELNS1_11target_archE1030ELNS1_3gpuE2ELNS1_3repE0EEENS1_30default_config_static_selectorELNS0_4arch9wavefront6targetE0EEEvT1_,comdat
.Lfunc_end27:
	.size	_ZN7rocprim17ROCPRIM_400000_NS6detail17trampoline_kernelINS0_14default_configENS1_20scan_config_selectorIdEEZZNS1_9scan_implILNS1_25lookback_scan_determinismE0ELb0ELb0ES3_PKdPddZZZN2at6native31launch_logcumsumexp_cuda_kernelERKNSB_10TensorBaseESF_lENKUlvE_clEvENKUlvE_clEvEUlddE_dEEDaPvRmT3_T4_T5_mT6_P12ihipStream_tbENKUlT_T0_E_clISt17integral_constantIbLb0EESW_EEDaSR_SS_EUlSR_E0_NS1_11comp_targetILNS1_3genE8ELNS1_11target_archE1030ELNS1_3gpuE2ELNS1_3repE0EEENS1_30default_config_static_selectorELNS0_4arch9wavefront6targetE0EEEvT1_, .Lfunc_end27-_ZN7rocprim17ROCPRIM_400000_NS6detail17trampoline_kernelINS0_14default_configENS1_20scan_config_selectorIdEEZZNS1_9scan_implILNS1_25lookback_scan_determinismE0ELb0ELb0ES3_PKdPddZZZN2at6native31launch_logcumsumexp_cuda_kernelERKNSB_10TensorBaseESF_lENKUlvE_clEvENKUlvE_clEvEUlddE_dEEDaPvRmT3_T4_T5_mT6_P12ihipStream_tbENKUlT_T0_E_clISt17integral_constantIbLb0EESW_EEDaSR_SS_EUlSR_E0_NS1_11comp_targetILNS1_3genE8ELNS1_11target_archE1030ELNS1_3gpuE2ELNS1_3repE0EEENS1_30default_config_static_selectorELNS0_4arch9wavefront6targetE0EEEvT1_
                                        ; -- End function
	.section	.AMDGPU.csdata,"",@progbits
; Kernel info:
; codeLenInByte = 0
; NumSgprs: 0
; NumVgprs: 0
; ScratchSize: 0
; MemoryBound: 0
; FloatMode: 240
; IeeeMode: 1
; LDSByteSize: 0 bytes/workgroup (compile time only)
; SGPRBlocks: 0
; VGPRBlocks: 0
; NumSGPRsForWavesPerEU: 1
; NumVGPRsForWavesPerEU: 1
; Occupancy: 16
; WaveLimiterHint : 0
; COMPUTE_PGM_RSRC2:SCRATCH_EN: 0
; COMPUTE_PGM_RSRC2:USER_SGPR: 15
; COMPUTE_PGM_RSRC2:TRAP_HANDLER: 0
; COMPUTE_PGM_RSRC2:TGID_X_EN: 1
; COMPUTE_PGM_RSRC2:TGID_Y_EN: 0
; COMPUTE_PGM_RSRC2:TGID_Z_EN: 0
; COMPUTE_PGM_RSRC2:TIDIG_COMP_CNT: 0
	.section	.text._ZN7rocprim17ROCPRIM_400000_NS6detail31init_lookback_scan_state_kernelINS1_19lookback_scan_stateIdLb1ELb1EEENS1_16block_id_wrapperIjLb1EEEEEvT_jT0_jPNS7_10value_typeE,"axG",@progbits,_ZN7rocprim17ROCPRIM_400000_NS6detail31init_lookback_scan_state_kernelINS1_19lookback_scan_stateIdLb1ELb1EEENS1_16block_id_wrapperIjLb1EEEEEvT_jT0_jPNS7_10value_typeE,comdat
	.protected	_ZN7rocprim17ROCPRIM_400000_NS6detail31init_lookback_scan_state_kernelINS1_19lookback_scan_stateIdLb1ELb1EEENS1_16block_id_wrapperIjLb1EEEEEvT_jT0_jPNS7_10value_typeE ; -- Begin function _ZN7rocprim17ROCPRIM_400000_NS6detail31init_lookback_scan_state_kernelINS1_19lookback_scan_stateIdLb1ELb1EEENS1_16block_id_wrapperIjLb1EEEEEvT_jT0_jPNS7_10value_typeE
	.globl	_ZN7rocprim17ROCPRIM_400000_NS6detail31init_lookback_scan_state_kernelINS1_19lookback_scan_stateIdLb1ELb1EEENS1_16block_id_wrapperIjLb1EEEEEvT_jT0_jPNS7_10value_typeE
	.p2align	8
	.type	_ZN7rocprim17ROCPRIM_400000_NS6detail31init_lookback_scan_state_kernelINS1_19lookback_scan_stateIdLb1ELb1EEENS1_16block_id_wrapperIjLb1EEEEEvT_jT0_jPNS7_10value_typeE,@function
_ZN7rocprim17ROCPRIM_400000_NS6detail31init_lookback_scan_state_kernelINS1_19lookback_scan_stateIdLb1ELb1EEENS1_16block_id_wrapperIjLb1EEEEEvT_jT0_jPNS7_10value_typeE: ; @_ZN7rocprim17ROCPRIM_400000_NS6detail31init_lookback_scan_state_kernelINS1_19lookback_scan_stateIdLb1ELb1EEENS1_16block_id_wrapperIjLb1EEEEEvT_jT0_jPNS7_10value_typeE
; %bb.0:
	s_clause 0x3
	s_load_b32 s6, s[0:1], 0x34
	s_load_b64 s[4:5], s[0:1], 0x20
	s_load_b64 s[2:3], s[0:1], 0x0
	s_load_b32 s8, s[0:1], 0x8
	s_waitcnt lgkmcnt(0)
	s_and_b32 s6, s6, 0xffff
	s_cmp_eq_u64 s[4:5], 0
	v_mad_u64_u32 v[1:2], null, s15, s6, v[0:1]
	s_cbranch_scc1 .LBB28_10
; %bb.1:
	s_load_b32 s6, s[0:1], 0x18
	s_waitcnt lgkmcnt(0)
	s_cmp_lt_u32 s6, s8
	s_cselect_b32 s7, s6, 0
	s_delay_alu instid0(VALU_DEP_1) | instid1(SALU_CYCLE_1)
	v_cmp_eq_u32_e32 vcc_lo, s7, v1
	s_mov_b32 s7, 0
	s_and_saveexec_b32 s9, vcc_lo
	s_cbranch_execz .LBB28_9
; %bb.2:
	s_add_i32 s6, s6, 32
	s_mov_b32 s10, exec_lo
	s_lshl_b64 s[6:7], s[6:7], 4
	v_mov_b32_e32 v6, 0
	s_add_u32 s6, s2, s6
	s_addc_u32 s7, s3, s7
	s_delay_alu instid0(SALU_CYCLE_1) | instskip(SKIP_2) | instid1(VALU_DEP_1)
	v_dual_mov_b32 v2, s6 :: v_dual_mov_b32 v3, s7
	;;#ASMSTART
	global_load_dwordx4 v[2:5], v[2:3] off glc	
s_waitcnt vmcnt(0)
	;;#ASMEND
	v_and_b32_e32 v5, 0xff, v4
	v_cmpx_eq_u64_e32 0, v[5:6]
	s_cbranch_execz .LBB28_8
; %bb.3:
	v_dual_mov_b32 v8, s7 :: v_dual_mov_b32 v7, s6
	s_mov_b32 s7, 1
	s_mov_b32 s6, 0
	.p2align	6
.LBB28_4:                               ; =>This Loop Header: Depth=1
                                        ;     Child Loop BB28_5 Depth 2
	s_max_u32 s11, s7, 1
.LBB28_5:                               ;   Parent Loop BB28_4 Depth=1
                                        ; =>  This Inner Loop Header: Depth=2
	s_delay_alu instid0(SALU_CYCLE_1)
	s_add_i32 s11, s11, -1
	s_sleep 1
	s_cmp_eq_u32 s11, 0
	s_cbranch_scc0 .LBB28_5
; %bb.6:                                ;   in Loop: Header=BB28_4 Depth=1
	;;#ASMSTART
	global_load_dwordx4 v[2:5], v[7:8] off glc	
s_waitcnt vmcnt(0)
	;;#ASMEND
	v_and_b32_e32 v5, 0xff, v4
	s_cmp_lt_u32 s7, 32
	s_cselect_b32 s11, -1, 0
	s_delay_alu instid0(SALU_CYCLE_1) | instskip(NEXT) | instid1(VALU_DEP_1)
	s_cmp_lg_u32 s11, 0
	v_cmp_ne_u64_e32 vcc_lo, 0, v[5:6]
	s_addc_u32 s7, s7, 0
	s_or_b32 s6, vcc_lo, s6
	s_delay_alu instid0(SALU_CYCLE_1)
	s_and_not1_b32 exec_lo, exec_lo, s6
	s_cbranch_execnz .LBB28_4
; %bb.7:
	s_or_b32 exec_lo, exec_lo, s6
.LBB28_8:
	s_delay_alu instid0(SALU_CYCLE_1)
	s_or_b32 exec_lo, exec_lo, s10
	v_mov_b32_e32 v0, 0
	global_store_b64 v0, v[2:3], s[4:5]
.LBB28_9:
	s_or_b32 exec_lo, exec_lo, s9
.LBB28_10:
	s_delay_alu instid0(SALU_CYCLE_1) | instskip(NEXT) | instid1(VALU_DEP_1)
	s_mov_b32 s4, exec_lo
	v_cmpx_eq_u32_e32 0, v1
	s_cbranch_execz .LBB28_12
; %bb.11:
	s_load_b64 s[0:1], s[0:1], 0x10
	v_mov_b32_e32 v0, 0
	s_waitcnt lgkmcnt(0)
	global_store_b32 v0, v0, s[0:1]
.LBB28_12:
	s_or_b32 exec_lo, exec_lo, s4
	s_delay_alu instid0(SALU_CYCLE_1)
	s_mov_b32 s0, exec_lo
	v_cmpx_gt_u32_e64 s8, v1
	s_cbranch_execz .LBB28_14
; %bb.13:
	v_dual_mov_b32 v3, 0 :: v_dual_add_nc_u32 v2, 32, v1
	s_delay_alu instid0(VALU_DEP_1) | instskip(SKIP_2) | instid1(VALU_DEP_3)
	v_lshlrev_b64 v[5:6], 4, v[2:3]
	v_mov_b32_e32 v2, v3
	v_mov_b32_e32 v4, v3
	v_add_co_u32 v7, vcc_lo, s2, v5
	s_delay_alu instid0(VALU_DEP_4)
	v_add_co_ci_u32_e32 v8, vcc_lo, s3, v6, vcc_lo
	v_mov_b32_e32 v5, v3
	global_store_b128 v[7:8], v[2:5], off
.LBB28_14:
	s_or_b32 exec_lo, exec_lo, s0
	s_delay_alu instid0(SALU_CYCLE_1)
	s_mov_b32 s0, exec_lo
	v_cmpx_gt_u32_e32 32, v1
	s_cbranch_execz .LBB28_16
; %bb.15:
	v_dual_mov_b32 v2, 0 :: v_dual_mov_b32 v3, 0xff
	s_delay_alu instid0(VALU_DEP_1) | instskip(SKIP_1) | instid1(VALU_DEP_2)
	v_lshlrev_b64 v[4:5], 4, v[1:2]
	v_mov_b32_e32 v1, v2
	v_add_co_u32 v6, vcc_lo, s2, v4
	s_delay_alu instid0(VALU_DEP_3)
	v_add_co_ci_u32_e32 v7, vcc_lo, s3, v5, vcc_lo
	v_mov_b32_e32 v4, v2
	global_store_b128 v[6:7], v[1:4], off
.LBB28_16:
	s_nop 0
	s_sendmsg sendmsg(MSG_DEALLOC_VGPRS)
	s_endpgm
	.section	.rodata,"a",@progbits
	.p2align	6, 0x0
	.amdhsa_kernel _ZN7rocprim17ROCPRIM_400000_NS6detail31init_lookback_scan_state_kernelINS1_19lookback_scan_stateIdLb1ELb1EEENS1_16block_id_wrapperIjLb1EEEEEvT_jT0_jPNS7_10value_typeE
		.amdhsa_group_segment_fixed_size 0
		.amdhsa_private_segment_fixed_size 0
		.amdhsa_kernarg_size 296
		.amdhsa_user_sgpr_count 15
		.amdhsa_user_sgpr_dispatch_ptr 0
		.amdhsa_user_sgpr_queue_ptr 0
		.amdhsa_user_sgpr_kernarg_segment_ptr 1
		.amdhsa_user_sgpr_dispatch_id 0
		.amdhsa_user_sgpr_private_segment_size 0
		.amdhsa_wavefront_size32 1
		.amdhsa_uses_dynamic_stack 0
		.amdhsa_enable_private_segment 0
		.amdhsa_system_sgpr_workgroup_id_x 1
		.amdhsa_system_sgpr_workgroup_id_y 0
		.amdhsa_system_sgpr_workgroup_id_z 0
		.amdhsa_system_sgpr_workgroup_info 0
		.amdhsa_system_vgpr_workitem_id 0
		.amdhsa_next_free_vgpr 9
		.amdhsa_next_free_sgpr 16
		.amdhsa_reserve_vcc 1
		.amdhsa_float_round_mode_32 0
		.amdhsa_float_round_mode_16_64 0
		.amdhsa_float_denorm_mode_32 3
		.amdhsa_float_denorm_mode_16_64 3
		.amdhsa_dx10_clamp 1
		.amdhsa_ieee_mode 1
		.amdhsa_fp16_overflow 0
		.amdhsa_workgroup_processor_mode 1
		.amdhsa_memory_ordered 1
		.amdhsa_forward_progress 0
		.amdhsa_shared_vgpr_count 0
		.amdhsa_exception_fp_ieee_invalid_op 0
		.amdhsa_exception_fp_denorm_src 0
		.amdhsa_exception_fp_ieee_div_zero 0
		.amdhsa_exception_fp_ieee_overflow 0
		.amdhsa_exception_fp_ieee_underflow 0
		.amdhsa_exception_fp_ieee_inexact 0
		.amdhsa_exception_int_div_zero 0
	.end_amdhsa_kernel
	.section	.text._ZN7rocprim17ROCPRIM_400000_NS6detail31init_lookback_scan_state_kernelINS1_19lookback_scan_stateIdLb1ELb1EEENS1_16block_id_wrapperIjLb1EEEEEvT_jT0_jPNS7_10value_typeE,"axG",@progbits,_ZN7rocprim17ROCPRIM_400000_NS6detail31init_lookback_scan_state_kernelINS1_19lookback_scan_stateIdLb1ELb1EEENS1_16block_id_wrapperIjLb1EEEEEvT_jT0_jPNS7_10value_typeE,comdat
.Lfunc_end28:
	.size	_ZN7rocprim17ROCPRIM_400000_NS6detail31init_lookback_scan_state_kernelINS1_19lookback_scan_stateIdLb1ELb1EEENS1_16block_id_wrapperIjLb1EEEEEvT_jT0_jPNS7_10value_typeE, .Lfunc_end28-_ZN7rocprim17ROCPRIM_400000_NS6detail31init_lookback_scan_state_kernelINS1_19lookback_scan_stateIdLb1ELb1EEENS1_16block_id_wrapperIjLb1EEEEEvT_jT0_jPNS7_10value_typeE
                                        ; -- End function
	.section	.AMDGPU.csdata,"",@progbits
; Kernel info:
; codeLenInByte = 560
; NumSgprs: 18
; NumVgprs: 9
; ScratchSize: 0
; MemoryBound: 0
; FloatMode: 240
; IeeeMode: 1
; LDSByteSize: 0 bytes/workgroup (compile time only)
; SGPRBlocks: 2
; VGPRBlocks: 1
; NumSGPRsForWavesPerEU: 18
; NumVGPRsForWavesPerEU: 9
; Occupancy: 16
; WaveLimiterHint : 0
; COMPUTE_PGM_RSRC2:SCRATCH_EN: 0
; COMPUTE_PGM_RSRC2:USER_SGPR: 15
; COMPUTE_PGM_RSRC2:TRAP_HANDLER: 0
; COMPUTE_PGM_RSRC2:TGID_X_EN: 1
; COMPUTE_PGM_RSRC2:TGID_Y_EN: 0
; COMPUTE_PGM_RSRC2:TGID_Z_EN: 0
; COMPUTE_PGM_RSRC2:TIDIG_COMP_CNT: 0
	.section	.text._ZN7rocprim17ROCPRIM_400000_NS6detail17trampoline_kernelINS0_14default_configENS1_20scan_config_selectorIdEEZZNS1_9scan_implILNS1_25lookback_scan_determinismE0ELb0ELb0ES3_PKdPddZZZN2at6native31launch_logcumsumexp_cuda_kernelERKNSB_10TensorBaseESF_lENKUlvE_clEvENKUlvE_clEvEUlddE_dEEDaPvRmT3_T4_T5_mT6_P12ihipStream_tbENKUlT_T0_E_clISt17integral_constantIbLb1EESW_EEDaSR_SS_EUlSR_E_NS1_11comp_targetILNS1_3genE0ELNS1_11target_archE4294967295ELNS1_3gpuE0ELNS1_3repE0EEENS1_30default_config_static_selectorELNS0_4arch9wavefront6targetE0EEEvT1_,"axG",@progbits,_ZN7rocprim17ROCPRIM_400000_NS6detail17trampoline_kernelINS0_14default_configENS1_20scan_config_selectorIdEEZZNS1_9scan_implILNS1_25lookback_scan_determinismE0ELb0ELb0ES3_PKdPddZZZN2at6native31launch_logcumsumexp_cuda_kernelERKNSB_10TensorBaseESF_lENKUlvE_clEvENKUlvE_clEvEUlddE_dEEDaPvRmT3_T4_T5_mT6_P12ihipStream_tbENKUlT_T0_E_clISt17integral_constantIbLb1EESW_EEDaSR_SS_EUlSR_E_NS1_11comp_targetILNS1_3genE0ELNS1_11target_archE4294967295ELNS1_3gpuE0ELNS1_3repE0EEENS1_30default_config_static_selectorELNS0_4arch9wavefront6targetE0EEEvT1_,comdat
	.globl	_ZN7rocprim17ROCPRIM_400000_NS6detail17trampoline_kernelINS0_14default_configENS1_20scan_config_selectorIdEEZZNS1_9scan_implILNS1_25lookback_scan_determinismE0ELb0ELb0ES3_PKdPddZZZN2at6native31launch_logcumsumexp_cuda_kernelERKNSB_10TensorBaseESF_lENKUlvE_clEvENKUlvE_clEvEUlddE_dEEDaPvRmT3_T4_T5_mT6_P12ihipStream_tbENKUlT_T0_E_clISt17integral_constantIbLb1EESW_EEDaSR_SS_EUlSR_E_NS1_11comp_targetILNS1_3genE0ELNS1_11target_archE4294967295ELNS1_3gpuE0ELNS1_3repE0EEENS1_30default_config_static_selectorELNS0_4arch9wavefront6targetE0EEEvT1_ ; -- Begin function _ZN7rocprim17ROCPRIM_400000_NS6detail17trampoline_kernelINS0_14default_configENS1_20scan_config_selectorIdEEZZNS1_9scan_implILNS1_25lookback_scan_determinismE0ELb0ELb0ES3_PKdPddZZZN2at6native31launch_logcumsumexp_cuda_kernelERKNSB_10TensorBaseESF_lENKUlvE_clEvENKUlvE_clEvEUlddE_dEEDaPvRmT3_T4_T5_mT6_P12ihipStream_tbENKUlT_T0_E_clISt17integral_constantIbLb1EESW_EEDaSR_SS_EUlSR_E_NS1_11comp_targetILNS1_3genE0ELNS1_11target_archE4294967295ELNS1_3gpuE0ELNS1_3repE0EEENS1_30default_config_static_selectorELNS0_4arch9wavefront6targetE0EEEvT1_
	.p2align	8
	.type	_ZN7rocprim17ROCPRIM_400000_NS6detail17trampoline_kernelINS0_14default_configENS1_20scan_config_selectorIdEEZZNS1_9scan_implILNS1_25lookback_scan_determinismE0ELb0ELb0ES3_PKdPddZZZN2at6native31launch_logcumsumexp_cuda_kernelERKNSB_10TensorBaseESF_lENKUlvE_clEvENKUlvE_clEvEUlddE_dEEDaPvRmT3_T4_T5_mT6_P12ihipStream_tbENKUlT_T0_E_clISt17integral_constantIbLb1EESW_EEDaSR_SS_EUlSR_E_NS1_11comp_targetILNS1_3genE0ELNS1_11target_archE4294967295ELNS1_3gpuE0ELNS1_3repE0EEENS1_30default_config_static_selectorELNS0_4arch9wavefront6targetE0EEEvT1_,@function
_ZN7rocprim17ROCPRIM_400000_NS6detail17trampoline_kernelINS0_14default_configENS1_20scan_config_selectorIdEEZZNS1_9scan_implILNS1_25lookback_scan_determinismE0ELb0ELb0ES3_PKdPddZZZN2at6native31launch_logcumsumexp_cuda_kernelERKNSB_10TensorBaseESF_lENKUlvE_clEvENKUlvE_clEvEUlddE_dEEDaPvRmT3_T4_T5_mT6_P12ihipStream_tbENKUlT_T0_E_clISt17integral_constantIbLb1EESW_EEDaSR_SS_EUlSR_E_NS1_11comp_targetILNS1_3genE0ELNS1_11target_archE4294967295ELNS1_3gpuE0ELNS1_3repE0EEENS1_30default_config_static_selectorELNS0_4arch9wavefront6targetE0EEEvT1_: ; @_ZN7rocprim17ROCPRIM_400000_NS6detail17trampoline_kernelINS0_14default_configENS1_20scan_config_selectorIdEEZZNS1_9scan_implILNS1_25lookback_scan_determinismE0ELb0ELb0ES3_PKdPddZZZN2at6native31launch_logcumsumexp_cuda_kernelERKNSB_10TensorBaseESF_lENKUlvE_clEvENKUlvE_clEvEUlddE_dEEDaPvRmT3_T4_T5_mT6_P12ihipStream_tbENKUlT_T0_E_clISt17integral_constantIbLb1EESW_EEDaSR_SS_EUlSR_E_NS1_11comp_targetILNS1_3genE0ELNS1_11target_archE4294967295ELNS1_3gpuE0ELNS1_3repE0EEENS1_30default_config_static_selectorELNS0_4arch9wavefront6targetE0EEEvT1_
; %bb.0:
	.section	.rodata,"a",@progbits
	.p2align	6, 0x0
	.amdhsa_kernel _ZN7rocprim17ROCPRIM_400000_NS6detail17trampoline_kernelINS0_14default_configENS1_20scan_config_selectorIdEEZZNS1_9scan_implILNS1_25lookback_scan_determinismE0ELb0ELb0ES3_PKdPddZZZN2at6native31launch_logcumsumexp_cuda_kernelERKNSB_10TensorBaseESF_lENKUlvE_clEvENKUlvE_clEvEUlddE_dEEDaPvRmT3_T4_T5_mT6_P12ihipStream_tbENKUlT_T0_E_clISt17integral_constantIbLb1EESW_EEDaSR_SS_EUlSR_E_NS1_11comp_targetILNS1_3genE0ELNS1_11target_archE4294967295ELNS1_3gpuE0ELNS1_3repE0EEENS1_30default_config_static_selectorELNS0_4arch9wavefront6targetE0EEEvT1_
		.amdhsa_group_segment_fixed_size 0
		.amdhsa_private_segment_fixed_size 0
		.amdhsa_kernarg_size 104
		.amdhsa_user_sgpr_count 15
		.amdhsa_user_sgpr_dispatch_ptr 0
		.amdhsa_user_sgpr_queue_ptr 0
		.amdhsa_user_sgpr_kernarg_segment_ptr 1
		.amdhsa_user_sgpr_dispatch_id 0
		.amdhsa_user_sgpr_private_segment_size 0
		.amdhsa_wavefront_size32 1
		.amdhsa_uses_dynamic_stack 0
		.amdhsa_enable_private_segment 0
		.amdhsa_system_sgpr_workgroup_id_x 1
		.amdhsa_system_sgpr_workgroup_id_y 0
		.amdhsa_system_sgpr_workgroup_id_z 0
		.amdhsa_system_sgpr_workgroup_info 0
		.amdhsa_system_vgpr_workitem_id 0
		.amdhsa_next_free_vgpr 1
		.amdhsa_next_free_sgpr 1
		.amdhsa_reserve_vcc 0
		.amdhsa_float_round_mode_32 0
		.amdhsa_float_round_mode_16_64 0
		.amdhsa_float_denorm_mode_32 3
		.amdhsa_float_denorm_mode_16_64 3
		.amdhsa_dx10_clamp 1
		.amdhsa_ieee_mode 1
		.amdhsa_fp16_overflow 0
		.amdhsa_workgroup_processor_mode 1
		.amdhsa_memory_ordered 1
		.amdhsa_forward_progress 0
		.amdhsa_shared_vgpr_count 0
		.amdhsa_exception_fp_ieee_invalid_op 0
		.amdhsa_exception_fp_denorm_src 0
		.amdhsa_exception_fp_ieee_div_zero 0
		.amdhsa_exception_fp_ieee_overflow 0
		.amdhsa_exception_fp_ieee_underflow 0
		.amdhsa_exception_fp_ieee_inexact 0
		.amdhsa_exception_int_div_zero 0
	.end_amdhsa_kernel
	.section	.text._ZN7rocprim17ROCPRIM_400000_NS6detail17trampoline_kernelINS0_14default_configENS1_20scan_config_selectorIdEEZZNS1_9scan_implILNS1_25lookback_scan_determinismE0ELb0ELb0ES3_PKdPddZZZN2at6native31launch_logcumsumexp_cuda_kernelERKNSB_10TensorBaseESF_lENKUlvE_clEvENKUlvE_clEvEUlddE_dEEDaPvRmT3_T4_T5_mT6_P12ihipStream_tbENKUlT_T0_E_clISt17integral_constantIbLb1EESW_EEDaSR_SS_EUlSR_E_NS1_11comp_targetILNS1_3genE0ELNS1_11target_archE4294967295ELNS1_3gpuE0ELNS1_3repE0EEENS1_30default_config_static_selectorELNS0_4arch9wavefront6targetE0EEEvT1_,"axG",@progbits,_ZN7rocprim17ROCPRIM_400000_NS6detail17trampoline_kernelINS0_14default_configENS1_20scan_config_selectorIdEEZZNS1_9scan_implILNS1_25lookback_scan_determinismE0ELb0ELb0ES3_PKdPddZZZN2at6native31launch_logcumsumexp_cuda_kernelERKNSB_10TensorBaseESF_lENKUlvE_clEvENKUlvE_clEvEUlddE_dEEDaPvRmT3_T4_T5_mT6_P12ihipStream_tbENKUlT_T0_E_clISt17integral_constantIbLb1EESW_EEDaSR_SS_EUlSR_E_NS1_11comp_targetILNS1_3genE0ELNS1_11target_archE4294967295ELNS1_3gpuE0ELNS1_3repE0EEENS1_30default_config_static_selectorELNS0_4arch9wavefront6targetE0EEEvT1_,comdat
.Lfunc_end29:
	.size	_ZN7rocprim17ROCPRIM_400000_NS6detail17trampoline_kernelINS0_14default_configENS1_20scan_config_selectorIdEEZZNS1_9scan_implILNS1_25lookback_scan_determinismE0ELb0ELb0ES3_PKdPddZZZN2at6native31launch_logcumsumexp_cuda_kernelERKNSB_10TensorBaseESF_lENKUlvE_clEvENKUlvE_clEvEUlddE_dEEDaPvRmT3_T4_T5_mT6_P12ihipStream_tbENKUlT_T0_E_clISt17integral_constantIbLb1EESW_EEDaSR_SS_EUlSR_E_NS1_11comp_targetILNS1_3genE0ELNS1_11target_archE4294967295ELNS1_3gpuE0ELNS1_3repE0EEENS1_30default_config_static_selectorELNS0_4arch9wavefront6targetE0EEEvT1_, .Lfunc_end29-_ZN7rocprim17ROCPRIM_400000_NS6detail17trampoline_kernelINS0_14default_configENS1_20scan_config_selectorIdEEZZNS1_9scan_implILNS1_25lookback_scan_determinismE0ELb0ELb0ES3_PKdPddZZZN2at6native31launch_logcumsumexp_cuda_kernelERKNSB_10TensorBaseESF_lENKUlvE_clEvENKUlvE_clEvEUlddE_dEEDaPvRmT3_T4_T5_mT6_P12ihipStream_tbENKUlT_T0_E_clISt17integral_constantIbLb1EESW_EEDaSR_SS_EUlSR_E_NS1_11comp_targetILNS1_3genE0ELNS1_11target_archE4294967295ELNS1_3gpuE0ELNS1_3repE0EEENS1_30default_config_static_selectorELNS0_4arch9wavefront6targetE0EEEvT1_
                                        ; -- End function
	.section	.AMDGPU.csdata,"",@progbits
; Kernel info:
; codeLenInByte = 0
; NumSgprs: 0
; NumVgprs: 0
; ScratchSize: 0
; MemoryBound: 0
; FloatMode: 240
; IeeeMode: 1
; LDSByteSize: 0 bytes/workgroup (compile time only)
; SGPRBlocks: 0
; VGPRBlocks: 0
; NumSGPRsForWavesPerEU: 1
; NumVGPRsForWavesPerEU: 1
; Occupancy: 16
; WaveLimiterHint : 0
; COMPUTE_PGM_RSRC2:SCRATCH_EN: 0
; COMPUTE_PGM_RSRC2:USER_SGPR: 15
; COMPUTE_PGM_RSRC2:TRAP_HANDLER: 0
; COMPUTE_PGM_RSRC2:TGID_X_EN: 1
; COMPUTE_PGM_RSRC2:TGID_Y_EN: 0
; COMPUTE_PGM_RSRC2:TGID_Z_EN: 0
; COMPUTE_PGM_RSRC2:TIDIG_COMP_CNT: 0
	.section	.text._ZN7rocprim17ROCPRIM_400000_NS6detail17trampoline_kernelINS0_14default_configENS1_20scan_config_selectorIdEEZZNS1_9scan_implILNS1_25lookback_scan_determinismE0ELb0ELb0ES3_PKdPddZZZN2at6native31launch_logcumsumexp_cuda_kernelERKNSB_10TensorBaseESF_lENKUlvE_clEvENKUlvE_clEvEUlddE_dEEDaPvRmT3_T4_T5_mT6_P12ihipStream_tbENKUlT_T0_E_clISt17integral_constantIbLb1EESW_EEDaSR_SS_EUlSR_E_NS1_11comp_targetILNS1_3genE5ELNS1_11target_archE942ELNS1_3gpuE9ELNS1_3repE0EEENS1_30default_config_static_selectorELNS0_4arch9wavefront6targetE0EEEvT1_,"axG",@progbits,_ZN7rocprim17ROCPRIM_400000_NS6detail17trampoline_kernelINS0_14default_configENS1_20scan_config_selectorIdEEZZNS1_9scan_implILNS1_25lookback_scan_determinismE0ELb0ELb0ES3_PKdPddZZZN2at6native31launch_logcumsumexp_cuda_kernelERKNSB_10TensorBaseESF_lENKUlvE_clEvENKUlvE_clEvEUlddE_dEEDaPvRmT3_T4_T5_mT6_P12ihipStream_tbENKUlT_T0_E_clISt17integral_constantIbLb1EESW_EEDaSR_SS_EUlSR_E_NS1_11comp_targetILNS1_3genE5ELNS1_11target_archE942ELNS1_3gpuE9ELNS1_3repE0EEENS1_30default_config_static_selectorELNS0_4arch9wavefront6targetE0EEEvT1_,comdat
	.globl	_ZN7rocprim17ROCPRIM_400000_NS6detail17trampoline_kernelINS0_14default_configENS1_20scan_config_selectorIdEEZZNS1_9scan_implILNS1_25lookback_scan_determinismE0ELb0ELb0ES3_PKdPddZZZN2at6native31launch_logcumsumexp_cuda_kernelERKNSB_10TensorBaseESF_lENKUlvE_clEvENKUlvE_clEvEUlddE_dEEDaPvRmT3_T4_T5_mT6_P12ihipStream_tbENKUlT_T0_E_clISt17integral_constantIbLb1EESW_EEDaSR_SS_EUlSR_E_NS1_11comp_targetILNS1_3genE5ELNS1_11target_archE942ELNS1_3gpuE9ELNS1_3repE0EEENS1_30default_config_static_selectorELNS0_4arch9wavefront6targetE0EEEvT1_ ; -- Begin function _ZN7rocprim17ROCPRIM_400000_NS6detail17trampoline_kernelINS0_14default_configENS1_20scan_config_selectorIdEEZZNS1_9scan_implILNS1_25lookback_scan_determinismE0ELb0ELb0ES3_PKdPddZZZN2at6native31launch_logcumsumexp_cuda_kernelERKNSB_10TensorBaseESF_lENKUlvE_clEvENKUlvE_clEvEUlddE_dEEDaPvRmT3_T4_T5_mT6_P12ihipStream_tbENKUlT_T0_E_clISt17integral_constantIbLb1EESW_EEDaSR_SS_EUlSR_E_NS1_11comp_targetILNS1_3genE5ELNS1_11target_archE942ELNS1_3gpuE9ELNS1_3repE0EEENS1_30default_config_static_selectorELNS0_4arch9wavefront6targetE0EEEvT1_
	.p2align	8
	.type	_ZN7rocprim17ROCPRIM_400000_NS6detail17trampoline_kernelINS0_14default_configENS1_20scan_config_selectorIdEEZZNS1_9scan_implILNS1_25lookback_scan_determinismE0ELb0ELb0ES3_PKdPddZZZN2at6native31launch_logcumsumexp_cuda_kernelERKNSB_10TensorBaseESF_lENKUlvE_clEvENKUlvE_clEvEUlddE_dEEDaPvRmT3_T4_T5_mT6_P12ihipStream_tbENKUlT_T0_E_clISt17integral_constantIbLb1EESW_EEDaSR_SS_EUlSR_E_NS1_11comp_targetILNS1_3genE5ELNS1_11target_archE942ELNS1_3gpuE9ELNS1_3repE0EEENS1_30default_config_static_selectorELNS0_4arch9wavefront6targetE0EEEvT1_,@function
_ZN7rocprim17ROCPRIM_400000_NS6detail17trampoline_kernelINS0_14default_configENS1_20scan_config_selectorIdEEZZNS1_9scan_implILNS1_25lookback_scan_determinismE0ELb0ELb0ES3_PKdPddZZZN2at6native31launch_logcumsumexp_cuda_kernelERKNSB_10TensorBaseESF_lENKUlvE_clEvENKUlvE_clEvEUlddE_dEEDaPvRmT3_T4_T5_mT6_P12ihipStream_tbENKUlT_T0_E_clISt17integral_constantIbLb1EESW_EEDaSR_SS_EUlSR_E_NS1_11comp_targetILNS1_3genE5ELNS1_11target_archE942ELNS1_3gpuE9ELNS1_3repE0EEENS1_30default_config_static_selectorELNS0_4arch9wavefront6targetE0EEEvT1_: ; @_ZN7rocprim17ROCPRIM_400000_NS6detail17trampoline_kernelINS0_14default_configENS1_20scan_config_selectorIdEEZZNS1_9scan_implILNS1_25lookback_scan_determinismE0ELb0ELb0ES3_PKdPddZZZN2at6native31launch_logcumsumexp_cuda_kernelERKNSB_10TensorBaseESF_lENKUlvE_clEvENKUlvE_clEvEUlddE_dEEDaPvRmT3_T4_T5_mT6_P12ihipStream_tbENKUlT_T0_E_clISt17integral_constantIbLb1EESW_EEDaSR_SS_EUlSR_E_NS1_11comp_targetILNS1_3genE5ELNS1_11target_archE942ELNS1_3gpuE9ELNS1_3repE0EEENS1_30default_config_static_selectorELNS0_4arch9wavefront6targetE0EEEvT1_
; %bb.0:
	.section	.rodata,"a",@progbits
	.p2align	6, 0x0
	.amdhsa_kernel _ZN7rocprim17ROCPRIM_400000_NS6detail17trampoline_kernelINS0_14default_configENS1_20scan_config_selectorIdEEZZNS1_9scan_implILNS1_25lookback_scan_determinismE0ELb0ELb0ES3_PKdPddZZZN2at6native31launch_logcumsumexp_cuda_kernelERKNSB_10TensorBaseESF_lENKUlvE_clEvENKUlvE_clEvEUlddE_dEEDaPvRmT3_T4_T5_mT6_P12ihipStream_tbENKUlT_T0_E_clISt17integral_constantIbLb1EESW_EEDaSR_SS_EUlSR_E_NS1_11comp_targetILNS1_3genE5ELNS1_11target_archE942ELNS1_3gpuE9ELNS1_3repE0EEENS1_30default_config_static_selectorELNS0_4arch9wavefront6targetE0EEEvT1_
		.amdhsa_group_segment_fixed_size 0
		.amdhsa_private_segment_fixed_size 0
		.amdhsa_kernarg_size 104
		.amdhsa_user_sgpr_count 15
		.amdhsa_user_sgpr_dispatch_ptr 0
		.amdhsa_user_sgpr_queue_ptr 0
		.amdhsa_user_sgpr_kernarg_segment_ptr 1
		.amdhsa_user_sgpr_dispatch_id 0
		.amdhsa_user_sgpr_private_segment_size 0
		.amdhsa_wavefront_size32 1
		.amdhsa_uses_dynamic_stack 0
		.amdhsa_enable_private_segment 0
		.amdhsa_system_sgpr_workgroup_id_x 1
		.amdhsa_system_sgpr_workgroup_id_y 0
		.amdhsa_system_sgpr_workgroup_id_z 0
		.amdhsa_system_sgpr_workgroup_info 0
		.amdhsa_system_vgpr_workitem_id 0
		.amdhsa_next_free_vgpr 1
		.amdhsa_next_free_sgpr 1
		.amdhsa_reserve_vcc 0
		.amdhsa_float_round_mode_32 0
		.amdhsa_float_round_mode_16_64 0
		.amdhsa_float_denorm_mode_32 3
		.amdhsa_float_denorm_mode_16_64 3
		.amdhsa_dx10_clamp 1
		.amdhsa_ieee_mode 1
		.amdhsa_fp16_overflow 0
		.amdhsa_workgroup_processor_mode 1
		.amdhsa_memory_ordered 1
		.amdhsa_forward_progress 0
		.amdhsa_shared_vgpr_count 0
		.amdhsa_exception_fp_ieee_invalid_op 0
		.amdhsa_exception_fp_denorm_src 0
		.amdhsa_exception_fp_ieee_div_zero 0
		.amdhsa_exception_fp_ieee_overflow 0
		.amdhsa_exception_fp_ieee_underflow 0
		.amdhsa_exception_fp_ieee_inexact 0
		.amdhsa_exception_int_div_zero 0
	.end_amdhsa_kernel
	.section	.text._ZN7rocprim17ROCPRIM_400000_NS6detail17trampoline_kernelINS0_14default_configENS1_20scan_config_selectorIdEEZZNS1_9scan_implILNS1_25lookback_scan_determinismE0ELb0ELb0ES3_PKdPddZZZN2at6native31launch_logcumsumexp_cuda_kernelERKNSB_10TensorBaseESF_lENKUlvE_clEvENKUlvE_clEvEUlddE_dEEDaPvRmT3_T4_T5_mT6_P12ihipStream_tbENKUlT_T0_E_clISt17integral_constantIbLb1EESW_EEDaSR_SS_EUlSR_E_NS1_11comp_targetILNS1_3genE5ELNS1_11target_archE942ELNS1_3gpuE9ELNS1_3repE0EEENS1_30default_config_static_selectorELNS0_4arch9wavefront6targetE0EEEvT1_,"axG",@progbits,_ZN7rocprim17ROCPRIM_400000_NS6detail17trampoline_kernelINS0_14default_configENS1_20scan_config_selectorIdEEZZNS1_9scan_implILNS1_25lookback_scan_determinismE0ELb0ELb0ES3_PKdPddZZZN2at6native31launch_logcumsumexp_cuda_kernelERKNSB_10TensorBaseESF_lENKUlvE_clEvENKUlvE_clEvEUlddE_dEEDaPvRmT3_T4_T5_mT6_P12ihipStream_tbENKUlT_T0_E_clISt17integral_constantIbLb1EESW_EEDaSR_SS_EUlSR_E_NS1_11comp_targetILNS1_3genE5ELNS1_11target_archE942ELNS1_3gpuE9ELNS1_3repE0EEENS1_30default_config_static_selectorELNS0_4arch9wavefront6targetE0EEEvT1_,comdat
.Lfunc_end30:
	.size	_ZN7rocprim17ROCPRIM_400000_NS6detail17trampoline_kernelINS0_14default_configENS1_20scan_config_selectorIdEEZZNS1_9scan_implILNS1_25lookback_scan_determinismE0ELb0ELb0ES3_PKdPddZZZN2at6native31launch_logcumsumexp_cuda_kernelERKNSB_10TensorBaseESF_lENKUlvE_clEvENKUlvE_clEvEUlddE_dEEDaPvRmT3_T4_T5_mT6_P12ihipStream_tbENKUlT_T0_E_clISt17integral_constantIbLb1EESW_EEDaSR_SS_EUlSR_E_NS1_11comp_targetILNS1_3genE5ELNS1_11target_archE942ELNS1_3gpuE9ELNS1_3repE0EEENS1_30default_config_static_selectorELNS0_4arch9wavefront6targetE0EEEvT1_, .Lfunc_end30-_ZN7rocprim17ROCPRIM_400000_NS6detail17trampoline_kernelINS0_14default_configENS1_20scan_config_selectorIdEEZZNS1_9scan_implILNS1_25lookback_scan_determinismE0ELb0ELb0ES3_PKdPddZZZN2at6native31launch_logcumsumexp_cuda_kernelERKNSB_10TensorBaseESF_lENKUlvE_clEvENKUlvE_clEvEUlddE_dEEDaPvRmT3_T4_T5_mT6_P12ihipStream_tbENKUlT_T0_E_clISt17integral_constantIbLb1EESW_EEDaSR_SS_EUlSR_E_NS1_11comp_targetILNS1_3genE5ELNS1_11target_archE942ELNS1_3gpuE9ELNS1_3repE0EEENS1_30default_config_static_selectorELNS0_4arch9wavefront6targetE0EEEvT1_
                                        ; -- End function
	.section	.AMDGPU.csdata,"",@progbits
; Kernel info:
; codeLenInByte = 0
; NumSgprs: 0
; NumVgprs: 0
; ScratchSize: 0
; MemoryBound: 0
; FloatMode: 240
; IeeeMode: 1
; LDSByteSize: 0 bytes/workgroup (compile time only)
; SGPRBlocks: 0
; VGPRBlocks: 0
; NumSGPRsForWavesPerEU: 1
; NumVGPRsForWavesPerEU: 1
; Occupancy: 16
; WaveLimiterHint : 0
; COMPUTE_PGM_RSRC2:SCRATCH_EN: 0
; COMPUTE_PGM_RSRC2:USER_SGPR: 15
; COMPUTE_PGM_RSRC2:TRAP_HANDLER: 0
; COMPUTE_PGM_RSRC2:TGID_X_EN: 1
; COMPUTE_PGM_RSRC2:TGID_Y_EN: 0
; COMPUTE_PGM_RSRC2:TGID_Z_EN: 0
; COMPUTE_PGM_RSRC2:TIDIG_COMP_CNT: 0
	.section	.text._ZN7rocprim17ROCPRIM_400000_NS6detail17trampoline_kernelINS0_14default_configENS1_20scan_config_selectorIdEEZZNS1_9scan_implILNS1_25lookback_scan_determinismE0ELb0ELb0ES3_PKdPddZZZN2at6native31launch_logcumsumexp_cuda_kernelERKNSB_10TensorBaseESF_lENKUlvE_clEvENKUlvE_clEvEUlddE_dEEDaPvRmT3_T4_T5_mT6_P12ihipStream_tbENKUlT_T0_E_clISt17integral_constantIbLb1EESW_EEDaSR_SS_EUlSR_E_NS1_11comp_targetILNS1_3genE4ELNS1_11target_archE910ELNS1_3gpuE8ELNS1_3repE0EEENS1_30default_config_static_selectorELNS0_4arch9wavefront6targetE0EEEvT1_,"axG",@progbits,_ZN7rocprim17ROCPRIM_400000_NS6detail17trampoline_kernelINS0_14default_configENS1_20scan_config_selectorIdEEZZNS1_9scan_implILNS1_25lookback_scan_determinismE0ELb0ELb0ES3_PKdPddZZZN2at6native31launch_logcumsumexp_cuda_kernelERKNSB_10TensorBaseESF_lENKUlvE_clEvENKUlvE_clEvEUlddE_dEEDaPvRmT3_T4_T5_mT6_P12ihipStream_tbENKUlT_T0_E_clISt17integral_constantIbLb1EESW_EEDaSR_SS_EUlSR_E_NS1_11comp_targetILNS1_3genE4ELNS1_11target_archE910ELNS1_3gpuE8ELNS1_3repE0EEENS1_30default_config_static_selectorELNS0_4arch9wavefront6targetE0EEEvT1_,comdat
	.globl	_ZN7rocprim17ROCPRIM_400000_NS6detail17trampoline_kernelINS0_14default_configENS1_20scan_config_selectorIdEEZZNS1_9scan_implILNS1_25lookback_scan_determinismE0ELb0ELb0ES3_PKdPddZZZN2at6native31launch_logcumsumexp_cuda_kernelERKNSB_10TensorBaseESF_lENKUlvE_clEvENKUlvE_clEvEUlddE_dEEDaPvRmT3_T4_T5_mT6_P12ihipStream_tbENKUlT_T0_E_clISt17integral_constantIbLb1EESW_EEDaSR_SS_EUlSR_E_NS1_11comp_targetILNS1_3genE4ELNS1_11target_archE910ELNS1_3gpuE8ELNS1_3repE0EEENS1_30default_config_static_selectorELNS0_4arch9wavefront6targetE0EEEvT1_ ; -- Begin function _ZN7rocprim17ROCPRIM_400000_NS6detail17trampoline_kernelINS0_14default_configENS1_20scan_config_selectorIdEEZZNS1_9scan_implILNS1_25lookback_scan_determinismE0ELb0ELb0ES3_PKdPddZZZN2at6native31launch_logcumsumexp_cuda_kernelERKNSB_10TensorBaseESF_lENKUlvE_clEvENKUlvE_clEvEUlddE_dEEDaPvRmT3_T4_T5_mT6_P12ihipStream_tbENKUlT_T0_E_clISt17integral_constantIbLb1EESW_EEDaSR_SS_EUlSR_E_NS1_11comp_targetILNS1_3genE4ELNS1_11target_archE910ELNS1_3gpuE8ELNS1_3repE0EEENS1_30default_config_static_selectorELNS0_4arch9wavefront6targetE0EEEvT1_
	.p2align	8
	.type	_ZN7rocprim17ROCPRIM_400000_NS6detail17trampoline_kernelINS0_14default_configENS1_20scan_config_selectorIdEEZZNS1_9scan_implILNS1_25lookback_scan_determinismE0ELb0ELb0ES3_PKdPddZZZN2at6native31launch_logcumsumexp_cuda_kernelERKNSB_10TensorBaseESF_lENKUlvE_clEvENKUlvE_clEvEUlddE_dEEDaPvRmT3_T4_T5_mT6_P12ihipStream_tbENKUlT_T0_E_clISt17integral_constantIbLb1EESW_EEDaSR_SS_EUlSR_E_NS1_11comp_targetILNS1_3genE4ELNS1_11target_archE910ELNS1_3gpuE8ELNS1_3repE0EEENS1_30default_config_static_selectorELNS0_4arch9wavefront6targetE0EEEvT1_,@function
_ZN7rocprim17ROCPRIM_400000_NS6detail17trampoline_kernelINS0_14default_configENS1_20scan_config_selectorIdEEZZNS1_9scan_implILNS1_25lookback_scan_determinismE0ELb0ELb0ES3_PKdPddZZZN2at6native31launch_logcumsumexp_cuda_kernelERKNSB_10TensorBaseESF_lENKUlvE_clEvENKUlvE_clEvEUlddE_dEEDaPvRmT3_T4_T5_mT6_P12ihipStream_tbENKUlT_T0_E_clISt17integral_constantIbLb1EESW_EEDaSR_SS_EUlSR_E_NS1_11comp_targetILNS1_3genE4ELNS1_11target_archE910ELNS1_3gpuE8ELNS1_3repE0EEENS1_30default_config_static_selectorELNS0_4arch9wavefront6targetE0EEEvT1_: ; @_ZN7rocprim17ROCPRIM_400000_NS6detail17trampoline_kernelINS0_14default_configENS1_20scan_config_selectorIdEEZZNS1_9scan_implILNS1_25lookback_scan_determinismE0ELb0ELb0ES3_PKdPddZZZN2at6native31launch_logcumsumexp_cuda_kernelERKNSB_10TensorBaseESF_lENKUlvE_clEvENKUlvE_clEvEUlddE_dEEDaPvRmT3_T4_T5_mT6_P12ihipStream_tbENKUlT_T0_E_clISt17integral_constantIbLb1EESW_EEDaSR_SS_EUlSR_E_NS1_11comp_targetILNS1_3genE4ELNS1_11target_archE910ELNS1_3gpuE8ELNS1_3repE0EEENS1_30default_config_static_selectorELNS0_4arch9wavefront6targetE0EEEvT1_
; %bb.0:
	.section	.rodata,"a",@progbits
	.p2align	6, 0x0
	.amdhsa_kernel _ZN7rocprim17ROCPRIM_400000_NS6detail17trampoline_kernelINS0_14default_configENS1_20scan_config_selectorIdEEZZNS1_9scan_implILNS1_25lookback_scan_determinismE0ELb0ELb0ES3_PKdPddZZZN2at6native31launch_logcumsumexp_cuda_kernelERKNSB_10TensorBaseESF_lENKUlvE_clEvENKUlvE_clEvEUlddE_dEEDaPvRmT3_T4_T5_mT6_P12ihipStream_tbENKUlT_T0_E_clISt17integral_constantIbLb1EESW_EEDaSR_SS_EUlSR_E_NS1_11comp_targetILNS1_3genE4ELNS1_11target_archE910ELNS1_3gpuE8ELNS1_3repE0EEENS1_30default_config_static_selectorELNS0_4arch9wavefront6targetE0EEEvT1_
		.amdhsa_group_segment_fixed_size 0
		.amdhsa_private_segment_fixed_size 0
		.amdhsa_kernarg_size 104
		.amdhsa_user_sgpr_count 15
		.amdhsa_user_sgpr_dispatch_ptr 0
		.amdhsa_user_sgpr_queue_ptr 0
		.amdhsa_user_sgpr_kernarg_segment_ptr 1
		.amdhsa_user_sgpr_dispatch_id 0
		.amdhsa_user_sgpr_private_segment_size 0
		.amdhsa_wavefront_size32 1
		.amdhsa_uses_dynamic_stack 0
		.amdhsa_enable_private_segment 0
		.amdhsa_system_sgpr_workgroup_id_x 1
		.amdhsa_system_sgpr_workgroup_id_y 0
		.amdhsa_system_sgpr_workgroup_id_z 0
		.amdhsa_system_sgpr_workgroup_info 0
		.amdhsa_system_vgpr_workitem_id 0
		.amdhsa_next_free_vgpr 1
		.amdhsa_next_free_sgpr 1
		.amdhsa_reserve_vcc 0
		.amdhsa_float_round_mode_32 0
		.amdhsa_float_round_mode_16_64 0
		.amdhsa_float_denorm_mode_32 3
		.amdhsa_float_denorm_mode_16_64 3
		.amdhsa_dx10_clamp 1
		.amdhsa_ieee_mode 1
		.amdhsa_fp16_overflow 0
		.amdhsa_workgroup_processor_mode 1
		.amdhsa_memory_ordered 1
		.amdhsa_forward_progress 0
		.amdhsa_shared_vgpr_count 0
		.amdhsa_exception_fp_ieee_invalid_op 0
		.amdhsa_exception_fp_denorm_src 0
		.amdhsa_exception_fp_ieee_div_zero 0
		.amdhsa_exception_fp_ieee_overflow 0
		.amdhsa_exception_fp_ieee_underflow 0
		.amdhsa_exception_fp_ieee_inexact 0
		.amdhsa_exception_int_div_zero 0
	.end_amdhsa_kernel
	.section	.text._ZN7rocprim17ROCPRIM_400000_NS6detail17trampoline_kernelINS0_14default_configENS1_20scan_config_selectorIdEEZZNS1_9scan_implILNS1_25lookback_scan_determinismE0ELb0ELb0ES3_PKdPddZZZN2at6native31launch_logcumsumexp_cuda_kernelERKNSB_10TensorBaseESF_lENKUlvE_clEvENKUlvE_clEvEUlddE_dEEDaPvRmT3_T4_T5_mT6_P12ihipStream_tbENKUlT_T0_E_clISt17integral_constantIbLb1EESW_EEDaSR_SS_EUlSR_E_NS1_11comp_targetILNS1_3genE4ELNS1_11target_archE910ELNS1_3gpuE8ELNS1_3repE0EEENS1_30default_config_static_selectorELNS0_4arch9wavefront6targetE0EEEvT1_,"axG",@progbits,_ZN7rocprim17ROCPRIM_400000_NS6detail17trampoline_kernelINS0_14default_configENS1_20scan_config_selectorIdEEZZNS1_9scan_implILNS1_25lookback_scan_determinismE0ELb0ELb0ES3_PKdPddZZZN2at6native31launch_logcumsumexp_cuda_kernelERKNSB_10TensorBaseESF_lENKUlvE_clEvENKUlvE_clEvEUlddE_dEEDaPvRmT3_T4_T5_mT6_P12ihipStream_tbENKUlT_T0_E_clISt17integral_constantIbLb1EESW_EEDaSR_SS_EUlSR_E_NS1_11comp_targetILNS1_3genE4ELNS1_11target_archE910ELNS1_3gpuE8ELNS1_3repE0EEENS1_30default_config_static_selectorELNS0_4arch9wavefront6targetE0EEEvT1_,comdat
.Lfunc_end31:
	.size	_ZN7rocprim17ROCPRIM_400000_NS6detail17trampoline_kernelINS0_14default_configENS1_20scan_config_selectorIdEEZZNS1_9scan_implILNS1_25lookback_scan_determinismE0ELb0ELb0ES3_PKdPddZZZN2at6native31launch_logcumsumexp_cuda_kernelERKNSB_10TensorBaseESF_lENKUlvE_clEvENKUlvE_clEvEUlddE_dEEDaPvRmT3_T4_T5_mT6_P12ihipStream_tbENKUlT_T0_E_clISt17integral_constantIbLb1EESW_EEDaSR_SS_EUlSR_E_NS1_11comp_targetILNS1_3genE4ELNS1_11target_archE910ELNS1_3gpuE8ELNS1_3repE0EEENS1_30default_config_static_selectorELNS0_4arch9wavefront6targetE0EEEvT1_, .Lfunc_end31-_ZN7rocprim17ROCPRIM_400000_NS6detail17trampoline_kernelINS0_14default_configENS1_20scan_config_selectorIdEEZZNS1_9scan_implILNS1_25lookback_scan_determinismE0ELb0ELb0ES3_PKdPddZZZN2at6native31launch_logcumsumexp_cuda_kernelERKNSB_10TensorBaseESF_lENKUlvE_clEvENKUlvE_clEvEUlddE_dEEDaPvRmT3_T4_T5_mT6_P12ihipStream_tbENKUlT_T0_E_clISt17integral_constantIbLb1EESW_EEDaSR_SS_EUlSR_E_NS1_11comp_targetILNS1_3genE4ELNS1_11target_archE910ELNS1_3gpuE8ELNS1_3repE0EEENS1_30default_config_static_selectorELNS0_4arch9wavefront6targetE0EEEvT1_
                                        ; -- End function
	.section	.AMDGPU.csdata,"",@progbits
; Kernel info:
; codeLenInByte = 0
; NumSgprs: 0
; NumVgprs: 0
; ScratchSize: 0
; MemoryBound: 0
; FloatMode: 240
; IeeeMode: 1
; LDSByteSize: 0 bytes/workgroup (compile time only)
; SGPRBlocks: 0
; VGPRBlocks: 0
; NumSGPRsForWavesPerEU: 1
; NumVGPRsForWavesPerEU: 1
; Occupancy: 16
; WaveLimiterHint : 0
; COMPUTE_PGM_RSRC2:SCRATCH_EN: 0
; COMPUTE_PGM_RSRC2:USER_SGPR: 15
; COMPUTE_PGM_RSRC2:TRAP_HANDLER: 0
; COMPUTE_PGM_RSRC2:TGID_X_EN: 1
; COMPUTE_PGM_RSRC2:TGID_Y_EN: 0
; COMPUTE_PGM_RSRC2:TGID_Z_EN: 0
; COMPUTE_PGM_RSRC2:TIDIG_COMP_CNT: 0
	.section	.text._ZN7rocprim17ROCPRIM_400000_NS6detail17trampoline_kernelINS0_14default_configENS1_20scan_config_selectorIdEEZZNS1_9scan_implILNS1_25lookback_scan_determinismE0ELb0ELb0ES3_PKdPddZZZN2at6native31launch_logcumsumexp_cuda_kernelERKNSB_10TensorBaseESF_lENKUlvE_clEvENKUlvE_clEvEUlddE_dEEDaPvRmT3_T4_T5_mT6_P12ihipStream_tbENKUlT_T0_E_clISt17integral_constantIbLb1EESW_EEDaSR_SS_EUlSR_E_NS1_11comp_targetILNS1_3genE3ELNS1_11target_archE908ELNS1_3gpuE7ELNS1_3repE0EEENS1_30default_config_static_selectorELNS0_4arch9wavefront6targetE0EEEvT1_,"axG",@progbits,_ZN7rocprim17ROCPRIM_400000_NS6detail17trampoline_kernelINS0_14default_configENS1_20scan_config_selectorIdEEZZNS1_9scan_implILNS1_25lookback_scan_determinismE0ELb0ELb0ES3_PKdPddZZZN2at6native31launch_logcumsumexp_cuda_kernelERKNSB_10TensorBaseESF_lENKUlvE_clEvENKUlvE_clEvEUlddE_dEEDaPvRmT3_T4_T5_mT6_P12ihipStream_tbENKUlT_T0_E_clISt17integral_constantIbLb1EESW_EEDaSR_SS_EUlSR_E_NS1_11comp_targetILNS1_3genE3ELNS1_11target_archE908ELNS1_3gpuE7ELNS1_3repE0EEENS1_30default_config_static_selectorELNS0_4arch9wavefront6targetE0EEEvT1_,comdat
	.globl	_ZN7rocprim17ROCPRIM_400000_NS6detail17trampoline_kernelINS0_14default_configENS1_20scan_config_selectorIdEEZZNS1_9scan_implILNS1_25lookback_scan_determinismE0ELb0ELb0ES3_PKdPddZZZN2at6native31launch_logcumsumexp_cuda_kernelERKNSB_10TensorBaseESF_lENKUlvE_clEvENKUlvE_clEvEUlddE_dEEDaPvRmT3_T4_T5_mT6_P12ihipStream_tbENKUlT_T0_E_clISt17integral_constantIbLb1EESW_EEDaSR_SS_EUlSR_E_NS1_11comp_targetILNS1_3genE3ELNS1_11target_archE908ELNS1_3gpuE7ELNS1_3repE0EEENS1_30default_config_static_selectorELNS0_4arch9wavefront6targetE0EEEvT1_ ; -- Begin function _ZN7rocprim17ROCPRIM_400000_NS6detail17trampoline_kernelINS0_14default_configENS1_20scan_config_selectorIdEEZZNS1_9scan_implILNS1_25lookback_scan_determinismE0ELb0ELb0ES3_PKdPddZZZN2at6native31launch_logcumsumexp_cuda_kernelERKNSB_10TensorBaseESF_lENKUlvE_clEvENKUlvE_clEvEUlddE_dEEDaPvRmT3_T4_T5_mT6_P12ihipStream_tbENKUlT_T0_E_clISt17integral_constantIbLb1EESW_EEDaSR_SS_EUlSR_E_NS1_11comp_targetILNS1_3genE3ELNS1_11target_archE908ELNS1_3gpuE7ELNS1_3repE0EEENS1_30default_config_static_selectorELNS0_4arch9wavefront6targetE0EEEvT1_
	.p2align	8
	.type	_ZN7rocprim17ROCPRIM_400000_NS6detail17trampoline_kernelINS0_14default_configENS1_20scan_config_selectorIdEEZZNS1_9scan_implILNS1_25lookback_scan_determinismE0ELb0ELb0ES3_PKdPddZZZN2at6native31launch_logcumsumexp_cuda_kernelERKNSB_10TensorBaseESF_lENKUlvE_clEvENKUlvE_clEvEUlddE_dEEDaPvRmT3_T4_T5_mT6_P12ihipStream_tbENKUlT_T0_E_clISt17integral_constantIbLb1EESW_EEDaSR_SS_EUlSR_E_NS1_11comp_targetILNS1_3genE3ELNS1_11target_archE908ELNS1_3gpuE7ELNS1_3repE0EEENS1_30default_config_static_selectorELNS0_4arch9wavefront6targetE0EEEvT1_,@function
_ZN7rocprim17ROCPRIM_400000_NS6detail17trampoline_kernelINS0_14default_configENS1_20scan_config_selectorIdEEZZNS1_9scan_implILNS1_25lookback_scan_determinismE0ELb0ELb0ES3_PKdPddZZZN2at6native31launch_logcumsumexp_cuda_kernelERKNSB_10TensorBaseESF_lENKUlvE_clEvENKUlvE_clEvEUlddE_dEEDaPvRmT3_T4_T5_mT6_P12ihipStream_tbENKUlT_T0_E_clISt17integral_constantIbLb1EESW_EEDaSR_SS_EUlSR_E_NS1_11comp_targetILNS1_3genE3ELNS1_11target_archE908ELNS1_3gpuE7ELNS1_3repE0EEENS1_30default_config_static_selectorELNS0_4arch9wavefront6targetE0EEEvT1_: ; @_ZN7rocprim17ROCPRIM_400000_NS6detail17trampoline_kernelINS0_14default_configENS1_20scan_config_selectorIdEEZZNS1_9scan_implILNS1_25lookback_scan_determinismE0ELb0ELb0ES3_PKdPddZZZN2at6native31launch_logcumsumexp_cuda_kernelERKNSB_10TensorBaseESF_lENKUlvE_clEvENKUlvE_clEvEUlddE_dEEDaPvRmT3_T4_T5_mT6_P12ihipStream_tbENKUlT_T0_E_clISt17integral_constantIbLb1EESW_EEDaSR_SS_EUlSR_E_NS1_11comp_targetILNS1_3genE3ELNS1_11target_archE908ELNS1_3gpuE7ELNS1_3repE0EEENS1_30default_config_static_selectorELNS0_4arch9wavefront6targetE0EEEvT1_
; %bb.0:
	.section	.rodata,"a",@progbits
	.p2align	6, 0x0
	.amdhsa_kernel _ZN7rocprim17ROCPRIM_400000_NS6detail17trampoline_kernelINS0_14default_configENS1_20scan_config_selectorIdEEZZNS1_9scan_implILNS1_25lookback_scan_determinismE0ELb0ELb0ES3_PKdPddZZZN2at6native31launch_logcumsumexp_cuda_kernelERKNSB_10TensorBaseESF_lENKUlvE_clEvENKUlvE_clEvEUlddE_dEEDaPvRmT3_T4_T5_mT6_P12ihipStream_tbENKUlT_T0_E_clISt17integral_constantIbLb1EESW_EEDaSR_SS_EUlSR_E_NS1_11comp_targetILNS1_3genE3ELNS1_11target_archE908ELNS1_3gpuE7ELNS1_3repE0EEENS1_30default_config_static_selectorELNS0_4arch9wavefront6targetE0EEEvT1_
		.amdhsa_group_segment_fixed_size 0
		.amdhsa_private_segment_fixed_size 0
		.amdhsa_kernarg_size 104
		.amdhsa_user_sgpr_count 15
		.amdhsa_user_sgpr_dispatch_ptr 0
		.amdhsa_user_sgpr_queue_ptr 0
		.amdhsa_user_sgpr_kernarg_segment_ptr 1
		.amdhsa_user_sgpr_dispatch_id 0
		.amdhsa_user_sgpr_private_segment_size 0
		.amdhsa_wavefront_size32 1
		.amdhsa_uses_dynamic_stack 0
		.amdhsa_enable_private_segment 0
		.amdhsa_system_sgpr_workgroup_id_x 1
		.amdhsa_system_sgpr_workgroup_id_y 0
		.amdhsa_system_sgpr_workgroup_id_z 0
		.amdhsa_system_sgpr_workgroup_info 0
		.amdhsa_system_vgpr_workitem_id 0
		.amdhsa_next_free_vgpr 1
		.amdhsa_next_free_sgpr 1
		.amdhsa_reserve_vcc 0
		.amdhsa_float_round_mode_32 0
		.amdhsa_float_round_mode_16_64 0
		.amdhsa_float_denorm_mode_32 3
		.amdhsa_float_denorm_mode_16_64 3
		.amdhsa_dx10_clamp 1
		.amdhsa_ieee_mode 1
		.amdhsa_fp16_overflow 0
		.amdhsa_workgroup_processor_mode 1
		.amdhsa_memory_ordered 1
		.amdhsa_forward_progress 0
		.amdhsa_shared_vgpr_count 0
		.amdhsa_exception_fp_ieee_invalid_op 0
		.amdhsa_exception_fp_denorm_src 0
		.amdhsa_exception_fp_ieee_div_zero 0
		.amdhsa_exception_fp_ieee_overflow 0
		.amdhsa_exception_fp_ieee_underflow 0
		.amdhsa_exception_fp_ieee_inexact 0
		.amdhsa_exception_int_div_zero 0
	.end_amdhsa_kernel
	.section	.text._ZN7rocprim17ROCPRIM_400000_NS6detail17trampoline_kernelINS0_14default_configENS1_20scan_config_selectorIdEEZZNS1_9scan_implILNS1_25lookback_scan_determinismE0ELb0ELb0ES3_PKdPddZZZN2at6native31launch_logcumsumexp_cuda_kernelERKNSB_10TensorBaseESF_lENKUlvE_clEvENKUlvE_clEvEUlddE_dEEDaPvRmT3_T4_T5_mT6_P12ihipStream_tbENKUlT_T0_E_clISt17integral_constantIbLb1EESW_EEDaSR_SS_EUlSR_E_NS1_11comp_targetILNS1_3genE3ELNS1_11target_archE908ELNS1_3gpuE7ELNS1_3repE0EEENS1_30default_config_static_selectorELNS0_4arch9wavefront6targetE0EEEvT1_,"axG",@progbits,_ZN7rocprim17ROCPRIM_400000_NS6detail17trampoline_kernelINS0_14default_configENS1_20scan_config_selectorIdEEZZNS1_9scan_implILNS1_25lookback_scan_determinismE0ELb0ELb0ES3_PKdPddZZZN2at6native31launch_logcumsumexp_cuda_kernelERKNSB_10TensorBaseESF_lENKUlvE_clEvENKUlvE_clEvEUlddE_dEEDaPvRmT3_T4_T5_mT6_P12ihipStream_tbENKUlT_T0_E_clISt17integral_constantIbLb1EESW_EEDaSR_SS_EUlSR_E_NS1_11comp_targetILNS1_3genE3ELNS1_11target_archE908ELNS1_3gpuE7ELNS1_3repE0EEENS1_30default_config_static_selectorELNS0_4arch9wavefront6targetE0EEEvT1_,comdat
.Lfunc_end32:
	.size	_ZN7rocprim17ROCPRIM_400000_NS6detail17trampoline_kernelINS0_14default_configENS1_20scan_config_selectorIdEEZZNS1_9scan_implILNS1_25lookback_scan_determinismE0ELb0ELb0ES3_PKdPddZZZN2at6native31launch_logcumsumexp_cuda_kernelERKNSB_10TensorBaseESF_lENKUlvE_clEvENKUlvE_clEvEUlddE_dEEDaPvRmT3_T4_T5_mT6_P12ihipStream_tbENKUlT_T0_E_clISt17integral_constantIbLb1EESW_EEDaSR_SS_EUlSR_E_NS1_11comp_targetILNS1_3genE3ELNS1_11target_archE908ELNS1_3gpuE7ELNS1_3repE0EEENS1_30default_config_static_selectorELNS0_4arch9wavefront6targetE0EEEvT1_, .Lfunc_end32-_ZN7rocprim17ROCPRIM_400000_NS6detail17trampoline_kernelINS0_14default_configENS1_20scan_config_selectorIdEEZZNS1_9scan_implILNS1_25lookback_scan_determinismE0ELb0ELb0ES3_PKdPddZZZN2at6native31launch_logcumsumexp_cuda_kernelERKNSB_10TensorBaseESF_lENKUlvE_clEvENKUlvE_clEvEUlddE_dEEDaPvRmT3_T4_T5_mT6_P12ihipStream_tbENKUlT_T0_E_clISt17integral_constantIbLb1EESW_EEDaSR_SS_EUlSR_E_NS1_11comp_targetILNS1_3genE3ELNS1_11target_archE908ELNS1_3gpuE7ELNS1_3repE0EEENS1_30default_config_static_selectorELNS0_4arch9wavefront6targetE0EEEvT1_
                                        ; -- End function
	.section	.AMDGPU.csdata,"",@progbits
; Kernel info:
; codeLenInByte = 0
; NumSgprs: 0
; NumVgprs: 0
; ScratchSize: 0
; MemoryBound: 0
; FloatMode: 240
; IeeeMode: 1
; LDSByteSize: 0 bytes/workgroup (compile time only)
; SGPRBlocks: 0
; VGPRBlocks: 0
; NumSGPRsForWavesPerEU: 1
; NumVGPRsForWavesPerEU: 1
; Occupancy: 16
; WaveLimiterHint : 0
; COMPUTE_PGM_RSRC2:SCRATCH_EN: 0
; COMPUTE_PGM_RSRC2:USER_SGPR: 15
; COMPUTE_PGM_RSRC2:TRAP_HANDLER: 0
; COMPUTE_PGM_RSRC2:TGID_X_EN: 1
; COMPUTE_PGM_RSRC2:TGID_Y_EN: 0
; COMPUTE_PGM_RSRC2:TGID_Z_EN: 0
; COMPUTE_PGM_RSRC2:TIDIG_COMP_CNT: 0
	.section	.text._ZN7rocprim17ROCPRIM_400000_NS6detail17trampoline_kernelINS0_14default_configENS1_20scan_config_selectorIdEEZZNS1_9scan_implILNS1_25lookback_scan_determinismE0ELb0ELb0ES3_PKdPddZZZN2at6native31launch_logcumsumexp_cuda_kernelERKNSB_10TensorBaseESF_lENKUlvE_clEvENKUlvE_clEvEUlddE_dEEDaPvRmT3_T4_T5_mT6_P12ihipStream_tbENKUlT_T0_E_clISt17integral_constantIbLb1EESW_EEDaSR_SS_EUlSR_E_NS1_11comp_targetILNS1_3genE2ELNS1_11target_archE906ELNS1_3gpuE6ELNS1_3repE0EEENS1_30default_config_static_selectorELNS0_4arch9wavefront6targetE0EEEvT1_,"axG",@progbits,_ZN7rocprim17ROCPRIM_400000_NS6detail17trampoline_kernelINS0_14default_configENS1_20scan_config_selectorIdEEZZNS1_9scan_implILNS1_25lookback_scan_determinismE0ELb0ELb0ES3_PKdPddZZZN2at6native31launch_logcumsumexp_cuda_kernelERKNSB_10TensorBaseESF_lENKUlvE_clEvENKUlvE_clEvEUlddE_dEEDaPvRmT3_T4_T5_mT6_P12ihipStream_tbENKUlT_T0_E_clISt17integral_constantIbLb1EESW_EEDaSR_SS_EUlSR_E_NS1_11comp_targetILNS1_3genE2ELNS1_11target_archE906ELNS1_3gpuE6ELNS1_3repE0EEENS1_30default_config_static_selectorELNS0_4arch9wavefront6targetE0EEEvT1_,comdat
	.globl	_ZN7rocprim17ROCPRIM_400000_NS6detail17trampoline_kernelINS0_14default_configENS1_20scan_config_selectorIdEEZZNS1_9scan_implILNS1_25lookback_scan_determinismE0ELb0ELb0ES3_PKdPddZZZN2at6native31launch_logcumsumexp_cuda_kernelERKNSB_10TensorBaseESF_lENKUlvE_clEvENKUlvE_clEvEUlddE_dEEDaPvRmT3_T4_T5_mT6_P12ihipStream_tbENKUlT_T0_E_clISt17integral_constantIbLb1EESW_EEDaSR_SS_EUlSR_E_NS1_11comp_targetILNS1_3genE2ELNS1_11target_archE906ELNS1_3gpuE6ELNS1_3repE0EEENS1_30default_config_static_selectorELNS0_4arch9wavefront6targetE0EEEvT1_ ; -- Begin function _ZN7rocprim17ROCPRIM_400000_NS6detail17trampoline_kernelINS0_14default_configENS1_20scan_config_selectorIdEEZZNS1_9scan_implILNS1_25lookback_scan_determinismE0ELb0ELb0ES3_PKdPddZZZN2at6native31launch_logcumsumexp_cuda_kernelERKNSB_10TensorBaseESF_lENKUlvE_clEvENKUlvE_clEvEUlddE_dEEDaPvRmT3_T4_T5_mT6_P12ihipStream_tbENKUlT_T0_E_clISt17integral_constantIbLb1EESW_EEDaSR_SS_EUlSR_E_NS1_11comp_targetILNS1_3genE2ELNS1_11target_archE906ELNS1_3gpuE6ELNS1_3repE0EEENS1_30default_config_static_selectorELNS0_4arch9wavefront6targetE0EEEvT1_
	.p2align	8
	.type	_ZN7rocprim17ROCPRIM_400000_NS6detail17trampoline_kernelINS0_14default_configENS1_20scan_config_selectorIdEEZZNS1_9scan_implILNS1_25lookback_scan_determinismE0ELb0ELb0ES3_PKdPddZZZN2at6native31launch_logcumsumexp_cuda_kernelERKNSB_10TensorBaseESF_lENKUlvE_clEvENKUlvE_clEvEUlddE_dEEDaPvRmT3_T4_T5_mT6_P12ihipStream_tbENKUlT_T0_E_clISt17integral_constantIbLb1EESW_EEDaSR_SS_EUlSR_E_NS1_11comp_targetILNS1_3genE2ELNS1_11target_archE906ELNS1_3gpuE6ELNS1_3repE0EEENS1_30default_config_static_selectorELNS0_4arch9wavefront6targetE0EEEvT1_,@function
_ZN7rocprim17ROCPRIM_400000_NS6detail17trampoline_kernelINS0_14default_configENS1_20scan_config_selectorIdEEZZNS1_9scan_implILNS1_25lookback_scan_determinismE0ELb0ELb0ES3_PKdPddZZZN2at6native31launch_logcumsumexp_cuda_kernelERKNSB_10TensorBaseESF_lENKUlvE_clEvENKUlvE_clEvEUlddE_dEEDaPvRmT3_T4_T5_mT6_P12ihipStream_tbENKUlT_T0_E_clISt17integral_constantIbLb1EESW_EEDaSR_SS_EUlSR_E_NS1_11comp_targetILNS1_3genE2ELNS1_11target_archE906ELNS1_3gpuE6ELNS1_3repE0EEENS1_30default_config_static_selectorELNS0_4arch9wavefront6targetE0EEEvT1_: ; @_ZN7rocprim17ROCPRIM_400000_NS6detail17trampoline_kernelINS0_14default_configENS1_20scan_config_selectorIdEEZZNS1_9scan_implILNS1_25lookback_scan_determinismE0ELb0ELb0ES3_PKdPddZZZN2at6native31launch_logcumsumexp_cuda_kernelERKNSB_10TensorBaseESF_lENKUlvE_clEvENKUlvE_clEvEUlddE_dEEDaPvRmT3_T4_T5_mT6_P12ihipStream_tbENKUlT_T0_E_clISt17integral_constantIbLb1EESW_EEDaSR_SS_EUlSR_E_NS1_11comp_targetILNS1_3genE2ELNS1_11target_archE906ELNS1_3gpuE6ELNS1_3repE0EEENS1_30default_config_static_selectorELNS0_4arch9wavefront6targetE0EEEvT1_
; %bb.0:
	.section	.rodata,"a",@progbits
	.p2align	6, 0x0
	.amdhsa_kernel _ZN7rocprim17ROCPRIM_400000_NS6detail17trampoline_kernelINS0_14default_configENS1_20scan_config_selectorIdEEZZNS1_9scan_implILNS1_25lookback_scan_determinismE0ELb0ELb0ES3_PKdPddZZZN2at6native31launch_logcumsumexp_cuda_kernelERKNSB_10TensorBaseESF_lENKUlvE_clEvENKUlvE_clEvEUlddE_dEEDaPvRmT3_T4_T5_mT6_P12ihipStream_tbENKUlT_T0_E_clISt17integral_constantIbLb1EESW_EEDaSR_SS_EUlSR_E_NS1_11comp_targetILNS1_3genE2ELNS1_11target_archE906ELNS1_3gpuE6ELNS1_3repE0EEENS1_30default_config_static_selectorELNS0_4arch9wavefront6targetE0EEEvT1_
		.amdhsa_group_segment_fixed_size 0
		.amdhsa_private_segment_fixed_size 0
		.amdhsa_kernarg_size 104
		.amdhsa_user_sgpr_count 15
		.amdhsa_user_sgpr_dispatch_ptr 0
		.amdhsa_user_sgpr_queue_ptr 0
		.amdhsa_user_sgpr_kernarg_segment_ptr 1
		.amdhsa_user_sgpr_dispatch_id 0
		.amdhsa_user_sgpr_private_segment_size 0
		.amdhsa_wavefront_size32 1
		.amdhsa_uses_dynamic_stack 0
		.amdhsa_enable_private_segment 0
		.amdhsa_system_sgpr_workgroup_id_x 1
		.amdhsa_system_sgpr_workgroup_id_y 0
		.amdhsa_system_sgpr_workgroup_id_z 0
		.amdhsa_system_sgpr_workgroup_info 0
		.amdhsa_system_vgpr_workitem_id 0
		.amdhsa_next_free_vgpr 1
		.amdhsa_next_free_sgpr 1
		.amdhsa_reserve_vcc 0
		.amdhsa_float_round_mode_32 0
		.amdhsa_float_round_mode_16_64 0
		.amdhsa_float_denorm_mode_32 3
		.amdhsa_float_denorm_mode_16_64 3
		.amdhsa_dx10_clamp 1
		.amdhsa_ieee_mode 1
		.amdhsa_fp16_overflow 0
		.amdhsa_workgroup_processor_mode 1
		.amdhsa_memory_ordered 1
		.amdhsa_forward_progress 0
		.amdhsa_shared_vgpr_count 0
		.amdhsa_exception_fp_ieee_invalid_op 0
		.amdhsa_exception_fp_denorm_src 0
		.amdhsa_exception_fp_ieee_div_zero 0
		.amdhsa_exception_fp_ieee_overflow 0
		.amdhsa_exception_fp_ieee_underflow 0
		.amdhsa_exception_fp_ieee_inexact 0
		.amdhsa_exception_int_div_zero 0
	.end_amdhsa_kernel
	.section	.text._ZN7rocprim17ROCPRIM_400000_NS6detail17trampoline_kernelINS0_14default_configENS1_20scan_config_selectorIdEEZZNS1_9scan_implILNS1_25lookback_scan_determinismE0ELb0ELb0ES3_PKdPddZZZN2at6native31launch_logcumsumexp_cuda_kernelERKNSB_10TensorBaseESF_lENKUlvE_clEvENKUlvE_clEvEUlddE_dEEDaPvRmT3_T4_T5_mT6_P12ihipStream_tbENKUlT_T0_E_clISt17integral_constantIbLb1EESW_EEDaSR_SS_EUlSR_E_NS1_11comp_targetILNS1_3genE2ELNS1_11target_archE906ELNS1_3gpuE6ELNS1_3repE0EEENS1_30default_config_static_selectorELNS0_4arch9wavefront6targetE0EEEvT1_,"axG",@progbits,_ZN7rocprim17ROCPRIM_400000_NS6detail17trampoline_kernelINS0_14default_configENS1_20scan_config_selectorIdEEZZNS1_9scan_implILNS1_25lookback_scan_determinismE0ELb0ELb0ES3_PKdPddZZZN2at6native31launch_logcumsumexp_cuda_kernelERKNSB_10TensorBaseESF_lENKUlvE_clEvENKUlvE_clEvEUlddE_dEEDaPvRmT3_T4_T5_mT6_P12ihipStream_tbENKUlT_T0_E_clISt17integral_constantIbLb1EESW_EEDaSR_SS_EUlSR_E_NS1_11comp_targetILNS1_3genE2ELNS1_11target_archE906ELNS1_3gpuE6ELNS1_3repE0EEENS1_30default_config_static_selectorELNS0_4arch9wavefront6targetE0EEEvT1_,comdat
.Lfunc_end33:
	.size	_ZN7rocprim17ROCPRIM_400000_NS6detail17trampoline_kernelINS0_14default_configENS1_20scan_config_selectorIdEEZZNS1_9scan_implILNS1_25lookback_scan_determinismE0ELb0ELb0ES3_PKdPddZZZN2at6native31launch_logcumsumexp_cuda_kernelERKNSB_10TensorBaseESF_lENKUlvE_clEvENKUlvE_clEvEUlddE_dEEDaPvRmT3_T4_T5_mT6_P12ihipStream_tbENKUlT_T0_E_clISt17integral_constantIbLb1EESW_EEDaSR_SS_EUlSR_E_NS1_11comp_targetILNS1_3genE2ELNS1_11target_archE906ELNS1_3gpuE6ELNS1_3repE0EEENS1_30default_config_static_selectorELNS0_4arch9wavefront6targetE0EEEvT1_, .Lfunc_end33-_ZN7rocprim17ROCPRIM_400000_NS6detail17trampoline_kernelINS0_14default_configENS1_20scan_config_selectorIdEEZZNS1_9scan_implILNS1_25lookback_scan_determinismE0ELb0ELb0ES3_PKdPddZZZN2at6native31launch_logcumsumexp_cuda_kernelERKNSB_10TensorBaseESF_lENKUlvE_clEvENKUlvE_clEvEUlddE_dEEDaPvRmT3_T4_T5_mT6_P12ihipStream_tbENKUlT_T0_E_clISt17integral_constantIbLb1EESW_EEDaSR_SS_EUlSR_E_NS1_11comp_targetILNS1_3genE2ELNS1_11target_archE906ELNS1_3gpuE6ELNS1_3repE0EEENS1_30default_config_static_selectorELNS0_4arch9wavefront6targetE0EEEvT1_
                                        ; -- End function
	.section	.AMDGPU.csdata,"",@progbits
; Kernel info:
; codeLenInByte = 0
; NumSgprs: 0
; NumVgprs: 0
; ScratchSize: 0
; MemoryBound: 0
; FloatMode: 240
; IeeeMode: 1
; LDSByteSize: 0 bytes/workgroup (compile time only)
; SGPRBlocks: 0
; VGPRBlocks: 0
; NumSGPRsForWavesPerEU: 1
; NumVGPRsForWavesPerEU: 1
; Occupancy: 16
; WaveLimiterHint : 0
; COMPUTE_PGM_RSRC2:SCRATCH_EN: 0
; COMPUTE_PGM_RSRC2:USER_SGPR: 15
; COMPUTE_PGM_RSRC2:TRAP_HANDLER: 0
; COMPUTE_PGM_RSRC2:TGID_X_EN: 1
; COMPUTE_PGM_RSRC2:TGID_Y_EN: 0
; COMPUTE_PGM_RSRC2:TGID_Z_EN: 0
; COMPUTE_PGM_RSRC2:TIDIG_COMP_CNT: 0
	.section	.text._ZN7rocprim17ROCPRIM_400000_NS6detail17trampoline_kernelINS0_14default_configENS1_20scan_config_selectorIdEEZZNS1_9scan_implILNS1_25lookback_scan_determinismE0ELb0ELb0ES3_PKdPddZZZN2at6native31launch_logcumsumexp_cuda_kernelERKNSB_10TensorBaseESF_lENKUlvE_clEvENKUlvE_clEvEUlddE_dEEDaPvRmT3_T4_T5_mT6_P12ihipStream_tbENKUlT_T0_E_clISt17integral_constantIbLb1EESW_EEDaSR_SS_EUlSR_E_NS1_11comp_targetILNS1_3genE10ELNS1_11target_archE1201ELNS1_3gpuE5ELNS1_3repE0EEENS1_30default_config_static_selectorELNS0_4arch9wavefront6targetE0EEEvT1_,"axG",@progbits,_ZN7rocprim17ROCPRIM_400000_NS6detail17trampoline_kernelINS0_14default_configENS1_20scan_config_selectorIdEEZZNS1_9scan_implILNS1_25lookback_scan_determinismE0ELb0ELb0ES3_PKdPddZZZN2at6native31launch_logcumsumexp_cuda_kernelERKNSB_10TensorBaseESF_lENKUlvE_clEvENKUlvE_clEvEUlddE_dEEDaPvRmT3_T4_T5_mT6_P12ihipStream_tbENKUlT_T0_E_clISt17integral_constantIbLb1EESW_EEDaSR_SS_EUlSR_E_NS1_11comp_targetILNS1_3genE10ELNS1_11target_archE1201ELNS1_3gpuE5ELNS1_3repE0EEENS1_30default_config_static_selectorELNS0_4arch9wavefront6targetE0EEEvT1_,comdat
	.globl	_ZN7rocprim17ROCPRIM_400000_NS6detail17trampoline_kernelINS0_14default_configENS1_20scan_config_selectorIdEEZZNS1_9scan_implILNS1_25lookback_scan_determinismE0ELb0ELb0ES3_PKdPddZZZN2at6native31launch_logcumsumexp_cuda_kernelERKNSB_10TensorBaseESF_lENKUlvE_clEvENKUlvE_clEvEUlddE_dEEDaPvRmT3_T4_T5_mT6_P12ihipStream_tbENKUlT_T0_E_clISt17integral_constantIbLb1EESW_EEDaSR_SS_EUlSR_E_NS1_11comp_targetILNS1_3genE10ELNS1_11target_archE1201ELNS1_3gpuE5ELNS1_3repE0EEENS1_30default_config_static_selectorELNS0_4arch9wavefront6targetE0EEEvT1_ ; -- Begin function _ZN7rocprim17ROCPRIM_400000_NS6detail17trampoline_kernelINS0_14default_configENS1_20scan_config_selectorIdEEZZNS1_9scan_implILNS1_25lookback_scan_determinismE0ELb0ELb0ES3_PKdPddZZZN2at6native31launch_logcumsumexp_cuda_kernelERKNSB_10TensorBaseESF_lENKUlvE_clEvENKUlvE_clEvEUlddE_dEEDaPvRmT3_T4_T5_mT6_P12ihipStream_tbENKUlT_T0_E_clISt17integral_constantIbLb1EESW_EEDaSR_SS_EUlSR_E_NS1_11comp_targetILNS1_3genE10ELNS1_11target_archE1201ELNS1_3gpuE5ELNS1_3repE0EEENS1_30default_config_static_selectorELNS0_4arch9wavefront6targetE0EEEvT1_
	.p2align	8
	.type	_ZN7rocprim17ROCPRIM_400000_NS6detail17trampoline_kernelINS0_14default_configENS1_20scan_config_selectorIdEEZZNS1_9scan_implILNS1_25lookback_scan_determinismE0ELb0ELb0ES3_PKdPddZZZN2at6native31launch_logcumsumexp_cuda_kernelERKNSB_10TensorBaseESF_lENKUlvE_clEvENKUlvE_clEvEUlddE_dEEDaPvRmT3_T4_T5_mT6_P12ihipStream_tbENKUlT_T0_E_clISt17integral_constantIbLb1EESW_EEDaSR_SS_EUlSR_E_NS1_11comp_targetILNS1_3genE10ELNS1_11target_archE1201ELNS1_3gpuE5ELNS1_3repE0EEENS1_30default_config_static_selectorELNS0_4arch9wavefront6targetE0EEEvT1_,@function
_ZN7rocprim17ROCPRIM_400000_NS6detail17trampoline_kernelINS0_14default_configENS1_20scan_config_selectorIdEEZZNS1_9scan_implILNS1_25lookback_scan_determinismE0ELb0ELb0ES3_PKdPddZZZN2at6native31launch_logcumsumexp_cuda_kernelERKNSB_10TensorBaseESF_lENKUlvE_clEvENKUlvE_clEvEUlddE_dEEDaPvRmT3_T4_T5_mT6_P12ihipStream_tbENKUlT_T0_E_clISt17integral_constantIbLb1EESW_EEDaSR_SS_EUlSR_E_NS1_11comp_targetILNS1_3genE10ELNS1_11target_archE1201ELNS1_3gpuE5ELNS1_3repE0EEENS1_30default_config_static_selectorELNS0_4arch9wavefront6targetE0EEEvT1_: ; @_ZN7rocprim17ROCPRIM_400000_NS6detail17trampoline_kernelINS0_14default_configENS1_20scan_config_selectorIdEEZZNS1_9scan_implILNS1_25lookback_scan_determinismE0ELb0ELb0ES3_PKdPddZZZN2at6native31launch_logcumsumexp_cuda_kernelERKNSB_10TensorBaseESF_lENKUlvE_clEvENKUlvE_clEvEUlddE_dEEDaPvRmT3_T4_T5_mT6_P12ihipStream_tbENKUlT_T0_E_clISt17integral_constantIbLb1EESW_EEDaSR_SS_EUlSR_E_NS1_11comp_targetILNS1_3genE10ELNS1_11target_archE1201ELNS1_3gpuE5ELNS1_3repE0EEENS1_30default_config_static_selectorELNS0_4arch9wavefront6targetE0EEEvT1_
; %bb.0:
	.section	.rodata,"a",@progbits
	.p2align	6, 0x0
	.amdhsa_kernel _ZN7rocprim17ROCPRIM_400000_NS6detail17trampoline_kernelINS0_14default_configENS1_20scan_config_selectorIdEEZZNS1_9scan_implILNS1_25lookback_scan_determinismE0ELb0ELb0ES3_PKdPddZZZN2at6native31launch_logcumsumexp_cuda_kernelERKNSB_10TensorBaseESF_lENKUlvE_clEvENKUlvE_clEvEUlddE_dEEDaPvRmT3_T4_T5_mT6_P12ihipStream_tbENKUlT_T0_E_clISt17integral_constantIbLb1EESW_EEDaSR_SS_EUlSR_E_NS1_11comp_targetILNS1_3genE10ELNS1_11target_archE1201ELNS1_3gpuE5ELNS1_3repE0EEENS1_30default_config_static_selectorELNS0_4arch9wavefront6targetE0EEEvT1_
		.amdhsa_group_segment_fixed_size 0
		.amdhsa_private_segment_fixed_size 0
		.amdhsa_kernarg_size 104
		.amdhsa_user_sgpr_count 15
		.amdhsa_user_sgpr_dispatch_ptr 0
		.amdhsa_user_sgpr_queue_ptr 0
		.amdhsa_user_sgpr_kernarg_segment_ptr 1
		.amdhsa_user_sgpr_dispatch_id 0
		.amdhsa_user_sgpr_private_segment_size 0
		.amdhsa_wavefront_size32 1
		.amdhsa_uses_dynamic_stack 0
		.amdhsa_enable_private_segment 0
		.amdhsa_system_sgpr_workgroup_id_x 1
		.amdhsa_system_sgpr_workgroup_id_y 0
		.amdhsa_system_sgpr_workgroup_id_z 0
		.amdhsa_system_sgpr_workgroup_info 0
		.amdhsa_system_vgpr_workitem_id 0
		.amdhsa_next_free_vgpr 1
		.amdhsa_next_free_sgpr 1
		.amdhsa_reserve_vcc 0
		.amdhsa_float_round_mode_32 0
		.amdhsa_float_round_mode_16_64 0
		.amdhsa_float_denorm_mode_32 3
		.amdhsa_float_denorm_mode_16_64 3
		.amdhsa_dx10_clamp 1
		.amdhsa_ieee_mode 1
		.amdhsa_fp16_overflow 0
		.amdhsa_workgroup_processor_mode 1
		.amdhsa_memory_ordered 1
		.amdhsa_forward_progress 0
		.amdhsa_shared_vgpr_count 0
		.amdhsa_exception_fp_ieee_invalid_op 0
		.amdhsa_exception_fp_denorm_src 0
		.amdhsa_exception_fp_ieee_div_zero 0
		.amdhsa_exception_fp_ieee_overflow 0
		.amdhsa_exception_fp_ieee_underflow 0
		.amdhsa_exception_fp_ieee_inexact 0
		.amdhsa_exception_int_div_zero 0
	.end_amdhsa_kernel
	.section	.text._ZN7rocprim17ROCPRIM_400000_NS6detail17trampoline_kernelINS0_14default_configENS1_20scan_config_selectorIdEEZZNS1_9scan_implILNS1_25lookback_scan_determinismE0ELb0ELb0ES3_PKdPddZZZN2at6native31launch_logcumsumexp_cuda_kernelERKNSB_10TensorBaseESF_lENKUlvE_clEvENKUlvE_clEvEUlddE_dEEDaPvRmT3_T4_T5_mT6_P12ihipStream_tbENKUlT_T0_E_clISt17integral_constantIbLb1EESW_EEDaSR_SS_EUlSR_E_NS1_11comp_targetILNS1_3genE10ELNS1_11target_archE1201ELNS1_3gpuE5ELNS1_3repE0EEENS1_30default_config_static_selectorELNS0_4arch9wavefront6targetE0EEEvT1_,"axG",@progbits,_ZN7rocprim17ROCPRIM_400000_NS6detail17trampoline_kernelINS0_14default_configENS1_20scan_config_selectorIdEEZZNS1_9scan_implILNS1_25lookback_scan_determinismE0ELb0ELb0ES3_PKdPddZZZN2at6native31launch_logcumsumexp_cuda_kernelERKNSB_10TensorBaseESF_lENKUlvE_clEvENKUlvE_clEvEUlddE_dEEDaPvRmT3_T4_T5_mT6_P12ihipStream_tbENKUlT_T0_E_clISt17integral_constantIbLb1EESW_EEDaSR_SS_EUlSR_E_NS1_11comp_targetILNS1_3genE10ELNS1_11target_archE1201ELNS1_3gpuE5ELNS1_3repE0EEENS1_30default_config_static_selectorELNS0_4arch9wavefront6targetE0EEEvT1_,comdat
.Lfunc_end34:
	.size	_ZN7rocprim17ROCPRIM_400000_NS6detail17trampoline_kernelINS0_14default_configENS1_20scan_config_selectorIdEEZZNS1_9scan_implILNS1_25lookback_scan_determinismE0ELb0ELb0ES3_PKdPddZZZN2at6native31launch_logcumsumexp_cuda_kernelERKNSB_10TensorBaseESF_lENKUlvE_clEvENKUlvE_clEvEUlddE_dEEDaPvRmT3_T4_T5_mT6_P12ihipStream_tbENKUlT_T0_E_clISt17integral_constantIbLb1EESW_EEDaSR_SS_EUlSR_E_NS1_11comp_targetILNS1_3genE10ELNS1_11target_archE1201ELNS1_3gpuE5ELNS1_3repE0EEENS1_30default_config_static_selectorELNS0_4arch9wavefront6targetE0EEEvT1_, .Lfunc_end34-_ZN7rocprim17ROCPRIM_400000_NS6detail17trampoline_kernelINS0_14default_configENS1_20scan_config_selectorIdEEZZNS1_9scan_implILNS1_25lookback_scan_determinismE0ELb0ELb0ES3_PKdPddZZZN2at6native31launch_logcumsumexp_cuda_kernelERKNSB_10TensorBaseESF_lENKUlvE_clEvENKUlvE_clEvEUlddE_dEEDaPvRmT3_T4_T5_mT6_P12ihipStream_tbENKUlT_T0_E_clISt17integral_constantIbLb1EESW_EEDaSR_SS_EUlSR_E_NS1_11comp_targetILNS1_3genE10ELNS1_11target_archE1201ELNS1_3gpuE5ELNS1_3repE0EEENS1_30default_config_static_selectorELNS0_4arch9wavefront6targetE0EEEvT1_
                                        ; -- End function
	.section	.AMDGPU.csdata,"",@progbits
; Kernel info:
; codeLenInByte = 0
; NumSgprs: 0
; NumVgprs: 0
; ScratchSize: 0
; MemoryBound: 0
; FloatMode: 240
; IeeeMode: 1
; LDSByteSize: 0 bytes/workgroup (compile time only)
; SGPRBlocks: 0
; VGPRBlocks: 0
; NumSGPRsForWavesPerEU: 1
; NumVGPRsForWavesPerEU: 1
; Occupancy: 16
; WaveLimiterHint : 0
; COMPUTE_PGM_RSRC2:SCRATCH_EN: 0
; COMPUTE_PGM_RSRC2:USER_SGPR: 15
; COMPUTE_PGM_RSRC2:TRAP_HANDLER: 0
; COMPUTE_PGM_RSRC2:TGID_X_EN: 1
; COMPUTE_PGM_RSRC2:TGID_Y_EN: 0
; COMPUTE_PGM_RSRC2:TGID_Z_EN: 0
; COMPUTE_PGM_RSRC2:TIDIG_COMP_CNT: 0
	.section	.text._ZN7rocprim17ROCPRIM_400000_NS6detail17trampoline_kernelINS0_14default_configENS1_20scan_config_selectorIdEEZZNS1_9scan_implILNS1_25lookback_scan_determinismE0ELb0ELb0ES3_PKdPddZZZN2at6native31launch_logcumsumexp_cuda_kernelERKNSB_10TensorBaseESF_lENKUlvE_clEvENKUlvE_clEvEUlddE_dEEDaPvRmT3_T4_T5_mT6_P12ihipStream_tbENKUlT_T0_E_clISt17integral_constantIbLb1EESW_EEDaSR_SS_EUlSR_E_NS1_11comp_targetILNS1_3genE10ELNS1_11target_archE1200ELNS1_3gpuE4ELNS1_3repE0EEENS1_30default_config_static_selectorELNS0_4arch9wavefront6targetE0EEEvT1_,"axG",@progbits,_ZN7rocprim17ROCPRIM_400000_NS6detail17trampoline_kernelINS0_14default_configENS1_20scan_config_selectorIdEEZZNS1_9scan_implILNS1_25lookback_scan_determinismE0ELb0ELb0ES3_PKdPddZZZN2at6native31launch_logcumsumexp_cuda_kernelERKNSB_10TensorBaseESF_lENKUlvE_clEvENKUlvE_clEvEUlddE_dEEDaPvRmT3_T4_T5_mT6_P12ihipStream_tbENKUlT_T0_E_clISt17integral_constantIbLb1EESW_EEDaSR_SS_EUlSR_E_NS1_11comp_targetILNS1_3genE10ELNS1_11target_archE1200ELNS1_3gpuE4ELNS1_3repE0EEENS1_30default_config_static_selectorELNS0_4arch9wavefront6targetE0EEEvT1_,comdat
	.globl	_ZN7rocprim17ROCPRIM_400000_NS6detail17trampoline_kernelINS0_14default_configENS1_20scan_config_selectorIdEEZZNS1_9scan_implILNS1_25lookback_scan_determinismE0ELb0ELb0ES3_PKdPddZZZN2at6native31launch_logcumsumexp_cuda_kernelERKNSB_10TensorBaseESF_lENKUlvE_clEvENKUlvE_clEvEUlddE_dEEDaPvRmT3_T4_T5_mT6_P12ihipStream_tbENKUlT_T0_E_clISt17integral_constantIbLb1EESW_EEDaSR_SS_EUlSR_E_NS1_11comp_targetILNS1_3genE10ELNS1_11target_archE1200ELNS1_3gpuE4ELNS1_3repE0EEENS1_30default_config_static_selectorELNS0_4arch9wavefront6targetE0EEEvT1_ ; -- Begin function _ZN7rocprim17ROCPRIM_400000_NS6detail17trampoline_kernelINS0_14default_configENS1_20scan_config_selectorIdEEZZNS1_9scan_implILNS1_25lookback_scan_determinismE0ELb0ELb0ES3_PKdPddZZZN2at6native31launch_logcumsumexp_cuda_kernelERKNSB_10TensorBaseESF_lENKUlvE_clEvENKUlvE_clEvEUlddE_dEEDaPvRmT3_T4_T5_mT6_P12ihipStream_tbENKUlT_T0_E_clISt17integral_constantIbLb1EESW_EEDaSR_SS_EUlSR_E_NS1_11comp_targetILNS1_3genE10ELNS1_11target_archE1200ELNS1_3gpuE4ELNS1_3repE0EEENS1_30default_config_static_selectorELNS0_4arch9wavefront6targetE0EEEvT1_
	.p2align	8
	.type	_ZN7rocprim17ROCPRIM_400000_NS6detail17trampoline_kernelINS0_14default_configENS1_20scan_config_selectorIdEEZZNS1_9scan_implILNS1_25lookback_scan_determinismE0ELb0ELb0ES3_PKdPddZZZN2at6native31launch_logcumsumexp_cuda_kernelERKNSB_10TensorBaseESF_lENKUlvE_clEvENKUlvE_clEvEUlddE_dEEDaPvRmT3_T4_T5_mT6_P12ihipStream_tbENKUlT_T0_E_clISt17integral_constantIbLb1EESW_EEDaSR_SS_EUlSR_E_NS1_11comp_targetILNS1_3genE10ELNS1_11target_archE1200ELNS1_3gpuE4ELNS1_3repE0EEENS1_30default_config_static_selectorELNS0_4arch9wavefront6targetE0EEEvT1_,@function
_ZN7rocprim17ROCPRIM_400000_NS6detail17trampoline_kernelINS0_14default_configENS1_20scan_config_selectorIdEEZZNS1_9scan_implILNS1_25lookback_scan_determinismE0ELb0ELb0ES3_PKdPddZZZN2at6native31launch_logcumsumexp_cuda_kernelERKNSB_10TensorBaseESF_lENKUlvE_clEvENKUlvE_clEvEUlddE_dEEDaPvRmT3_T4_T5_mT6_P12ihipStream_tbENKUlT_T0_E_clISt17integral_constantIbLb1EESW_EEDaSR_SS_EUlSR_E_NS1_11comp_targetILNS1_3genE10ELNS1_11target_archE1200ELNS1_3gpuE4ELNS1_3repE0EEENS1_30default_config_static_selectorELNS0_4arch9wavefront6targetE0EEEvT1_: ; @_ZN7rocprim17ROCPRIM_400000_NS6detail17trampoline_kernelINS0_14default_configENS1_20scan_config_selectorIdEEZZNS1_9scan_implILNS1_25lookback_scan_determinismE0ELb0ELb0ES3_PKdPddZZZN2at6native31launch_logcumsumexp_cuda_kernelERKNSB_10TensorBaseESF_lENKUlvE_clEvENKUlvE_clEvEUlddE_dEEDaPvRmT3_T4_T5_mT6_P12ihipStream_tbENKUlT_T0_E_clISt17integral_constantIbLb1EESW_EEDaSR_SS_EUlSR_E_NS1_11comp_targetILNS1_3genE10ELNS1_11target_archE1200ELNS1_3gpuE4ELNS1_3repE0EEENS1_30default_config_static_selectorELNS0_4arch9wavefront6targetE0EEEvT1_
; %bb.0:
	.section	.rodata,"a",@progbits
	.p2align	6, 0x0
	.amdhsa_kernel _ZN7rocprim17ROCPRIM_400000_NS6detail17trampoline_kernelINS0_14default_configENS1_20scan_config_selectorIdEEZZNS1_9scan_implILNS1_25lookback_scan_determinismE0ELb0ELb0ES3_PKdPddZZZN2at6native31launch_logcumsumexp_cuda_kernelERKNSB_10TensorBaseESF_lENKUlvE_clEvENKUlvE_clEvEUlddE_dEEDaPvRmT3_T4_T5_mT6_P12ihipStream_tbENKUlT_T0_E_clISt17integral_constantIbLb1EESW_EEDaSR_SS_EUlSR_E_NS1_11comp_targetILNS1_3genE10ELNS1_11target_archE1200ELNS1_3gpuE4ELNS1_3repE0EEENS1_30default_config_static_selectorELNS0_4arch9wavefront6targetE0EEEvT1_
		.amdhsa_group_segment_fixed_size 0
		.amdhsa_private_segment_fixed_size 0
		.amdhsa_kernarg_size 104
		.amdhsa_user_sgpr_count 15
		.amdhsa_user_sgpr_dispatch_ptr 0
		.amdhsa_user_sgpr_queue_ptr 0
		.amdhsa_user_sgpr_kernarg_segment_ptr 1
		.amdhsa_user_sgpr_dispatch_id 0
		.amdhsa_user_sgpr_private_segment_size 0
		.amdhsa_wavefront_size32 1
		.amdhsa_uses_dynamic_stack 0
		.amdhsa_enable_private_segment 0
		.amdhsa_system_sgpr_workgroup_id_x 1
		.amdhsa_system_sgpr_workgroup_id_y 0
		.amdhsa_system_sgpr_workgroup_id_z 0
		.amdhsa_system_sgpr_workgroup_info 0
		.amdhsa_system_vgpr_workitem_id 0
		.amdhsa_next_free_vgpr 1
		.amdhsa_next_free_sgpr 1
		.amdhsa_reserve_vcc 0
		.amdhsa_float_round_mode_32 0
		.amdhsa_float_round_mode_16_64 0
		.amdhsa_float_denorm_mode_32 3
		.amdhsa_float_denorm_mode_16_64 3
		.amdhsa_dx10_clamp 1
		.amdhsa_ieee_mode 1
		.amdhsa_fp16_overflow 0
		.amdhsa_workgroup_processor_mode 1
		.amdhsa_memory_ordered 1
		.amdhsa_forward_progress 0
		.amdhsa_shared_vgpr_count 0
		.amdhsa_exception_fp_ieee_invalid_op 0
		.amdhsa_exception_fp_denorm_src 0
		.amdhsa_exception_fp_ieee_div_zero 0
		.amdhsa_exception_fp_ieee_overflow 0
		.amdhsa_exception_fp_ieee_underflow 0
		.amdhsa_exception_fp_ieee_inexact 0
		.amdhsa_exception_int_div_zero 0
	.end_amdhsa_kernel
	.section	.text._ZN7rocprim17ROCPRIM_400000_NS6detail17trampoline_kernelINS0_14default_configENS1_20scan_config_selectorIdEEZZNS1_9scan_implILNS1_25lookback_scan_determinismE0ELb0ELb0ES3_PKdPddZZZN2at6native31launch_logcumsumexp_cuda_kernelERKNSB_10TensorBaseESF_lENKUlvE_clEvENKUlvE_clEvEUlddE_dEEDaPvRmT3_T4_T5_mT6_P12ihipStream_tbENKUlT_T0_E_clISt17integral_constantIbLb1EESW_EEDaSR_SS_EUlSR_E_NS1_11comp_targetILNS1_3genE10ELNS1_11target_archE1200ELNS1_3gpuE4ELNS1_3repE0EEENS1_30default_config_static_selectorELNS0_4arch9wavefront6targetE0EEEvT1_,"axG",@progbits,_ZN7rocprim17ROCPRIM_400000_NS6detail17trampoline_kernelINS0_14default_configENS1_20scan_config_selectorIdEEZZNS1_9scan_implILNS1_25lookback_scan_determinismE0ELb0ELb0ES3_PKdPddZZZN2at6native31launch_logcumsumexp_cuda_kernelERKNSB_10TensorBaseESF_lENKUlvE_clEvENKUlvE_clEvEUlddE_dEEDaPvRmT3_T4_T5_mT6_P12ihipStream_tbENKUlT_T0_E_clISt17integral_constantIbLb1EESW_EEDaSR_SS_EUlSR_E_NS1_11comp_targetILNS1_3genE10ELNS1_11target_archE1200ELNS1_3gpuE4ELNS1_3repE0EEENS1_30default_config_static_selectorELNS0_4arch9wavefront6targetE0EEEvT1_,comdat
.Lfunc_end35:
	.size	_ZN7rocprim17ROCPRIM_400000_NS6detail17trampoline_kernelINS0_14default_configENS1_20scan_config_selectorIdEEZZNS1_9scan_implILNS1_25lookback_scan_determinismE0ELb0ELb0ES3_PKdPddZZZN2at6native31launch_logcumsumexp_cuda_kernelERKNSB_10TensorBaseESF_lENKUlvE_clEvENKUlvE_clEvEUlddE_dEEDaPvRmT3_T4_T5_mT6_P12ihipStream_tbENKUlT_T0_E_clISt17integral_constantIbLb1EESW_EEDaSR_SS_EUlSR_E_NS1_11comp_targetILNS1_3genE10ELNS1_11target_archE1200ELNS1_3gpuE4ELNS1_3repE0EEENS1_30default_config_static_selectorELNS0_4arch9wavefront6targetE0EEEvT1_, .Lfunc_end35-_ZN7rocprim17ROCPRIM_400000_NS6detail17trampoline_kernelINS0_14default_configENS1_20scan_config_selectorIdEEZZNS1_9scan_implILNS1_25lookback_scan_determinismE0ELb0ELb0ES3_PKdPddZZZN2at6native31launch_logcumsumexp_cuda_kernelERKNSB_10TensorBaseESF_lENKUlvE_clEvENKUlvE_clEvEUlddE_dEEDaPvRmT3_T4_T5_mT6_P12ihipStream_tbENKUlT_T0_E_clISt17integral_constantIbLb1EESW_EEDaSR_SS_EUlSR_E_NS1_11comp_targetILNS1_3genE10ELNS1_11target_archE1200ELNS1_3gpuE4ELNS1_3repE0EEENS1_30default_config_static_selectorELNS0_4arch9wavefront6targetE0EEEvT1_
                                        ; -- End function
	.section	.AMDGPU.csdata,"",@progbits
; Kernel info:
; codeLenInByte = 0
; NumSgprs: 0
; NumVgprs: 0
; ScratchSize: 0
; MemoryBound: 0
; FloatMode: 240
; IeeeMode: 1
; LDSByteSize: 0 bytes/workgroup (compile time only)
; SGPRBlocks: 0
; VGPRBlocks: 0
; NumSGPRsForWavesPerEU: 1
; NumVGPRsForWavesPerEU: 1
; Occupancy: 16
; WaveLimiterHint : 0
; COMPUTE_PGM_RSRC2:SCRATCH_EN: 0
; COMPUTE_PGM_RSRC2:USER_SGPR: 15
; COMPUTE_PGM_RSRC2:TRAP_HANDLER: 0
; COMPUTE_PGM_RSRC2:TGID_X_EN: 1
; COMPUTE_PGM_RSRC2:TGID_Y_EN: 0
; COMPUTE_PGM_RSRC2:TGID_Z_EN: 0
; COMPUTE_PGM_RSRC2:TIDIG_COMP_CNT: 0
	.text
	.p2align	2                               ; -- Begin function _ZZZN7rocprim17ROCPRIM_400000_NS6detail9scan_implILNS1_25lookback_scan_determinismE0ELb0ELb0ENS0_14default_configEPKdPddZZZN2at6native31launch_logcumsumexp_cuda_kernelERKNS8_10TensorBaseESC_lENKUlvE_clEvENKUlvE_clEvEUlddE_dEEDaPvRmT3_T4_T5_mT6_P12ihipStream_tbENKUlT_T0_E_clISt17integral_constantIbLb1EEST_EEDaSO_SP_ENKUlSO_E_clINS1_13target_configIS4_NS1_20scan_config_selectorIdEENS1_11comp_targetILNS1_3genE9ELNS1_11target_archE1100ELNS1_3gpuE3ELNS1_3repE0EEELNS0_4arch9wavefront6targetE0EEEEEDaSO_
	.type	_ZZZN7rocprim17ROCPRIM_400000_NS6detail9scan_implILNS1_25lookback_scan_determinismE0ELb0ELb0ENS0_14default_configEPKdPddZZZN2at6native31launch_logcumsumexp_cuda_kernelERKNS8_10TensorBaseESC_lENKUlvE_clEvENKUlvE_clEvEUlddE_dEEDaPvRmT3_T4_T5_mT6_P12ihipStream_tbENKUlT_T0_E_clISt17integral_constantIbLb1EEST_EEDaSO_SP_ENKUlSO_E_clINS1_13target_configIS4_NS1_20scan_config_selectorIdEENS1_11comp_targetILNS1_3genE9ELNS1_11target_archE1100ELNS1_3gpuE3ELNS1_3repE0EEELNS0_4arch9wavefront6targetE0EEEEEDaSO_,@function
_ZZZN7rocprim17ROCPRIM_400000_NS6detail9scan_implILNS1_25lookback_scan_determinismE0ELb0ELb0ENS0_14default_configEPKdPddZZZN2at6native31launch_logcumsumexp_cuda_kernelERKNS8_10TensorBaseESC_lENKUlvE_clEvENKUlvE_clEvEUlddE_dEEDaPvRmT3_T4_T5_mT6_P12ihipStream_tbENKUlT_T0_E_clISt17integral_constantIbLb1EEST_EEDaSO_SP_ENKUlSO_E_clINS1_13target_configIS4_NS1_20scan_config_selectorIdEENS1_11comp_targetILNS1_3genE9ELNS1_11target_archE1100ELNS1_3gpuE3ELNS1_3repE0EEELNS0_4arch9wavefront6targetE0EEEEEDaSO_: ; @_ZZZN7rocprim17ROCPRIM_400000_NS6detail9scan_implILNS1_25lookback_scan_determinismE0ELb0ELb0ENS0_14default_configEPKdPddZZZN2at6native31launch_logcumsumexp_cuda_kernelERKNS8_10TensorBaseESC_lENKUlvE_clEvENKUlvE_clEvEUlddE_dEEDaPvRmT3_T4_T5_mT6_P12ihipStream_tbENKUlT_T0_E_clISt17integral_constantIbLb1EEST_EEDaSO_SP_ENKUlSO_E_clINS1_13target_configIS4_NS1_20scan_config_selectorIdEENS1_11comp_targetILNS1_3genE9ELNS1_11target_archE1100ELNS1_3gpuE3ELNS1_3repE0EEELNS0_4arch9wavefront6targetE0EEEEEDaSO_
; %bb.0:
	s_waitcnt vmcnt(0) expcnt(0) lgkmcnt(0)
	s_or_saveexec_b32 s0, -1
	scratch_store_b32 off, v46, s32         ; 4-byte Folded Spill
	s_mov_b32 exec_lo, s0
	v_writelane_b32 v46, s30, 0
	v_writelane_b32 v46, s31, 1
	s_clause 0x4
	flat_load_b128 v[2:5], v[0:1]
	flat_load_b128 v[52:55], v[0:1] offset:16
	flat_load_b96 v[116:118], v[0:1] offset:48
	flat_load_b128 v[36:39], v[0:1] offset:64
	flat_load_b128 v[48:51], v[0:1] offset:80
	v_and_b32_e32 v128, 0x3ff, v31
	s_delay_alu instid0(VALU_DEP_1) | instskip(SKIP_1) | instid1(VALU_DEP_1)
	v_cmp_ne_u32_e64 s1, 0, v128
	v_cmp_eq_u32_e64 s2, 0, v128
	s_and_saveexec_b32 s0, s2
	s_cbranch_execz .LBB36_2
; %bb.1:
	flat_load_b64 v[0:1], v[0:1] offset:96
	v_mov_b32_e32 v6, 1
	s_waitcnt vmcnt(0) lgkmcnt(0)
	flat_atomic_add_u32 v0, v[0:1], v6 glc
	v_mov_b32_e32 v1, 0
	s_waitcnt vmcnt(0) lgkmcnt(0)
	ds_store_b32 v1, v0
.LBB36_2:
	s_or_b32 exec_lo, exec_lo, s0
	v_mov_b32_e32 v1, 0
	s_waitcnt vmcnt(0) lgkmcnt(0)
	s_waitcnt_vscnt null, 0x0
	s_barrier
	buffer_gl0_inv
	v_lshlrev_b64 v[129:130], 3, v[4:5]
	v_add_nc_u32_e32 v4, -1, v118
	ds_load_b32 v6, v1
	v_lshlrev_b32_e32 v198, 3, v128
	v_lshrrev_b32_e32 v34, 2, v128
	v_add_nc_u32_e32 v210, 0x100, v128
	v_lshlrev_b32_e32 v5, 12, v4
	v_add_co_u32 v2, vcc_lo, v2, v129
	v_add_co_ci_u32_e32 v3, vcc_lo, v3, v130, vcc_lo
	s_delay_alu instid0(VALU_DEP_3)
	v_sub_co_u32 v183, vcc_lo, v54, v5
	v_subrev_co_ci_u32_e32 v192, vcc_lo, 0, v55, vcc_lo
	v_add_nc_u32_e32 v209, 0x200, v128
	v_add_nc_u32_e32 v208, 0x300, v128
	v_or_b32_e32 v199, 0x400, v128
	v_add_nc_u32_e32 v197, 0x500, v128
	v_add_nc_u32_e32 v196, 0x600, v128
	;; [unrolled: 1-line block ×3, first 2 shown]
	v_or_b32_e32 v194, 0x800, v128
	s_waitcnt lgkmcnt(0)
	v_lshlrev_b32_e32 v0, 12, v6
	v_add_nc_u32_e32 v193, 0x900, v128
	v_add_nc_u32_e32 v182, 0xa00, v128
	;; [unrolled: 1-line block ×3, first 2 shown]
	v_readfirstlane_b32 s72, v6
	v_lshlrev_b64 v[118:119], 3, v[0:1]
	v_cmp_ne_u32_e64 s0, v6, v4
	v_or_b32_e32 v180, 0xc00, v128
	v_add_nc_u32_e32 v179, 0xd00, v128
	v_add_nc_u32_e32 v178, 0xe00, v128
	;; [unrolled: 1-line block ×3, first 2 shown]
	v_add_co_u32 v30, vcc_lo, v2, v118
	v_add_co_ci_u32_e32 v31, vcc_lo, v3, v119, vcc_lo
	s_barrier
	buffer_gl0_inv
	s_and_saveexec_b32 s3, s0
	s_delay_alu instid0(SALU_CYCLE_1)
	s_xor_b32 s3, exec_lo, s3
	s_cbranch_execz .LBB36_4
; %bb.3:
	v_add_co_u32 v0, vcc_lo, v30, v198
	v_add_co_ci_u32_e32 v1, vcc_lo, 0, v31, vcc_lo
	v_lshrrev_b32_e32 v33, 2, v210
	s_delay_alu instid0(VALU_DEP_3) | instskip(NEXT) | instid1(VALU_DEP_3)
	v_add_co_u32 v2, vcc_lo, 0x1000, v0
	v_add_co_ci_u32_e32 v3, vcc_lo, 0, v1, vcc_lo
	v_add_co_u32 v4, vcc_lo, 0x2000, v0
	v_add_co_ci_u32_e32 v5, vcc_lo, 0, v1, vcc_lo
	;; [unrolled: 2-line block ×6, first 2 shown]
	s_clause 0x7
	flat_load_b64 v[8:9], v[0:1]
	flat_load_b64 v[10:11], v[0:1] offset:2048
	flat_load_b64 v[12:13], v[2:3]
	flat_load_b64 v[2:3], v[2:3] offset:2048
	;; [unrolled: 2-line block ×4, first 2 shown]
	v_add_co_u32 v0, vcc_lo, 0x7000, v0
	v_add_co_ci_u32_e32 v1, vcc_lo, 0, v1, vcc_lo
	s_clause 0x7
	flat_load_b64 v[24:25], v[18:19]
	flat_load_b64 v[18:19], v[18:19] offset:2048
	flat_load_b64 v[26:27], v[20:21]
	flat_load_b64 v[20:21], v[20:21] offset:2048
	;; [unrolled: 2-line block ×4, first 2 shown]
	v_and_b32_e32 v32, 0xf8, v34
	v_lshrrev_b32_e32 v34, 2, v209
	v_lshrrev_b32_e32 v35, 2, v208
	;; [unrolled: 1-line block ×14, first 2 shown]
	v_and_b32_e32 v33, 0x1f8, v33
	v_and_b32_e32 v34, 0x1f8, v34
	;; [unrolled: 1-line block ×4, first 2 shown]
	v_add_nc_u32_e32 v32, v32, v198
	v_and_b32_e32 v55, 0x3f8, v55
	v_and_b32_e32 v64, 0x3f8, v64
	;; [unrolled: 1-line block ×11, first 2 shown]
	v_add_nc_u32_e32 v33, v33, v198
	v_add_nc_u32_e32 v34, v34, v198
	v_add_nc_u32_e32 v35, v35, v198
	v_add_nc_u32_e32 v54, v54, v198
	v_add_nc_u32_e32 v55, v55, v198
	v_add_nc_u32_e32 v64, v64, v198
	v_add_nc_u32_e32 v65, v65, v198
	v_add_nc_u32_e32 v66, v66, v198
	v_add_nc_u32_e32 v67, v67, v198
	v_add_nc_u32_e32 v68, v68, v198
	v_add_nc_u32_e32 v69, v69, v198
	v_add_nc_u32_e32 v70, v70, v198
	v_add_nc_u32_e32 v71, v71, v198
	v_add_nc_u32_e32 v80, v80, v198
	v_add_nc_u32_e32 v81, v81, v198
	s_waitcnt vmcnt(15) lgkmcnt(15)
	ds_store_b64 v32, v[8:9]
	s_waitcnt vmcnt(14) lgkmcnt(15)
	ds_store_b64 v33, v[10:11] offset:2048
	s_waitcnt vmcnt(13) lgkmcnt(15)
	ds_store_b64 v34, v[12:13] offset:4096
	;; [unrolled: 2-line block ×15, first 2 shown]
	s_waitcnt lgkmcnt(0)
	s_barrier
                                        ; implicit-def: $vgpr34
                                        ; implicit-def: $vgpr30
.LBB36_4:
	s_and_not1_saveexec_b32 s3, s3
	s_cbranch_execz .LBB36_23
; %bb.5:
	flat_load_b64 v[16:17], v[30:31]
	v_cmp_lt_u32_e32 vcc_lo, v128, v183
	s_waitcnt vmcnt(0) lgkmcnt(0)
	v_dual_mov_b32 v26, v16 :: v_dual_mov_b32 v27, v17
	v_dual_mov_b32 v28, v16 :: v_dual_mov_b32 v29, v17
	;; [unrolled: 1-line block ×15, first 2 shown]
	s_and_saveexec_b32 s4, vcc_lo
	s_cbranch_execnz .LBB36_126
; %bb.6:
	s_or_b32 exec_lo, exec_lo, s4
	s_delay_alu instid0(SALU_CYCLE_1)
	s_mov_b32 s4, exec_lo
	v_cmpx_lt_u32_e64 v210, v183
	s_cbranch_execnz .LBB36_127
.LBB36_7:
	s_or_b32 exec_lo, exec_lo, s4
	s_delay_alu instid0(SALU_CYCLE_1)
	s_mov_b32 s4, exec_lo
	v_cmpx_lt_u32_e64 v209, v183
	s_cbranch_execnz .LBB36_128
.LBB36_8:
	s_or_b32 exec_lo, exec_lo, s4
	s_delay_alu instid0(SALU_CYCLE_1)
	s_mov_b32 s4, exec_lo
	v_cmpx_lt_u32_e64 v208, v183
	s_cbranch_execnz .LBB36_129
.LBB36_9:
	s_or_b32 exec_lo, exec_lo, s4
	s_delay_alu instid0(SALU_CYCLE_1)
	s_mov_b32 s4, exec_lo
	v_cmpx_lt_u32_e64 v199, v183
	s_cbranch_execnz .LBB36_130
.LBB36_10:
	s_or_b32 exec_lo, exec_lo, s4
	s_delay_alu instid0(SALU_CYCLE_1)
	s_mov_b32 s4, exec_lo
	v_cmpx_lt_u32_e64 v197, v183
	s_cbranch_execnz .LBB36_131
.LBB36_11:
	s_or_b32 exec_lo, exec_lo, s4
	s_delay_alu instid0(SALU_CYCLE_1)
	s_mov_b32 s4, exec_lo
	v_cmpx_lt_u32_e64 v196, v183
	s_cbranch_execnz .LBB36_132
.LBB36_12:
	s_or_b32 exec_lo, exec_lo, s4
	s_delay_alu instid0(SALU_CYCLE_1)
	s_mov_b32 s4, exec_lo
	v_cmpx_lt_u32_e64 v195, v183
	s_cbranch_execnz .LBB36_133
.LBB36_13:
	s_or_b32 exec_lo, exec_lo, s4
	s_delay_alu instid0(SALU_CYCLE_1)
	s_mov_b32 s4, exec_lo
	v_cmpx_lt_u32_e64 v194, v183
	s_cbranch_execnz .LBB36_134
.LBB36_14:
	s_or_b32 exec_lo, exec_lo, s4
	s_delay_alu instid0(SALU_CYCLE_1)
	s_mov_b32 s4, exec_lo
	v_cmpx_lt_u32_e64 v193, v183
	s_cbranch_execnz .LBB36_135
.LBB36_15:
	s_or_b32 exec_lo, exec_lo, s4
	s_delay_alu instid0(SALU_CYCLE_1)
	s_mov_b32 s4, exec_lo
	v_cmpx_lt_u32_e64 v182, v183
	s_cbranch_execnz .LBB36_136
.LBB36_16:
	s_or_b32 exec_lo, exec_lo, s4
	s_delay_alu instid0(SALU_CYCLE_1)
	s_mov_b32 s4, exec_lo
	v_cmpx_lt_u32_e64 v181, v183
	s_cbranch_execnz .LBB36_137
.LBB36_17:
	s_or_b32 exec_lo, exec_lo, s4
	s_delay_alu instid0(SALU_CYCLE_1)
	s_mov_b32 s4, exec_lo
	v_cmpx_lt_u32_e64 v180, v183
	s_cbranch_execnz .LBB36_138
.LBB36_18:
	s_or_b32 exec_lo, exec_lo, s4
	s_delay_alu instid0(SALU_CYCLE_1)
	s_mov_b32 s4, exec_lo
	v_cmpx_lt_u32_e64 v179, v183
	s_cbranch_execnz .LBB36_139
.LBB36_19:
	s_or_b32 exec_lo, exec_lo, s4
	s_delay_alu instid0(SALU_CYCLE_1)
	s_mov_b32 s4, exec_lo
	v_cmpx_lt_u32_e64 v178, v183
	s_cbranch_execnz .LBB36_140
.LBB36_20:
	s_or_b32 exec_lo, exec_lo, s4
	s_delay_alu instid0(SALU_CYCLE_1)
	s_mov_b32 s4, exec_lo
	v_cmpx_lt_u32_e64 v135, v183
	s_cbranch_execz .LBB36_22
.LBB36_21:
	v_lshlrev_b32_e32 v14, 3, v135
	s_delay_alu instid0(VALU_DEP_1)
	v_add_co_u32 v14, vcc_lo, v30, v14
	v_add_co_ci_u32_e32 v15, vcc_lo, 0, v31, vcc_lo
	flat_load_b64 v[14:15], v[14:15]
.LBB36_22:
	s_or_b32 exec_lo, exec_lo, s4
	v_lshrrev_b32_e32 v30, 2, v210
	v_lshrrev_b32_e32 v31, 2, v209
	;; [unrolled: 1-line block ×3, first 2 shown]
	v_and_b32_e32 v34, 0xf8, v34
	v_lshrrev_b32_e32 v54, 2, v199
	v_and_b32_e32 v30, 0x1f8, v30
	v_and_b32_e32 v31, 0x1f8, v31
	;; [unrolled: 1-line block ×3, first 2 shown]
	v_lshrrev_b32_e32 v55, 2, v197
	v_add_nc_u32_e32 v34, v34, v198
	v_lshrrev_b32_e32 v64, 2, v196
	v_add_nc_u32_e32 v30, v30, v198
	;; [unrolled: 2-line block ×3, first 2 shown]
	v_add_nc_u32_e32 v35, v35, v198
	v_and_b32_e32 v54, 0x1f8, v54
	v_and_b32_e32 v55, 0x3f8, v55
	s_waitcnt vmcnt(0) lgkmcnt(0)
	ds_store_b64 v34, v[32:33]
	ds_store_b64 v30, v[16:17] offset:2048
	ds_store_b64 v31, v[26:27] offset:4096
	;; [unrolled: 1-line block ×3, first 2 shown]
	v_and_b32_e32 v26, 0x3f8, v64
	v_and_b32_e32 v27, 0x3f8, v65
	v_add_nc_u32_e32 v16, v54, v198
	v_add_nc_u32_e32 v17, v55, v198
	v_lshrrev_b32_e32 v28, 2, v194
	v_add_nc_u32_e32 v26, v26, v198
	v_lshrrev_b32_e32 v29, 2, v193
	v_add_nc_u32_e32 v27, v27, v198
	v_lshrrev_b32_e32 v30, 2, v182
	ds_store_b64 v16, v[18:19] offset:8192
	ds_store_b64 v17, v[20:21] offset:10240
	;; [unrolled: 1-line block ×4, first 2 shown]
	v_lshrrev_b32_e32 v19, 2, v181
	v_lshrrev_b32_e32 v20, 2, v180
	v_and_b32_e32 v28, 0x3f8, v28
	v_lshrrev_b32_e32 v21, 2, v179
	v_lshrrev_b32_e32 v22, 2, v178
	;; [unrolled: 1-line block ×3, first 2 shown]
	v_and_b32_e32 v29, 0x3f8, v29
	v_and_b32_e32 v30, 0x3f8, v30
	;; [unrolled: 1-line block ×4, first 2 shown]
	v_add_nc_u32_e32 v16, v28, v198
	v_and_b32_e32 v21, 0x7f8, v21
	v_and_b32_e32 v22, 0x7f8, v22
	;; [unrolled: 1-line block ×3, first 2 shown]
	v_add_nc_u32_e32 v17, v29, v198
	v_add_nc_u32_e32 v18, v30, v198
	;; [unrolled: 1-line block ×7, first 2 shown]
	ds_store_b64 v16, v[0:1] offset:16384
	ds_store_b64 v17, v[2:3] offset:18432
	;; [unrolled: 1-line block ×8, first 2 shown]
	s_waitcnt lgkmcnt(0)
	s_barrier
.LBB36_23:
	s_or_b32 exec_lo, exec_lo, s3
	v_lshlrev_b32_e32 v0, 4, v128
	v_lshrrev_b32_e32 v211, 1, v128
	buffer_gl0_inv
	s_cmp_lg_u32 s72, 0
	v_add_lshl_u32 v4, v211, v0, 3
	ds_load_2addr_b64 v[0:3], v4 offset1:1
	ds_load_2addr_b64 v[112:115], v4 offset0:2 offset1:3
	ds_load_2addr_b64 v[100:103], v4 offset0:4 offset1:5
	;; [unrolled: 1-line block ×7, first 2 shown]
	s_waitcnt lgkmcnt(0)
	s_barrier
	buffer_gl0_inv
	v_cmp_u_f64_e64 s3, v[2:3], v[2:3]
	v_max_f64 v[54:55], v[2:3], v[2:3]
	s_cbranch_scc0 .LBB36_125
; %bb.24:
	v_max_f64 v[133:134], v[0:1], v[0:1]
	v_cmp_u_f64_e64 s18, v[0:1], v[0:1]
	s_delay_alu instid0(VALU_DEP_2) | instskip(SKIP_1) | instid1(VALU_DEP_2)
	v_min_f64 v[4:5], v[133:134], v[54:55]
	v_max_f64 v[6:7], v[133:134], v[54:55]
	v_cndmask_b32_e64 v4, v4, v0, s18
	s_delay_alu instid0(VALU_DEP_3) | instskip(NEXT) | instid1(VALU_DEP_3)
	v_cndmask_b32_e64 v5, v5, v1, s18
	v_cndmask_b32_e64 v7, v7, v1, s18
	s_delay_alu instid0(VALU_DEP_4) | instskip(NEXT) | instid1(VALU_DEP_4)
	v_cndmask_b32_e64 v6, v6, v0, s18
	v_cndmask_b32_e64 v8, v4, v2, s3
	s_delay_alu instid0(VALU_DEP_4) | instskip(NEXT) | instid1(VALU_DEP_4)
	v_cndmask_b32_e64 v9, v5, v3, s3
	v_cndmask_b32_e64 v7, v7, v3, s3
	s_delay_alu instid0(VALU_DEP_4) | instskip(SKIP_1) | instid1(VALU_DEP_4)
	v_cndmask_b32_e64 v6, v6, v2, s3
	v_dual_mov_b32 v5, v1 :: v_dual_mov_b32 v4, v0
	v_cmp_class_f64_e64 s4, v[8:9], 0x1f8
	s_delay_alu instid0(VALU_DEP_3) | instskip(NEXT) | instid1(VALU_DEP_2)
	v_cmp_neq_f64_e32 vcc_lo, v[8:9], v[6:7]
	s_or_b32 s4, vcc_lo, s4
	s_delay_alu instid0(SALU_CYCLE_1)
	s_and_saveexec_b32 s10, s4
	s_cbranch_execz .LBB36_26
; %bb.25:
	v_add_f64 v[4:5], v[8:9], -v[6:7]
	s_mov_b32 s4, 0x652b82fe
	s_mov_b32 s5, 0x3ff71547
	;; [unrolled: 1-line block ×10, first 2 shown]
	s_delay_alu instid0(VALU_DEP_1) | instskip(SKIP_3) | instid1(VALU_DEP_2)
	v_mul_f64 v[8:9], v[4:5], s[4:5]
	s_mov_b32 s4, 0xfca7ab0c
	s_mov_b32 s5, 0x3e928af3
	v_cmp_nlt_f64_e32 vcc_lo, 0x40900000, v[4:5]
	v_rndne_f64_e32 v[8:9], v[8:9]
	s_delay_alu instid0(VALU_DEP_1) | instskip(SKIP_2) | instid1(VALU_DEP_2)
	v_fma_f64 v[10:11], v[8:9], s[6:7], v[4:5]
	v_cvt_i32_f64_e32 v14, v[8:9]
	s_mov_b32 s7, 0x3fe62e42
	v_fma_f64 v[10:11], v[8:9], s[8:9], v[10:11]
	s_mov_b32 s9, 0x3c7abc9e
	s_delay_alu instid0(VALU_DEP_1) | instskip(SKIP_4) | instid1(VALU_DEP_1)
	v_fma_f64 v[12:13], v[10:11], s[12:13], s[4:5]
	s_mov_b32 s4, 0x623fde64
	s_mov_b32 s5, 0x3ec71dee
	;; [unrolled: 1-line block ×4, first 2 shown]
	v_fma_f64 v[12:13], v[10:11], v[12:13], s[4:5]
	s_mov_b32 s4, 0x7c89e6b0
	s_mov_b32 s5, 0x3efa0199
	s_delay_alu instid0(VALU_DEP_1) | instid1(SALU_CYCLE_1)
	v_fma_f64 v[12:13], v[10:11], v[12:13], s[4:5]
	s_mov_b32 s4, 0x14761f6e
	s_mov_b32 s5, 0x3f2a01a0
	s_delay_alu instid0(VALU_DEP_1) | instid1(SALU_CYCLE_1)
	v_fma_f64 v[12:13], v[10:11], v[12:13], s[4:5]
	s_mov_b32 s4, 0x1852b7b0
	s_mov_b32 s5, 0x3f56c16c
	s_delay_alu instid0(VALU_DEP_1) | instid1(SALU_CYCLE_1)
	v_fma_f64 v[12:13], v[10:11], v[12:13], s[4:5]
	s_mov_b32 s4, 0x11122322
	s_mov_b32 s5, 0x3f811111
	s_delay_alu instid0(VALU_DEP_1) | instid1(SALU_CYCLE_1)
	v_fma_f64 v[12:13], v[10:11], v[12:13], s[4:5]
	s_mov_b32 s4, 0x555502a1
	s_mov_b32 s5, 0x3fa55555
	s_delay_alu instid0(VALU_DEP_1) | instid1(SALU_CYCLE_1)
	v_fma_f64 v[12:13], v[10:11], v[12:13], s[4:5]
	s_mov_b32 s4, 0x55555511
	s_mov_b32 s5, 0x3fc55555
	s_delay_alu instid0(VALU_DEP_1) | instid1(SALU_CYCLE_1)
	v_fma_f64 v[12:13], v[10:11], v[12:13], s[4:5]
	s_mov_b32 s4, 11
	s_mov_b32 s5, 0x3fe00000
	s_delay_alu instid0(VALU_DEP_1) | instid1(SALU_CYCLE_1)
	v_fma_f64 v[12:13], v[10:11], v[12:13], s[4:5]
	v_cmp_ngt_f64_e64 s4, 0xc090cc00, v[4:5]
	s_mov_b32 s5, 0x3fe55555
	s_delay_alu instid0(VALU_DEP_2) | instskip(NEXT) | instid1(VALU_DEP_1)
	v_fma_f64 v[12:13], v[10:11], v[12:13], 1.0
	v_fma_f64 v[8:9], v[10:11], v[12:13], 1.0
	s_delay_alu instid0(VALU_DEP_1) | instskip(NEXT) | instid1(VALU_DEP_1)
	v_ldexp_f64 v[8:9], v[8:9], v14
	v_cndmask_b32_e32 v9, 0x7ff00000, v9, vcc_lo
	s_and_b32 vcc_lo, s4, vcc_lo
	s_delay_alu instid0(VALU_DEP_1) | instskip(NEXT) | instid1(VALU_DEP_3)
	v_cndmask_b32_e64 v5, 0, v9, s4
	v_cndmask_b32_e32 v4, 0, v8, vcc_lo
	s_mov_b32 s4, 0x55555555
	s_delay_alu instid0(VALU_DEP_1) | instskip(NEXT) | instid1(VALU_DEP_1)
	v_add_f64 v[8:9], v[4:5], 1.0
	v_frexp_mant_f64_e32 v[10:11], v[8:9]
	v_frexp_exp_i32_f64_e32 v14, v[8:9]
	v_add_f64 v[12:13], v[8:9], -1.0
	s_delay_alu instid0(VALU_DEP_3) | instskip(SKIP_1) | instid1(VALU_DEP_2)
	v_cmp_gt_f64_e32 vcc_lo, s[4:5], v[10:11]
	s_mov_b32 s4, 0x55555780
	v_add_f64 v[10:11], v[12:13], -v[8:9]
	v_add_f64 v[12:13], v[4:5], -v[12:13]
	v_subrev_co_ci_u32_e32 v30, vcc_lo, 0, v14, vcc_lo
	s_delay_alu instid0(VALU_DEP_3) | instskip(SKIP_1) | instid1(VALU_DEP_3)
	v_add_f64 v[10:11], v[10:11], 1.0
	v_cmp_eq_f64_e32 vcc_lo, 0x7ff00000, v[4:5]
	v_sub_nc_u32_e32 v16, 0, v30
	s_delay_alu instid0(VALU_DEP_1) | instskip(NEXT) | instid1(VALU_DEP_4)
	v_ldexp_f64 v[8:9], v[8:9], v16
	v_add_f64 v[10:11], v[12:13], v[10:11]
	s_delay_alu instid0(VALU_DEP_2) | instskip(SKIP_1) | instid1(VALU_DEP_3)
	v_add_f64 v[14:15], v[8:9], 1.0
	v_add_f64 v[20:21], v[8:9], -1.0
	v_ldexp_f64 v[10:11], v[10:11], v16
	s_delay_alu instid0(VALU_DEP_3) | instskip(NEXT) | instid1(VALU_DEP_3)
	v_add_f64 v[12:13], v[14:15], -1.0
	v_add_f64 v[22:23], v[20:21], 1.0
	s_delay_alu instid0(VALU_DEP_2) | instskip(NEXT) | instid1(VALU_DEP_2)
	v_add_f64 v[12:13], v[8:9], -v[12:13]
	v_add_f64 v[8:9], v[8:9], -v[22:23]
	s_delay_alu instid0(VALU_DEP_2) | instskip(NEXT) | instid1(VALU_DEP_2)
	v_add_f64 v[12:13], v[10:11], v[12:13]
	v_add_f64 v[8:9], v[10:11], v[8:9]
	s_delay_alu instid0(VALU_DEP_2) | instskip(NEXT) | instid1(VALU_DEP_2)
	v_add_f64 v[16:17], v[14:15], v[12:13]
	v_add_f64 v[22:23], v[20:21], v[8:9]
	s_delay_alu instid0(VALU_DEP_2) | instskip(SKIP_1) | instid1(VALU_DEP_2)
	v_rcp_f64_e32 v[18:19], v[16:17]
	v_add_f64 v[14:15], v[16:17], -v[14:15]
	v_add_f64 v[20:21], v[22:23], -v[20:21]
	s_delay_alu instid0(VALU_DEP_2) | instskip(SKIP_3) | instid1(VALU_DEP_2)
	v_add_f64 v[12:13], v[12:13], -v[14:15]
	s_waitcnt_depctr 0xfff
	v_fma_f64 v[24:25], -v[16:17], v[18:19], 1.0
	v_add_f64 v[8:9], v[8:9], -v[20:21]
	v_fma_f64 v[18:19], v[24:25], v[18:19], v[18:19]
	s_delay_alu instid0(VALU_DEP_1) | instskip(NEXT) | instid1(VALU_DEP_1)
	v_fma_f64 v[10:11], -v[16:17], v[18:19], 1.0
	v_fma_f64 v[10:11], v[10:11], v[18:19], v[18:19]
	s_delay_alu instid0(VALU_DEP_1) | instskip(NEXT) | instid1(VALU_DEP_1)
	v_mul_f64 v[18:19], v[22:23], v[10:11]
	v_mul_f64 v[24:25], v[16:17], v[18:19]
	s_delay_alu instid0(VALU_DEP_1) | instskip(NEXT) | instid1(VALU_DEP_1)
	v_fma_f64 v[14:15], v[18:19], v[16:17], -v[24:25]
	v_fma_f64 v[14:15], v[18:19], v[12:13], v[14:15]
	s_delay_alu instid0(VALU_DEP_1) | instskip(NEXT) | instid1(VALU_DEP_1)
	v_add_f64 v[26:27], v[24:25], v[14:15]
	v_add_f64 v[28:29], v[22:23], -v[26:27]
	v_add_f64 v[20:21], v[26:27], -v[24:25]
	s_delay_alu instid0(VALU_DEP_2) | instskip(NEXT) | instid1(VALU_DEP_2)
	v_add_f64 v[22:23], v[22:23], -v[28:29]
	v_add_f64 v[14:15], v[20:21], -v[14:15]
	s_delay_alu instid0(VALU_DEP_2) | instskip(NEXT) | instid1(VALU_DEP_1)
	v_add_f64 v[22:23], v[22:23], -v[26:27]
	v_add_f64 v[8:9], v[8:9], v[22:23]
	s_delay_alu instid0(VALU_DEP_1) | instskip(NEXT) | instid1(VALU_DEP_1)
	v_add_f64 v[8:9], v[14:15], v[8:9]
	v_add_f64 v[14:15], v[28:29], v[8:9]
	s_delay_alu instid0(VALU_DEP_1) | instskip(SKIP_1) | instid1(VALU_DEP_2)
	v_mul_f64 v[20:21], v[10:11], v[14:15]
	v_add_f64 v[26:27], v[28:29], -v[14:15]
	v_mul_f64 v[22:23], v[16:17], v[20:21]
	s_delay_alu instid0(VALU_DEP_2) | instskip(NEXT) | instid1(VALU_DEP_2)
	v_add_f64 v[8:9], v[8:9], v[26:27]
	v_fma_f64 v[16:17], v[20:21], v[16:17], -v[22:23]
	s_delay_alu instid0(VALU_DEP_1) | instskip(NEXT) | instid1(VALU_DEP_1)
	v_fma_f64 v[12:13], v[20:21], v[12:13], v[16:17]
	v_add_f64 v[16:17], v[22:23], v[12:13]
	s_delay_alu instid0(VALU_DEP_1) | instskip(SKIP_1) | instid1(VALU_DEP_2)
	v_add_f64 v[24:25], v[14:15], -v[16:17]
	v_add_f64 v[22:23], v[16:17], -v[22:23]
	;; [unrolled: 1-line block ×3, first 2 shown]
	s_delay_alu instid0(VALU_DEP_2) | instskip(NEXT) | instid1(VALU_DEP_2)
	v_add_f64 v[12:13], v[22:23], -v[12:13]
	v_add_f64 v[14:15], v[14:15], -v[16:17]
	s_delay_alu instid0(VALU_DEP_1) | instskip(SKIP_1) | instid1(VALU_DEP_2)
	v_add_f64 v[8:9], v[8:9], v[14:15]
	v_add_f64 v[14:15], v[18:19], v[20:21]
	;; [unrolled: 1-line block ×3, first 2 shown]
	s_delay_alu instid0(VALU_DEP_2) | instskip(NEXT) | instid1(VALU_DEP_2)
	v_add_f64 v[12:13], v[14:15], -v[18:19]
	v_add_f64 v[8:9], v[24:25], v[8:9]
	s_delay_alu instid0(VALU_DEP_2) | instskip(NEXT) | instid1(VALU_DEP_2)
	v_add_f64 v[12:13], v[20:21], -v[12:13]
	v_mul_f64 v[8:9], v[10:11], v[8:9]
	s_delay_alu instid0(VALU_DEP_1) | instskip(NEXT) | instid1(VALU_DEP_1)
	v_add_f64 v[8:9], v[12:13], v[8:9]
	v_add_f64 v[10:11], v[14:15], v[8:9]
	s_delay_alu instid0(VALU_DEP_1) | instskip(NEXT) | instid1(VALU_DEP_1)
	v_mul_f64 v[12:13], v[10:11], v[10:11]
	v_fma_f64 v[16:17], v[12:13], s[14:15], s[12:13]
	s_mov_b32 s12, 0xd7f4df2e
	s_mov_b32 s13, 0x3fc7474d
	v_mul_f64 v[18:19], v[10:11], v[12:13]
	s_delay_alu instid0(VALU_DEP_2)
	v_fma_f64 v[16:17], v[12:13], v[16:17], s[12:13]
	s_mov_b32 s12, 0x16291751
	s_mov_b32 s13, 0x3fcc71c0
	s_delay_alu instid0(VALU_DEP_1) | instid1(SALU_CYCLE_1)
	v_fma_f64 v[16:17], v[12:13], v[16:17], s[12:13]
	s_mov_b32 s12, 0x9b27acf1
	s_mov_b32 s13, 0x3fd24924
	s_delay_alu instid0(VALU_DEP_1) | instid1(SALU_CYCLE_1)
	;; [unrolled: 4-line block ×3, first 2 shown]
	v_fma_f64 v[16:17], v[12:13], v[16:17], s[12:13]
	s_delay_alu instid0(VALU_DEP_1) | instskip(SKIP_2) | instid1(VALU_DEP_3)
	v_fma_f64 v[12:13], v[12:13], v[16:17], s[4:5]
	v_ldexp_f64 v[16:17], v[10:11], 1
	v_add_f64 v[10:11], v[10:11], -v[14:15]
	v_mul_f64 v[12:13], v[18:19], v[12:13]
	v_cvt_f64_i32_e32 v[18:19], v30
	s_delay_alu instid0(VALU_DEP_3) | instskip(NEXT) | instid1(VALU_DEP_3)
	v_add_f64 v[8:9], v[8:9], -v[10:11]
	v_add_f64 v[14:15], v[16:17], v[12:13]
	s_delay_alu instid0(VALU_DEP_3) | instskip(NEXT) | instid1(VALU_DEP_3)
	v_mul_f64 v[20:21], v[18:19], s[6:7]
	v_ldexp_f64 v[8:9], v[8:9], 1
	s_delay_alu instid0(VALU_DEP_3) | instskip(NEXT) | instid1(VALU_DEP_3)
	v_add_f64 v[10:11], v[14:15], -v[16:17]
	v_fma_f64 v[16:17], v[18:19], s[6:7], -v[20:21]
	s_delay_alu instid0(VALU_DEP_2) | instskip(NEXT) | instid1(VALU_DEP_2)
	v_add_f64 v[10:11], v[12:13], -v[10:11]
	v_fma_f64 v[12:13], v[18:19], s[8:9], v[16:17]
	s_delay_alu instid0(VALU_DEP_2) | instskip(NEXT) | instid1(VALU_DEP_2)
	v_add_f64 v[8:9], v[8:9], v[10:11]
	v_add_f64 v[10:11], v[20:21], v[12:13]
	s_delay_alu instid0(VALU_DEP_2) | instskip(NEXT) | instid1(VALU_DEP_2)
	v_add_f64 v[16:17], v[14:15], v[8:9]
	v_add_f64 v[20:21], v[10:11], -v[20:21]
	s_delay_alu instid0(VALU_DEP_2) | instskip(SKIP_1) | instid1(VALU_DEP_3)
	v_add_f64 v[18:19], v[10:11], v[16:17]
	v_add_f64 v[14:15], v[16:17], -v[14:15]
	v_add_f64 v[12:13], v[12:13], -v[20:21]
	s_delay_alu instid0(VALU_DEP_3) | instskip(NEXT) | instid1(VALU_DEP_3)
	v_add_f64 v[22:23], v[18:19], -v[10:11]
	v_add_f64 v[8:9], v[8:9], -v[14:15]
	s_delay_alu instid0(VALU_DEP_2) | instskip(SKIP_1) | instid1(VALU_DEP_3)
	v_add_f64 v[24:25], v[18:19], -v[22:23]
	v_add_f64 v[14:15], v[16:17], -v[22:23]
	v_add_f64 v[16:17], v[12:13], v[8:9]
	s_delay_alu instid0(VALU_DEP_3) | instskip(NEXT) | instid1(VALU_DEP_1)
	v_add_f64 v[10:11], v[10:11], -v[24:25]
	v_add_f64 v[10:11], v[14:15], v[10:11]
	s_delay_alu instid0(VALU_DEP_3) | instskip(NEXT) | instid1(VALU_DEP_2)
	v_add_f64 v[14:15], v[16:17], -v[12:13]
	v_add_f64 v[10:11], v[16:17], v[10:11]
	s_delay_alu instid0(VALU_DEP_2) | instskip(SKIP_1) | instid1(VALU_DEP_3)
	v_add_f64 v[16:17], v[16:17], -v[14:15]
	v_add_f64 v[8:9], v[8:9], -v[14:15]
	v_add_f64 v[20:21], v[18:19], v[10:11]
	s_delay_alu instid0(VALU_DEP_3) | instskip(NEXT) | instid1(VALU_DEP_2)
	v_add_f64 v[12:13], v[12:13], -v[16:17]
	v_add_f64 v[14:15], v[20:21], -v[18:19]
	s_delay_alu instid0(VALU_DEP_2) | instskip(NEXT) | instid1(VALU_DEP_2)
	v_add_f64 v[8:9], v[8:9], v[12:13]
	v_add_f64 v[10:11], v[10:11], -v[14:15]
	s_delay_alu instid0(VALU_DEP_1) | instskip(NEXT) | instid1(VALU_DEP_1)
	v_add_f64 v[8:9], v[8:9], v[10:11]
	v_add_f64 v[8:9], v[20:21], v[8:9]
	s_delay_alu instid0(VALU_DEP_1) | instskip(SKIP_1) | instid1(VALU_DEP_2)
	v_dual_cndmask_b32 v9, v9, v5 :: v_dual_cndmask_b32 v8, v8, v4
	v_cmp_ngt_f64_e32 vcc_lo, -1.0, v[4:5]
	v_cndmask_b32_e32 v9, 0x7ff80000, v9, vcc_lo
	v_cmp_nge_f64_e32 vcc_lo, -1.0, v[4:5]
	s_delay_alu instid0(VALU_DEP_4) | instskip(SKIP_1) | instid1(VALU_DEP_4)
	v_cndmask_b32_e32 v8, 0, v8, vcc_lo
	v_cmp_neq_f64_e32 vcc_lo, -1.0, v[4:5]
	v_cndmask_b32_e32 v9, 0xfff00000, v9, vcc_lo
	s_delay_alu instid0(VALU_DEP_1)
	v_add_f64 v[4:5], v[6:7], v[8:9]
.LBB36_26:
	s_or_b32 exec_lo, exec_lo, s10
	v_max_f64 v[10:11], v[112:113], v[112:113]
	s_delay_alu instid0(VALU_DEP_2) | instskip(SKIP_2) | instid1(VALU_DEP_3)
	v_max_f64 v[6:7], v[4:5], v[4:5]
	v_cmp_u_f64_e32 vcc_lo, v[4:5], v[4:5]
	v_cmp_u_f64_e64 s4, v[112:113], v[112:113]
	v_min_f64 v[8:9], v[6:7], v[10:11]
	v_max_f64 v[6:7], v[6:7], v[10:11]
	s_delay_alu instid0(VALU_DEP_2) | instskip(NEXT) | instid1(VALU_DEP_2)
	v_dual_cndmask_b32 v8, v8, v4 :: v_dual_cndmask_b32 v9, v9, v5
	v_dual_cndmask_b32 v7, v7, v5 :: v_dual_cndmask_b32 v6, v6, v4
	s_delay_alu instid0(VALU_DEP_2) | instskip(NEXT) | instid1(VALU_DEP_3)
	v_cndmask_b32_e64 v8, v8, v112, s4
	v_cndmask_b32_e64 v9, v9, v113, s4
	s_delay_alu instid0(VALU_DEP_3) | instskip(NEXT) | instid1(VALU_DEP_4)
	v_cndmask_b32_e64 v7, v7, v113, s4
	v_cndmask_b32_e64 v6, v6, v112, s4
	s_delay_alu instid0(VALU_DEP_3) | instskip(NEXT) | instid1(VALU_DEP_2)
	v_cmp_class_f64_e64 s5, v[8:9], 0x1f8
	v_cmp_neq_f64_e32 vcc_lo, v[8:9], v[6:7]
	s_delay_alu instid0(VALU_DEP_2) | instskip(NEXT) | instid1(SALU_CYCLE_1)
	s_or_b32 s5, vcc_lo, s5
	s_and_saveexec_b32 s12, s5
	s_cbranch_execz .LBB36_28
; %bb.27:
	v_add_f64 v[4:5], v[8:9], -v[6:7]
	s_mov_b32 s6, 0x652b82fe
	s_mov_b32 s7, 0x3ff71547
	;; [unrolled: 1-line block ×10, first 2 shown]
	s_delay_alu instid0(VALU_DEP_1) | instskip(SKIP_4) | instid1(VALU_DEP_3)
	v_mul_f64 v[8:9], v[4:5], s[6:7]
	s_mov_b32 s7, 0xbfe62e42
	s_mov_b32 s6, 0xfefa39ef
	v_cmp_nlt_f64_e32 vcc_lo, 0x40900000, v[4:5]
	v_cmp_ngt_f64_e64 s5, 0xc090cc00, v[4:5]
	v_rndne_f64_e32 v[8:9], v[8:9]
	s_delay_alu instid0(VALU_DEP_1) | instskip(SKIP_2) | instid1(VALU_DEP_2)
	v_fma_f64 v[12:13], v[8:9], s[6:7], v[4:5]
	v_cvt_i32_f64_e32 v16, v[8:9]
	s_mov_b32 s7, 0x3fe62e42
	v_fma_f64 v[12:13], v[8:9], s[8:9], v[12:13]
	s_mov_b32 s9, 0x3c7abc9e
	s_delay_alu instid0(VALU_DEP_1) | instskip(SKIP_4) | instid1(VALU_DEP_1)
	v_fma_f64 v[14:15], v[12:13], s[14:15], s[10:11]
	s_mov_b32 s10, 0x623fde64
	s_mov_b32 s11, 0x3ec71dee
	s_mov_b32 s14, 0x6b47b09a
	s_mov_b32 s15, 0x3fc38538
	v_fma_f64 v[14:15], v[12:13], v[14:15], s[10:11]
	s_mov_b32 s10, 0x7c89e6b0
	s_mov_b32 s11, 0x3efa0199
	s_delay_alu instid0(VALU_DEP_1) | instid1(SALU_CYCLE_1)
	v_fma_f64 v[14:15], v[12:13], v[14:15], s[10:11]
	s_mov_b32 s10, 0x14761f6e
	s_mov_b32 s11, 0x3f2a01a0
	s_delay_alu instid0(VALU_DEP_1) | instid1(SALU_CYCLE_1)
	;; [unrolled: 4-line block ×7, first 2 shown]
	v_fma_f64 v[14:15], v[12:13], v[14:15], s[10:11]
	s_mov_b32 s11, 0x3fe55555
	s_mov_b32 s10, 0x55555555
	s_delay_alu instid0(VALU_DEP_1) | instskip(NEXT) | instid1(VALU_DEP_1)
	v_fma_f64 v[14:15], v[12:13], v[14:15], 1.0
	v_fma_f64 v[8:9], v[12:13], v[14:15], 1.0
	s_delay_alu instid0(VALU_DEP_1) | instskip(NEXT) | instid1(VALU_DEP_1)
	v_ldexp_f64 v[8:9], v[8:9], v16
	v_cndmask_b32_e32 v9, 0x7ff00000, v9, vcc_lo
	s_and_b32 vcc_lo, s5, vcc_lo
	s_delay_alu instid0(VALU_DEP_1) | instskip(NEXT) | instid1(VALU_DEP_3)
	v_cndmask_b32_e64 v5, 0, v9, s5
	v_cndmask_b32_e32 v4, 0, v8, vcc_lo
	s_delay_alu instid0(VALU_DEP_1) | instskip(NEXT) | instid1(VALU_DEP_1)
	v_add_f64 v[8:9], v[4:5], 1.0
	v_frexp_mant_f64_e32 v[12:13], v[8:9]
	v_frexp_exp_i32_f64_e32 v16, v[8:9]
	v_add_f64 v[14:15], v[8:9], -1.0
	s_delay_alu instid0(VALU_DEP_3) | instskip(SKIP_1) | instid1(VALU_DEP_2)
	v_cmp_gt_f64_e32 vcc_lo, s[10:11], v[12:13]
	s_mov_b32 s10, 0x55555780
	v_add_f64 v[12:13], v[14:15], -v[8:9]
	v_add_f64 v[14:15], v[4:5], -v[14:15]
	v_subrev_co_ci_u32_e32 v32, vcc_lo, 0, v16, vcc_lo
	s_delay_alu instid0(VALU_DEP_3) | instskip(SKIP_1) | instid1(VALU_DEP_3)
	v_add_f64 v[12:13], v[12:13], 1.0
	v_cmp_eq_f64_e32 vcc_lo, 0x7ff00000, v[4:5]
	v_sub_nc_u32_e32 v18, 0, v32
	s_delay_alu instid0(VALU_DEP_1) | instskip(NEXT) | instid1(VALU_DEP_4)
	v_ldexp_f64 v[8:9], v[8:9], v18
	v_add_f64 v[12:13], v[14:15], v[12:13]
	s_delay_alu instid0(VALU_DEP_2) | instskip(SKIP_1) | instid1(VALU_DEP_3)
	v_add_f64 v[16:17], v[8:9], 1.0
	v_add_f64 v[22:23], v[8:9], -1.0
	v_ldexp_f64 v[12:13], v[12:13], v18
	s_delay_alu instid0(VALU_DEP_3) | instskip(NEXT) | instid1(VALU_DEP_3)
	v_add_f64 v[14:15], v[16:17], -1.0
	v_add_f64 v[24:25], v[22:23], 1.0
	s_delay_alu instid0(VALU_DEP_2) | instskip(NEXT) | instid1(VALU_DEP_2)
	v_add_f64 v[14:15], v[8:9], -v[14:15]
	v_add_f64 v[8:9], v[8:9], -v[24:25]
	s_delay_alu instid0(VALU_DEP_2) | instskip(NEXT) | instid1(VALU_DEP_2)
	v_add_f64 v[14:15], v[12:13], v[14:15]
	v_add_f64 v[8:9], v[12:13], v[8:9]
	s_delay_alu instid0(VALU_DEP_2) | instskip(NEXT) | instid1(VALU_DEP_2)
	v_add_f64 v[18:19], v[16:17], v[14:15]
	v_add_f64 v[24:25], v[22:23], v[8:9]
	s_delay_alu instid0(VALU_DEP_2) | instskip(SKIP_1) | instid1(VALU_DEP_2)
	v_rcp_f64_e32 v[20:21], v[18:19]
	v_add_f64 v[16:17], v[18:19], -v[16:17]
	v_add_f64 v[22:23], v[24:25], -v[22:23]
	s_delay_alu instid0(VALU_DEP_2) | instskip(SKIP_3) | instid1(VALU_DEP_2)
	v_add_f64 v[14:15], v[14:15], -v[16:17]
	s_waitcnt_depctr 0xfff
	v_fma_f64 v[26:27], -v[18:19], v[20:21], 1.0
	v_add_f64 v[8:9], v[8:9], -v[22:23]
	v_fma_f64 v[20:21], v[26:27], v[20:21], v[20:21]
	s_delay_alu instid0(VALU_DEP_1) | instskip(NEXT) | instid1(VALU_DEP_1)
	v_fma_f64 v[12:13], -v[18:19], v[20:21], 1.0
	v_fma_f64 v[12:13], v[12:13], v[20:21], v[20:21]
	s_delay_alu instid0(VALU_DEP_1) | instskip(NEXT) | instid1(VALU_DEP_1)
	v_mul_f64 v[20:21], v[24:25], v[12:13]
	v_mul_f64 v[26:27], v[18:19], v[20:21]
	s_delay_alu instid0(VALU_DEP_1) | instskip(NEXT) | instid1(VALU_DEP_1)
	v_fma_f64 v[16:17], v[20:21], v[18:19], -v[26:27]
	v_fma_f64 v[16:17], v[20:21], v[14:15], v[16:17]
	s_delay_alu instid0(VALU_DEP_1) | instskip(NEXT) | instid1(VALU_DEP_1)
	v_add_f64 v[28:29], v[26:27], v[16:17]
	v_add_f64 v[30:31], v[24:25], -v[28:29]
	v_add_f64 v[22:23], v[28:29], -v[26:27]
	s_delay_alu instid0(VALU_DEP_2) | instskip(NEXT) | instid1(VALU_DEP_2)
	v_add_f64 v[24:25], v[24:25], -v[30:31]
	v_add_f64 v[16:17], v[22:23], -v[16:17]
	s_delay_alu instid0(VALU_DEP_2) | instskip(NEXT) | instid1(VALU_DEP_1)
	v_add_f64 v[24:25], v[24:25], -v[28:29]
	v_add_f64 v[8:9], v[8:9], v[24:25]
	s_delay_alu instid0(VALU_DEP_1) | instskip(NEXT) | instid1(VALU_DEP_1)
	v_add_f64 v[8:9], v[16:17], v[8:9]
	v_add_f64 v[16:17], v[30:31], v[8:9]
	s_delay_alu instid0(VALU_DEP_1) | instskip(SKIP_1) | instid1(VALU_DEP_2)
	v_mul_f64 v[22:23], v[12:13], v[16:17]
	v_add_f64 v[28:29], v[30:31], -v[16:17]
	v_mul_f64 v[24:25], v[18:19], v[22:23]
	s_delay_alu instid0(VALU_DEP_2) | instskip(NEXT) | instid1(VALU_DEP_2)
	v_add_f64 v[8:9], v[8:9], v[28:29]
	v_fma_f64 v[18:19], v[22:23], v[18:19], -v[24:25]
	s_delay_alu instid0(VALU_DEP_1) | instskip(NEXT) | instid1(VALU_DEP_1)
	v_fma_f64 v[14:15], v[22:23], v[14:15], v[18:19]
	v_add_f64 v[18:19], v[24:25], v[14:15]
	s_delay_alu instid0(VALU_DEP_1) | instskip(SKIP_1) | instid1(VALU_DEP_2)
	v_add_f64 v[26:27], v[16:17], -v[18:19]
	v_add_f64 v[24:25], v[18:19], -v[24:25]
	;; [unrolled: 1-line block ×3, first 2 shown]
	s_delay_alu instid0(VALU_DEP_2) | instskip(NEXT) | instid1(VALU_DEP_2)
	v_add_f64 v[14:15], v[24:25], -v[14:15]
	v_add_f64 v[16:17], v[16:17], -v[18:19]
	s_delay_alu instid0(VALU_DEP_1) | instskip(SKIP_1) | instid1(VALU_DEP_2)
	v_add_f64 v[8:9], v[8:9], v[16:17]
	v_add_f64 v[16:17], v[20:21], v[22:23]
	;; [unrolled: 1-line block ×3, first 2 shown]
	s_delay_alu instid0(VALU_DEP_2) | instskip(NEXT) | instid1(VALU_DEP_2)
	v_add_f64 v[14:15], v[16:17], -v[20:21]
	v_add_f64 v[8:9], v[26:27], v[8:9]
	s_delay_alu instid0(VALU_DEP_2) | instskip(NEXT) | instid1(VALU_DEP_2)
	v_add_f64 v[14:15], v[22:23], -v[14:15]
	v_mul_f64 v[8:9], v[12:13], v[8:9]
	s_delay_alu instid0(VALU_DEP_1) | instskip(NEXT) | instid1(VALU_DEP_1)
	v_add_f64 v[8:9], v[14:15], v[8:9]
	v_add_f64 v[12:13], v[16:17], v[8:9]
	s_delay_alu instid0(VALU_DEP_1) | instskip(NEXT) | instid1(VALU_DEP_1)
	v_mul_f64 v[14:15], v[12:13], v[12:13]
	v_fma_f64 v[18:19], v[14:15], s[16:17], s[14:15]
	s_mov_b32 s14, 0xd7f4df2e
	s_mov_b32 s15, 0x3fc7474d
	v_mul_f64 v[20:21], v[12:13], v[14:15]
	s_delay_alu instid0(VALU_DEP_2)
	v_fma_f64 v[18:19], v[14:15], v[18:19], s[14:15]
	s_mov_b32 s14, 0x16291751
	s_mov_b32 s15, 0x3fcc71c0
	s_delay_alu instid0(VALU_DEP_1) | instid1(SALU_CYCLE_1)
	v_fma_f64 v[18:19], v[14:15], v[18:19], s[14:15]
	s_mov_b32 s14, 0x9b27acf1
	s_mov_b32 s15, 0x3fd24924
	s_delay_alu instid0(VALU_DEP_1) | instid1(SALU_CYCLE_1)
	;; [unrolled: 4-line block ×3, first 2 shown]
	v_fma_f64 v[18:19], v[14:15], v[18:19], s[14:15]
	s_delay_alu instid0(VALU_DEP_1) | instskip(SKIP_2) | instid1(VALU_DEP_3)
	v_fma_f64 v[14:15], v[14:15], v[18:19], s[10:11]
	v_ldexp_f64 v[18:19], v[12:13], 1
	v_add_f64 v[12:13], v[12:13], -v[16:17]
	v_mul_f64 v[14:15], v[20:21], v[14:15]
	v_cvt_f64_i32_e32 v[20:21], v32
	s_delay_alu instid0(VALU_DEP_3) | instskip(NEXT) | instid1(VALU_DEP_3)
	v_add_f64 v[8:9], v[8:9], -v[12:13]
	v_add_f64 v[16:17], v[18:19], v[14:15]
	s_delay_alu instid0(VALU_DEP_3) | instskip(NEXT) | instid1(VALU_DEP_3)
	v_mul_f64 v[22:23], v[20:21], s[6:7]
	v_ldexp_f64 v[8:9], v[8:9], 1
	s_delay_alu instid0(VALU_DEP_3) | instskip(NEXT) | instid1(VALU_DEP_3)
	v_add_f64 v[12:13], v[16:17], -v[18:19]
	v_fma_f64 v[18:19], v[20:21], s[6:7], -v[22:23]
	s_delay_alu instid0(VALU_DEP_2) | instskip(NEXT) | instid1(VALU_DEP_2)
	v_add_f64 v[12:13], v[14:15], -v[12:13]
	v_fma_f64 v[14:15], v[20:21], s[8:9], v[18:19]
	s_delay_alu instid0(VALU_DEP_2) | instskip(NEXT) | instid1(VALU_DEP_2)
	v_add_f64 v[8:9], v[8:9], v[12:13]
	v_add_f64 v[12:13], v[22:23], v[14:15]
	s_delay_alu instid0(VALU_DEP_2) | instskip(NEXT) | instid1(VALU_DEP_2)
	v_add_f64 v[18:19], v[16:17], v[8:9]
	v_add_f64 v[22:23], v[12:13], -v[22:23]
	s_delay_alu instid0(VALU_DEP_2) | instskip(SKIP_1) | instid1(VALU_DEP_3)
	v_add_f64 v[20:21], v[12:13], v[18:19]
	v_add_f64 v[16:17], v[18:19], -v[16:17]
	v_add_f64 v[14:15], v[14:15], -v[22:23]
	s_delay_alu instid0(VALU_DEP_3) | instskip(NEXT) | instid1(VALU_DEP_3)
	v_add_f64 v[24:25], v[20:21], -v[12:13]
	v_add_f64 v[8:9], v[8:9], -v[16:17]
	s_delay_alu instid0(VALU_DEP_2) | instskip(SKIP_1) | instid1(VALU_DEP_3)
	v_add_f64 v[26:27], v[20:21], -v[24:25]
	v_add_f64 v[16:17], v[18:19], -v[24:25]
	v_add_f64 v[18:19], v[14:15], v[8:9]
	s_delay_alu instid0(VALU_DEP_3) | instskip(NEXT) | instid1(VALU_DEP_1)
	v_add_f64 v[12:13], v[12:13], -v[26:27]
	v_add_f64 v[12:13], v[16:17], v[12:13]
	s_delay_alu instid0(VALU_DEP_3) | instskip(NEXT) | instid1(VALU_DEP_2)
	v_add_f64 v[16:17], v[18:19], -v[14:15]
	v_add_f64 v[12:13], v[18:19], v[12:13]
	s_delay_alu instid0(VALU_DEP_2) | instskip(SKIP_1) | instid1(VALU_DEP_3)
	v_add_f64 v[18:19], v[18:19], -v[16:17]
	v_add_f64 v[8:9], v[8:9], -v[16:17]
	v_add_f64 v[22:23], v[20:21], v[12:13]
	s_delay_alu instid0(VALU_DEP_3) | instskip(NEXT) | instid1(VALU_DEP_2)
	v_add_f64 v[14:15], v[14:15], -v[18:19]
	v_add_f64 v[16:17], v[22:23], -v[20:21]
	s_delay_alu instid0(VALU_DEP_2) | instskip(NEXT) | instid1(VALU_DEP_2)
	v_add_f64 v[8:9], v[8:9], v[14:15]
	v_add_f64 v[12:13], v[12:13], -v[16:17]
	s_delay_alu instid0(VALU_DEP_1) | instskip(NEXT) | instid1(VALU_DEP_1)
	v_add_f64 v[8:9], v[8:9], v[12:13]
	v_add_f64 v[8:9], v[22:23], v[8:9]
	s_delay_alu instid0(VALU_DEP_1) | instskip(SKIP_1) | instid1(VALU_DEP_2)
	v_dual_cndmask_b32 v9, v9, v5 :: v_dual_cndmask_b32 v8, v8, v4
	v_cmp_ngt_f64_e32 vcc_lo, -1.0, v[4:5]
	v_cndmask_b32_e32 v9, 0x7ff80000, v9, vcc_lo
	v_cmp_nge_f64_e32 vcc_lo, -1.0, v[4:5]
	s_delay_alu instid0(VALU_DEP_4) | instskip(SKIP_1) | instid1(VALU_DEP_4)
	v_cndmask_b32_e32 v8, 0, v8, vcc_lo
	v_cmp_neq_f64_e32 vcc_lo, -1.0, v[4:5]
	v_cndmask_b32_e32 v9, 0xfff00000, v9, vcc_lo
	s_delay_alu instid0(VALU_DEP_1)
	v_add_f64 v[4:5], v[6:7], v[8:9]
.LBB36_28:
	s_or_b32 exec_lo, exec_lo, s12
	v_max_f64 v[12:13], v[114:115], v[114:115]
	s_delay_alu instid0(VALU_DEP_2) | instskip(SKIP_2) | instid1(VALU_DEP_3)
	v_max_f64 v[6:7], v[4:5], v[4:5]
	v_cmp_u_f64_e32 vcc_lo, v[4:5], v[4:5]
	v_cmp_u_f64_e64 s5, v[114:115], v[114:115]
	v_min_f64 v[8:9], v[6:7], v[12:13]
	v_max_f64 v[6:7], v[6:7], v[12:13]
	s_delay_alu instid0(VALU_DEP_2) | instskip(NEXT) | instid1(VALU_DEP_2)
	v_dual_cndmask_b32 v8, v8, v4 :: v_dual_cndmask_b32 v9, v9, v5
	v_dual_cndmask_b32 v7, v7, v5 :: v_dual_cndmask_b32 v6, v6, v4
	s_delay_alu instid0(VALU_DEP_2) | instskip(NEXT) | instid1(VALU_DEP_3)
	v_cndmask_b32_e64 v8, v8, v114, s5
	v_cndmask_b32_e64 v9, v9, v115, s5
	s_delay_alu instid0(VALU_DEP_3) | instskip(NEXT) | instid1(VALU_DEP_4)
	v_cndmask_b32_e64 v7, v7, v115, s5
	v_cndmask_b32_e64 v6, v6, v114, s5
	s_delay_alu instid0(VALU_DEP_3) | instskip(NEXT) | instid1(VALU_DEP_2)
	v_cmp_class_f64_e64 s6, v[8:9], 0x1f8
	v_cmp_neq_f64_e32 vcc_lo, v[8:9], v[6:7]
	s_delay_alu instid0(VALU_DEP_2) | instskip(NEXT) | instid1(SALU_CYCLE_1)
	s_or_b32 s6, vcc_lo, s6
	s_and_saveexec_b32 s12, s6
	s_cbranch_execz .LBB36_30
; %bb.29:
	v_add_f64 v[4:5], v[8:9], -v[6:7]
	s_mov_b32 s6, 0x652b82fe
	s_mov_b32 s7, 0x3ff71547
	;; [unrolled: 1-line block ×10, first 2 shown]
	s_delay_alu instid0(VALU_DEP_1) | instskip(SKIP_3) | instid1(VALU_DEP_2)
	v_mul_f64 v[8:9], v[4:5], s[6:7]
	s_mov_b32 s6, 0xfca7ab0c
	s_mov_b32 s7, 0x3e928af3
	v_cmp_nlt_f64_e32 vcc_lo, 0x40900000, v[4:5]
	v_rndne_f64_e32 v[8:9], v[8:9]
	s_delay_alu instid0(VALU_DEP_1) | instskip(SKIP_2) | instid1(VALU_DEP_2)
	v_fma_f64 v[14:15], v[8:9], s[8:9], v[4:5]
	v_cvt_i32_f64_e32 v18, v[8:9]
	s_mov_b32 s9, 0x3fe62e42
	v_fma_f64 v[14:15], v[8:9], s[10:11], v[14:15]
	s_mov_b32 s11, 0x3c7abc9e
	s_delay_alu instid0(VALU_DEP_1) | instskip(SKIP_4) | instid1(VALU_DEP_1)
	v_fma_f64 v[16:17], v[14:15], s[14:15], s[6:7]
	s_mov_b32 s6, 0x623fde64
	s_mov_b32 s7, 0x3ec71dee
	s_mov_b32 s14, 0x6b47b09a
	s_mov_b32 s15, 0x3fc38538
	v_fma_f64 v[16:17], v[14:15], v[16:17], s[6:7]
	s_mov_b32 s6, 0x7c89e6b0
	s_mov_b32 s7, 0x3efa0199
	s_delay_alu instid0(VALU_DEP_1) | instid1(SALU_CYCLE_1)
	v_fma_f64 v[16:17], v[14:15], v[16:17], s[6:7]
	s_mov_b32 s6, 0x14761f6e
	s_mov_b32 s7, 0x3f2a01a0
	s_delay_alu instid0(VALU_DEP_1) | instid1(SALU_CYCLE_1)
	;; [unrolled: 4-line block ×7, first 2 shown]
	v_fma_f64 v[16:17], v[14:15], v[16:17], s[6:7]
	v_cmp_ngt_f64_e64 s6, 0xc090cc00, v[4:5]
	s_mov_b32 s7, 0x3fe55555
	s_delay_alu instid0(VALU_DEP_2) | instskip(NEXT) | instid1(VALU_DEP_1)
	v_fma_f64 v[16:17], v[14:15], v[16:17], 1.0
	v_fma_f64 v[8:9], v[14:15], v[16:17], 1.0
	s_delay_alu instid0(VALU_DEP_1) | instskip(NEXT) | instid1(VALU_DEP_1)
	v_ldexp_f64 v[8:9], v[8:9], v18
	v_cndmask_b32_e32 v9, 0x7ff00000, v9, vcc_lo
	s_and_b32 vcc_lo, s6, vcc_lo
	s_delay_alu instid0(VALU_DEP_1) | instskip(NEXT) | instid1(VALU_DEP_3)
	v_cndmask_b32_e64 v5, 0, v9, s6
	v_cndmask_b32_e32 v4, 0, v8, vcc_lo
	s_mov_b32 s6, 0x55555555
	s_delay_alu instid0(VALU_DEP_1) | instskip(NEXT) | instid1(VALU_DEP_1)
	v_add_f64 v[8:9], v[4:5], 1.0
	v_frexp_mant_f64_e32 v[14:15], v[8:9]
	v_frexp_exp_i32_f64_e32 v18, v[8:9]
	v_add_f64 v[16:17], v[8:9], -1.0
	s_delay_alu instid0(VALU_DEP_3) | instskip(SKIP_1) | instid1(VALU_DEP_2)
	v_cmp_gt_f64_e32 vcc_lo, s[6:7], v[14:15]
	s_mov_b32 s6, 0x55555780
	v_add_f64 v[14:15], v[16:17], -v[8:9]
	v_add_f64 v[16:17], v[4:5], -v[16:17]
	v_subrev_co_ci_u32_e32 v34, vcc_lo, 0, v18, vcc_lo
	s_delay_alu instid0(VALU_DEP_3) | instskip(SKIP_1) | instid1(VALU_DEP_3)
	v_add_f64 v[14:15], v[14:15], 1.0
	v_cmp_eq_f64_e32 vcc_lo, 0x7ff00000, v[4:5]
	v_sub_nc_u32_e32 v20, 0, v34
	s_delay_alu instid0(VALU_DEP_1) | instskip(NEXT) | instid1(VALU_DEP_4)
	v_ldexp_f64 v[8:9], v[8:9], v20
	v_add_f64 v[14:15], v[16:17], v[14:15]
	s_delay_alu instid0(VALU_DEP_2) | instskip(SKIP_1) | instid1(VALU_DEP_3)
	v_add_f64 v[18:19], v[8:9], 1.0
	v_add_f64 v[24:25], v[8:9], -1.0
	v_ldexp_f64 v[14:15], v[14:15], v20
	s_delay_alu instid0(VALU_DEP_3) | instskip(NEXT) | instid1(VALU_DEP_3)
	v_add_f64 v[16:17], v[18:19], -1.0
	v_add_f64 v[26:27], v[24:25], 1.0
	s_delay_alu instid0(VALU_DEP_2) | instskip(NEXT) | instid1(VALU_DEP_2)
	v_add_f64 v[16:17], v[8:9], -v[16:17]
	v_add_f64 v[8:9], v[8:9], -v[26:27]
	s_delay_alu instid0(VALU_DEP_2) | instskip(NEXT) | instid1(VALU_DEP_2)
	v_add_f64 v[16:17], v[14:15], v[16:17]
	v_add_f64 v[8:9], v[14:15], v[8:9]
	s_delay_alu instid0(VALU_DEP_2) | instskip(NEXT) | instid1(VALU_DEP_2)
	v_add_f64 v[20:21], v[18:19], v[16:17]
	v_add_f64 v[26:27], v[24:25], v[8:9]
	s_delay_alu instid0(VALU_DEP_2) | instskip(SKIP_1) | instid1(VALU_DEP_2)
	v_rcp_f64_e32 v[22:23], v[20:21]
	v_add_f64 v[18:19], v[20:21], -v[18:19]
	v_add_f64 v[24:25], v[26:27], -v[24:25]
	s_delay_alu instid0(VALU_DEP_2) | instskip(SKIP_3) | instid1(VALU_DEP_2)
	v_add_f64 v[16:17], v[16:17], -v[18:19]
	s_waitcnt_depctr 0xfff
	v_fma_f64 v[28:29], -v[20:21], v[22:23], 1.0
	v_add_f64 v[8:9], v[8:9], -v[24:25]
	v_fma_f64 v[22:23], v[28:29], v[22:23], v[22:23]
	s_delay_alu instid0(VALU_DEP_1) | instskip(NEXT) | instid1(VALU_DEP_1)
	v_fma_f64 v[14:15], -v[20:21], v[22:23], 1.0
	v_fma_f64 v[14:15], v[14:15], v[22:23], v[22:23]
	s_delay_alu instid0(VALU_DEP_1) | instskip(NEXT) | instid1(VALU_DEP_1)
	v_mul_f64 v[22:23], v[26:27], v[14:15]
	v_mul_f64 v[28:29], v[20:21], v[22:23]
	s_delay_alu instid0(VALU_DEP_1) | instskip(NEXT) | instid1(VALU_DEP_1)
	v_fma_f64 v[18:19], v[22:23], v[20:21], -v[28:29]
	v_fma_f64 v[18:19], v[22:23], v[16:17], v[18:19]
	s_delay_alu instid0(VALU_DEP_1) | instskip(NEXT) | instid1(VALU_DEP_1)
	v_add_f64 v[30:31], v[28:29], v[18:19]
	v_add_f64 v[32:33], v[26:27], -v[30:31]
	v_add_f64 v[24:25], v[30:31], -v[28:29]
	s_delay_alu instid0(VALU_DEP_2) | instskip(NEXT) | instid1(VALU_DEP_2)
	v_add_f64 v[26:27], v[26:27], -v[32:33]
	v_add_f64 v[18:19], v[24:25], -v[18:19]
	s_delay_alu instid0(VALU_DEP_2) | instskip(NEXT) | instid1(VALU_DEP_1)
	v_add_f64 v[26:27], v[26:27], -v[30:31]
	v_add_f64 v[8:9], v[8:9], v[26:27]
	s_delay_alu instid0(VALU_DEP_1) | instskip(NEXT) | instid1(VALU_DEP_1)
	v_add_f64 v[8:9], v[18:19], v[8:9]
	v_add_f64 v[18:19], v[32:33], v[8:9]
	s_delay_alu instid0(VALU_DEP_1) | instskip(SKIP_1) | instid1(VALU_DEP_2)
	v_mul_f64 v[24:25], v[14:15], v[18:19]
	v_add_f64 v[30:31], v[32:33], -v[18:19]
	v_mul_f64 v[26:27], v[20:21], v[24:25]
	s_delay_alu instid0(VALU_DEP_2) | instskip(NEXT) | instid1(VALU_DEP_2)
	v_add_f64 v[8:9], v[8:9], v[30:31]
	v_fma_f64 v[20:21], v[24:25], v[20:21], -v[26:27]
	s_delay_alu instid0(VALU_DEP_1) | instskip(NEXT) | instid1(VALU_DEP_1)
	v_fma_f64 v[16:17], v[24:25], v[16:17], v[20:21]
	v_add_f64 v[20:21], v[26:27], v[16:17]
	s_delay_alu instid0(VALU_DEP_1) | instskip(SKIP_1) | instid1(VALU_DEP_2)
	v_add_f64 v[28:29], v[18:19], -v[20:21]
	v_add_f64 v[26:27], v[20:21], -v[26:27]
	;; [unrolled: 1-line block ×3, first 2 shown]
	s_delay_alu instid0(VALU_DEP_2) | instskip(NEXT) | instid1(VALU_DEP_2)
	v_add_f64 v[16:17], v[26:27], -v[16:17]
	v_add_f64 v[18:19], v[18:19], -v[20:21]
	s_delay_alu instid0(VALU_DEP_1) | instskip(SKIP_1) | instid1(VALU_DEP_2)
	v_add_f64 v[8:9], v[8:9], v[18:19]
	v_add_f64 v[18:19], v[22:23], v[24:25]
	;; [unrolled: 1-line block ×3, first 2 shown]
	s_delay_alu instid0(VALU_DEP_2) | instskip(NEXT) | instid1(VALU_DEP_2)
	v_add_f64 v[16:17], v[18:19], -v[22:23]
	v_add_f64 v[8:9], v[28:29], v[8:9]
	s_delay_alu instid0(VALU_DEP_2) | instskip(NEXT) | instid1(VALU_DEP_2)
	v_add_f64 v[16:17], v[24:25], -v[16:17]
	v_mul_f64 v[8:9], v[14:15], v[8:9]
	s_delay_alu instid0(VALU_DEP_1) | instskip(NEXT) | instid1(VALU_DEP_1)
	v_add_f64 v[8:9], v[16:17], v[8:9]
	v_add_f64 v[14:15], v[18:19], v[8:9]
	s_delay_alu instid0(VALU_DEP_1) | instskip(NEXT) | instid1(VALU_DEP_1)
	v_mul_f64 v[16:17], v[14:15], v[14:15]
	v_fma_f64 v[20:21], v[16:17], s[16:17], s[14:15]
	s_mov_b32 s14, 0xd7f4df2e
	s_mov_b32 s15, 0x3fc7474d
	v_mul_f64 v[22:23], v[14:15], v[16:17]
	s_delay_alu instid0(VALU_DEP_2)
	v_fma_f64 v[20:21], v[16:17], v[20:21], s[14:15]
	s_mov_b32 s14, 0x16291751
	s_mov_b32 s15, 0x3fcc71c0
	s_delay_alu instid0(VALU_DEP_1) | instid1(SALU_CYCLE_1)
	v_fma_f64 v[20:21], v[16:17], v[20:21], s[14:15]
	s_mov_b32 s14, 0x9b27acf1
	s_mov_b32 s15, 0x3fd24924
	s_delay_alu instid0(VALU_DEP_1) | instid1(SALU_CYCLE_1)
	;; [unrolled: 4-line block ×3, first 2 shown]
	v_fma_f64 v[20:21], v[16:17], v[20:21], s[14:15]
	s_delay_alu instid0(VALU_DEP_1) | instskip(SKIP_2) | instid1(VALU_DEP_3)
	v_fma_f64 v[16:17], v[16:17], v[20:21], s[6:7]
	v_ldexp_f64 v[20:21], v[14:15], 1
	v_add_f64 v[14:15], v[14:15], -v[18:19]
	v_mul_f64 v[16:17], v[22:23], v[16:17]
	v_cvt_f64_i32_e32 v[22:23], v34
	s_delay_alu instid0(VALU_DEP_3) | instskip(NEXT) | instid1(VALU_DEP_3)
	v_add_f64 v[8:9], v[8:9], -v[14:15]
	v_add_f64 v[18:19], v[20:21], v[16:17]
	s_delay_alu instid0(VALU_DEP_3) | instskip(NEXT) | instid1(VALU_DEP_3)
	v_mul_f64 v[24:25], v[22:23], s[8:9]
	v_ldexp_f64 v[8:9], v[8:9], 1
	s_delay_alu instid0(VALU_DEP_3) | instskip(NEXT) | instid1(VALU_DEP_3)
	v_add_f64 v[14:15], v[18:19], -v[20:21]
	v_fma_f64 v[20:21], v[22:23], s[8:9], -v[24:25]
	s_delay_alu instid0(VALU_DEP_2) | instskip(NEXT) | instid1(VALU_DEP_2)
	v_add_f64 v[14:15], v[16:17], -v[14:15]
	v_fma_f64 v[16:17], v[22:23], s[10:11], v[20:21]
	s_delay_alu instid0(VALU_DEP_2) | instskip(NEXT) | instid1(VALU_DEP_2)
	v_add_f64 v[8:9], v[8:9], v[14:15]
	v_add_f64 v[14:15], v[24:25], v[16:17]
	s_delay_alu instid0(VALU_DEP_2) | instskip(NEXT) | instid1(VALU_DEP_2)
	v_add_f64 v[20:21], v[18:19], v[8:9]
	v_add_f64 v[24:25], v[14:15], -v[24:25]
	s_delay_alu instid0(VALU_DEP_2) | instskip(SKIP_1) | instid1(VALU_DEP_3)
	v_add_f64 v[22:23], v[14:15], v[20:21]
	v_add_f64 v[18:19], v[20:21], -v[18:19]
	v_add_f64 v[16:17], v[16:17], -v[24:25]
	s_delay_alu instid0(VALU_DEP_3) | instskip(NEXT) | instid1(VALU_DEP_3)
	v_add_f64 v[26:27], v[22:23], -v[14:15]
	v_add_f64 v[8:9], v[8:9], -v[18:19]
	s_delay_alu instid0(VALU_DEP_2) | instskip(SKIP_1) | instid1(VALU_DEP_3)
	v_add_f64 v[28:29], v[22:23], -v[26:27]
	v_add_f64 v[18:19], v[20:21], -v[26:27]
	v_add_f64 v[20:21], v[16:17], v[8:9]
	s_delay_alu instid0(VALU_DEP_3) | instskip(NEXT) | instid1(VALU_DEP_1)
	v_add_f64 v[14:15], v[14:15], -v[28:29]
	v_add_f64 v[14:15], v[18:19], v[14:15]
	s_delay_alu instid0(VALU_DEP_3) | instskip(NEXT) | instid1(VALU_DEP_2)
	v_add_f64 v[18:19], v[20:21], -v[16:17]
	v_add_f64 v[14:15], v[20:21], v[14:15]
	s_delay_alu instid0(VALU_DEP_2) | instskip(SKIP_1) | instid1(VALU_DEP_3)
	v_add_f64 v[20:21], v[20:21], -v[18:19]
	v_add_f64 v[8:9], v[8:9], -v[18:19]
	v_add_f64 v[24:25], v[22:23], v[14:15]
	s_delay_alu instid0(VALU_DEP_3) | instskip(NEXT) | instid1(VALU_DEP_2)
	v_add_f64 v[16:17], v[16:17], -v[20:21]
	v_add_f64 v[18:19], v[24:25], -v[22:23]
	s_delay_alu instid0(VALU_DEP_2) | instskip(NEXT) | instid1(VALU_DEP_2)
	v_add_f64 v[8:9], v[8:9], v[16:17]
	v_add_f64 v[14:15], v[14:15], -v[18:19]
	s_delay_alu instid0(VALU_DEP_1) | instskip(NEXT) | instid1(VALU_DEP_1)
	v_add_f64 v[8:9], v[8:9], v[14:15]
	v_add_f64 v[8:9], v[24:25], v[8:9]
	s_delay_alu instid0(VALU_DEP_1) | instskip(SKIP_1) | instid1(VALU_DEP_2)
	v_dual_cndmask_b32 v9, v9, v5 :: v_dual_cndmask_b32 v8, v8, v4
	v_cmp_ngt_f64_e32 vcc_lo, -1.0, v[4:5]
	v_cndmask_b32_e32 v9, 0x7ff80000, v9, vcc_lo
	v_cmp_nge_f64_e32 vcc_lo, -1.0, v[4:5]
	s_delay_alu instid0(VALU_DEP_4) | instskip(SKIP_1) | instid1(VALU_DEP_4)
	v_cndmask_b32_e32 v8, 0, v8, vcc_lo
	v_cmp_neq_f64_e32 vcc_lo, -1.0, v[4:5]
	v_cndmask_b32_e32 v9, 0xfff00000, v9, vcc_lo
	s_delay_alu instid0(VALU_DEP_1)
	v_add_f64 v[4:5], v[6:7], v[8:9]
.LBB36_30:
	s_or_b32 exec_lo, exec_lo, s12
	v_max_f64 v[14:15], v[100:101], v[100:101]
	s_delay_alu instid0(VALU_DEP_2) | instskip(SKIP_2) | instid1(VALU_DEP_3)
	v_max_f64 v[6:7], v[4:5], v[4:5]
	v_cmp_u_f64_e32 vcc_lo, v[4:5], v[4:5]
	v_cmp_u_f64_e64 s6, v[100:101], v[100:101]
	v_min_f64 v[8:9], v[6:7], v[14:15]
	v_max_f64 v[6:7], v[6:7], v[14:15]
	s_delay_alu instid0(VALU_DEP_2) | instskip(NEXT) | instid1(VALU_DEP_2)
	v_dual_cndmask_b32 v8, v8, v4 :: v_dual_cndmask_b32 v9, v9, v5
	v_dual_cndmask_b32 v7, v7, v5 :: v_dual_cndmask_b32 v6, v6, v4
	s_delay_alu instid0(VALU_DEP_2) | instskip(NEXT) | instid1(VALU_DEP_3)
	v_cndmask_b32_e64 v8, v8, v100, s6
	v_cndmask_b32_e64 v9, v9, v101, s6
	s_delay_alu instid0(VALU_DEP_3) | instskip(NEXT) | instid1(VALU_DEP_4)
	v_cndmask_b32_e64 v7, v7, v101, s6
	v_cndmask_b32_e64 v6, v6, v100, s6
	s_delay_alu instid0(VALU_DEP_3) | instskip(NEXT) | instid1(VALU_DEP_2)
	v_cmp_class_f64_e64 s7, v[8:9], 0x1f8
	v_cmp_neq_f64_e32 vcc_lo, v[8:9], v[6:7]
	s_delay_alu instid0(VALU_DEP_2) | instskip(NEXT) | instid1(SALU_CYCLE_1)
	s_or_b32 s7, vcc_lo, s7
	s_and_saveexec_b32 s14, s7
	s_cbranch_execz .LBB36_32
; %bb.31:
	v_add_f64 v[4:5], v[8:9], -v[6:7]
	s_mov_b32 s8, 0x652b82fe
	s_mov_b32 s9, 0x3ff71547
	;; [unrolled: 1-line block ×10, first 2 shown]
	s_delay_alu instid0(VALU_DEP_1) | instskip(SKIP_4) | instid1(VALU_DEP_3)
	v_mul_f64 v[8:9], v[4:5], s[8:9]
	s_mov_b32 s9, 0xbfe62e42
	s_mov_b32 s8, 0xfefa39ef
	v_cmp_nlt_f64_e32 vcc_lo, 0x40900000, v[4:5]
	v_cmp_ngt_f64_e64 s7, 0xc090cc00, v[4:5]
	v_rndne_f64_e32 v[8:9], v[8:9]
	s_delay_alu instid0(VALU_DEP_1) | instskip(SKIP_2) | instid1(VALU_DEP_2)
	v_fma_f64 v[16:17], v[8:9], s[8:9], v[4:5]
	v_cvt_i32_f64_e32 v20, v[8:9]
	s_mov_b32 s9, 0x3fe62e42
	v_fma_f64 v[16:17], v[8:9], s[10:11], v[16:17]
	s_mov_b32 s11, 0x3c7abc9e
	s_delay_alu instid0(VALU_DEP_1) | instskip(SKIP_4) | instid1(VALU_DEP_1)
	v_fma_f64 v[18:19], v[16:17], s[16:17], s[12:13]
	s_mov_b32 s12, 0x623fde64
	s_mov_b32 s13, 0x3ec71dee
	;; [unrolled: 1-line block ×4, first 2 shown]
	v_fma_f64 v[18:19], v[16:17], v[18:19], s[12:13]
	s_mov_b32 s12, 0x7c89e6b0
	s_mov_b32 s13, 0x3efa0199
	s_delay_alu instid0(VALU_DEP_1) | instid1(SALU_CYCLE_1)
	v_fma_f64 v[18:19], v[16:17], v[18:19], s[12:13]
	s_mov_b32 s12, 0x14761f6e
	s_mov_b32 s13, 0x3f2a01a0
	s_delay_alu instid0(VALU_DEP_1) | instid1(SALU_CYCLE_1)
	;; [unrolled: 4-line block ×7, first 2 shown]
	v_fma_f64 v[18:19], v[16:17], v[18:19], s[12:13]
	s_mov_b32 s13, 0x3fe55555
	s_mov_b32 s12, 0x55555555
	s_delay_alu instid0(VALU_DEP_1) | instskip(NEXT) | instid1(VALU_DEP_1)
	v_fma_f64 v[18:19], v[16:17], v[18:19], 1.0
	v_fma_f64 v[8:9], v[16:17], v[18:19], 1.0
	s_delay_alu instid0(VALU_DEP_1) | instskip(NEXT) | instid1(VALU_DEP_1)
	v_ldexp_f64 v[8:9], v[8:9], v20
	v_cndmask_b32_e32 v9, 0x7ff00000, v9, vcc_lo
	s_and_b32 vcc_lo, s7, vcc_lo
	s_delay_alu instid0(VALU_DEP_1) | instskip(NEXT) | instid1(VALU_DEP_3)
	v_cndmask_b32_e64 v5, 0, v9, s7
	v_cndmask_b32_e32 v4, 0, v8, vcc_lo
	s_delay_alu instid0(VALU_DEP_1) | instskip(NEXT) | instid1(VALU_DEP_1)
	v_add_f64 v[8:9], v[4:5], 1.0
	v_frexp_mant_f64_e32 v[16:17], v[8:9]
	v_frexp_exp_i32_f64_e32 v20, v[8:9]
	v_add_f64 v[18:19], v[8:9], -1.0
	s_delay_alu instid0(VALU_DEP_3) | instskip(SKIP_1) | instid1(VALU_DEP_2)
	v_cmp_gt_f64_e32 vcc_lo, s[12:13], v[16:17]
	s_mov_b32 s12, 0x55555780
	v_add_f64 v[16:17], v[18:19], -v[8:9]
	v_add_f64 v[18:19], v[4:5], -v[18:19]
	v_subrev_co_ci_u32_e32 v131, vcc_lo, 0, v20, vcc_lo
	s_delay_alu instid0(VALU_DEP_3) | instskip(SKIP_1) | instid1(VALU_DEP_3)
	v_add_f64 v[16:17], v[16:17], 1.0
	v_cmp_eq_f64_e32 vcc_lo, 0x7ff00000, v[4:5]
	v_sub_nc_u32_e32 v22, 0, v131
	s_delay_alu instid0(VALU_DEP_1) | instskip(NEXT) | instid1(VALU_DEP_4)
	v_ldexp_f64 v[8:9], v[8:9], v22
	v_add_f64 v[16:17], v[18:19], v[16:17]
	s_delay_alu instid0(VALU_DEP_2) | instskip(SKIP_1) | instid1(VALU_DEP_3)
	v_add_f64 v[20:21], v[8:9], 1.0
	v_add_f64 v[26:27], v[8:9], -1.0
	v_ldexp_f64 v[16:17], v[16:17], v22
	s_delay_alu instid0(VALU_DEP_3) | instskip(NEXT) | instid1(VALU_DEP_3)
	v_add_f64 v[18:19], v[20:21], -1.0
	v_add_f64 v[28:29], v[26:27], 1.0
	s_delay_alu instid0(VALU_DEP_2) | instskip(NEXT) | instid1(VALU_DEP_2)
	v_add_f64 v[18:19], v[8:9], -v[18:19]
	v_add_f64 v[8:9], v[8:9], -v[28:29]
	s_delay_alu instid0(VALU_DEP_2) | instskip(NEXT) | instid1(VALU_DEP_2)
	v_add_f64 v[18:19], v[16:17], v[18:19]
	v_add_f64 v[8:9], v[16:17], v[8:9]
	s_delay_alu instid0(VALU_DEP_2) | instskip(NEXT) | instid1(VALU_DEP_2)
	v_add_f64 v[22:23], v[20:21], v[18:19]
	v_add_f64 v[28:29], v[26:27], v[8:9]
	s_delay_alu instid0(VALU_DEP_2) | instskip(SKIP_1) | instid1(VALU_DEP_2)
	v_rcp_f64_e32 v[24:25], v[22:23]
	v_add_f64 v[20:21], v[22:23], -v[20:21]
	v_add_f64 v[26:27], v[28:29], -v[26:27]
	s_delay_alu instid0(VALU_DEP_2) | instskip(SKIP_3) | instid1(VALU_DEP_2)
	v_add_f64 v[18:19], v[18:19], -v[20:21]
	s_waitcnt_depctr 0xfff
	v_fma_f64 v[30:31], -v[22:23], v[24:25], 1.0
	v_add_f64 v[8:9], v[8:9], -v[26:27]
	v_fma_f64 v[24:25], v[30:31], v[24:25], v[24:25]
	s_delay_alu instid0(VALU_DEP_1) | instskip(NEXT) | instid1(VALU_DEP_1)
	v_fma_f64 v[16:17], -v[22:23], v[24:25], 1.0
	v_fma_f64 v[16:17], v[16:17], v[24:25], v[24:25]
	s_delay_alu instid0(VALU_DEP_1) | instskip(NEXT) | instid1(VALU_DEP_1)
	v_mul_f64 v[24:25], v[28:29], v[16:17]
	v_mul_f64 v[30:31], v[22:23], v[24:25]
	s_delay_alu instid0(VALU_DEP_1) | instskip(NEXT) | instid1(VALU_DEP_1)
	v_fma_f64 v[20:21], v[24:25], v[22:23], -v[30:31]
	v_fma_f64 v[20:21], v[24:25], v[18:19], v[20:21]
	s_delay_alu instid0(VALU_DEP_1) | instskip(NEXT) | instid1(VALU_DEP_1)
	v_add_f64 v[32:33], v[30:31], v[20:21]
	v_add_f64 v[34:35], v[28:29], -v[32:33]
	v_add_f64 v[26:27], v[32:33], -v[30:31]
	s_delay_alu instid0(VALU_DEP_2) | instskip(NEXT) | instid1(VALU_DEP_2)
	v_add_f64 v[28:29], v[28:29], -v[34:35]
	v_add_f64 v[20:21], v[26:27], -v[20:21]
	s_delay_alu instid0(VALU_DEP_2) | instskip(NEXT) | instid1(VALU_DEP_1)
	v_add_f64 v[28:29], v[28:29], -v[32:33]
	v_add_f64 v[8:9], v[8:9], v[28:29]
	s_delay_alu instid0(VALU_DEP_1) | instskip(NEXT) | instid1(VALU_DEP_1)
	v_add_f64 v[8:9], v[20:21], v[8:9]
	v_add_f64 v[20:21], v[34:35], v[8:9]
	s_delay_alu instid0(VALU_DEP_1) | instskip(SKIP_1) | instid1(VALU_DEP_2)
	v_mul_f64 v[26:27], v[16:17], v[20:21]
	v_add_f64 v[32:33], v[34:35], -v[20:21]
	v_mul_f64 v[28:29], v[22:23], v[26:27]
	s_delay_alu instid0(VALU_DEP_2) | instskip(NEXT) | instid1(VALU_DEP_2)
	v_add_f64 v[8:9], v[8:9], v[32:33]
	v_fma_f64 v[22:23], v[26:27], v[22:23], -v[28:29]
	s_delay_alu instid0(VALU_DEP_1) | instskip(NEXT) | instid1(VALU_DEP_1)
	v_fma_f64 v[18:19], v[26:27], v[18:19], v[22:23]
	v_add_f64 v[22:23], v[28:29], v[18:19]
	s_delay_alu instid0(VALU_DEP_1) | instskip(SKIP_1) | instid1(VALU_DEP_2)
	v_add_f64 v[30:31], v[20:21], -v[22:23]
	v_add_f64 v[28:29], v[22:23], -v[28:29]
	;; [unrolled: 1-line block ×3, first 2 shown]
	s_delay_alu instid0(VALU_DEP_2) | instskip(NEXT) | instid1(VALU_DEP_2)
	v_add_f64 v[18:19], v[28:29], -v[18:19]
	v_add_f64 v[20:21], v[20:21], -v[22:23]
	s_delay_alu instid0(VALU_DEP_1) | instskip(SKIP_1) | instid1(VALU_DEP_2)
	v_add_f64 v[8:9], v[8:9], v[20:21]
	v_add_f64 v[20:21], v[24:25], v[26:27]
	;; [unrolled: 1-line block ×3, first 2 shown]
	s_delay_alu instid0(VALU_DEP_2) | instskip(NEXT) | instid1(VALU_DEP_2)
	v_add_f64 v[18:19], v[20:21], -v[24:25]
	v_add_f64 v[8:9], v[30:31], v[8:9]
	s_delay_alu instid0(VALU_DEP_2) | instskip(NEXT) | instid1(VALU_DEP_2)
	v_add_f64 v[18:19], v[26:27], -v[18:19]
	v_mul_f64 v[8:9], v[16:17], v[8:9]
	s_delay_alu instid0(VALU_DEP_1) | instskip(NEXT) | instid1(VALU_DEP_1)
	v_add_f64 v[8:9], v[18:19], v[8:9]
	v_add_f64 v[16:17], v[20:21], v[8:9]
	s_delay_alu instid0(VALU_DEP_1) | instskip(NEXT) | instid1(VALU_DEP_1)
	v_mul_f64 v[18:19], v[16:17], v[16:17]
	v_fma_f64 v[22:23], v[18:19], s[20:21], s[16:17]
	s_mov_b32 s16, 0xd7f4df2e
	s_mov_b32 s17, 0x3fc7474d
	v_mul_f64 v[24:25], v[16:17], v[18:19]
	s_delay_alu instid0(VALU_DEP_2)
	v_fma_f64 v[22:23], v[18:19], v[22:23], s[16:17]
	s_mov_b32 s16, 0x16291751
	s_mov_b32 s17, 0x3fcc71c0
	s_delay_alu instid0(VALU_DEP_1) | instid1(SALU_CYCLE_1)
	v_fma_f64 v[22:23], v[18:19], v[22:23], s[16:17]
	s_mov_b32 s16, 0x9b27acf1
	s_mov_b32 s17, 0x3fd24924
	s_delay_alu instid0(VALU_DEP_1) | instid1(SALU_CYCLE_1)
	;; [unrolled: 4-line block ×3, first 2 shown]
	v_fma_f64 v[22:23], v[18:19], v[22:23], s[16:17]
	s_delay_alu instid0(VALU_DEP_1) | instskip(SKIP_2) | instid1(VALU_DEP_3)
	v_fma_f64 v[18:19], v[18:19], v[22:23], s[12:13]
	v_ldexp_f64 v[22:23], v[16:17], 1
	v_add_f64 v[16:17], v[16:17], -v[20:21]
	v_mul_f64 v[18:19], v[24:25], v[18:19]
	v_cvt_f64_i32_e32 v[24:25], v131
	s_delay_alu instid0(VALU_DEP_3) | instskip(NEXT) | instid1(VALU_DEP_3)
	v_add_f64 v[8:9], v[8:9], -v[16:17]
	v_add_f64 v[20:21], v[22:23], v[18:19]
	s_delay_alu instid0(VALU_DEP_3) | instskip(NEXT) | instid1(VALU_DEP_3)
	v_mul_f64 v[26:27], v[24:25], s[8:9]
	v_ldexp_f64 v[8:9], v[8:9], 1
	s_delay_alu instid0(VALU_DEP_3) | instskip(NEXT) | instid1(VALU_DEP_3)
	v_add_f64 v[16:17], v[20:21], -v[22:23]
	v_fma_f64 v[22:23], v[24:25], s[8:9], -v[26:27]
	s_delay_alu instid0(VALU_DEP_2) | instskip(NEXT) | instid1(VALU_DEP_2)
	v_add_f64 v[16:17], v[18:19], -v[16:17]
	v_fma_f64 v[18:19], v[24:25], s[10:11], v[22:23]
	s_delay_alu instid0(VALU_DEP_2) | instskip(NEXT) | instid1(VALU_DEP_2)
	v_add_f64 v[8:9], v[8:9], v[16:17]
	v_add_f64 v[16:17], v[26:27], v[18:19]
	s_delay_alu instid0(VALU_DEP_2) | instskip(NEXT) | instid1(VALU_DEP_2)
	v_add_f64 v[22:23], v[20:21], v[8:9]
	v_add_f64 v[26:27], v[16:17], -v[26:27]
	s_delay_alu instid0(VALU_DEP_2) | instskip(SKIP_1) | instid1(VALU_DEP_3)
	v_add_f64 v[24:25], v[16:17], v[22:23]
	v_add_f64 v[20:21], v[22:23], -v[20:21]
	v_add_f64 v[18:19], v[18:19], -v[26:27]
	s_delay_alu instid0(VALU_DEP_3) | instskip(NEXT) | instid1(VALU_DEP_3)
	v_add_f64 v[28:29], v[24:25], -v[16:17]
	v_add_f64 v[8:9], v[8:9], -v[20:21]
	s_delay_alu instid0(VALU_DEP_2) | instskip(SKIP_1) | instid1(VALU_DEP_3)
	v_add_f64 v[30:31], v[24:25], -v[28:29]
	v_add_f64 v[20:21], v[22:23], -v[28:29]
	v_add_f64 v[22:23], v[18:19], v[8:9]
	s_delay_alu instid0(VALU_DEP_3) | instskip(NEXT) | instid1(VALU_DEP_1)
	v_add_f64 v[16:17], v[16:17], -v[30:31]
	v_add_f64 v[16:17], v[20:21], v[16:17]
	s_delay_alu instid0(VALU_DEP_3) | instskip(NEXT) | instid1(VALU_DEP_2)
	v_add_f64 v[20:21], v[22:23], -v[18:19]
	v_add_f64 v[16:17], v[22:23], v[16:17]
	s_delay_alu instid0(VALU_DEP_2) | instskip(SKIP_1) | instid1(VALU_DEP_3)
	v_add_f64 v[22:23], v[22:23], -v[20:21]
	v_add_f64 v[8:9], v[8:9], -v[20:21]
	v_add_f64 v[26:27], v[24:25], v[16:17]
	s_delay_alu instid0(VALU_DEP_3) | instskip(NEXT) | instid1(VALU_DEP_2)
	v_add_f64 v[18:19], v[18:19], -v[22:23]
	v_add_f64 v[20:21], v[26:27], -v[24:25]
	s_delay_alu instid0(VALU_DEP_2) | instskip(NEXT) | instid1(VALU_DEP_2)
	v_add_f64 v[8:9], v[8:9], v[18:19]
	v_add_f64 v[16:17], v[16:17], -v[20:21]
	s_delay_alu instid0(VALU_DEP_1) | instskip(NEXT) | instid1(VALU_DEP_1)
	v_add_f64 v[8:9], v[8:9], v[16:17]
	v_add_f64 v[8:9], v[26:27], v[8:9]
	s_delay_alu instid0(VALU_DEP_1) | instskip(SKIP_1) | instid1(VALU_DEP_2)
	v_dual_cndmask_b32 v9, v9, v5 :: v_dual_cndmask_b32 v8, v8, v4
	v_cmp_ngt_f64_e32 vcc_lo, -1.0, v[4:5]
	v_cndmask_b32_e32 v9, 0x7ff80000, v9, vcc_lo
	v_cmp_nge_f64_e32 vcc_lo, -1.0, v[4:5]
	s_delay_alu instid0(VALU_DEP_4) | instskip(SKIP_1) | instid1(VALU_DEP_4)
	v_cndmask_b32_e32 v8, 0, v8, vcc_lo
	v_cmp_neq_f64_e32 vcc_lo, -1.0, v[4:5]
	v_cndmask_b32_e32 v9, 0xfff00000, v9, vcc_lo
	s_delay_alu instid0(VALU_DEP_1)
	v_add_f64 v[4:5], v[6:7], v[8:9]
.LBB36_32:
	s_or_b32 exec_lo, exec_lo, s14
	v_max_f64 v[16:17], v[102:103], v[102:103]
	s_delay_alu instid0(VALU_DEP_2) | instskip(SKIP_2) | instid1(VALU_DEP_3)
	v_max_f64 v[6:7], v[4:5], v[4:5]
	v_cmp_u_f64_e32 vcc_lo, v[4:5], v[4:5]
	v_cmp_u_f64_e64 s7, v[102:103], v[102:103]
	v_min_f64 v[8:9], v[6:7], v[16:17]
	v_max_f64 v[6:7], v[6:7], v[16:17]
	s_delay_alu instid0(VALU_DEP_2) | instskip(NEXT) | instid1(VALU_DEP_2)
	v_dual_cndmask_b32 v8, v8, v4 :: v_dual_cndmask_b32 v9, v9, v5
	v_dual_cndmask_b32 v7, v7, v5 :: v_dual_cndmask_b32 v6, v6, v4
	s_delay_alu instid0(VALU_DEP_2) | instskip(NEXT) | instid1(VALU_DEP_3)
	v_cndmask_b32_e64 v8, v8, v102, s7
	v_cndmask_b32_e64 v9, v9, v103, s7
	s_delay_alu instid0(VALU_DEP_3) | instskip(NEXT) | instid1(VALU_DEP_4)
	v_cndmask_b32_e64 v7, v7, v103, s7
	v_cndmask_b32_e64 v6, v6, v102, s7
	s_delay_alu instid0(VALU_DEP_3) | instskip(NEXT) | instid1(VALU_DEP_2)
	v_cmp_class_f64_e64 s8, v[8:9], 0x1f8
	v_cmp_neq_f64_e32 vcc_lo, v[8:9], v[6:7]
	s_delay_alu instid0(VALU_DEP_2) | instskip(NEXT) | instid1(SALU_CYCLE_1)
	s_or_b32 s8, vcc_lo, s8
	s_and_saveexec_b32 s14, s8
	s_cbranch_execz .LBB36_34
; %bb.33:
	v_add_f64 v[4:5], v[8:9], -v[6:7]
	s_mov_b32 s8, 0x652b82fe
	s_mov_b32 s9, 0x3ff71547
	;; [unrolled: 1-line block ×10, first 2 shown]
	s_delay_alu instid0(VALU_DEP_1) | instskip(SKIP_3) | instid1(VALU_DEP_2)
	v_mul_f64 v[8:9], v[4:5], s[8:9]
	s_mov_b32 s8, 0xfca7ab0c
	s_mov_b32 s9, 0x3e928af3
	v_cmp_nlt_f64_e32 vcc_lo, 0x40900000, v[4:5]
	v_rndne_f64_e32 v[8:9], v[8:9]
	s_delay_alu instid0(VALU_DEP_1) | instskip(SKIP_2) | instid1(VALU_DEP_2)
	v_fma_f64 v[18:19], v[8:9], s[10:11], v[4:5]
	v_cvt_i32_f64_e32 v22, v[8:9]
	s_mov_b32 s11, 0x3fe62e42
	v_fma_f64 v[18:19], v[8:9], s[12:13], v[18:19]
	s_mov_b32 s13, 0x3c7abc9e
	s_delay_alu instid0(VALU_DEP_1) | instskip(SKIP_4) | instid1(VALU_DEP_1)
	v_fma_f64 v[20:21], v[18:19], s[16:17], s[8:9]
	s_mov_b32 s8, 0x623fde64
	s_mov_b32 s9, 0x3ec71dee
	s_mov_b32 s16, 0x6b47b09a
	s_mov_b32 s17, 0x3fc38538
	v_fma_f64 v[20:21], v[18:19], v[20:21], s[8:9]
	s_mov_b32 s8, 0x7c89e6b0
	s_mov_b32 s9, 0x3efa0199
	s_delay_alu instid0(VALU_DEP_1) | instid1(SALU_CYCLE_1)
	v_fma_f64 v[20:21], v[18:19], v[20:21], s[8:9]
	s_mov_b32 s8, 0x14761f6e
	s_mov_b32 s9, 0x3f2a01a0
	s_delay_alu instid0(VALU_DEP_1) | instid1(SALU_CYCLE_1)
	;; [unrolled: 4-line block ×7, first 2 shown]
	v_fma_f64 v[20:21], v[18:19], v[20:21], s[8:9]
	v_cmp_ngt_f64_e64 s8, 0xc090cc00, v[4:5]
	s_mov_b32 s9, 0x3fe55555
	s_delay_alu instid0(VALU_DEP_2) | instskip(NEXT) | instid1(VALU_DEP_1)
	v_fma_f64 v[20:21], v[18:19], v[20:21], 1.0
	v_fma_f64 v[8:9], v[18:19], v[20:21], 1.0
	s_delay_alu instid0(VALU_DEP_1) | instskip(NEXT) | instid1(VALU_DEP_1)
	v_ldexp_f64 v[8:9], v[8:9], v22
	v_cndmask_b32_e32 v9, 0x7ff00000, v9, vcc_lo
	s_and_b32 vcc_lo, s8, vcc_lo
	s_delay_alu instid0(VALU_DEP_1) | instskip(NEXT) | instid1(VALU_DEP_3)
	v_cndmask_b32_e64 v5, 0, v9, s8
	v_cndmask_b32_e32 v4, 0, v8, vcc_lo
	s_mov_b32 s8, 0x55555555
	s_delay_alu instid0(VALU_DEP_1) | instskip(NEXT) | instid1(VALU_DEP_1)
	v_add_f64 v[8:9], v[4:5], 1.0
	v_frexp_mant_f64_e32 v[18:19], v[8:9]
	v_frexp_exp_i32_f64_e32 v22, v[8:9]
	v_add_f64 v[20:21], v[8:9], -1.0
	s_delay_alu instid0(VALU_DEP_3) | instskip(SKIP_1) | instid1(VALU_DEP_2)
	v_cmp_gt_f64_e32 vcc_lo, s[8:9], v[18:19]
	s_mov_b32 s8, 0x55555780
	v_add_f64 v[18:19], v[20:21], -v[8:9]
	v_add_f64 v[20:21], v[4:5], -v[20:21]
	v_subrev_co_ci_u32_e32 v144, vcc_lo, 0, v22, vcc_lo
	s_delay_alu instid0(VALU_DEP_3) | instskip(SKIP_1) | instid1(VALU_DEP_3)
	v_add_f64 v[18:19], v[18:19], 1.0
	v_cmp_eq_f64_e32 vcc_lo, 0x7ff00000, v[4:5]
	v_sub_nc_u32_e32 v24, 0, v144
	s_delay_alu instid0(VALU_DEP_1) | instskip(NEXT) | instid1(VALU_DEP_4)
	v_ldexp_f64 v[8:9], v[8:9], v24
	v_add_f64 v[18:19], v[20:21], v[18:19]
	s_delay_alu instid0(VALU_DEP_2) | instskip(SKIP_1) | instid1(VALU_DEP_3)
	v_add_f64 v[22:23], v[8:9], 1.0
	v_add_f64 v[28:29], v[8:9], -1.0
	v_ldexp_f64 v[18:19], v[18:19], v24
	s_delay_alu instid0(VALU_DEP_3) | instskip(NEXT) | instid1(VALU_DEP_3)
	v_add_f64 v[20:21], v[22:23], -1.0
	v_add_f64 v[30:31], v[28:29], 1.0
	s_delay_alu instid0(VALU_DEP_2) | instskip(NEXT) | instid1(VALU_DEP_2)
	v_add_f64 v[20:21], v[8:9], -v[20:21]
	v_add_f64 v[8:9], v[8:9], -v[30:31]
	s_delay_alu instid0(VALU_DEP_2) | instskip(NEXT) | instid1(VALU_DEP_2)
	v_add_f64 v[20:21], v[18:19], v[20:21]
	v_add_f64 v[8:9], v[18:19], v[8:9]
	s_delay_alu instid0(VALU_DEP_2) | instskip(NEXT) | instid1(VALU_DEP_2)
	v_add_f64 v[24:25], v[22:23], v[20:21]
	v_add_f64 v[30:31], v[28:29], v[8:9]
	s_delay_alu instid0(VALU_DEP_2) | instskip(SKIP_1) | instid1(VALU_DEP_2)
	v_rcp_f64_e32 v[26:27], v[24:25]
	v_add_f64 v[22:23], v[24:25], -v[22:23]
	v_add_f64 v[28:29], v[30:31], -v[28:29]
	s_delay_alu instid0(VALU_DEP_2) | instskip(SKIP_3) | instid1(VALU_DEP_2)
	v_add_f64 v[20:21], v[20:21], -v[22:23]
	s_waitcnt_depctr 0xfff
	v_fma_f64 v[32:33], -v[24:25], v[26:27], 1.0
	v_add_f64 v[8:9], v[8:9], -v[28:29]
	v_fma_f64 v[26:27], v[32:33], v[26:27], v[26:27]
	s_delay_alu instid0(VALU_DEP_1) | instskip(NEXT) | instid1(VALU_DEP_1)
	v_fma_f64 v[18:19], -v[24:25], v[26:27], 1.0
	v_fma_f64 v[18:19], v[18:19], v[26:27], v[26:27]
	s_delay_alu instid0(VALU_DEP_1) | instskip(NEXT) | instid1(VALU_DEP_1)
	v_mul_f64 v[26:27], v[30:31], v[18:19]
	v_mul_f64 v[32:33], v[24:25], v[26:27]
	s_delay_alu instid0(VALU_DEP_1) | instskip(NEXT) | instid1(VALU_DEP_1)
	v_fma_f64 v[22:23], v[26:27], v[24:25], -v[32:33]
	v_fma_f64 v[22:23], v[26:27], v[20:21], v[22:23]
	s_delay_alu instid0(VALU_DEP_1) | instskip(NEXT) | instid1(VALU_DEP_1)
	v_add_f64 v[34:35], v[32:33], v[22:23]
	v_add_f64 v[131:132], v[30:31], -v[34:35]
	v_add_f64 v[28:29], v[34:35], -v[32:33]
	s_delay_alu instid0(VALU_DEP_2) | instskip(NEXT) | instid1(VALU_DEP_2)
	v_add_f64 v[30:31], v[30:31], -v[131:132]
	v_add_f64 v[22:23], v[28:29], -v[22:23]
	s_delay_alu instid0(VALU_DEP_2) | instskip(NEXT) | instid1(VALU_DEP_1)
	v_add_f64 v[30:31], v[30:31], -v[34:35]
	v_add_f64 v[8:9], v[8:9], v[30:31]
	s_delay_alu instid0(VALU_DEP_1) | instskip(NEXT) | instid1(VALU_DEP_1)
	v_add_f64 v[8:9], v[22:23], v[8:9]
	v_add_f64 v[22:23], v[131:132], v[8:9]
	s_delay_alu instid0(VALU_DEP_1) | instskip(SKIP_1) | instid1(VALU_DEP_2)
	v_mul_f64 v[28:29], v[18:19], v[22:23]
	v_add_f64 v[34:35], v[131:132], -v[22:23]
	v_mul_f64 v[30:31], v[24:25], v[28:29]
	s_delay_alu instid0(VALU_DEP_2) | instskip(NEXT) | instid1(VALU_DEP_2)
	v_add_f64 v[8:9], v[8:9], v[34:35]
	v_fma_f64 v[24:25], v[28:29], v[24:25], -v[30:31]
	s_delay_alu instid0(VALU_DEP_1) | instskip(NEXT) | instid1(VALU_DEP_1)
	v_fma_f64 v[20:21], v[28:29], v[20:21], v[24:25]
	v_add_f64 v[24:25], v[30:31], v[20:21]
	s_delay_alu instid0(VALU_DEP_1) | instskip(SKIP_1) | instid1(VALU_DEP_2)
	v_add_f64 v[32:33], v[22:23], -v[24:25]
	v_add_f64 v[30:31], v[24:25], -v[30:31]
	;; [unrolled: 1-line block ×3, first 2 shown]
	s_delay_alu instid0(VALU_DEP_2) | instskip(NEXT) | instid1(VALU_DEP_2)
	v_add_f64 v[20:21], v[30:31], -v[20:21]
	v_add_f64 v[22:23], v[22:23], -v[24:25]
	s_delay_alu instid0(VALU_DEP_1) | instskip(SKIP_1) | instid1(VALU_DEP_2)
	v_add_f64 v[8:9], v[8:9], v[22:23]
	v_add_f64 v[22:23], v[26:27], v[28:29]
	;; [unrolled: 1-line block ×3, first 2 shown]
	s_delay_alu instid0(VALU_DEP_2) | instskip(NEXT) | instid1(VALU_DEP_2)
	v_add_f64 v[20:21], v[22:23], -v[26:27]
	v_add_f64 v[8:9], v[32:33], v[8:9]
	s_delay_alu instid0(VALU_DEP_2) | instskip(NEXT) | instid1(VALU_DEP_2)
	v_add_f64 v[20:21], v[28:29], -v[20:21]
	v_mul_f64 v[8:9], v[18:19], v[8:9]
	s_delay_alu instid0(VALU_DEP_1) | instskip(NEXT) | instid1(VALU_DEP_1)
	v_add_f64 v[8:9], v[20:21], v[8:9]
	v_add_f64 v[18:19], v[22:23], v[8:9]
	s_delay_alu instid0(VALU_DEP_1) | instskip(NEXT) | instid1(VALU_DEP_1)
	v_mul_f64 v[20:21], v[18:19], v[18:19]
	v_fma_f64 v[24:25], v[20:21], s[20:21], s[16:17]
	s_mov_b32 s16, 0xd7f4df2e
	s_mov_b32 s17, 0x3fc7474d
	v_mul_f64 v[26:27], v[18:19], v[20:21]
	s_delay_alu instid0(VALU_DEP_2)
	v_fma_f64 v[24:25], v[20:21], v[24:25], s[16:17]
	s_mov_b32 s16, 0x16291751
	s_mov_b32 s17, 0x3fcc71c0
	s_delay_alu instid0(VALU_DEP_1) | instid1(SALU_CYCLE_1)
	v_fma_f64 v[24:25], v[20:21], v[24:25], s[16:17]
	s_mov_b32 s16, 0x9b27acf1
	s_mov_b32 s17, 0x3fd24924
	s_delay_alu instid0(VALU_DEP_1) | instid1(SALU_CYCLE_1)
	;; [unrolled: 4-line block ×3, first 2 shown]
	v_fma_f64 v[24:25], v[20:21], v[24:25], s[16:17]
	s_delay_alu instid0(VALU_DEP_1) | instskip(SKIP_2) | instid1(VALU_DEP_3)
	v_fma_f64 v[20:21], v[20:21], v[24:25], s[8:9]
	v_ldexp_f64 v[24:25], v[18:19], 1
	v_add_f64 v[18:19], v[18:19], -v[22:23]
	v_mul_f64 v[20:21], v[26:27], v[20:21]
	v_cvt_f64_i32_e32 v[26:27], v144
	s_delay_alu instid0(VALU_DEP_3) | instskip(NEXT) | instid1(VALU_DEP_3)
	v_add_f64 v[8:9], v[8:9], -v[18:19]
	v_add_f64 v[22:23], v[24:25], v[20:21]
	s_delay_alu instid0(VALU_DEP_3) | instskip(NEXT) | instid1(VALU_DEP_3)
	v_mul_f64 v[28:29], v[26:27], s[10:11]
	v_ldexp_f64 v[8:9], v[8:9], 1
	s_delay_alu instid0(VALU_DEP_3) | instskip(NEXT) | instid1(VALU_DEP_3)
	v_add_f64 v[18:19], v[22:23], -v[24:25]
	v_fma_f64 v[24:25], v[26:27], s[10:11], -v[28:29]
	s_delay_alu instid0(VALU_DEP_2) | instskip(NEXT) | instid1(VALU_DEP_2)
	v_add_f64 v[18:19], v[20:21], -v[18:19]
	v_fma_f64 v[20:21], v[26:27], s[12:13], v[24:25]
	s_delay_alu instid0(VALU_DEP_2) | instskip(NEXT) | instid1(VALU_DEP_2)
	v_add_f64 v[8:9], v[8:9], v[18:19]
	v_add_f64 v[18:19], v[28:29], v[20:21]
	s_delay_alu instid0(VALU_DEP_2) | instskip(NEXT) | instid1(VALU_DEP_2)
	v_add_f64 v[24:25], v[22:23], v[8:9]
	v_add_f64 v[28:29], v[18:19], -v[28:29]
	s_delay_alu instid0(VALU_DEP_2) | instskip(SKIP_1) | instid1(VALU_DEP_3)
	v_add_f64 v[26:27], v[18:19], v[24:25]
	v_add_f64 v[22:23], v[24:25], -v[22:23]
	v_add_f64 v[20:21], v[20:21], -v[28:29]
	s_delay_alu instid0(VALU_DEP_3) | instskip(NEXT) | instid1(VALU_DEP_3)
	v_add_f64 v[30:31], v[26:27], -v[18:19]
	v_add_f64 v[8:9], v[8:9], -v[22:23]
	s_delay_alu instid0(VALU_DEP_2) | instskip(SKIP_1) | instid1(VALU_DEP_3)
	v_add_f64 v[32:33], v[26:27], -v[30:31]
	v_add_f64 v[22:23], v[24:25], -v[30:31]
	v_add_f64 v[24:25], v[20:21], v[8:9]
	s_delay_alu instid0(VALU_DEP_3) | instskip(NEXT) | instid1(VALU_DEP_1)
	v_add_f64 v[18:19], v[18:19], -v[32:33]
	v_add_f64 v[18:19], v[22:23], v[18:19]
	s_delay_alu instid0(VALU_DEP_3) | instskip(NEXT) | instid1(VALU_DEP_2)
	v_add_f64 v[22:23], v[24:25], -v[20:21]
	v_add_f64 v[18:19], v[24:25], v[18:19]
	s_delay_alu instid0(VALU_DEP_2) | instskip(SKIP_1) | instid1(VALU_DEP_3)
	v_add_f64 v[24:25], v[24:25], -v[22:23]
	v_add_f64 v[8:9], v[8:9], -v[22:23]
	v_add_f64 v[28:29], v[26:27], v[18:19]
	s_delay_alu instid0(VALU_DEP_3) | instskip(NEXT) | instid1(VALU_DEP_2)
	v_add_f64 v[20:21], v[20:21], -v[24:25]
	v_add_f64 v[22:23], v[28:29], -v[26:27]
	s_delay_alu instid0(VALU_DEP_2) | instskip(NEXT) | instid1(VALU_DEP_2)
	v_add_f64 v[8:9], v[8:9], v[20:21]
	v_add_f64 v[18:19], v[18:19], -v[22:23]
	s_delay_alu instid0(VALU_DEP_1) | instskip(NEXT) | instid1(VALU_DEP_1)
	v_add_f64 v[8:9], v[8:9], v[18:19]
	v_add_f64 v[8:9], v[28:29], v[8:9]
	s_delay_alu instid0(VALU_DEP_1) | instskip(SKIP_1) | instid1(VALU_DEP_2)
	v_dual_cndmask_b32 v9, v9, v5 :: v_dual_cndmask_b32 v8, v8, v4
	v_cmp_ngt_f64_e32 vcc_lo, -1.0, v[4:5]
	v_cndmask_b32_e32 v9, 0x7ff80000, v9, vcc_lo
	v_cmp_nge_f64_e32 vcc_lo, -1.0, v[4:5]
	s_delay_alu instid0(VALU_DEP_4) | instskip(SKIP_1) | instid1(VALU_DEP_4)
	v_cndmask_b32_e32 v8, 0, v8, vcc_lo
	v_cmp_neq_f64_e32 vcc_lo, -1.0, v[4:5]
	v_cndmask_b32_e32 v9, 0xfff00000, v9, vcc_lo
	s_delay_alu instid0(VALU_DEP_1)
	v_add_f64 v[4:5], v[6:7], v[8:9]
.LBB36_34:
	s_or_b32 exec_lo, exec_lo, s14
	v_max_f64 v[18:19], v[96:97], v[96:97]
	s_delay_alu instid0(VALU_DEP_2) | instskip(SKIP_2) | instid1(VALU_DEP_3)
	v_max_f64 v[6:7], v[4:5], v[4:5]
	v_cmp_u_f64_e32 vcc_lo, v[4:5], v[4:5]
	v_cmp_u_f64_e64 s8, v[96:97], v[96:97]
	v_min_f64 v[8:9], v[6:7], v[18:19]
	v_max_f64 v[6:7], v[6:7], v[18:19]
	s_delay_alu instid0(VALU_DEP_2) | instskip(NEXT) | instid1(VALU_DEP_2)
	v_dual_cndmask_b32 v8, v8, v4 :: v_dual_cndmask_b32 v9, v9, v5
	v_dual_cndmask_b32 v7, v7, v5 :: v_dual_cndmask_b32 v6, v6, v4
	s_delay_alu instid0(VALU_DEP_2) | instskip(NEXT) | instid1(VALU_DEP_3)
	v_cndmask_b32_e64 v8, v8, v96, s8
	v_cndmask_b32_e64 v9, v9, v97, s8
	s_delay_alu instid0(VALU_DEP_3) | instskip(NEXT) | instid1(VALU_DEP_4)
	v_cndmask_b32_e64 v7, v7, v97, s8
	v_cndmask_b32_e64 v6, v6, v96, s8
	s_delay_alu instid0(VALU_DEP_3) | instskip(NEXT) | instid1(VALU_DEP_2)
	v_cmp_class_f64_e64 s9, v[8:9], 0x1f8
	v_cmp_neq_f64_e32 vcc_lo, v[8:9], v[6:7]
	s_delay_alu instid0(VALU_DEP_2) | instskip(NEXT) | instid1(SALU_CYCLE_1)
	s_or_b32 s9, vcc_lo, s9
	s_and_saveexec_b32 s16, s9
	s_cbranch_execz .LBB36_36
; %bb.35:
	v_add_f64 v[4:5], v[8:9], -v[6:7]
	s_mov_b32 s10, 0x652b82fe
	s_mov_b32 s11, 0x3ff71547
	;; [unrolled: 1-line block ×10, first 2 shown]
	s_delay_alu instid0(VALU_DEP_1) | instskip(SKIP_4) | instid1(VALU_DEP_3)
	v_mul_f64 v[8:9], v[4:5], s[10:11]
	s_mov_b32 s11, 0xbfe62e42
	s_mov_b32 s10, 0xfefa39ef
	v_cmp_nlt_f64_e32 vcc_lo, 0x40900000, v[4:5]
	v_cmp_ngt_f64_e64 s9, 0xc090cc00, v[4:5]
	v_rndne_f64_e32 v[8:9], v[8:9]
	s_delay_alu instid0(VALU_DEP_1) | instskip(SKIP_2) | instid1(VALU_DEP_2)
	v_fma_f64 v[20:21], v[8:9], s[10:11], v[4:5]
	v_cvt_i32_f64_e32 v24, v[8:9]
	s_mov_b32 s11, 0x3fe62e42
	v_fma_f64 v[20:21], v[8:9], s[12:13], v[20:21]
	s_mov_b32 s13, 0x3c7abc9e
	s_delay_alu instid0(VALU_DEP_1) | instskip(SKIP_4) | instid1(VALU_DEP_1)
	v_fma_f64 v[22:23], v[20:21], s[20:21], s[14:15]
	s_mov_b32 s14, 0x623fde64
	s_mov_b32 s15, 0x3ec71dee
	;; [unrolled: 1-line block ×4, first 2 shown]
	v_fma_f64 v[22:23], v[20:21], v[22:23], s[14:15]
	s_mov_b32 s14, 0x7c89e6b0
	s_mov_b32 s15, 0x3efa0199
	s_delay_alu instid0(VALU_DEP_1) | instid1(SALU_CYCLE_1)
	v_fma_f64 v[22:23], v[20:21], v[22:23], s[14:15]
	s_mov_b32 s14, 0x14761f6e
	s_mov_b32 s15, 0x3f2a01a0
	s_delay_alu instid0(VALU_DEP_1) | instid1(SALU_CYCLE_1)
	;; [unrolled: 4-line block ×7, first 2 shown]
	v_fma_f64 v[22:23], v[20:21], v[22:23], s[14:15]
	s_mov_b32 s15, 0x3fe55555
	s_mov_b32 s14, 0x55555555
	s_delay_alu instid0(VALU_DEP_1) | instskip(NEXT) | instid1(VALU_DEP_1)
	v_fma_f64 v[22:23], v[20:21], v[22:23], 1.0
	v_fma_f64 v[8:9], v[20:21], v[22:23], 1.0
	s_delay_alu instid0(VALU_DEP_1) | instskip(NEXT) | instid1(VALU_DEP_1)
	v_ldexp_f64 v[8:9], v[8:9], v24
	v_cndmask_b32_e32 v9, 0x7ff00000, v9, vcc_lo
	s_and_b32 vcc_lo, s9, vcc_lo
	s_delay_alu instid0(VALU_DEP_1) | instskip(NEXT) | instid1(VALU_DEP_3)
	v_cndmask_b32_e64 v5, 0, v9, s9
	v_cndmask_b32_e32 v4, 0, v8, vcc_lo
	s_delay_alu instid0(VALU_DEP_1) | instskip(NEXT) | instid1(VALU_DEP_1)
	v_add_f64 v[8:9], v[4:5], 1.0
	v_frexp_mant_f64_e32 v[20:21], v[8:9]
	v_frexp_exp_i32_f64_e32 v24, v[8:9]
	v_add_f64 v[22:23], v[8:9], -1.0
	s_delay_alu instid0(VALU_DEP_3) | instskip(SKIP_1) | instid1(VALU_DEP_2)
	v_cmp_gt_f64_e32 vcc_lo, s[14:15], v[20:21]
	s_mov_b32 s14, 0x55555780
	v_add_f64 v[20:21], v[22:23], -v[8:9]
	v_add_f64 v[22:23], v[4:5], -v[22:23]
	v_subrev_co_ci_u32_e32 v146, vcc_lo, 0, v24, vcc_lo
	s_delay_alu instid0(VALU_DEP_3) | instskip(SKIP_1) | instid1(VALU_DEP_3)
	v_add_f64 v[20:21], v[20:21], 1.0
	v_cmp_eq_f64_e32 vcc_lo, 0x7ff00000, v[4:5]
	v_sub_nc_u32_e32 v26, 0, v146
	s_delay_alu instid0(VALU_DEP_1) | instskip(NEXT) | instid1(VALU_DEP_4)
	v_ldexp_f64 v[8:9], v[8:9], v26
	v_add_f64 v[20:21], v[22:23], v[20:21]
	s_delay_alu instid0(VALU_DEP_2) | instskip(SKIP_1) | instid1(VALU_DEP_3)
	v_add_f64 v[24:25], v[8:9], 1.0
	v_add_f64 v[30:31], v[8:9], -1.0
	v_ldexp_f64 v[20:21], v[20:21], v26
	s_delay_alu instid0(VALU_DEP_3) | instskip(NEXT) | instid1(VALU_DEP_3)
	v_add_f64 v[22:23], v[24:25], -1.0
	v_add_f64 v[32:33], v[30:31], 1.0
	s_delay_alu instid0(VALU_DEP_2) | instskip(NEXT) | instid1(VALU_DEP_2)
	v_add_f64 v[22:23], v[8:9], -v[22:23]
	v_add_f64 v[8:9], v[8:9], -v[32:33]
	s_delay_alu instid0(VALU_DEP_2) | instskip(NEXT) | instid1(VALU_DEP_2)
	v_add_f64 v[22:23], v[20:21], v[22:23]
	v_add_f64 v[8:9], v[20:21], v[8:9]
	s_delay_alu instid0(VALU_DEP_2) | instskip(NEXT) | instid1(VALU_DEP_2)
	v_add_f64 v[26:27], v[24:25], v[22:23]
	v_add_f64 v[32:33], v[30:31], v[8:9]
	s_delay_alu instid0(VALU_DEP_2) | instskip(SKIP_1) | instid1(VALU_DEP_2)
	v_rcp_f64_e32 v[28:29], v[26:27]
	v_add_f64 v[24:25], v[26:27], -v[24:25]
	v_add_f64 v[30:31], v[32:33], -v[30:31]
	s_delay_alu instid0(VALU_DEP_2) | instskip(SKIP_3) | instid1(VALU_DEP_2)
	v_add_f64 v[22:23], v[22:23], -v[24:25]
	s_waitcnt_depctr 0xfff
	v_fma_f64 v[34:35], -v[26:27], v[28:29], 1.0
	v_add_f64 v[8:9], v[8:9], -v[30:31]
	v_fma_f64 v[28:29], v[34:35], v[28:29], v[28:29]
	s_delay_alu instid0(VALU_DEP_1) | instskip(NEXT) | instid1(VALU_DEP_1)
	v_fma_f64 v[20:21], -v[26:27], v[28:29], 1.0
	v_fma_f64 v[20:21], v[20:21], v[28:29], v[28:29]
	s_delay_alu instid0(VALU_DEP_1) | instskip(NEXT) | instid1(VALU_DEP_1)
	v_mul_f64 v[28:29], v[32:33], v[20:21]
	v_mul_f64 v[34:35], v[26:27], v[28:29]
	s_delay_alu instid0(VALU_DEP_1) | instskip(NEXT) | instid1(VALU_DEP_1)
	v_fma_f64 v[24:25], v[28:29], v[26:27], -v[34:35]
	v_fma_f64 v[24:25], v[28:29], v[22:23], v[24:25]
	s_delay_alu instid0(VALU_DEP_1) | instskip(NEXT) | instid1(VALU_DEP_1)
	v_add_f64 v[131:132], v[34:35], v[24:25]
	v_add_f64 v[144:145], v[32:33], -v[131:132]
	v_add_f64 v[30:31], v[131:132], -v[34:35]
	s_delay_alu instid0(VALU_DEP_2) | instskip(NEXT) | instid1(VALU_DEP_2)
	v_add_f64 v[32:33], v[32:33], -v[144:145]
	v_add_f64 v[24:25], v[30:31], -v[24:25]
	s_delay_alu instid0(VALU_DEP_2) | instskip(NEXT) | instid1(VALU_DEP_1)
	v_add_f64 v[32:33], v[32:33], -v[131:132]
	v_add_f64 v[8:9], v[8:9], v[32:33]
	s_delay_alu instid0(VALU_DEP_1) | instskip(NEXT) | instid1(VALU_DEP_1)
	v_add_f64 v[8:9], v[24:25], v[8:9]
	v_add_f64 v[24:25], v[144:145], v[8:9]
	s_delay_alu instid0(VALU_DEP_1) | instskip(SKIP_1) | instid1(VALU_DEP_2)
	v_mul_f64 v[30:31], v[20:21], v[24:25]
	v_add_f64 v[131:132], v[144:145], -v[24:25]
	v_mul_f64 v[32:33], v[26:27], v[30:31]
	s_delay_alu instid0(VALU_DEP_2) | instskip(NEXT) | instid1(VALU_DEP_2)
	v_add_f64 v[8:9], v[8:9], v[131:132]
	v_fma_f64 v[26:27], v[30:31], v[26:27], -v[32:33]
	s_delay_alu instid0(VALU_DEP_1) | instskip(NEXT) | instid1(VALU_DEP_1)
	v_fma_f64 v[22:23], v[30:31], v[22:23], v[26:27]
	v_add_f64 v[26:27], v[32:33], v[22:23]
	s_delay_alu instid0(VALU_DEP_1) | instskip(SKIP_1) | instid1(VALU_DEP_2)
	v_add_f64 v[34:35], v[24:25], -v[26:27]
	v_add_f64 v[32:33], v[26:27], -v[32:33]
	;; [unrolled: 1-line block ×3, first 2 shown]
	s_delay_alu instid0(VALU_DEP_2) | instskip(NEXT) | instid1(VALU_DEP_2)
	v_add_f64 v[22:23], v[32:33], -v[22:23]
	v_add_f64 v[24:25], v[24:25], -v[26:27]
	s_delay_alu instid0(VALU_DEP_1) | instskip(SKIP_1) | instid1(VALU_DEP_2)
	v_add_f64 v[8:9], v[8:9], v[24:25]
	v_add_f64 v[24:25], v[28:29], v[30:31]
	;; [unrolled: 1-line block ×3, first 2 shown]
	s_delay_alu instid0(VALU_DEP_2) | instskip(NEXT) | instid1(VALU_DEP_2)
	v_add_f64 v[22:23], v[24:25], -v[28:29]
	v_add_f64 v[8:9], v[34:35], v[8:9]
	s_delay_alu instid0(VALU_DEP_2) | instskip(NEXT) | instid1(VALU_DEP_2)
	v_add_f64 v[22:23], v[30:31], -v[22:23]
	v_mul_f64 v[8:9], v[20:21], v[8:9]
	s_delay_alu instid0(VALU_DEP_1) | instskip(NEXT) | instid1(VALU_DEP_1)
	v_add_f64 v[8:9], v[22:23], v[8:9]
	v_add_f64 v[20:21], v[24:25], v[8:9]
	s_delay_alu instid0(VALU_DEP_1) | instskip(NEXT) | instid1(VALU_DEP_1)
	v_mul_f64 v[22:23], v[20:21], v[20:21]
	v_fma_f64 v[26:27], v[22:23], s[22:23], s[20:21]
	s_mov_b32 s20, 0xd7f4df2e
	s_mov_b32 s21, 0x3fc7474d
	v_mul_f64 v[28:29], v[20:21], v[22:23]
	s_delay_alu instid0(VALU_DEP_2)
	v_fma_f64 v[26:27], v[22:23], v[26:27], s[20:21]
	s_mov_b32 s20, 0x16291751
	s_mov_b32 s21, 0x3fcc71c0
	s_delay_alu instid0(VALU_DEP_1) | instid1(SALU_CYCLE_1)
	v_fma_f64 v[26:27], v[22:23], v[26:27], s[20:21]
	s_mov_b32 s20, 0x9b27acf1
	s_mov_b32 s21, 0x3fd24924
	s_delay_alu instid0(VALU_DEP_1) | instid1(SALU_CYCLE_1)
	;; [unrolled: 4-line block ×3, first 2 shown]
	v_fma_f64 v[26:27], v[22:23], v[26:27], s[20:21]
	s_delay_alu instid0(VALU_DEP_1) | instskip(SKIP_2) | instid1(VALU_DEP_3)
	v_fma_f64 v[22:23], v[22:23], v[26:27], s[14:15]
	v_ldexp_f64 v[26:27], v[20:21], 1
	v_add_f64 v[20:21], v[20:21], -v[24:25]
	v_mul_f64 v[22:23], v[28:29], v[22:23]
	v_cvt_f64_i32_e32 v[28:29], v146
	s_delay_alu instid0(VALU_DEP_3) | instskip(NEXT) | instid1(VALU_DEP_3)
	v_add_f64 v[8:9], v[8:9], -v[20:21]
	v_add_f64 v[24:25], v[26:27], v[22:23]
	s_delay_alu instid0(VALU_DEP_3) | instskip(NEXT) | instid1(VALU_DEP_3)
	v_mul_f64 v[30:31], v[28:29], s[10:11]
	v_ldexp_f64 v[8:9], v[8:9], 1
	s_delay_alu instid0(VALU_DEP_3) | instskip(NEXT) | instid1(VALU_DEP_3)
	v_add_f64 v[20:21], v[24:25], -v[26:27]
	v_fma_f64 v[26:27], v[28:29], s[10:11], -v[30:31]
	s_delay_alu instid0(VALU_DEP_2) | instskip(NEXT) | instid1(VALU_DEP_2)
	v_add_f64 v[20:21], v[22:23], -v[20:21]
	v_fma_f64 v[22:23], v[28:29], s[12:13], v[26:27]
	s_delay_alu instid0(VALU_DEP_2) | instskip(NEXT) | instid1(VALU_DEP_2)
	v_add_f64 v[8:9], v[8:9], v[20:21]
	v_add_f64 v[20:21], v[30:31], v[22:23]
	s_delay_alu instid0(VALU_DEP_2) | instskip(NEXT) | instid1(VALU_DEP_2)
	v_add_f64 v[26:27], v[24:25], v[8:9]
	v_add_f64 v[30:31], v[20:21], -v[30:31]
	s_delay_alu instid0(VALU_DEP_2) | instskip(SKIP_1) | instid1(VALU_DEP_3)
	v_add_f64 v[28:29], v[20:21], v[26:27]
	v_add_f64 v[24:25], v[26:27], -v[24:25]
	v_add_f64 v[22:23], v[22:23], -v[30:31]
	s_delay_alu instid0(VALU_DEP_3) | instskip(NEXT) | instid1(VALU_DEP_3)
	v_add_f64 v[32:33], v[28:29], -v[20:21]
	v_add_f64 v[8:9], v[8:9], -v[24:25]
	s_delay_alu instid0(VALU_DEP_2) | instskip(SKIP_1) | instid1(VALU_DEP_3)
	v_add_f64 v[34:35], v[28:29], -v[32:33]
	v_add_f64 v[24:25], v[26:27], -v[32:33]
	v_add_f64 v[26:27], v[22:23], v[8:9]
	s_delay_alu instid0(VALU_DEP_3) | instskip(NEXT) | instid1(VALU_DEP_1)
	v_add_f64 v[20:21], v[20:21], -v[34:35]
	v_add_f64 v[20:21], v[24:25], v[20:21]
	s_delay_alu instid0(VALU_DEP_3) | instskip(NEXT) | instid1(VALU_DEP_2)
	v_add_f64 v[24:25], v[26:27], -v[22:23]
	v_add_f64 v[20:21], v[26:27], v[20:21]
	s_delay_alu instid0(VALU_DEP_2) | instskip(SKIP_1) | instid1(VALU_DEP_3)
	v_add_f64 v[26:27], v[26:27], -v[24:25]
	v_add_f64 v[8:9], v[8:9], -v[24:25]
	v_add_f64 v[30:31], v[28:29], v[20:21]
	s_delay_alu instid0(VALU_DEP_3) | instskip(NEXT) | instid1(VALU_DEP_2)
	v_add_f64 v[22:23], v[22:23], -v[26:27]
	v_add_f64 v[24:25], v[30:31], -v[28:29]
	s_delay_alu instid0(VALU_DEP_2) | instskip(NEXT) | instid1(VALU_DEP_2)
	v_add_f64 v[8:9], v[8:9], v[22:23]
	v_add_f64 v[20:21], v[20:21], -v[24:25]
	s_delay_alu instid0(VALU_DEP_1) | instskip(NEXT) | instid1(VALU_DEP_1)
	v_add_f64 v[8:9], v[8:9], v[20:21]
	v_add_f64 v[8:9], v[30:31], v[8:9]
	s_delay_alu instid0(VALU_DEP_1) | instskip(SKIP_1) | instid1(VALU_DEP_2)
	v_dual_cndmask_b32 v9, v9, v5 :: v_dual_cndmask_b32 v8, v8, v4
	v_cmp_ngt_f64_e32 vcc_lo, -1.0, v[4:5]
	v_cndmask_b32_e32 v9, 0x7ff80000, v9, vcc_lo
	v_cmp_nge_f64_e32 vcc_lo, -1.0, v[4:5]
	s_delay_alu instid0(VALU_DEP_4) | instskip(SKIP_1) | instid1(VALU_DEP_4)
	v_cndmask_b32_e32 v8, 0, v8, vcc_lo
	v_cmp_neq_f64_e32 vcc_lo, -1.0, v[4:5]
	v_cndmask_b32_e32 v9, 0xfff00000, v9, vcc_lo
	s_delay_alu instid0(VALU_DEP_1)
	v_add_f64 v[4:5], v[6:7], v[8:9]
.LBB36_36:
	s_or_b32 exec_lo, exec_lo, s16
	v_max_f64 v[20:21], v[98:99], v[98:99]
	s_delay_alu instid0(VALU_DEP_2) | instskip(SKIP_2) | instid1(VALU_DEP_3)
	v_max_f64 v[6:7], v[4:5], v[4:5]
	v_cmp_u_f64_e32 vcc_lo, v[4:5], v[4:5]
	v_cmp_u_f64_e64 s9, v[98:99], v[98:99]
	v_min_f64 v[8:9], v[6:7], v[20:21]
	v_max_f64 v[6:7], v[6:7], v[20:21]
	s_delay_alu instid0(VALU_DEP_2) | instskip(NEXT) | instid1(VALU_DEP_2)
	v_dual_cndmask_b32 v8, v8, v4 :: v_dual_cndmask_b32 v9, v9, v5
	v_dual_cndmask_b32 v7, v7, v5 :: v_dual_cndmask_b32 v6, v6, v4
	s_delay_alu instid0(VALU_DEP_2) | instskip(NEXT) | instid1(VALU_DEP_3)
	v_cndmask_b32_e64 v8, v8, v98, s9
	v_cndmask_b32_e64 v9, v9, v99, s9
	s_delay_alu instid0(VALU_DEP_3) | instskip(NEXT) | instid1(VALU_DEP_4)
	v_cndmask_b32_e64 v7, v7, v99, s9
	v_cndmask_b32_e64 v6, v6, v98, s9
	s_delay_alu instid0(VALU_DEP_3) | instskip(NEXT) | instid1(VALU_DEP_2)
	v_cmp_class_f64_e64 s10, v[8:9], 0x1f8
	v_cmp_neq_f64_e32 vcc_lo, v[8:9], v[6:7]
	s_delay_alu instid0(VALU_DEP_2) | instskip(NEXT) | instid1(SALU_CYCLE_1)
	s_or_b32 s10, vcc_lo, s10
	s_and_saveexec_b32 s16, s10
	s_cbranch_execz .LBB36_38
; %bb.37:
	v_add_f64 v[4:5], v[8:9], -v[6:7]
	s_mov_b32 s10, 0x652b82fe
	s_mov_b32 s11, 0x3ff71547
	s_mov_b32 s13, 0xbfe62e42
	s_mov_b32 s12, 0xfefa39ef
	s_mov_b32 s15, 0xbc7abc9e
	s_mov_b32 s14, 0x3b39803f
	s_mov_b32 s20, 0x6a5dcb37
	s_mov_b32 s21, 0x3e5ade15
	s_mov_b32 s22, 0xbf559e2b
	s_mov_b32 s23, 0x3fc3ab76
	s_delay_alu instid0(VALU_DEP_1) | instskip(SKIP_3) | instid1(VALU_DEP_2)
	v_mul_f64 v[8:9], v[4:5], s[10:11]
	s_mov_b32 s10, 0xfca7ab0c
	s_mov_b32 s11, 0x3e928af3
	v_cmp_nlt_f64_e32 vcc_lo, 0x40900000, v[4:5]
	v_rndne_f64_e32 v[8:9], v[8:9]
	s_delay_alu instid0(VALU_DEP_1) | instskip(SKIP_2) | instid1(VALU_DEP_2)
	v_fma_f64 v[22:23], v[8:9], s[12:13], v[4:5]
	v_cvt_i32_f64_e32 v26, v[8:9]
	s_mov_b32 s13, 0x3fe62e42
	v_fma_f64 v[22:23], v[8:9], s[14:15], v[22:23]
	s_mov_b32 s15, 0x3c7abc9e
	s_delay_alu instid0(VALU_DEP_1) | instskip(SKIP_4) | instid1(VALU_DEP_1)
	v_fma_f64 v[24:25], v[22:23], s[20:21], s[10:11]
	s_mov_b32 s10, 0x623fde64
	s_mov_b32 s11, 0x3ec71dee
	;; [unrolled: 1-line block ×4, first 2 shown]
	v_fma_f64 v[24:25], v[22:23], v[24:25], s[10:11]
	s_mov_b32 s10, 0x7c89e6b0
	s_mov_b32 s11, 0x3efa0199
	s_delay_alu instid0(VALU_DEP_1) | instid1(SALU_CYCLE_1)
	v_fma_f64 v[24:25], v[22:23], v[24:25], s[10:11]
	s_mov_b32 s10, 0x14761f6e
	s_mov_b32 s11, 0x3f2a01a0
	s_delay_alu instid0(VALU_DEP_1) | instid1(SALU_CYCLE_1)
	;; [unrolled: 4-line block ×7, first 2 shown]
	v_fma_f64 v[24:25], v[22:23], v[24:25], s[10:11]
	v_cmp_ngt_f64_e64 s10, 0xc090cc00, v[4:5]
	s_mov_b32 s11, 0x3fe55555
	s_delay_alu instid0(VALU_DEP_2) | instskip(NEXT) | instid1(VALU_DEP_1)
	v_fma_f64 v[24:25], v[22:23], v[24:25], 1.0
	v_fma_f64 v[8:9], v[22:23], v[24:25], 1.0
	s_delay_alu instid0(VALU_DEP_1) | instskip(NEXT) | instid1(VALU_DEP_1)
	v_ldexp_f64 v[8:9], v[8:9], v26
	v_cndmask_b32_e32 v9, 0x7ff00000, v9, vcc_lo
	s_and_b32 vcc_lo, s10, vcc_lo
	s_delay_alu instid0(VALU_DEP_1) | instskip(NEXT) | instid1(VALU_DEP_3)
	v_cndmask_b32_e64 v5, 0, v9, s10
	v_cndmask_b32_e32 v4, 0, v8, vcc_lo
	s_mov_b32 s10, 0x55555555
	s_delay_alu instid0(VALU_DEP_1) | instskip(NEXT) | instid1(VALU_DEP_1)
	v_add_f64 v[8:9], v[4:5], 1.0
	v_frexp_mant_f64_e32 v[22:23], v[8:9]
	v_frexp_exp_i32_f64_e32 v26, v[8:9]
	v_add_f64 v[24:25], v[8:9], -1.0
	s_delay_alu instid0(VALU_DEP_3) | instskip(SKIP_1) | instid1(VALU_DEP_2)
	v_cmp_gt_f64_e32 vcc_lo, s[10:11], v[22:23]
	s_mov_b32 s10, 0x55555780
	v_add_f64 v[22:23], v[24:25], -v[8:9]
	v_add_f64 v[24:25], v[4:5], -v[24:25]
	v_subrev_co_ci_u32_e32 v148, vcc_lo, 0, v26, vcc_lo
	s_delay_alu instid0(VALU_DEP_3) | instskip(SKIP_1) | instid1(VALU_DEP_3)
	v_add_f64 v[22:23], v[22:23], 1.0
	v_cmp_eq_f64_e32 vcc_lo, 0x7ff00000, v[4:5]
	v_sub_nc_u32_e32 v28, 0, v148
	s_delay_alu instid0(VALU_DEP_1) | instskip(NEXT) | instid1(VALU_DEP_4)
	v_ldexp_f64 v[8:9], v[8:9], v28
	v_add_f64 v[22:23], v[24:25], v[22:23]
	s_delay_alu instid0(VALU_DEP_2) | instskip(SKIP_1) | instid1(VALU_DEP_3)
	v_add_f64 v[26:27], v[8:9], 1.0
	v_add_f64 v[32:33], v[8:9], -1.0
	v_ldexp_f64 v[22:23], v[22:23], v28
	s_delay_alu instid0(VALU_DEP_3) | instskip(NEXT) | instid1(VALU_DEP_3)
	v_add_f64 v[24:25], v[26:27], -1.0
	v_add_f64 v[34:35], v[32:33], 1.0
	s_delay_alu instid0(VALU_DEP_2) | instskip(NEXT) | instid1(VALU_DEP_2)
	v_add_f64 v[24:25], v[8:9], -v[24:25]
	v_add_f64 v[8:9], v[8:9], -v[34:35]
	s_delay_alu instid0(VALU_DEP_2) | instskip(NEXT) | instid1(VALU_DEP_2)
	v_add_f64 v[24:25], v[22:23], v[24:25]
	v_add_f64 v[8:9], v[22:23], v[8:9]
	s_delay_alu instid0(VALU_DEP_2) | instskip(NEXT) | instid1(VALU_DEP_2)
	v_add_f64 v[28:29], v[26:27], v[24:25]
	v_add_f64 v[34:35], v[32:33], v[8:9]
	s_delay_alu instid0(VALU_DEP_2) | instskip(SKIP_1) | instid1(VALU_DEP_2)
	v_rcp_f64_e32 v[30:31], v[28:29]
	v_add_f64 v[26:27], v[28:29], -v[26:27]
	v_add_f64 v[32:33], v[34:35], -v[32:33]
	s_delay_alu instid0(VALU_DEP_2) | instskip(SKIP_3) | instid1(VALU_DEP_2)
	v_add_f64 v[24:25], v[24:25], -v[26:27]
	s_waitcnt_depctr 0xfff
	v_fma_f64 v[131:132], -v[28:29], v[30:31], 1.0
	v_add_f64 v[8:9], v[8:9], -v[32:33]
	v_fma_f64 v[30:31], v[131:132], v[30:31], v[30:31]
	s_delay_alu instid0(VALU_DEP_1) | instskip(NEXT) | instid1(VALU_DEP_1)
	v_fma_f64 v[22:23], -v[28:29], v[30:31], 1.0
	v_fma_f64 v[22:23], v[22:23], v[30:31], v[30:31]
	s_delay_alu instid0(VALU_DEP_1) | instskip(NEXT) | instid1(VALU_DEP_1)
	v_mul_f64 v[30:31], v[34:35], v[22:23]
	v_mul_f64 v[131:132], v[28:29], v[30:31]
	s_delay_alu instid0(VALU_DEP_1) | instskip(NEXT) | instid1(VALU_DEP_1)
	v_fma_f64 v[26:27], v[30:31], v[28:29], -v[131:132]
	v_fma_f64 v[26:27], v[30:31], v[24:25], v[26:27]
	s_delay_alu instid0(VALU_DEP_1) | instskip(NEXT) | instid1(VALU_DEP_1)
	v_add_f64 v[144:145], v[131:132], v[26:27]
	v_add_f64 v[146:147], v[34:35], -v[144:145]
	v_add_f64 v[32:33], v[144:145], -v[131:132]
	s_delay_alu instid0(VALU_DEP_2) | instskip(NEXT) | instid1(VALU_DEP_2)
	v_add_f64 v[34:35], v[34:35], -v[146:147]
	v_add_f64 v[26:27], v[32:33], -v[26:27]
	s_delay_alu instid0(VALU_DEP_2) | instskip(NEXT) | instid1(VALU_DEP_1)
	v_add_f64 v[34:35], v[34:35], -v[144:145]
	v_add_f64 v[8:9], v[8:9], v[34:35]
	s_delay_alu instid0(VALU_DEP_1) | instskip(NEXT) | instid1(VALU_DEP_1)
	v_add_f64 v[8:9], v[26:27], v[8:9]
	v_add_f64 v[26:27], v[146:147], v[8:9]
	s_delay_alu instid0(VALU_DEP_1) | instskip(SKIP_1) | instid1(VALU_DEP_2)
	v_mul_f64 v[32:33], v[22:23], v[26:27]
	v_add_f64 v[144:145], v[146:147], -v[26:27]
	v_mul_f64 v[34:35], v[28:29], v[32:33]
	s_delay_alu instid0(VALU_DEP_2) | instskip(NEXT) | instid1(VALU_DEP_2)
	v_add_f64 v[8:9], v[8:9], v[144:145]
	v_fma_f64 v[28:29], v[32:33], v[28:29], -v[34:35]
	s_delay_alu instid0(VALU_DEP_1) | instskip(NEXT) | instid1(VALU_DEP_1)
	v_fma_f64 v[24:25], v[32:33], v[24:25], v[28:29]
	v_add_f64 v[28:29], v[34:35], v[24:25]
	s_delay_alu instid0(VALU_DEP_1) | instskip(SKIP_1) | instid1(VALU_DEP_2)
	v_add_f64 v[131:132], v[26:27], -v[28:29]
	v_add_f64 v[34:35], v[28:29], -v[34:35]
	v_add_f64 v[26:27], v[26:27], -v[131:132]
	s_delay_alu instid0(VALU_DEP_2) | instskip(NEXT) | instid1(VALU_DEP_2)
	v_add_f64 v[24:25], v[34:35], -v[24:25]
	v_add_f64 v[26:27], v[26:27], -v[28:29]
	s_delay_alu instid0(VALU_DEP_1) | instskip(SKIP_1) | instid1(VALU_DEP_2)
	v_add_f64 v[8:9], v[8:9], v[26:27]
	v_add_f64 v[26:27], v[30:31], v[32:33]
	;; [unrolled: 1-line block ×3, first 2 shown]
	s_delay_alu instid0(VALU_DEP_2) | instskip(NEXT) | instid1(VALU_DEP_2)
	v_add_f64 v[24:25], v[26:27], -v[30:31]
	v_add_f64 v[8:9], v[131:132], v[8:9]
	s_delay_alu instid0(VALU_DEP_2) | instskip(NEXT) | instid1(VALU_DEP_2)
	v_add_f64 v[24:25], v[32:33], -v[24:25]
	v_mul_f64 v[8:9], v[22:23], v[8:9]
	s_delay_alu instid0(VALU_DEP_1) | instskip(NEXT) | instid1(VALU_DEP_1)
	v_add_f64 v[8:9], v[24:25], v[8:9]
	v_add_f64 v[22:23], v[26:27], v[8:9]
	s_delay_alu instid0(VALU_DEP_1) | instskip(NEXT) | instid1(VALU_DEP_1)
	v_mul_f64 v[24:25], v[22:23], v[22:23]
	v_fma_f64 v[28:29], v[24:25], s[22:23], s[20:21]
	s_mov_b32 s20, 0xd7f4df2e
	s_mov_b32 s21, 0x3fc7474d
	v_mul_f64 v[30:31], v[22:23], v[24:25]
	s_delay_alu instid0(VALU_DEP_2)
	v_fma_f64 v[28:29], v[24:25], v[28:29], s[20:21]
	s_mov_b32 s20, 0x16291751
	s_mov_b32 s21, 0x3fcc71c0
	s_delay_alu instid0(VALU_DEP_1) | instid1(SALU_CYCLE_1)
	v_fma_f64 v[28:29], v[24:25], v[28:29], s[20:21]
	s_mov_b32 s20, 0x9b27acf1
	s_mov_b32 s21, 0x3fd24924
	s_delay_alu instid0(VALU_DEP_1) | instid1(SALU_CYCLE_1)
	;; [unrolled: 4-line block ×3, first 2 shown]
	v_fma_f64 v[28:29], v[24:25], v[28:29], s[20:21]
	s_delay_alu instid0(VALU_DEP_1) | instskip(SKIP_2) | instid1(VALU_DEP_3)
	v_fma_f64 v[24:25], v[24:25], v[28:29], s[10:11]
	v_ldexp_f64 v[28:29], v[22:23], 1
	v_add_f64 v[22:23], v[22:23], -v[26:27]
	v_mul_f64 v[24:25], v[30:31], v[24:25]
	v_cvt_f64_i32_e32 v[30:31], v148
	s_delay_alu instid0(VALU_DEP_3) | instskip(NEXT) | instid1(VALU_DEP_3)
	v_add_f64 v[8:9], v[8:9], -v[22:23]
	v_add_f64 v[26:27], v[28:29], v[24:25]
	s_delay_alu instid0(VALU_DEP_3) | instskip(NEXT) | instid1(VALU_DEP_3)
	v_mul_f64 v[32:33], v[30:31], s[12:13]
	v_ldexp_f64 v[8:9], v[8:9], 1
	s_delay_alu instid0(VALU_DEP_3) | instskip(NEXT) | instid1(VALU_DEP_3)
	v_add_f64 v[22:23], v[26:27], -v[28:29]
	v_fma_f64 v[28:29], v[30:31], s[12:13], -v[32:33]
	s_delay_alu instid0(VALU_DEP_2) | instskip(NEXT) | instid1(VALU_DEP_2)
	v_add_f64 v[22:23], v[24:25], -v[22:23]
	v_fma_f64 v[24:25], v[30:31], s[14:15], v[28:29]
	s_delay_alu instid0(VALU_DEP_2) | instskip(NEXT) | instid1(VALU_DEP_2)
	v_add_f64 v[8:9], v[8:9], v[22:23]
	v_add_f64 v[22:23], v[32:33], v[24:25]
	s_delay_alu instid0(VALU_DEP_2) | instskip(NEXT) | instid1(VALU_DEP_2)
	v_add_f64 v[28:29], v[26:27], v[8:9]
	v_add_f64 v[32:33], v[22:23], -v[32:33]
	s_delay_alu instid0(VALU_DEP_2) | instskip(SKIP_1) | instid1(VALU_DEP_3)
	v_add_f64 v[30:31], v[22:23], v[28:29]
	v_add_f64 v[26:27], v[28:29], -v[26:27]
	v_add_f64 v[24:25], v[24:25], -v[32:33]
	s_delay_alu instid0(VALU_DEP_3) | instskip(NEXT) | instid1(VALU_DEP_3)
	v_add_f64 v[34:35], v[30:31], -v[22:23]
	v_add_f64 v[8:9], v[8:9], -v[26:27]
	s_delay_alu instid0(VALU_DEP_2) | instskip(SKIP_1) | instid1(VALU_DEP_3)
	v_add_f64 v[131:132], v[30:31], -v[34:35]
	v_add_f64 v[26:27], v[28:29], -v[34:35]
	v_add_f64 v[28:29], v[24:25], v[8:9]
	s_delay_alu instid0(VALU_DEP_3) | instskip(NEXT) | instid1(VALU_DEP_1)
	v_add_f64 v[22:23], v[22:23], -v[131:132]
	v_add_f64 v[22:23], v[26:27], v[22:23]
	s_delay_alu instid0(VALU_DEP_3) | instskip(NEXT) | instid1(VALU_DEP_2)
	v_add_f64 v[26:27], v[28:29], -v[24:25]
	v_add_f64 v[22:23], v[28:29], v[22:23]
	s_delay_alu instid0(VALU_DEP_2) | instskip(SKIP_1) | instid1(VALU_DEP_3)
	v_add_f64 v[28:29], v[28:29], -v[26:27]
	v_add_f64 v[8:9], v[8:9], -v[26:27]
	v_add_f64 v[32:33], v[30:31], v[22:23]
	s_delay_alu instid0(VALU_DEP_3) | instskip(NEXT) | instid1(VALU_DEP_2)
	v_add_f64 v[24:25], v[24:25], -v[28:29]
	v_add_f64 v[26:27], v[32:33], -v[30:31]
	s_delay_alu instid0(VALU_DEP_2) | instskip(NEXT) | instid1(VALU_DEP_2)
	v_add_f64 v[8:9], v[8:9], v[24:25]
	v_add_f64 v[22:23], v[22:23], -v[26:27]
	s_delay_alu instid0(VALU_DEP_1) | instskip(NEXT) | instid1(VALU_DEP_1)
	v_add_f64 v[8:9], v[8:9], v[22:23]
	v_add_f64 v[8:9], v[32:33], v[8:9]
	s_delay_alu instid0(VALU_DEP_1) | instskip(SKIP_1) | instid1(VALU_DEP_2)
	v_dual_cndmask_b32 v9, v9, v5 :: v_dual_cndmask_b32 v8, v8, v4
	v_cmp_ngt_f64_e32 vcc_lo, -1.0, v[4:5]
	v_cndmask_b32_e32 v9, 0x7ff80000, v9, vcc_lo
	v_cmp_nge_f64_e32 vcc_lo, -1.0, v[4:5]
	s_delay_alu instid0(VALU_DEP_4) | instskip(SKIP_1) | instid1(VALU_DEP_4)
	v_cndmask_b32_e32 v8, 0, v8, vcc_lo
	v_cmp_neq_f64_e32 vcc_lo, -1.0, v[4:5]
	v_cndmask_b32_e32 v9, 0xfff00000, v9, vcc_lo
	s_delay_alu instid0(VALU_DEP_1)
	v_add_f64 v[4:5], v[6:7], v[8:9]
.LBB36_38:
	s_or_b32 exec_lo, exec_lo, s16
	v_max_f64 v[22:23], v[84:85], v[84:85]
	s_delay_alu instid0(VALU_DEP_2) | instskip(SKIP_2) | instid1(VALU_DEP_3)
	v_max_f64 v[6:7], v[4:5], v[4:5]
	v_cmp_u_f64_e32 vcc_lo, v[4:5], v[4:5]
	v_cmp_u_f64_e64 s10, v[84:85], v[84:85]
	v_min_f64 v[8:9], v[6:7], v[22:23]
	v_max_f64 v[6:7], v[6:7], v[22:23]
	s_delay_alu instid0(VALU_DEP_2) | instskip(NEXT) | instid1(VALU_DEP_2)
	v_dual_cndmask_b32 v8, v8, v4 :: v_dual_cndmask_b32 v9, v9, v5
	v_dual_cndmask_b32 v7, v7, v5 :: v_dual_cndmask_b32 v6, v6, v4
	s_delay_alu instid0(VALU_DEP_2) | instskip(NEXT) | instid1(VALU_DEP_3)
	v_cndmask_b32_e64 v8, v8, v84, s10
	v_cndmask_b32_e64 v9, v9, v85, s10
	s_delay_alu instid0(VALU_DEP_3) | instskip(NEXT) | instid1(VALU_DEP_4)
	v_cndmask_b32_e64 v7, v7, v85, s10
	v_cndmask_b32_e64 v6, v6, v84, s10
	s_delay_alu instid0(VALU_DEP_3) | instskip(NEXT) | instid1(VALU_DEP_2)
	v_cmp_class_f64_e64 s11, v[8:9], 0x1f8
	v_cmp_neq_f64_e32 vcc_lo, v[8:9], v[6:7]
	s_delay_alu instid0(VALU_DEP_2) | instskip(NEXT) | instid1(SALU_CYCLE_1)
	s_or_b32 s11, vcc_lo, s11
	s_and_saveexec_b32 s19, s11
	s_cbranch_execz .LBB36_40
; %bb.39:
	v_add_f64 v[4:5], v[8:9], -v[6:7]
	s_mov_b32 s12, 0x652b82fe
	s_mov_b32 s13, 0x3ff71547
	;; [unrolled: 1-line block ×10, first 2 shown]
	s_delay_alu instid0(VALU_DEP_1) | instskip(SKIP_4) | instid1(VALU_DEP_3)
	v_mul_f64 v[8:9], v[4:5], s[12:13]
	s_mov_b32 s13, 0xbfe62e42
	s_mov_b32 s12, 0xfefa39ef
	v_cmp_nlt_f64_e32 vcc_lo, 0x40900000, v[4:5]
	v_cmp_ngt_f64_e64 s11, 0xc090cc00, v[4:5]
	v_rndne_f64_e32 v[8:9], v[8:9]
	s_delay_alu instid0(VALU_DEP_1) | instskip(SKIP_2) | instid1(VALU_DEP_2)
	v_fma_f64 v[24:25], v[8:9], s[12:13], v[4:5]
	v_cvt_i32_f64_e32 v28, v[8:9]
	s_mov_b32 s13, 0x3fe62e42
	v_fma_f64 v[24:25], v[8:9], s[14:15], v[24:25]
	s_mov_b32 s15, 0x3c7abc9e
	s_delay_alu instid0(VALU_DEP_1) | instskip(SKIP_4) | instid1(VALU_DEP_1)
	v_fma_f64 v[26:27], v[24:25], s[20:21], s[16:17]
	s_mov_b32 s16, 0x623fde64
	s_mov_b32 s17, 0x3ec71dee
	s_mov_b32 s20, 0x6b47b09a
	s_mov_b32 s21, 0x3fc38538
	v_fma_f64 v[26:27], v[24:25], v[26:27], s[16:17]
	s_mov_b32 s16, 0x7c89e6b0
	s_mov_b32 s17, 0x3efa0199
	s_delay_alu instid0(VALU_DEP_1) | instid1(SALU_CYCLE_1)
	v_fma_f64 v[26:27], v[24:25], v[26:27], s[16:17]
	s_mov_b32 s16, 0x14761f6e
	s_mov_b32 s17, 0x3f2a01a0
	s_delay_alu instid0(VALU_DEP_1) | instid1(SALU_CYCLE_1)
	;; [unrolled: 4-line block ×7, first 2 shown]
	v_fma_f64 v[26:27], v[24:25], v[26:27], s[16:17]
	s_mov_b32 s17, 0x3fe55555
	s_mov_b32 s16, 0x55555555
	s_delay_alu instid0(VALU_DEP_1) | instskip(NEXT) | instid1(VALU_DEP_1)
	v_fma_f64 v[26:27], v[24:25], v[26:27], 1.0
	v_fma_f64 v[8:9], v[24:25], v[26:27], 1.0
	s_delay_alu instid0(VALU_DEP_1) | instskip(NEXT) | instid1(VALU_DEP_1)
	v_ldexp_f64 v[8:9], v[8:9], v28
	v_cndmask_b32_e32 v9, 0x7ff00000, v9, vcc_lo
	s_and_b32 vcc_lo, s11, vcc_lo
	s_delay_alu instid0(VALU_DEP_1) | instskip(NEXT) | instid1(VALU_DEP_3)
	v_cndmask_b32_e64 v5, 0, v9, s11
	v_cndmask_b32_e32 v4, 0, v8, vcc_lo
	s_delay_alu instid0(VALU_DEP_1) | instskip(NEXT) | instid1(VALU_DEP_1)
	v_add_f64 v[8:9], v[4:5], 1.0
	v_frexp_mant_f64_e32 v[24:25], v[8:9]
	v_frexp_exp_i32_f64_e32 v28, v[8:9]
	v_add_f64 v[26:27], v[8:9], -1.0
	s_delay_alu instid0(VALU_DEP_3) | instskip(SKIP_1) | instid1(VALU_DEP_2)
	v_cmp_gt_f64_e32 vcc_lo, s[16:17], v[24:25]
	s_mov_b32 s16, 0x55555780
	v_add_f64 v[24:25], v[26:27], -v[8:9]
	v_add_f64 v[26:27], v[4:5], -v[26:27]
	v_subrev_co_ci_u32_e32 v150, vcc_lo, 0, v28, vcc_lo
	s_delay_alu instid0(VALU_DEP_3) | instskip(SKIP_1) | instid1(VALU_DEP_3)
	v_add_f64 v[24:25], v[24:25], 1.0
	v_cmp_eq_f64_e32 vcc_lo, 0x7ff00000, v[4:5]
	v_sub_nc_u32_e32 v30, 0, v150
	s_delay_alu instid0(VALU_DEP_1) | instskip(NEXT) | instid1(VALU_DEP_4)
	v_ldexp_f64 v[8:9], v[8:9], v30
	v_add_f64 v[24:25], v[26:27], v[24:25]
	s_delay_alu instid0(VALU_DEP_2) | instskip(SKIP_1) | instid1(VALU_DEP_3)
	v_add_f64 v[28:29], v[8:9], 1.0
	v_add_f64 v[34:35], v[8:9], -1.0
	v_ldexp_f64 v[24:25], v[24:25], v30
	s_delay_alu instid0(VALU_DEP_3) | instskip(NEXT) | instid1(VALU_DEP_3)
	v_add_f64 v[26:27], v[28:29], -1.0
	v_add_f64 v[131:132], v[34:35], 1.0
	s_delay_alu instid0(VALU_DEP_2) | instskip(NEXT) | instid1(VALU_DEP_2)
	v_add_f64 v[26:27], v[8:9], -v[26:27]
	v_add_f64 v[8:9], v[8:9], -v[131:132]
	s_delay_alu instid0(VALU_DEP_2) | instskip(NEXT) | instid1(VALU_DEP_2)
	v_add_f64 v[26:27], v[24:25], v[26:27]
	v_add_f64 v[8:9], v[24:25], v[8:9]
	s_delay_alu instid0(VALU_DEP_2) | instskip(NEXT) | instid1(VALU_DEP_2)
	v_add_f64 v[30:31], v[28:29], v[26:27]
	v_add_f64 v[131:132], v[34:35], v[8:9]
	s_delay_alu instid0(VALU_DEP_2) | instskip(SKIP_1) | instid1(VALU_DEP_2)
	v_rcp_f64_e32 v[32:33], v[30:31]
	v_add_f64 v[28:29], v[30:31], -v[28:29]
	v_add_f64 v[34:35], v[131:132], -v[34:35]
	s_delay_alu instid0(VALU_DEP_2) | instskip(SKIP_3) | instid1(VALU_DEP_2)
	v_add_f64 v[26:27], v[26:27], -v[28:29]
	s_waitcnt_depctr 0xfff
	v_fma_f64 v[144:145], -v[30:31], v[32:33], 1.0
	v_add_f64 v[8:9], v[8:9], -v[34:35]
	v_fma_f64 v[32:33], v[144:145], v[32:33], v[32:33]
	s_delay_alu instid0(VALU_DEP_1) | instskip(NEXT) | instid1(VALU_DEP_1)
	v_fma_f64 v[24:25], -v[30:31], v[32:33], 1.0
	v_fma_f64 v[24:25], v[24:25], v[32:33], v[32:33]
	s_delay_alu instid0(VALU_DEP_1) | instskip(NEXT) | instid1(VALU_DEP_1)
	v_mul_f64 v[32:33], v[131:132], v[24:25]
	v_mul_f64 v[144:145], v[30:31], v[32:33]
	s_delay_alu instid0(VALU_DEP_1) | instskip(NEXT) | instid1(VALU_DEP_1)
	v_fma_f64 v[28:29], v[32:33], v[30:31], -v[144:145]
	v_fma_f64 v[28:29], v[32:33], v[26:27], v[28:29]
	s_delay_alu instid0(VALU_DEP_1) | instskip(NEXT) | instid1(VALU_DEP_1)
	v_add_f64 v[146:147], v[144:145], v[28:29]
	v_add_f64 v[148:149], v[131:132], -v[146:147]
	v_add_f64 v[34:35], v[146:147], -v[144:145]
	s_delay_alu instid0(VALU_DEP_2) | instskip(NEXT) | instid1(VALU_DEP_2)
	v_add_f64 v[131:132], v[131:132], -v[148:149]
	v_add_f64 v[28:29], v[34:35], -v[28:29]
	s_delay_alu instid0(VALU_DEP_2) | instskip(NEXT) | instid1(VALU_DEP_1)
	v_add_f64 v[131:132], v[131:132], -v[146:147]
	v_add_f64 v[8:9], v[8:9], v[131:132]
	s_delay_alu instid0(VALU_DEP_1) | instskip(NEXT) | instid1(VALU_DEP_1)
	v_add_f64 v[8:9], v[28:29], v[8:9]
	v_add_f64 v[28:29], v[148:149], v[8:9]
	s_delay_alu instid0(VALU_DEP_1) | instskip(SKIP_1) | instid1(VALU_DEP_2)
	v_mul_f64 v[34:35], v[24:25], v[28:29]
	v_add_f64 v[146:147], v[148:149], -v[28:29]
	v_mul_f64 v[131:132], v[30:31], v[34:35]
	s_delay_alu instid0(VALU_DEP_2) | instskip(NEXT) | instid1(VALU_DEP_2)
	v_add_f64 v[8:9], v[8:9], v[146:147]
	v_fma_f64 v[30:31], v[34:35], v[30:31], -v[131:132]
	s_delay_alu instid0(VALU_DEP_1) | instskip(NEXT) | instid1(VALU_DEP_1)
	v_fma_f64 v[26:27], v[34:35], v[26:27], v[30:31]
	v_add_f64 v[30:31], v[131:132], v[26:27]
	s_delay_alu instid0(VALU_DEP_1) | instskip(SKIP_1) | instid1(VALU_DEP_2)
	v_add_f64 v[144:145], v[28:29], -v[30:31]
	v_add_f64 v[131:132], v[30:31], -v[131:132]
	;; [unrolled: 1-line block ×3, first 2 shown]
	s_delay_alu instid0(VALU_DEP_2) | instskip(NEXT) | instid1(VALU_DEP_2)
	v_add_f64 v[26:27], v[131:132], -v[26:27]
	v_add_f64 v[28:29], v[28:29], -v[30:31]
	s_delay_alu instid0(VALU_DEP_1) | instskip(SKIP_1) | instid1(VALU_DEP_2)
	v_add_f64 v[8:9], v[8:9], v[28:29]
	v_add_f64 v[28:29], v[32:33], v[34:35]
	;; [unrolled: 1-line block ×3, first 2 shown]
	s_delay_alu instid0(VALU_DEP_2) | instskip(NEXT) | instid1(VALU_DEP_2)
	v_add_f64 v[26:27], v[28:29], -v[32:33]
	v_add_f64 v[8:9], v[144:145], v[8:9]
	s_delay_alu instid0(VALU_DEP_2) | instskip(NEXT) | instid1(VALU_DEP_2)
	v_add_f64 v[26:27], v[34:35], -v[26:27]
	v_mul_f64 v[8:9], v[24:25], v[8:9]
	s_delay_alu instid0(VALU_DEP_1) | instskip(NEXT) | instid1(VALU_DEP_1)
	v_add_f64 v[8:9], v[26:27], v[8:9]
	v_add_f64 v[24:25], v[28:29], v[8:9]
	s_delay_alu instid0(VALU_DEP_1) | instskip(NEXT) | instid1(VALU_DEP_1)
	v_mul_f64 v[26:27], v[24:25], v[24:25]
	v_fma_f64 v[30:31], v[26:27], s[22:23], s[20:21]
	s_mov_b32 s20, 0xd7f4df2e
	s_mov_b32 s21, 0x3fc7474d
	v_mul_f64 v[32:33], v[24:25], v[26:27]
	s_delay_alu instid0(VALU_DEP_2)
	v_fma_f64 v[30:31], v[26:27], v[30:31], s[20:21]
	s_mov_b32 s20, 0x16291751
	s_mov_b32 s21, 0x3fcc71c0
	s_delay_alu instid0(VALU_DEP_1) | instid1(SALU_CYCLE_1)
	v_fma_f64 v[30:31], v[26:27], v[30:31], s[20:21]
	s_mov_b32 s20, 0x9b27acf1
	s_mov_b32 s21, 0x3fd24924
	s_delay_alu instid0(VALU_DEP_1) | instid1(SALU_CYCLE_1)
	v_fma_f64 v[30:31], v[26:27], v[30:31], s[20:21]
	s_mov_b32 s20, 0x998ef7b6
	s_mov_b32 s21, 0x3fd99999
	s_delay_alu instid0(VALU_DEP_1) | instid1(SALU_CYCLE_1)
	v_fma_f64 v[30:31], v[26:27], v[30:31], s[20:21]
	s_delay_alu instid0(VALU_DEP_1) | instskip(SKIP_2) | instid1(VALU_DEP_3)
	v_fma_f64 v[26:27], v[26:27], v[30:31], s[16:17]
	v_ldexp_f64 v[30:31], v[24:25], 1
	v_add_f64 v[24:25], v[24:25], -v[28:29]
	v_mul_f64 v[26:27], v[32:33], v[26:27]
	v_cvt_f64_i32_e32 v[32:33], v150
	s_delay_alu instid0(VALU_DEP_3) | instskip(NEXT) | instid1(VALU_DEP_3)
	v_add_f64 v[8:9], v[8:9], -v[24:25]
	v_add_f64 v[28:29], v[30:31], v[26:27]
	s_delay_alu instid0(VALU_DEP_3) | instskip(NEXT) | instid1(VALU_DEP_3)
	v_mul_f64 v[34:35], v[32:33], s[12:13]
	v_ldexp_f64 v[8:9], v[8:9], 1
	s_delay_alu instid0(VALU_DEP_3) | instskip(NEXT) | instid1(VALU_DEP_3)
	v_add_f64 v[24:25], v[28:29], -v[30:31]
	v_fma_f64 v[30:31], v[32:33], s[12:13], -v[34:35]
	s_delay_alu instid0(VALU_DEP_2) | instskip(NEXT) | instid1(VALU_DEP_2)
	v_add_f64 v[24:25], v[26:27], -v[24:25]
	v_fma_f64 v[26:27], v[32:33], s[14:15], v[30:31]
	s_delay_alu instid0(VALU_DEP_2) | instskip(NEXT) | instid1(VALU_DEP_2)
	v_add_f64 v[8:9], v[8:9], v[24:25]
	v_add_f64 v[24:25], v[34:35], v[26:27]
	s_delay_alu instid0(VALU_DEP_2) | instskip(NEXT) | instid1(VALU_DEP_2)
	v_add_f64 v[30:31], v[28:29], v[8:9]
	v_add_f64 v[34:35], v[24:25], -v[34:35]
	s_delay_alu instid0(VALU_DEP_2) | instskip(SKIP_1) | instid1(VALU_DEP_3)
	v_add_f64 v[32:33], v[24:25], v[30:31]
	v_add_f64 v[28:29], v[30:31], -v[28:29]
	v_add_f64 v[26:27], v[26:27], -v[34:35]
	s_delay_alu instid0(VALU_DEP_3) | instskip(NEXT) | instid1(VALU_DEP_3)
	v_add_f64 v[131:132], v[32:33], -v[24:25]
	v_add_f64 v[8:9], v[8:9], -v[28:29]
	s_delay_alu instid0(VALU_DEP_2) | instskip(SKIP_1) | instid1(VALU_DEP_3)
	v_add_f64 v[144:145], v[32:33], -v[131:132]
	v_add_f64 v[28:29], v[30:31], -v[131:132]
	v_add_f64 v[30:31], v[26:27], v[8:9]
	s_delay_alu instid0(VALU_DEP_3) | instskip(NEXT) | instid1(VALU_DEP_1)
	v_add_f64 v[24:25], v[24:25], -v[144:145]
	v_add_f64 v[24:25], v[28:29], v[24:25]
	s_delay_alu instid0(VALU_DEP_3) | instskip(NEXT) | instid1(VALU_DEP_2)
	v_add_f64 v[28:29], v[30:31], -v[26:27]
	v_add_f64 v[24:25], v[30:31], v[24:25]
	s_delay_alu instid0(VALU_DEP_2) | instskip(SKIP_1) | instid1(VALU_DEP_3)
	v_add_f64 v[30:31], v[30:31], -v[28:29]
	v_add_f64 v[8:9], v[8:9], -v[28:29]
	v_add_f64 v[34:35], v[32:33], v[24:25]
	s_delay_alu instid0(VALU_DEP_3) | instskip(NEXT) | instid1(VALU_DEP_2)
	v_add_f64 v[26:27], v[26:27], -v[30:31]
	v_add_f64 v[28:29], v[34:35], -v[32:33]
	s_delay_alu instid0(VALU_DEP_2) | instskip(NEXT) | instid1(VALU_DEP_2)
	v_add_f64 v[8:9], v[8:9], v[26:27]
	v_add_f64 v[24:25], v[24:25], -v[28:29]
	s_delay_alu instid0(VALU_DEP_1) | instskip(NEXT) | instid1(VALU_DEP_1)
	v_add_f64 v[8:9], v[8:9], v[24:25]
	v_add_f64 v[8:9], v[34:35], v[8:9]
	s_delay_alu instid0(VALU_DEP_1) | instskip(SKIP_1) | instid1(VALU_DEP_2)
	v_dual_cndmask_b32 v9, v9, v5 :: v_dual_cndmask_b32 v8, v8, v4
	v_cmp_ngt_f64_e32 vcc_lo, -1.0, v[4:5]
	v_cndmask_b32_e32 v9, 0x7ff80000, v9, vcc_lo
	v_cmp_nge_f64_e32 vcc_lo, -1.0, v[4:5]
	s_delay_alu instid0(VALU_DEP_4) | instskip(SKIP_1) | instid1(VALU_DEP_4)
	v_cndmask_b32_e32 v8, 0, v8, vcc_lo
	v_cmp_neq_f64_e32 vcc_lo, -1.0, v[4:5]
	v_cndmask_b32_e32 v9, 0xfff00000, v9, vcc_lo
	s_delay_alu instid0(VALU_DEP_1)
	v_add_f64 v[4:5], v[6:7], v[8:9]
.LBB36_40:
	s_or_b32 exec_lo, exec_lo, s19
	v_max_f64 v[24:25], v[86:87], v[86:87]
	s_delay_alu instid0(VALU_DEP_2) | instskip(SKIP_2) | instid1(VALU_DEP_3)
	v_max_f64 v[6:7], v[4:5], v[4:5]
	v_cmp_u_f64_e32 vcc_lo, v[4:5], v[4:5]
	v_cmp_u_f64_e64 s11, v[86:87], v[86:87]
	v_min_f64 v[8:9], v[6:7], v[24:25]
	v_max_f64 v[6:7], v[6:7], v[24:25]
	s_delay_alu instid0(VALU_DEP_2) | instskip(NEXT) | instid1(VALU_DEP_2)
	v_dual_cndmask_b32 v8, v8, v4 :: v_dual_cndmask_b32 v9, v9, v5
	v_dual_cndmask_b32 v7, v7, v5 :: v_dual_cndmask_b32 v6, v6, v4
	s_delay_alu instid0(VALU_DEP_2) | instskip(NEXT) | instid1(VALU_DEP_3)
	v_cndmask_b32_e64 v8, v8, v86, s11
	v_cndmask_b32_e64 v9, v9, v87, s11
	s_delay_alu instid0(VALU_DEP_3) | instskip(NEXT) | instid1(VALU_DEP_4)
	v_cndmask_b32_e64 v7, v7, v87, s11
	v_cndmask_b32_e64 v6, v6, v86, s11
	s_delay_alu instid0(VALU_DEP_3) | instskip(NEXT) | instid1(VALU_DEP_2)
	v_cmp_class_f64_e64 s12, v[8:9], 0x1f8
	v_cmp_neq_f64_e32 vcc_lo, v[8:9], v[6:7]
	s_delay_alu instid0(VALU_DEP_2) | instskip(NEXT) | instid1(SALU_CYCLE_1)
	s_or_b32 s12, vcc_lo, s12
	s_and_saveexec_b32 s19, s12
	s_cbranch_execz .LBB36_42
; %bb.41:
	v_add_f64 v[4:5], v[8:9], -v[6:7]
	s_mov_b32 s12, 0x652b82fe
	s_mov_b32 s13, 0x3ff71547
	;; [unrolled: 1-line block ×10, first 2 shown]
	s_delay_alu instid0(VALU_DEP_1) | instskip(SKIP_3) | instid1(VALU_DEP_2)
	v_mul_f64 v[8:9], v[4:5], s[12:13]
	s_mov_b32 s12, 0xfca7ab0c
	s_mov_b32 s13, 0x3e928af3
	v_cmp_nlt_f64_e32 vcc_lo, 0x40900000, v[4:5]
	v_rndne_f64_e32 v[8:9], v[8:9]
	s_delay_alu instid0(VALU_DEP_1) | instskip(SKIP_2) | instid1(VALU_DEP_2)
	v_fma_f64 v[26:27], v[8:9], s[14:15], v[4:5]
	v_cvt_i32_f64_e32 v30, v[8:9]
	s_mov_b32 s15, 0x3fe62e42
	v_fma_f64 v[26:27], v[8:9], s[16:17], v[26:27]
	s_mov_b32 s17, 0x3c7abc9e
	s_delay_alu instid0(VALU_DEP_1) | instskip(SKIP_4) | instid1(VALU_DEP_1)
	v_fma_f64 v[28:29], v[26:27], s[20:21], s[12:13]
	s_mov_b32 s12, 0x623fde64
	s_mov_b32 s13, 0x3ec71dee
	;; [unrolled: 1-line block ×4, first 2 shown]
	v_fma_f64 v[28:29], v[26:27], v[28:29], s[12:13]
	s_mov_b32 s12, 0x7c89e6b0
	s_mov_b32 s13, 0x3efa0199
	s_delay_alu instid0(VALU_DEP_1) | instid1(SALU_CYCLE_1)
	v_fma_f64 v[28:29], v[26:27], v[28:29], s[12:13]
	s_mov_b32 s12, 0x14761f6e
	s_mov_b32 s13, 0x3f2a01a0
	s_delay_alu instid0(VALU_DEP_1) | instid1(SALU_CYCLE_1)
	;; [unrolled: 4-line block ×7, first 2 shown]
	v_fma_f64 v[28:29], v[26:27], v[28:29], s[12:13]
	v_cmp_ngt_f64_e64 s12, 0xc090cc00, v[4:5]
	s_mov_b32 s13, 0x3fe55555
	s_delay_alu instid0(VALU_DEP_2) | instskip(NEXT) | instid1(VALU_DEP_1)
	v_fma_f64 v[28:29], v[26:27], v[28:29], 1.0
	v_fma_f64 v[8:9], v[26:27], v[28:29], 1.0
	s_delay_alu instid0(VALU_DEP_1) | instskip(NEXT) | instid1(VALU_DEP_1)
	v_ldexp_f64 v[8:9], v[8:9], v30
	v_cndmask_b32_e32 v9, 0x7ff00000, v9, vcc_lo
	s_and_b32 vcc_lo, s12, vcc_lo
	s_delay_alu instid0(VALU_DEP_1) | instskip(NEXT) | instid1(VALU_DEP_3)
	v_cndmask_b32_e64 v5, 0, v9, s12
	v_cndmask_b32_e32 v4, 0, v8, vcc_lo
	s_mov_b32 s12, 0x55555555
	s_delay_alu instid0(VALU_DEP_1) | instskip(NEXT) | instid1(VALU_DEP_1)
	v_add_f64 v[8:9], v[4:5], 1.0
	v_frexp_mant_f64_e32 v[26:27], v[8:9]
	v_frexp_exp_i32_f64_e32 v30, v[8:9]
	v_add_f64 v[28:29], v[8:9], -1.0
	s_delay_alu instid0(VALU_DEP_3) | instskip(SKIP_1) | instid1(VALU_DEP_2)
	v_cmp_gt_f64_e32 vcc_lo, s[12:13], v[26:27]
	s_mov_b32 s12, 0x55555780
	v_add_f64 v[26:27], v[28:29], -v[8:9]
	v_add_f64 v[28:29], v[4:5], -v[28:29]
	v_subrev_co_ci_u32_e32 v160, vcc_lo, 0, v30, vcc_lo
	s_delay_alu instid0(VALU_DEP_3) | instskip(SKIP_1) | instid1(VALU_DEP_3)
	v_add_f64 v[26:27], v[26:27], 1.0
	v_cmp_eq_f64_e32 vcc_lo, 0x7ff00000, v[4:5]
	v_sub_nc_u32_e32 v32, 0, v160
	s_delay_alu instid0(VALU_DEP_1) | instskip(NEXT) | instid1(VALU_DEP_4)
	v_ldexp_f64 v[8:9], v[8:9], v32
	v_add_f64 v[26:27], v[28:29], v[26:27]
	s_delay_alu instid0(VALU_DEP_2) | instskip(SKIP_1) | instid1(VALU_DEP_3)
	v_add_f64 v[30:31], v[8:9], 1.0
	v_add_f64 v[131:132], v[8:9], -1.0
	v_ldexp_f64 v[26:27], v[26:27], v32
	s_delay_alu instid0(VALU_DEP_3) | instskip(NEXT) | instid1(VALU_DEP_3)
	v_add_f64 v[28:29], v[30:31], -1.0
	v_add_f64 v[144:145], v[131:132], 1.0
	s_delay_alu instid0(VALU_DEP_2) | instskip(NEXT) | instid1(VALU_DEP_2)
	v_add_f64 v[28:29], v[8:9], -v[28:29]
	v_add_f64 v[8:9], v[8:9], -v[144:145]
	s_delay_alu instid0(VALU_DEP_2) | instskip(NEXT) | instid1(VALU_DEP_2)
	v_add_f64 v[28:29], v[26:27], v[28:29]
	v_add_f64 v[8:9], v[26:27], v[8:9]
	s_delay_alu instid0(VALU_DEP_2) | instskip(NEXT) | instid1(VALU_DEP_2)
	v_add_f64 v[32:33], v[30:31], v[28:29]
	v_add_f64 v[144:145], v[131:132], v[8:9]
	s_delay_alu instid0(VALU_DEP_2) | instskip(SKIP_1) | instid1(VALU_DEP_2)
	v_rcp_f64_e32 v[34:35], v[32:33]
	v_add_f64 v[30:31], v[32:33], -v[30:31]
	v_add_f64 v[131:132], v[144:145], -v[131:132]
	s_delay_alu instid0(VALU_DEP_2) | instskip(SKIP_3) | instid1(VALU_DEP_2)
	v_add_f64 v[28:29], v[28:29], -v[30:31]
	s_waitcnt_depctr 0xfff
	v_fma_f64 v[146:147], -v[32:33], v[34:35], 1.0
	v_add_f64 v[8:9], v[8:9], -v[131:132]
	v_fma_f64 v[34:35], v[146:147], v[34:35], v[34:35]
	s_delay_alu instid0(VALU_DEP_1) | instskip(NEXT) | instid1(VALU_DEP_1)
	v_fma_f64 v[26:27], -v[32:33], v[34:35], 1.0
	v_fma_f64 v[26:27], v[26:27], v[34:35], v[34:35]
	s_delay_alu instid0(VALU_DEP_1) | instskip(NEXT) | instid1(VALU_DEP_1)
	v_mul_f64 v[34:35], v[144:145], v[26:27]
	v_mul_f64 v[146:147], v[32:33], v[34:35]
	s_delay_alu instid0(VALU_DEP_1) | instskip(NEXT) | instid1(VALU_DEP_1)
	v_fma_f64 v[30:31], v[34:35], v[32:33], -v[146:147]
	v_fma_f64 v[30:31], v[34:35], v[28:29], v[30:31]
	s_delay_alu instid0(VALU_DEP_1) | instskip(NEXT) | instid1(VALU_DEP_1)
	v_add_f64 v[148:149], v[146:147], v[30:31]
	v_add_f64 v[150:151], v[144:145], -v[148:149]
	v_add_f64 v[131:132], v[148:149], -v[146:147]
	s_delay_alu instid0(VALU_DEP_2) | instskip(NEXT) | instid1(VALU_DEP_2)
	v_add_f64 v[144:145], v[144:145], -v[150:151]
	v_add_f64 v[30:31], v[131:132], -v[30:31]
	s_delay_alu instid0(VALU_DEP_2) | instskip(NEXT) | instid1(VALU_DEP_1)
	v_add_f64 v[144:145], v[144:145], -v[148:149]
	v_add_f64 v[8:9], v[8:9], v[144:145]
	s_delay_alu instid0(VALU_DEP_1) | instskip(NEXT) | instid1(VALU_DEP_1)
	v_add_f64 v[8:9], v[30:31], v[8:9]
	v_add_f64 v[30:31], v[150:151], v[8:9]
	s_delay_alu instid0(VALU_DEP_1) | instskip(SKIP_1) | instid1(VALU_DEP_2)
	v_mul_f64 v[131:132], v[26:27], v[30:31]
	v_add_f64 v[148:149], v[150:151], -v[30:31]
	v_mul_f64 v[144:145], v[32:33], v[131:132]
	s_delay_alu instid0(VALU_DEP_2) | instskip(NEXT) | instid1(VALU_DEP_2)
	v_add_f64 v[8:9], v[8:9], v[148:149]
	v_fma_f64 v[32:33], v[131:132], v[32:33], -v[144:145]
	s_delay_alu instid0(VALU_DEP_1) | instskip(NEXT) | instid1(VALU_DEP_1)
	v_fma_f64 v[28:29], v[131:132], v[28:29], v[32:33]
	v_add_f64 v[32:33], v[144:145], v[28:29]
	s_delay_alu instid0(VALU_DEP_1) | instskip(SKIP_1) | instid1(VALU_DEP_2)
	v_add_f64 v[146:147], v[30:31], -v[32:33]
	v_add_f64 v[144:145], v[32:33], -v[144:145]
	;; [unrolled: 1-line block ×3, first 2 shown]
	s_delay_alu instid0(VALU_DEP_2) | instskip(NEXT) | instid1(VALU_DEP_2)
	v_add_f64 v[28:29], v[144:145], -v[28:29]
	v_add_f64 v[30:31], v[30:31], -v[32:33]
	s_delay_alu instid0(VALU_DEP_1) | instskip(SKIP_1) | instid1(VALU_DEP_2)
	v_add_f64 v[8:9], v[8:9], v[30:31]
	v_add_f64 v[30:31], v[34:35], v[131:132]
	;; [unrolled: 1-line block ×3, first 2 shown]
	s_delay_alu instid0(VALU_DEP_2) | instskip(NEXT) | instid1(VALU_DEP_2)
	v_add_f64 v[28:29], v[30:31], -v[34:35]
	v_add_f64 v[8:9], v[146:147], v[8:9]
	s_delay_alu instid0(VALU_DEP_2) | instskip(NEXT) | instid1(VALU_DEP_2)
	v_add_f64 v[28:29], v[131:132], -v[28:29]
	v_mul_f64 v[8:9], v[26:27], v[8:9]
	s_delay_alu instid0(VALU_DEP_1) | instskip(NEXT) | instid1(VALU_DEP_1)
	v_add_f64 v[8:9], v[28:29], v[8:9]
	v_add_f64 v[26:27], v[30:31], v[8:9]
	s_delay_alu instid0(VALU_DEP_1) | instskip(NEXT) | instid1(VALU_DEP_1)
	v_mul_f64 v[28:29], v[26:27], v[26:27]
	v_fma_f64 v[32:33], v[28:29], s[22:23], s[20:21]
	s_mov_b32 s20, 0xd7f4df2e
	s_mov_b32 s21, 0x3fc7474d
	v_mul_f64 v[34:35], v[26:27], v[28:29]
	s_delay_alu instid0(VALU_DEP_2)
	v_fma_f64 v[32:33], v[28:29], v[32:33], s[20:21]
	s_mov_b32 s20, 0x16291751
	s_mov_b32 s21, 0x3fcc71c0
	s_delay_alu instid0(VALU_DEP_1) | instid1(SALU_CYCLE_1)
	v_fma_f64 v[32:33], v[28:29], v[32:33], s[20:21]
	s_mov_b32 s20, 0x9b27acf1
	s_mov_b32 s21, 0x3fd24924
	s_delay_alu instid0(VALU_DEP_1) | instid1(SALU_CYCLE_1)
	;; [unrolled: 4-line block ×3, first 2 shown]
	v_fma_f64 v[32:33], v[28:29], v[32:33], s[20:21]
	s_delay_alu instid0(VALU_DEP_1) | instskip(SKIP_2) | instid1(VALU_DEP_3)
	v_fma_f64 v[28:29], v[28:29], v[32:33], s[12:13]
	v_ldexp_f64 v[32:33], v[26:27], 1
	v_add_f64 v[26:27], v[26:27], -v[30:31]
	v_mul_f64 v[28:29], v[34:35], v[28:29]
	v_cvt_f64_i32_e32 v[34:35], v160
	s_delay_alu instid0(VALU_DEP_3) | instskip(NEXT) | instid1(VALU_DEP_3)
	v_add_f64 v[8:9], v[8:9], -v[26:27]
	v_add_f64 v[30:31], v[32:33], v[28:29]
	s_delay_alu instid0(VALU_DEP_3) | instskip(NEXT) | instid1(VALU_DEP_3)
	v_mul_f64 v[131:132], v[34:35], s[14:15]
	v_ldexp_f64 v[8:9], v[8:9], 1
	s_delay_alu instid0(VALU_DEP_3) | instskip(NEXT) | instid1(VALU_DEP_3)
	v_add_f64 v[26:27], v[30:31], -v[32:33]
	v_fma_f64 v[32:33], v[34:35], s[14:15], -v[131:132]
	s_delay_alu instid0(VALU_DEP_2) | instskip(NEXT) | instid1(VALU_DEP_2)
	v_add_f64 v[26:27], v[28:29], -v[26:27]
	v_fma_f64 v[28:29], v[34:35], s[16:17], v[32:33]
	s_delay_alu instid0(VALU_DEP_2) | instskip(NEXT) | instid1(VALU_DEP_2)
	v_add_f64 v[8:9], v[8:9], v[26:27]
	v_add_f64 v[26:27], v[131:132], v[28:29]
	s_delay_alu instid0(VALU_DEP_2) | instskip(NEXT) | instid1(VALU_DEP_2)
	v_add_f64 v[32:33], v[30:31], v[8:9]
	v_add_f64 v[131:132], v[26:27], -v[131:132]
	s_delay_alu instid0(VALU_DEP_2) | instskip(SKIP_1) | instid1(VALU_DEP_3)
	v_add_f64 v[34:35], v[26:27], v[32:33]
	v_add_f64 v[30:31], v[32:33], -v[30:31]
	v_add_f64 v[28:29], v[28:29], -v[131:132]
	s_delay_alu instid0(VALU_DEP_3) | instskip(NEXT) | instid1(VALU_DEP_3)
	v_add_f64 v[144:145], v[34:35], -v[26:27]
	v_add_f64 v[8:9], v[8:9], -v[30:31]
	s_delay_alu instid0(VALU_DEP_2) | instskip(SKIP_1) | instid1(VALU_DEP_3)
	v_add_f64 v[146:147], v[34:35], -v[144:145]
	v_add_f64 v[30:31], v[32:33], -v[144:145]
	v_add_f64 v[32:33], v[28:29], v[8:9]
	s_delay_alu instid0(VALU_DEP_3) | instskip(NEXT) | instid1(VALU_DEP_1)
	v_add_f64 v[26:27], v[26:27], -v[146:147]
	v_add_f64 v[26:27], v[30:31], v[26:27]
	s_delay_alu instid0(VALU_DEP_3) | instskip(NEXT) | instid1(VALU_DEP_2)
	v_add_f64 v[30:31], v[32:33], -v[28:29]
	v_add_f64 v[26:27], v[32:33], v[26:27]
	s_delay_alu instid0(VALU_DEP_2) | instskip(SKIP_1) | instid1(VALU_DEP_3)
	v_add_f64 v[32:33], v[32:33], -v[30:31]
	v_add_f64 v[8:9], v[8:9], -v[30:31]
	v_add_f64 v[131:132], v[34:35], v[26:27]
	s_delay_alu instid0(VALU_DEP_3) | instskip(NEXT) | instid1(VALU_DEP_2)
	v_add_f64 v[28:29], v[28:29], -v[32:33]
	v_add_f64 v[30:31], v[131:132], -v[34:35]
	s_delay_alu instid0(VALU_DEP_2) | instskip(NEXT) | instid1(VALU_DEP_2)
	v_add_f64 v[8:9], v[8:9], v[28:29]
	v_add_f64 v[26:27], v[26:27], -v[30:31]
	s_delay_alu instid0(VALU_DEP_1) | instskip(NEXT) | instid1(VALU_DEP_1)
	v_add_f64 v[8:9], v[8:9], v[26:27]
	v_add_f64 v[8:9], v[131:132], v[8:9]
	s_delay_alu instid0(VALU_DEP_1) | instskip(SKIP_1) | instid1(VALU_DEP_2)
	v_dual_cndmask_b32 v9, v9, v5 :: v_dual_cndmask_b32 v8, v8, v4
	v_cmp_ngt_f64_e32 vcc_lo, -1.0, v[4:5]
	v_cndmask_b32_e32 v9, 0x7ff80000, v9, vcc_lo
	v_cmp_nge_f64_e32 vcc_lo, -1.0, v[4:5]
	s_delay_alu instid0(VALU_DEP_4) | instskip(SKIP_1) | instid1(VALU_DEP_4)
	v_cndmask_b32_e32 v8, 0, v8, vcc_lo
	v_cmp_neq_f64_e32 vcc_lo, -1.0, v[4:5]
	v_cndmask_b32_e32 v9, 0xfff00000, v9, vcc_lo
	s_delay_alu instid0(VALU_DEP_1)
	v_add_f64 v[4:5], v[6:7], v[8:9]
.LBB36_42:
	s_or_b32 exec_lo, exec_lo, s19
	v_max_f64 v[26:27], v[80:81], v[80:81]
	s_delay_alu instid0(VALU_DEP_2) | instskip(SKIP_2) | instid1(VALU_DEP_3)
	v_max_f64 v[6:7], v[4:5], v[4:5]
	v_cmp_u_f64_e32 vcc_lo, v[4:5], v[4:5]
	v_cmp_u_f64_e64 s12, v[80:81], v[80:81]
	v_min_f64 v[8:9], v[6:7], v[26:27]
	v_max_f64 v[6:7], v[6:7], v[26:27]
	s_delay_alu instid0(VALU_DEP_2) | instskip(NEXT) | instid1(VALU_DEP_2)
	v_dual_cndmask_b32 v8, v8, v4 :: v_dual_cndmask_b32 v9, v9, v5
	v_dual_cndmask_b32 v7, v7, v5 :: v_dual_cndmask_b32 v6, v6, v4
	s_delay_alu instid0(VALU_DEP_2) | instskip(NEXT) | instid1(VALU_DEP_3)
	v_cndmask_b32_e64 v8, v8, v80, s12
	v_cndmask_b32_e64 v9, v9, v81, s12
	s_delay_alu instid0(VALU_DEP_3) | instskip(NEXT) | instid1(VALU_DEP_4)
	v_cndmask_b32_e64 v7, v7, v81, s12
	v_cndmask_b32_e64 v6, v6, v80, s12
	s_delay_alu instid0(VALU_DEP_3) | instskip(NEXT) | instid1(VALU_DEP_2)
	v_cmp_class_f64_e64 s13, v[8:9], 0x1f8
	v_cmp_neq_f64_e32 vcc_lo, v[8:9], v[6:7]
	s_delay_alu instid0(VALU_DEP_2) | instskip(NEXT) | instid1(SALU_CYCLE_1)
	s_or_b32 s13, vcc_lo, s13
	s_and_saveexec_b32 s19, s13
	s_cbranch_execz .LBB36_44
; %bb.43:
	v_add_f64 v[4:5], v[8:9], -v[6:7]
	s_mov_b32 s14, 0x652b82fe
	s_mov_b32 s15, 0x3ff71547
	s_mov_b32 s17, 0xbc7abc9e
	s_mov_b32 s16, 0x3b39803f
	s_mov_b32 s20, 0xfca7ab0c
	s_mov_b32 s22, 0x6a5dcb37
	s_mov_b32 s21, 0x3e928af3
	s_mov_b32 s23, 0x3e5ade15
	s_mov_b32 s24, 0xbf559e2b
	s_mov_b32 s25, 0x3fc3ab76
	s_delay_alu instid0(VALU_DEP_1) | instskip(SKIP_4) | instid1(VALU_DEP_3)
	v_mul_f64 v[8:9], v[4:5], s[14:15]
	s_mov_b32 s15, 0xbfe62e42
	s_mov_b32 s14, 0xfefa39ef
	v_cmp_nlt_f64_e32 vcc_lo, 0x40900000, v[4:5]
	v_cmp_ngt_f64_e64 s13, 0xc090cc00, v[4:5]
	v_rndne_f64_e32 v[8:9], v[8:9]
	s_delay_alu instid0(VALU_DEP_1) | instskip(SKIP_2) | instid1(VALU_DEP_2)
	v_fma_f64 v[28:29], v[8:9], s[14:15], v[4:5]
	v_cvt_i32_f64_e32 v32, v[8:9]
	s_mov_b32 s15, 0x3fe62e42
	v_fma_f64 v[28:29], v[8:9], s[16:17], v[28:29]
	s_mov_b32 s17, 0x3c7abc9e
	s_delay_alu instid0(VALU_DEP_1) | instskip(SKIP_4) | instid1(VALU_DEP_1)
	v_fma_f64 v[30:31], v[28:29], s[22:23], s[20:21]
	s_mov_b32 s20, 0x623fde64
	s_mov_b32 s21, 0x3ec71dee
	;; [unrolled: 1-line block ×4, first 2 shown]
	v_fma_f64 v[30:31], v[28:29], v[30:31], s[20:21]
	s_mov_b32 s20, 0x7c89e6b0
	s_mov_b32 s21, 0x3efa0199
	s_delay_alu instid0(VALU_DEP_1) | instid1(SALU_CYCLE_1)
	v_fma_f64 v[30:31], v[28:29], v[30:31], s[20:21]
	s_mov_b32 s20, 0x14761f6e
	s_mov_b32 s21, 0x3f2a01a0
	s_delay_alu instid0(VALU_DEP_1) | instid1(SALU_CYCLE_1)
	;; [unrolled: 4-line block ×7, first 2 shown]
	v_fma_f64 v[30:31], v[28:29], v[30:31], s[20:21]
	s_mov_b32 s21, 0x3fe55555
	s_mov_b32 s20, 0x55555555
	s_delay_alu instid0(VALU_DEP_1) | instskip(NEXT) | instid1(VALU_DEP_1)
	v_fma_f64 v[30:31], v[28:29], v[30:31], 1.0
	v_fma_f64 v[8:9], v[28:29], v[30:31], 1.0
	s_delay_alu instid0(VALU_DEP_1) | instskip(NEXT) | instid1(VALU_DEP_1)
	v_ldexp_f64 v[8:9], v[8:9], v32
	v_cndmask_b32_e32 v9, 0x7ff00000, v9, vcc_lo
	s_and_b32 vcc_lo, s13, vcc_lo
	s_delay_alu instid0(VALU_DEP_1) | instskip(NEXT) | instid1(VALU_DEP_3)
	v_cndmask_b32_e64 v5, 0, v9, s13
	v_cndmask_b32_e32 v4, 0, v8, vcc_lo
	s_delay_alu instid0(VALU_DEP_1) | instskip(NEXT) | instid1(VALU_DEP_1)
	v_add_f64 v[8:9], v[4:5], 1.0
	v_frexp_mant_f64_e32 v[28:29], v[8:9]
	v_frexp_exp_i32_f64_e32 v32, v[8:9]
	v_add_f64 v[30:31], v[8:9], -1.0
	s_delay_alu instid0(VALU_DEP_3) | instskip(SKIP_1) | instid1(VALU_DEP_2)
	v_cmp_gt_f64_e32 vcc_lo, s[20:21], v[28:29]
	s_mov_b32 s20, 0x55555780
	v_add_f64 v[28:29], v[30:31], -v[8:9]
	v_add_f64 v[30:31], v[4:5], -v[30:31]
	v_subrev_co_ci_u32_e32 v162, vcc_lo, 0, v32, vcc_lo
	s_delay_alu instid0(VALU_DEP_3) | instskip(SKIP_1) | instid1(VALU_DEP_3)
	v_add_f64 v[28:29], v[28:29], 1.0
	v_cmp_eq_f64_e32 vcc_lo, 0x7ff00000, v[4:5]
	v_sub_nc_u32_e32 v34, 0, v162
	s_delay_alu instid0(VALU_DEP_1) | instskip(NEXT) | instid1(VALU_DEP_4)
	v_ldexp_f64 v[8:9], v[8:9], v34
	v_add_f64 v[28:29], v[30:31], v[28:29]
	s_delay_alu instid0(VALU_DEP_2) | instskip(SKIP_1) | instid1(VALU_DEP_3)
	v_add_f64 v[32:33], v[8:9], 1.0
	v_add_f64 v[144:145], v[8:9], -1.0
	v_ldexp_f64 v[28:29], v[28:29], v34
	s_delay_alu instid0(VALU_DEP_3) | instskip(NEXT) | instid1(VALU_DEP_3)
	v_add_f64 v[30:31], v[32:33], -1.0
	v_add_f64 v[146:147], v[144:145], 1.0
	s_delay_alu instid0(VALU_DEP_2) | instskip(NEXT) | instid1(VALU_DEP_2)
	v_add_f64 v[30:31], v[8:9], -v[30:31]
	v_add_f64 v[8:9], v[8:9], -v[146:147]
	s_delay_alu instid0(VALU_DEP_2) | instskip(NEXT) | instid1(VALU_DEP_2)
	v_add_f64 v[30:31], v[28:29], v[30:31]
	v_add_f64 v[8:9], v[28:29], v[8:9]
	s_delay_alu instid0(VALU_DEP_2) | instskip(NEXT) | instid1(VALU_DEP_2)
	v_add_f64 v[34:35], v[32:33], v[30:31]
	v_add_f64 v[146:147], v[144:145], v[8:9]
	s_delay_alu instid0(VALU_DEP_2) | instskip(SKIP_1) | instid1(VALU_DEP_2)
	v_rcp_f64_e32 v[131:132], v[34:35]
	v_add_f64 v[32:33], v[34:35], -v[32:33]
	v_add_f64 v[144:145], v[146:147], -v[144:145]
	s_delay_alu instid0(VALU_DEP_2) | instskip(SKIP_3) | instid1(VALU_DEP_2)
	v_add_f64 v[30:31], v[30:31], -v[32:33]
	s_waitcnt_depctr 0xfff
	v_fma_f64 v[148:149], -v[34:35], v[131:132], 1.0
	v_add_f64 v[8:9], v[8:9], -v[144:145]
	v_fma_f64 v[131:132], v[148:149], v[131:132], v[131:132]
	s_delay_alu instid0(VALU_DEP_1) | instskip(NEXT) | instid1(VALU_DEP_1)
	v_fma_f64 v[28:29], -v[34:35], v[131:132], 1.0
	v_fma_f64 v[28:29], v[28:29], v[131:132], v[131:132]
	s_delay_alu instid0(VALU_DEP_1) | instskip(NEXT) | instid1(VALU_DEP_1)
	v_mul_f64 v[131:132], v[146:147], v[28:29]
	v_mul_f64 v[148:149], v[34:35], v[131:132]
	s_delay_alu instid0(VALU_DEP_1) | instskip(NEXT) | instid1(VALU_DEP_1)
	v_fma_f64 v[32:33], v[131:132], v[34:35], -v[148:149]
	v_fma_f64 v[32:33], v[131:132], v[30:31], v[32:33]
	s_delay_alu instid0(VALU_DEP_1) | instskip(NEXT) | instid1(VALU_DEP_1)
	v_add_f64 v[150:151], v[148:149], v[32:33]
	v_add_f64 v[160:161], v[146:147], -v[150:151]
	v_add_f64 v[144:145], v[150:151], -v[148:149]
	s_delay_alu instid0(VALU_DEP_2) | instskip(NEXT) | instid1(VALU_DEP_2)
	v_add_f64 v[146:147], v[146:147], -v[160:161]
	v_add_f64 v[32:33], v[144:145], -v[32:33]
	s_delay_alu instid0(VALU_DEP_2) | instskip(NEXT) | instid1(VALU_DEP_1)
	v_add_f64 v[146:147], v[146:147], -v[150:151]
	v_add_f64 v[8:9], v[8:9], v[146:147]
	s_delay_alu instid0(VALU_DEP_1) | instskip(NEXT) | instid1(VALU_DEP_1)
	v_add_f64 v[8:9], v[32:33], v[8:9]
	v_add_f64 v[32:33], v[160:161], v[8:9]
	s_delay_alu instid0(VALU_DEP_1) | instskip(SKIP_1) | instid1(VALU_DEP_2)
	v_mul_f64 v[144:145], v[28:29], v[32:33]
	v_add_f64 v[150:151], v[160:161], -v[32:33]
	v_mul_f64 v[146:147], v[34:35], v[144:145]
	s_delay_alu instid0(VALU_DEP_2) | instskip(NEXT) | instid1(VALU_DEP_2)
	v_add_f64 v[8:9], v[8:9], v[150:151]
	v_fma_f64 v[34:35], v[144:145], v[34:35], -v[146:147]
	s_delay_alu instid0(VALU_DEP_1) | instskip(NEXT) | instid1(VALU_DEP_1)
	v_fma_f64 v[30:31], v[144:145], v[30:31], v[34:35]
	v_add_f64 v[34:35], v[146:147], v[30:31]
	s_delay_alu instid0(VALU_DEP_1) | instskip(SKIP_1) | instid1(VALU_DEP_2)
	v_add_f64 v[148:149], v[32:33], -v[34:35]
	v_add_f64 v[146:147], v[34:35], -v[146:147]
	;; [unrolled: 1-line block ×3, first 2 shown]
	s_delay_alu instid0(VALU_DEP_2) | instskip(NEXT) | instid1(VALU_DEP_2)
	v_add_f64 v[30:31], v[146:147], -v[30:31]
	v_add_f64 v[32:33], v[32:33], -v[34:35]
	s_delay_alu instid0(VALU_DEP_1) | instskip(SKIP_1) | instid1(VALU_DEP_2)
	v_add_f64 v[8:9], v[8:9], v[32:33]
	v_add_f64 v[32:33], v[131:132], v[144:145]
	;; [unrolled: 1-line block ×3, first 2 shown]
	s_delay_alu instid0(VALU_DEP_2) | instskip(NEXT) | instid1(VALU_DEP_2)
	v_add_f64 v[30:31], v[32:33], -v[131:132]
	v_add_f64 v[8:9], v[148:149], v[8:9]
	s_delay_alu instid0(VALU_DEP_2) | instskip(NEXT) | instid1(VALU_DEP_2)
	v_add_f64 v[30:31], v[144:145], -v[30:31]
	v_mul_f64 v[8:9], v[28:29], v[8:9]
	s_delay_alu instid0(VALU_DEP_1) | instskip(NEXT) | instid1(VALU_DEP_1)
	v_add_f64 v[8:9], v[30:31], v[8:9]
	v_add_f64 v[28:29], v[32:33], v[8:9]
	s_delay_alu instid0(VALU_DEP_1) | instskip(NEXT) | instid1(VALU_DEP_1)
	v_mul_f64 v[30:31], v[28:29], v[28:29]
	v_fma_f64 v[34:35], v[30:31], s[24:25], s[22:23]
	s_mov_b32 s22, 0xd7f4df2e
	s_mov_b32 s23, 0x3fc7474d
	v_mul_f64 v[131:132], v[28:29], v[30:31]
	s_delay_alu instid0(VALU_DEP_2)
	v_fma_f64 v[34:35], v[30:31], v[34:35], s[22:23]
	s_mov_b32 s22, 0x16291751
	s_mov_b32 s23, 0x3fcc71c0
	s_delay_alu instid0(VALU_DEP_1) | instid1(SALU_CYCLE_1)
	v_fma_f64 v[34:35], v[30:31], v[34:35], s[22:23]
	s_mov_b32 s22, 0x9b27acf1
	s_mov_b32 s23, 0x3fd24924
	s_delay_alu instid0(VALU_DEP_1) | instid1(SALU_CYCLE_1)
	;; [unrolled: 4-line block ×3, first 2 shown]
	v_fma_f64 v[34:35], v[30:31], v[34:35], s[22:23]
	s_delay_alu instid0(VALU_DEP_1) | instskip(SKIP_2) | instid1(VALU_DEP_3)
	v_fma_f64 v[30:31], v[30:31], v[34:35], s[20:21]
	v_ldexp_f64 v[34:35], v[28:29], 1
	v_add_f64 v[28:29], v[28:29], -v[32:33]
	v_mul_f64 v[30:31], v[131:132], v[30:31]
	v_cvt_f64_i32_e32 v[131:132], v162
	s_delay_alu instid0(VALU_DEP_3) | instskip(NEXT) | instid1(VALU_DEP_3)
	v_add_f64 v[8:9], v[8:9], -v[28:29]
	v_add_f64 v[32:33], v[34:35], v[30:31]
	s_delay_alu instid0(VALU_DEP_3) | instskip(NEXT) | instid1(VALU_DEP_3)
	v_mul_f64 v[144:145], v[131:132], s[14:15]
	v_ldexp_f64 v[8:9], v[8:9], 1
	s_delay_alu instid0(VALU_DEP_3) | instskip(NEXT) | instid1(VALU_DEP_3)
	v_add_f64 v[28:29], v[32:33], -v[34:35]
	v_fma_f64 v[34:35], v[131:132], s[14:15], -v[144:145]
	s_delay_alu instid0(VALU_DEP_2) | instskip(NEXT) | instid1(VALU_DEP_2)
	v_add_f64 v[28:29], v[30:31], -v[28:29]
	v_fma_f64 v[30:31], v[131:132], s[16:17], v[34:35]
	s_delay_alu instid0(VALU_DEP_2) | instskip(NEXT) | instid1(VALU_DEP_2)
	v_add_f64 v[8:9], v[8:9], v[28:29]
	v_add_f64 v[28:29], v[144:145], v[30:31]
	s_delay_alu instid0(VALU_DEP_2) | instskip(NEXT) | instid1(VALU_DEP_2)
	v_add_f64 v[34:35], v[32:33], v[8:9]
	v_add_f64 v[144:145], v[28:29], -v[144:145]
	s_delay_alu instid0(VALU_DEP_2) | instskip(SKIP_1) | instid1(VALU_DEP_3)
	v_add_f64 v[131:132], v[28:29], v[34:35]
	v_add_f64 v[32:33], v[34:35], -v[32:33]
	v_add_f64 v[30:31], v[30:31], -v[144:145]
	s_delay_alu instid0(VALU_DEP_3) | instskip(NEXT) | instid1(VALU_DEP_3)
	v_add_f64 v[146:147], v[131:132], -v[28:29]
	v_add_f64 v[8:9], v[8:9], -v[32:33]
	s_delay_alu instid0(VALU_DEP_2) | instskip(SKIP_1) | instid1(VALU_DEP_3)
	v_add_f64 v[148:149], v[131:132], -v[146:147]
	v_add_f64 v[32:33], v[34:35], -v[146:147]
	v_add_f64 v[34:35], v[30:31], v[8:9]
	s_delay_alu instid0(VALU_DEP_3) | instskip(NEXT) | instid1(VALU_DEP_1)
	v_add_f64 v[28:29], v[28:29], -v[148:149]
	v_add_f64 v[28:29], v[32:33], v[28:29]
	s_delay_alu instid0(VALU_DEP_3) | instskip(NEXT) | instid1(VALU_DEP_2)
	v_add_f64 v[32:33], v[34:35], -v[30:31]
	v_add_f64 v[28:29], v[34:35], v[28:29]
	s_delay_alu instid0(VALU_DEP_2) | instskip(SKIP_1) | instid1(VALU_DEP_3)
	v_add_f64 v[34:35], v[34:35], -v[32:33]
	v_add_f64 v[8:9], v[8:9], -v[32:33]
	v_add_f64 v[144:145], v[131:132], v[28:29]
	s_delay_alu instid0(VALU_DEP_3) | instskip(NEXT) | instid1(VALU_DEP_2)
	v_add_f64 v[30:31], v[30:31], -v[34:35]
	v_add_f64 v[32:33], v[144:145], -v[131:132]
	s_delay_alu instid0(VALU_DEP_2) | instskip(NEXT) | instid1(VALU_DEP_2)
	v_add_f64 v[8:9], v[8:9], v[30:31]
	v_add_f64 v[28:29], v[28:29], -v[32:33]
	s_delay_alu instid0(VALU_DEP_1) | instskip(NEXT) | instid1(VALU_DEP_1)
	v_add_f64 v[8:9], v[8:9], v[28:29]
	v_add_f64 v[8:9], v[144:145], v[8:9]
	s_delay_alu instid0(VALU_DEP_1) | instskip(SKIP_1) | instid1(VALU_DEP_2)
	v_dual_cndmask_b32 v9, v9, v5 :: v_dual_cndmask_b32 v8, v8, v4
	v_cmp_ngt_f64_e32 vcc_lo, -1.0, v[4:5]
	v_cndmask_b32_e32 v9, 0x7ff80000, v9, vcc_lo
	v_cmp_nge_f64_e32 vcc_lo, -1.0, v[4:5]
	s_delay_alu instid0(VALU_DEP_4) | instskip(SKIP_1) | instid1(VALU_DEP_4)
	v_cndmask_b32_e32 v8, 0, v8, vcc_lo
	v_cmp_neq_f64_e32 vcc_lo, -1.0, v[4:5]
	v_cndmask_b32_e32 v9, 0xfff00000, v9, vcc_lo
	s_delay_alu instid0(VALU_DEP_1)
	v_add_f64 v[4:5], v[6:7], v[8:9]
.LBB36_44:
	s_or_b32 exec_lo, exec_lo, s19
	v_max_f64 v[28:29], v[82:83], v[82:83]
	s_delay_alu instid0(VALU_DEP_2) | instskip(SKIP_2) | instid1(VALU_DEP_3)
	v_max_f64 v[6:7], v[4:5], v[4:5]
	v_cmp_u_f64_e32 vcc_lo, v[4:5], v[4:5]
	v_cmp_u_f64_e64 s13, v[82:83], v[82:83]
	v_min_f64 v[8:9], v[6:7], v[28:29]
	v_max_f64 v[6:7], v[6:7], v[28:29]
	s_delay_alu instid0(VALU_DEP_2) | instskip(NEXT) | instid1(VALU_DEP_2)
	v_dual_cndmask_b32 v8, v8, v4 :: v_dual_cndmask_b32 v9, v9, v5
	v_dual_cndmask_b32 v7, v7, v5 :: v_dual_cndmask_b32 v6, v6, v4
	s_delay_alu instid0(VALU_DEP_2) | instskip(NEXT) | instid1(VALU_DEP_3)
	v_cndmask_b32_e64 v8, v8, v82, s13
	v_cndmask_b32_e64 v9, v9, v83, s13
	s_delay_alu instid0(VALU_DEP_3) | instskip(NEXT) | instid1(VALU_DEP_4)
	v_cndmask_b32_e64 v7, v7, v83, s13
	v_cndmask_b32_e64 v6, v6, v82, s13
	s_delay_alu instid0(VALU_DEP_3) | instskip(NEXT) | instid1(VALU_DEP_2)
	v_cmp_class_f64_e64 s14, v[8:9], 0x1f8
	v_cmp_neq_f64_e32 vcc_lo, v[8:9], v[6:7]
	s_delay_alu instid0(VALU_DEP_2) | instskip(NEXT) | instid1(SALU_CYCLE_1)
	s_or_b32 s14, vcc_lo, s14
	s_and_saveexec_b32 s19, s14
	s_cbranch_execz .LBB36_46
; %bb.45:
	v_add_f64 v[4:5], v[8:9], -v[6:7]
	s_mov_b32 s14, 0x652b82fe
	s_mov_b32 s15, 0x3ff71547
	;; [unrolled: 1-line block ×10, first 2 shown]
	s_delay_alu instid0(VALU_DEP_1) | instskip(SKIP_3) | instid1(VALU_DEP_2)
	v_mul_f64 v[8:9], v[4:5], s[14:15]
	s_mov_b32 s14, 0xfca7ab0c
	s_mov_b32 s15, 0x3e928af3
	v_cmp_nlt_f64_e32 vcc_lo, 0x40900000, v[4:5]
	v_rndne_f64_e32 v[8:9], v[8:9]
	s_delay_alu instid0(VALU_DEP_1) | instskip(SKIP_2) | instid1(VALU_DEP_2)
	v_fma_f64 v[30:31], v[8:9], s[16:17], v[4:5]
	v_cvt_i32_f64_e32 v34, v[8:9]
	s_mov_b32 s17, 0x3fe62e42
	v_fma_f64 v[30:31], v[8:9], s[20:21], v[30:31]
	s_mov_b32 s21, 0x3c7abc9e
	s_delay_alu instid0(VALU_DEP_1) | instskip(SKIP_4) | instid1(VALU_DEP_1)
	v_fma_f64 v[32:33], v[30:31], s[22:23], s[14:15]
	s_mov_b32 s14, 0x623fde64
	s_mov_b32 s15, 0x3ec71dee
	;; [unrolled: 1-line block ×4, first 2 shown]
	v_fma_f64 v[32:33], v[30:31], v[32:33], s[14:15]
	s_mov_b32 s14, 0x7c89e6b0
	s_mov_b32 s15, 0x3efa0199
	s_delay_alu instid0(VALU_DEP_1) | instid1(SALU_CYCLE_1)
	v_fma_f64 v[32:33], v[30:31], v[32:33], s[14:15]
	s_mov_b32 s14, 0x14761f6e
	s_mov_b32 s15, 0x3f2a01a0
	s_delay_alu instid0(VALU_DEP_1) | instid1(SALU_CYCLE_1)
	;; [unrolled: 4-line block ×7, first 2 shown]
	v_fma_f64 v[32:33], v[30:31], v[32:33], s[14:15]
	v_cmp_ngt_f64_e64 s14, 0xc090cc00, v[4:5]
	s_mov_b32 s15, 0x3fe55555
	s_delay_alu instid0(VALU_DEP_2) | instskip(NEXT) | instid1(VALU_DEP_1)
	v_fma_f64 v[32:33], v[30:31], v[32:33], 1.0
	v_fma_f64 v[8:9], v[30:31], v[32:33], 1.0
	s_delay_alu instid0(VALU_DEP_1) | instskip(NEXT) | instid1(VALU_DEP_1)
	v_ldexp_f64 v[8:9], v[8:9], v34
	v_cndmask_b32_e32 v9, 0x7ff00000, v9, vcc_lo
	s_and_b32 vcc_lo, s14, vcc_lo
	s_delay_alu instid0(VALU_DEP_1) | instskip(NEXT) | instid1(VALU_DEP_3)
	v_cndmask_b32_e64 v5, 0, v9, s14
	v_cndmask_b32_e32 v4, 0, v8, vcc_lo
	s_mov_b32 s14, 0x55555555
	s_delay_alu instid0(VALU_DEP_1) | instskip(NEXT) | instid1(VALU_DEP_1)
	v_add_f64 v[8:9], v[4:5], 1.0
	v_frexp_mant_f64_e32 v[30:31], v[8:9]
	v_frexp_exp_i32_f64_e32 v34, v[8:9]
	v_add_f64 v[32:33], v[8:9], -1.0
	s_delay_alu instid0(VALU_DEP_3) | instskip(SKIP_1) | instid1(VALU_DEP_2)
	v_cmp_gt_f64_e32 vcc_lo, s[14:15], v[30:31]
	s_mov_b32 s14, 0x55555780
	v_add_f64 v[30:31], v[32:33], -v[8:9]
	v_add_f64 v[32:33], v[4:5], -v[32:33]
	v_subrev_co_ci_u32_e32 v164, vcc_lo, 0, v34, vcc_lo
	s_delay_alu instid0(VALU_DEP_3) | instskip(SKIP_1) | instid1(VALU_DEP_3)
	v_add_f64 v[30:31], v[30:31], 1.0
	v_cmp_eq_f64_e32 vcc_lo, 0x7ff00000, v[4:5]
	v_sub_nc_u32_e32 v131, 0, v164
	s_delay_alu instid0(VALU_DEP_1) | instskip(NEXT) | instid1(VALU_DEP_4)
	v_ldexp_f64 v[8:9], v[8:9], v131
	v_add_f64 v[30:31], v[32:33], v[30:31]
	s_delay_alu instid0(VALU_DEP_2) | instskip(SKIP_1) | instid1(VALU_DEP_3)
	v_add_f64 v[34:35], v[8:9], 1.0
	v_add_f64 v[146:147], v[8:9], -1.0
	v_ldexp_f64 v[30:31], v[30:31], v131
	s_delay_alu instid0(VALU_DEP_3) | instskip(NEXT) | instid1(VALU_DEP_3)
	v_add_f64 v[32:33], v[34:35], -1.0
	v_add_f64 v[148:149], v[146:147], 1.0
	s_delay_alu instid0(VALU_DEP_2) | instskip(NEXT) | instid1(VALU_DEP_2)
	v_add_f64 v[32:33], v[8:9], -v[32:33]
	v_add_f64 v[8:9], v[8:9], -v[148:149]
	s_delay_alu instid0(VALU_DEP_2) | instskip(NEXT) | instid1(VALU_DEP_2)
	v_add_f64 v[32:33], v[30:31], v[32:33]
	v_add_f64 v[8:9], v[30:31], v[8:9]
	s_delay_alu instid0(VALU_DEP_2) | instskip(NEXT) | instid1(VALU_DEP_2)
	v_add_f64 v[131:132], v[34:35], v[32:33]
	v_add_f64 v[148:149], v[146:147], v[8:9]
	s_delay_alu instid0(VALU_DEP_2) | instskip(SKIP_1) | instid1(VALU_DEP_2)
	v_rcp_f64_e32 v[144:145], v[131:132]
	v_add_f64 v[34:35], v[131:132], -v[34:35]
	v_add_f64 v[146:147], v[148:149], -v[146:147]
	s_delay_alu instid0(VALU_DEP_2) | instskip(SKIP_3) | instid1(VALU_DEP_2)
	v_add_f64 v[32:33], v[32:33], -v[34:35]
	s_waitcnt_depctr 0xfff
	v_fma_f64 v[150:151], -v[131:132], v[144:145], 1.0
	v_add_f64 v[8:9], v[8:9], -v[146:147]
	v_fma_f64 v[144:145], v[150:151], v[144:145], v[144:145]
	s_delay_alu instid0(VALU_DEP_1) | instskip(NEXT) | instid1(VALU_DEP_1)
	v_fma_f64 v[30:31], -v[131:132], v[144:145], 1.0
	v_fma_f64 v[30:31], v[30:31], v[144:145], v[144:145]
	s_delay_alu instid0(VALU_DEP_1) | instskip(NEXT) | instid1(VALU_DEP_1)
	v_mul_f64 v[144:145], v[148:149], v[30:31]
	v_mul_f64 v[150:151], v[131:132], v[144:145]
	s_delay_alu instid0(VALU_DEP_1) | instskip(NEXT) | instid1(VALU_DEP_1)
	v_fma_f64 v[34:35], v[144:145], v[131:132], -v[150:151]
	v_fma_f64 v[34:35], v[144:145], v[32:33], v[34:35]
	s_delay_alu instid0(VALU_DEP_1) | instskip(NEXT) | instid1(VALU_DEP_1)
	v_add_f64 v[160:161], v[150:151], v[34:35]
	v_add_f64 v[162:163], v[148:149], -v[160:161]
	v_add_f64 v[146:147], v[160:161], -v[150:151]
	s_delay_alu instid0(VALU_DEP_2) | instskip(NEXT) | instid1(VALU_DEP_2)
	v_add_f64 v[148:149], v[148:149], -v[162:163]
	v_add_f64 v[34:35], v[146:147], -v[34:35]
	s_delay_alu instid0(VALU_DEP_2) | instskip(NEXT) | instid1(VALU_DEP_1)
	v_add_f64 v[148:149], v[148:149], -v[160:161]
	v_add_f64 v[8:9], v[8:9], v[148:149]
	s_delay_alu instid0(VALU_DEP_1) | instskip(NEXT) | instid1(VALU_DEP_1)
	v_add_f64 v[8:9], v[34:35], v[8:9]
	v_add_f64 v[34:35], v[162:163], v[8:9]
	s_delay_alu instid0(VALU_DEP_1) | instskip(SKIP_1) | instid1(VALU_DEP_2)
	v_mul_f64 v[146:147], v[30:31], v[34:35]
	v_add_f64 v[160:161], v[162:163], -v[34:35]
	v_mul_f64 v[148:149], v[131:132], v[146:147]
	s_delay_alu instid0(VALU_DEP_2) | instskip(NEXT) | instid1(VALU_DEP_2)
	v_add_f64 v[8:9], v[8:9], v[160:161]
	v_fma_f64 v[131:132], v[146:147], v[131:132], -v[148:149]
	s_delay_alu instid0(VALU_DEP_1) | instskip(NEXT) | instid1(VALU_DEP_1)
	v_fma_f64 v[32:33], v[146:147], v[32:33], v[131:132]
	v_add_f64 v[131:132], v[148:149], v[32:33]
	s_delay_alu instid0(VALU_DEP_1) | instskip(SKIP_1) | instid1(VALU_DEP_2)
	v_add_f64 v[150:151], v[34:35], -v[131:132]
	v_add_f64 v[148:149], v[131:132], -v[148:149]
	;; [unrolled: 1-line block ×3, first 2 shown]
	s_delay_alu instid0(VALU_DEP_2) | instskip(NEXT) | instid1(VALU_DEP_2)
	v_add_f64 v[32:33], v[148:149], -v[32:33]
	v_add_f64 v[34:35], v[34:35], -v[131:132]
	s_delay_alu instid0(VALU_DEP_1) | instskip(SKIP_1) | instid1(VALU_DEP_2)
	v_add_f64 v[8:9], v[8:9], v[34:35]
	v_add_f64 v[34:35], v[144:145], v[146:147]
	;; [unrolled: 1-line block ×3, first 2 shown]
	s_delay_alu instid0(VALU_DEP_2) | instskip(NEXT) | instid1(VALU_DEP_2)
	v_add_f64 v[32:33], v[34:35], -v[144:145]
	v_add_f64 v[8:9], v[150:151], v[8:9]
	s_delay_alu instid0(VALU_DEP_2) | instskip(NEXT) | instid1(VALU_DEP_2)
	v_add_f64 v[32:33], v[146:147], -v[32:33]
	v_mul_f64 v[8:9], v[30:31], v[8:9]
	s_delay_alu instid0(VALU_DEP_1) | instskip(NEXT) | instid1(VALU_DEP_1)
	v_add_f64 v[8:9], v[32:33], v[8:9]
	v_add_f64 v[30:31], v[34:35], v[8:9]
	s_delay_alu instid0(VALU_DEP_1) | instskip(NEXT) | instid1(VALU_DEP_1)
	v_mul_f64 v[32:33], v[30:31], v[30:31]
	v_fma_f64 v[131:132], v[32:33], s[24:25], s[22:23]
	s_mov_b32 s22, 0xd7f4df2e
	s_mov_b32 s23, 0x3fc7474d
	v_mul_f64 v[144:145], v[30:31], v[32:33]
	s_delay_alu instid0(VALU_DEP_2)
	v_fma_f64 v[131:132], v[32:33], v[131:132], s[22:23]
	s_mov_b32 s22, 0x16291751
	s_mov_b32 s23, 0x3fcc71c0
	s_delay_alu instid0(VALU_DEP_1) | instid1(SALU_CYCLE_1)
	v_fma_f64 v[131:132], v[32:33], v[131:132], s[22:23]
	s_mov_b32 s22, 0x9b27acf1
	s_mov_b32 s23, 0x3fd24924
	s_delay_alu instid0(VALU_DEP_1) | instid1(SALU_CYCLE_1)
	;; [unrolled: 4-line block ×3, first 2 shown]
	v_fma_f64 v[131:132], v[32:33], v[131:132], s[22:23]
	s_delay_alu instid0(VALU_DEP_1) | instskip(SKIP_2) | instid1(VALU_DEP_3)
	v_fma_f64 v[32:33], v[32:33], v[131:132], s[14:15]
	v_ldexp_f64 v[131:132], v[30:31], 1
	v_add_f64 v[30:31], v[30:31], -v[34:35]
	v_mul_f64 v[32:33], v[144:145], v[32:33]
	v_cvt_f64_i32_e32 v[144:145], v164
	s_delay_alu instid0(VALU_DEP_3) | instskip(NEXT) | instid1(VALU_DEP_3)
	v_add_f64 v[8:9], v[8:9], -v[30:31]
	v_add_f64 v[34:35], v[131:132], v[32:33]
	s_delay_alu instid0(VALU_DEP_3) | instskip(NEXT) | instid1(VALU_DEP_3)
	v_mul_f64 v[146:147], v[144:145], s[16:17]
	v_ldexp_f64 v[8:9], v[8:9], 1
	s_delay_alu instid0(VALU_DEP_3) | instskip(NEXT) | instid1(VALU_DEP_3)
	v_add_f64 v[30:31], v[34:35], -v[131:132]
	v_fma_f64 v[131:132], v[144:145], s[16:17], -v[146:147]
	s_delay_alu instid0(VALU_DEP_2) | instskip(NEXT) | instid1(VALU_DEP_2)
	v_add_f64 v[30:31], v[32:33], -v[30:31]
	v_fma_f64 v[32:33], v[144:145], s[20:21], v[131:132]
	s_delay_alu instid0(VALU_DEP_2) | instskip(NEXT) | instid1(VALU_DEP_2)
	v_add_f64 v[8:9], v[8:9], v[30:31]
	v_add_f64 v[30:31], v[146:147], v[32:33]
	s_delay_alu instid0(VALU_DEP_2) | instskip(NEXT) | instid1(VALU_DEP_2)
	v_add_f64 v[131:132], v[34:35], v[8:9]
	v_add_f64 v[146:147], v[30:31], -v[146:147]
	s_delay_alu instid0(VALU_DEP_2) | instskip(SKIP_1) | instid1(VALU_DEP_3)
	v_add_f64 v[144:145], v[30:31], v[131:132]
	v_add_f64 v[34:35], v[131:132], -v[34:35]
	v_add_f64 v[32:33], v[32:33], -v[146:147]
	s_delay_alu instid0(VALU_DEP_3) | instskip(NEXT) | instid1(VALU_DEP_3)
	v_add_f64 v[148:149], v[144:145], -v[30:31]
	v_add_f64 v[8:9], v[8:9], -v[34:35]
	s_delay_alu instid0(VALU_DEP_2) | instskip(SKIP_1) | instid1(VALU_DEP_3)
	v_add_f64 v[150:151], v[144:145], -v[148:149]
	v_add_f64 v[34:35], v[131:132], -v[148:149]
	v_add_f64 v[131:132], v[32:33], v[8:9]
	s_delay_alu instid0(VALU_DEP_3) | instskip(NEXT) | instid1(VALU_DEP_1)
	v_add_f64 v[30:31], v[30:31], -v[150:151]
	v_add_f64 v[30:31], v[34:35], v[30:31]
	s_delay_alu instid0(VALU_DEP_3) | instskip(NEXT) | instid1(VALU_DEP_2)
	v_add_f64 v[34:35], v[131:132], -v[32:33]
	v_add_f64 v[30:31], v[131:132], v[30:31]
	s_delay_alu instid0(VALU_DEP_2) | instskip(SKIP_1) | instid1(VALU_DEP_3)
	v_add_f64 v[131:132], v[131:132], -v[34:35]
	v_add_f64 v[8:9], v[8:9], -v[34:35]
	v_add_f64 v[146:147], v[144:145], v[30:31]
	s_delay_alu instid0(VALU_DEP_3) | instskip(NEXT) | instid1(VALU_DEP_2)
	v_add_f64 v[32:33], v[32:33], -v[131:132]
	v_add_f64 v[34:35], v[146:147], -v[144:145]
	s_delay_alu instid0(VALU_DEP_2) | instskip(NEXT) | instid1(VALU_DEP_2)
	v_add_f64 v[8:9], v[8:9], v[32:33]
	v_add_f64 v[30:31], v[30:31], -v[34:35]
	s_delay_alu instid0(VALU_DEP_1) | instskip(NEXT) | instid1(VALU_DEP_1)
	v_add_f64 v[8:9], v[8:9], v[30:31]
	v_add_f64 v[8:9], v[146:147], v[8:9]
	s_delay_alu instid0(VALU_DEP_1) | instskip(SKIP_1) | instid1(VALU_DEP_2)
	v_dual_cndmask_b32 v9, v9, v5 :: v_dual_cndmask_b32 v8, v8, v4
	v_cmp_ngt_f64_e32 vcc_lo, -1.0, v[4:5]
	v_cndmask_b32_e32 v9, 0x7ff80000, v9, vcc_lo
	v_cmp_nge_f64_e32 vcc_lo, -1.0, v[4:5]
	s_delay_alu instid0(VALU_DEP_4) | instskip(SKIP_1) | instid1(VALU_DEP_4)
	v_cndmask_b32_e32 v8, 0, v8, vcc_lo
	v_cmp_neq_f64_e32 vcc_lo, -1.0, v[4:5]
	v_cndmask_b32_e32 v9, 0xfff00000, v9, vcc_lo
	s_delay_alu instid0(VALU_DEP_1)
	v_add_f64 v[4:5], v[6:7], v[8:9]
.LBB36_46:
	s_or_b32 exec_lo, exec_lo, s19
	v_max_f64 v[30:31], v[68:69], v[68:69]
	s_delay_alu instid0(VALU_DEP_2) | instskip(SKIP_2) | instid1(VALU_DEP_3)
	v_max_f64 v[6:7], v[4:5], v[4:5]
	v_cmp_u_f64_e32 vcc_lo, v[4:5], v[4:5]
	v_cmp_u_f64_e64 s14, v[68:69], v[68:69]
	v_min_f64 v[8:9], v[6:7], v[30:31]
	v_max_f64 v[6:7], v[6:7], v[30:31]
	s_delay_alu instid0(VALU_DEP_2) | instskip(NEXT) | instid1(VALU_DEP_2)
	v_dual_cndmask_b32 v8, v8, v4 :: v_dual_cndmask_b32 v9, v9, v5
	v_dual_cndmask_b32 v7, v7, v5 :: v_dual_cndmask_b32 v6, v6, v4
	s_delay_alu instid0(VALU_DEP_2) | instskip(NEXT) | instid1(VALU_DEP_3)
	v_cndmask_b32_e64 v8, v8, v68, s14
	v_cndmask_b32_e64 v9, v9, v69, s14
	s_delay_alu instid0(VALU_DEP_3) | instskip(NEXT) | instid1(VALU_DEP_4)
	v_cndmask_b32_e64 v7, v7, v69, s14
	v_cndmask_b32_e64 v6, v6, v68, s14
	s_delay_alu instid0(VALU_DEP_3) | instskip(NEXT) | instid1(VALU_DEP_2)
	v_cmp_class_f64_e64 s15, v[8:9], 0x1f8
	v_cmp_neq_f64_e32 vcc_lo, v[8:9], v[6:7]
	s_delay_alu instid0(VALU_DEP_2) | instskip(NEXT) | instid1(SALU_CYCLE_1)
	s_or_b32 s15, vcc_lo, s15
	s_and_saveexec_b32 s19, s15
	s_cbranch_execz .LBB36_48
; %bb.47:
	v_add_f64 v[4:5], v[8:9], -v[6:7]
	s_mov_b32 s16, 0x652b82fe
	s_mov_b32 s17, 0x3ff71547
	;; [unrolled: 1-line block ×10, first 2 shown]
	s_delay_alu instid0(VALU_DEP_1) | instskip(SKIP_4) | instid1(VALU_DEP_3)
	v_mul_f64 v[8:9], v[4:5], s[16:17]
	s_mov_b32 s17, 0xbfe62e42
	s_mov_b32 s16, 0xfefa39ef
	v_cmp_nlt_f64_e32 vcc_lo, 0x40900000, v[4:5]
	v_cmp_ngt_f64_e64 s15, 0xc090cc00, v[4:5]
	v_rndne_f64_e32 v[8:9], v[8:9]
	s_delay_alu instid0(VALU_DEP_1) | instskip(SKIP_2) | instid1(VALU_DEP_2)
	v_fma_f64 v[32:33], v[8:9], s[16:17], v[4:5]
	v_cvt_i32_f64_e32 v131, v[8:9]
	s_mov_b32 s17, 0x3fe62e42
	v_fma_f64 v[32:33], v[8:9], s[20:21], v[32:33]
	s_mov_b32 s21, 0x3c7abc9e
	s_delay_alu instid0(VALU_DEP_1) | instskip(SKIP_4) | instid1(VALU_DEP_1)
	v_fma_f64 v[34:35], v[32:33], s[24:25], s[22:23]
	s_mov_b32 s22, 0x623fde64
	s_mov_b32 s23, 0x3ec71dee
	;; [unrolled: 1-line block ×4, first 2 shown]
	v_fma_f64 v[34:35], v[32:33], v[34:35], s[22:23]
	s_mov_b32 s22, 0x7c89e6b0
	s_mov_b32 s23, 0x3efa0199
	s_delay_alu instid0(VALU_DEP_1) | instid1(SALU_CYCLE_1)
	v_fma_f64 v[34:35], v[32:33], v[34:35], s[22:23]
	s_mov_b32 s22, 0x14761f6e
	s_mov_b32 s23, 0x3f2a01a0
	s_delay_alu instid0(VALU_DEP_1) | instid1(SALU_CYCLE_1)
	;; [unrolled: 4-line block ×7, first 2 shown]
	v_fma_f64 v[34:35], v[32:33], v[34:35], s[22:23]
	s_mov_b32 s23, 0x3fe55555
	s_mov_b32 s22, 0x55555555
	s_delay_alu instid0(VALU_DEP_1) | instskip(NEXT) | instid1(VALU_DEP_1)
	v_fma_f64 v[34:35], v[32:33], v[34:35], 1.0
	v_fma_f64 v[8:9], v[32:33], v[34:35], 1.0
	s_delay_alu instid0(VALU_DEP_1) | instskip(NEXT) | instid1(VALU_DEP_1)
	v_ldexp_f64 v[8:9], v[8:9], v131
	v_cndmask_b32_e32 v9, 0x7ff00000, v9, vcc_lo
	s_and_b32 vcc_lo, s15, vcc_lo
	s_delay_alu instid0(VALU_DEP_1) | instskip(NEXT) | instid1(VALU_DEP_3)
	v_cndmask_b32_e64 v5, 0, v9, s15
	v_cndmask_b32_e32 v4, 0, v8, vcc_lo
	s_delay_alu instid0(VALU_DEP_1) | instskip(NEXT) | instid1(VALU_DEP_1)
	v_add_f64 v[8:9], v[4:5], 1.0
	v_frexp_mant_f64_e32 v[32:33], v[8:9]
	v_frexp_exp_i32_f64_e32 v131, v[8:9]
	v_add_f64 v[34:35], v[8:9], -1.0
	s_delay_alu instid0(VALU_DEP_3) | instskip(SKIP_1) | instid1(VALU_DEP_2)
	v_cmp_gt_f64_e32 vcc_lo, s[22:23], v[32:33]
	s_mov_b32 s22, 0x55555780
	v_add_f64 v[32:33], v[34:35], -v[8:9]
	v_add_f64 v[34:35], v[4:5], -v[34:35]
	v_subrev_co_ci_u32_e32 v166, vcc_lo, 0, v131, vcc_lo
	s_delay_alu instid0(VALU_DEP_3) | instskip(SKIP_1) | instid1(VALU_DEP_3)
	v_add_f64 v[32:33], v[32:33], 1.0
	v_cmp_eq_f64_e32 vcc_lo, 0x7ff00000, v[4:5]
	v_sub_nc_u32_e32 v144, 0, v166
	s_delay_alu instid0(VALU_DEP_1) | instskip(NEXT) | instid1(VALU_DEP_4)
	v_ldexp_f64 v[8:9], v[8:9], v144
	v_add_f64 v[32:33], v[34:35], v[32:33]
	s_delay_alu instid0(VALU_DEP_2) | instskip(SKIP_1) | instid1(VALU_DEP_3)
	v_add_f64 v[131:132], v[8:9], 1.0
	v_add_f64 v[148:149], v[8:9], -1.0
	v_ldexp_f64 v[32:33], v[32:33], v144
	s_delay_alu instid0(VALU_DEP_3) | instskip(NEXT) | instid1(VALU_DEP_3)
	v_add_f64 v[34:35], v[131:132], -1.0
	v_add_f64 v[150:151], v[148:149], 1.0
	s_delay_alu instid0(VALU_DEP_2) | instskip(NEXT) | instid1(VALU_DEP_2)
	v_add_f64 v[34:35], v[8:9], -v[34:35]
	v_add_f64 v[8:9], v[8:9], -v[150:151]
	s_delay_alu instid0(VALU_DEP_2) | instskip(NEXT) | instid1(VALU_DEP_2)
	v_add_f64 v[34:35], v[32:33], v[34:35]
	v_add_f64 v[8:9], v[32:33], v[8:9]
	s_delay_alu instid0(VALU_DEP_2) | instskip(NEXT) | instid1(VALU_DEP_2)
	v_add_f64 v[144:145], v[131:132], v[34:35]
	v_add_f64 v[150:151], v[148:149], v[8:9]
	s_delay_alu instid0(VALU_DEP_2) | instskip(SKIP_1) | instid1(VALU_DEP_2)
	v_rcp_f64_e32 v[146:147], v[144:145]
	v_add_f64 v[131:132], v[144:145], -v[131:132]
	v_add_f64 v[148:149], v[150:151], -v[148:149]
	s_delay_alu instid0(VALU_DEP_2) | instskip(SKIP_3) | instid1(VALU_DEP_2)
	v_add_f64 v[34:35], v[34:35], -v[131:132]
	s_waitcnt_depctr 0xfff
	v_fma_f64 v[160:161], -v[144:145], v[146:147], 1.0
	v_add_f64 v[8:9], v[8:9], -v[148:149]
	v_fma_f64 v[146:147], v[160:161], v[146:147], v[146:147]
	s_delay_alu instid0(VALU_DEP_1) | instskip(NEXT) | instid1(VALU_DEP_1)
	v_fma_f64 v[32:33], -v[144:145], v[146:147], 1.0
	v_fma_f64 v[32:33], v[32:33], v[146:147], v[146:147]
	s_delay_alu instid0(VALU_DEP_1) | instskip(NEXT) | instid1(VALU_DEP_1)
	v_mul_f64 v[146:147], v[150:151], v[32:33]
	v_mul_f64 v[160:161], v[144:145], v[146:147]
	s_delay_alu instid0(VALU_DEP_1) | instskip(NEXT) | instid1(VALU_DEP_1)
	v_fma_f64 v[131:132], v[146:147], v[144:145], -v[160:161]
	v_fma_f64 v[131:132], v[146:147], v[34:35], v[131:132]
	s_delay_alu instid0(VALU_DEP_1) | instskip(NEXT) | instid1(VALU_DEP_1)
	v_add_f64 v[162:163], v[160:161], v[131:132]
	v_add_f64 v[164:165], v[150:151], -v[162:163]
	v_add_f64 v[148:149], v[162:163], -v[160:161]
	s_delay_alu instid0(VALU_DEP_2) | instskip(NEXT) | instid1(VALU_DEP_2)
	v_add_f64 v[150:151], v[150:151], -v[164:165]
	v_add_f64 v[131:132], v[148:149], -v[131:132]
	s_delay_alu instid0(VALU_DEP_2) | instskip(NEXT) | instid1(VALU_DEP_1)
	v_add_f64 v[150:151], v[150:151], -v[162:163]
	v_add_f64 v[8:9], v[8:9], v[150:151]
	s_delay_alu instid0(VALU_DEP_1) | instskip(NEXT) | instid1(VALU_DEP_1)
	v_add_f64 v[8:9], v[131:132], v[8:9]
	v_add_f64 v[131:132], v[164:165], v[8:9]
	s_delay_alu instid0(VALU_DEP_1) | instskip(SKIP_1) | instid1(VALU_DEP_2)
	v_mul_f64 v[148:149], v[32:33], v[131:132]
	v_add_f64 v[162:163], v[164:165], -v[131:132]
	v_mul_f64 v[150:151], v[144:145], v[148:149]
	s_delay_alu instid0(VALU_DEP_2) | instskip(NEXT) | instid1(VALU_DEP_2)
	v_add_f64 v[8:9], v[8:9], v[162:163]
	v_fma_f64 v[144:145], v[148:149], v[144:145], -v[150:151]
	s_delay_alu instid0(VALU_DEP_1) | instskip(NEXT) | instid1(VALU_DEP_1)
	v_fma_f64 v[34:35], v[148:149], v[34:35], v[144:145]
	v_add_f64 v[144:145], v[150:151], v[34:35]
	s_delay_alu instid0(VALU_DEP_1) | instskip(SKIP_1) | instid1(VALU_DEP_2)
	v_add_f64 v[160:161], v[131:132], -v[144:145]
	v_add_f64 v[150:151], v[144:145], -v[150:151]
	;; [unrolled: 1-line block ×3, first 2 shown]
	s_delay_alu instid0(VALU_DEP_2) | instskip(NEXT) | instid1(VALU_DEP_2)
	v_add_f64 v[34:35], v[150:151], -v[34:35]
	v_add_f64 v[131:132], v[131:132], -v[144:145]
	s_delay_alu instid0(VALU_DEP_1) | instskip(SKIP_1) | instid1(VALU_DEP_2)
	v_add_f64 v[8:9], v[8:9], v[131:132]
	v_add_f64 v[131:132], v[146:147], v[148:149]
	;; [unrolled: 1-line block ×3, first 2 shown]
	s_delay_alu instid0(VALU_DEP_2) | instskip(NEXT) | instid1(VALU_DEP_2)
	v_add_f64 v[34:35], v[131:132], -v[146:147]
	v_add_f64 v[8:9], v[160:161], v[8:9]
	s_delay_alu instid0(VALU_DEP_2) | instskip(NEXT) | instid1(VALU_DEP_2)
	v_add_f64 v[34:35], v[148:149], -v[34:35]
	v_mul_f64 v[8:9], v[32:33], v[8:9]
	s_delay_alu instid0(VALU_DEP_1) | instskip(NEXT) | instid1(VALU_DEP_1)
	v_add_f64 v[8:9], v[34:35], v[8:9]
	v_add_f64 v[32:33], v[131:132], v[8:9]
	s_delay_alu instid0(VALU_DEP_1) | instskip(NEXT) | instid1(VALU_DEP_1)
	v_mul_f64 v[34:35], v[32:33], v[32:33]
	v_fma_f64 v[144:145], v[34:35], s[26:27], s[24:25]
	s_mov_b32 s24, 0xd7f4df2e
	s_mov_b32 s25, 0x3fc7474d
	v_mul_f64 v[146:147], v[32:33], v[34:35]
	s_delay_alu instid0(VALU_DEP_2)
	v_fma_f64 v[144:145], v[34:35], v[144:145], s[24:25]
	s_mov_b32 s24, 0x16291751
	s_mov_b32 s25, 0x3fcc71c0
	s_delay_alu instid0(VALU_DEP_1) | instid1(SALU_CYCLE_1)
	v_fma_f64 v[144:145], v[34:35], v[144:145], s[24:25]
	s_mov_b32 s24, 0x9b27acf1
	s_mov_b32 s25, 0x3fd24924
	s_delay_alu instid0(VALU_DEP_1) | instid1(SALU_CYCLE_1)
	;; [unrolled: 4-line block ×3, first 2 shown]
	v_fma_f64 v[144:145], v[34:35], v[144:145], s[24:25]
	s_delay_alu instid0(VALU_DEP_1) | instskip(SKIP_2) | instid1(VALU_DEP_3)
	v_fma_f64 v[34:35], v[34:35], v[144:145], s[22:23]
	v_ldexp_f64 v[144:145], v[32:33], 1
	v_add_f64 v[32:33], v[32:33], -v[131:132]
	v_mul_f64 v[34:35], v[146:147], v[34:35]
	v_cvt_f64_i32_e32 v[146:147], v166
	s_delay_alu instid0(VALU_DEP_3) | instskip(NEXT) | instid1(VALU_DEP_3)
	v_add_f64 v[8:9], v[8:9], -v[32:33]
	v_add_f64 v[131:132], v[144:145], v[34:35]
	s_delay_alu instid0(VALU_DEP_3) | instskip(NEXT) | instid1(VALU_DEP_3)
	v_mul_f64 v[148:149], v[146:147], s[16:17]
	v_ldexp_f64 v[8:9], v[8:9], 1
	s_delay_alu instid0(VALU_DEP_3) | instskip(NEXT) | instid1(VALU_DEP_3)
	v_add_f64 v[32:33], v[131:132], -v[144:145]
	v_fma_f64 v[144:145], v[146:147], s[16:17], -v[148:149]
	s_delay_alu instid0(VALU_DEP_2) | instskip(NEXT) | instid1(VALU_DEP_2)
	v_add_f64 v[32:33], v[34:35], -v[32:33]
	v_fma_f64 v[34:35], v[146:147], s[20:21], v[144:145]
	s_delay_alu instid0(VALU_DEP_2) | instskip(NEXT) | instid1(VALU_DEP_2)
	v_add_f64 v[8:9], v[8:9], v[32:33]
	v_add_f64 v[32:33], v[148:149], v[34:35]
	s_delay_alu instid0(VALU_DEP_2) | instskip(NEXT) | instid1(VALU_DEP_2)
	v_add_f64 v[144:145], v[131:132], v[8:9]
	v_add_f64 v[148:149], v[32:33], -v[148:149]
	s_delay_alu instid0(VALU_DEP_2) | instskip(SKIP_1) | instid1(VALU_DEP_3)
	v_add_f64 v[146:147], v[32:33], v[144:145]
	v_add_f64 v[131:132], v[144:145], -v[131:132]
	v_add_f64 v[34:35], v[34:35], -v[148:149]
	s_delay_alu instid0(VALU_DEP_3) | instskip(NEXT) | instid1(VALU_DEP_3)
	v_add_f64 v[150:151], v[146:147], -v[32:33]
	v_add_f64 v[8:9], v[8:9], -v[131:132]
	s_delay_alu instid0(VALU_DEP_2) | instskip(SKIP_1) | instid1(VALU_DEP_3)
	v_add_f64 v[160:161], v[146:147], -v[150:151]
	v_add_f64 v[131:132], v[144:145], -v[150:151]
	v_add_f64 v[144:145], v[34:35], v[8:9]
	s_delay_alu instid0(VALU_DEP_3) | instskip(NEXT) | instid1(VALU_DEP_1)
	v_add_f64 v[32:33], v[32:33], -v[160:161]
	v_add_f64 v[32:33], v[131:132], v[32:33]
	s_delay_alu instid0(VALU_DEP_3) | instskip(NEXT) | instid1(VALU_DEP_2)
	v_add_f64 v[131:132], v[144:145], -v[34:35]
	v_add_f64 v[32:33], v[144:145], v[32:33]
	s_delay_alu instid0(VALU_DEP_2) | instskip(SKIP_1) | instid1(VALU_DEP_3)
	v_add_f64 v[144:145], v[144:145], -v[131:132]
	v_add_f64 v[8:9], v[8:9], -v[131:132]
	v_add_f64 v[148:149], v[146:147], v[32:33]
	s_delay_alu instid0(VALU_DEP_3) | instskip(NEXT) | instid1(VALU_DEP_2)
	v_add_f64 v[34:35], v[34:35], -v[144:145]
	v_add_f64 v[131:132], v[148:149], -v[146:147]
	s_delay_alu instid0(VALU_DEP_2) | instskip(NEXT) | instid1(VALU_DEP_2)
	v_add_f64 v[8:9], v[8:9], v[34:35]
	v_add_f64 v[32:33], v[32:33], -v[131:132]
	s_delay_alu instid0(VALU_DEP_1) | instskip(NEXT) | instid1(VALU_DEP_1)
	v_add_f64 v[8:9], v[8:9], v[32:33]
	v_add_f64 v[8:9], v[148:149], v[8:9]
	s_delay_alu instid0(VALU_DEP_1) | instskip(SKIP_1) | instid1(VALU_DEP_2)
	v_dual_cndmask_b32 v9, v9, v5 :: v_dual_cndmask_b32 v8, v8, v4
	v_cmp_ngt_f64_e32 vcc_lo, -1.0, v[4:5]
	v_cndmask_b32_e32 v9, 0x7ff80000, v9, vcc_lo
	v_cmp_nge_f64_e32 vcc_lo, -1.0, v[4:5]
	s_delay_alu instid0(VALU_DEP_4) | instskip(SKIP_1) | instid1(VALU_DEP_4)
	v_cndmask_b32_e32 v8, 0, v8, vcc_lo
	v_cmp_neq_f64_e32 vcc_lo, -1.0, v[4:5]
	v_cndmask_b32_e32 v9, 0xfff00000, v9, vcc_lo
	s_delay_alu instid0(VALU_DEP_1)
	v_add_f64 v[4:5], v[6:7], v[8:9]
.LBB36_48:
	s_or_b32 exec_lo, exec_lo, s19
	v_max_f64 v[32:33], v[70:71], v[70:71]
	s_delay_alu instid0(VALU_DEP_2) | instskip(SKIP_2) | instid1(VALU_DEP_3)
	v_max_f64 v[6:7], v[4:5], v[4:5]
	v_cmp_u_f64_e32 vcc_lo, v[4:5], v[4:5]
	v_cmp_u_f64_e64 s15, v[70:71], v[70:71]
	v_min_f64 v[8:9], v[6:7], v[32:33]
	v_max_f64 v[6:7], v[6:7], v[32:33]
	s_delay_alu instid0(VALU_DEP_2) | instskip(NEXT) | instid1(VALU_DEP_2)
	v_dual_cndmask_b32 v8, v8, v4 :: v_dual_cndmask_b32 v9, v9, v5
	v_dual_cndmask_b32 v7, v7, v5 :: v_dual_cndmask_b32 v6, v6, v4
	s_delay_alu instid0(VALU_DEP_2) | instskip(NEXT) | instid1(VALU_DEP_3)
	v_cndmask_b32_e64 v8, v8, v70, s15
	v_cndmask_b32_e64 v9, v9, v71, s15
	s_delay_alu instid0(VALU_DEP_3) | instskip(NEXT) | instid1(VALU_DEP_4)
	v_cndmask_b32_e64 v7, v7, v71, s15
	v_cndmask_b32_e64 v6, v6, v70, s15
	s_delay_alu instid0(VALU_DEP_3) | instskip(NEXT) | instid1(VALU_DEP_2)
	v_cmp_class_f64_e64 s16, v[8:9], 0x1f8
	v_cmp_neq_f64_e32 vcc_lo, v[8:9], v[6:7]
	s_delay_alu instid0(VALU_DEP_2) | instskip(NEXT) | instid1(SALU_CYCLE_1)
	s_or_b32 s16, vcc_lo, s16
	s_and_saveexec_b32 s19, s16
	s_cbranch_execz .LBB36_50
; %bb.49:
	v_add_f64 v[4:5], v[8:9], -v[6:7]
	s_mov_b32 s16, 0x652b82fe
	s_mov_b32 s17, 0x3ff71547
	;; [unrolled: 1-line block ×10, first 2 shown]
	s_delay_alu instid0(VALU_DEP_1) | instskip(SKIP_3) | instid1(VALU_DEP_2)
	v_mul_f64 v[8:9], v[4:5], s[16:17]
	s_mov_b32 s16, 0xfca7ab0c
	s_mov_b32 s17, 0x3e928af3
	v_cmp_nlt_f64_e32 vcc_lo, 0x40900000, v[4:5]
	v_rndne_f64_e32 v[8:9], v[8:9]
	s_delay_alu instid0(VALU_DEP_1) | instskip(SKIP_2) | instid1(VALU_DEP_2)
	v_fma_f64 v[34:35], v[8:9], s[20:21], v[4:5]
	v_cvt_i32_f64_e32 v144, v[8:9]
	s_mov_b32 s21, 0x3fe62e42
	v_fma_f64 v[34:35], v[8:9], s[22:23], v[34:35]
	s_mov_b32 s23, 0x3c7abc9e
	s_delay_alu instid0(VALU_DEP_1) | instskip(SKIP_4) | instid1(VALU_DEP_1)
	v_fma_f64 v[131:132], v[34:35], s[24:25], s[16:17]
	s_mov_b32 s16, 0x623fde64
	s_mov_b32 s17, 0x3ec71dee
	;; [unrolled: 1-line block ×4, first 2 shown]
	v_fma_f64 v[131:132], v[34:35], v[131:132], s[16:17]
	s_mov_b32 s16, 0x7c89e6b0
	s_mov_b32 s17, 0x3efa0199
	s_delay_alu instid0(VALU_DEP_1) | instid1(SALU_CYCLE_1)
	v_fma_f64 v[131:132], v[34:35], v[131:132], s[16:17]
	s_mov_b32 s16, 0x14761f6e
	s_mov_b32 s17, 0x3f2a01a0
	s_delay_alu instid0(VALU_DEP_1) | instid1(SALU_CYCLE_1)
	;; [unrolled: 4-line block ×7, first 2 shown]
	v_fma_f64 v[131:132], v[34:35], v[131:132], s[16:17]
	v_cmp_ngt_f64_e64 s16, 0xc090cc00, v[4:5]
	s_mov_b32 s17, 0x3fe55555
	s_delay_alu instid0(VALU_DEP_2) | instskip(NEXT) | instid1(VALU_DEP_1)
	v_fma_f64 v[131:132], v[34:35], v[131:132], 1.0
	v_fma_f64 v[8:9], v[34:35], v[131:132], 1.0
	s_delay_alu instid0(VALU_DEP_1) | instskip(NEXT) | instid1(VALU_DEP_1)
	v_ldexp_f64 v[8:9], v[8:9], v144
	v_cndmask_b32_e32 v9, 0x7ff00000, v9, vcc_lo
	s_and_b32 vcc_lo, s16, vcc_lo
	s_delay_alu instid0(VALU_DEP_1) | instskip(NEXT) | instid1(VALU_DEP_3)
	v_cndmask_b32_e64 v5, 0, v9, s16
	v_cndmask_b32_e32 v4, 0, v8, vcc_lo
	s_mov_b32 s16, 0x55555555
	s_delay_alu instid0(VALU_DEP_1) | instskip(NEXT) | instid1(VALU_DEP_1)
	v_add_f64 v[8:9], v[4:5], 1.0
	v_frexp_mant_f64_e32 v[34:35], v[8:9]
	v_frexp_exp_i32_f64_e32 v144, v[8:9]
	v_add_f64 v[131:132], v[8:9], -1.0
	s_delay_alu instid0(VALU_DEP_3) | instskip(SKIP_1) | instid1(VALU_DEP_2)
	v_cmp_gt_f64_e32 vcc_lo, s[16:17], v[34:35]
	s_mov_b32 s16, 0x55555780
	v_add_f64 v[34:35], v[131:132], -v[8:9]
	v_add_f64 v[131:132], v[4:5], -v[131:132]
	v_subrev_co_ci_u32_e32 v176, vcc_lo, 0, v144, vcc_lo
	s_delay_alu instid0(VALU_DEP_3) | instskip(SKIP_1) | instid1(VALU_DEP_3)
	v_add_f64 v[34:35], v[34:35], 1.0
	v_cmp_eq_f64_e32 vcc_lo, 0x7ff00000, v[4:5]
	v_sub_nc_u32_e32 v146, 0, v176
	s_delay_alu instid0(VALU_DEP_1) | instskip(NEXT) | instid1(VALU_DEP_4)
	v_ldexp_f64 v[8:9], v[8:9], v146
	v_add_f64 v[34:35], v[131:132], v[34:35]
	s_delay_alu instid0(VALU_DEP_2) | instskip(SKIP_1) | instid1(VALU_DEP_3)
	v_add_f64 v[144:145], v[8:9], 1.0
	v_add_f64 v[150:151], v[8:9], -1.0
	v_ldexp_f64 v[34:35], v[34:35], v146
	s_delay_alu instid0(VALU_DEP_3) | instskip(NEXT) | instid1(VALU_DEP_3)
	v_add_f64 v[131:132], v[144:145], -1.0
	v_add_f64 v[160:161], v[150:151], 1.0
	s_delay_alu instid0(VALU_DEP_2) | instskip(NEXT) | instid1(VALU_DEP_2)
	v_add_f64 v[131:132], v[8:9], -v[131:132]
	v_add_f64 v[8:9], v[8:9], -v[160:161]
	s_delay_alu instid0(VALU_DEP_2) | instskip(NEXT) | instid1(VALU_DEP_2)
	v_add_f64 v[131:132], v[34:35], v[131:132]
	v_add_f64 v[8:9], v[34:35], v[8:9]
	s_delay_alu instid0(VALU_DEP_2) | instskip(NEXT) | instid1(VALU_DEP_2)
	v_add_f64 v[146:147], v[144:145], v[131:132]
	v_add_f64 v[160:161], v[150:151], v[8:9]
	s_delay_alu instid0(VALU_DEP_2) | instskip(SKIP_1) | instid1(VALU_DEP_2)
	v_rcp_f64_e32 v[148:149], v[146:147]
	v_add_f64 v[144:145], v[146:147], -v[144:145]
	v_add_f64 v[150:151], v[160:161], -v[150:151]
	s_delay_alu instid0(VALU_DEP_2) | instskip(SKIP_3) | instid1(VALU_DEP_2)
	v_add_f64 v[131:132], v[131:132], -v[144:145]
	s_waitcnt_depctr 0xfff
	v_fma_f64 v[162:163], -v[146:147], v[148:149], 1.0
	v_add_f64 v[8:9], v[8:9], -v[150:151]
	v_fma_f64 v[148:149], v[162:163], v[148:149], v[148:149]
	s_delay_alu instid0(VALU_DEP_1) | instskip(NEXT) | instid1(VALU_DEP_1)
	v_fma_f64 v[34:35], -v[146:147], v[148:149], 1.0
	v_fma_f64 v[34:35], v[34:35], v[148:149], v[148:149]
	s_delay_alu instid0(VALU_DEP_1) | instskip(NEXT) | instid1(VALU_DEP_1)
	v_mul_f64 v[148:149], v[160:161], v[34:35]
	v_mul_f64 v[162:163], v[146:147], v[148:149]
	s_delay_alu instid0(VALU_DEP_1) | instskip(NEXT) | instid1(VALU_DEP_1)
	v_fma_f64 v[144:145], v[148:149], v[146:147], -v[162:163]
	v_fma_f64 v[144:145], v[148:149], v[131:132], v[144:145]
	s_delay_alu instid0(VALU_DEP_1) | instskip(NEXT) | instid1(VALU_DEP_1)
	v_add_f64 v[164:165], v[162:163], v[144:145]
	v_add_f64 v[166:167], v[160:161], -v[164:165]
	v_add_f64 v[150:151], v[164:165], -v[162:163]
	s_delay_alu instid0(VALU_DEP_2) | instskip(NEXT) | instid1(VALU_DEP_2)
	v_add_f64 v[160:161], v[160:161], -v[166:167]
	v_add_f64 v[144:145], v[150:151], -v[144:145]
	s_delay_alu instid0(VALU_DEP_2) | instskip(NEXT) | instid1(VALU_DEP_1)
	v_add_f64 v[160:161], v[160:161], -v[164:165]
	v_add_f64 v[8:9], v[8:9], v[160:161]
	s_delay_alu instid0(VALU_DEP_1) | instskip(NEXT) | instid1(VALU_DEP_1)
	v_add_f64 v[8:9], v[144:145], v[8:9]
	v_add_f64 v[144:145], v[166:167], v[8:9]
	s_delay_alu instid0(VALU_DEP_1) | instskip(SKIP_1) | instid1(VALU_DEP_2)
	v_mul_f64 v[150:151], v[34:35], v[144:145]
	v_add_f64 v[164:165], v[166:167], -v[144:145]
	v_mul_f64 v[160:161], v[146:147], v[150:151]
	s_delay_alu instid0(VALU_DEP_2) | instskip(NEXT) | instid1(VALU_DEP_2)
	v_add_f64 v[8:9], v[8:9], v[164:165]
	v_fma_f64 v[146:147], v[150:151], v[146:147], -v[160:161]
	s_delay_alu instid0(VALU_DEP_1) | instskip(NEXT) | instid1(VALU_DEP_1)
	v_fma_f64 v[131:132], v[150:151], v[131:132], v[146:147]
	v_add_f64 v[146:147], v[160:161], v[131:132]
	s_delay_alu instid0(VALU_DEP_1) | instskip(SKIP_1) | instid1(VALU_DEP_2)
	v_add_f64 v[162:163], v[144:145], -v[146:147]
	v_add_f64 v[160:161], v[146:147], -v[160:161]
	;; [unrolled: 1-line block ×3, first 2 shown]
	s_delay_alu instid0(VALU_DEP_2) | instskip(NEXT) | instid1(VALU_DEP_2)
	v_add_f64 v[131:132], v[160:161], -v[131:132]
	v_add_f64 v[144:145], v[144:145], -v[146:147]
	s_delay_alu instid0(VALU_DEP_1) | instskip(SKIP_1) | instid1(VALU_DEP_2)
	v_add_f64 v[8:9], v[8:9], v[144:145]
	v_add_f64 v[144:145], v[148:149], v[150:151]
	;; [unrolled: 1-line block ×3, first 2 shown]
	s_delay_alu instid0(VALU_DEP_2) | instskip(NEXT) | instid1(VALU_DEP_2)
	v_add_f64 v[131:132], v[144:145], -v[148:149]
	v_add_f64 v[8:9], v[162:163], v[8:9]
	s_delay_alu instid0(VALU_DEP_2) | instskip(NEXT) | instid1(VALU_DEP_2)
	v_add_f64 v[131:132], v[150:151], -v[131:132]
	v_mul_f64 v[8:9], v[34:35], v[8:9]
	s_delay_alu instid0(VALU_DEP_1) | instskip(NEXT) | instid1(VALU_DEP_1)
	v_add_f64 v[8:9], v[131:132], v[8:9]
	v_add_f64 v[34:35], v[144:145], v[8:9]
	s_delay_alu instid0(VALU_DEP_1) | instskip(NEXT) | instid1(VALU_DEP_1)
	v_mul_f64 v[131:132], v[34:35], v[34:35]
	v_fma_f64 v[146:147], v[131:132], s[26:27], s[24:25]
	s_mov_b32 s24, 0xd7f4df2e
	s_mov_b32 s25, 0x3fc7474d
	v_mul_f64 v[148:149], v[34:35], v[131:132]
	s_delay_alu instid0(VALU_DEP_2)
	v_fma_f64 v[146:147], v[131:132], v[146:147], s[24:25]
	s_mov_b32 s24, 0x16291751
	s_mov_b32 s25, 0x3fcc71c0
	s_delay_alu instid0(VALU_DEP_1) | instid1(SALU_CYCLE_1)
	v_fma_f64 v[146:147], v[131:132], v[146:147], s[24:25]
	s_mov_b32 s24, 0x9b27acf1
	s_mov_b32 s25, 0x3fd24924
	s_delay_alu instid0(VALU_DEP_1) | instid1(SALU_CYCLE_1)
	;; [unrolled: 4-line block ×3, first 2 shown]
	v_fma_f64 v[146:147], v[131:132], v[146:147], s[24:25]
	s_delay_alu instid0(VALU_DEP_1) | instskip(SKIP_2) | instid1(VALU_DEP_3)
	v_fma_f64 v[131:132], v[131:132], v[146:147], s[16:17]
	v_ldexp_f64 v[146:147], v[34:35], 1
	v_add_f64 v[34:35], v[34:35], -v[144:145]
	v_mul_f64 v[131:132], v[148:149], v[131:132]
	v_cvt_f64_i32_e32 v[148:149], v176
	s_delay_alu instid0(VALU_DEP_3) | instskip(NEXT) | instid1(VALU_DEP_3)
	v_add_f64 v[8:9], v[8:9], -v[34:35]
	v_add_f64 v[144:145], v[146:147], v[131:132]
	s_delay_alu instid0(VALU_DEP_3) | instskip(NEXT) | instid1(VALU_DEP_3)
	v_mul_f64 v[150:151], v[148:149], s[20:21]
	v_ldexp_f64 v[8:9], v[8:9], 1
	s_delay_alu instid0(VALU_DEP_3) | instskip(NEXT) | instid1(VALU_DEP_3)
	v_add_f64 v[34:35], v[144:145], -v[146:147]
	v_fma_f64 v[146:147], v[148:149], s[20:21], -v[150:151]
	s_delay_alu instid0(VALU_DEP_2) | instskip(NEXT) | instid1(VALU_DEP_2)
	v_add_f64 v[34:35], v[131:132], -v[34:35]
	v_fma_f64 v[131:132], v[148:149], s[22:23], v[146:147]
	s_delay_alu instid0(VALU_DEP_2) | instskip(NEXT) | instid1(VALU_DEP_2)
	v_add_f64 v[8:9], v[8:9], v[34:35]
	v_add_f64 v[34:35], v[150:151], v[131:132]
	s_delay_alu instid0(VALU_DEP_2) | instskip(NEXT) | instid1(VALU_DEP_2)
	v_add_f64 v[146:147], v[144:145], v[8:9]
	v_add_f64 v[150:151], v[34:35], -v[150:151]
	s_delay_alu instid0(VALU_DEP_2) | instskip(SKIP_1) | instid1(VALU_DEP_3)
	v_add_f64 v[148:149], v[34:35], v[146:147]
	v_add_f64 v[144:145], v[146:147], -v[144:145]
	v_add_f64 v[131:132], v[131:132], -v[150:151]
	s_delay_alu instid0(VALU_DEP_3) | instskip(NEXT) | instid1(VALU_DEP_3)
	v_add_f64 v[160:161], v[148:149], -v[34:35]
	v_add_f64 v[8:9], v[8:9], -v[144:145]
	s_delay_alu instid0(VALU_DEP_2) | instskip(SKIP_1) | instid1(VALU_DEP_3)
	v_add_f64 v[162:163], v[148:149], -v[160:161]
	v_add_f64 v[144:145], v[146:147], -v[160:161]
	v_add_f64 v[146:147], v[131:132], v[8:9]
	s_delay_alu instid0(VALU_DEP_3) | instskip(NEXT) | instid1(VALU_DEP_1)
	v_add_f64 v[34:35], v[34:35], -v[162:163]
	v_add_f64 v[34:35], v[144:145], v[34:35]
	s_delay_alu instid0(VALU_DEP_3) | instskip(NEXT) | instid1(VALU_DEP_2)
	v_add_f64 v[144:145], v[146:147], -v[131:132]
	v_add_f64 v[34:35], v[146:147], v[34:35]
	s_delay_alu instid0(VALU_DEP_2) | instskip(SKIP_1) | instid1(VALU_DEP_3)
	v_add_f64 v[146:147], v[146:147], -v[144:145]
	v_add_f64 v[8:9], v[8:9], -v[144:145]
	v_add_f64 v[150:151], v[148:149], v[34:35]
	s_delay_alu instid0(VALU_DEP_3) | instskip(NEXT) | instid1(VALU_DEP_2)
	v_add_f64 v[131:132], v[131:132], -v[146:147]
	v_add_f64 v[144:145], v[150:151], -v[148:149]
	s_delay_alu instid0(VALU_DEP_2) | instskip(NEXT) | instid1(VALU_DEP_2)
	v_add_f64 v[8:9], v[8:9], v[131:132]
	v_add_f64 v[34:35], v[34:35], -v[144:145]
	s_delay_alu instid0(VALU_DEP_1) | instskip(NEXT) | instid1(VALU_DEP_1)
	v_add_f64 v[8:9], v[8:9], v[34:35]
	v_add_f64 v[8:9], v[150:151], v[8:9]
	s_delay_alu instid0(VALU_DEP_1) | instskip(SKIP_1) | instid1(VALU_DEP_2)
	v_dual_cndmask_b32 v9, v9, v5 :: v_dual_cndmask_b32 v8, v8, v4
	v_cmp_ngt_f64_e32 vcc_lo, -1.0, v[4:5]
	v_cndmask_b32_e32 v9, 0x7ff80000, v9, vcc_lo
	v_cmp_nge_f64_e32 vcc_lo, -1.0, v[4:5]
	s_delay_alu instid0(VALU_DEP_4) | instskip(SKIP_1) | instid1(VALU_DEP_4)
	v_cndmask_b32_e32 v8, 0, v8, vcc_lo
	v_cmp_neq_f64_e32 vcc_lo, -1.0, v[4:5]
	v_cndmask_b32_e32 v9, 0xfff00000, v9, vcc_lo
	s_delay_alu instid0(VALU_DEP_1)
	v_add_f64 v[4:5], v[6:7], v[8:9]
.LBB36_50:
	s_or_b32 exec_lo, exec_lo, s19
	v_max_f64 v[34:35], v[64:65], v[64:65]
	s_delay_alu instid0(VALU_DEP_2) | instskip(SKIP_2) | instid1(VALU_DEP_3)
	v_max_f64 v[6:7], v[4:5], v[4:5]
	v_cmp_u_f64_e32 vcc_lo, v[4:5], v[4:5]
	v_cmp_u_f64_e64 s16, v[64:65], v[64:65]
	v_min_f64 v[8:9], v[6:7], v[34:35]
	v_max_f64 v[6:7], v[6:7], v[34:35]
	s_delay_alu instid0(VALU_DEP_2) | instskip(NEXT) | instid1(VALU_DEP_2)
	v_dual_cndmask_b32 v8, v8, v4 :: v_dual_cndmask_b32 v9, v9, v5
	v_dual_cndmask_b32 v7, v7, v5 :: v_dual_cndmask_b32 v6, v6, v4
	s_delay_alu instid0(VALU_DEP_2) | instskip(NEXT) | instid1(VALU_DEP_3)
	v_cndmask_b32_e64 v8, v8, v64, s16
	v_cndmask_b32_e64 v9, v9, v65, s16
	s_delay_alu instid0(VALU_DEP_3) | instskip(NEXT) | instid1(VALU_DEP_4)
	v_cndmask_b32_e64 v7, v7, v65, s16
	v_cndmask_b32_e64 v6, v6, v64, s16
	s_delay_alu instid0(VALU_DEP_3) | instskip(NEXT) | instid1(VALU_DEP_2)
	v_cmp_class_f64_e64 s17, v[8:9], 0x1f8
	v_cmp_neq_f64_e32 vcc_lo, v[8:9], v[6:7]
	s_delay_alu instid0(VALU_DEP_2) | instskip(NEXT) | instid1(SALU_CYCLE_1)
	s_or_b32 s17, vcc_lo, s17
	s_and_saveexec_b32 s19, s17
	s_cbranch_execz .LBB36_52
; %bb.51:
	v_add_f64 v[4:5], v[8:9], -v[6:7]
	s_mov_b32 s20, 0x652b82fe
	s_mov_b32 s21, 0x3ff71547
	;; [unrolled: 1-line block ×10, first 2 shown]
	s_delay_alu instid0(VALU_DEP_1) | instskip(SKIP_4) | instid1(VALU_DEP_3)
	v_mul_f64 v[8:9], v[4:5], s[20:21]
	s_mov_b32 s21, 0xbfe62e42
	s_mov_b32 s20, 0xfefa39ef
	v_cmp_nlt_f64_e32 vcc_lo, 0x40900000, v[4:5]
	v_cmp_ngt_f64_e64 s17, 0xc090cc00, v[4:5]
	v_rndne_f64_e32 v[8:9], v[8:9]
	s_delay_alu instid0(VALU_DEP_1) | instskip(SKIP_2) | instid1(VALU_DEP_2)
	v_fma_f64 v[131:132], v[8:9], s[20:21], v[4:5]
	v_cvt_i32_f64_e32 v146, v[8:9]
	s_mov_b32 s21, 0x3fe62e42
	v_fma_f64 v[131:132], v[8:9], s[22:23], v[131:132]
	s_mov_b32 s23, 0x3c7abc9e
	s_delay_alu instid0(VALU_DEP_1) | instskip(SKIP_4) | instid1(VALU_DEP_1)
	v_fma_f64 v[144:145], v[131:132], s[26:27], s[24:25]
	s_mov_b32 s24, 0x623fde64
	s_mov_b32 s25, 0x3ec71dee
	;; [unrolled: 1-line block ×4, first 2 shown]
	v_fma_f64 v[144:145], v[131:132], v[144:145], s[24:25]
	s_mov_b32 s24, 0x7c89e6b0
	s_mov_b32 s25, 0x3efa0199
	s_delay_alu instid0(VALU_DEP_1) | instid1(SALU_CYCLE_1)
	v_fma_f64 v[144:145], v[131:132], v[144:145], s[24:25]
	s_mov_b32 s24, 0x14761f6e
	s_mov_b32 s25, 0x3f2a01a0
	s_delay_alu instid0(VALU_DEP_1) | instid1(SALU_CYCLE_1)
	;; [unrolled: 4-line block ×7, first 2 shown]
	v_fma_f64 v[144:145], v[131:132], v[144:145], s[24:25]
	s_mov_b32 s25, 0x3fe55555
	s_mov_b32 s24, 0x55555555
	s_delay_alu instid0(VALU_DEP_1) | instskip(NEXT) | instid1(VALU_DEP_1)
	v_fma_f64 v[144:145], v[131:132], v[144:145], 1.0
	v_fma_f64 v[8:9], v[131:132], v[144:145], 1.0
	s_delay_alu instid0(VALU_DEP_1) | instskip(NEXT) | instid1(VALU_DEP_1)
	v_ldexp_f64 v[8:9], v[8:9], v146
	v_cndmask_b32_e32 v9, 0x7ff00000, v9, vcc_lo
	s_and_b32 vcc_lo, s17, vcc_lo
	s_delay_alu instid0(VALU_DEP_1) | instskip(NEXT) | instid1(VALU_DEP_3)
	v_cndmask_b32_e64 v5, 0, v9, s17
	v_cndmask_b32_e32 v4, 0, v8, vcc_lo
	s_delay_alu instid0(VALU_DEP_1) | instskip(NEXT) | instid1(VALU_DEP_1)
	v_add_f64 v[8:9], v[4:5], 1.0
	v_frexp_mant_f64_e32 v[131:132], v[8:9]
	v_frexp_exp_i32_f64_e32 v146, v[8:9]
	v_add_f64 v[144:145], v[8:9], -1.0
	s_delay_alu instid0(VALU_DEP_3) | instskip(SKIP_1) | instid1(VALU_DEP_2)
	v_cmp_gt_f64_e32 vcc_lo, s[24:25], v[131:132]
	s_mov_b32 s24, 0x55555780
	v_add_f64 v[131:132], v[144:145], -v[8:9]
	v_add_f64 v[144:145], v[4:5], -v[144:145]
	v_subrev_co_ci_u32_e32 v212, vcc_lo, 0, v146, vcc_lo
	s_delay_alu instid0(VALU_DEP_3) | instskip(SKIP_1) | instid1(VALU_DEP_3)
	v_add_f64 v[131:132], v[131:132], 1.0
	v_cmp_eq_f64_e32 vcc_lo, 0x7ff00000, v[4:5]
	v_sub_nc_u32_e32 v148, 0, v212
	s_delay_alu instid0(VALU_DEP_1) | instskip(NEXT) | instid1(VALU_DEP_4)
	v_ldexp_f64 v[8:9], v[8:9], v148
	v_add_f64 v[131:132], v[144:145], v[131:132]
	s_delay_alu instid0(VALU_DEP_2) | instskip(SKIP_1) | instid1(VALU_DEP_3)
	v_add_f64 v[146:147], v[8:9], 1.0
	v_add_f64 v[160:161], v[8:9], -1.0
	v_ldexp_f64 v[131:132], v[131:132], v148
	s_delay_alu instid0(VALU_DEP_3) | instskip(NEXT) | instid1(VALU_DEP_3)
	v_add_f64 v[144:145], v[146:147], -1.0
	v_add_f64 v[162:163], v[160:161], 1.0
	s_delay_alu instid0(VALU_DEP_2) | instskip(NEXT) | instid1(VALU_DEP_2)
	v_add_f64 v[144:145], v[8:9], -v[144:145]
	v_add_f64 v[8:9], v[8:9], -v[162:163]
	s_delay_alu instid0(VALU_DEP_2) | instskip(NEXT) | instid1(VALU_DEP_2)
	v_add_f64 v[144:145], v[131:132], v[144:145]
	v_add_f64 v[8:9], v[131:132], v[8:9]
	s_delay_alu instid0(VALU_DEP_2) | instskip(NEXT) | instid1(VALU_DEP_2)
	v_add_f64 v[148:149], v[146:147], v[144:145]
	v_add_f64 v[162:163], v[160:161], v[8:9]
	s_delay_alu instid0(VALU_DEP_2) | instskip(SKIP_1) | instid1(VALU_DEP_2)
	v_rcp_f64_e32 v[150:151], v[148:149]
	v_add_f64 v[146:147], v[148:149], -v[146:147]
	v_add_f64 v[160:161], v[162:163], -v[160:161]
	s_delay_alu instid0(VALU_DEP_2) | instskip(SKIP_3) | instid1(VALU_DEP_2)
	v_add_f64 v[144:145], v[144:145], -v[146:147]
	s_waitcnt_depctr 0xfff
	v_fma_f64 v[164:165], -v[148:149], v[150:151], 1.0
	v_add_f64 v[8:9], v[8:9], -v[160:161]
	v_fma_f64 v[150:151], v[164:165], v[150:151], v[150:151]
	s_delay_alu instid0(VALU_DEP_1) | instskip(NEXT) | instid1(VALU_DEP_1)
	v_fma_f64 v[131:132], -v[148:149], v[150:151], 1.0
	v_fma_f64 v[131:132], v[131:132], v[150:151], v[150:151]
	s_delay_alu instid0(VALU_DEP_1) | instskip(NEXT) | instid1(VALU_DEP_1)
	v_mul_f64 v[150:151], v[162:163], v[131:132]
	v_mul_f64 v[164:165], v[148:149], v[150:151]
	s_delay_alu instid0(VALU_DEP_1) | instskip(NEXT) | instid1(VALU_DEP_1)
	v_fma_f64 v[146:147], v[150:151], v[148:149], -v[164:165]
	v_fma_f64 v[146:147], v[150:151], v[144:145], v[146:147]
	s_delay_alu instid0(VALU_DEP_1) | instskip(NEXT) | instid1(VALU_DEP_1)
	v_add_f64 v[166:167], v[164:165], v[146:147]
	v_add_f64 v[176:177], v[162:163], -v[166:167]
	v_add_f64 v[160:161], v[166:167], -v[164:165]
	s_delay_alu instid0(VALU_DEP_2) | instskip(NEXT) | instid1(VALU_DEP_2)
	v_add_f64 v[162:163], v[162:163], -v[176:177]
	v_add_f64 v[146:147], v[160:161], -v[146:147]
	s_delay_alu instid0(VALU_DEP_2) | instskip(NEXT) | instid1(VALU_DEP_1)
	v_add_f64 v[162:163], v[162:163], -v[166:167]
	v_add_f64 v[8:9], v[8:9], v[162:163]
	s_delay_alu instid0(VALU_DEP_1) | instskip(NEXT) | instid1(VALU_DEP_1)
	v_add_f64 v[8:9], v[146:147], v[8:9]
	v_add_f64 v[146:147], v[176:177], v[8:9]
	s_delay_alu instid0(VALU_DEP_1) | instskip(SKIP_1) | instid1(VALU_DEP_2)
	v_mul_f64 v[160:161], v[131:132], v[146:147]
	v_add_f64 v[166:167], v[176:177], -v[146:147]
	v_mul_f64 v[162:163], v[148:149], v[160:161]
	s_delay_alu instid0(VALU_DEP_2) | instskip(NEXT) | instid1(VALU_DEP_2)
	v_add_f64 v[8:9], v[8:9], v[166:167]
	v_fma_f64 v[148:149], v[160:161], v[148:149], -v[162:163]
	s_delay_alu instid0(VALU_DEP_1) | instskip(NEXT) | instid1(VALU_DEP_1)
	v_fma_f64 v[144:145], v[160:161], v[144:145], v[148:149]
	v_add_f64 v[148:149], v[162:163], v[144:145]
	s_delay_alu instid0(VALU_DEP_1) | instskip(SKIP_1) | instid1(VALU_DEP_2)
	v_add_f64 v[164:165], v[146:147], -v[148:149]
	v_add_f64 v[162:163], v[148:149], -v[162:163]
	v_add_f64 v[146:147], v[146:147], -v[164:165]
	s_delay_alu instid0(VALU_DEP_2) | instskip(NEXT) | instid1(VALU_DEP_2)
	v_add_f64 v[144:145], v[162:163], -v[144:145]
	v_add_f64 v[146:147], v[146:147], -v[148:149]
	s_delay_alu instid0(VALU_DEP_1) | instskip(SKIP_1) | instid1(VALU_DEP_2)
	v_add_f64 v[8:9], v[8:9], v[146:147]
	v_add_f64 v[146:147], v[150:151], v[160:161]
	;; [unrolled: 1-line block ×3, first 2 shown]
	s_delay_alu instid0(VALU_DEP_2) | instskip(NEXT) | instid1(VALU_DEP_2)
	v_add_f64 v[144:145], v[146:147], -v[150:151]
	v_add_f64 v[8:9], v[164:165], v[8:9]
	s_delay_alu instid0(VALU_DEP_2) | instskip(NEXT) | instid1(VALU_DEP_2)
	v_add_f64 v[144:145], v[160:161], -v[144:145]
	v_mul_f64 v[8:9], v[131:132], v[8:9]
	s_delay_alu instid0(VALU_DEP_1) | instskip(NEXT) | instid1(VALU_DEP_1)
	v_add_f64 v[8:9], v[144:145], v[8:9]
	v_add_f64 v[131:132], v[146:147], v[8:9]
	s_delay_alu instid0(VALU_DEP_1) | instskip(NEXT) | instid1(VALU_DEP_1)
	v_mul_f64 v[144:145], v[131:132], v[131:132]
	v_fma_f64 v[148:149], v[144:145], s[28:29], s[26:27]
	s_mov_b32 s26, 0xd7f4df2e
	s_mov_b32 s27, 0x3fc7474d
	v_mul_f64 v[150:151], v[131:132], v[144:145]
	s_delay_alu instid0(VALU_DEP_2)
	v_fma_f64 v[148:149], v[144:145], v[148:149], s[26:27]
	s_mov_b32 s26, 0x16291751
	s_mov_b32 s27, 0x3fcc71c0
	s_delay_alu instid0(VALU_DEP_1) | instid1(SALU_CYCLE_1)
	v_fma_f64 v[148:149], v[144:145], v[148:149], s[26:27]
	s_mov_b32 s26, 0x9b27acf1
	s_mov_b32 s27, 0x3fd24924
	s_delay_alu instid0(VALU_DEP_1) | instid1(SALU_CYCLE_1)
	v_fma_f64 v[148:149], v[144:145], v[148:149], s[26:27]
	s_mov_b32 s26, 0x998ef7b6
	s_mov_b32 s27, 0x3fd99999
	s_delay_alu instid0(VALU_DEP_1) | instid1(SALU_CYCLE_1)
	v_fma_f64 v[148:149], v[144:145], v[148:149], s[26:27]
	s_delay_alu instid0(VALU_DEP_1) | instskip(SKIP_2) | instid1(VALU_DEP_3)
	v_fma_f64 v[144:145], v[144:145], v[148:149], s[24:25]
	v_ldexp_f64 v[148:149], v[131:132], 1
	v_add_f64 v[131:132], v[131:132], -v[146:147]
	v_mul_f64 v[144:145], v[150:151], v[144:145]
	v_cvt_f64_i32_e32 v[150:151], v212
	s_delay_alu instid0(VALU_DEP_3) | instskip(NEXT) | instid1(VALU_DEP_3)
	v_add_f64 v[8:9], v[8:9], -v[131:132]
	v_add_f64 v[146:147], v[148:149], v[144:145]
	s_delay_alu instid0(VALU_DEP_3) | instskip(NEXT) | instid1(VALU_DEP_3)
	v_mul_f64 v[160:161], v[150:151], s[20:21]
	v_ldexp_f64 v[8:9], v[8:9], 1
	s_delay_alu instid0(VALU_DEP_3) | instskip(NEXT) | instid1(VALU_DEP_3)
	v_add_f64 v[131:132], v[146:147], -v[148:149]
	v_fma_f64 v[148:149], v[150:151], s[20:21], -v[160:161]
	s_delay_alu instid0(VALU_DEP_2) | instskip(NEXT) | instid1(VALU_DEP_2)
	v_add_f64 v[131:132], v[144:145], -v[131:132]
	v_fma_f64 v[144:145], v[150:151], s[22:23], v[148:149]
	s_delay_alu instid0(VALU_DEP_2) | instskip(NEXT) | instid1(VALU_DEP_2)
	v_add_f64 v[8:9], v[8:9], v[131:132]
	v_add_f64 v[131:132], v[160:161], v[144:145]
	s_delay_alu instid0(VALU_DEP_2) | instskip(NEXT) | instid1(VALU_DEP_2)
	v_add_f64 v[148:149], v[146:147], v[8:9]
	v_add_f64 v[160:161], v[131:132], -v[160:161]
	s_delay_alu instid0(VALU_DEP_2) | instskip(SKIP_1) | instid1(VALU_DEP_3)
	v_add_f64 v[150:151], v[131:132], v[148:149]
	v_add_f64 v[146:147], v[148:149], -v[146:147]
	v_add_f64 v[144:145], v[144:145], -v[160:161]
	s_delay_alu instid0(VALU_DEP_3) | instskip(NEXT) | instid1(VALU_DEP_3)
	v_add_f64 v[162:163], v[150:151], -v[131:132]
	v_add_f64 v[8:9], v[8:9], -v[146:147]
	s_delay_alu instid0(VALU_DEP_2) | instskip(SKIP_1) | instid1(VALU_DEP_3)
	v_add_f64 v[164:165], v[150:151], -v[162:163]
	v_add_f64 v[146:147], v[148:149], -v[162:163]
	v_add_f64 v[148:149], v[144:145], v[8:9]
	s_delay_alu instid0(VALU_DEP_3) | instskip(NEXT) | instid1(VALU_DEP_1)
	v_add_f64 v[131:132], v[131:132], -v[164:165]
	v_add_f64 v[131:132], v[146:147], v[131:132]
	s_delay_alu instid0(VALU_DEP_3) | instskip(NEXT) | instid1(VALU_DEP_2)
	v_add_f64 v[146:147], v[148:149], -v[144:145]
	v_add_f64 v[131:132], v[148:149], v[131:132]
	s_delay_alu instid0(VALU_DEP_2) | instskip(SKIP_1) | instid1(VALU_DEP_3)
	v_add_f64 v[148:149], v[148:149], -v[146:147]
	v_add_f64 v[8:9], v[8:9], -v[146:147]
	v_add_f64 v[160:161], v[150:151], v[131:132]
	s_delay_alu instid0(VALU_DEP_3) | instskip(NEXT) | instid1(VALU_DEP_2)
	v_add_f64 v[144:145], v[144:145], -v[148:149]
	v_add_f64 v[146:147], v[160:161], -v[150:151]
	s_delay_alu instid0(VALU_DEP_2) | instskip(NEXT) | instid1(VALU_DEP_2)
	v_add_f64 v[8:9], v[8:9], v[144:145]
	v_add_f64 v[131:132], v[131:132], -v[146:147]
	s_delay_alu instid0(VALU_DEP_1) | instskip(NEXT) | instid1(VALU_DEP_1)
	v_add_f64 v[8:9], v[8:9], v[131:132]
	v_add_f64 v[8:9], v[160:161], v[8:9]
	s_delay_alu instid0(VALU_DEP_1) | instskip(SKIP_1) | instid1(VALU_DEP_2)
	v_dual_cndmask_b32 v9, v9, v5 :: v_dual_cndmask_b32 v8, v8, v4
	v_cmp_ngt_f64_e32 vcc_lo, -1.0, v[4:5]
	v_cndmask_b32_e32 v9, 0x7ff80000, v9, vcc_lo
	v_cmp_nge_f64_e32 vcc_lo, -1.0, v[4:5]
	s_delay_alu instid0(VALU_DEP_4) | instskip(SKIP_1) | instid1(VALU_DEP_4)
	v_cndmask_b32_e32 v8, 0, v8, vcc_lo
	v_cmp_neq_f64_e32 vcc_lo, -1.0, v[4:5]
	v_cndmask_b32_e32 v9, 0xfff00000, v9, vcc_lo
	s_delay_alu instid0(VALU_DEP_1)
	v_add_f64 v[4:5], v[6:7], v[8:9]
.LBB36_52:
	s_or_b32 exec_lo, exec_lo, s19
	v_max_f64 v[131:132], v[66:67], v[66:67]
	s_delay_alu instid0(VALU_DEP_2) | instskip(SKIP_2) | instid1(VALU_DEP_3)
	v_max_f64 v[6:7], v[4:5], v[4:5]
	v_cmp_u_f64_e32 vcc_lo, v[4:5], v[4:5]
	v_cmp_u_f64_e64 s17, v[66:67], v[66:67]
	v_min_f64 v[8:9], v[6:7], v[131:132]
	v_max_f64 v[6:7], v[6:7], v[131:132]
	s_delay_alu instid0(VALU_DEP_2) | instskip(NEXT) | instid1(VALU_DEP_2)
	v_dual_cndmask_b32 v8, v8, v4 :: v_dual_cndmask_b32 v9, v9, v5
	v_dual_cndmask_b32 v7, v7, v5 :: v_dual_cndmask_b32 v6, v6, v4
	s_delay_alu instid0(VALU_DEP_2) | instskip(NEXT) | instid1(VALU_DEP_3)
	v_cndmask_b32_e64 v8, v8, v66, s17
	v_cndmask_b32_e64 v9, v9, v67, s17
	s_delay_alu instid0(VALU_DEP_3) | instskip(NEXT) | instid1(VALU_DEP_4)
	v_cndmask_b32_e64 v7, v7, v67, s17
	v_cndmask_b32_e64 v6, v6, v66, s17
	s_delay_alu instid0(VALU_DEP_3) | instskip(NEXT) | instid1(VALU_DEP_2)
	v_cmp_class_f64_e64 s19, v[8:9], 0x1f8
	v_cmp_neq_f64_e32 vcc_lo, v[8:9], v[6:7]
	s_delay_alu instid0(VALU_DEP_2) | instskip(NEXT) | instid1(SALU_CYCLE_1)
	s_or_b32 s19, vcc_lo, s19
	s_and_saveexec_b32 s26, s19
	s_cbranch_execz .LBB36_54
; %bb.53:
	v_add_f64 v[4:5], v[8:9], -v[6:7]
	s_mov_b32 s20, 0x652b82fe
	s_mov_b32 s21, 0x3ff71547
	;; [unrolled: 1-line block ×8, first 2 shown]
	s_delay_alu instid0(VALU_DEP_1) | instskip(SKIP_4) | instid1(VALU_DEP_3)
	v_mul_f64 v[8:9], v[4:5], s[20:21]
	s_mov_b32 s21, 0xbfe62e42
	s_mov_b32 s20, 0xfefa39ef
	v_cmp_nlt_f64_e32 vcc_lo, 0x40900000, v[4:5]
	v_cmp_ngt_f64_e64 s19, 0xc090cc00, v[4:5]
	v_rndne_f64_e32 v[8:9], v[8:9]
	s_delay_alu instid0(VALU_DEP_1) | instskip(SKIP_2) | instid1(VALU_DEP_2)
	v_fma_f64 v[144:145], v[8:9], s[20:21], v[4:5]
	v_cvt_i32_f64_e32 v148, v[8:9]
	s_mov_b32 s21, 0x3fe62e42
	v_fma_f64 v[144:145], v[8:9], s[22:23], v[144:145]
	s_mov_b32 s23, 0x3c7abc9e
	s_delay_alu instid0(VALU_DEP_1) | instskip(SKIP_4) | instid1(VALU_DEP_1)
	v_fma_f64 v[146:147], v[144:145], s[28:29], s[24:25]
	s_mov_b32 s24, 0x623fde64
	s_mov_b32 s25, 0x3ec71dee
	;; [unrolled: 1-line block ×4, first 2 shown]
	v_fma_f64 v[146:147], v[144:145], v[146:147], s[24:25]
	s_mov_b32 s24, 0x7c89e6b0
	s_mov_b32 s25, 0x3efa0199
	s_delay_alu instid0(VALU_DEP_1) | instid1(SALU_CYCLE_1)
	v_fma_f64 v[146:147], v[144:145], v[146:147], s[24:25]
	s_mov_b32 s24, 0x14761f6e
	s_mov_b32 s25, 0x3f2a01a0
	s_delay_alu instid0(VALU_DEP_1) | instid1(SALU_CYCLE_1)
	;; [unrolled: 4-line block ×7, first 2 shown]
	v_fma_f64 v[146:147], v[144:145], v[146:147], s[24:25]
	s_mov_b32 s25, 0x3fe55555
	s_mov_b32 s24, 0x55555555
	s_delay_alu instid0(VALU_DEP_1) | instskip(NEXT) | instid1(VALU_DEP_1)
	v_fma_f64 v[146:147], v[144:145], v[146:147], 1.0
	v_fma_f64 v[8:9], v[144:145], v[146:147], 1.0
	s_delay_alu instid0(VALU_DEP_1) | instskip(NEXT) | instid1(VALU_DEP_1)
	v_ldexp_f64 v[8:9], v[8:9], v148
	v_cndmask_b32_e32 v9, 0x7ff00000, v9, vcc_lo
	s_and_b32 vcc_lo, s19, vcc_lo
	s_delay_alu instid0(VALU_DEP_1) | instskip(NEXT) | instid1(VALU_DEP_3)
	v_cndmask_b32_e64 v5, 0, v9, s19
	v_cndmask_b32_e32 v4, 0, v8, vcc_lo
	s_delay_alu instid0(VALU_DEP_1) | instskip(NEXT) | instid1(VALU_DEP_1)
	v_add_f64 v[8:9], v[4:5], 1.0
	v_frexp_mant_f64_e32 v[144:145], v[8:9]
	v_frexp_exp_i32_f64_e32 v148, v[8:9]
	v_add_f64 v[146:147], v[8:9], -1.0
	s_delay_alu instid0(VALU_DEP_3) | instskip(SKIP_1) | instid1(VALU_DEP_2)
	v_cmp_gt_f64_e32 vcc_lo, s[24:25], v[144:145]
	s_mov_b32 s24, 0x55555780
	v_add_f64 v[144:145], v[146:147], -v[8:9]
	v_add_f64 v[146:147], v[4:5], -v[146:147]
	v_subrev_co_ci_u32_e32 v214, vcc_lo, 0, v148, vcc_lo
	s_delay_alu instid0(VALU_DEP_3) | instskip(SKIP_2) | instid1(VALU_DEP_2)
	v_add_f64 v[144:145], v[144:145], 1.0
	s_mov_b32 vcc_lo, 0xbf559e2b
	s_mov_b32 vcc_hi, 0x3fc3ab76
	v_sub_nc_u32_e32 v150, 0, v214
	s_delay_alu instid0(VALU_DEP_1) | instskip(NEXT) | instid1(VALU_DEP_3)
	v_ldexp_f64 v[8:9], v[8:9], v150
	v_add_f64 v[144:145], v[146:147], v[144:145]
	s_delay_alu instid0(VALU_DEP_2) | instskip(SKIP_1) | instid1(VALU_DEP_3)
	v_add_f64 v[148:149], v[8:9], 1.0
	v_add_f64 v[162:163], v[8:9], -1.0
	v_ldexp_f64 v[144:145], v[144:145], v150
	s_delay_alu instid0(VALU_DEP_3) | instskip(NEXT) | instid1(VALU_DEP_3)
	v_add_f64 v[146:147], v[148:149], -1.0
	v_add_f64 v[164:165], v[162:163], 1.0
	s_delay_alu instid0(VALU_DEP_2) | instskip(NEXT) | instid1(VALU_DEP_2)
	v_add_f64 v[146:147], v[8:9], -v[146:147]
	v_add_f64 v[8:9], v[8:9], -v[164:165]
	s_delay_alu instid0(VALU_DEP_2) | instskip(NEXT) | instid1(VALU_DEP_2)
	v_add_f64 v[146:147], v[144:145], v[146:147]
	v_add_f64 v[8:9], v[144:145], v[8:9]
	s_delay_alu instid0(VALU_DEP_2) | instskip(NEXT) | instid1(VALU_DEP_2)
	v_add_f64 v[150:151], v[148:149], v[146:147]
	v_add_f64 v[164:165], v[162:163], v[8:9]
	s_delay_alu instid0(VALU_DEP_2) | instskip(SKIP_1) | instid1(VALU_DEP_2)
	v_rcp_f64_e32 v[160:161], v[150:151]
	v_add_f64 v[148:149], v[150:151], -v[148:149]
	v_add_f64 v[162:163], v[164:165], -v[162:163]
	s_delay_alu instid0(VALU_DEP_2) | instskip(SKIP_3) | instid1(VALU_DEP_2)
	v_add_f64 v[146:147], v[146:147], -v[148:149]
	s_waitcnt_depctr 0xfff
	v_fma_f64 v[166:167], -v[150:151], v[160:161], 1.0
	v_add_f64 v[8:9], v[8:9], -v[162:163]
	v_fma_f64 v[160:161], v[166:167], v[160:161], v[160:161]
	s_delay_alu instid0(VALU_DEP_1) | instskip(NEXT) | instid1(VALU_DEP_1)
	v_fma_f64 v[144:145], -v[150:151], v[160:161], 1.0
	v_fma_f64 v[144:145], v[144:145], v[160:161], v[160:161]
	s_delay_alu instid0(VALU_DEP_1) | instskip(NEXT) | instid1(VALU_DEP_1)
	v_mul_f64 v[160:161], v[164:165], v[144:145]
	v_mul_f64 v[166:167], v[150:151], v[160:161]
	s_delay_alu instid0(VALU_DEP_1) | instskip(NEXT) | instid1(VALU_DEP_1)
	v_fma_f64 v[148:149], v[160:161], v[150:151], -v[166:167]
	v_fma_f64 v[148:149], v[160:161], v[146:147], v[148:149]
	s_delay_alu instid0(VALU_DEP_1) | instskip(NEXT) | instid1(VALU_DEP_1)
	v_add_f64 v[176:177], v[166:167], v[148:149]
	v_add_f64 v[212:213], v[164:165], -v[176:177]
	v_add_f64 v[162:163], v[176:177], -v[166:167]
	s_delay_alu instid0(VALU_DEP_2) | instskip(NEXT) | instid1(VALU_DEP_2)
	v_add_f64 v[164:165], v[164:165], -v[212:213]
	v_add_f64 v[148:149], v[162:163], -v[148:149]
	s_delay_alu instid0(VALU_DEP_2) | instskip(NEXT) | instid1(VALU_DEP_1)
	v_add_f64 v[164:165], v[164:165], -v[176:177]
	v_add_f64 v[8:9], v[8:9], v[164:165]
	s_delay_alu instid0(VALU_DEP_1) | instskip(NEXT) | instid1(VALU_DEP_1)
	v_add_f64 v[8:9], v[148:149], v[8:9]
	v_add_f64 v[148:149], v[212:213], v[8:9]
	s_delay_alu instid0(VALU_DEP_1) | instskip(SKIP_1) | instid1(VALU_DEP_2)
	v_mul_f64 v[162:163], v[144:145], v[148:149]
	v_add_f64 v[176:177], v[212:213], -v[148:149]
	v_mul_f64 v[164:165], v[150:151], v[162:163]
	s_delay_alu instid0(VALU_DEP_2) | instskip(NEXT) | instid1(VALU_DEP_2)
	v_add_f64 v[8:9], v[8:9], v[176:177]
	v_fma_f64 v[150:151], v[162:163], v[150:151], -v[164:165]
	s_delay_alu instid0(VALU_DEP_1) | instskip(NEXT) | instid1(VALU_DEP_1)
	v_fma_f64 v[146:147], v[162:163], v[146:147], v[150:151]
	v_add_f64 v[150:151], v[164:165], v[146:147]
	s_delay_alu instid0(VALU_DEP_1) | instskip(SKIP_1) | instid1(VALU_DEP_2)
	v_add_f64 v[166:167], v[148:149], -v[150:151]
	v_add_f64 v[164:165], v[150:151], -v[164:165]
	;; [unrolled: 1-line block ×3, first 2 shown]
	s_delay_alu instid0(VALU_DEP_2) | instskip(NEXT) | instid1(VALU_DEP_2)
	v_add_f64 v[146:147], v[164:165], -v[146:147]
	v_add_f64 v[148:149], v[148:149], -v[150:151]
	s_delay_alu instid0(VALU_DEP_1) | instskip(SKIP_1) | instid1(VALU_DEP_2)
	v_add_f64 v[8:9], v[8:9], v[148:149]
	v_add_f64 v[148:149], v[160:161], v[162:163]
	;; [unrolled: 1-line block ×3, first 2 shown]
	s_delay_alu instid0(VALU_DEP_2) | instskip(NEXT) | instid1(VALU_DEP_2)
	v_add_f64 v[146:147], v[148:149], -v[160:161]
	v_add_f64 v[8:9], v[166:167], v[8:9]
	s_delay_alu instid0(VALU_DEP_2) | instskip(NEXT) | instid1(VALU_DEP_2)
	v_add_f64 v[146:147], v[162:163], -v[146:147]
	v_mul_f64 v[8:9], v[144:145], v[8:9]
	s_delay_alu instid0(VALU_DEP_1) | instskip(NEXT) | instid1(VALU_DEP_1)
	v_add_f64 v[8:9], v[146:147], v[8:9]
	v_add_f64 v[144:145], v[148:149], v[8:9]
	s_delay_alu instid0(VALU_DEP_1) | instskip(NEXT) | instid1(VALU_DEP_1)
	v_mul_f64 v[146:147], v[144:145], v[144:145]
	v_fma_f64 v[150:151], v[146:147], vcc, s[28:29]
	s_mov_b32 s28, 0xd7f4df2e
	s_mov_b32 s29, 0x3fc7474d
	v_mul_f64 v[160:161], v[144:145], v[146:147]
	v_cmp_eq_f64_e32 vcc_lo, 0x7ff00000, v[4:5]
	s_delay_alu instid0(VALU_DEP_3)
	v_fma_f64 v[150:151], v[146:147], v[150:151], s[28:29]
	s_mov_b32 s28, 0x16291751
	s_mov_b32 s29, 0x3fcc71c0
	s_delay_alu instid0(VALU_DEP_1) | instid1(SALU_CYCLE_1)
	v_fma_f64 v[150:151], v[146:147], v[150:151], s[28:29]
	s_mov_b32 s28, 0x9b27acf1
	s_mov_b32 s29, 0x3fd24924
	s_delay_alu instid0(VALU_DEP_1) | instid1(SALU_CYCLE_1)
	;; [unrolled: 4-line block ×3, first 2 shown]
	v_fma_f64 v[150:151], v[146:147], v[150:151], s[28:29]
	s_delay_alu instid0(VALU_DEP_1) | instskip(SKIP_2) | instid1(VALU_DEP_3)
	v_fma_f64 v[146:147], v[146:147], v[150:151], s[24:25]
	v_ldexp_f64 v[150:151], v[144:145], 1
	v_add_f64 v[144:145], v[144:145], -v[148:149]
	v_mul_f64 v[146:147], v[160:161], v[146:147]
	v_cvt_f64_i32_e32 v[160:161], v214
	s_delay_alu instid0(VALU_DEP_3) | instskip(NEXT) | instid1(VALU_DEP_3)
	v_add_f64 v[8:9], v[8:9], -v[144:145]
	v_add_f64 v[148:149], v[150:151], v[146:147]
	s_delay_alu instid0(VALU_DEP_3) | instskip(NEXT) | instid1(VALU_DEP_3)
	v_mul_f64 v[162:163], v[160:161], s[20:21]
	v_ldexp_f64 v[8:9], v[8:9], 1
	s_delay_alu instid0(VALU_DEP_3) | instskip(NEXT) | instid1(VALU_DEP_3)
	v_add_f64 v[144:145], v[148:149], -v[150:151]
	v_fma_f64 v[150:151], v[160:161], s[20:21], -v[162:163]
	s_delay_alu instid0(VALU_DEP_2) | instskip(NEXT) | instid1(VALU_DEP_2)
	v_add_f64 v[144:145], v[146:147], -v[144:145]
	v_fma_f64 v[146:147], v[160:161], s[22:23], v[150:151]
	s_delay_alu instid0(VALU_DEP_2) | instskip(NEXT) | instid1(VALU_DEP_2)
	v_add_f64 v[8:9], v[8:9], v[144:145]
	v_add_f64 v[144:145], v[162:163], v[146:147]
	s_delay_alu instid0(VALU_DEP_2) | instskip(NEXT) | instid1(VALU_DEP_2)
	v_add_f64 v[150:151], v[148:149], v[8:9]
	v_add_f64 v[162:163], v[144:145], -v[162:163]
	s_delay_alu instid0(VALU_DEP_2) | instskip(SKIP_1) | instid1(VALU_DEP_3)
	v_add_f64 v[160:161], v[144:145], v[150:151]
	v_add_f64 v[148:149], v[150:151], -v[148:149]
	v_add_f64 v[146:147], v[146:147], -v[162:163]
	s_delay_alu instid0(VALU_DEP_3) | instskip(NEXT) | instid1(VALU_DEP_3)
	v_add_f64 v[164:165], v[160:161], -v[144:145]
	v_add_f64 v[8:9], v[8:9], -v[148:149]
	s_delay_alu instid0(VALU_DEP_2) | instskip(SKIP_1) | instid1(VALU_DEP_3)
	v_add_f64 v[166:167], v[160:161], -v[164:165]
	v_add_f64 v[148:149], v[150:151], -v[164:165]
	v_add_f64 v[150:151], v[146:147], v[8:9]
	s_delay_alu instid0(VALU_DEP_3) | instskip(NEXT) | instid1(VALU_DEP_1)
	v_add_f64 v[144:145], v[144:145], -v[166:167]
	v_add_f64 v[144:145], v[148:149], v[144:145]
	s_delay_alu instid0(VALU_DEP_3) | instskip(NEXT) | instid1(VALU_DEP_2)
	v_add_f64 v[148:149], v[150:151], -v[146:147]
	v_add_f64 v[144:145], v[150:151], v[144:145]
	s_delay_alu instid0(VALU_DEP_2) | instskip(SKIP_1) | instid1(VALU_DEP_3)
	v_add_f64 v[150:151], v[150:151], -v[148:149]
	v_add_f64 v[8:9], v[8:9], -v[148:149]
	v_add_f64 v[162:163], v[160:161], v[144:145]
	s_delay_alu instid0(VALU_DEP_3) | instskip(NEXT) | instid1(VALU_DEP_2)
	v_add_f64 v[146:147], v[146:147], -v[150:151]
	v_add_f64 v[148:149], v[162:163], -v[160:161]
	s_delay_alu instid0(VALU_DEP_2) | instskip(NEXT) | instid1(VALU_DEP_2)
	v_add_f64 v[8:9], v[8:9], v[146:147]
	v_add_f64 v[144:145], v[144:145], -v[148:149]
	s_delay_alu instid0(VALU_DEP_1) | instskip(NEXT) | instid1(VALU_DEP_1)
	v_add_f64 v[8:9], v[8:9], v[144:145]
	v_add_f64 v[8:9], v[162:163], v[8:9]
	s_delay_alu instid0(VALU_DEP_1) | instskip(SKIP_1) | instid1(VALU_DEP_2)
	v_dual_cndmask_b32 v9, v9, v5 :: v_dual_cndmask_b32 v8, v8, v4
	v_cmp_ngt_f64_e32 vcc_lo, -1.0, v[4:5]
	v_cndmask_b32_e32 v9, 0x7ff80000, v9, vcc_lo
	v_cmp_nge_f64_e32 vcc_lo, -1.0, v[4:5]
	s_delay_alu instid0(VALU_DEP_4) | instskip(SKIP_1) | instid1(VALU_DEP_4)
	v_cndmask_b32_e32 v8, 0, v8, vcc_lo
	v_cmp_neq_f64_e32 vcc_lo, -1.0, v[4:5]
	v_cndmask_b32_e32 v9, 0xfff00000, v9, vcc_lo
	s_delay_alu instid0(VALU_DEP_1)
	v_add_f64 v[4:5], v[6:7], v[8:9]
.LBB36_54:
	s_or_b32 exec_lo, exec_lo, s26
	v_mbcnt_lo_u32_b32 v212, -1, 0
	s_delay_alu instid0(VALU_DEP_2) | instskip(NEXT) | instid1(VALU_DEP_3)
	v_mov_b32_dpp v6, v4 row_shr:1 row_mask:0xf bank_mask:0xf
	v_mov_b32_dpp v7, v5 row_shr:1 row_mask:0xf bank_mask:0xf
	v_mov_b32_e32 v8, v4
	s_mov_b32 s26, exec_lo
	v_dual_mov_b32 v9, v5 :: v_dual_and_b32 v144, 15, v212
	s_delay_alu instid0(VALU_DEP_1)
	v_cmpx_ne_u32_e32 0, v144
	s_cbranch_execz .LBB36_58
; %bb.55:
	v_max_f64 v[8:9], v[6:7], v[6:7]
	v_max_f64 v[145:146], v[4:5], v[4:5]
	v_cmp_u_f64_e32 vcc_lo, v[6:7], v[6:7]
	v_cmp_u_f64_e64 s19, v[4:5], v[4:5]
	s_delay_alu instid0(VALU_DEP_3) | instskip(SKIP_1) | instid1(VALU_DEP_2)
	v_min_f64 v[147:148], v[8:9], v[145:146]
	v_max_f64 v[8:9], v[8:9], v[145:146]
	v_dual_cndmask_b32 v145, v147, v6 :: v_dual_cndmask_b32 v146, v148, v7
	s_delay_alu instid0(VALU_DEP_2) | instskip(NEXT) | instid1(VALU_DEP_2)
	v_dual_cndmask_b32 v147, v9, v7 :: v_dual_cndmask_b32 v148, v8, v6
	v_cndmask_b32_e64 v8, v145, v4, s19
	s_delay_alu instid0(VALU_DEP_3) | instskip(NEXT) | instid1(VALU_DEP_3)
	v_cndmask_b32_e64 v9, v146, v5, s19
	v_cndmask_b32_e64 v5, v147, v5, s19
	s_delay_alu instid0(VALU_DEP_4) | instskip(NEXT) | instid1(VALU_DEP_3)
	v_cndmask_b32_e64 v4, v148, v4, s19
	v_cmp_class_f64_e64 s19, v[8:9], 0x1f8
	s_delay_alu instid0(VALU_DEP_2) | instskip(NEXT) | instid1(VALU_DEP_2)
	v_cmp_neq_f64_e32 vcc_lo, v[8:9], v[4:5]
	s_or_b32 s19, vcc_lo, s19
	s_delay_alu instid0(SALU_CYCLE_1)
	s_and_saveexec_b32 s27, s19
	s_cbranch_execz .LBB36_57
; %bb.56:
	v_add_f64 v[6:7], v[8:9], -v[4:5]
	s_mov_b32 s20, 0x652b82fe
	s_mov_b32 s21, 0x3ff71547
	s_mov_b32 s23, 0xbc7abc9e
	s_mov_b32 s22, 0x3b39803f
	s_mov_b32 s24, 0xfca7ab0c
	s_mov_b32 s28, 0x6a5dcb37
	s_mov_b32 s25, 0x3e928af3
	s_mov_b32 s29, 0x3e5ade15
	s_delay_alu instid0(VALU_DEP_1) | instskip(SKIP_4) | instid1(VALU_DEP_3)
	v_mul_f64 v[8:9], v[6:7], s[20:21]
	s_mov_b32 s21, 0xbfe62e42
	s_mov_b32 s20, 0xfefa39ef
	v_cmp_nlt_f64_e32 vcc_lo, 0x40900000, v[6:7]
	v_cmp_ngt_f64_e64 s19, 0xc090cc00, v[6:7]
	v_rndne_f64_e32 v[8:9], v[8:9]
	s_delay_alu instid0(VALU_DEP_1) | instskip(SKIP_2) | instid1(VALU_DEP_2)
	v_fma_f64 v[145:146], v[8:9], s[20:21], v[6:7]
	v_cvt_i32_f64_e32 v149, v[8:9]
	s_mov_b32 s21, 0x3fe62e42
	v_fma_f64 v[145:146], v[8:9], s[22:23], v[145:146]
	s_mov_b32 s23, 0x3c7abc9e
	s_delay_alu instid0(VALU_DEP_1) | instskip(SKIP_4) | instid1(VALU_DEP_1)
	v_fma_f64 v[147:148], v[145:146], s[28:29], s[24:25]
	s_mov_b32 s24, 0x623fde64
	s_mov_b32 s25, 0x3ec71dee
	;; [unrolled: 1-line block ×4, first 2 shown]
	v_fma_f64 v[147:148], v[145:146], v[147:148], s[24:25]
	s_mov_b32 s24, 0x7c89e6b0
	s_mov_b32 s25, 0x3efa0199
	s_delay_alu instid0(VALU_DEP_1) | instid1(SALU_CYCLE_1)
	v_fma_f64 v[147:148], v[145:146], v[147:148], s[24:25]
	s_mov_b32 s24, 0x14761f6e
	s_mov_b32 s25, 0x3f2a01a0
	s_delay_alu instid0(VALU_DEP_1) | instid1(SALU_CYCLE_1)
	;; [unrolled: 4-line block ×7, first 2 shown]
	v_fma_f64 v[147:148], v[145:146], v[147:148], s[24:25]
	s_mov_b32 s25, 0x3fe55555
	s_mov_b32 s24, 0x55555555
	s_delay_alu instid0(VALU_DEP_1) | instskip(NEXT) | instid1(VALU_DEP_1)
	v_fma_f64 v[147:148], v[145:146], v[147:148], 1.0
	v_fma_f64 v[8:9], v[145:146], v[147:148], 1.0
	s_delay_alu instid0(VALU_DEP_1) | instskip(NEXT) | instid1(VALU_DEP_1)
	v_ldexp_f64 v[8:9], v[8:9], v149
	v_cndmask_b32_e32 v9, 0x7ff00000, v9, vcc_lo
	s_and_b32 vcc_lo, s19, vcc_lo
	s_delay_alu instid0(VALU_DEP_1) | instskip(NEXT) | instid1(VALU_DEP_3)
	v_cndmask_b32_e64 v7, 0, v9, s19
	v_cndmask_b32_e32 v6, 0, v8, vcc_lo
	s_delay_alu instid0(VALU_DEP_1) | instskip(NEXT) | instid1(VALU_DEP_1)
	v_add_f64 v[8:9], v[6:7], 1.0
	v_frexp_mant_f64_e32 v[145:146], v[8:9]
	v_frexp_exp_i32_f64_e32 v149, v[8:9]
	v_add_f64 v[147:148], v[8:9], -1.0
	s_delay_alu instid0(VALU_DEP_3) | instskip(SKIP_1) | instid1(VALU_DEP_2)
	v_cmp_gt_f64_e32 vcc_lo, s[24:25], v[145:146]
	s_mov_b32 s24, 0x55555780
	v_add_f64 v[145:146], v[147:148], -v[8:9]
	v_add_f64 v[147:148], v[6:7], -v[147:148]
	v_subrev_co_ci_u32_e32 v151, vcc_lo, 0, v149, vcc_lo
	s_delay_alu instid0(VALU_DEP_3) | instskip(SKIP_2) | instid1(VALU_DEP_2)
	v_add_f64 v[145:146], v[145:146], 1.0
	s_mov_b32 vcc_lo, 0xbf559e2b
	s_mov_b32 vcc_hi, 0x3fc3ab76
	v_sub_nc_u32_e32 v160, 0, v151
	s_delay_alu instid0(VALU_DEP_1) | instskip(NEXT) | instid1(VALU_DEP_3)
	v_ldexp_f64 v[8:9], v[8:9], v160
	v_add_f64 v[145:146], v[147:148], v[145:146]
	s_delay_alu instid0(VALU_DEP_2) | instskip(SKIP_1) | instid1(VALU_DEP_3)
	v_add_f64 v[149:150], v[8:9], 1.0
	v_add_f64 v[164:165], v[8:9], -1.0
	v_ldexp_f64 v[145:146], v[145:146], v160
	s_delay_alu instid0(VALU_DEP_3) | instskip(NEXT) | instid1(VALU_DEP_3)
	v_add_f64 v[147:148], v[149:150], -1.0
	v_add_f64 v[166:167], v[164:165], 1.0
	s_delay_alu instid0(VALU_DEP_2) | instskip(NEXT) | instid1(VALU_DEP_2)
	v_add_f64 v[147:148], v[8:9], -v[147:148]
	v_add_f64 v[8:9], v[8:9], -v[166:167]
	s_delay_alu instid0(VALU_DEP_2) | instskip(NEXT) | instid1(VALU_DEP_2)
	v_add_f64 v[147:148], v[145:146], v[147:148]
	v_add_f64 v[8:9], v[145:146], v[8:9]
	s_delay_alu instid0(VALU_DEP_2) | instskip(NEXT) | instid1(VALU_DEP_2)
	v_add_f64 v[160:161], v[149:150], v[147:148]
	v_add_f64 v[166:167], v[164:165], v[8:9]
	s_delay_alu instid0(VALU_DEP_2) | instskip(SKIP_1) | instid1(VALU_DEP_2)
	v_rcp_f64_e32 v[162:163], v[160:161]
	v_add_f64 v[149:150], v[160:161], -v[149:150]
	v_add_f64 v[164:165], v[166:167], -v[164:165]
	s_delay_alu instid0(VALU_DEP_2) | instskip(SKIP_3) | instid1(VALU_DEP_2)
	v_add_f64 v[147:148], v[147:148], -v[149:150]
	s_waitcnt_depctr 0xfff
	v_fma_f64 v[176:177], -v[160:161], v[162:163], 1.0
	v_add_f64 v[8:9], v[8:9], -v[164:165]
	v_fma_f64 v[162:163], v[176:177], v[162:163], v[162:163]
	s_delay_alu instid0(VALU_DEP_1) | instskip(NEXT) | instid1(VALU_DEP_1)
	v_fma_f64 v[145:146], -v[160:161], v[162:163], 1.0
	v_fma_f64 v[145:146], v[145:146], v[162:163], v[162:163]
	s_delay_alu instid0(VALU_DEP_1) | instskip(NEXT) | instid1(VALU_DEP_1)
	v_mul_f64 v[162:163], v[166:167], v[145:146]
	v_mul_f64 v[176:177], v[160:161], v[162:163]
	s_delay_alu instid0(VALU_DEP_1) | instskip(NEXT) | instid1(VALU_DEP_1)
	v_fma_f64 v[149:150], v[162:163], v[160:161], -v[176:177]
	v_fma_f64 v[149:150], v[162:163], v[147:148], v[149:150]
	s_delay_alu instid0(VALU_DEP_1) | instskip(NEXT) | instid1(VALU_DEP_1)
	v_add_f64 v[213:214], v[176:177], v[149:150]
	v_add_f64 v[224:225], v[166:167], -v[213:214]
	v_add_f64 v[164:165], v[213:214], -v[176:177]
	s_delay_alu instid0(VALU_DEP_2) | instskip(NEXT) | instid1(VALU_DEP_2)
	v_add_f64 v[166:167], v[166:167], -v[224:225]
	v_add_f64 v[149:150], v[164:165], -v[149:150]
	s_delay_alu instid0(VALU_DEP_2) | instskip(NEXT) | instid1(VALU_DEP_1)
	v_add_f64 v[166:167], v[166:167], -v[213:214]
	v_add_f64 v[8:9], v[8:9], v[166:167]
	s_delay_alu instid0(VALU_DEP_1) | instskip(NEXT) | instid1(VALU_DEP_1)
	v_add_f64 v[8:9], v[149:150], v[8:9]
	v_add_f64 v[149:150], v[224:225], v[8:9]
	s_delay_alu instid0(VALU_DEP_1) | instskip(SKIP_1) | instid1(VALU_DEP_2)
	v_mul_f64 v[164:165], v[145:146], v[149:150]
	v_add_f64 v[213:214], v[224:225], -v[149:150]
	v_mul_f64 v[166:167], v[160:161], v[164:165]
	s_delay_alu instid0(VALU_DEP_2) | instskip(NEXT) | instid1(VALU_DEP_2)
	v_add_f64 v[8:9], v[8:9], v[213:214]
	v_fma_f64 v[160:161], v[164:165], v[160:161], -v[166:167]
	s_delay_alu instid0(VALU_DEP_1) | instskip(NEXT) | instid1(VALU_DEP_1)
	v_fma_f64 v[147:148], v[164:165], v[147:148], v[160:161]
	v_add_f64 v[160:161], v[166:167], v[147:148]
	s_delay_alu instid0(VALU_DEP_1) | instskip(SKIP_1) | instid1(VALU_DEP_2)
	v_add_f64 v[176:177], v[149:150], -v[160:161]
	v_add_f64 v[166:167], v[160:161], -v[166:167]
	;; [unrolled: 1-line block ×3, first 2 shown]
	s_delay_alu instid0(VALU_DEP_2) | instskip(NEXT) | instid1(VALU_DEP_2)
	v_add_f64 v[147:148], v[166:167], -v[147:148]
	v_add_f64 v[149:150], v[149:150], -v[160:161]
	s_delay_alu instid0(VALU_DEP_1) | instskip(SKIP_1) | instid1(VALU_DEP_2)
	v_add_f64 v[8:9], v[8:9], v[149:150]
	v_add_f64 v[149:150], v[162:163], v[164:165]
	;; [unrolled: 1-line block ×3, first 2 shown]
	s_delay_alu instid0(VALU_DEP_2) | instskip(NEXT) | instid1(VALU_DEP_2)
	v_add_f64 v[147:148], v[149:150], -v[162:163]
	v_add_f64 v[8:9], v[176:177], v[8:9]
	s_delay_alu instid0(VALU_DEP_2) | instskip(NEXT) | instid1(VALU_DEP_2)
	v_add_f64 v[147:148], v[164:165], -v[147:148]
	v_mul_f64 v[8:9], v[145:146], v[8:9]
	s_delay_alu instid0(VALU_DEP_1) | instskip(NEXT) | instid1(VALU_DEP_1)
	v_add_f64 v[8:9], v[147:148], v[8:9]
	v_add_f64 v[145:146], v[149:150], v[8:9]
	s_delay_alu instid0(VALU_DEP_1) | instskip(NEXT) | instid1(VALU_DEP_1)
	v_mul_f64 v[147:148], v[145:146], v[145:146]
	v_fma_f64 v[160:161], v[147:148], vcc, s[28:29]
	s_mov_b32 s28, 0xd7f4df2e
	s_mov_b32 s29, 0x3fc7474d
	v_mul_f64 v[162:163], v[145:146], v[147:148]
	v_cmp_eq_f64_e32 vcc_lo, 0x7ff00000, v[6:7]
	s_delay_alu instid0(VALU_DEP_3)
	v_fma_f64 v[160:161], v[147:148], v[160:161], s[28:29]
	s_mov_b32 s28, 0x16291751
	s_mov_b32 s29, 0x3fcc71c0
	s_delay_alu instid0(VALU_DEP_1) | instid1(SALU_CYCLE_1)
	v_fma_f64 v[160:161], v[147:148], v[160:161], s[28:29]
	s_mov_b32 s28, 0x9b27acf1
	s_mov_b32 s29, 0x3fd24924
	s_delay_alu instid0(VALU_DEP_1) | instid1(SALU_CYCLE_1)
	;; [unrolled: 4-line block ×3, first 2 shown]
	v_fma_f64 v[160:161], v[147:148], v[160:161], s[28:29]
	s_delay_alu instid0(VALU_DEP_1) | instskip(SKIP_2) | instid1(VALU_DEP_3)
	v_fma_f64 v[147:148], v[147:148], v[160:161], s[24:25]
	v_ldexp_f64 v[160:161], v[145:146], 1
	v_add_f64 v[145:146], v[145:146], -v[149:150]
	v_mul_f64 v[147:148], v[162:163], v[147:148]
	v_cvt_f64_i32_e32 v[162:163], v151
	s_delay_alu instid0(VALU_DEP_3) | instskip(NEXT) | instid1(VALU_DEP_3)
	v_add_f64 v[8:9], v[8:9], -v[145:146]
	v_add_f64 v[149:150], v[160:161], v[147:148]
	s_delay_alu instid0(VALU_DEP_3) | instskip(NEXT) | instid1(VALU_DEP_3)
	v_mul_f64 v[164:165], v[162:163], s[20:21]
	v_ldexp_f64 v[8:9], v[8:9], 1
	s_delay_alu instid0(VALU_DEP_3) | instskip(NEXT) | instid1(VALU_DEP_3)
	v_add_f64 v[145:146], v[149:150], -v[160:161]
	v_fma_f64 v[160:161], v[162:163], s[20:21], -v[164:165]
	s_delay_alu instid0(VALU_DEP_2) | instskip(NEXT) | instid1(VALU_DEP_2)
	v_add_f64 v[145:146], v[147:148], -v[145:146]
	v_fma_f64 v[147:148], v[162:163], s[22:23], v[160:161]
	s_delay_alu instid0(VALU_DEP_2) | instskip(NEXT) | instid1(VALU_DEP_2)
	v_add_f64 v[8:9], v[8:9], v[145:146]
	v_add_f64 v[145:146], v[164:165], v[147:148]
	s_delay_alu instid0(VALU_DEP_2) | instskip(NEXT) | instid1(VALU_DEP_2)
	v_add_f64 v[160:161], v[149:150], v[8:9]
	v_add_f64 v[164:165], v[145:146], -v[164:165]
	s_delay_alu instid0(VALU_DEP_2) | instskip(SKIP_1) | instid1(VALU_DEP_3)
	v_add_f64 v[162:163], v[145:146], v[160:161]
	v_add_f64 v[149:150], v[160:161], -v[149:150]
	v_add_f64 v[147:148], v[147:148], -v[164:165]
	s_delay_alu instid0(VALU_DEP_3) | instskip(NEXT) | instid1(VALU_DEP_3)
	v_add_f64 v[166:167], v[162:163], -v[145:146]
	v_add_f64 v[8:9], v[8:9], -v[149:150]
	s_delay_alu instid0(VALU_DEP_2) | instskip(SKIP_1) | instid1(VALU_DEP_3)
	v_add_f64 v[176:177], v[162:163], -v[166:167]
	v_add_f64 v[149:150], v[160:161], -v[166:167]
	v_add_f64 v[160:161], v[147:148], v[8:9]
	s_delay_alu instid0(VALU_DEP_3) | instskip(NEXT) | instid1(VALU_DEP_1)
	v_add_f64 v[145:146], v[145:146], -v[176:177]
	v_add_f64 v[145:146], v[149:150], v[145:146]
	s_delay_alu instid0(VALU_DEP_3) | instskip(NEXT) | instid1(VALU_DEP_2)
	v_add_f64 v[149:150], v[160:161], -v[147:148]
	v_add_f64 v[145:146], v[160:161], v[145:146]
	s_delay_alu instid0(VALU_DEP_2) | instskip(SKIP_1) | instid1(VALU_DEP_3)
	v_add_f64 v[160:161], v[160:161], -v[149:150]
	v_add_f64 v[8:9], v[8:9], -v[149:150]
	v_add_f64 v[164:165], v[162:163], v[145:146]
	s_delay_alu instid0(VALU_DEP_3) | instskip(NEXT) | instid1(VALU_DEP_2)
	v_add_f64 v[147:148], v[147:148], -v[160:161]
	v_add_f64 v[149:150], v[164:165], -v[162:163]
	s_delay_alu instid0(VALU_DEP_2) | instskip(NEXT) | instid1(VALU_DEP_2)
	v_add_f64 v[8:9], v[8:9], v[147:148]
	v_add_f64 v[145:146], v[145:146], -v[149:150]
	s_delay_alu instid0(VALU_DEP_1) | instskip(NEXT) | instid1(VALU_DEP_1)
	v_add_f64 v[8:9], v[8:9], v[145:146]
	v_add_f64 v[8:9], v[164:165], v[8:9]
	s_delay_alu instid0(VALU_DEP_1) | instskip(SKIP_1) | instid1(VALU_DEP_2)
	v_dual_cndmask_b32 v9, v9, v7 :: v_dual_cndmask_b32 v8, v8, v6
	v_cmp_ngt_f64_e32 vcc_lo, -1.0, v[6:7]
	v_cndmask_b32_e32 v9, 0x7ff80000, v9, vcc_lo
	v_cmp_nge_f64_e32 vcc_lo, -1.0, v[6:7]
	s_delay_alu instid0(VALU_DEP_4) | instskip(SKIP_1) | instid1(VALU_DEP_4)
	v_cndmask_b32_e32 v8, 0, v8, vcc_lo
	v_cmp_neq_f64_e32 vcc_lo, -1.0, v[6:7]
	v_cndmask_b32_e32 v9, 0xfff00000, v9, vcc_lo
	s_delay_alu instid0(VALU_DEP_1)
	v_add_f64 v[6:7], v[4:5], v[8:9]
.LBB36_57:
	s_or_b32 exec_lo, exec_lo, s27
	s_delay_alu instid0(VALU_DEP_1)
	v_dual_mov_b32 v8, v6 :: v_dual_mov_b32 v9, v7
	v_dual_mov_b32 v4, v6 :: v_dual_mov_b32 v5, v7
.LBB36_58:
	s_or_b32 exec_lo, exec_lo, s26
	s_delay_alu instid0(VALU_DEP_2) | instskip(NEXT) | instid1(VALU_DEP_3)
	v_mov_b32_dpp v6, v8 row_shr:2 row_mask:0xf bank_mask:0xf
	v_mov_b32_dpp v7, v9 row_shr:2 row_mask:0xf bank_mask:0xf
	s_mov_b32 s26, exec_lo
	v_cmpx_lt_u32_e32 1, v144
	s_cbranch_execz .LBB36_62
; %bb.59:
	s_delay_alu instid0(VALU_DEP_2) | instskip(SKIP_3) | instid1(VALU_DEP_3)
	v_max_f64 v[8:9], v[6:7], v[6:7]
	v_max_f64 v[145:146], v[4:5], v[4:5]
	v_cmp_u_f64_e32 vcc_lo, v[6:7], v[6:7]
	v_cmp_u_f64_e64 s19, v[4:5], v[4:5]
	v_min_f64 v[147:148], v[8:9], v[145:146]
	v_max_f64 v[8:9], v[8:9], v[145:146]
	s_delay_alu instid0(VALU_DEP_2) | instskip(NEXT) | instid1(VALU_DEP_2)
	v_dual_cndmask_b32 v145, v147, v6 :: v_dual_cndmask_b32 v146, v148, v7
	v_dual_cndmask_b32 v147, v9, v7 :: v_dual_cndmask_b32 v148, v8, v6
	s_delay_alu instid0(VALU_DEP_2) | instskip(NEXT) | instid1(VALU_DEP_3)
	v_cndmask_b32_e64 v8, v145, v4, s19
	v_cndmask_b32_e64 v9, v146, v5, s19
	s_delay_alu instid0(VALU_DEP_3) | instskip(NEXT) | instid1(VALU_DEP_4)
	v_cndmask_b32_e64 v5, v147, v5, s19
	v_cndmask_b32_e64 v4, v148, v4, s19
	s_delay_alu instid0(VALU_DEP_3) | instskip(NEXT) | instid1(VALU_DEP_2)
	v_cmp_class_f64_e64 s19, v[8:9], 0x1f8
	v_cmp_neq_f64_e32 vcc_lo, v[8:9], v[4:5]
	s_delay_alu instid0(VALU_DEP_2) | instskip(NEXT) | instid1(SALU_CYCLE_1)
	s_or_b32 s19, vcc_lo, s19
	s_and_saveexec_b32 s27, s19
	s_cbranch_execz .LBB36_61
; %bb.60:
	v_add_f64 v[6:7], v[8:9], -v[4:5]
	s_mov_b32 s20, 0x652b82fe
	s_mov_b32 s21, 0x3ff71547
	;; [unrolled: 1-line block ×8, first 2 shown]
	s_delay_alu instid0(VALU_DEP_1) | instskip(SKIP_4) | instid1(VALU_DEP_3)
	v_mul_f64 v[8:9], v[6:7], s[20:21]
	s_mov_b32 s21, 0xbfe62e42
	s_mov_b32 s20, 0xfefa39ef
	v_cmp_nlt_f64_e32 vcc_lo, 0x40900000, v[6:7]
	v_cmp_ngt_f64_e64 s19, 0xc090cc00, v[6:7]
	v_rndne_f64_e32 v[8:9], v[8:9]
	s_delay_alu instid0(VALU_DEP_1) | instskip(SKIP_2) | instid1(VALU_DEP_2)
	v_fma_f64 v[145:146], v[8:9], s[20:21], v[6:7]
	v_cvt_i32_f64_e32 v149, v[8:9]
	s_mov_b32 s21, 0x3fe62e42
	v_fma_f64 v[145:146], v[8:9], s[22:23], v[145:146]
	s_mov_b32 s23, 0x3c7abc9e
	s_delay_alu instid0(VALU_DEP_1) | instskip(SKIP_4) | instid1(VALU_DEP_1)
	v_fma_f64 v[147:148], v[145:146], s[28:29], s[24:25]
	s_mov_b32 s24, 0x623fde64
	s_mov_b32 s25, 0x3ec71dee
	;; [unrolled: 1-line block ×4, first 2 shown]
	v_fma_f64 v[147:148], v[145:146], v[147:148], s[24:25]
	s_mov_b32 s24, 0x7c89e6b0
	s_mov_b32 s25, 0x3efa0199
	s_delay_alu instid0(VALU_DEP_1) | instid1(SALU_CYCLE_1)
	v_fma_f64 v[147:148], v[145:146], v[147:148], s[24:25]
	s_mov_b32 s24, 0x14761f6e
	s_mov_b32 s25, 0x3f2a01a0
	s_delay_alu instid0(VALU_DEP_1) | instid1(SALU_CYCLE_1)
	;; [unrolled: 4-line block ×7, first 2 shown]
	v_fma_f64 v[147:148], v[145:146], v[147:148], s[24:25]
	s_mov_b32 s25, 0x3fe55555
	s_mov_b32 s24, 0x55555555
	s_delay_alu instid0(VALU_DEP_1) | instskip(NEXT) | instid1(VALU_DEP_1)
	v_fma_f64 v[147:148], v[145:146], v[147:148], 1.0
	v_fma_f64 v[8:9], v[145:146], v[147:148], 1.0
	s_delay_alu instid0(VALU_DEP_1) | instskip(NEXT) | instid1(VALU_DEP_1)
	v_ldexp_f64 v[8:9], v[8:9], v149
	v_cndmask_b32_e32 v9, 0x7ff00000, v9, vcc_lo
	s_and_b32 vcc_lo, s19, vcc_lo
	s_delay_alu instid0(VALU_DEP_1) | instskip(NEXT) | instid1(VALU_DEP_3)
	v_cndmask_b32_e64 v7, 0, v9, s19
	v_cndmask_b32_e32 v6, 0, v8, vcc_lo
	s_delay_alu instid0(VALU_DEP_1) | instskip(NEXT) | instid1(VALU_DEP_1)
	v_add_f64 v[8:9], v[6:7], 1.0
	v_frexp_mant_f64_e32 v[145:146], v[8:9]
	v_frexp_exp_i32_f64_e32 v149, v[8:9]
	v_add_f64 v[147:148], v[8:9], -1.0
	s_delay_alu instid0(VALU_DEP_3) | instskip(SKIP_1) | instid1(VALU_DEP_2)
	v_cmp_gt_f64_e32 vcc_lo, s[24:25], v[145:146]
	s_mov_b32 s24, 0x55555780
	v_add_f64 v[145:146], v[147:148], -v[8:9]
	v_add_f64 v[147:148], v[6:7], -v[147:148]
	v_subrev_co_ci_u32_e32 v151, vcc_lo, 0, v149, vcc_lo
	s_delay_alu instid0(VALU_DEP_3) | instskip(SKIP_2) | instid1(VALU_DEP_2)
	v_add_f64 v[145:146], v[145:146], 1.0
	s_mov_b32 vcc_lo, 0xbf559e2b
	s_mov_b32 vcc_hi, 0x3fc3ab76
	v_sub_nc_u32_e32 v160, 0, v151
	s_delay_alu instid0(VALU_DEP_1) | instskip(NEXT) | instid1(VALU_DEP_3)
	v_ldexp_f64 v[8:9], v[8:9], v160
	v_add_f64 v[145:146], v[147:148], v[145:146]
	s_delay_alu instid0(VALU_DEP_2) | instskip(SKIP_1) | instid1(VALU_DEP_3)
	v_add_f64 v[149:150], v[8:9], 1.0
	v_add_f64 v[164:165], v[8:9], -1.0
	v_ldexp_f64 v[145:146], v[145:146], v160
	s_delay_alu instid0(VALU_DEP_3) | instskip(NEXT) | instid1(VALU_DEP_3)
	v_add_f64 v[147:148], v[149:150], -1.0
	v_add_f64 v[166:167], v[164:165], 1.0
	s_delay_alu instid0(VALU_DEP_2) | instskip(NEXT) | instid1(VALU_DEP_2)
	v_add_f64 v[147:148], v[8:9], -v[147:148]
	v_add_f64 v[8:9], v[8:9], -v[166:167]
	s_delay_alu instid0(VALU_DEP_2) | instskip(NEXT) | instid1(VALU_DEP_2)
	v_add_f64 v[147:148], v[145:146], v[147:148]
	v_add_f64 v[8:9], v[145:146], v[8:9]
	s_delay_alu instid0(VALU_DEP_2) | instskip(NEXT) | instid1(VALU_DEP_2)
	v_add_f64 v[160:161], v[149:150], v[147:148]
	v_add_f64 v[166:167], v[164:165], v[8:9]
	s_delay_alu instid0(VALU_DEP_2) | instskip(SKIP_1) | instid1(VALU_DEP_2)
	v_rcp_f64_e32 v[162:163], v[160:161]
	v_add_f64 v[149:150], v[160:161], -v[149:150]
	v_add_f64 v[164:165], v[166:167], -v[164:165]
	s_delay_alu instid0(VALU_DEP_2) | instskip(SKIP_3) | instid1(VALU_DEP_2)
	v_add_f64 v[147:148], v[147:148], -v[149:150]
	s_waitcnt_depctr 0xfff
	v_fma_f64 v[176:177], -v[160:161], v[162:163], 1.0
	v_add_f64 v[8:9], v[8:9], -v[164:165]
	v_fma_f64 v[162:163], v[176:177], v[162:163], v[162:163]
	s_delay_alu instid0(VALU_DEP_1) | instskip(NEXT) | instid1(VALU_DEP_1)
	v_fma_f64 v[145:146], -v[160:161], v[162:163], 1.0
	v_fma_f64 v[145:146], v[145:146], v[162:163], v[162:163]
	s_delay_alu instid0(VALU_DEP_1) | instskip(NEXT) | instid1(VALU_DEP_1)
	v_mul_f64 v[162:163], v[166:167], v[145:146]
	v_mul_f64 v[176:177], v[160:161], v[162:163]
	s_delay_alu instid0(VALU_DEP_1) | instskip(NEXT) | instid1(VALU_DEP_1)
	v_fma_f64 v[149:150], v[162:163], v[160:161], -v[176:177]
	v_fma_f64 v[149:150], v[162:163], v[147:148], v[149:150]
	s_delay_alu instid0(VALU_DEP_1) | instskip(NEXT) | instid1(VALU_DEP_1)
	v_add_f64 v[213:214], v[176:177], v[149:150]
	v_add_f64 v[224:225], v[166:167], -v[213:214]
	v_add_f64 v[164:165], v[213:214], -v[176:177]
	s_delay_alu instid0(VALU_DEP_2) | instskip(NEXT) | instid1(VALU_DEP_2)
	v_add_f64 v[166:167], v[166:167], -v[224:225]
	v_add_f64 v[149:150], v[164:165], -v[149:150]
	s_delay_alu instid0(VALU_DEP_2) | instskip(NEXT) | instid1(VALU_DEP_1)
	v_add_f64 v[166:167], v[166:167], -v[213:214]
	v_add_f64 v[8:9], v[8:9], v[166:167]
	s_delay_alu instid0(VALU_DEP_1) | instskip(NEXT) | instid1(VALU_DEP_1)
	v_add_f64 v[8:9], v[149:150], v[8:9]
	v_add_f64 v[149:150], v[224:225], v[8:9]
	s_delay_alu instid0(VALU_DEP_1) | instskip(SKIP_1) | instid1(VALU_DEP_2)
	v_mul_f64 v[164:165], v[145:146], v[149:150]
	v_add_f64 v[213:214], v[224:225], -v[149:150]
	v_mul_f64 v[166:167], v[160:161], v[164:165]
	s_delay_alu instid0(VALU_DEP_2) | instskip(NEXT) | instid1(VALU_DEP_2)
	v_add_f64 v[8:9], v[8:9], v[213:214]
	v_fma_f64 v[160:161], v[164:165], v[160:161], -v[166:167]
	s_delay_alu instid0(VALU_DEP_1) | instskip(NEXT) | instid1(VALU_DEP_1)
	v_fma_f64 v[147:148], v[164:165], v[147:148], v[160:161]
	v_add_f64 v[160:161], v[166:167], v[147:148]
	s_delay_alu instid0(VALU_DEP_1) | instskip(SKIP_1) | instid1(VALU_DEP_2)
	v_add_f64 v[176:177], v[149:150], -v[160:161]
	v_add_f64 v[166:167], v[160:161], -v[166:167]
	;; [unrolled: 1-line block ×3, first 2 shown]
	s_delay_alu instid0(VALU_DEP_2) | instskip(NEXT) | instid1(VALU_DEP_2)
	v_add_f64 v[147:148], v[166:167], -v[147:148]
	v_add_f64 v[149:150], v[149:150], -v[160:161]
	s_delay_alu instid0(VALU_DEP_1) | instskip(SKIP_1) | instid1(VALU_DEP_2)
	v_add_f64 v[8:9], v[8:9], v[149:150]
	v_add_f64 v[149:150], v[162:163], v[164:165]
	;; [unrolled: 1-line block ×3, first 2 shown]
	s_delay_alu instid0(VALU_DEP_2) | instskip(NEXT) | instid1(VALU_DEP_2)
	v_add_f64 v[147:148], v[149:150], -v[162:163]
	v_add_f64 v[8:9], v[176:177], v[8:9]
	s_delay_alu instid0(VALU_DEP_2) | instskip(NEXT) | instid1(VALU_DEP_2)
	v_add_f64 v[147:148], v[164:165], -v[147:148]
	v_mul_f64 v[8:9], v[145:146], v[8:9]
	s_delay_alu instid0(VALU_DEP_1) | instskip(NEXT) | instid1(VALU_DEP_1)
	v_add_f64 v[8:9], v[147:148], v[8:9]
	v_add_f64 v[145:146], v[149:150], v[8:9]
	s_delay_alu instid0(VALU_DEP_1) | instskip(NEXT) | instid1(VALU_DEP_1)
	v_mul_f64 v[147:148], v[145:146], v[145:146]
	v_fma_f64 v[160:161], v[147:148], vcc, s[28:29]
	s_mov_b32 s28, 0xd7f4df2e
	s_mov_b32 s29, 0x3fc7474d
	v_mul_f64 v[162:163], v[145:146], v[147:148]
	v_cmp_eq_f64_e32 vcc_lo, 0x7ff00000, v[6:7]
	s_delay_alu instid0(VALU_DEP_3)
	v_fma_f64 v[160:161], v[147:148], v[160:161], s[28:29]
	s_mov_b32 s28, 0x16291751
	s_mov_b32 s29, 0x3fcc71c0
	s_delay_alu instid0(VALU_DEP_1) | instid1(SALU_CYCLE_1)
	v_fma_f64 v[160:161], v[147:148], v[160:161], s[28:29]
	s_mov_b32 s28, 0x9b27acf1
	s_mov_b32 s29, 0x3fd24924
	s_delay_alu instid0(VALU_DEP_1) | instid1(SALU_CYCLE_1)
	;; [unrolled: 4-line block ×3, first 2 shown]
	v_fma_f64 v[160:161], v[147:148], v[160:161], s[28:29]
	s_delay_alu instid0(VALU_DEP_1) | instskip(SKIP_2) | instid1(VALU_DEP_3)
	v_fma_f64 v[147:148], v[147:148], v[160:161], s[24:25]
	v_ldexp_f64 v[160:161], v[145:146], 1
	v_add_f64 v[145:146], v[145:146], -v[149:150]
	v_mul_f64 v[147:148], v[162:163], v[147:148]
	v_cvt_f64_i32_e32 v[162:163], v151
	s_delay_alu instid0(VALU_DEP_3) | instskip(NEXT) | instid1(VALU_DEP_3)
	v_add_f64 v[8:9], v[8:9], -v[145:146]
	v_add_f64 v[149:150], v[160:161], v[147:148]
	s_delay_alu instid0(VALU_DEP_3) | instskip(NEXT) | instid1(VALU_DEP_3)
	v_mul_f64 v[164:165], v[162:163], s[20:21]
	v_ldexp_f64 v[8:9], v[8:9], 1
	s_delay_alu instid0(VALU_DEP_3) | instskip(NEXT) | instid1(VALU_DEP_3)
	v_add_f64 v[145:146], v[149:150], -v[160:161]
	v_fma_f64 v[160:161], v[162:163], s[20:21], -v[164:165]
	s_delay_alu instid0(VALU_DEP_2) | instskip(NEXT) | instid1(VALU_DEP_2)
	v_add_f64 v[145:146], v[147:148], -v[145:146]
	v_fma_f64 v[147:148], v[162:163], s[22:23], v[160:161]
	s_delay_alu instid0(VALU_DEP_2) | instskip(NEXT) | instid1(VALU_DEP_2)
	v_add_f64 v[8:9], v[8:9], v[145:146]
	v_add_f64 v[145:146], v[164:165], v[147:148]
	s_delay_alu instid0(VALU_DEP_2) | instskip(NEXT) | instid1(VALU_DEP_2)
	v_add_f64 v[160:161], v[149:150], v[8:9]
	v_add_f64 v[164:165], v[145:146], -v[164:165]
	s_delay_alu instid0(VALU_DEP_2) | instskip(SKIP_1) | instid1(VALU_DEP_3)
	v_add_f64 v[162:163], v[145:146], v[160:161]
	v_add_f64 v[149:150], v[160:161], -v[149:150]
	v_add_f64 v[147:148], v[147:148], -v[164:165]
	s_delay_alu instid0(VALU_DEP_3) | instskip(NEXT) | instid1(VALU_DEP_3)
	v_add_f64 v[166:167], v[162:163], -v[145:146]
	v_add_f64 v[8:9], v[8:9], -v[149:150]
	s_delay_alu instid0(VALU_DEP_2) | instskip(SKIP_1) | instid1(VALU_DEP_3)
	v_add_f64 v[176:177], v[162:163], -v[166:167]
	v_add_f64 v[149:150], v[160:161], -v[166:167]
	v_add_f64 v[160:161], v[147:148], v[8:9]
	s_delay_alu instid0(VALU_DEP_3) | instskip(NEXT) | instid1(VALU_DEP_1)
	v_add_f64 v[145:146], v[145:146], -v[176:177]
	v_add_f64 v[145:146], v[149:150], v[145:146]
	s_delay_alu instid0(VALU_DEP_3) | instskip(NEXT) | instid1(VALU_DEP_2)
	v_add_f64 v[149:150], v[160:161], -v[147:148]
	v_add_f64 v[145:146], v[160:161], v[145:146]
	s_delay_alu instid0(VALU_DEP_2) | instskip(SKIP_1) | instid1(VALU_DEP_3)
	v_add_f64 v[160:161], v[160:161], -v[149:150]
	v_add_f64 v[8:9], v[8:9], -v[149:150]
	v_add_f64 v[164:165], v[162:163], v[145:146]
	s_delay_alu instid0(VALU_DEP_3) | instskip(NEXT) | instid1(VALU_DEP_2)
	v_add_f64 v[147:148], v[147:148], -v[160:161]
	v_add_f64 v[149:150], v[164:165], -v[162:163]
	s_delay_alu instid0(VALU_DEP_2) | instskip(NEXT) | instid1(VALU_DEP_2)
	v_add_f64 v[8:9], v[8:9], v[147:148]
	v_add_f64 v[145:146], v[145:146], -v[149:150]
	s_delay_alu instid0(VALU_DEP_1) | instskip(NEXT) | instid1(VALU_DEP_1)
	v_add_f64 v[8:9], v[8:9], v[145:146]
	v_add_f64 v[8:9], v[164:165], v[8:9]
	s_delay_alu instid0(VALU_DEP_1) | instskip(SKIP_1) | instid1(VALU_DEP_2)
	v_dual_cndmask_b32 v9, v9, v7 :: v_dual_cndmask_b32 v8, v8, v6
	v_cmp_ngt_f64_e32 vcc_lo, -1.0, v[6:7]
	v_cndmask_b32_e32 v9, 0x7ff80000, v9, vcc_lo
	v_cmp_nge_f64_e32 vcc_lo, -1.0, v[6:7]
	s_delay_alu instid0(VALU_DEP_4) | instskip(SKIP_1) | instid1(VALU_DEP_4)
	v_cndmask_b32_e32 v8, 0, v8, vcc_lo
	v_cmp_neq_f64_e32 vcc_lo, -1.0, v[6:7]
	v_cndmask_b32_e32 v9, 0xfff00000, v9, vcc_lo
	s_delay_alu instid0(VALU_DEP_1)
	v_add_f64 v[6:7], v[4:5], v[8:9]
.LBB36_61:
	s_or_b32 exec_lo, exec_lo, s27
	s_delay_alu instid0(VALU_DEP_1)
	v_dual_mov_b32 v4, v6 :: v_dual_mov_b32 v5, v7
	v_dual_mov_b32 v8, v6 :: v_dual_mov_b32 v9, v7
.LBB36_62:
	s_or_b32 exec_lo, exec_lo, s26
	s_delay_alu instid0(VALU_DEP_1) | instskip(NEXT) | instid1(VALU_DEP_2)
	v_mov_b32_dpp v6, v8 row_shr:4 row_mask:0xf bank_mask:0xf
	v_mov_b32_dpp v7, v9 row_shr:4 row_mask:0xf bank_mask:0xf
	s_mov_b32 s26, exec_lo
	v_cmpx_lt_u32_e32 3, v144
	s_cbranch_execz .LBB36_66
; %bb.63:
	s_delay_alu instid0(VALU_DEP_2) | instskip(SKIP_3) | instid1(VALU_DEP_3)
	v_max_f64 v[8:9], v[6:7], v[6:7]
	v_max_f64 v[145:146], v[4:5], v[4:5]
	v_cmp_u_f64_e32 vcc_lo, v[6:7], v[6:7]
	v_cmp_u_f64_e64 s19, v[4:5], v[4:5]
	v_min_f64 v[147:148], v[8:9], v[145:146]
	v_max_f64 v[8:9], v[8:9], v[145:146]
	s_delay_alu instid0(VALU_DEP_2) | instskip(NEXT) | instid1(VALU_DEP_2)
	v_dual_cndmask_b32 v145, v147, v6 :: v_dual_cndmask_b32 v146, v148, v7
	v_dual_cndmask_b32 v147, v9, v7 :: v_dual_cndmask_b32 v148, v8, v6
	s_delay_alu instid0(VALU_DEP_2) | instskip(NEXT) | instid1(VALU_DEP_3)
	v_cndmask_b32_e64 v8, v145, v4, s19
	v_cndmask_b32_e64 v9, v146, v5, s19
	s_delay_alu instid0(VALU_DEP_3) | instskip(NEXT) | instid1(VALU_DEP_4)
	v_cndmask_b32_e64 v5, v147, v5, s19
	v_cndmask_b32_e64 v4, v148, v4, s19
	s_delay_alu instid0(VALU_DEP_3) | instskip(NEXT) | instid1(VALU_DEP_2)
	v_cmp_class_f64_e64 s19, v[8:9], 0x1f8
	v_cmp_neq_f64_e32 vcc_lo, v[8:9], v[4:5]
	s_delay_alu instid0(VALU_DEP_2) | instskip(NEXT) | instid1(SALU_CYCLE_1)
	s_or_b32 s19, vcc_lo, s19
	s_and_saveexec_b32 s27, s19
	s_cbranch_execz .LBB36_65
; %bb.64:
	v_add_f64 v[6:7], v[8:9], -v[4:5]
	s_mov_b32 s20, 0x652b82fe
	s_mov_b32 s21, 0x3ff71547
	;; [unrolled: 1-line block ×8, first 2 shown]
	s_delay_alu instid0(VALU_DEP_1) | instskip(SKIP_4) | instid1(VALU_DEP_3)
	v_mul_f64 v[8:9], v[6:7], s[20:21]
	s_mov_b32 s21, 0xbfe62e42
	s_mov_b32 s20, 0xfefa39ef
	v_cmp_nlt_f64_e32 vcc_lo, 0x40900000, v[6:7]
	v_cmp_ngt_f64_e64 s19, 0xc090cc00, v[6:7]
	v_rndne_f64_e32 v[8:9], v[8:9]
	s_delay_alu instid0(VALU_DEP_1) | instskip(SKIP_2) | instid1(VALU_DEP_2)
	v_fma_f64 v[145:146], v[8:9], s[20:21], v[6:7]
	v_cvt_i32_f64_e32 v149, v[8:9]
	s_mov_b32 s21, 0x3fe62e42
	v_fma_f64 v[145:146], v[8:9], s[22:23], v[145:146]
	s_mov_b32 s23, 0x3c7abc9e
	s_delay_alu instid0(VALU_DEP_1) | instskip(SKIP_4) | instid1(VALU_DEP_1)
	v_fma_f64 v[147:148], v[145:146], s[28:29], s[24:25]
	s_mov_b32 s24, 0x623fde64
	s_mov_b32 s25, 0x3ec71dee
	;; [unrolled: 1-line block ×4, first 2 shown]
	v_fma_f64 v[147:148], v[145:146], v[147:148], s[24:25]
	s_mov_b32 s24, 0x7c89e6b0
	s_mov_b32 s25, 0x3efa0199
	s_delay_alu instid0(VALU_DEP_1) | instid1(SALU_CYCLE_1)
	v_fma_f64 v[147:148], v[145:146], v[147:148], s[24:25]
	s_mov_b32 s24, 0x14761f6e
	s_mov_b32 s25, 0x3f2a01a0
	s_delay_alu instid0(VALU_DEP_1) | instid1(SALU_CYCLE_1)
	;; [unrolled: 4-line block ×7, first 2 shown]
	v_fma_f64 v[147:148], v[145:146], v[147:148], s[24:25]
	s_mov_b32 s25, 0x3fe55555
	s_mov_b32 s24, 0x55555555
	s_delay_alu instid0(VALU_DEP_1) | instskip(NEXT) | instid1(VALU_DEP_1)
	v_fma_f64 v[147:148], v[145:146], v[147:148], 1.0
	v_fma_f64 v[8:9], v[145:146], v[147:148], 1.0
	s_delay_alu instid0(VALU_DEP_1) | instskip(NEXT) | instid1(VALU_DEP_1)
	v_ldexp_f64 v[8:9], v[8:9], v149
	v_cndmask_b32_e32 v9, 0x7ff00000, v9, vcc_lo
	s_and_b32 vcc_lo, s19, vcc_lo
	s_delay_alu instid0(VALU_DEP_1) | instskip(NEXT) | instid1(VALU_DEP_3)
	v_cndmask_b32_e64 v7, 0, v9, s19
	v_cndmask_b32_e32 v6, 0, v8, vcc_lo
	s_delay_alu instid0(VALU_DEP_1) | instskip(NEXT) | instid1(VALU_DEP_1)
	v_add_f64 v[8:9], v[6:7], 1.0
	v_frexp_mant_f64_e32 v[145:146], v[8:9]
	v_frexp_exp_i32_f64_e32 v149, v[8:9]
	v_add_f64 v[147:148], v[8:9], -1.0
	s_delay_alu instid0(VALU_DEP_3) | instskip(SKIP_1) | instid1(VALU_DEP_2)
	v_cmp_gt_f64_e32 vcc_lo, s[24:25], v[145:146]
	s_mov_b32 s24, 0x55555780
	v_add_f64 v[145:146], v[147:148], -v[8:9]
	v_add_f64 v[147:148], v[6:7], -v[147:148]
	v_subrev_co_ci_u32_e32 v151, vcc_lo, 0, v149, vcc_lo
	s_delay_alu instid0(VALU_DEP_3) | instskip(SKIP_2) | instid1(VALU_DEP_2)
	v_add_f64 v[145:146], v[145:146], 1.0
	s_mov_b32 vcc_lo, 0xbf559e2b
	s_mov_b32 vcc_hi, 0x3fc3ab76
	v_sub_nc_u32_e32 v160, 0, v151
	s_delay_alu instid0(VALU_DEP_1) | instskip(NEXT) | instid1(VALU_DEP_3)
	v_ldexp_f64 v[8:9], v[8:9], v160
	v_add_f64 v[145:146], v[147:148], v[145:146]
	s_delay_alu instid0(VALU_DEP_2) | instskip(SKIP_1) | instid1(VALU_DEP_3)
	v_add_f64 v[149:150], v[8:9], 1.0
	v_add_f64 v[164:165], v[8:9], -1.0
	v_ldexp_f64 v[145:146], v[145:146], v160
	s_delay_alu instid0(VALU_DEP_3) | instskip(NEXT) | instid1(VALU_DEP_3)
	v_add_f64 v[147:148], v[149:150], -1.0
	v_add_f64 v[166:167], v[164:165], 1.0
	s_delay_alu instid0(VALU_DEP_2) | instskip(NEXT) | instid1(VALU_DEP_2)
	v_add_f64 v[147:148], v[8:9], -v[147:148]
	v_add_f64 v[8:9], v[8:9], -v[166:167]
	s_delay_alu instid0(VALU_DEP_2) | instskip(NEXT) | instid1(VALU_DEP_2)
	v_add_f64 v[147:148], v[145:146], v[147:148]
	v_add_f64 v[8:9], v[145:146], v[8:9]
	s_delay_alu instid0(VALU_DEP_2) | instskip(NEXT) | instid1(VALU_DEP_2)
	v_add_f64 v[160:161], v[149:150], v[147:148]
	v_add_f64 v[166:167], v[164:165], v[8:9]
	s_delay_alu instid0(VALU_DEP_2) | instskip(SKIP_1) | instid1(VALU_DEP_2)
	v_rcp_f64_e32 v[162:163], v[160:161]
	v_add_f64 v[149:150], v[160:161], -v[149:150]
	v_add_f64 v[164:165], v[166:167], -v[164:165]
	s_delay_alu instid0(VALU_DEP_2) | instskip(SKIP_3) | instid1(VALU_DEP_2)
	v_add_f64 v[147:148], v[147:148], -v[149:150]
	s_waitcnt_depctr 0xfff
	v_fma_f64 v[176:177], -v[160:161], v[162:163], 1.0
	v_add_f64 v[8:9], v[8:9], -v[164:165]
	v_fma_f64 v[162:163], v[176:177], v[162:163], v[162:163]
	s_delay_alu instid0(VALU_DEP_1) | instskip(NEXT) | instid1(VALU_DEP_1)
	v_fma_f64 v[145:146], -v[160:161], v[162:163], 1.0
	v_fma_f64 v[145:146], v[145:146], v[162:163], v[162:163]
	s_delay_alu instid0(VALU_DEP_1) | instskip(NEXT) | instid1(VALU_DEP_1)
	v_mul_f64 v[162:163], v[166:167], v[145:146]
	v_mul_f64 v[176:177], v[160:161], v[162:163]
	s_delay_alu instid0(VALU_DEP_1) | instskip(NEXT) | instid1(VALU_DEP_1)
	v_fma_f64 v[149:150], v[162:163], v[160:161], -v[176:177]
	v_fma_f64 v[149:150], v[162:163], v[147:148], v[149:150]
	s_delay_alu instid0(VALU_DEP_1) | instskip(NEXT) | instid1(VALU_DEP_1)
	v_add_f64 v[213:214], v[176:177], v[149:150]
	v_add_f64 v[224:225], v[166:167], -v[213:214]
	v_add_f64 v[164:165], v[213:214], -v[176:177]
	s_delay_alu instid0(VALU_DEP_2) | instskip(NEXT) | instid1(VALU_DEP_2)
	v_add_f64 v[166:167], v[166:167], -v[224:225]
	v_add_f64 v[149:150], v[164:165], -v[149:150]
	s_delay_alu instid0(VALU_DEP_2) | instskip(NEXT) | instid1(VALU_DEP_1)
	v_add_f64 v[166:167], v[166:167], -v[213:214]
	v_add_f64 v[8:9], v[8:9], v[166:167]
	s_delay_alu instid0(VALU_DEP_1) | instskip(NEXT) | instid1(VALU_DEP_1)
	v_add_f64 v[8:9], v[149:150], v[8:9]
	v_add_f64 v[149:150], v[224:225], v[8:9]
	s_delay_alu instid0(VALU_DEP_1) | instskip(SKIP_1) | instid1(VALU_DEP_2)
	v_mul_f64 v[164:165], v[145:146], v[149:150]
	v_add_f64 v[213:214], v[224:225], -v[149:150]
	v_mul_f64 v[166:167], v[160:161], v[164:165]
	s_delay_alu instid0(VALU_DEP_2) | instskip(NEXT) | instid1(VALU_DEP_2)
	v_add_f64 v[8:9], v[8:9], v[213:214]
	v_fma_f64 v[160:161], v[164:165], v[160:161], -v[166:167]
	s_delay_alu instid0(VALU_DEP_1) | instskip(NEXT) | instid1(VALU_DEP_1)
	v_fma_f64 v[147:148], v[164:165], v[147:148], v[160:161]
	v_add_f64 v[160:161], v[166:167], v[147:148]
	s_delay_alu instid0(VALU_DEP_1) | instskip(SKIP_1) | instid1(VALU_DEP_2)
	v_add_f64 v[176:177], v[149:150], -v[160:161]
	v_add_f64 v[166:167], v[160:161], -v[166:167]
	;; [unrolled: 1-line block ×3, first 2 shown]
	s_delay_alu instid0(VALU_DEP_2) | instskip(NEXT) | instid1(VALU_DEP_2)
	v_add_f64 v[147:148], v[166:167], -v[147:148]
	v_add_f64 v[149:150], v[149:150], -v[160:161]
	s_delay_alu instid0(VALU_DEP_1) | instskip(SKIP_1) | instid1(VALU_DEP_2)
	v_add_f64 v[8:9], v[8:9], v[149:150]
	v_add_f64 v[149:150], v[162:163], v[164:165]
	;; [unrolled: 1-line block ×3, first 2 shown]
	s_delay_alu instid0(VALU_DEP_2) | instskip(NEXT) | instid1(VALU_DEP_2)
	v_add_f64 v[147:148], v[149:150], -v[162:163]
	v_add_f64 v[8:9], v[176:177], v[8:9]
	s_delay_alu instid0(VALU_DEP_2) | instskip(NEXT) | instid1(VALU_DEP_2)
	v_add_f64 v[147:148], v[164:165], -v[147:148]
	v_mul_f64 v[8:9], v[145:146], v[8:9]
	s_delay_alu instid0(VALU_DEP_1) | instskip(NEXT) | instid1(VALU_DEP_1)
	v_add_f64 v[8:9], v[147:148], v[8:9]
	v_add_f64 v[145:146], v[149:150], v[8:9]
	s_delay_alu instid0(VALU_DEP_1) | instskip(NEXT) | instid1(VALU_DEP_1)
	v_mul_f64 v[147:148], v[145:146], v[145:146]
	v_fma_f64 v[160:161], v[147:148], vcc, s[28:29]
	s_mov_b32 s28, 0xd7f4df2e
	s_mov_b32 s29, 0x3fc7474d
	v_mul_f64 v[162:163], v[145:146], v[147:148]
	v_cmp_eq_f64_e32 vcc_lo, 0x7ff00000, v[6:7]
	s_delay_alu instid0(VALU_DEP_3)
	v_fma_f64 v[160:161], v[147:148], v[160:161], s[28:29]
	s_mov_b32 s28, 0x16291751
	s_mov_b32 s29, 0x3fcc71c0
	s_delay_alu instid0(VALU_DEP_1) | instid1(SALU_CYCLE_1)
	v_fma_f64 v[160:161], v[147:148], v[160:161], s[28:29]
	s_mov_b32 s28, 0x9b27acf1
	s_mov_b32 s29, 0x3fd24924
	s_delay_alu instid0(VALU_DEP_1) | instid1(SALU_CYCLE_1)
	;; [unrolled: 4-line block ×3, first 2 shown]
	v_fma_f64 v[160:161], v[147:148], v[160:161], s[28:29]
	s_delay_alu instid0(VALU_DEP_1) | instskip(SKIP_2) | instid1(VALU_DEP_3)
	v_fma_f64 v[147:148], v[147:148], v[160:161], s[24:25]
	v_ldexp_f64 v[160:161], v[145:146], 1
	v_add_f64 v[145:146], v[145:146], -v[149:150]
	v_mul_f64 v[147:148], v[162:163], v[147:148]
	v_cvt_f64_i32_e32 v[162:163], v151
	s_delay_alu instid0(VALU_DEP_3) | instskip(NEXT) | instid1(VALU_DEP_3)
	v_add_f64 v[8:9], v[8:9], -v[145:146]
	v_add_f64 v[149:150], v[160:161], v[147:148]
	s_delay_alu instid0(VALU_DEP_3) | instskip(NEXT) | instid1(VALU_DEP_3)
	v_mul_f64 v[164:165], v[162:163], s[20:21]
	v_ldexp_f64 v[8:9], v[8:9], 1
	s_delay_alu instid0(VALU_DEP_3) | instskip(NEXT) | instid1(VALU_DEP_3)
	v_add_f64 v[145:146], v[149:150], -v[160:161]
	v_fma_f64 v[160:161], v[162:163], s[20:21], -v[164:165]
	s_delay_alu instid0(VALU_DEP_2) | instskip(NEXT) | instid1(VALU_DEP_2)
	v_add_f64 v[145:146], v[147:148], -v[145:146]
	v_fma_f64 v[147:148], v[162:163], s[22:23], v[160:161]
	s_delay_alu instid0(VALU_DEP_2) | instskip(NEXT) | instid1(VALU_DEP_2)
	v_add_f64 v[8:9], v[8:9], v[145:146]
	v_add_f64 v[145:146], v[164:165], v[147:148]
	s_delay_alu instid0(VALU_DEP_2) | instskip(NEXT) | instid1(VALU_DEP_2)
	v_add_f64 v[160:161], v[149:150], v[8:9]
	v_add_f64 v[164:165], v[145:146], -v[164:165]
	s_delay_alu instid0(VALU_DEP_2) | instskip(SKIP_1) | instid1(VALU_DEP_3)
	v_add_f64 v[162:163], v[145:146], v[160:161]
	v_add_f64 v[149:150], v[160:161], -v[149:150]
	v_add_f64 v[147:148], v[147:148], -v[164:165]
	s_delay_alu instid0(VALU_DEP_3) | instskip(NEXT) | instid1(VALU_DEP_3)
	v_add_f64 v[166:167], v[162:163], -v[145:146]
	v_add_f64 v[8:9], v[8:9], -v[149:150]
	s_delay_alu instid0(VALU_DEP_2) | instskip(SKIP_1) | instid1(VALU_DEP_3)
	v_add_f64 v[176:177], v[162:163], -v[166:167]
	v_add_f64 v[149:150], v[160:161], -v[166:167]
	v_add_f64 v[160:161], v[147:148], v[8:9]
	s_delay_alu instid0(VALU_DEP_3) | instskip(NEXT) | instid1(VALU_DEP_1)
	v_add_f64 v[145:146], v[145:146], -v[176:177]
	v_add_f64 v[145:146], v[149:150], v[145:146]
	s_delay_alu instid0(VALU_DEP_3) | instskip(NEXT) | instid1(VALU_DEP_2)
	v_add_f64 v[149:150], v[160:161], -v[147:148]
	v_add_f64 v[145:146], v[160:161], v[145:146]
	s_delay_alu instid0(VALU_DEP_2) | instskip(SKIP_1) | instid1(VALU_DEP_3)
	v_add_f64 v[160:161], v[160:161], -v[149:150]
	v_add_f64 v[8:9], v[8:9], -v[149:150]
	v_add_f64 v[164:165], v[162:163], v[145:146]
	s_delay_alu instid0(VALU_DEP_3) | instskip(NEXT) | instid1(VALU_DEP_2)
	v_add_f64 v[147:148], v[147:148], -v[160:161]
	v_add_f64 v[149:150], v[164:165], -v[162:163]
	s_delay_alu instid0(VALU_DEP_2) | instskip(NEXT) | instid1(VALU_DEP_2)
	v_add_f64 v[8:9], v[8:9], v[147:148]
	v_add_f64 v[145:146], v[145:146], -v[149:150]
	s_delay_alu instid0(VALU_DEP_1) | instskip(NEXT) | instid1(VALU_DEP_1)
	v_add_f64 v[8:9], v[8:9], v[145:146]
	v_add_f64 v[8:9], v[164:165], v[8:9]
	s_delay_alu instid0(VALU_DEP_1) | instskip(SKIP_1) | instid1(VALU_DEP_2)
	v_dual_cndmask_b32 v9, v9, v7 :: v_dual_cndmask_b32 v8, v8, v6
	v_cmp_ngt_f64_e32 vcc_lo, -1.0, v[6:7]
	v_cndmask_b32_e32 v9, 0x7ff80000, v9, vcc_lo
	v_cmp_nge_f64_e32 vcc_lo, -1.0, v[6:7]
	s_delay_alu instid0(VALU_DEP_4) | instskip(SKIP_1) | instid1(VALU_DEP_4)
	v_cndmask_b32_e32 v8, 0, v8, vcc_lo
	v_cmp_neq_f64_e32 vcc_lo, -1.0, v[6:7]
	v_cndmask_b32_e32 v9, 0xfff00000, v9, vcc_lo
	s_delay_alu instid0(VALU_DEP_1)
	v_add_f64 v[6:7], v[4:5], v[8:9]
.LBB36_65:
	s_or_b32 exec_lo, exec_lo, s27
	s_delay_alu instid0(VALU_DEP_1)
	v_dual_mov_b32 v4, v6 :: v_dual_mov_b32 v5, v7
	v_dual_mov_b32 v8, v6 :: v_dual_mov_b32 v9, v7
.LBB36_66:
	s_or_b32 exec_lo, exec_lo, s26
	s_delay_alu instid0(VALU_DEP_1) | instskip(NEXT) | instid1(VALU_DEP_2)
	v_mov_b32_dpp v6, v8 row_shr:8 row_mask:0xf bank_mask:0xf
	v_mov_b32_dpp v7, v9 row_shr:8 row_mask:0xf bank_mask:0xf
	s_mov_b32 s26, exec_lo
	v_cmpx_lt_u32_e32 7, v144
	s_cbranch_execz .LBB36_70
; %bb.67:
	s_delay_alu instid0(VALU_DEP_2) | instskip(SKIP_3) | instid1(VALU_DEP_3)
	v_max_f64 v[8:9], v[6:7], v[6:7]
	v_max_f64 v[144:145], v[4:5], v[4:5]
	v_cmp_u_f64_e32 vcc_lo, v[6:7], v[6:7]
	v_cmp_u_f64_e64 s19, v[4:5], v[4:5]
	v_min_f64 v[146:147], v[8:9], v[144:145]
	v_max_f64 v[8:9], v[8:9], v[144:145]
	s_delay_alu instid0(VALU_DEP_2) | instskip(NEXT) | instid1(VALU_DEP_2)
	v_dual_cndmask_b32 v144, v146, v6 :: v_dual_cndmask_b32 v145, v147, v7
	v_dual_cndmask_b32 v146, v9, v7 :: v_dual_cndmask_b32 v147, v8, v6
	s_delay_alu instid0(VALU_DEP_2) | instskip(NEXT) | instid1(VALU_DEP_3)
	v_cndmask_b32_e64 v8, v144, v4, s19
	v_cndmask_b32_e64 v9, v145, v5, s19
	s_delay_alu instid0(VALU_DEP_3) | instskip(NEXT) | instid1(VALU_DEP_4)
	v_cndmask_b32_e64 v5, v146, v5, s19
	v_cndmask_b32_e64 v4, v147, v4, s19
	s_delay_alu instid0(VALU_DEP_3) | instskip(NEXT) | instid1(VALU_DEP_2)
	v_cmp_class_f64_e64 s19, v[8:9], 0x1f8
	v_cmp_neq_f64_e32 vcc_lo, v[8:9], v[4:5]
	s_delay_alu instid0(VALU_DEP_2) | instskip(NEXT) | instid1(SALU_CYCLE_1)
	s_or_b32 s19, vcc_lo, s19
	s_and_saveexec_b32 s27, s19
	s_cbranch_execz .LBB36_69
; %bb.68:
	v_add_f64 v[6:7], v[8:9], -v[4:5]
	s_mov_b32 s20, 0x652b82fe
	s_mov_b32 s21, 0x3ff71547
	;; [unrolled: 1-line block ×8, first 2 shown]
	s_delay_alu instid0(VALU_DEP_1) | instskip(SKIP_4) | instid1(VALU_DEP_3)
	v_mul_f64 v[8:9], v[6:7], s[20:21]
	s_mov_b32 s21, 0xbfe62e42
	s_mov_b32 s20, 0xfefa39ef
	v_cmp_nlt_f64_e32 vcc_lo, 0x40900000, v[6:7]
	v_cmp_ngt_f64_e64 s19, 0xc090cc00, v[6:7]
	v_rndne_f64_e32 v[8:9], v[8:9]
	s_delay_alu instid0(VALU_DEP_1) | instskip(SKIP_2) | instid1(VALU_DEP_2)
	v_fma_f64 v[144:145], v[8:9], s[20:21], v[6:7]
	v_cvt_i32_f64_e32 v148, v[8:9]
	s_mov_b32 s21, 0x3fe62e42
	v_fma_f64 v[144:145], v[8:9], s[22:23], v[144:145]
	s_mov_b32 s23, 0x3c7abc9e
	s_delay_alu instid0(VALU_DEP_1) | instskip(SKIP_4) | instid1(VALU_DEP_1)
	v_fma_f64 v[146:147], v[144:145], s[28:29], s[24:25]
	s_mov_b32 s24, 0x623fde64
	s_mov_b32 s25, 0x3ec71dee
	s_mov_b32 s28, 0x6b47b09a
	s_mov_b32 s29, 0x3fc38538
	v_fma_f64 v[146:147], v[144:145], v[146:147], s[24:25]
	s_mov_b32 s24, 0x7c89e6b0
	s_mov_b32 s25, 0x3efa0199
	s_delay_alu instid0(VALU_DEP_1) | instid1(SALU_CYCLE_1)
	v_fma_f64 v[146:147], v[144:145], v[146:147], s[24:25]
	s_mov_b32 s24, 0x14761f6e
	s_mov_b32 s25, 0x3f2a01a0
	s_delay_alu instid0(VALU_DEP_1) | instid1(SALU_CYCLE_1)
	v_fma_f64 v[146:147], v[144:145], v[146:147], s[24:25]
	s_mov_b32 s24, 0x1852b7b0
	s_mov_b32 s25, 0x3f56c16c
	s_delay_alu instid0(VALU_DEP_1) | instid1(SALU_CYCLE_1)
	v_fma_f64 v[146:147], v[144:145], v[146:147], s[24:25]
	s_mov_b32 s24, 0x11122322
	s_mov_b32 s25, 0x3f811111
	s_delay_alu instid0(VALU_DEP_1) | instid1(SALU_CYCLE_1)
	v_fma_f64 v[146:147], v[144:145], v[146:147], s[24:25]
	s_mov_b32 s24, 0x555502a1
	s_mov_b32 s25, 0x3fa55555
	s_delay_alu instid0(VALU_DEP_1) | instid1(SALU_CYCLE_1)
	v_fma_f64 v[146:147], v[144:145], v[146:147], s[24:25]
	s_mov_b32 s24, 0x55555511
	s_mov_b32 s25, 0x3fc55555
	s_delay_alu instid0(VALU_DEP_1) | instid1(SALU_CYCLE_1)
	v_fma_f64 v[146:147], v[144:145], v[146:147], s[24:25]
	s_mov_b32 s24, 11
	s_mov_b32 s25, 0x3fe00000
	s_delay_alu instid0(VALU_DEP_1) | instid1(SALU_CYCLE_1)
	v_fma_f64 v[146:147], v[144:145], v[146:147], s[24:25]
	s_mov_b32 s25, 0x3fe55555
	s_mov_b32 s24, 0x55555555
	s_delay_alu instid0(VALU_DEP_1) | instskip(NEXT) | instid1(VALU_DEP_1)
	v_fma_f64 v[146:147], v[144:145], v[146:147], 1.0
	v_fma_f64 v[8:9], v[144:145], v[146:147], 1.0
	s_delay_alu instid0(VALU_DEP_1) | instskip(NEXT) | instid1(VALU_DEP_1)
	v_ldexp_f64 v[8:9], v[8:9], v148
	v_cndmask_b32_e32 v9, 0x7ff00000, v9, vcc_lo
	s_and_b32 vcc_lo, s19, vcc_lo
	s_delay_alu instid0(VALU_DEP_1) | instskip(NEXT) | instid1(VALU_DEP_3)
	v_cndmask_b32_e64 v7, 0, v9, s19
	v_cndmask_b32_e32 v6, 0, v8, vcc_lo
	s_delay_alu instid0(VALU_DEP_1) | instskip(NEXT) | instid1(VALU_DEP_1)
	v_add_f64 v[8:9], v[6:7], 1.0
	v_frexp_mant_f64_e32 v[144:145], v[8:9]
	v_frexp_exp_i32_f64_e32 v148, v[8:9]
	v_add_f64 v[146:147], v[8:9], -1.0
	s_delay_alu instid0(VALU_DEP_3) | instskip(SKIP_1) | instid1(VALU_DEP_2)
	v_cmp_gt_f64_e32 vcc_lo, s[24:25], v[144:145]
	s_mov_b32 s24, 0x55555780
	v_add_f64 v[144:145], v[146:147], -v[8:9]
	v_add_f64 v[146:147], v[6:7], -v[146:147]
	v_subrev_co_ci_u32_e32 v215, vcc_lo, 0, v148, vcc_lo
	s_delay_alu instid0(VALU_DEP_3) | instskip(SKIP_2) | instid1(VALU_DEP_2)
	v_add_f64 v[144:145], v[144:145], 1.0
	s_mov_b32 vcc_lo, 0xbf559e2b
	s_mov_b32 vcc_hi, 0x3fc3ab76
	v_sub_nc_u32_e32 v150, 0, v215
	s_delay_alu instid0(VALU_DEP_1) | instskip(NEXT) | instid1(VALU_DEP_3)
	v_ldexp_f64 v[8:9], v[8:9], v150
	v_add_f64 v[144:145], v[146:147], v[144:145]
	s_delay_alu instid0(VALU_DEP_2) | instskip(SKIP_1) | instid1(VALU_DEP_3)
	v_add_f64 v[148:149], v[8:9], 1.0
	v_add_f64 v[162:163], v[8:9], -1.0
	v_ldexp_f64 v[144:145], v[144:145], v150
	s_delay_alu instid0(VALU_DEP_3) | instskip(NEXT) | instid1(VALU_DEP_3)
	v_add_f64 v[146:147], v[148:149], -1.0
	v_add_f64 v[164:165], v[162:163], 1.0
	s_delay_alu instid0(VALU_DEP_2) | instskip(NEXT) | instid1(VALU_DEP_2)
	v_add_f64 v[146:147], v[8:9], -v[146:147]
	v_add_f64 v[8:9], v[8:9], -v[164:165]
	s_delay_alu instid0(VALU_DEP_2) | instskip(NEXT) | instid1(VALU_DEP_2)
	v_add_f64 v[146:147], v[144:145], v[146:147]
	v_add_f64 v[8:9], v[144:145], v[8:9]
	s_delay_alu instid0(VALU_DEP_2) | instskip(NEXT) | instid1(VALU_DEP_2)
	v_add_f64 v[150:151], v[148:149], v[146:147]
	v_add_f64 v[164:165], v[162:163], v[8:9]
	s_delay_alu instid0(VALU_DEP_2) | instskip(SKIP_1) | instid1(VALU_DEP_2)
	v_rcp_f64_e32 v[160:161], v[150:151]
	v_add_f64 v[148:149], v[150:151], -v[148:149]
	v_add_f64 v[162:163], v[164:165], -v[162:163]
	s_delay_alu instid0(VALU_DEP_2) | instskip(SKIP_3) | instid1(VALU_DEP_2)
	v_add_f64 v[146:147], v[146:147], -v[148:149]
	s_waitcnt_depctr 0xfff
	v_fma_f64 v[166:167], -v[150:151], v[160:161], 1.0
	v_add_f64 v[8:9], v[8:9], -v[162:163]
	v_fma_f64 v[160:161], v[166:167], v[160:161], v[160:161]
	s_delay_alu instid0(VALU_DEP_1) | instskip(NEXT) | instid1(VALU_DEP_1)
	v_fma_f64 v[144:145], -v[150:151], v[160:161], 1.0
	v_fma_f64 v[144:145], v[144:145], v[160:161], v[160:161]
	s_delay_alu instid0(VALU_DEP_1) | instskip(NEXT) | instid1(VALU_DEP_1)
	v_mul_f64 v[160:161], v[164:165], v[144:145]
	v_mul_f64 v[166:167], v[150:151], v[160:161]
	s_delay_alu instid0(VALU_DEP_1) | instskip(NEXT) | instid1(VALU_DEP_1)
	v_fma_f64 v[148:149], v[160:161], v[150:151], -v[166:167]
	v_fma_f64 v[148:149], v[160:161], v[146:147], v[148:149]
	s_delay_alu instid0(VALU_DEP_1) | instskip(NEXT) | instid1(VALU_DEP_1)
	v_add_f64 v[176:177], v[166:167], v[148:149]
	v_add_f64 v[213:214], v[164:165], -v[176:177]
	v_add_f64 v[162:163], v[176:177], -v[166:167]
	s_delay_alu instid0(VALU_DEP_2) | instskip(NEXT) | instid1(VALU_DEP_2)
	v_add_f64 v[164:165], v[164:165], -v[213:214]
	v_add_f64 v[148:149], v[162:163], -v[148:149]
	s_delay_alu instid0(VALU_DEP_2) | instskip(NEXT) | instid1(VALU_DEP_1)
	v_add_f64 v[164:165], v[164:165], -v[176:177]
	v_add_f64 v[8:9], v[8:9], v[164:165]
	s_delay_alu instid0(VALU_DEP_1) | instskip(NEXT) | instid1(VALU_DEP_1)
	v_add_f64 v[8:9], v[148:149], v[8:9]
	v_add_f64 v[148:149], v[213:214], v[8:9]
	s_delay_alu instid0(VALU_DEP_1) | instskip(SKIP_1) | instid1(VALU_DEP_2)
	v_mul_f64 v[162:163], v[144:145], v[148:149]
	v_add_f64 v[176:177], v[213:214], -v[148:149]
	v_mul_f64 v[164:165], v[150:151], v[162:163]
	s_delay_alu instid0(VALU_DEP_2) | instskip(NEXT) | instid1(VALU_DEP_2)
	v_add_f64 v[8:9], v[8:9], v[176:177]
	v_fma_f64 v[150:151], v[162:163], v[150:151], -v[164:165]
	s_delay_alu instid0(VALU_DEP_1) | instskip(NEXT) | instid1(VALU_DEP_1)
	v_fma_f64 v[146:147], v[162:163], v[146:147], v[150:151]
	v_add_f64 v[150:151], v[164:165], v[146:147]
	s_delay_alu instid0(VALU_DEP_1) | instskip(SKIP_1) | instid1(VALU_DEP_2)
	v_add_f64 v[166:167], v[148:149], -v[150:151]
	v_add_f64 v[164:165], v[150:151], -v[164:165]
	;; [unrolled: 1-line block ×3, first 2 shown]
	s_delay_alu instid0(VALU_DEP_2) | instskip(NEXT) | instid1(VALU_DEP_2)
	v_add_f64 v[146:147], v[164:165], -v[146:147]
	v_add_f64 v[148:149], v[148:149], -v[150:151]
	s_delay_alu instid0(VALU_DEP_1) | instskip(SKIP_1) | instid1(VALU_DEP_2)
	v_add_f64 v[8:9], v[8:9], v[148:149]
	v_add_f64 v[148:149], v[160:161], v[162:163]
	;; [unrolled: 1-line block ×3, first 2 shown]
	s_delay_alu instid0(VALU_DEP_2) | instskip(NEXT) | instid1(VALU_DEP_2)
	v_add_f64 v[146:147], v[148:149], -v[160:161]
	v_add_f64 v[8:9], v[166:167], v[8:9]
	s_delay_alu instid0(VALU_DEP_2) | instskip(NEXT) | instid1(VALU_DEP_2)
	v_add_f64 v[146:147], v[162:163], -v[146:147]
	v_mul_f64 v[8:9], v[144:145], v[8:9]
	s_delay_alu instid0(VALU_DEP_1) | instskip(NEXT) | instid1(VALU_DEP_1)
	v_add_f64 v[8:9], v[146:147], v[8:9]
	v_add_f64 v[144:145], v[148:149], v[8:9]
	s_delay_alu instid0(VALU_DEP_1) | instskip(NEXT) | instid1(VALU_DEP_1)
	v_mul_f64 v[146:147], v[144:145], v[144:145]
	v_fma_f64 v[150:151], v[146:147], vcc, s[28:29]
	s_mov_b32 s28, 0xd7f4df2e
	s_mov_b32 s29, 0x3fc7474d
	v_mul_f64 v[160:161], v[144:145], v[146:147]
	v_cmp_eq_f64_e32 vcc_lo, 0x7ff00000, v[6:7]
	s_delay_alu instid0(VALU_DEP_3)
	v_fma_f64 v[150:151], v[146:147], v[150:151], s[28:29]
	s_mov_b32 s28, 0x16291751
	s_mov_b32 s29, 0x3fcc71c0
	s_delay_alu instid0(VALU_DEP_1) | instid1(SALU_CYCLE_1)
	v_fma_f64 v[150:151], v[146:147], v[150:151], s[28:29]
	s_mov_b32 s28, 0x9b27acf1
	s_mov_b32 s29, 0x3fd24924
	s_delay_alu instid0(VALU_DEP_1) | instid1(SALU_CYCLE_1)
	;; [unrolled: 4-line block ×3, first 2 shown]
	v_fma_f64 v[150:151], v[146:147], v[150:151], s[28:29]
	s_delay_alu instid0(VALU_DEP_1) | instskip(SKIP_2) | instid1(VALU_DEP_3)
	v_fma_f64 v[146:147], v[146:147], v[150:151], s[24:25]
	v_ldexp_f64 v[150:151], v[144:145], 1
	v_add_f64 v[144:145], v[144:145], -v[148:149]
	v_mul_f64 v[146:147], v[160:161], v[146:147]
	v_cvt_f64_i32_e32 v[160:161], v215
	s_delay_alu instid0(VALU_DEP_3) | instskip(NEXT) | instid1(VALU_DEP_3)
	v_add_f64 v[8:9], v[8:9], -v[144:145]
	v_add_f64 v[148:149], v[150:151], v[146:147]
	s_delay_alu instid0(VALU_DEP_3) | instskip(NEXT) | instid1(VALU_DEP_3)
	v_mul_f64 v[162:163], v[160:161], s[20:21]
	v_ldexp_f64 v[8:9], v[8:9], 1
	s_delay_alu instid0(VALU_DEP_3) | instskip(NEXT) | instid1(VALU_DEP_3)
	v_add_f64 v[144:145], v[148:149], -v[150:151]
	v_fma_f64 v[150:151], v[160:161], s[20:21], -v[162:163]
	s_delay_alu instid0(VALU_DEP_2) | instskip(NEXT) | instid1(VALU_DEP_2)
	v_add_f64 v[144:145], v[146:147], -v[144:145]
	v_fma_f64 v[146:147], v[160:161], s[22:23], v[150:151]
	s_delay_alu instid0(VALU_DEP_2) | instskip(NEXT) | instid1(VALU_DEP_2)
	v_add_f64 v[8:9], v[8:9], v[144:145]
	v_add_f64 v[144:145], v[162:163], v[146:147]
	s_delay_alu instid0(VALU_DEP_2) | instskip(NEXT) | instid1(VALU_DEP_2)
	v_add_f64 v[150:151], v[148:149], v[8:9]
	v_add_f64 v[162:163], v[144:145], -v[162:163]
	s_delay_alu instid0(VALU_DEP_2) | instskip(SKIP_1) | instid1(VALU_DEP_3)
	v_add_f64 v[160:161], v[144:145], v[150:151]
	v_add_f64 v[148:149], v[150:151], -v[148:149]
	v_add_f64 v[146:147], v[146:147], -v[162:163]
	s_delay_alu instid0(VALU_DEP_3) | instskip(NEXT) | instid1(VALU_DEP_3)
	v_add_f64 v[164:165], v[160:161], -v[144:145]
	v_add_f64 v[8:9], v[8:9], -v[148:149]
	s_delay_alu instid0(VALU_DEP_2) | instskip(SKIP_1) | instid1(VALU_DEP_3)
	v_add_f64 v[166:167], v[160:161], -v[164:165]
	v_add_f64 v[148:149], v[150:151], -v[164:165]
	v_add_f64 v[150:151], v[146:147], v[8:9]
	s_delay_alu instid0(VALU_DEP_3) | instskip(NEXT) | instid1(VALU_DEP_1)
	v_add_f64 v[144:145], v[144:145], -v[166:167]
	v_add_f64 v[144:145], v[148:149], v[144:145]
	s_delay_alu instid0(VALU_DEP_3) | instskip(NEXT) | instid1(VALU_DEP_2)
	v_add_f64 v[148:149], v[150:151], -v[146:147]
	v_add_f64 v[144:145], v[150:151], v[144:145]
	s_delay_alu instid0(VALU_DEP_2) | instskip(SKIP_1) | instid1(VALU_DEP_3)
	v_add_f64 v[150:151], v[150:151], -v[148:149]
	v_add_f64 v[8:9], v[8:9], -v[148:149]
	v_add_f64 v[162:163], v[160:161], v[144:145]
	s_delay_alu instid0(VALU_DEP_3) | instskip(NEXT) | instid1(VALU_DEP_2)
	v_add_f64 v[146:147], v[146:147], -v[150:151]
	v_add_f64 v[148:149], v[162:163], -v[160:161]
	s_delay_alu instid0(VALU_DEP_2) | instskip(NEXT) | instid1(VALU_DEP_2)
	v_add_f64 v[8:9], v[8:9], v[146:147]
	v_add_f64 v[144:145], v[144:145], -v[148:149]
	s_delay_alu instid0(VALU_DEP_1) | instskip(NEXT) | instid1(VALU_DEP_1)
	v_add_f64 v[8:9], v[8:9], v[144:145]
	v_add_f64 v[8:9], v[162:163], v[8:9]
	s_delay_alu instid0(VALU_DEP_1) | instskip(SKIP_1) | instid1(VALU_DEP_2)
	v_dual_cndmask_b32 v9, v9, v7 :: v_dual_cndmask_b32 v8, v8, v6
	v_cmp_ngt_f64_e32 vcc_lo, -1.0, v[6:7]
	v_cndmask_b32_e32 v9, 0x7ff80000, v9, vcc_lo
	v_cmp_nge_f64_e32 vcc_lo, -1.0, v[6:7]
	s_delay_alu instid0(VALU_DEP_4) | instskip(SKIP_1) | instid1(VALU_DEP_4)
	v_cndmask_b32_e32 v8, 0, v8, vcc_lo
	v_cmp_neq_f64_e32 vcc_lo, -1.0, v[6:7]
	v_cndmask_b32_e32 v9, 0xfff00000, v9, vcc_lo
	s_delay_alu instid0(VALU_DEP_1)
	v_add_f64 v[6:7], v[4:5], v[8:9]
.LBB36_69:
	s_or_b32 exec_lo, exec_lo, s27
	s_delay_alu instid0(VALU_DEP_1)
	v_dual_mov_b32 v8, v6 :: v_dual_mov_b32 v9, v7
	v_dual_mov_b32 v4, v6 :: v_dual_mov_b32 v5, v7
.LBB36_70:
	s_or_b32 exec_lo, exec_lo, s26
	ds_swizzle_b32 v6, v8 offset:swizzle(BROADCAST,32,15)
	ds_swizzle_b32 v7, v9 offset:swizzle(BROADCAST,32,15)
	v_and_b32_e32 v8, 16, v212
	s_mov_b32 s26, exec_lo
	s_delay_alu instid0(VALU_DEP_1)
	v_cmpx_ne_u32_e32 0, v8
	s_cbranch_execz .LBB36_74
; %bb.71:
	s_waitcnt lgkmcnt(0)
	v_max_f64 v[8:9], v[6:7], v[6:7]
	v_max_f64 v[144:145], v[4:5], v[4:5]
	v_cmp_u_f64_e32 vcc_lo, v[6:7], v[6:7]
	v_cmp_u_f64_e64 s19, v[4:5], v[4:5]
	s_delay_alu instid0(VALU_DEP_3) | instskip(SKIP_1) | instid1(VALU_DEP_2)
	v_min_f64 v[146:147], v[8:9], v[144:145]
	v_max_f64 v[8:9], v[8:9], v[144:145]
	v_dual_cndmask_b32 v144, v146, v6 :: v_dual_cndmask_b32 v145, v147, v7
	s_delay_alu instid0(VALU_DEP_2) | instskip(NEXT) | instid1(VALU_DEP_2)
	v_dual_cndmask_b32 v146, v9, v7 :: v_dual_cndmask_b32 v147, v8, v6
	v_cndmask_b32_e64 v8, v144, v4, s19
	s_delay_alu instid0(VALU_DEP_3) | instskip(NEXT) | instid1(VALU_DEP_3)
	v_cndmask_b32_e64 v9, v145, v5, s19
	v_cndmask_b32_e64 v5, v146, v5, s19
	s_delay_alu instid0(VALU_DEP_4) | instskip(NEXT) | instid1(VALU_DEP_3)
	v_cndmask_b32_e64 v4, v147, v4, s19
	v_cmp_class_f64_e64 s19, v[8:9], 0x1f8
	s_delay_alu instid0(VALU_DEP_2) | instskip(NEXT) | instid1(VALU_DEP_2)
	v_cmp_neq_f64_e32 vcc_lo, v[8:9], v[4:5]
	s_or_b32 s19, vcc_lo, s19
	s_delay_alu instid0(SALU_CYCLE_1)
	s_and_saveexec_b32 s27, s19
	s_cbranch_execz .LBB36_73
; %bb.72:
	v_add_f64 v[6:7], v[8:9], -v[4:5]
	s_mov_b32 s20, 0x652b82fe
	s_mov_b32 s21, 0x3ff71547
	;; [unrolled: 1-line block ×8, first 2 shown]
	s_delay_alu instid0(VALU_DEP_1) | instskip(SKIP_4) | instid1(VALU_DEP_3)
	v_mul_f64 v[8:9], v[6:7], s[20:21]
	s_mov_b32 s21, 0xbfe62e42
	s_mov_b32 s20, 0xfefa39ef
	v_cmp_nlt_f64_e32 vcc_lo, 0x40900000, v[6:7]
	v_cmp_ngt_f64_e64 s19, 0xc090cc00, v[6:7]
	v_rndne_f64_e32 v[8:9], v[8:9]
	s_delay_alu instid0(VALU_DEP_1) | instskip(SKIP_2) | instid1(VALU_DEP_2)
	v_fma_f64 v[144:145], v[8:9], s[20:21], v[6:7]
	v_cvt_i32_f64_e32 v148, v[8:9]
	s_mov_b32 s21, 0x3fe62e42
	v_fma_f64 v[144:145], v[8:9], s[22:23], v[144:145]
	s_mov_b32 s23, 0x3c7abc9e
	s_delay_alu instid0(VALU_DEP_1) | instskip(SKIP_4) | instid1(VALU_DEP_1)
	v_fma_f64 v[146:147], v[144:145], s[28:29], s[24:25]
	s_mov_b32 s24, 0x623fde64
	s_mov_b32 s25, 0x3ec71dee
	;; [unrolled: 1-line block ×4, first 2 shown]
	v_fma_f64 v[146:147], v[144:145], v[146:147], s[24:25]
	s_mov_b32 s24, 0x7c89e6b0
	s_mov_b32 s25, 0x3efa0199
	s_delay_alu instid0(VALU_DEP_1) | instid1(SALU_CYCLE_1)
	v_fma_f64 v[146:147], v[144:145], v[146:147], s[24:25]
	s_mov_b32 s24, 0x14761f6e
	s_mov_b32 s25, 0x3f2a01a0
	s_delay_alu instid0(VALU_DEP_1) | instid1(SALU_CYCLE_1)
	;; [unrolled: 4-line block ×7, first 2 shown]
	v_fma_f64 v[146:147], v[144:145], v[146:147], s[24:25]
	s_mov_b32 s25, 0x3fe55555
	s_mov_b32 s24, 0x55555555
	s_delay_alu instid0(VALU_DEP_1) | instskip(NEXT) | instid1(VALU_DEP_1)
	v_fma_f64 v[146:147], v[144:145], v[146:147], 1.0
	v_fma_f64 v[8:9], v[144:145], v[146:147], 1.0
	s_delay_alu instid0(VALU_DEP_1) | instskip(NEXT) | instid1(VALU_DEP_1)
	v_ldexp_f64 v[8:9], v[8:9], v148
	v_cndmask_b32_e32 v9, 0x7ff00000, v9, vcc_lo
	s_and_b32 vcc_lo, s19, vcc_lo
	s_delay_alu instid0(VALU_DEP_1) | instskip(NEXT) | instid1(VALU_DEP_3)
	v_cndmask_b32_e64 v7, 0, v9, s19
	v_cndmask_b32_e32 v6, 0, v8, vcc_lo
	s_delay_alu instid0(VALU_DEP_1) | instskip(NEXT) | instid1(VALU_DEP_1)
	v_add_f64 v[8:9], v[6:7], 1.0
	v_frexp_mant_f64_e32 v[144:145], v[8:9]
	v_frexp_exp_i32_f64_e32 v148, v[8:9]
	v_add_f64 v[146:147], v[8:9], -1.0
	s_delay_alu instid0(VALU_DEP_3) | instskip(SKIP_1) | instid1(VALU_DEP_2)
	v_cmp_gt_f64_e32 vcc_lo, s[24:25], v[144:145]
	s_mov_b32 s24, 0x55555780
	v_add_f64 v[144:145], v[146:147], -v[8:9]
	v_add_f64 v[146:147], v[6:7], -v[146:147]
	v_subrev_co_ci_u32_e32 v215, vcc_lo, 0, v148, vcc_lo
	s_delay_alu instid0(VALU_DEP_3) | instskip(SKIP_2) | instid1(VALU_DEP_2)
	v_add_f64 v[144:145], v[144:145], 1.0
	s_mov_b32 vcc_lo, 0xbf559e2b
	s_mov_b32 vcc_hi, 0x3fc3ab76
	v_sub_nc_u32_e32 v150, 0, v215
	s_delay_alu instid0(VALU_DEP_1) | instskip(NEXT) | instid1(VALU_DEP_3)
	v_ldexp_f64 v[8:9], v[8:9], v150
	v_add_f64 v[144:145], v[146:147], v[144:145]
	s_delay_alu instid0(VALU_DEP_2) | instskip(SKIP_1) | instid1(VALU_DEP_3)
	v_add_f64 v[148:149], v[8:9], 1.0
	v_add_f64 v[162:163], v[8:9], -1.0
	v_ldexp_f64 v[144:145], v[144:145], v150
	s_delay_alu instid0(VALU_DEP_3) | instskip(NEXT) | instid1(VALU_DEP_3)
	v_add_f64 v[146:147], v[148:149], -1.0
	v_add_f64 v[164:165], v[162:163], 1.0
	s_delay_alu instid0(VALU_DEP_2) | instskip(NEXT) | instid1(VALU_DEP_2)
	v_add_f64 v[146:147], v[8:9], -v[146:147]
	v_add_f64 v[8:9], v[8:9], -v[164:165]
	s_delay_alu instid0(VALU_DEP_2) | instskip(NEXT) | instid1(VALU_DEP_2)
	v_add_f64 v[146:147], v[144:145], v[146:147]
	v_add_f64 v[8:9], v[144:145], v[8:9]
	s_delay_alu instid0(VALU_DEP_2) | instskip(NEXT) | instid1(VALU_DEP_2)
	v_add_f64 v[150:151], v[148:149], v[146:147]
	v_add_f64 v[164:165], v[162:163], v[8:9]
	s_delay_alu instid0(VALU_DEP_2) | instskip(SKIP_1) | instid1(VALU_DEP_2)
	v_rcp_f64_e32 v[160:161], v[150:151]
	v_add_f64 v[148:149], v[150:151], -v[148:149]
	v_add_f64 v[162:163], v[164:165], -v[162:163]
	s_delay_alu instid0(VALU_DEP_2) | instskip(SKIP_3) | instid1(VALU_DEP_2)
	v_add_f64 v[146:147], v[146:147], -v[148:149]
	s_waitcnt_depctr 0xfff
	v_fma_f64 v[166:167], -v[150:151], v[160:161], 1.0
	v_add_f64 v[8:9], v[8:9], -v[162:163]
	v_fma_f64 v[160:161], v[166:167], v[160:161], v[160:161]
	s_delay_alu instid0(VALU_DEP_1) | instskip(NEXT) | instid1(VALU_DEP_1)
	v_fma_f64 v[144:145], -v[150:151], v[160:161], 1.0
	v_fma_f64 v[144:145], v[144:145], v[160:161], v[160:161]
	s_delay_alu instid0(VALU_DEP_1) | instskip(NEXT) | instid1(VALU_DEP_1)
	v_mul_f64 v[160:161], v[164:165], v[144:145]
	v_mul_f64 v[166:167], v[150:151], v[160:161]
	s_delay_alu instid0(VALU_DEP_1) | instskip(NEXT) | instid1(VALU_DEP_1)
	v_fma_f64 v[148:149], v[160:161], v[150:151], -v[166:167]
	v_fma_f64 v[148:149], v[160:161], v[146:147], v[148:149]
	s_delay_alu instid0(VALU_DEP_1) | instskip(NEXT) | instid1(VALU_DEP_1)
	v_add_f64 v[176:177], v[166:167], v[148:149]
	v_add_f64 v[213:214], v[164:165], -v[176:177]
	v_add_f64 v[162:163], v[176:177], -v[166:167]
	s_delay_alu instid0(VALU_DEP_2) | instskip(NEXT) | instid1(VALU_DEP_2)
	v_add_f64 v[164:165], v[164:165], -v[213:214]
	v_add_f64 v[148:149], v[162:163], -v[148:149]
	s_delay_alu instid0(VALU_DEP_2) | instskip(NEXT) | instid1(VALU_DEP_1)
	v_add_f64 v[164:165], v[164:165], -v[176:177]
	v_add_f64 v[8:9], v[8:9], v[164:165]
	s_delay_alu instid0(VALU_DEP_1) | instskip(NEXT) | instid1(VALU_DEP_1)
	v_add_f64 v[8:9], v[148:149], v[8:9]
	v_add_f64 v[148:149], v[213:214], v[8:9]
	s_delay_alu instid0(VALU_DEP_1) | instskip(SKIP_1) | instid1(VALU_DEP_2)
	v_mul_f64 v[162:163], v[144:145], v[148:149]
	v_add_f64 v[176:177], v[213:214], -v[148:149]
	v_mul_f64 v[164:165], v[150:151], v[162:163]
	s_delay_alu instid0(VALU_DEP_2) | instskip(NEXT) | instid1(VALU_DEP_2)
	v_add_f64 v[8:9], v[8:9], v[176:177]
	v_fma_f64 v[150:151], v[162:163], v[150:151], -v[164:165]
	s_delay_alu instid0(VALU_DEP_1) | instskip(NEXT) | instid1(VALU_DEP_1)
	v_fma_f64 v[146:147], v[162:163], v[146:147], v[150:151]
	v_add_f64 v[150:151], v[164:165], v[146:147]
	s_delay_alu instid0(VALU_DEP_1) | instskip(SKIP_1) | instid1(VALU_DEP_2)
	v_add_f64 v[166:167], v[148:149], -v[150:151]
	v_add_f64 v[164:165], v[150:151], -v[164:165]
	;; [unrolled: 1-line block ×3, first 2 shown]
	s_delay_alu instid0(VALU_DEP_2) | instskip(NEXT) | instid1(VALU_DEP_2)
	v_add_f64 v[146:147], v[164:165], -v[146:147]
	v_add_f64 v[148:149], v[148:149], -v[150:151]
	s_delay_alu instid0(VALU_DEP_1) | instskip(SKIP_1) | instid1(VALU_DEP_2)
	v_add_f64 v[8:9], v[8:9], v[148:149]
	v_add_f64 v[148:149], v[160:161], v[162:163]
	;; [unrolled: 1-line block ×3, first 2 shown]
	s_delay_alu instid0(VALU_DEP_2) | instskip(NEXT) | instid1(VALU_DEP_2)
	v_add_f64 v[146:147], v[148:149], -v[160:161]
	v_add_f64 v[8:9], v[166:167], v[8:9]
	s_delay_alu instid0(VALU_DEP_2) | instskip(NEXT) | instid1(VALU_DEP_2)
	v_add_f64 v[146:147], v[162:163], -v[146:147]
	v_mul_f64 v[8:9], v[144:145], v[8:9]
	s_delay_alu instid0(VALU_DEP_1) | instskip(NEXT) | instid1(VALU_DEP_1)
	v_add_f64 v[8:9], v[146:147], v[8:9]
	v_add_f64 v[144:145], v[148:149], v[8:9]
	s_delay_alu instid0(VALU_DEP_1) | instskip(NEXT) | instid1(VALU_DEP_1)
	v_mul_f64 v[146:147], v[144:145], v[144:145]
	v_fma_f64 v[150:151], v[146:147], vcc, s[28:29]
	s_mov_b32 s28, 0xd7f4df2e
	s_mov_b32 s29, 0x3fc7474d
	v_mul_f64 v[160:161], v[144:145], v[146:147]
	v_cmp_eq_f64_e32 vcc_lo, 0x7ff00000, v[6:7]
	s_delay_alu instid0(VALU_DEP_3)
	v_fma_f64 v[150:151], v[146:147], v[150:151], s[28:29]
	s_mov_b32 s28, 0x16291751
	s_mov_b32 s29, 0x3fcc71c0
	s_delay_alu instid0(VALU_DEP_1) | instid1(SALU_CYCLE_1)
	v_fma_f64 v[150:151], v[146:147], v[150:151], s[28:29]
	s_mov_b32 s28, 0x9b27acf1
	s_mov_b32 s29, 0x3fd24924
	s_delay_alu instid0(VALU_DEP_1) | instid1(SALU_CYCLE_1)
	;; [unrolled: 4-line block ×3, first 2 shown]
	v_fma_f64 v[150:151], v[146:147], v[150:151], s[28:29]
	s_delay_alu instid0(VALU_DEP_1) | instskip(SKIP_2) | instid1(VALU_DEP_3)
	v_fma_f64 v[146:147], v[146:147], v[150:151], s[24:25]
	v_ldexp_f64 v[150:151], v[144:145], 1
	v_add_f64 v[144:145], v[144:145], -v[148:149]
	v_mul_f64 v[146:147], v[160:161], v[146:147]
	v_cvt_f64_i32_e32 v[160:161], v215
	s_delay_alu instid0(VALU_DEP_3) | instskip(NEXT) | instid1(VALU_DEP_3)
	v_add_f64 v[8:9], v[8:9], -v[144:145]
	v_add_f64 v[148:149], v[150:151], v[146:147]
	s_delay_alu instid0(VALU_DEP_3) | instskip(NEXT) | instid1(VALU_DEP_3)
	v_mul_f64 v[162:163], v[160:161], s[20:21]
	v_ldexp_f64 v[8:9], v[8:9], 1
	s_delay_alu instid0(VALU_DEP_3) | instskip(NEXT) | instid1(VALU_DEP_3)
	v_add_f64 v[144:145], v[148:149], -v[150:151]
	v_fma_f64 v[150:151], v[160:161], s[20:21], -v[162:163]
	s_delay_alu instid0(VALU_DEP_2) | instskip(NEXT) | instid1(VALU_DEP_2)
	v_add_f64 v[144:145], v[146:147], -v[144:145]
	v_fma_f64 v[146:147], v[160:161], s[22:23], v[150:151]
	s_delay_alu instid0(VALU_DEP_2) | instskip(NEXT) | instid1(VALU_DEP_2)
	v_add_f64 v[8:9], v[8:9], v[144:145]
	v_add_f64 v[144:145], v[162:163], v[146:147]
	s_delay_alu instid0(VALU_DEP_2) | instskip(NEXT) | instid1(VALU_DEP_2)
	v_add_f64 v[150:151], v[148:149], v[8:9]
	v_add_f64 v[162:163], v[144:145], -v[162:163]
	s_delay_alu instid0(VALU_DEP_2) | instskip(SKIP_1) | instid1(VALU_DEP_3)
	v_add_f64 v[160:161], v[144:145], v[150:151]
	v_add_f64 v[148:149], v[150:151], -v[148:149]
	v_add_f64 v[146:147], v[146:147], -v[162:163]
	s_delay_alu instid0(VALU_DEP_3) | instskip(NEXT) | instid1(VALU_DEP_3)
	v_add_f64 v[164:165], v[160:161], -v[144:145]
	v_add_f64 v[8:9], v[8:9], -v[148:149]
	s_delay_alu instid0(VALU_DEP_2) | instskip(SKIP_1) | instid1(VALU_DEP_3)
	v_add_f64 v[166:167], v[160:161], -v[164:165]
	v_add_f64 v[148:149], v[150:151], -v[164:165]
	v_add_f64 v[150:151], v[146:147], v[8:9]
	s_delay_alu instid0(VALU_DEP_3) | instskip(NEXT) | instid1(VALU_DEP_1)
	v_add_f64 v[144:145], v[144:145], -v[166:167]
	v_add_f64 v[144:145], v[148:149], v[144:145]
	s_delay_alu instid0(VALU_DEP_3) | instskip(NEXT) | instid1(VALU_DEP_2)
	v_add_f64 v[148:149], v[150:151], -v[146:147]
	v_add_f64 v[144:145], v[150:151], v[144:145]
	s_delay_alu instid0(VALU_DEP_2) | instskip(SKIP_1) | instid1(VALU_DEP_3)
	v_add_f64 v[150:151], v[150:151], -v[148:149]
	v_add_f64 v[8:9], v[8:9], -v[148:149]
	v_add_f64 v[162:163], v[160:161], v[144:145]
	s_delay_alu instid0(VALU_DEP_3) | instskip(NEXT) | instid1(VALU_DEP_2)
	v_add_f64 v[146:147], v[146:147], -v[150:151]
	v_add_f64 v[148:149], v[162:163], -v[160:161]
	s_delay_alu instid0(VALU_DEP_2) | instskip(NEXT) | instid1(VALU_DEP_2)
	v_add_f64 v[8:9], v[8:9], v[146:147]
	v_add_f64 v[144:145], v[144:145], -v[148:149]
	s_delay_alu instid0(VALU_DEP_1) | instskip(NEXT) | instid1(VALU_DEP_1)
	v_add_f64 v[8:9], v[8:9], v[144:145]
	v_add_f64 v[8:9], v[162:163], v[8:9]
	s_delay_alu instid0(VALU_DEP_1) | instskip(SKIP_1) | instid1(VALU_DEP_2)
	v_dual_cndmask_b32 v9, v9, v7 :: v_dual_cndmask_b32 v8, v8, v6
	v_cmp_ngt_f64_e32 vcc_lo, -1.0, v[6:7]
	v_cndmask_b32_e32 v9, 0x7ff80000, v9, vcc_lo
	v_cmp_nge_f64_e32 vcc_lo, -1.0, v[6:7]
	s_delay_alu instid0(VALU_DEP_4) | instskip(SKIP_1) | instid1(VALU_DEP_4)
	v_cndmask_b32_e32 v8, 0, v8, vcc_lo
	v_cmp_neq_f64_e32 vcc_lo, -1.0, v[6:7]
	v_cndmask_b32_e32 v9, 0xfff00000, v9, vcc_lo
	s_delay_alu instid0(VALU_DEP_1)
	v_add_f64 v[6:7], v[4:5], v[8:9]
.LBB36_73:
	s_or_b32 exec_lo, exec_lo, s27
	s_delay_alu instid0(VALU_DEP_1)
	v_dual_mov_b32 v4, v6 :: v_dual_mov_b32 v5, v7
.LBB36_74:
	s_or_b32 exec_lo, exec_lo, s26
	s_waitcnt lgkmcnt(1)
	v_and_b32_e32 v6, 0x3e0, v128
	v_lshrrev_b32_e32 v146, 5, v128
	s_mov_b32 s19, exec_lo
	s_delay_alu instid0(VALU_DEP_2) | instskip(NEXT) | instid1(VALU_DEP_1)
	v_min_u32_e32 v6, 0xe0, v6
	v_or_b32_e32 v6, 31, v6
	s_delay_alu instid0(VALU_DEP_1)
	v_cmpx_eq_u32_e64 v6, v128
	s_cbranch_execz .LBB36_76
; %bb.75:
	v_lshlrev_b32_e32 v6, 3, v146
	ds_store_b64 v6, v[4:5]
.LBB36_76:
	s_or_b32 exec_lo, exec_lo, s19
	s_delay_alu instid0(SALU_CYCLE_1)
	s_mov_b32 s26, exec_lo
	s_waitcnt lgkmcnt(0)
	s_barrier
	buffer_gl0_inv
	v_cmpx_gt_u32_e32 8, v128
	s_cbranch_execz .LBB36_90
; %bb.77:
	ds_load_b64 v[6:7], v198
	v_and_b32_e32 v147, 7, v212
	s_mov_b32 s27, exec_lo
	s_waitcnt lgkmcnt(0)
	v_mov_b32_e32 v144, v6
	v_mov_b32_dpp v8, v6 row_shr:1 row_mask:0xf bank_mask:0xf
	v_mov_b32_dpp v9, v7 row_shr:1 row_mask:0xf bank_mask:0xf
	v_mov_b32_e32 v145, v7
	v_cmpx_ne_u32_e32 0, v147
	s_cbranch_execz .LBB36_81
; %bb.78:
	s_delay_alu instid0(VALU_DEP_3) | instskip(SKIP_3) | instid1(VALU_DEP_3)
	v_max_f64 v[144:145], v[8:9], v[8:9]
	v_max_f64 v[148:149], v[6:7], v[6:7]
	v_cmp_u_f64_e32 vcc_lo, v[8:9], v[8:9]
	v_cmp_u_f64_e64 s19, v[6:7], v[6:7]
	v_min_f64 v[150:151], v[144:145], v[148:149]
	v_max_f64 v[144:145], v[144:145], v[148:149]
	s_delay_alu instid0(VALU_DEP_2) | instskip(NEXT) | instid1(VALU_DEP_2)
	v_dual_cndmask_b32 v148, v150, v8 :: v_dual_cndmask_b32 v149, v151, v9
	v_dual_cndmask_b32 v150, v145, v9 :: v_dual_cndmask_b32 v151, v144, v8
	s_delay_alu instid0(VALU_DEP_2) | instskip(NEXT) | instid1(VALU_DEP_3)
	v_cndmask_b32_e64 v144, v148, v6, s19
	v_cndmask_b32_e64 v145, v149, v7, s19
	s_delay_alu instid0(VALU_DEP_3) | instskip(NEXT) | instid1(VALU_DEP_4)
	v_cndmask_b32_e64 v7, v150, v7, s19
	v_cndmask_b32_e64 v6, v151, v6, s19
	s_delay_alu instid0(VALU_DEP_3) | instskip(NEXT) | instid1(VALU_DEP_2)
	v_cmp_class_f64_e64 s19, v[144:145], 0x1f8
	v_cmp_neq_f64_e32 vcc_lo, v[144:145], v[6:7]
	s_delay_alu instid0(VALU_DEP_2) | instskip(NEXT) | instid1(SALU_CYCLE_1)
	s_or_b32 s19, vcc_lo, s19
	s_and_saveexec_b32 s28, s19
	s_cbranch_execz .LBB36_80
; %bb.79:
	v_add_f64 v[8:9], v[144:145], -v[6:7]
	s_mov_b32 s20, 0x652b82fe
	s_mov_b32 s21, 0x3ff71547
	;; [unrolled: 1-line block ×5, first 2 shown]
	s_mov_b32 vcc_lo, 0x6a5dcb37
	s_mov_b32 s25, 0x3e928af3
	s_mov_b32 vcc_hi, 0x3e5ade15
	s_mov_b32 s30, 0xbf559e2b
	s_mov_b32 s31, 0x3fc3ab76
	s_delay_alu instid0(VALU_DEP_1) | instskip(SKIP_3) | instid1(VALU_DEP_2)
	v_mul_f64 v[144:145], v[8:9], s[20:21]
	s_mov_b32 s21, 0xbfe62e42
	s_mov_b32 s20, 0xfefa39ef
	v_cmp_ngt_f64_e64 s19, 0xc090cc00, v[8:9]
	v_rndne_f64_e32 v[144:145], v[144:145]
	s_delay_alu instid0(VALU_DEP_1) | instskip(SKIP_2) | instid1(VALU_DEP_2)
	v_fma_f64 v[148:149], v[144:145], s[20:21], v[8:9]
	v_cvt_i32_f64_e32 v160, v[144:145]
	s_mov_b32 s21, 0x3fe62e42
	v_fma_f64 v[148:149], v[144:145], s[22:23], v[148:149]
	s_mov_b32 s23, 0x3c7abc9e
	s_delay_alu instid0(VALU_DEP_1) | instskip(SKIP_3) | instid1(VALU_DEP_2)
	v_fma_f64 v[150:151], v[148:149], vcc, s[24:25]
	s_mov_b32 s24, 0x623fde64
	s_mov_b32 s25, 0x3ec71dee
	v_cmp_nlt_f64_e32 vcc_lo, 0x40900000, v[8:9]
	v_fma_f64 v[150:151], v[148:149], v[150:151], s[24:25]
	s_mov_b32 s24, 0x7c89e6b0
	s_mov_b32 s25, 0x3efa0199
	s_delay_alu instid0(VALU_DEP_1) | instid1(SALU_CYCLE_1)
	v_fma_f64 v[150:151], v[148:149], v[150:151], s[24:25]
	s_mov_b32 s24, 0x14761f6e
	s_mov_b32 s25, 0x3f2a01a0
	s_delay_alu instid0(VALU_DEP_1) | instid1(SALU_CYCLE_1)
	;; [unrolled: 4-line block ×7, first 2 shown]
	v_fma_f64 v[150:151], v[148:149], v[150:151], s[24:25]
	s_mov_b32 s25, 0x3fe55555
	s_mov_b32 s24, 0x55555555
	s_delay_alu instid0(VALU_DEP_1) | instskip(NEXT) | instid1(VALU_DEP_1)
	v_fma_f64 v[150:151], v[148:149], v[150:151], 1.0
	v_fma_f64 v[144:145], v[148:149], v[150:151], 1.0
	s_delay_alu instid0(VALU_DEP_1) | instskip(NEXT) | instid1(VALU_DEP_1)
	v_ldexp_f64 v[144:145], v[144:145], v160
	v_cndmask_b32_e32 v145, 0x7ff00000, v145, vcc_lo
	s_and_b32 vcc_lo, s19, vcc_lo
	s_delay_alu instid0(VALU_DEP_1) | instskip(NEXT) | instid1(VALU_DEP_3)
	v_cndmask_b32_e64 v9, 0, v145, s19
	v_cndmask_b32_e32 v8, 0, v144, vcc_lo
	s_delay_alu instid0(VALU_DEP_1) | instskip(NEXT) | instid1(VALU_DEP_1)
	v_add_f64 v[144:145], v[8:9], 1.0
	v_frexp_mant_f64_e32 v[148:149], v[144:145]
	v_frexp_exp_i32_f64_e32 v160, v[144:145]
	v_add_f64 v[150:151], v[144:145], -1.0
	s_delay_alu instid0(VALU_DEP_3) | instskip(SKIP_1) | instid1(VALU_DEP_2)
	v_cmp_gt_f64_e32 vcc_lo, s[24:25], v[148:149]
	s_mov_b32 s24, 0x55555780
	v_add_f64 v[148:149], v[150:151], -v[144:145]
	v_add_f64 v[150:151], v[8:9], -v[150:151]
	v_subrev_co_ci_u32_e32 v215, vcc_lo, 0, v160, vcc_lo
	s_delay_alu instid0(VALU_DEP_3) | instskip(SKIP_2) | instid1(VALU_DEP_2)
	v_add_f64 v[148:149], v[148:149], 1.0
	s_mov_b32 vcc_lo, 0x6b47b09a
	s_mov_b32 vcc_hi, 0x3fc38538
	v_sub_nc_u32_e32 v162, 0, v215
	s_delay_alu instid0(VALU_DEP_1) | instskip(NEXT) | instid1(VALU_DEP_3)
	v_ldexp_f64 v[144:145], v[144:145], v162
	v_add_f64 v[148:149], v[150:151], v[148:149]
	s_delay_alu instid0(VALU_DEP_2) | instskip(SKIP_1) | instid1(VALU_DEP_3)
	v_add_f64 v[160:161], v[144:145], 1.0
	v_add_f64 v[166:167], v[144:145], -1.0
	v_ldexp_f64 v[148:149], v[148:149], v162
	s_delay_alu instid0(VALU_DEP_3) | instskip(NEXT) | instid1(VALU_DEP_3)
	v_add_f64 v[150:151], v[160:161], -1.0
	v_add_f64 v[176:177], v[166:167], 1.0
	s_delay_alu instid0(VALU_DEP_2) | instskip(NEXT) | instid1(VALU_DEP_2)
	v_add_f64 v[150:151], v[144:145], -v[150:151]
	v_add_f64 v[144:145], v[144:145], -v[176:177]
	s_delay_alu instid0(VALU_DEP_2) | instskip(NEXT) | instid1(VALU_DEP_2)
	v_add_f64 v[150:151], v[148:149], v[150:151]
	v_add_f64 v[144:145], v[148:149], v[144:145]
	s_delay_alu instid0(VALU_DEP_2) | instskip(NEXT) | instid1(VALU_DEP_2)
	v_add_f64 v[162:163], v[160:161], v[150:151]
	v_add_f64 v[176:177], v[166:167], v[144:145]
	s_delay_alu instid0(VALU_DEP_2) | instskip(SKIP_1) | instid1(VALU_DEP_2)
	v_rcp_f64_e32 v[164:165], v[162:163]
	v_add_f64 v[160:161], v[162:163], -v[160:161]
	v_add_f64 v[166:167], v[176:177], -v[166:167]
	s_delay_alu instid0(VALU_DEP_2) | instskip(SKIP_3) | instid1(VALU_DEP_2)
	v_add_f64 v[150:151], v[150:151], -v[160:161]
	s_waitcnt_depctr 0xfff
	v_fma_f64 v[213:214], -v[162:163], v[164:165], 1.0
	v_add_f64 v[144:145], v[144:145], -v[166:167]
	v_fma_f64 v[164:165], v[213:214], v[164:165], v[164:165]
	s_delay_alu instid0(VALU_DEP_1) | instskip(NEXT) | instid1(VALU_DEP_1)
	v_fma_f64 v[148:149], -v[162:163], v[164:165], 1.0
	v_fma_f64 v[148:149], v[148:149], v[164:165], v[164:165]
	s_delay_alu instid0(VALU_DEP_1) | instskip(NEXT) | instid1(VALU_DEP_1)
	v_mul_f64 v[164:165], v[176:177], v[148:149]
	v_mul_f64 v[213:214], v[162:163], v[164:165]
	s_delay_alu instid0(VALU_DEP_1) | instskip(NEXT) | instid1(VALU_DEP_1)
	v_fma_f64 v[160:161], v[164:165], v[162:163], -v[213:214]
	v_fma_f64 v[160:161], v[164:165], v[150:151], v[160:161]
	s_delay_alu instid0(VALU_DEP_1) | instskip(NEXT) | instid1(VALU_DEP_1)
	v_add_f64 v[224:225], v[213:214], v[160:161]
	v_add_f64 v[226:227], v[176:177], -v[224:225]
	v_add_f64 v[166:167], v[224:225], -v[213:214]
	s_delay_alu instid0(VALU_DEP_2) | instskip(NEXT) | instid1(VALU_DEP_2)
	v_add_f64 v[176:177], v[176:177], -v[226:227]
	v_add_f64 v[160:161], v[166:167], -v[160:161]
	s_delay_alu instid0(VALU_DEP_2) | instskip(NEXT) | instid1(VALU_DEP_1)
	v_add_f64 v[176:177], v[176:177], -v[224:225]
	v_add_f64 v[144:145], v[144:145], v[176:177]
	s_delay_alu instid0(VALU_DEP_1) | instskip(NEXT) | instid1(VALU_DEP_1)
	v_add_f64 v[144:145], v[160:161], v[144:145]
	v_add_f64 v[160:161], v[226:227], v[144:145]
	s_delay_alu instid0(VALU_DEP_1) | instskip(SKIP_1) | instid1(VALU_DEP_2)
	v_mul_f64 v[166:167], v[148:149], v[160:161]
	v_add_f64 v[224:225], v[226:227], -v[160:161]
	v_mul_f64 v[176:177], v[162:163], v[166:167]
	s_delay_alu instid0(VALU_DEP_2) | instskip(NEXT) | instid1(VALU_DEP_2)
	v_add_f64 v[144:145], v[144:145], v[224:225]
	v_fma_f64 v[162:163], v[166:167], v[162:163], -v[176:177]
	s_delay_alu instid0(VALU_DEP_1) | instskip(NEXT) | instid1(VALU_DEP_1)
	v_fma_f64 v[150:151], v[166:167], v[150:151], v[162:163]
	v_add_f64 v[162:163], v[176:177], v[150:151]
	s_delay_alu instid0(VALU_DEP_1) | instskip(SKIP_1) | instid1(VALU_DEP_2)
	v_add_f64 v[213:214], v[160:161], -v[162:163]
	v_add_f64 v[176:177], v[162:163], -v[176:177]
	;; [unrolled: 1-line block ×3, first 2 shown]
	s_delay_alu instid0(VALU_DEP_2) | instskip(NEXT) | instid1(VALU_DEP_2)
	v_add_f64 v[150:151], v[176:177], -v[150:151]
	v_add_f64 v[160:161], v[160:161], -v[162:163]
	s_delay_alu instid0(VALU_DEP_1) | instskip(SKIP_1) | instid1(VALU_DEP_2)
	v_add_f64 v[144:145], v[144:145], v[160:161]
	v_add_f64 v[160:161], v[164:165], v[166:167]
	;; [unrolled: 1-line block ×3, first 2 shown]
	s_delay_alu instid0(VALU_DEP_2) | instskip(NEXT) | instid1(VALU_DEP_2)
	v_add_f64 v[150:151], v[160:161], -v[164:165]
	v_add_f64 v[144:145], v[213:214], v[144:145]
	s_delay_alu instid0(VALU_DEP_2) | instskip(NEXT) | instid1(VALU_DEP_2)
	v_add_f64 v[150:151], v[166:167], -v[150:151]
	v_mul_f64 v[144:145], v[148:149], v[144:145]
	s_delay_alu instid0(VALU_DEP_1) | instskip(NEXT) | instid1(VALU_DEP_1)
	v_add_f64 v[144:145], v[150:151], v[144:145]
	v_add_f64 v[148:149], v[160:161], v[144:145]
	s_delay_alu instid0(VALU_DEP_1) | instskip(NEXT) | instid1(VALU_DEP_1)
	v_mul_f64 v[150:151], v[148:149], v[148:149]
	v_fma_f64 v[162:163], v[150:151], s[30:31], vcc
	s_mov_b32 vcc_lo, 0xd7f4df2e
	s_mov_b32 vcc_hi, 0x3fc7474d
	v_mul_f64 v[164:165], v[148:149], v[150:151]
	s_delay_alu instid0(VALU_DEP_2)
	v_fma_f64 v[162:163], v[150:151], v[162:163], vcc
	s_mov_b32 vcc_lo, 0x16291751
	s_mov_b32 vcc_hi, 0x3fcc71c0
	s_delay_alu instid0(VALU_DEP_1) | instid1(SALU_CYCLE_1)
	v_fma_f64 v[162:163], v[150:151], v[162:163], vcc
	s_mov_b32 vcc_lo, 0x9b27acf1
	s_mov_b32 vcc_hi, 0x3fd24924
	s_delay_alu instid0(VALU_DEP_1) | instid1(SALU_CYCLE_1)
	;; [unrolled: 4-line block ×3, first 2 shown]
	v_fma_f64 v[162:163], v[150:151], v[162:163], vcc
	v_cmp_eq_f64_e32 vcc_lo, 0x7ff00000, v[8:9]
	s_delay_alu instid0(VALU_DEP_2) | instskip(SKIP_2) | instid1(VALU_DEP_3)
	v_fma_f64 v[150:151], v[150:151], v[162:163], s[24:25]
	v_ldexp_f64 v[162:163], v[148:149], 1
	v_add_f64 v[148:149], v[148:149], -v[160:161]
	v_mul_f64 v[150:151], v[164:165], v[150:151]
	v_cvt_f64_i32_e32 v[164:165], v215
	s_delay_alu instid0(VALU_DEP_3) | instskip(NEXT) | instid1(VALU_DEP_3)
	v_add_f64 v[144:145], v[144:145], -v[148:149]
	v_add_f64 v[160:161], v[162:163], v[150:151]
	s_delay_alu instid0(VALU_DEP_3) | instskip(NEXT) | instid1(VALU_DEP_3)
	v_mul_f64 v[166:167], v[164:165], s[20:21]
	v_ldexp_f64 v[144:145], v[144:145], 1
	s_delay_alu instid0(VALU_DEP_3) | instskip(NEXT) | instid1(VALU_DEP_3)
	v_add_f64 v[148:149], v[160:161], -v[162:163]
	v_fma_f64 v[162:163], v[164:165], s[20:21], -v[166:167]
	s_delay_alu instid0(VALU_DEP_2) | instskip(NEXT) | instid1(VALU_DEP_2)
	v_add_f64 v[148:149], v[150:151], -v[148:149]
	v_fma_f64 v[150:151], v[164:165], s[22:23], v[162:163]
	s_delay_alu instid0(VALU_DEP_2) | instskip(NEXT) | instid1(VALU_DEP_2)
	v_add_f64 v[144:145], v[144:145], v[148:149]
	v_add_f64 v[148:149], v[166:167], v[150:151]
	s_delay_alu instid0(VALU_DEP_2) | instskip(NEXT) | instid1(VALU_DEP_2)
	v_add_f64 v[162:163], v[160:161], v[144:145]
	v_add_f64 v[166:167], v[148:149], -v[166:167]
	s_delay_alu instid0(VALU_DEP_2) | instskip(SKIP_1) | instid1(VALU_DEP_3)
	v_add_f64 v[164:165], v[148:149], v[162:163]
	v_add_f64 v[160:161], v[162:163], -v[160:161]
	v_add_f64 v[150:151], v[150:151], -v[166:167]
	s_delay_alu instid0(VALU_DEP_3) | instskip(NEXT) | instid1(VALU_DEP_3)
	v_add_f64 v[176:177], v[164:165], -v[148:149]
	v_add_f64 v[144:145], v[144:145], -v[160:161]
	s_delay_alu instid0(VALU_DEP_2) | instskip(SKIP_1) | instid1(VALU_DEP_3)
	v_add_f64 v[213:214], v[164:165], -v[176:177]
	v_add_f64 v[160:161], v[162:163], -v[176:177]
	v_add_f64 v[162:163], v[150:151], v[144:145]
	s_delay_alu instid0(VALU_DEP_3) | instskip(NEXT) | instid1(VALU_DEP_1)
	v_add_f64 v[148:149], v[148:149], -v[213:214]
	v_add_f64 v[148:149], v[160:161], v[148:149]
	s_delay_alu instid0(VALU_DEP_3) | instskip(NEXT) | instid1(VALU_DEP_2)
	v_add_f64 v[160:161], v[162:163], -v[150:151]
	v_add_f64 v[148:149], v[162:163], v[148:149]
	s_delay_alu instid0(VALU_DEP_2) | instskip(SKIP_1) | instid1(VALU_DEP_3)
	v_add_f64 v[162:163], v[162:163], -v[160:161]
	v_add_f64 v[144:145], v[144:145], -v[160:161]
	v_add_f64 v[166:167], v[164:165], v[148:149]
	s_delay_alu instid0(VALU_DEP_3) | instskip(NEXT) | instid1(VALU_DEP_2)
	v_add_f64 v[150:151], v[150:151], -v[162:163]
	v_add_f64 v[160:161], v[166:167], -v[164:165]
	s_delay_alu instid0(VALU_DEP_2) | instskip(NEXT) | instid1(VALU_DEP_2)
	v_add_f64 v[144:145], v[144:145], v[150:151]
	v_add_f64 v[148:149], v[148:149], -v[160:161]
	s_delay_alu instid0(VALU_DEP_1) | instskip(NEXT) | instid1(VALU_DEP_1)
	v_add_f64 v[144:145], v[144:145], v[148:149]
	v_add_f64 v[144:145], v[166:167], v[144:145]
	s_delay_alu instid0(VALU_DEP_1) | instskip(SKIP_1) | instid1(VALU_DEP_2)
	v_dual_cndmask_b32 v145, v145, v9 :: v_dual_cndmask_b32 v144, v144, v8
	v_cmp_ngt_f64_e32 vcc_lo, -1.0, v[8:9]
	v_cndmask_b32_e32 v145, 0x7ff80000, v145, vcc_lo
	v_cmp_nge_f64_e32 vcc_lo, -1.0, v[8:9]
	s_delay_alu instid0(VALU_DEP_4) | instskip(SKIP_1) | instid1(VALU_DEP_4)
	v_cndmask_b32_e32 v144, 0, v144, vcc_lo
	v_cmp_neq_f64_e32 vcc_lo, -1.0, v[8:9]
	v_cndmask_b32_e32 v145, 0xfff00000, v145, vcc_lo
	s_delay_alu instid0(VALU_DEP_1)
	v_add_f64 v[8:9], v[6:7], v[144:145]
.LBB36_80:
	s_or_b32 exec_lo, exec_lo, s28
	s_delay_alu instid0(VALU_DEP_1)
	v_dual_mov_b32 v144, v8 :: v_dual_mov_b32 v145, v9
	v_dual_mov_b32 v6, v8 :: v_dual_mov_b32 v7, v9
.LBB36_81:
	s_or_b32 exec_lo, exec_lo, s27
	s_delay_alu instid0(VALU_DEP_2) | instskip(NEXT) | instid1(VALU_DEP_3)
	v_mov_b32_dpp v8, v144 row_shr:2 row_mask:0xf bank_mask:0xf
	v_mov_b32_dpp v9, v145 row_shr:2 row_mask:0xf bank_mask:0xf
	s_mov_b32 s27, exec_lo
	v_cmpx_lt_u32_e32 1, v147
	s_cbranch_execz .LBB36_85
; %bb.82:
	s_delay_alu instid0(VALU_DEP_2) | instskip(SKIP_3) | instid1(VALU_DEP_3)
	v_max_f64 v[144:145], v[8:9], v[8:9]
	v_max_f64 v[148:149], v[6:7], v[6:7]
	v_cmp_u_f64_e32 vcc_lo, v[8:9], v[8:9]
	v_cmp_u_f64_e64 s19, v[6:7], v[6:7]
	v_min_f64 v[150:151], v[144:145], v[148:149]
	v_max_f64 v[144:145], v[144:145], v[148:149]
	s_delay_alu instid0(VALU_DEP_2) | instskip(NEXT) | instid1(VALU_DEP_2)
	v_dual_cndmask_b32 v148, v150, v8 :: v_dual_cndmask_b32 v149, v151, v9
	v_dual_cndmask_b32 v150, v145, v9 :: v_dual_cndmask_b32 v151, v144, v8
	s_delay_alu instid0(VALU_DEP_2) | instskip(NEXT) | instid1(VALU_DEP_3)
	v_cndmask_b32_e64 v144, v148, v6, s19
	v_cndmask_b32_e64 v145, v149, v7, s19
	s_delay_alu instid0(VALU_DEP_3) | instskip(NEXT) | instid1(VALU_DEP_4)
	v_cndmask_b32_e64 v7, v150, v7, s19
	v_cndmask_b32_e64 v6, v151, v6, s19
	s_delay_alu instid0(VALU_DEP_3) | instskip(NEXT) | instid1(VALU_DEP_2)
	v_cmp_class_f64_e64 s19, v[144:145], 0x1f8
	v_cmp_neq_f64_e32 vcc_lo, v[144:145], v[6:7]
	s_delay_alu instid0(VALU_DEP_2) | instskip(NEXT) | instid1(SALU_CYCLE_1)
	s_or_b32 s19, vcc_lo, s19
	s_and_saveexec_b32 s28, s19
	s_cbranch_execz .LBB36_84
; %bb.83:
	v_add_f64 v[8:9], v[144:145], -v[6:7]
	s_mov_b32 s20, 0x652b82fe
	s_mov_b32 s21, 0x3ff71547
	;; [unrolled: 1-line block ×5, first 2 shown]
	s_mov_b32 vcc_lo, 0x6a5dcb37
	s_mov_b32 s25, 0x3e928af3
	s_mov_b32 vcc_hi, 0x3e5ade15
	s_mov_b32 s30, 0xbf559e2b
	s_mov_b32 s31, 0x3fc3ab76
	s_delay_alu instid0(VALU_DEP_1) | instskip(SKIP_3) | instid1(VALU_DEP_2)
	v_mul_f64 v[144:145], v[8:9], s[20:21]
	s_mov_b32 s21, 0xbfe62e42
	s_mov_b32 s20, 0xfefa39ef
	v_cmp_ngt_f64_e64 s19, 0xc090cc00, v[8:9]
	v_rndne_f64_e32 v[144:145], v[144:145]
	s_delay_alu instid0(VALU_DEP_1) | instskip(SKIP_2) | instid1(VALU_DEP_2)
	v_fma_f64 v[148:149], v[144:145], s[20:21], v[8:9]
	v_cvt_i32_f64_e32 v160, v[144:145]
	s_mov_b32 s21, 0x3fe62e42
	v_fma_f64 v[148:149], v[144:145], s[22:23], v[148:149]
	s_mov_b32 s23, 0x3c7abc9e
	s_delay_alu instid0(VALU_DEP_1) | instskip(SKIP_3) | instid1(VALU_DEP_2)
	v_fma_f64 v[150:151], v[148:149], vcc, s[24:25]
	s_mov_b32 s24, 0x623fde64
	s_mov_b32 s25, 0x3ec71dee
	v_cmp_nlt_f64_e32 vcc_lo, 0x40900000, v[8:9]
	v_fma_f64 v[150:151], v[148:149], v[150:151], s[24:25]
	s_mov_b32 s24, 0x7c89e6b0
	s_mov_b32 s25, 0x3efa0199
	s_delay_alu instid0(VALU_DEP_1) | instid1(SALU_CYCLE_1)
	v_fma_f64 v[150:151], v[148:149], v[150:151], s[24:25]
	s_mov_b32 s24, 0x14761f6e
	s_mov_b32 s25, 0x3f2a01a0
	s_delay_alu instid0(VALU_DEP_1) | instid1(SALU_CYCLE_1)
	v_fma_f64 v[150:151], v[148:149], v[150:151], s[24:25]
	s_mov_b32 s24, 0x1852b7b0
	s_mov_b32 s25, 0x3f56c16c
	s_delay_alu instid0(VALU_DEP_1) | instid1(SALU_CYCLE_1)
	v_fma_f64 v[150:151], v[148:149], v[150:151], s[24:25]
	s_mov_b32 s24, 0x11122322
	s_mov_b32 s25, 0x3f811111
	s_delay_alu instid0(VALU_DEP_1) | instid1(SALU_CYCLE_1)
	v_fma_f64 v[150:151], v[148:149], v[150:151], s[24:25]
	s_mov_b32 s24, 0x555502a1
	s_mov_b32 s25, 0x3fa55555
	s_delay_alu instid0(VALU_DEP_1) | instid1(SALU_CYCLE_1)
	v_fma_f64 v[150:151], v[148:149], v[150:151], s[24:25]
	s_mov_b32 s24, 0x55555511
	s_mov_b32 s25, 0x3fc55555
	s_delay_alu instid0(VALU_DEP_1) | instid1(SALU_CYCLE_1)
	v_fma_f64 v[150:151], v[148:149], v[150:151], s[24:25]
	s_mov_b32 s24, 11
	s_mov_b32 s25, 0x3fe00000
	s_delay_alu instid0(VALU_DEP_1) | instid1(SALU_CYCLE_1)
	v_fma_f64 v[150:151], v[148:149], v[150:151], s[24:25]
	s_mov_b32 s25, 0x3fe55555
	s_mov_b32 s24, 0x55555555
	s_delay_alu instid0(VALU_DEP_1) | instskip(NEXT) | instid1(VALU_DEP_1)
	v_fma_f64 v[150:151], v[148:149], v[150:151], 1.0
	v_fma_f64 v[144:145], v[148:149], v[150:151], 1.0
	s_delay_alu instid0(VALU_DEP_1) | instskip(NEXT) | instid1(VALU_DEP_1)
	v_ldexp_f64 v[144:145], v[144:145], v160
	v_cndmask_b32_e32 v145, 0x7ff00000, v145, vcc_lo
	s_and_b32 vcc_lo, s19, vcc_lo
	s_delay_alu instid0(VALU_DEP_1) | instskip(NEXT) | instid1(VALU_DEP_3)
	v_cndmask_b32_e64 v9, 0, v145, s19
	v_cndmask_b32_e32 v8, 0, v144, vcc_lo
	s_delay_alu instid0(VALU_DEP_1) | instskip(NEXT) | instid1(VALU_DEP_1)
	v_add_f64 v[144:145], v[8:9], 1.0
	v_frexp_mant_f64_e32 v[148:149], v[144:145]
	v_frexp_exp_i32_f64_e32 v160, v[144:145]
	v_add_f64 v[150:151], v[144:145], -1.0
	s_delay_alu instid0(VALU_DEP_3) | instskip(SKIP_1) | instid1(VALU_DEP_2)
	v_cmp_gt_f64_e32 vcc_lo, s[24:25], v[148:149]
	s_mov_b32 s24, 0x55555780
	v_add_f64 v[148:149], v[150:151], -v[144:145]
	v_add_f64 v[150:151], v[8:9], -v[150:151]
	v_subrev_co_ci_u32_e32 v215, vcc_lo, 0, v160, vcc_lo
	s_delay_alu instid0(VALU_DEP_3) | instskip(SKIP_2) | instid1(VALU_DEP_2)
	v_add_f64 v[148:149], v[148:149], 1.0
	s_mov_b32 vcc_lo, 0x6b47b09a
	s_mov_b32 vcc_hi, 0x3fc38538
	v_sub_nc_u32_e32 v162, 0, v215
	s_delay_alu instid0(VALU_DEP_1) | instskip(NEXT) | instid1(VALU_DEP_3)
	v_ldexp_f64 v[144:145], v[144:145], v162
	v_add_f64 v[148:149], v[150:151], v[148:149]
	s_delay_alu instid0(VALU_DEP_2) | instskip(SKIP_1) | instid1(VALU_DEP_3)
	v_add_f64 v[160:161], v[144:145], 1.0
	v_add_f64 v[166:167], v[144:145], -1.0
	v_ldexp_f64 v[148:149], v[148:149], v162
	s_delay_alu instid0(VALU_DEP_3) | instskip(NEXT) | instid1(VALU_DEP_3)
	v_add_f64 v[150:151], v[160:161], -1.0
	v_add_f64 v[176:177], v[166:167], 1.0
	s_delay_alu instid0(VALU_DEP_2) | instskip(NEXT) | instid1(VALU_DEP_2)
	v_add_f64 v[150:151], v[144:145], -v[150:151]
	v_add_f64 v[144:145], v[144:145], -v[176:177]
	s_delay_alu instid0(VALU_DEP_2) | instskip(NEXT) | instid1(VALU_DEP_2)
	v_add_f64 v[150:151], v[148:149], v[150:151]
	v_add_f64 v[144:145], v[148:149], v[144:145]
	s_delay_alu instid0(VALU_DEP_2) | instskip(NEXT) | instid1(VALU_DEP_2)
	v_add_f64 v[162:163], v[160:161], v[150:151]
	v_add_f64 v[176:177], v[166:167], v[144:145]
	s_delay_alu instid0(VALU_DEP_2) | instskip(SKIP_1) | instid1(VALU_DEP_2)
	v_rcp_f64_e32 v[164:165], v[162:163]
	v_add_f64 v[160:161], v[162:163], -v[160:161]
	v_add_f64 v[166:167], v[176:177], -v[166:167]
	s_delay_alu instid0(VALU_DEP_2) | instskip(SKIP_3) | instid1(VALU_DEP_2)
	v_add_f64 v[150:151], v[150:151], -v[160:161]
	s_waitcnt_depctr 0xfff
	v_fma_f64 v[213:214], -v[162:163], v[164:165], 1.0
	v_add_f64 v[144:145], v[144:145], -v[166:167]
	v_fma_f64 v[164:165], v[213:214], v[164:165], v[164:165]
	s_delay_alu instid0(VALU_DEP_1) | instskip(NEXT) | instid1(VALU_DEP_1)
	v_fma_f64 v[148:149], -v[162:163], v[164:165], 1.0
	v_fma_f64 v[148:149], v[148:149], v[164:165], v[164:165]
	s_delay_alu instid0(VALU_DEP_1) | instskip(NEXT) | instid1(VALU_DEP_1)
	v_mul_f64 v[164:165], v[176:177], v[148:149]
	v_mul_f64 v[213:214], v[162:163], v[164:165]
	s_delay_alu instid0(VALU_DEP_1) | instskip(NEXT) | instid1(VALU_DEP_1)
	v_fma_f64 v[160:161], v[164:165], v[162:163], -v[213:214]
	v_fma_f64 v[160:161], v[164:165], v[150:151], v[160:161]
	s_delay_alu instid0(VALU_DEP_1) | instskip(NEXT) | instid1(VALU_DEP_1)
	v_add_f64 v[224:225], v[213:214], v[160:161]
	v_add_f64 v[226:227], v[176:177], -v[224:225]
	v_add_f64 v[166:167], v[224:225], -v[213:214]
	s_delay_alu instid0(VALU_DEP_2) | instskip(NEXT) | instid1(VALU_DEP_2)
	v_add_f64 v[176:177], v[176:177], -v[226:227]
	v_add_f64 v[160:161], v[166:167], -v[160:161]
	s_delay_alu instid0(VALU_DEP_2) | instskip(NEXT) | instid1(VALU_DEP_1)
	v_add_f64 v[176:177], v[176:177], -v[224:225]
	v_add_f64 v[144:145], v[144:145], v[176:177]
	s_delay_alu instid0(VALU_DEP_1) | instskip(NEXT) | instid1(VALU_DEP_1)
	v_add_f64 v[144:145], v[160:161], v[144:145]
	v_add_f64 v[160:161], v[226:227], v[144:145]
	s_delay_alu instid0(VALU_DEP_1) | instskip(SKIP_1) | instid1(VALU_DEP_2)
	v_mul_f64 v[166:167], v[148:149], v[160:161]
	v_add_f64 v[224:225], v[226:227], -v[160:161]
	v_mul_f64 v[176:177], v[162:163], v[166:167]
	s_delay_alu instid0(VALU_DEP_2) | instskip(NEXT) | instid1(VALU_DEP_2)
	v_add_f64 v[144:145], v[144:145], v[224:225]
	v_fma_f64 v[162:163], v[166:167], v[162:163], -v[176:177]
	s_delay_alu instid0(VALU_DEP_1) | instskip(NEXT) | instid1(VALU_DEP_1)
	v_fma_f64 v[150:151], v[166:167], v[150:151], v[162:163]
	v_add_f64 v[162:163], v[176:177], v[150:151]
	s_delay_alu instid0(VALU_DEP_1) | instskip(SKIP_1) | instid1(VALU_DEP_2)
	v_add_f64 v[213:214], v[160:161], -v[162:163]
	v_add_f64 v[176:177], v[162:163], -v[176:177]
	;; [unrolled: 1-line block ×3, first 2 shown]
	s_delay_alu instid0(VALU_DEP_2) | instskip(NEXT) | instid1(VALU_DEP_2)
	v_add_f64 v[150:151], v[176:177], -v[150:151]
	v_add_f64 v[160:161], v[160:161], -v[162:163]
	s_delay_alu instid0(VALU_DEP_1) | instskip(SKIP_1) | instid1(VALU_DEP_2)
	v_add_f64 v[144:145], v[144:145], v[160:161]
	v_add_f64 v[160:161], v[164:165], v[166:167]
	;; [unrolled: 1-line block ×3, first 2 shown]
	s_delay_alu instid0(VALU_DEP_2) | instskip(NEXT) | instid1(VALU_DEP_2)
	v_add_f64 v[150:151], v[160:161], -v[164:165]
	v_add_f64 v[144:145], v[213:214], v[144:145]
	s_delay_alu instid0(VALU_DEP_2) | instskip(NEXT) | instid1(VALU_DEP_2)
	v_add_f64 v[150:151], v[166:167], -v[150:151]
	v_mul_f64 v[144:145], v[148:149], v[144:145]
	s_delay_alu instid0(VALU_DEP_1) | instskip(NEXT) | instid1(VALU_DEP_1)
	v_add_f64 v[144:145], v[150:151], v[144:145]
	v_add_f64 v[148:149], v[160:161], v[144:145]
	s_delay_alu instid0(VALU_DEP_1) | instskip(NEXT) | instid1(VALU_DEP_1)
	v_mul_f64 v[150:151], v[148:149], v[148:149]
	v_fma_f64 v[162:163], v[150:151], s[30:31], vcc
	s_mov_b32 vcc_lo, 0xd7f4df2e
	s_mov_b32 vcc_hi, 0x3fc7474d
	v_mul_f64 v[164:165], v[148:149], v[150:151]
	s_delay_alu instid0(VALU_DEP_2)
	v_fma_f64 v[162:163], v[150:151], v[162:163], vcc
	s_mov_b32 vcc_lo, 0x16291751
	s_mov_b32 vcc_hi, 0x3fcc71c0
	s_delay_alu instid0(VALU_DEP_1) | instid1(SALU_CYCLE_1)
	v_fma_f64 v[162:163], v[150:151], v[162:163], vcc
	s_mov_b32 vcc_lo, 0x9b27acf1
	s_mov_b32 vcc_hi, 0x3fd24924
	s_delay_alu instid0(VALU_DEP_1) | instid1(SALU_CYCLE_1)
	;; [unrolled: 4-line block ×3, first 2 shown]
	v_fma_f64 v[162:163], v[150:151], v[162:163], vcc
	v_cmp_eq_f64_e32 vcc_lo, 0x7ff00000, v[8:9]
	s_delay_alu instid0(VALU_DEP_2) | instskip(SKIP_2) | instid1(VALU_DEP_3)
	v_fma_f64 v[150:151], v[150:151], v[162:163], s[24:25]
	v_ldexp_f64 v[162:163], v[148:149], 1
	v_add_f64 v[148:149], v[148:149], -v[160:161]
	v_mul_f64 v[150:151], v[164:165], v[150:151]
	v_cvt_f64_i32_e32 v[164:165], v215
	s_delay_alu instid0(VALU_DEP_3) | instskip(NEXT) | instid1(VALU_DEP_3)
	v_add_f64 v[144:145], v[144:145], -v[148:149]
	v_add_f64 v[160:161], v[162:163], v[150:151]
	s_delay_alu instid0(VALU_DEP_3) | instskip(NEXT) | instid1(VALU_DEP_3)
	v_mul_f64 v[166:167], v[164:165], s[20:21]
	v_ldexp_f64 v[144:145], v[144:145], 1
	s_delay_alu instid0(VALU_DEP_3) | instskip(NEXT) | instid1(VALU_DEP_3)
	v_add_f64 v[148:149], v[160:161], -v[162:163]
	v_fma_f64 v[162:163], v[164:165], s[20:21], -v[166:167]
	s_delay_alu instid0(VALU_DEP_2) | instskip(NEXT) | instid1(VALU_DEP_2)
	v_add_f64 v[148:149], v[150:151], -v[148:149]
	v_fma_f64 v[150:151], v[164:165], s[22:23], v[162:163]
	s_delay_alu instid0(VALU_DEP_2) | instskip(NEXT) | instid1(VALU_DEP_2)
	v_add_f64 v[144:145], v[144:145], v[148:149]
	v_add_f64 v[148:149], v[166:167], v[150:151]
	s_delay_alu instid0(VALU_DEP_2) | instskip(NEXT) | instid1(VALU_DEP_2)
	v_add_f64 v[162:163], v[160:161], v[144:145]
	v_add_f64 v[166:167], v[148:149], -v[166:167]
	s_delay_alu instid0(VALU_DEP_2) | instskip(SKIP_1) | instid1(VALU_DEP_3)
	v_add_f64 v[164:165], v[148:149], v[162:163]
	v_add_f64 v[160:161], v[162:163], -v[160:161]
	v_add_f64 v[150:151], v[150:151], -v[166:167]
	s_delay_alu instid0(VALU_DEP_3) | instskip(NEXT) | instid1(VALU_DEP_3)
	v_add_f64 v[176:177], v[164:165], -v[148:149]
	v_add_f64 v[144:145], v[144:145], -v[160:161]
	s_delay_alu instid0(VALU_DEP_2) | instskip(SKIP_1) | instid1(VALU_DEP_3)
	v_add_f64 v[213:214], v[164:165], -v[176:177]
	v_add_f64 v[160:161], v[162:163], -v[176:177]
	v_add_f64 v[162:163], v[150:151], v[144:145]
	s_delay_alu instid0(VALU_DEP_3) | instskip(NEXT) | instid1(VALU_DEP_1)
	v_add_f64 v[148:149], v[148:149], -v[213:214]
	v_add_f64 v[148:149], v[160:161], v[148:149]
	s_delay_alu instid0(VALU_DEP_3) | instskip(NEXT) | instid1(VALU_DEP_2)
	v_add_f64 v[160:161], v[162:163], -v[150:151]
	v_add_f64 v[148:149], v[162:163], v[148:149]
	s_delay_alu instid0(VALU_DEP_2) | instskip(SKIP_1) | instid1(VALU_DEP_3)
	v_add_f64 v[162:163], v[162:163], -v[160:161]
	v_add_f64 v[144:145], v[144:145], -v[160:161]
	v_add_f64 v[166:167], v[164:165], v[148:149]
	s_delay_alu instid0(VALU_DEP_3) | instskip(NEXT) | instid1(VALU_DEP_2)
	v_add_f64 v[150:151], v[150:151], -v[162:163]
	v_add_f64 v[160:161], v[166:167], -v[164:165]
	s_delay_alu instid0(VALU_DEP_2) | instskip(NEXT) | instid1(VALU_DEP_2)
	v_add_f64 v[144:145], v[144:145], v[150:151]
	v_add_f64 v[148:149], v[148:149], -v[160:161]
	s_delay_alu instid0(VALU_DEP_1) | instskip(NEXT) | instid1(VALU_DEP_1)
	v_add_f64 v[144:145], v[144:145], v[148:149]
	v_add_f64 v[144:145], v[166:167], v[144:145]
	s_delay_alu instid0(VALU_DEP_1) | instskip(SKIP_1) | instid1(VALU_DEP_2)
	v_dual_cndmask_b32 v145, v145, v9 :: v_dual_cndmask_b32 v144, v144, v8
	v_cmp_ngt_f64_e32 vcc_lo, -1.0, v[8:9]
	v_cndmask_b32_e32 v145, 0x7ff80000, v145, vcc_lo
	v_cmp_nge_f64_e32 vcc_lo, -1.0, v[8:9]
	s_delay_alu instid0(VALU_DEP_4) | instskip(SKIP_1) | instid1(VALU_DEP_4)
	v_cndmask_b32_e32 v144, 0, v144, vcc_lo
	v_cmp_neq_f64_e32 vcc_lo, -1.0, v[8:9]
	v_cndmask_b32_e32 v145, 0xfff00000, v145, vcc_lo
	s_delay_alu instid0(VALU_DEP_1)
	v_add_f64 v[8:9], v[6:7], v[144:145]
.LBB36_84:
	s_or_b32 exec_lo, exec_lo, s28
	s_delay_alu instid0(VALU_DEP_1)
	v_dual_mov_b32 v144, v8 :: v_dual_mov_b32 v145, v9
	v_dual_mov_b32 v6, v8 :: v_dual_mov_b32 v7, v9
.LBB36_85:
	s_or_b32 exec_lo, exec_lo, s27
	s_delay_alu instid0(VALU_DEP_2) | instskip(NEXT) | instid1(VALU_DEP_3)
	v_mov_b32_dpp v8, v144 row_shr:4 row_mask:0xf bank_mask:0xf
	v_mov_b32_dpp v9, v145 row_shr:4 row_mask:0xf bank_mask:0xf
	s_mov_b32 s27, exec_lo
	v_cmpx_lt_u32_e32 3, v147
	s_cbranch_execz .LBB36_89
; %bb.86:
	s_delay_alu instid0(VALU_DEP_2) | instskip(SKIP_3) | instid1(VALU_DEP_3)
	v_max_f64 v[144:145], v[8:9], v[8:9]
	v_max_f64 v[147:148], v[6:7], v[6:7]
	v_cmp_u_f64_e32 vcc_lo, v[8:9], v[8:9]
	v_cmp_u_f64_e64 s19, v[6:7], v[6:7]
	v_min_f64 v[149:150], v[144:145], v[147:148]
	v_max_f64 v[144:145], v[144:145], v[147:148]
	s_delay_alu instid0(VALU_DEP_2) | instskip(NEXT) | instid1(VALU_DEP_2)
	v_dual_cndmask_b32 v147, v149, v8 :: v_dual_cndmask_b32 v148, v150, v9
	v_dual_cndmask_b32 v149, v145, v9 :: v_dual_cndmask_b32 v150, v144, v8
	s_delay_alu instid0(VALU_DEP_2) | instskip(NEXT) | instid1(VALU_DEP_3)
	v_cndmask_b32_e64 v144, v147, v6, s19
	v_cndmask_b32_e64 v145, v148, v7, s19
	s_delay_alu instid0(VALU_DEP_3) | instskip(NEXT) | instid1(VALU_DEP_4)
	v_cndmask_b32_e64 v7, v149, v7, s19
	v_cndmask_b32_e64 v6, v150, v6, s19
	s_delay_alu instid0(VALU_DEP_3) | instskip(NEXT) | instid1(VALU_DEP_2)
	v_cmp_class_f64_e64 s19, v[144:145], 0x1f8
	v_cmp_neq_f64_e32 vcc_lo, v[144:145], v[6:7]
	s_delay_alu instid0(VALU_DEP_2) | instskip(NEXT) | instid1(SALU_CYCLE_1)
	s_or_b32 s19, vcc_lo, s19
	s_and_saveexec_b32 s28, s19
	s_cbranch_execz .LBB36_88
; %bb.87:
	v_add_f64 v[8:9], v[144:145], -v[6:7]
	s_mov_b32 s20, 0x652b82fe
	s_mov_b32 s21, 0x3ff71547
	;; [unrolled: 1-line block ×5, first 2 shown]
	s_mov_b32 vcc_lo, 0x6a5dcb37
	s_mov_b32 s25, 0x3e928af3
	s_mov_b32 vcc_hi, 0x3e5ade15
	s_mov_b32 s30, 0xbf559e2b
	s_mov_b32 s31, 0x3fc3ab76
	s_delay_alu instid0(VALU_DEP_1) | instskip(SKIP_3) | instid1(VALU_DEP_2)
	v_mul_f64 v[144:145], v[8:9], s[20:21]
	s_mov_b32 s21, 0xbfe62e42
	s_mov_b32 s20, 0xfefa39ef
	v_cmp_ngt_f64_e64 s19, 0xc090cc00, v[8:9]
	v_rndne_f64_e32 v[144:145], v[144:145]
	s_delay_alu instid0(VALU_DEP_1) | instskip(SKIP_2) | instid1(VALU_DEP_2)
	v_fma_f64 v[147:148], v[144:145], s[20:21], v[8:9]
	v_cvt_i32_f64_e32 v151, v[144:145]
	s_mov_b32 s21, 0x3fe62e42
	v_fma_f64 v[147:148], v[144:145], s[22:23], v[147:148]
	s_mov_b32 s23, 0x3c7abc9e
	s_delay_alu instid0(VALU_DEP_1) | instskip(SKIP_3) | instid1(VALU_DEP_2)
	v_fma_f64 v[149:150], v[147:148], vcc, s[24:25]
	s_mov_b32 s24, 0x623fde64
	s_mov_b32 s25, 0x3ec71dee
	v_cmp_nlt_f64_e32 vcc_lo, 0x40900000, v[8:9]
	v_fma_f64 v[149:150], v[147:148], v[149:150], s[24:25]
	s_mov_b32 s24, 0x7c89e6b0
	s_mov_b32 s25, 0x3efa0199
	s_delay_alu instid0(VALU_DEP_1) | instid1(SALU_CYCLE_1)
	v_fma_f64 v[149:150], v[147:148], v[149:150], s[24:25]
	s_mov_b32 s24, 0x14761f6e
	s_mov_b32 s25, 0x3f2a01a0
	s_delay_alu instid0(VALU_DEP_1) | instid1(SALU_CYCLE_1)
	;; [unrolled: 4-line block ×7, first 2 shown]
	v_fma_f64 v[149:150], v[147:148], v[149:150], s[24:25]
	s_mov_b32 s25, 0x3fe55555
	s_mov_b32 s24, 0x55555555
	s_delay_alu instid0(VALU_DEP_1) | instskip(NEXT) | instid1(VALU_DEP_1)
	v_fma_f64 v[149:150], v[147:148], v[149:150], 1.0
	v_fma_f64 v[144:145], v[147:148], v[149:150], 1.0
	s_delay_alu instid0(VALU_DEP_1) | instskip(NEXT) | instid1(VALU_DEP_1)
	v_ldexp_f64 v[144:145], v[144:145], v151
	v_cndmask_b32_e32 v145, 0x7ff00000, v145, vcc_lo
	s_and_b32 vcc_lo, s19, vcc_lo
	s_delay_alu instid0(VALU_DEP_1) | instskip(NEXT) | instid1(VALU_DEP_3)
	v_cndmask_b32_e64 v9, 0, v145, s19
	v_cndmask_b32_e32 v8, 0, v144, vcc_lo
	s_delay_alu instid0(VALU_DEP_1) | instskip(NEXT) | instid1(VALU_DEP_1)
	v_add_f64 v[144:145], v[8:9], 1.0
	v_frexp_mant_f64_e32 v[147:148], v[144:145]
	v_frexp_exp_i32_f64_e32 v151, v[144:145]
	v_add_f64 v[149:150], v[144:145], -1.0
	s_delay_alu instid0(VALU_DEP_3) | instskip(SKIP_1) | instid1(VALU_DEP_2)
	v_cmp_gt_f64_e32 vcc_lo, s[24:25], v[147:148]
	s_mov_b32 s24, 0x55555780
	v_add_f64 v[147:148], v[149:150], -v[144:145]
	v_add_f64 v[149:150], v[8:9], -v[149:150]
	v_subrev_co_ci_u32_e32 v151, vcc_lo, 0, v151, vcc_lo
	s_delay_alu instid0(VALU_DEP_3) | instskip(SKIP_2) | instid1(VALU_DEP_2)
	v_add_f64 v[147:148], v[147:148], 1.0
	s_mov_b32 vcc_lo, 0x6b47b09a
	s_mov_b32 vcc_hi, 0x3fc38538
	v_sub_nc_u32_e32 v162, 0, v151
	s_delay_alu instid0(VALU_DEP_1) | instskip(NEXT) | instid1(VALU_DEP_3)
	v_ldexp_f64 v[144:145], v[144:145], v162
	v_add_f64 v[147:148], v[149:150], v[147:148]
	s_delay_alu instid0(VALU_DEP_2) | instskip(SKIP_1) | instid1(VALU_DEP_3)
	v_add_f64 v[160:161], v[144:145], 1.0
	v_add_f64 v[166:167], v[144:145], -1.0
	v_ldexp_f64 v[147:148], v[147:148], v162
	s_delay_alu instid0(VALU_DEP_3) | instskip(NEXT) | instid1(VALU_DEP_3)
	v_add_f64 v[149:150], v[160:161], -1.0
	v_add_f64 v[176:177], v[166:167], 1.0
	s_delay_alu instid0(VALU_DEP_2) | instskip(NEXT) | instid1(VALU_DEP_2)
	v_add_f64 v[149:150], v[144:145], -v[149:150]
	v_add_f64 v[144:145], v[144:145], -v[176:177]
	s_delay_alu instid0(VALU_DEP_2) | instskip(NEXT) | instid1(VALU_DEP_2)
	v_add_f64 v[149:150], v[147:148], v[149:150]
	v_add_f64 v[144:145], v[147:148], v[144:145]
	s_delay_alu instid0(VALU_DEP_2) | instskip(NEXT) | instid1(VALU_DEP_2)
	v_add_f64 v[162:163], v[160:161], v[149:150]
	v_add_f64 v[176:177], v[166:167], v[144:145]
	s_delay_alu instid0(VALU_DEP_2) | instskip(SKIP_1) | instid1(VALU_DEP_2)
	v_rcp_f64_e32 v[164:165], v[162:163]
	v_add_f64 v[160:161], v[162:163], -v[160:161]
	v_add_f64 v[166:167], v[176:177], -v[166:167]
	s_delay_alu instid0(VALU_DEP_2) | instskip(SKIP_3) | instid1(VALU_DEP_2)
	v_add_f64 v[149:150], v[149:150], -v[160:161]
	s_waitcnt_depctr 0xfff
	v_fma_f64 v[213:214], -v[162:163], v[164:165], 1.0
	v_add_f64 v[144:145], v[144:145], -v[166:167]
	v_fma_f64 v[164:165], v[213:214], v[164:165], v[164:165]
	s_delay_alu instid0(VALU_DEP_1) | instskip(NEXT) | instid1(VALU_DEP_1)
	v_fma_f64 v[147:148], -v[162:163], v[164:165], 1.0
	v_fma_f64 v[147:148], v[147:148], v[164:165], v[164:165]
	s_delay_alu instid0(VALU_DEP_1) | instskip(NEXT) | instid1(VALU_DEP_1)
	v_mul_f64 v[164:165], v[176:177], v[147:148]
	v_mul_f64 v[213:214], v[162:163], v[164:165]
	s_delay_alu instid0(VALU_DEP_1) | instskip(NEXT) | instid1(VALU_DEP_1)
	v_fma_f64 v[160:161], v[164:165], v[162:163], -v[213:214]
	v_fma_f64 v[160:161], v[164:165], v[149:150], v[160:161]
	s_delay_alu instid0(VALU_DEP_1) | instskip(NEXT) | instid1(VALU_DEP_1)
	v_add_f64 v[224:225], v[213:214], v[160:161]
	v_add_f64 v[226:227], v[176:177], -v[224:225]
	v_add_f64 v[166:167], v[224:225], -v[213:214]
	s_delay_alu instid0(VALU_DEP_2) | instskip(NEXT) | instid1(VALU_DEP_2)
	v_add_f64 v[176:177], v[176:177], -v[226:227]
	v_add_f64 v[160:161], v[166:167], -v[160:161]
	s_delay_alu instid0(VALU_DEP_2) | instskip(NEXT) | instid1(VALU_DEP_1)
	v_add_f64 v[176:177], v[176:177], -v[224:225]
	v_add_f64 v[144:145], v[144:145], v[176:177]
	s_delay_alu instid0(VALU_DEP_1) | instskip(NEXT) | instid1(VALU_DEP_1)
	v_add_f64 v[144:145], v[160:161], v[144:145]
	v_add_f64 v[160:161], v[226:227], v[144:145]
	s_delay_alu instid0(VALU_DEP_1) | instskip(SKIP_1) | instid1(VALU_DEP_2)
	v_mul_f64 v[166:167], v[147:148], v[160:161]
	v_add_f64 v[224:225], v[226:227], -v[160:161]
	v_mul_f64 v[176:177], v[162:163], v[166:167]
	s_delay_alu instid0(VALU_DEP_2) | instskip(NEXT) | instid1(VALU_DEP_2)
	v_add_f64 v[144:145], v[144:145], v[224:225]
	v_fma_f64 v[162:163], v[166:167], v[162:163], -v[176:177]
	s_delay_alu instid0(VALU_DEP_1) | instskip(NEXT) | instid1(VALU_DEP_1)
	v_fma_f64 v[149:150], v[166:167], v[149:150], v[162:163]
	v_add_f64 v[162:163], v[176:177], v[149:150]
	s_delay_alu instid0(VALU_DEP_1) | instskip(SKIP_1) | instid1(VALU_DEP_2)
	v_add_f64 v[213:214], v[160:161], -v[162:163]
	v_add_f64 v[176:177], v[162:163], -v[176:177]
	;; [unrolled: 1-line block ×3, first 2 shown]
	s_delay_alu instid0(VALU_DEP_2) | instskip(NEXT) | instid1(VALU_DEP_2)
	v_add_f64 v[149:150], v[176:177], -v[149:150]
	v_add_f64 v[160:161], v[160:161], -v[162:163]
	s_delay_alu instid0(VALU_DEP_1) | instskip(SKIP_1) | instid1(VALU_DEP_2)
	v_add_f64 v[144:145], v[144:145], v[160:161]
	v_add_f64 v[160:161], v[164:165], v[166:167]
	;; [unrolled: 1-line block ×3, first 2 shown]
	s_delay_alu instid0(VALU_DEP_2) | instskip(NEXT) | instid1(VALU_DEP_2)
	v_add_f64 v[149:150], v[160:161], -v[164:165]
	v_add_f64 v[144:145], v[213:214], v[144:145]
	s_delay_alu instid0(VALU_DEP_2) | instskip(NEXT) | instid1(VALU_DEP_2)
	v_add_f64 v[149:150], v[166:167], -v[149:150]
	v_mul_f64 v[144:145], v[147:148], v[144:145]
	s_delay_alu instid0(VALU_DEP_1) | instskip(NEXT) | instid1(VALU_DEP_1)
	v_add_f64 v[144:145], v[149:150], v[144:145]
	v_add_f64 v[147:148], v[160:161], v[144:145]
	s_delay_alu instid0(VALU_DEP_1) | instskip(NEXT) | instid1(VALU_DEP_1)
	v_mul_f64 v[149:150], v[147:148], v[147:148]
	v_fma_f64 v[162:163], v[149:150], s[30:31], vcc
	s_mov_b32 vcc_lo, 0xd7f4df2e
	s_mov_b32 vcc_hi, 0x3fc7474d
	v_mul_f64 v[164:165], v[147:148], v[149:150]
	s_delay_alu instid0(VALU_DEP_2)
	v_fma_f64 v[162:163], v[149:150], v[162:163], vcc
	s_mov_b32 vcc_lo, 0x16291751
	s_mov_b32 vcc_hi, 0x3fcc71c0
	s_delay_alu instid0(VALU_DEP_1) | instid1(SALU_CYCLE_1)
	v_fma_f64 v[162:163], v[149:150], v[162:163], vcc
	s_mov_b32 vcc_lo, 0x9b27acf1
	s_mov_b32 vcc_hi, 0x3fd24924
	s_delay_alu instid0(VALU_DEP_1) | instid1(SALU_CYCLE_1)
	;; [unrolled: 4-line block ×3, first 2 shown]
	v_fma_f64 v[162:163], v[149:150], v[162:163], vcc
	v_cmp_eq_f64_e32 vcc_lo, 0x7ff00000, v[8:9]
	s_delay_alu instid0(VALU_DEP_2) | instskip(SKIP_2) | instid1(VALU_DEP_3)
	v_fma_f64 v[149:150], v[149:150], v[162:163], s[24:25]
	v_ldexp_f64 v[162:163], v[147:148], 1
	v_add_f64 v[147:148], v[147:148], -v[160:161]
	v_mul_f64 v[149:150], v[164:165], v[149:150]
	v_cvt_f64_i32_e32 v[164:165], v151
	s_delay_alu instid0(VALU_DEP_3) | instskip(NEXT) | instid1(VALU_DEP_3)
	v_add_f64 v[144:145], v[144:145], -v[147:148]
	v_add_f64 v[160:161], v[162:163], v[149:150]
	s_delay_alu instid0(VALU_DEP_3) | instskip(NEXT) | instid1(VALU_DEP_3)
	v_mul_f64 v[166:167], v[164:165], s[20:21]
	v_ldexp_f64 v[144:145], v[144:145], 1
	s_delay_alu instid0(VALU_DEP_3) | instskip(NEXT) | instid1(VALU_DEP_3)
	v_add_f64 v[147:148], v[160:161], -v[162:163]
	v_fma_f64 v[162:163], v[164:165], s[20:21], -v[166:167]
	s_delay_alu instid0(VALU_DEP_2) | instskip(NEXT) | instid1(VALU_DEP_2)
	v_add_f64 v[147:148], v[149:150], -v[147:148]
	v_fma_f64 v[149:150], v[164:165], s[22:23], v[162:163]
	s_delay_alu instid0(VALU_DEP_2) | instskip(NEXT) | instid1(VALU_DEP_2)
	v_add_f64 v[144:145], v[144:145], v[147:148]
	v_add_f64 v[147:148], v[166:167], v[149:150]
	s_delay_alu instid0(VALU_DEP_2) | instskip(NEXT) | instid1(VALU_DEP_2)
	v_add_f64 v[162:163], v[160:161], v[144:145]
	v_add_f64 v[166:167], v[147:148], -v[166:167]
	s_delay_alu instid0(VALU_DEP_2) | instskip(SKIP_1) | instid1(VALU_DEP_3)
	v_add_f64 v[164:165], v[147:148], v[162:163]
	v_add_f64 v[160:161], v[162:163], -v[160:161]
	v_add_f64 v[149:150], v[149:150], -v[166:167]
	s_delay_alu instid0(VALU_DEP_3) | instskip(NEXT) | instid1(VALU_DEP_3)
	v_add_f64 v[176:177], v[164:165], -v[147:148]
	v_add_f64 v[144:145], v[144:145], -v[160:161]
	s_delay_alu instid0(VALU_DEP_2) | instskip(SKIP_1) | instid1(VALU_DEP_3)
	v_add_f64 v[213:214], v[164:165], -v[176:177]
	v_add_f64 v[160:161], v[162:163], -v[176:177]
	v_add_f64 v[162:163], v[149:150], v[144:145]
	s_delay_alu instid0(VALU_DEP_3) | instskip(NEXT) | instid1(VALU_DEP_1)
	v_add_f64 v[147:148], v[147:148], -v[213:214]
	v_add_f64 v[147:148], v[160:161], v[147:148]
	s_delay_alu instid0(VALU_DEP_3) | instskip(NEXT) | instid1(VALU_DEP_2)
	v_add_f64 v[160:161], v[162:163], -v[149:150]
	v_add_f64 v[147:148], v[162:163], v[147:148]
	s_delay_alu instid0(VALU_DEP_2) | instskip(SKIP_1) | instid1(VALU_DEP_3)
	v_add_f64 v[162:163], v[162:163], -v[160:161]
	v_add_f64 v[144:145], v[144:145], -v[160:161]
	v_add_f64 v[166:167], v[164:165], v[147:148]
	s_delay_alu instid0(VALU_DEP_3) | instskip(NEXT) | instid1(VALU_DEP_2)
	v_add_f64 v[149:150], v[149:150], -v[162:163]
	v_add_f64 v[160:161], v[166:167], -v[164:165]
	s_delay_alu instid0(VALU_DEP_2) | instskip(NEXT) | instid1(VALU_DEP_2)
	v_add_f64 v[144:145], v[144:145], v[149:150]
	v_add_f64 v[147:148], v[147:148], -v[160:161]
	s_delay_alu instid0(VALU_DEP_1) | instskip(NEXT) | instid1(VALU_DEP_1)
	v_add_f64 v[144:145], v[144:145], v[147:148]
	v_add_f64 v[144:145], v[166:167], v[144:145]
	s_delay_alu instid0(VALU_DEP_1) | instskip(SKIP_1) | instid1(VALU_DEP_2)
	v_dual_cndmask_b32 v145, v145, v9 :: v_dual_cndmask_b32 v144, v144, v8
	v_cmp_ngt_f64_e32 vcc_lo, -1.0, v[8:9]
	v_cndmask_b32_e32 v145, 0x7ff80000, v145, vcc_lo
	v_cmp_nge_f64_e32 vcc_lo, -1.0, v[8:9]
	s_delay_alu instid0(VALU_DEP_4) | instskip(SKIP_1) | instid1(VALU_DEP_4)
	v_cndmask_b32_e32 v144, 0, v144, vcc_lo
	v_cmp_neq_f64_e32 vcc_lo, -1.0, v[8:9]
	v_cndmask_b32_e32 v145, 0xfff00000, v145, vcc_lo
	s_delay_alu instid0(VALU_DEP_1)
	v_add_f64 v[8:9], v[6:7], v[144:145]
.LBB36_88:
	s_or_b32 exec_lo, exec_lo, s28
	s_delay_alu instid0(VALU_DEP_1)
	v_dual_mov_b32 v6, v8 :: v_dual_mov_b32 v7, v9
.LBB36_89:
	s_or_b32 exec_lo, exec_lo, s27
	ds_store_b64 v198, v[6:7]
.LBB36_90:
	s_or_b32 exec_lo, exec_lo, s26
	v_cmp_gt_u32_e32 vcc_lo, 32, v128
	s_mov_b32 s26, exec_lo
	s_waitcnt lgkmcnt(0)
	s_barrier
	buffer_gl0_inv
                                        ; implicit-def: $vgpr144_vgpr145
	v_cmpx_lt_u32_e32 31, v128
	s_cbranch_execz .LBB36_94
; %bb.91:
	v_lshl_add_u32 v6, v146, 3, -8
	v_cmp_u_f64_e64 s20, v[4:5], v[4:5]
	ds_load_b64 v[144:145], v6
	v_max_f64 v[6:7], v[4:5], v[4:5]
	s_waitcnt lgkmcnt(0)
	v_max_f64 v[8:9], v[144:145], v[144:145]
	v_cmp_u_f64_e64 s19, v[144:145], v[144:145]
	s_delay_alu instid0(VALU_DEP_2) | instskip(SKIP_1) | instid1(VALU_DEP_2)
	v_min_f64 v[146:147], v[8:9], v[6:7]
	v_max_f64 v[6:7], v[8:9], v[6:7]
	v_cndmask_b32_e64 v8, v146, v144, s19
	s_delay_alu instid0(VALU_DEP_3) | instskip(NEXT) | instid1(VALU_DEP_3)
	v_cndmask_b32_e64 v9, v147, v145, s19
	v_cndmask_b32_e64 v7, v7, v145, s19
	s_delay_alu instid0(VALU_DEP_4) | instskip(NEXT) | instid1(VALU_DEP_4)
	v_cndmask_b32_e64 v6, v6, v144, s19
	v_cndmask_b32_e64 v8, v8, v4, s20
	s_delay_alu instid0(VALU_DEP_4) | instskip(NEXT) | instid1(VALU_DEP_4)
	v_cndmask_b32_e64 v9, v9, v5, s20
	v_cndmask_b32_e64 v7, v7, v5, s20
	s_delay_alu instid0(VALU_DEP_4) | instskip(SKIP_1) | instid1(VALU_DEP_4)
	v_cndmask_b32_e64 v6, v6, v4, s20
	v_dual_mov_b32 v4, v144 :: v_dual_mov_b32 v5, v145
	v_cmp_class_f64_e64 s20, v[8:9], 0x1f8
	s_delay_alu instid0(VALU_DEP_3) | instskip(NEXT) | instid1(VALU_DEP_1)
	v_cmp_neq_f64_e64 s19, v[8:9], v[6:7]
	s_or_b32 s19, s19, s20
	s_delay_alu instid0(SALU_CYCLE_1)
	s_and_saveexec_b32 s27, s19
	s_cbranch_execz .LBB36_93
; %bb.92:
	v_add_f64 v[4:5], v[8:9], -v[6:7]
	s_mov_b32 s20, 0x652b82fe
	s_mov_b32 s21, 0x3ff71547
	;; [unrolled: 1-line block ×10, first 2 shown]
	s_delay_alu instid0(VALU_DEP_1) | instskip(SKIP_3) | instid1(VALU_DEP_2)
	v_mul_f64 v[8:9], v[4:5], s[20:21]
	s_mov_b32 s20, 0xfca7ab0c
	s_mov_b32 s21, 0x3e928af3
	v_cmp_nlt_f64_e64 s19, 0x40900000, v[4:5]
	v_rndne_f64_e32 v[8:9], v[8:9]
	s_delay_alu instid0(VALU_DEP_1) | instskip(SKIP_2) | instid1(VALU_DEP_2)
	v_fma_f64 v[146:147], v[8:9], s[22:23], v[4:5]
	v_cvt_i32_f64_e32 v150, v[8:9]
	s_mov_b32 s23, 0x3fe62e42
	v_fma_f64 v[146:147], v[8:9], s[24:25], v[146:147]
	s_mov_b32 s25, 0x3c7abc9e
	s_delay_alu instid0(VALU_DEP_1) | instskip(SKIP_4) | instid1(VALU_DEP_1)
	v_fma_f64 v[148:149], v[146:147], s[28:29], s[20:21]
	s_mov_b32 s20, 0x623fde64
	s_mov_b32 s21, 0x3ec71dee
	;; [unrolled: 1-line block ×4, first 2 shown]
	v_fma_f64 v[148:149], v[146:147], v[148:149], s[20:21]
	s_mov_b32 s20, 0x7c89e6b0
	s_mov_b32 s21, 0x3efa0199
	s_delay_alu instid0(VALU_DEP_1) | instid1(SALU_CYCLE_1)
	v_fma_f64 v[148:149], v[146:147], v[148:149], s[20:21]
	s_mov_b32 s20, 0x14761f6e
	s_mov_b32 s21, 0x3f2a01a0
	s_delay_alu instid0(VALU_DEP_1) | instid1(SALU_CYCLE_1)
	v_fma_f64 v[148:149], v[146:147], v[148:149], s[20:21]
	s_mov_b32 s20, 0x1852b7b0
	s_mov_b32 s21, 0x3f56c16c
	s_delay_alu instid0(VALU_DEP_1) | instid1(SALU_CYCLE_1)
	v_fma_f64 v[148:149], v[146:147], v[148:149], s[20:21]
	s_mov_b32 s20, 0x11122322
	s_mov_b32 s21, 0x3f811111
	s_delay_alu instid0(VALU_DEP_1) | instid1(SALU_CYCLE_1)
	v_fma_f64 v[148:149], v[146:147], v[148:149], s[20:21]
	s_mov_b32 s20, 0x555502a1
	s_mov_b32 s21, 0x3fa55555
	s_delay_alu instid0(VALU_DEP_1) | instid1(SALU_CYCLE_1)
	v_fma_f64 v[148:149], v[146:147], v[148:149], s[20:21]
	s_mov_b32 s20, 0x55555511
	s_mov_b32 s21, 0x3fc55555
	s_delay_alu instid0(VALU_DEP_1) | instid1(SALU_CYCLE_1)
	v_fma_f64 v[148:149], v[146:147], v[148:149], s[20:21]
	s_mov_b32 s20, 11
	s_mov_b32 s21, 0x3fe00000
	s_delay_alu instid0(VALU_DEP_1) | instid1(SALU_CYCLE_1)
	v_fma_f64 v[148:149], v[146:147], v[148:149], s[20:21]
	v_cmp_ngt_f64_e64 s20, 0xc090cc00, v[4:5]
	s_mov_b32 s21, 0x3fe55555
	s_delay_alu instid0(VALU_DEP_2) | instskip(NEXT) | instid1(VALU_DEP_1)
	v_fma_f64 v[148:149], v[146:147], v[148:149], 1.0
	v_fma_f64 v[8:9], v[146:147], v[148:149], 1.0
	s_delay_alu instid0(VALU_DEP_1) | instskip(NEXT) | instid1(VALU_DEP_1)
	v_ldexp_f64 v[8:9], v[8:9], v150
	v_cndmask_b32_e64 v9, 0x7ff00000, v9, s19
	s_and_b32 s19, s20, s19
	s_delay_alu instid0(VALU_DEP_2) | instid1(SALU_CYCLE_1)
	v_cndmask_b32_e64 v4, 0, v8, s19
	s_delay_alu instid0(VALU_DEP_2) | instskip(SKIP_1) | instid1(VALU_DEP_1)
	v_cndmask_b32_e64 v5, 0, v9, s20
	s_mov_b32 s20, 0x55555555
	v_add_f64 v[8:9], v[4:5], 1.0
	s_delay_alu instid0(VALU_DEP_1) | instskip(SKIP_2) | instid1(VALU_DEP_3)
	v_frexp_mant_f64_e32 v[146:147], v[8:9]
	v_frexp_exp_i32_f64_e32 v150, v[8:9]
	v_add_f64 v[148:149], v[8:9], -1.0
	v_cmp_gt_f64_e64 s19, s[20:21], v[146:147]
	s_mov_b32 s20, 0x55555780
	s_delay_alu instid0(VALU_DEP_2) | instskip(SKIP_1) | instid1(VALU_DEP_3)
	v_add_f64 v[146:147], v[148:149], -v[8:9]
	v_add_f64 v[148:149], v[4:5], -v[148:149]
	v_subrev_co_ci_u32_e64 v215, s19, 0, v150, s19
	s_delay_alu instid0(VALU_DEP_3) | instskip(SKIP_1) | instid1(VALU_DEP_3)
	v_add_f64 v[146:147], v[146:147], 1.0
	v_cmp_eq_f64_e64 s19, 0x7ff00000, v[4:5]
	v_sub_nc_u32_e32 v160, 0, v215
	s_delay_alu instid0(VALU_DEP_1) | instskip(NEXT) | instid1(VALU_DEP_4)
	v_ldexp_f64 v[8:9], v[8:9], v160
	v_add_f64 v[146:147], v[148:149], v[146:147]
	s_delay_alu instid0(VALU_DEP_2) | instskip(SKIP_1) | instid1(VALU_DEP_3)
	v_add_f64 v[150:151], v[8:9], 1.0
	v_add_f64 v[164:165], v[8:9], -1.0
	v_ldexp_f64 v[146:147], v[146:147], v160
	s_delay_alu instid0(VALU_DEP_3) | instskip(NEXT) | instid1(VALU_DEP_3)
	v_add_f64 v[148:149], v[150:151], -1.0
	v_add_f64 v[166:167], v[164:165], 1.0
	s_delay_alu instid0(VALU_DEP_2) | instskip(NEXT) | instid1(VALU_DEP_2)
	v_add_f64 v[148:149], v[8:9], -v[148:149]
	v_add_f64 v[8:9], v[8:9], -v[166:167]
	s_delay_alu instid0(VALU_DEP_2) | instskip(NEXT) | instid1(VALU_DEP_2)
	v_add_f64 v[148:149], v[146:147], v[148:149]
	v_add_f64 v[8:9], v[146:147], v[8:9]
	s_delay_alu instid0(VALU_DEP_2) | instskip(NEXT) | instid1(VALU_DEP_2)
	v_add_f64 v[160:161], v[150:151], v[148:149]
	v_add_f64 v[166:167], v[164:165], v[8:9]
	s_delay_alu instid0(VALU_DEP_2) | instskip(SKIP_1) | instid1(VALU_DEP_2)
	v_rcp_f64_e32 v[162:163], v[160:161]
	v_add_f64 v[150:151], v[160:161], -v[150:151]
	v_add_f64 v[164:165], v[166:167], -v[164:165]
	s_delay_alu instid0(VALU_DEP_2) | instskip(SKIP_3) | instid1(VALU_DEP_2)
	v_add_f64 v[148:149], v[148:149], -v[150:151]
	s_waitcnt_depctr 0xfff
	v_fma_f64 v[176:177], -v[160:161], v[162:163], 1.0
	v_add_f64 v[8:9], v[8:9], -v[164:165]
	v_fma_f64 v[162:163], v[176:177], v[162:163], v[162:163]
	s_delay_alu instid0(VALU_DEP_1) | instskip(NEXT) | instid1(VALU_DEP_1)
	v_fma_f64 v[146:147], -v[160:161], v[162:163], 1.0
	v_fma_f64 v[146:147], v[146:147], v[162:163], v[162:163]
	s_delay_alu instid0(VALU_DEP_1) | instskip(NEXT) | instid1(VALU_DEP_1)
	v_mul_f64 v[162:163], v[166:167], v[146:147]
	v_mul_f64 v[176:177], v[160:161], v[162:163]
	s_delay_alu instid0(VALU_DEP_1) | instskip(NEXT) | instid1(VALU_DEP_1)
	v_fma_f64 v[150:151], v[162:163], v[160:161], -v[176:177]
	v_fma_f64 v[150:151], v[162:163], v[148:149], v[150:151]
	s_delay_alu instid0(VALU_DEP_1) | instskip(NEXT) | instid1(VALU_DEP_1)
	v_add_f64 v[213:214], v[176:177], v[150:151]
	v_add_f64 v[224:225], v[166:167], -v[213:214]
	v_add_f64 v[164:165], v[213:214], -v[176:177]
	s_delay_alu instid0(VALU_DEP_2) | instskip(NEXT) | instid1(VALU_DEP_2)
	v_add_f64 v[166:167], v[166:167], -v[224:225]
	v_add_f64 v[150:151], v[164:165], -v[150:151]
	s_delay_alu instid0(VALU_DEP_2) | instskip(NEXT) | instid1(VALU_DEP_1)
	v_add_f64 v[166:167], v[166:167], -v[213:214]
	v_add_f64 v[8:9], v[8:9], v[166:167]
	s_delay_alu instid0(VALU_DEP_1) | instskip(NEXT) | instid1(VALU_DEP_1)
	v_add_f64 v[8:9], v[150:151], v[8:9]
	v_add_f64 v[150:151], v[224:225], v[8:9]
	s_delay_alu instid0(VALU_DEP_1) | instskip(SKIP_1) | instid1(VALU_DEP_2)
	v_mul_f64 v[164:165], v[146:147], v[150:151]
	v_add_f64 v[213:214], v[224:225], -v[150:151]
	v_mul_f64 v[166:167], v[160:161], v[164:165]
	s_delay_alu instid0(VALU_DEP_2) | instskip(NEXT) | instid1(VALU_DEP_2)
	v_add_f64 v[8:9], v[8:9], v[213:214]
	v_fma_f64 v[160:161], v[164:165], v[160:161], -v[166:167]
	s_delay_alu instid0(VALU_DEP_1) | instskip(NEXT) | instid1(VALU_DEP_1)
	v_fma_f64 v[148:149], v[164:165], v[148:149], v[160:161]
	v_add_f64 v[160:161], v[166:167], v[148:149]
	s_delay_alu instid0(VALU_DEP_1) | instskip(SKIP_1) | instid1(VALU_DEP_2)
	v_add_f64 v[176:177], v[150:151], -v[160:161]
	v_add_f64 v[166:167], v[160:161], -v[166:167]
	;; [unrolled: 1-line block ×3, first 2 shown]
	s_delay_alu instid0(VALU_DEP_2) | instskip(NEXT) | instid1(VALU_DEP_2)
	v_add_f64 v[148:149], v[166:167], -v[148:149]
	v_add_f64 v[150:151], v[150:151], -v[160:161]
	s_delay_alu instid0(VALU_DEP_1) | instskip(SKIP_1) | instid1(VALU_DEP_2)
	v_add_f64 v[8:9], v[8:9], v[150:151]
	v_add_f64 v[150:151], v[162:163], v[164:165]
	;; [unrolled: 1-line block ×3, first 2 shown]
	s_delay_alu instid0(VALU_DEP_2) | instskip(NEXT) | instid1(VALU_DEP_2)
	v_add_f64 v[148:149], v[150:151], -v[162:163]
	v_add_f64 v[8:9], v[176:177], v[8:9]
	s_delay_alu instid0(VALU_DEP_2) | instskip(NEXT) | instid1(VALU_DEP_2)
	v_add_f64 v[148:149], v[164:165], -v[148:149]
	v_mul_f64 v[8:9], v[146:147], v[8:9]
	s_delay_alu instid0(VALU_DEP_1) | instskip(NEXT) | instid1(VALU_DEP_1)
	v_add_f64 v[8:9], v[148:149], v[8:9]
	v_add_f64 v[146:147], v[150:151], v[8:9]
	s_delay_alu instid0(VALU_DEP_1) | instskip(NEXT) | instid1(VALU_DEP_1)
	v_mul_f64 v[148:149], v[146:147], v[146:147]
	v_fma_f64 v[160:161], v[148:149], s[30:31], s[28:29]
	s_mov_b32 s28, 0xd7f4df2e
	s_mov_b32 s29, 0x3fc7474d
	v_mul_f64 v[162:163], v[146:147], v[148:149]
	s_delay_alu instid0(VALU_DEP_2)
	v_fma_f64 v[160:161], v[148:149], v[160:161], s[28:29]
	s_mov_b32 s28, 0x16291751
	s_mov_b32 s29, 0x3fcc71c0
	s_delay_alu instid0(VALU_DEP_1) | instid1(SALU_CYCLE_1)
	v_fma_f64 v[160:161], v[148:149], v[160:161], s[28:29]
	s_mov_b32 s28, 0x9b27acf1
	s_mov_b32 s29, 0x3fd24924
	s_delay_alu instid0(VALU_DEP_1) | instid1(SALU_CYCLE_1)
	;; [unrolled: 4-line block ×3, first 2 shown]
	v_fma_f64 v[160:161], v[148:149], v[160:161], s[28:29]
	s_delay_alu instid0(VALU_DEP_1) | instskip(SKIP_2) | instid1(VALU_DEP_3)
	v_fma_f64 v[148:149], v[148:149], v[160:161], s[20:21]
	v_ldexp_f64 v[160:161], v[146:147], 1
	v_add_f64 v[146:147], v[146:147], -v[150:151]
	v_mul_f64 v[148:149], v[162:163], v[148:149]
	v_cvt_f64_i32_e32 v[162:163], v215
	s_delay_alu instid0(VALU_DEP_3) | instskip(NEXT) | instid1(VALU_DEP_3)
	v_add_f64 v[8:9], v[8:9], -v[146:147]
	v_add_f64 v[150:151], v[160:161], v[148:149]
	s_delay_alu instid0(VALU_DEP_3) | instskip(NEXT) | instid1(VALU_DEP_3)
	v_mul_f64 v[164:165], v[162:163], s[22:23]
	v_ldexp_f64 v[8:9], v[8:9], 1
	s_delay_alu instid0(VALU_DEP_3) | instskip(NEXT) | instid1(VALU_DEP_3)
	v_add_f64 v[146:147], v[150:151], -v[160:161]
	v_fma_f64 v[160:161], v[162:163], s[22:23], -v[164:165]
	s_delay_alu instid0(VALU_DEP_2) | instskip(NEXT) | instid1(VALU_DEP_2)
	v_add_f64 v[146:147], v[148:149], -v[146:147]
	v_fma_f64 v[148:149], v[162:163], s[24:25], v[160:161]
	s_delay_alu instid0(VALU_DEP_2) | instskip(NEXT) | instid1(VALU_DEP_2)
	v_add_f64 v[8:9], v[8:9], v[146:147]
	v_add_f64 v[146:147], v[164:165], v[148:149]
	s_delay_alu instid0(VALU_DEP_2) | instskip(NEXT) | instid1(VALU_DEP_2)
	v_add_f64 v[160:161], v[150:151], v[8:9]
	v_add_f64 v[164:165], v[146:147], -v[164:165]
	s_delay_alu instid0(VALU_DEP_2) | instskip(SKIP_1) | instid1(VALU_DEP_3)
	v_add_f64 v[162:163], v[146:147], v[160:161]
	v_add_f64 v[150:151], v[160:161], -v[150:151]
	v_add_f64 v[148:149], v[148:149], -v[164:165]
	s_delay_alu instid0(VALU_DEP_3) | instskip(NEXT) | instid1(VALU_DEP_3)
	v_add_f64 v[166:167], v[162:163], -v[146:147]
	v_add_f64 v[8:9], v[8:9], -v[150:151]
	s_delay_alu instid0(VALU_DEP_2) | instskip(SKIP_1) | instid1(VALU_DEP_3)
	v_add_f64 v[176:177], v[162:163], -v[166:167]
	v_add_f64 v[150:151], v[160:161], -v[166:167]
	v_add_f64 v[160:161], v[148:149], v[8:9]
	s_delay_alu instid0(VALU_DEP_3) | instskip(NEXT) | instid1(VALU_DEP_1)
	v_add_f64 v[146:147], v[146:147], -v[176:177]
	v_add_f64 v[146:147], v[150:151], v[146:147]
	s_delay_alu instid0(VALU_DEP_3) | instskip(NEXT) | instid1(VALU_DEP_2)
	v_add_f64 v[150:151], v[160:161], -v[148:149]
	v_add_f64 v[146:147], v[160:161], v[146:147]
	s_delay_alu instid0(VALU_DEP_2) | instskip(SKIP_1) | instid1(VALU_DEP_3)
	v_add_f64 v[160:161], v[160:161], -v[150:151]
	v_add_f64 v[8:9], v[8:9], -v[150:151]
	v_add_f64 v[164:165], v[162:163], v[146:147]
	s_delay_alu instid0(VALU_DEP_3) | instskip(NEXT) | instid1(VALU_DEP_2)
	v_add_f64 v[148:149], v[148:149], -v[160:161]
	v_add_f64 v[150:151], v[164:165], -v[162:163]
	s_delay_alu instid0(VALU_DEP_2) | instskip(NEXT) | instid1(VALU_DEP_2)
	v_add_f64 v[8:9], v[8:9], v[148:149]
	v_add_f64 v[146:147], v[146:147], -v[150:151]
	s_delay_alu instid0(VALU_DEP_1) | instskip(NEXT) | instid1(VALU_DEP_1)
	v_add_f64 v[8:9], v[8:9], v[146:147]
	v_add_f64 v[8:9], v[164:165], v[8:9]
	s_delay_alu instid0(VALU_DEP_1) | instskip(NEXT) | instid1(VALU_DEP_2)
	v_cndmask_b32_e64 v8, v8, v4, s19
	v_cndmask_b32_e64 v9, v9, v5, s19
	v_cmp_ngt_f64_e64 s19, -1.0, v[4:5]
	s_delay_alu instid0(VALU_DEP_1) | instskip(SKIP_1) | instid1(VALU_DEP_1)
	v_cndmask_b32_e64 v9, 0x7ff80000, v9, s19
	v_cmp_nge_f64_e64 s19, -1.0, v[4:5]
	v_cndmask_b32_e64 v8, 0, v8, s19
	v_cmp_neq_f64_e64 s19, -1.0, v[4:5]
	s_delay_alu instid0(VALU_DEP_1) | instskip(NEXT) | instid1(VALU_DEP_1)
	v_cndmask_b32_e64 v9, 0xfff00000, v9, s19
	v_add_f64 v[4:5], v[6:7], v[8:9]
.LBB36_93:
	s_or_b32 exec_lo, exec_lo, s27
.LBB36_94:
	s_delay_alu instid0(SALU_CYCLE_1) | instskip(SKIP_1) | instid1(VALU_DEP_1)
	s_or_b32 exec_lo, exec_lo, s26
	v_add_nc_u32_e32 v6, -1, v212
	v_cmp_gt_i32_e64 s19, 0, v6
	s_delay_alu instid0(VALU_DEP_1) | instskip(SKIP_1) | instid1(VALU_DEP_2)
	v_cndmask_b32_e64 v6, v6, v212, s19
	v_cmp_eq_u32_e64 s19, 0, v212
	v_lshlrev_b32_e32 v6, 2, v6
	ds_bpermute_b32 v213, v6, v4
	ds_bpermute_b32 v214, v6, v5
	s_and_saveexec_b32 s73, vcc_lo
	s_cbranch_execz .LBB36_223
; %bb.95:
	v_mov_b32_e32 v8, 0
	ds_load_b64 v[4:5], v8 offset:56
	s_and_saveexec_b32 s20, s19
	s_cbranch_execz .LBB36_104
; %bb.96:
	s_add_i32 s22, s72, 32
	s_mov_b32 s23, 0
	s_mov_b32 s21, exec_lo
	s_lshl_b64 s[22:23], s[22:23], 4
	s_delay_alu instid0(SALU_CYCLE_1)
	v_add_co_u32 v146, vcc_lo, v116, s22
	v_add_co_ci_u32_e32 v147, vcc_lo, s23, v117, vcc_lo
	s_mov_b64 s[22:23], src_shared_base
	s_delay_alu instid0(VALU_DEP_1) | instid1(SALU_CYCLE_1)
	v_cmpx_ne_u32_e64 s23, v147
	s_xor_b32 s21, exec_lo, s21
	s_cbranch_execz .LBB36_102
; %bb.97:
	s_mov_b64 s[22:23], src_private_base
	s_mov_b32 s22, exec_lo
	v_cmpx_ne_u32_e64 s23, v147
	s_xor_b32 s22, exec_lo, s22
	s_cbranch_execz .LBB36_99
; %bb.98:
	v_dual_mov_b32 v6, 1 :: v_dual_mov_b32 v7, 0
	s_waitcnt lgkmcnt(0)
	;;#ASMSTART
	global_store_dwordx4 v[146:147], v[4:7] off	
s_waitcnt vmcnt(0)
	;;#ASMEND
                                        ; implicit-def: $vgpr146_vgpr147
.LBB36_99:
	s_and_not1_saveexec_b32 s22, s22
	s_cbranch_execz .LBB36_101
; %bb.100:
	v_dual_mov_b32 v6, 1 :: v_dual_mov_b32 v7, 0
	s_waitcnt lgkmcnt(0)
	;;#ASMSTART
	flat_store_dwordx4 v[146:147], v[4:7] 	
s_waitcnt vmcnt(0)
	;;#ASMEND
.LBB36_101:
	s_or_b32 exec_lo, exec_lo, s22
                                        ; implicit-def: $vgpr146_vgpr147
.LBB36_102:
	s_and_not1_saveexec_b32 s21, s21
	s_cbranch_execz .LBB36_104
; %bb.103:
	v_cmp_ne_u64_e32 vcc_lo, 0, v[146:147]
	v_dual_mov_b32 v7, 0 :: v_dual_mov_b32 v6, 1
	v_cndmask_b32_e32 v9, -1, v146, vcc_lo
	s_waitcnt lgkmcnt(0)
	;;#ASMSTART
	ds_write_b128 v9, v[4:7] 	
s_waitcnt lgkmcnt(0)
	;;#ASMEND
.LBB36_104:
	s_or_b32 exec_lo, exec_lo, s20
	v_xad_u32 v146, v212, -1, s72
	s_mov_b64 s[20:21], src_shared_base
                                        ; implicit-def: $vgpr160_vgpr161
                                        ; implicit-def: $vgpr161_vgpr162
                                        ; implicit-def: $vgpr162_vgpr163
                                        ; implicit-def: $vgpr163_vgpr164
	s_delay_alu instid0(VALU_DEP_1) | instskip(NEXT) | instid1(VALU_DEP_1)
	v_add_nc_u32_e32 v7, 32, v146
                                        ; implicit-def: $vgpr165_vgpr166
                                        ; implicit-def: $vgpr149_vgpr150
	v_lshlrev_b64 v[6:7], 4, v[7:8]
                                        ; implicit-def: $vgpr8
	s_delay_alu instid0(VALU_DEP_1) | instskip(NEXT) | instid1(VALU_DEP_2)
	v_add_co_u32 v147, vcc_lo, v116, v6
	v_add_co_ci_u32_e32 v148, vcc_lo, v117, v7, vcc_lo
	s_delay_alu instid0(VALU_DEP_1) | instskip(SKIP_1) | instid1(SALU_CYCLE_1)
	v_cmp_ne_u32_e32 vcc_lo, s21, v148
	s_and_saveexec_b32 s20, vcc_lo
	s_xor_b32 s21, exec_lo, s20
	s_cbranch_execz .LBB36_110
; %bb.105:
	s_mov_b64 s[22:23], src_private_base
                                        ; implicit-def: $vgpr160_vgpr161
                                        ; implicit-def: $vgpr161_vgpr162
	s_delay_alu instid0(SALU_CYCLE_1) | instskip(NEXT) | instid1(VALU_DEP_1)
	v_cmp_ne_u32_e64 s20, s23, v148
                                        ; implicit-def: $vgpr162_vgpr163
                                        ; implicit-def: $vgpr8
                                        ; implicit-def: $vgpr163_vgpr164
                                        ; implicit-def: $vgpr165_vgpr166
                                        ; implicit-def: $vgpr149_vgpr150
	s_and_saveexec_b32 s22, s20
	s_delay_alu instid0(SALU_CYCLE_1)
	s_xor_b32 s20, exec_lo, s22
	s_cbranch_execz .LBB36_107
; %bb.106:
	;;#ASMSTART
	global_load_dwordx4 v[6:9], v[147:148] off glc	
s_waitcnt vmcnt(0)
	;;#ASMEND
	v_lshrrev_b64 v[149:150], 8, v[6:7]
	v_lshlrev_b64 v[150:151], 24, v[8:9]
	v_lshlrev_b64 v[160:161], 16, v[8:9]
	;; [unrolled: 1-line block ×3, first 2 shown]
	v_lshrrev_b32_e32 v151, 8, v7
	v_lshrrev_b32_e32 v161, 16, v7
	;; [unrolled: 1-line block ×3, first 2 shown]
	v_lshrrev_b64 v[165:166], 16, v[6:7]
	v_lshrrev_b64 v[163:164], 24, v[6:7]
	v_or_b32_e32 v162, v151, v150
	v_or_b32_e32 v161, v161, v160
	v_or_b32_e32 v160, v9, v176
.LBB36_107:
	s_and_not1_saveexec_b32 s20, s20
	s_cbranch_execz .LBB36_109
; %bb.108:
	;;#ASMSTART
	flat_load_dwordx4 v[6:9], v[147:148] glc	
s_waitcnt vmcnt(0)
	;;#ASMEND
	v_lshrrev_b64 v[149:150], 8, v[6:7]
	v_lshlrev_b64 v[150:151], 24, v[8:9]
	v_lshlrev_b64 v[160:161], 16, v[8:9]
	;; [unrolled: 1-line block ×3, first 2 shown]
	v_lshrrev_b32_e32 v151, 8, v7
	v_lshrrev_b32_e32 v161, 16, v7
	;; [unrolled: 1-line block ×3, first 2 shown]
	v_lshrrev_b64 v[165:166], 16, v[6:7]
	v_lshrrev_b64 v[163:164], 24, v[6:7]
	v_or_b32_e32 v162, v151, v150
	v_or_b32_e32 v161, v161, v160
	;; [unrolled: 1-line block ×3, first 2 shown]
.LBB36_109:
	s_or_b32 exec_lo, exec_lo, s20
.LBB36_110:
	s_and_not1_saveexec_b32 s21, s21
	s_cbranch_execz .LBB36_112
; %bb.111:
	v_cmp_ne_u64_e64 s20, 0, v[147:148]
	s_delay_alu instid0(VALU_DEP_1) | instskip(SKIP_1) | instid1(VALU_DEP_1)
	v_cndmask_b32_e64 v6, -1, v147, s20
	;;#ASMSTART
	ds_read_b128 v[6:9], v6 	
s_waitcnt lgkmcnt(0)
	;;#ASMEND
	v_lshrrev_b64 v[149:150], 8, v[6:7]
	v_lshlrev_b64 v[150:151], 24, v[8:9]
	v_lshlrev_b64 v[160:161], 16, v[8:9]
	v_lshlrev_b64 v[176:177], 8, v[8:9]
	v_lshrrev_b32_e32 v151, 8, v7
	v_lshrrev_b32_e32 v161, 16, v7
	;; [unrolled: 1-line block ×3, first 2 shown]
	v_lshrrev_b64 v[165:166], 16, v[6:7]
	v_lshrrev_b64 v[163:164], 24, v[6:7]
	v_or_b32_e32 v162, v151, v150
	v_or_b32_e32 v161, v161, v160
	;; [unrolled: 1-line block ×3, first 2 shown]
.LBB36_112:
	s_or_b32 exec_lo, exec_lo, s21
	v_lshlrev_b32_e32 v9, 8, v149
	v_lshlrev_b32_e32 v149, 16, v165
	;; [unrolled: 1-line block ×4, first 2 shown]
	v_and_b32_e32 v7, 0xff, v7
	v_perm_b32 v6, v9, v6, 0xc0c0500
	v_and_b32_e32 v9, 0xff0000, v149
	v_lshlrev_b32_e32 v149, 16, v161
	v_and_b32_e32 v151, 0xff00, v151
	s_mov_b32 s23, 0
	s_mov_b32 s22, exec_lo
	v_or3_b32 v6, v6, v9, v150
	v_lshlrev_b32_e32 v9, 24, v160
	v_and_b32_e32 v149, 0xff0000, v149
	v_or3_b32 v7, 0, v7, v151
	v_and_b32_e32 v151, 0xff, v8
	v_or3_b32 v6, v6, 0, 0
	s_delay_alu instid0(VALU_DEP_3) | instskip(NEXT) | instid1(VALU_DEP_2)
	v_or3_b32 v150, v7, v149, v9
	v_or3_b32 v149, v6, 0, 0
	s_delay_alu instid0(VALU_DEP_4)
	v_cmpx_eq_u16_e64 0, v151
	s_cbranch_execz .LBB36_142
; %bb.113:
	s_mov_b64 s[20:21], src_private_base
	s_mov_b32 s24, 1
	v_cmp_ne_u32_e64 s20, s21, v148
	v_cmp_ne_u64_e64 s21, 0, v[147:148]
	s_delay_alu instid0(VALU_DEP_1)
	v_cndmask_b32_e64 v151, -1, v147, s21
	s_branch .LBB36_115
.LBB36_114:                             ;   in Loop: Header=BB36_115 Depth=1
	s_or_b32 exec_lo, exec_lo, s21
	v_and_b32_e32 v9, 0xff, v8
	s_cmp_lt_u32 s24, 32
	s_cselect_b32 s25, -1, 0
	s_delay_alu instid0(SALU_CYCLE_1) | instskip(NEXT) | instid1(VALU_DEP_1)
	s_cmp_lg_u32 s25, 0
	v_cmp_ne_u16_e64 s21, 0, v9
	s_addc_u32 s24, s24, 0
	s_delay_alu instid0(VALU_DEP_1) | instskip(NEXT) | instid1(SALU_CYCLE_1)
	s_or_b32 s23, s21, s23
	s_and_not1_b32 exec_lo, exec_lo, s23
	s_cbranch_execz .LBB36_141
.LBB36_115:                             ; =>This Loop Header: Depth=1
                                        ;     Child Loop BB36_116 Depth 2
	s_max_u32 s21, s24, 1
.LBB36_116:                             ;   Parent Loop BB36_115 Depth=1
                                        ; =>  This Inner Loop Header: Depth=2
	s_delay_alu instid0(SALU_CYCLE_1)
	s_add_i32 s21, s21, -1
	s_sleep 1
	s_cmp_eq_u32 s21, 0
	s_cbranch_scc0 .LBB36_116
; %bb.117:                              ;   in Loop: Header=BB36_115 Depth=1
                                        ; implicit-def: $vgpr160_vgpr161
                                        ; implicit-def: $vgpr164_vgpr165
                                        ; implicit-def: $vgpr8
                                        ; implicit-def: $vgpr149_vgpr150
                                        ; implicit-def: $vgpr161_vgpr162
                                        ; implicit-def: $vgpr165_vgpr166
                                        ; implicit-def: $vgpr162_vgpr163
	s_and_saveexec_b32 s21, vcc_lo
	s_delay_alu instid0(SALU_CYCLE_1)
	s_xor_b32 s21, exec_lo, s21
	s_cbranch_execz .LBB36_123
; %bb.118:                              ;   in Loop: Header=BB36_115 Depth=1
                                        ; implicit-def: $vgpr160_vgpr161
                                        ; implicit-def: $vgpr164_vgpr165
                                        ; implicit-def: $vgpr8
                                        ; implicit-def: $vgpr149_vgpr150
                                        ; implicit-def: $vgpr161_vgpr162
                                        ; implicit-def: $vgpr165_vgpr166
                                        ; implicit-def: $vgpr162_vgpr163
	s_and_saveexec_b32 s25, s20
	s_delay_alu instid0(SALU_CYCLE_1)
	s_xor_b32 s25, exec_lo, s25
	s_cbranch_execz .LBB36_120
; %bb.119:                              ;   in Loop: Header=BB36_115 Depth=1
	;;#ASMSTART
	global_load_dwordx4 v[6:9], v[147:148] off glc	
s_waitcnt vmcnt(0)
	;;#ASMEND
	v_lshlrev_b64 v[160:161], 24, v[8:9]
	v_lshrrev_b64 v[149:150], 8, v[6:7]
	v_lshlrev_b64 v[161:162], 16, v[8:9]
	v_lshlrev_b64 v[176:177], 8, v[8:9]
	v_lshrrev_b32_e32 v150, 8, v7
	v_lshrrev_b32_e32 v167, 16, v7
	;; [unrolled: 1-line block ×3, first 2 shown]
	v_lshrrev_b64 v[165:166], 16, v[6:7]
	v_lshrrev_b64 v[162:163], 24, v[6:7]
	v_or_b32_e32 v164, v150, v160
	v_or_b32_e32 v161, v167, v161
	;; [unrolled: 1-line block ×3, first 2 shown]
.LBB36_120:                             ;   in Loop: Header=BB36_115 Depth=1
	s_and_not1_saveexec_b32 s25, s25
	s_cbranch_execz .LBB36_122
; %bb.121:                              ;   in Loop: Header=BB36_115 Depth=1
	;;#ASMSTART
	flat_load_dwordx4 v[6:9], v[147:148] glc	
s_waitcnt vmcnt(0)
	;;#ASMEND
	v_lshlrev_b64 v[160:161], 24, v[8:9]
	v_lshrrev_b64 v[149:150], 8, v[6:7]
	v_lshlrev_b64 v[161:162], 16, v[8:9]
	v_lshlrev_b64 v[176:177], 8, v[8:9]
	v_lshrrev_b32_e32 v150, 8, v7
	v_lshrrev_b32_e32 v167, 16, v7
	;; [unrolled: 1-line block ×3, first 2 shown]
	v_lshrrev_b64 v[165:166], 16, v[6:7]
	v_lshrrev_b64 v[162:163], 24, v[6:7]
	v_or_b32_e32 v164, v150, v160
	v_or_b32_e32 v161, v167, v161
	;; [unrolled: 1-line block ×3, first 2 shown]
.LBB36_122:                             ;   in Loop: Header=BB36_115 Depth=1
	s_or_b32 exec_lo, exec_lo, s25
.LBB36_123:                             ;   in Loop: Header=BB36_115 Depth=1
	s_and_not1_saveexec_b32 s21, s21
	s_cbranch_execz .LBB36_114
; %bb.124:                              ;   in Loop: Header=BB36_115 Depth=1
	;;#ASMSTART
	ds_read_b128 v[6:9], v151 	
s_waitcnt lgkmcnt(0)
	;;#ASMEND
	v_lshlrev_b64 v[160:161], 24, v[8:9]
	v_lshrrev_b64 v[149:150], 8, v[6:7]
	v_lshlrev_b64 v[161:162], 16, v[8:9]
	v_lshlrev_b64 v[176:177], 8, v[8:9]
	v_lshrrev_b32_e32 v150, 8, v7
	v_lshrrev_b32_e32 v167, 16, v7
	;; [unrolled: 1-line block ×3, first 2 shown]
	v_lshrrev_b64 v[165:166], 16, v[6:7]
	v_lshrrev_b64 v[162:163], 24, v[6:7]
	v_or_b32_e32 v164, v150, v160
	v_or_b32_e32 v161, v167, v161
	;; [unrolled: 1-line block ×3, first 2 shown]
	s_branch .LBB36_114
.LBB36_125:
                                        ; implicit-def: $vgpr4_vgpr5_vgpr6_vgpr7_vgpr8_vgpr9_vgpr10_vgpr11_vgpr12_vgpr13_vgpr14_vgpr15_vgpr16_vgpr17_vgpr18_vgpr19_vgpr20_vgpr21_vgpr22_vgpr23_vgpr24_vgpr25_vgpr26_vgpr27_vgpr28_vgpr29_vgpr30_vgpr31_vgpr32_vgpr33_vgpr34_vgpr35
	s_cbranch_execnz .LBB36_260
; %bb.475:
	s_getpc_b64 s[74:75]
.Lpost_getpc1:
	s_add_u32 s74, s74, (.LBB36_379-.Lpost_getpc1)&4294967295
	s_addc_u32 s75, s75, (.LBB36_379-.Lpost_getpc1)>>32
	s_setpc_b64 s[74:75]
.LBB36_126:
	v_add_co_u32 v32, vcc_lo, v30, v198
	v_add_co_ci_u32_e32 v33, vcc_lo, 0, v31, vcc_lo
	flat_load_b64 v[32:33], v[32:33]
	s_or_b32 exec_lo, exec_lo, s4
	s_delay_alu instid0(SALU_CYCLE_1)
	s_mov_b32 s4, exec_lo
	v_cmpx_lt_u32_e64 v210, v183
	s_cbranch_execz .LBB36_7
.LBB36_127:
	v_add_co_u32 v16, vcc_lo, v30, v198
	v_add_co_ci_u32_e32 v17, vcc_lo, 0, v31, vcc_lo
	flat_load_b64 v[16:17], v[16:17] offset:2048
	s_or_b32 exec_lo, exec_lo, s4
	s_delay_alu instid0(SALU_CYCLE_1)
	s_mov_b32 s4, exec_lo
	v_cmpx_lt_u32_e64 v209, v183
	s_cbranch_execz .LBB36_8
.LBB36_128:
	v_lshlrev_b32_e32 v26, 3, v209
	s_delay_alu instid0(VALU_DEP_1) | instskip(SKIP_3) | instid1(SALU_CYCLE_1)
	v_add_co_u32 v26, vcc_lo, v30, v26
	v_add_co_ci_u32_e32 v27, vcc_lo, 0, v31, vcc_lo
	flat_load_b64 v[26:27], v[26:27]
	s_or_b32 exec_lo, exec_lo, s4
	s_mov_b32 s4, exec_lo
	v_cmpx_lt_u32_e64 v208, v183
	s_cbranch_execz .LBB36_9
.LBB36_129:
	v_lshlrev_b32_e32 v28, 3, v208
	s_delay_alu instid0(VALU_DEP_1) | instskip(SKIP_3) | instid1(SALU_CYCLE_1)
	v_add_co_u32 v28, vcc_lo, v30, v28
	v_add_co_ci_u32_e32 v29, vcc_lo, 0, v31, vcc_lo
	flat_load_b64 v[28:29], v[28:29]
	s_or_b32 exec_lo, exec_lo, s4
	s_mov_b32 s4, exec_lo
	v_cmpx_lt_u32_e64 v199, v183
	s_cbranch_execz .LBB36_10
.LBB36_130:
	v_lshlrev_b32_e32 v18, 3, v199
	s_delay_alu instid0(VALU_DEP_1) | instskip(SKIP_3) | instid1(SALU_CYCLE_1)
	v_add_co_u32 v18, vcc_lo, v30, v18
	v_add_co_ci_u32_e32 v19, vcc_lo, 0, v31, vcc_lo
	flat_load_b64 v[18:19], v[18:19]
	s_or_b32 exec_lo, exec_lo, s4
	s_mov_b32 s4, exec_lo
	v_cmpx_lt_u32_e64 v197, v183
	s_cbranch_execz .LBB36_11
.LBB36_131:
	v_lshlrev_b32_e32 v20, 3, v197
	s_delay_alu instid0(VALU_DEP_1) | instskip(SKIP_3) | instid1(SALU_CYCLE_1)
	v_add_co_u32 v20, vcc_lo, v30, v20
	v_add_co_ci_u32_e32 v21, vcc_lo, 0, v31, vcc_lo
	flat_load_b64 v[20:21], v[20:21]
	s_or_b32 exec_lo, exec_lo, s4
	s_mov_b32 s4, exec_lo
	v_cmpx_lt_u32_e64 v196, v183
	s_cbranch_execz .LBB36_12
.LBB36_132:
	v_lshlrev_b32_e32 v22, 3, v196
	s_delay_alu instid0(VALU_DEP_1) | instskip(SKIP_3) | instid1(SALU_CYCLE_1)
	v_add_co_u32 v22, vcc_lo, v30, v22
	v_add_co_ci_u32_e32 v23, vcc_lo, 0, v31, vcc_lo
	flat_load_b64 v[22:23], v[22:23]
	s_or_b32 exec_lo, exec_lo, s4
	s_mov_b32 s4, exec_lo
	v_cmpx_lt_u32_e64 v195, v183
	s_cbranch_execz .LBB36_13
.LBB36_133:
	v_lshlrev_b32_e32 v24, 3, v195
	s_delay_alu instid0(VALU_DEP_1) | instskip(SKIP_3) | instid1(SALU_CYCLE_1)
	v_add_co_u32 v24, vcc_lo, v30, v24
	v_add_co_ci_u32_e32 v25, vcc_lo, 0, v31, vcc_lo
	flat_load_b64 v[24:25], v[24:25]
	s_or_b32 exec_lo, exec_lo, s4
	s_mov_b32 s4, exec_lo
	v_cmpx_lt_u32_e64 v194, v183
	s_cbranch_execz .LBB36_14
.LBB36_134:
	v_lshlrev_b32_e32 v0, 3, v194
	s_delay_alu instid0(VALU_DEP_1) | instskip(SKIP_3) | instid1(SALU_CYCLE_1)
	v_add_co_u32 v0, vcc_lo, v30, v0
	v_add_co_ci_u32_e32 v1, vcc_lo, 0, v31, vcc_lo
	flat_load_b64 v[0:1], v[0:1]
	s_or_b32 exec_lo, exec_lo, s4
	s_mov_b32 s4, exec_lo
	v_cmpx_lt_u32_e64 v193, v183
	s_cbranch_execz .LBB36_15
.LBB36_135:
	v_lshlrev_b32_e32 v2, 3, v193
	s_delay_alu instid0(VALU_DEP_1) | instskip(SKIP_3) | instid1(SALU_CYCLE_1)
	v_add_co_u32 v2, vcc_lo, v30, v2
	v_add_co_ci_u32_e32 v3, vcc_lo, 0, v31, vcc_lo
	flat_load_b64 v[2:3], v[2:3]
	s_or_b32 exec_lo, exec_lo, s4
	s_mov_b32 s4, exec_lo
	v_cmpx_lt_u32_e64 v182, v183
	s_cbranch_execz .LBB36_16
.LBB36_136:
	v_lshlrev_b32_e32 v4, 3, v182
	s_delay_alu instid0(VALU_DEP_1) | instskip(SKIP_3) | instid1(SALU_CYCLE_1)
	v_add_co_u32 v4, vcc_lo, v30, v4
	v_add_co_ci_u32_e32 v5, vcc_lo, 0, v31, vcc_lo
	flat_load_b64 v[4:5], v[4:5]
	s_or_b32 exec_lo, exec_lo, s4
	s_mov_b32 s4, exec_lo
	v_cmpx_lt_u32_e64 v181, v183
	s_cbranch_execz .LBB36_17
.LBB36_137:
	v_lshlrev_b32_e32 v6, 3, v181
	s_delay_alu instid0(VALU_DEP_1) | instskip(SKIP_3) | instid1(SALU_CYCLE_1)
	v_add_co_u32 v6, vcc_lo, v30, v6
	v_add_co_ci_u32_e32 v7, vcc_lo, 0, v31, vcc_lo
	flat_load_b64 v[6:7], v[6:7]
	s_or_b32 exec_lo, exec_lo, s4
	s_mov_b32 s4, exec_lo
	v_cmpx_lt_u32_e64 v180, v183
	s_cbranch_execz .LBB36_18
.LBB36_138:
	v_lshlrev_b32_e32 v8, 3, v180
	s_delay_alu instid0(VALU_DEP_1) | instskip(SKIP_3) | instid1(SALU_CYCLE_1)
	v_add_co_u32 v8, vcc_lo, v30, v8
	v_add_co_ci_u32_e32 v9, vcc_lo, 0, v31, vcc_lo
	flat_load_b64 v[8:9], v[8:9]
	s_or_b32 exec_lo, exec_lo, s4
	s_mov_b32 s4, exec_lo
	v_cmpx_lt_u32_e64 v179, v183
	s_cbranch_execz .LBB36_19
.LBB36_139:
	v_lshlrev_b32_e32 v10, 3, v179
	s_delay_alu instid0(VALU_DEP_1) | instskip(SKIP_3) | instid1(SALU_CYCLE_1)
	v_add_co_u32 v10, vcc_lo, v30, v10
	v_add_co_ci_u32_e32 v11, vcc_lo, 0, v31, vcc_lo
	flat_load_b64 v[10:11], v[10:11]
	s_or_b32 exec_lo, exec_lo, s4
	s_mov_b32 s4, exec_lo
	v_cmpx_lt_u32_e64 v178, v183
	s_cbranch_execz .LBB36_20
.LBB36_140:
	v_lshlrev_b32_e32 v12, 3, v178
	s_delay_alu instid0(VALU_DEP_1) | instskip(SKIP_3) | instid1(SALU_CYCLE_1)
	v_add_co_u32 v12, vcc_lo, v30, v12
	v_add_co_ci_u32_e32 v13, vcc_lo, 0, v31, vcc_lo
	flat_load_b64 v[12:13], v[12:13]
	s_or_b32 exec_lo, exec_lo, s4
	s_mov_b32 s4, exec_lo
	v_cmpx_lt_u32_e64 v135, v183
	s_cbranch_execnz .LBB36_21
	s_branch .LBB36_22
.LBB36_141:
	s_or_b32 exec_lo, exec_lo, s23
	v_lshlrev_b32_e32 v9, 8, v149
	v_lshlrev_b32_e32 v147, 16, v165
	;; [unrolled: 1-line block ×3, first 2 shown]
	v_and_b32_e32 v7, 0xff, v7
	v_lshlrev_b32_e32 v149, 16, v161
	v_perm_b32 v6, v9, v6, 0xc0c0500
	v_and_b32_e32 v9, 0xff0000, v147
	v_lshlrev_b32_e32 v147, 24, v162
	v_and_b32_e32 v148, 0xff00, v148
	s_delay_alu instid0(VALU_DEP_2) | instskip(NEXT) | instid1(VALU_DEP_2)
	v_or3_b32 v6, v6, v9, v147
	v_or3_b32 v7, 0, v7, v148
	v_and_b32_e32 v9, 0xff0000, v149
	v_lshlrev_b32_e32 v147, 24, v160
	s_delay_alu instid0(VALU_DEP_4) | instskip(NEXT) | instid1(VALU_DEP_2)
	v_or3_b32 v6, v6, 0, 0
	v_or3_b32 v150, v7, v9, v147
	s_delay_alu instid0(VALU_DEP_2)
	v_or3_b32 v149, v6, 0, 0
.LBB36_142:
	s_or_b32 exec_lo, exec_lo, s22
	v_cmp_ne_u32_e32 vcc_lo, 31, v212
	v_and_b32_e32 v7, 0xff, v8
	v_lshlrev_b32_e64 v224, v212, -1
	s_mov_b32 s26, exec_lo
	v_add_co_ci_u32_e32 v6, vcc_lo, 0, v212, vcc_lo
	s_delay_alu instid0(VALU_DEP_3) | instskip(NEXT) | instid1(VALU_DEP_2)
	v_cmp_eq_u16_e32 vcc_lo, 2, v7
	v_lshlrev_b32_e32 v215, 2, v6
	v_and_or_b32 v6, vcc_lo, v224, 0x80000000
	s_delay_alu instid0(VALU_DEP_1)
	v_ctz_i32_b32_e32 v9, v6
	v_mov_b32_e32 v6, v149
	ds_bpermute_b32 v147, v215, v149
	ds_bpermute_b32 v148, v215, v150
	v_mov_b32_e32 v7, v150
	v_cmpx_lt_u32_e64 v212, v9
	s_cbranch_execz .LBB36_146
; %bb.143:
	s_waitcnt lgkmcnt(0)
	v_max_f64 v[6:7], v[147:148], v[147:148]
	v_max_f64 v[160:161], v[149:150], v[149:150]
	v_cmp_u_f64_e32 vcc_lo, v[147:148], v[147:148]
	v_cmp_u_f64_e64 s20, v[149:150], v[149:150]
	s_delay_alu instid0(VALU_DEP_3) | instskip(SKIP_1) | instid1(VALU_DEP_2)
	v_min_f64 v[162:163], v[6:7], v[160:161]
	v_max_f64 v[6:7], v[6:7], v[160:161]
	v_dual_cndmask_b32 v151, v162, v147 :: v_dual_cndmask_b32 v160, v163, v148
	s_delay_alu instid0(VALU_DEP_2) | instskip(NEXT) | instid1(VALU_DEP_2)
	v_dual_cndmask_b32 v7, v7, v148 :: v_dual_cndmask_b32 v6, v6, v147
	v_cndmask_b32_e64 v161, v160, v150, s20
	s_delay_alu instid0(VALU_DEP_3) | instskip(NEXT) | instid1(VALU_DEP_3)
	v_cndmask_b32_e64 v160, v151, v149, s20
	v_cndmask_b32_e64 v7, v7, v150, s20
	s_delay_alu instid0(VALU_DEP_4) | instskip(NEXT) | instid1(VALU_DEP_3)
	v_cndmask_b32_e64 v6, v6, v149, s20
	v_cmp_class_f64_e64 s20, v[160:161], 0x1f8
	s_delay_alu instid0(VALU_DEP_2) | instskip(NEXT) | instid1(VALU_DEP_2)
	v_cmp_neq_f64_e32 vcc_lo, v[160:161], v[6:7]
	s_or_b32 s20, vcc_lo, s20
	s_delay_alu instid0(SALU_CYCLE_1)
	s_and_saveexec_b32 s27, s20
	s_cbranch_execz .LBB36_145
; %bb.144:
	v_add_f64 v[147:148], v[160:161], -v[6:7]
	s_mov_b32 s20, 0x652b82fe
	s_mov_b32 s21, 0x3ff71547
	;; [unrolled: 1-line block ×8, first 2 shown]
	s_delay_alu instid0(VALU_DEP_1) | instskip(SKIP_3) | instid1(VALU_DEP_2)
	v_mul_f64 v[149:150], v[147:148], s[20:21]
	s_mov_b32 s20, 0xfca7ab0c
	s_mov_b32 s21, 0x3e928af3
	v_cmp_nlt_f64_e32 vcc_lo, 0x40900000, v[147:148]
	v_rndne_f64_e32 v[149:150], v[149:150]
	s_delay_alu instid0(VALU_DEP_1) | instskip(SKIP_2) | instid1(VALU_DEP_2)
	v_fma_f64 v[160:161], v[149:150], s[22:23], v[147:148]
	v_cvt_i32_f64_e32 v151, v[149:150]
	s_mov_b32 s23, 0x3fe62e42
	v_fma_f64 v[160:161], v[149:150], s[24:25], v[160:161]
	s_mov_b32 s25, 0x3c7abc9e
	s_delay_alu instid0(VALU_DEP_1) | instskip(SKIP_4) | instid1(VALU_DEP_1)
	v_fma_f64 v[162:163], v[160:161], s[28:29], s[20:21]
	s_mov_b32 s20, 0x623fde64
	s_mov_b32 s21, 0x3ec71dee
	;; [unrolled: 1-line block ×4, first 2 shown]
	v_fma_f64 v[162:163], v[160:161], v[162:163], s[20:21]
	s_mov_b32 s20, 0x7c89e6b0
	s_mov_b32 s21, 0x3efa0199
	s_delay_alu instid0(VALU_DEP_1) | instid1(SALU_CYCLE_1)
	v_fma_f64 v[162:163], v[160:161], v[162:163], s[20:21]
	s_mov_b32 s20, 0x14761f6e
	s_mov_b32 s21, 0x3f2a01a0
	s_delay_alu instid0(VALU_DEP_1) | instid1(SALU_CYCLE_1)
	;; [unrolled: 4-line block ×7, first 2 shown]
	v_fma_f64 v[162:163], v[160:161], v[162:163], s[20:21]
	v_cmp_ngt_f64_e64 s20, 0xc090cc00, v[147:148]
	s_mov_b32 s21, 0x3fe55555
	s_delay_alu instid0(VALU_DEP_2) | instskip(NEXT) | instid1(VALU_DEP_1)
	v_fma_f64 v[162:163], v[160:161], v[162:163], 1.0
	v_fma_f64 v[149:150], v[160:161], v[162:163], 1.0
	s_delay_alu instid0(VALU_DEP_1) | instskip(NEXT) | instid1(VALU_DEP_1)
	v_ldexp_f64 v[149:150], v[149:150], v151
	v_cndmask_b32_e32 v150, 0x7ff00000, v150, vcc_lo
	s_and_b32 vcc_lo, s20, vcc_lo
	s_delay_alu instid0(VALU_DEP_1) | instskip(NEXT) | instid1(VALU_DEP_3)
	v_cndmask_b32_e64 v148, 0, v150, s20
	v_cndmask_b32_e32 v147, 0, v149, vcc_lo
	s_mov_b32 s20, 0x55555555
	s_delay_alu instid0(VALU_DEP_1) | instskip(NEXT) | instid1(VALU_DEP_1)
	v_add_f64 v[149:150], v[147:148], 1.0
	v_frexp_mant_f64_e32 v[160:161], v[149:150]
	v_frexp_exp_i32_f64_e32 v151, v[149:150]
	v_add_f64 v[162:163], v[149:150], -1.0
	s_delay_alu instid0(VALU_DEP_3) | instskip(SKIP_1) | instid1(VALU_DEP_2)
	v_cmp_gt_f64_e32 vcc_lo, s[20:21], v[160:161]
	s_mov_b32 s20, 0x55555780
	v_add_f64 v[160:161], v[162:163], -v[149:150]
	v_add_f64 v[162:163], v[147:148], -v[162:163]
	v_subrev_co_ci_u32_e32 v151, vcc_lo, 0, v151, vcc_lo
	s_delay_alu instid0(VALU_DEP_3) | instskip(SKIP_2) | instid1(VALU_DEP_2)
	v_add_f64 v[160:161], v[160:161], 1.0
	s_mov_b32 vcc_lo, 0xbf559e2b
	s_mov_b32 vcc_hi, 0x3fc3ab76
	v_sub_nc_u32_e32 v166, 0, v151
	s_delay_alu instid0(VALU_DEP_1) | instskip(NEXT) | instid1(VALU_DEP_3)
	v_ldexp_f64 v[149:150], v[149:150], v166
	v_add_f64 v[160:161], v[162:163], v[160:161]
	s_delay_alu instid0(VALU_DEP_2) | instskip(SKIP_1) | instid1(VALU_DEP_3)
	v_add_f64 v[164:165], v[149:150], 1.0
	v_add_f64 v[225:226], v[149:150], -1.0
	v_ldexp_f64 v[160:161], v[160:161], v166
	s_delay_alu instid0(VALU_DEP_3) | instskip(NEXT) | instid1(VALU_DEP_3)
	v_add_f64 v[162:163], v[164:165], -1.0
	v_add_f64 v[227:228], v[225:226], 1.0
	s_delay_alu instid0(VALU_DEP_2) | instskip(NEXT) | instid1(VALU_DEP_2)
	v_add_f64 v[162:163], v[149:150], -v[162:163]
	v_add_f64 v[149:150], v[149:150], -v[227:228]
	s_delay_alu instid0(VALU_DEP_2) | instskip(NEXT) | instid1(VALU_DEP_2)
	v_add_f64 v[162:163], v[160:161], v[162:163]
	v_add_f64 v[149:150], v[160:161], v[149:150]
	s_delay_alu instid0(VALU_DEP_2) | instskip(NEXT) | instid1(VALU_DEP_2)
	v_add_f64 v[166:167], v[164:165], v[162:163]
	v_add_f64 v[227:228], v[225:226], v[149:150]
	s_delay_alu instid0(VALU_DEP_2) | instskip(SKIP_1) | instid1(VALU_DEP_2)
	v_rcp_f64_e32 v[176:177], v[166:167]
	v_add_f64 v[164:165], v[166:167], -v[164:165]
	v_add_f64 v[225:226], v[227:228], -v[225:226]
	s_delay_alu instid0(VALU_DEP_2) | instskip(SKIP_3) | instid1(VALU_DEP_2)
	v_add_f64 v[162:163], v[162:163], -v[164:165]
	s_waitcnt_depctr 0xfff
	v_fma_f64 v[229:230], -v[166:167], v[176:177], 1.0
	v_add_f64 v[149:150], v[149:150], -v[225:226]
	v_fma_f64 v[176:177], v[229:230], v[176:177], v[176:177]
	s_delay_alu instid0(VALU_DEP_1) | instskip(NEXT) | instid1(VALU_DEP_1)
	v_fma_f64 v[160:161], -v[166:167], v[176:177], 1.0
	v_fma_f64 v[160:161], v[160:161], v[176:177], v[176:177]
	s_delay_alu instid0(VALU_DEP_1) | instskip(NEXT) | instid1(VALU_DEP_1)
	v_mul_f64 v[176:177], v[227:228], v[160:161]
	v_mul_f64 v[229:230], v[166:167], v[176:177]
	s_delay_alu instid0(VALU_DEP_1) | instskip(NEXT) | instid1(VALU_DEP_1)
	v_fma_f64 v[164:165], v[176:177], v[166:167], -v[229:230]
	v_fma_f64 v[164:165], v[176:177], v[162:163], v[164:165]
	s_delay_alu instid0(VALU_DEP_1) | instskip(NEXT) | instid1(VALU_DEP_1)
	v_add_f64 v[240:241], v[229:230], v[164:165]
	v_add_f64 v[242:243], v[227:228], -v[240:241]
	v_add_f64 v[225:226], v[240:241], -v[229:230]
	s_delay_alu instid0(VALU_DEP_2) | instskip(NEXT) | instid1(VALU_DEP_2)
	v_add_f64 v[227:228], v[227:228], -v[242:243]
	v_add_f64 v[164:165], v[225:226], -v[164:165]
	s_delay_alu instid0(VALU_DEP_2) | instskip(NEXT) | instid1(VALU_DEP_1)
	v_add_f64 v[227:228], v[227:228], -v[240:241]
	v_add_f64 v[149:150], v[149:150], v[227:228]
	s_delay_alu instid0(VALU_DEP_1) | instskip(NEXT) | instid1(VALU_DEP_1)
	v_add_f64 v[149:150], v[164:165], v[149:150]
	v_add_f64 v[164:165], v[242:243], v[149:150]
	s_delay_alu instid0(VALU_DEP_1) | instskip(SKIP_1) | instid1(VALU_DEP_2)
	v_mul_f64 v[225:226], v[160:161], v[164:165]
	v_add_f64 v[240:241], v[242:243], -v[164:165]
	v_mul_f64 v[227:228], v[166:167], v[225:226]
	s_delay_alu instid0(VALU_DEP_2) | instskip(NEXT) | instid1(VALU_DEP_2)
	v_add_f64 v[149:150], v[149:150], v[240:241]
	v_fma_f64 v[166:167], v[225:226], v[166:167], -v[227:228]
	s_delay_alu instid0(VALU_DEP_1) | instskip(NEXT) | instid1(VALU_DEP_1)
	v_fma_f64 v[162:163], v[225:226], v[162:163], v[166:167]
	v_add_f64 v[166:167], v[227:228], v[162:163]
	s_delay_alu instid0(VALU_DEP_1) | instskip(SKIP_1) | instid1(VALU_DEP_2)
	v_add_f64 v[229:230], v[164:165], -v[166:167]
	v_add_f64 v[227:228], v[166:167], -v[227:228]
	;; [unrolled: 1-line block ×3, first 2 shown]
	s_delay_alu instid0(VALU_DEP_2) | instskip(NEXT) | instid1(VALU_DEP_2)
	v_add_f64 v[162:163], v[227:228], -v[162:163]
	v_add_f64 v[164:165], v[164:165], -v[166:167]
	s_delay_alu instid0(VALU_DEP_1) | instskip(SKIP_1) | instid1(VALU_DEP_2)
	v_add_f64 v[149:150], v[149:150], v[164:165]
	v_add_f64 v[164:165], v[176:177], v[225:226]
	;; [unrolled: 1-line block ×3, first 2 shown]
	s_delay_alu instid0(VALU_DEP_2) | instskip(NEXT) | instid1(VALU_DEP_2)
	v_add_f64 v[162:163], v[164:165], -v[176:177]
	v_add_f64 v[149:150], v[229:230], v[149:150]
	s_delay_alu instid0(VALU_DEP_2) | instskip(NEXT) | instid1(VALU_DEP_2)
	v_add_f64 v[162:163], v[225:226], -v[162:163]
	v_mul_f64 v[149:150], v[160:161], v[149:150]
	s_delay_alu instid0(VALU_DEP_1) | instskip(NEXT) | instid1(VALU_DEP_1)
	v_add_f64 v[149:150], v[162:163], v[149:150]
	v_add_f64 v[160:161], v[164:165], v[149:150]
	s_delay_alu instid0(VALU_DEP_1) | instskip(NEXT) | instid1(VALU_DEP_1)
	v_mul_f64 v[162:163], v[160:161], v[160:161]
	v_fma_f64 v[166:167], v[162:163], vcc, s[28:29]
	s_mov_b32 s28, 0xd7f4df2e
	s_mov_b32 s29, 0x3fc7474d
	v_mul_f64 v[176:177], v[160:161], v[162:163]
	v_cmp_eq_f64_e32 vcc_lo, 0x7ff00000, v[147:148]
	s_delay_alu instid0(VALU_DEP_3)
	v_fma_f64 v[166:167], v[162:163], v[166:167], s[28:29]
	s_mov_b32 s28, 0x16291751
	s_mov_b32 s29, 0x3fcc71c0
	s_delay_alu instid0(VALU_DEP_1) | instid1(SALU_CYCLE_1)
	v_fma_f64 v[166:167], v[162:163], v[166:167], s[28:29]
	s_mov_b32 s28, 0x9b27acf1
	s_mov_b32 s29, 0x3fd24924
	s_delay_alu instid0(VALU_DEP_1) | instid1(SALU_CYCLE_1)
	;; [unrolled: 4-line block ×3, first 2 shown]
	v_fma_f64 v[166:167], v[162:163], v[166:167], s[28:29]
	s_delay_alu instid0(VALU_DEP_1) | instskip(SKIP_2) | instid1(VALU_DEP_3)
	v_fma_f64 v[162:163], v[162:163], v[166:167], s[20:21]
	v_ldexp_f64 v[166:167], v[160:161], 1
	v_add_f64 v[160:161], v[160:161], -v[164:165]
	v_mul_f64 v[162:163], v[176:177], v[162:163]
	v_cvt_f64_i32_e32 v[176:177], v151
	s_delay_alu instid0(VALU_DEP_3) | instskip(NEXT) | instid1(VALU_DEP_3)
	v_add_f64 v[149:150], v[149:150], -v[160:161]
	v_add_f64 v[164:165], v[166:167], v[162:163]
	s_delay_alu instid0(VALU_DEP_3) | instskip(NEXT) | instid1(VALU_DEP_3)
	v_mul_f64 v[225:226], v[176:177], s[22:23]
	v_ldexp_f64 v[149:150], v[149:150], 1
	s_delay_alu instid0(VALU_DEP_3) | instskip(NEXT) | instid1(VALU_DEP_3)
	v_add_f64 v[160:161], v[164:165], -v[166:167]
	v_fma_f64 v[166:167], v[176:177], s[22:23], -v[225:226]
	s_delay_alu instid0(VALU_DEP_2) | instskip(NEXT) | instid1(VALU_DEP_2)
	v_add_f64 v[160:161], v[162:163], -v[160:161]
	v_fma_f64 v[162:163], v[176:177], s[24:25], v[166:167]
	s_delay_alu instid0(VALU_DEP_2) | instskip(NEXT) | instid1(VALU_DEP_2)
	v_add_f64 v[149:150], v[149:150], v[160:161]
	v_add_f64 v[160:161], v[225:226], v[162:163]
	s_delay_alu instid0(VALU_DEP_2) | instskip(NEXT) | instid1(VALU_DEP_2)
	v_add_f64 v[166:167], v[164:165], v[149:150]
	v_add_f64 v[225:226], v[160:161], -v[225:226]
	s_delay_alu instid0(VALU_DEP_2) | instskip(SKIP_1) | instid1(VALU_DEP_3)
	v_add_f64 v[176:177], v[160:161], v[166:167]
	v_add_f64 v[164:165], v[166:167], -v[164:165]
	v_add_f64 v[162:163], v[162:163], -v[225:226]
	s_delay_alu instid0(VALU_DEP_3) | instskip(NEXT) | instid1(VALU_DEP_3)
	v_add_f64 v[227:228], v[176:177], -v[160:161]
	v_add_f64 v[149:150], v[149:150], -v[164:165]
	s_delay_alu instid0(VALU_DEP_2) | instskip(SKIP_1) | instid1(VALU_DEP_3)
	v_add_f64 v[229:230], v[176:177], -v[227:228]
	v_add_f64 v[164:165], v[166:167], -v[227:228]
	v_add_f64 v[166:167], v[162:163], v[149:150]
	s_delay_alu instid0(VALU_DEP_3) | instskip(NEXT) | instid1(VALU_DEP_1)
	v_add_f64 v[160:161], v[160:161], -v[229:230]
	v_add_f64 v[160:161], v[164:165], v[160:161]
	s_delay_alu instid0(VALU_DEP_3) | instskip(NEXT) | instid1(VALU_DEP_2)
	v_add_f64 v[164:165], v[166:167], -v[162:163]
	v_add_f64 v[160:161], v[166:167], v[160:161]
	s_delay_alu instid0(VALU_DEP_2) | instskip(SKIP_1) | instid1(VALU_DEP_3)
	v_add_f64 v[166:167], v[166:167], -v[164:165]
	v_add_f64 v[149:150], v[149:150], -v[164:165]
	v_add_f64 v[225:226], v[176:177], v[160:161]
	s_delay_alu instid0(VALU_DEP_3) | instskip(NEXT) | instid1(VALU_DEP_2)
	v_add_f64 v[162:163], v[162:163], -v[166:167]
	v_add_f64 v[164:165], v[225:226], -v[176:177]
	s_delay_alu instid0(VALU_DEP_2) | instskip(NEXT) | instid1(VALU_DEP_2)
	v_add_f64 v[149:150], v[149:150], v[162:163]
	v_add_f64 v[160:161], v[160:161], -v[164:165]
	s_delay_alu instid0(VALU_DEP_1) | instskip(NEXT) | instid1(VALU_DEP_1)
	v_add_f64 v[149:150], v[149:150], v[160:161]
	v_add_f64 v[149:150], v[225:226], v[149:150]
	s_delay_alu instid0(VALU_DEP_1) | instskip(SKIP_1) | instid1(VALU_DEP_2)
	v_dual_cndmask_b32 v150, v150, v148 :: v_dual_cndmask_b32 v149, v149, v147
	v_cmp_ngt_f64_e32 vcc_lo, -1.0, v[147:148]
	v_cndmask_b32_e32 v150, 0x7ff80000, v150, vcc_lo
	v_cmp_nge_f64_e32 vcc_lo, -1.0, v[147:148]
	s_delay_alu instid0(VALU_DEP_4) | instskip(SKIP_1) | instid1(VALU_DEP_4)
	v_cndmask_b32_e32 v149, 0, v149, vcc_lo
	v_cmp_neq_f64_e32 vcc_lo, -1.0, v[147:148]
	v_cndmask_b32_e32 v150, 0xfff00000, v150, vcc_lo
	s_delay_alu instid0(VALU_DEP_1)
	v_add_f64 v[147:148], v[6:7], v[149:150]
.LBB36_145:
	s_or_b32 exec_lo, exec_lo, s27
	s_delay_alu instid0(VALU_DEP_1)
	v_dual_mov_b32 v149, v147 :: v_dual_mov_b32 v150, v148
	v_dual_mov_b32 v6, v147 :: v_dual_mov_b32 v7, v148
.LBB36_146:
	s_or_b32 exec_lo, exec_lo, s26
	v_cmp_gt_u32_e32 vcc_lo, 30, v212
	v_add_nc_u32_e32 v226, 2, v212
	s_mov_b32 s26, exec_lo
	s_waitcnt lgkmcnt(1)
	v_cndmask_b32_e64 v147, 0, 1, vcc_lo
	s_delay_alu instid0(VALU_DEP_1) | instskip(NEXT) | instid1(VALU_DEP_1)
	v_lshlrev_b32_e32 v147, 1, v147
	v_add_lshl_u32 v225, v147, v212, 2
	ds_bpermute_b32 v147, v225, v149
	s_waitcnt lgkmcnt(1)
	ds_bpermute_b32 v148, v225, v150
	v_cmpx_le_u32_e64 v226, v9
	s_cbranch_execz .LBB36_150
; %bb.147:
	s_waitcnt lgkmcnt(0)
	v_max_f64 v[149:150], v[147:148], v[147:148]
	v_max_f64 v[160:161], v[6:7], v[6:7]
	v_cmp_u_f64_e32 vcc_lo, v[147:148], v[147:148]
	v_cmp_u_f64_e64 s20, v[6:7], v[6:7]
	s_delay_alu instid0(VALU_DEP_3) | instskip(SKIP_1) | instid1(VALU_DEP_2)
	v_min_f64 v[162:163], v[149:150], v[160:161]
	v_max_f64 v[149:150], v[149:150], v[160:161]
	v_dual_cndmask_b32 v151, v162, v147 :: v_dual_cndmask_b32 v160, v163, v148
	s_delay_alu instid0(VALU_DEP_2) | instskip(NEXT) | instid1(VALU_DEP_2)
	v_dual_cndmask_b32 v161, v150, v148 :: v_dual_cndmask_b32 v162, v149, v147
	v_cndmask_b32_e64 v149, v151, v6, s20
	s_delay_alu instid0(VALU_DEP_3) | instskip(NEXT) | instid1(VALU_DEP_3)
	v_cndmask_b32_e64 v150, v160, v7, s20
	v_cndmask_b32_e64 v7, v161, v7, s20
	s_delay_alu instid0(VALU_DEP_4) | instskip(NEXT) | instid1(VALU_DEP_3)
	v_cndmask_b32_e64 v6, v162, v6, s20
	v_cmp_class_f64_e64 s20, v[149:150], 0x1f8
	s_delay_alu instid0(VALU_DEP_2) | instskip(NEXT) | instid1(VALU_DEP_2)
	v_cmp_neq_f64_e32 vcc_lo, v[149:150], v[6:7]
	s_or_b32 s20, vcc_lo, s20
	s_delay_alu instid0(SALU_CYCLE_1)
	s_and_saveexec_b32 s27, s20
	s_cbranch_execz .LBB36_149
; %bb.148:
	v_add_f64 v[147:148], v[149:150], -v[6:7]
	s_mov_b32 s20, 0x652b82fe
	s_mov_b32 s21, 0x3ff71547
	;; [unrolled: 1-line block ×8, first 2 shown]
	s_delay_alu instid0(VALU_DEP_1) | instskip(SKIP_3) | instid1(VALU_DEP_2)
	v_mul_f64 v[149:150], v[147:148], s[20:21]
	s_mov_b32 s20, 0xfca7ab0c
	s_mov_b32 s21, 0x3e928af3
	v_cmp_nlt_f64_e32 vcc_lo, 0x40900000, v[147:148]
	v_rndne_f64_e32 v[149:150], v[149:150]
	s_delay_alu instid0(VALU_DEP_1) | instskip(SKIP_2) | instid1(VALU_DEP_2)
	v_fma_f64 v[160:161], v[149:150], s[22:23], v[147:148]
	v_cvt_i32_f64_e32 v151, v[149:150]
	s_mov_b32 s23, 0x3fe62e42
	v_fma_f64 v[160:161], v[149:150], s[24:25], v[160:161]
	s_mov_b32 s25, 0x3c7abc9e
	s_delay_alu instid0(VALU_DEP_1) | instskip(SKIP_4) | instid1(VALU_DEP_1)
	v_fma_f64 v[162:163], v[160:161], s[28:29], s[20:21]
	s_mov_b32 s20, 0x623fde64
	s_mov_b32 s21, 0x3ec71dee
	;; [unrolled: 1-line block ×4, first 2 shown]
	v_fma_f64 v[162:163], v[160:161], v[162:163], s[20:21]
	s_mov_b32 s20, 0x7c89e6b0
	s_mov_b32 s21, 0x3efa0199
	s_delay_alu instid0(VALU_DEP_1) | instid1(SALU_CYCLE_1)
	v_fma_f64 v[162:163], v[160:161], v[162:163], s[20:21]
	s_mov_b32 s20, 0x14761f6e
	s_mov_b32 s21, 0x3f2a01a0
	s_delay_alu instid0(VALU_DEP_1) | instid1(SALU_CYCLE_1)
	;; [unrolled: 4-line block ×7, first 2 shown]
	v_fma_f64 v[162:163], v[160:161], v[162:163], s[20:21]
	v_cmp_ngt_f64_e64 s20, 0xc090cc00, v[147:148]
	s_mov_b32 s21, 0x3fe55555
	s_delay_alu instid0(VALU_DEP_2) | instskip(NEXT) | instid1(VALU_DEP_1)
	v_fma_f64 v[162:163], v[160:161], v[162:163], 1.0
	v_fma_f64 v[149:150], v[160:161], v[162:163], 1.0
	s_delay_alu instid0(VALU_DEP_1) | instskip(NEXT) | instid1(VALU_DEP_1)
	v_ldexp_f64 v[149:150], v[149:150], v151
	v_cndmask_b32_e32 v150, 0x7ff00000, v150, vcc_lo
	s_and_b32 vcc_lo, s20, vcc_lo
	s_delay_alu instid0(VALU_DEP_1) | instskip(NEXT) | instid1(VALU_DEP_3)
	v_cndmask_b32_e64 v148, 0, v150, s20
	v_cndmask_b32_e32 v147, 0, v149, vcc_lo
	s_mov_b32 s20, 0x55555555
	s_delay_alu instid0(VALU_DEP_1) | instskip(NEXT) | instid1(VALU_DEP_1)
	v_add_f64 v[149:150], v[147:148], 1.0
	v_frexp_mant_f64_e32 v[160:161], v[149:150]
	v_frexp_exp_i32_f64_e32 v151, v[149:150]
	v_add_f64 v[162:163], v[149:150], -1.0
	s_delay_alu instid0(VALU_DEP_3) | instskip(SKIP_1) | instid1(VALU_DEP_2)
	v_cmp_gt_f64_e32 vcc_lo, s[20:21], v[160:161]
	s_mov_b32 s20, 0x55555780
	v_add_f64 v[160:161], v[162:163], -v[149:150]
	v_add_f64 v[162:163], v[147:148], -v[162:163]
	v_subrev_co_ci_u32_e32 v151, vcc_lo, 0, v151, vcc_lo
	s_delay_alu instid0(VALU_DEP_3) | instskip(SKIP_2) | instid1(VALU_DEP_2)
	v_add_f64 v[160:161], v[160:161], 1.0
	s_mov_b32 vcc_lo, 0xbf559e2b
	s_mov_b32 vcc_hi, 0x3fc3ab76
	v_sub_nc_u32_e32 v166, 0, v151
	s_delay_alu instid0(VALU_DEP_1) | instskip(NEXT) | instid1(VALU_DEP_3)
	v_ldexp_f64 v[149:150], v[149:150], v166
	v_add_f64 v[160:161], v[162:163], v[160:161]
	s_delay_alu instid0(VALU_DEP_2) | instskip(SKIP_1) | instid1(VALU_DEP_3)
	v_add_f64 v[164:165], v[149:150], 1.0
	v_add_f64 v[227:228], v[149:150], -1.0
	v_ldexp_f64 v[160:161], v[160:161], v166
	s_delay_alu instid0(VALU_DEP_3) | instskip(NEXT) | instid1(VALU_DEP_3)
	v_add_f64 v[162:163], v[164:165], -1.0
	v_add_f64 v[229:230], v[227:228], 1.0
	s_delay_alu instid0(VALU_DEP_2) | instskip(NEXT) | instid1(VALU_DEP_2)
	v_add_f64 v[162:163], v[149:150], -v[162:163]
	v_add_f64 v[149:150], v[149:150], -v[229:230]
	s_delay_alu instid0(VALU_DEP_2) | instskip(NEXT) | instid1(VALU_DEP_2)
	v_add_f64 v[162:163], v[160:161], v[162:163]
	v_add_f64 v[149:150], v[160:161], v[149:150]
	s_delay_alu instid0(VALU_DEP_2) | instskip(NEXT) | instid1(VALU_DEP_2)
	v_add_f64 v[166:167], v[164:165], v[162:163]
	v_add_f64 v[229:230], v[227:228], v[149:150]
	s_delay_alu instid0(VALU_DEP_2) | instskip(SKIP_1) | instid1(VALU_DEP_2)
	v_rcp_f64_e32 v[176:177], v[166:167]
	v_add_f64 v[164:165], v[166:167], -v[164:165]
	v_add_f64 v[227:228], v[229:230], -v[227:228]
	s_delay_alu instid0(VALU_DEP_2) | instskip(SKIP_3) | instid1(VALU_DEP_2)
	v_add_f64 v[162:163], v[162:163], -v[164:165]
	s_waitcnt_depctr 0xfff
	v_fma_f64 v[240:241], -v[166:167], v[176:177], 1.0
	v_add_f64 v[149:150], v[149:150], -v[227:228]
	v_fma_f64 v[176:177], v[240:241], v[176:177], v[176:177]
	s_delay_alu instid0(VALU_DEP_1) | instskip(NEXT) | instid1(VALU_DEP_1)
	v_fma_f64 v[160:161], -v[166:167], v[176:177], 1.0
	v_fma_f64 v[160:161], v[160:161], v[176:177], v[176:177]
	s_delay_alu instid0(VALU_DEP_1) | instskip(NEXT) | instid1(VALU_DEP_1)
	v_mul_f64 v[176:177], v[229:230], v[160:161]
	v_mul_f64 v[240:241], v[166:167], v[176:177]
	s_delay_alu instid0(VALU_DEP_1) | instskip(NEXT) | instid1(VALU_DEP_1)
	v_fma_f64 v[164:165], v[176:177], v[166:167], -v[240:241]
	v_fma_f64 v[164:165], v[176:177], v[162:163], v[164:165]
	s_delay_alu instid0(VALU_DEP_1) | instskip(NEXT) | instid1(VALU_DEP_1)
	v_add_f64 v[242:243], v[240:241], v[164:165]
	v_add_f64 v[244:245], v[229:230], -v[242:243]
	v_add_f64 v[227:228], v[242:243], -v[240:241]
	s_delay_alu instid0(VALU_DEP_2) | instskip(NEXT) | instid1(VALU_DEP_2)
	v_add_f64 v[229:230], v[229:230], -v[244:245]
	v_add_f64 v[164:165], v[227:228], -v[164:165]
	s_delay_alu instid0(VALU_DEP_2) | instskip(NEXT) | instid1(VALU_DEP_1)
	v_add_f64 v[229:230], v[229:230], -v[242:243]
	v_add_f64 v[149:150], v[149:150], v[229:230]
	s_delay_alu instid0(VALU_DEP_1) | instskip(NEXT) | instid1(VALU_DEP_1)
	v_add_f64 v[149:150], v[164:165], v[149:150]
	v_add_f64 v[164:165], v[244:245], v[149:150]
	s_delay_alu instid0(VALU_DEP_1) | instskip(SKIP_1) | instid1(VALU_DEP_2)
	v_mul_f64 v[227:228], v[160:161], v[164:165]
	v_add_f64 v[242:243], v[244:245], -v[164:165]
	v_mul_f64 v[229:230], v[166:167], v[227:228]
	s_delay_alu instid0(VALU_DEP_2) | instskip(NEXT) | instid1(VALU_DEP_2)
	v_add_f64 v[149:150], v[149:150], v[242:243]
	v_fma_f64 v[166:167], v[227:228], v[166:167], -v[229:230]
	s_delay_alu instid0(VALU_DEP_1) | instskip(NEXT) | instid1(VALU_DEP_1)
	v_fma_f64 v[162:163], v[227:228], v[162:163], v[166:167]
	v_add_f64 v[166:167], v[229:230], v[162:163]
	s_delay_alu instid0(VALU_DEP_1) | instskip(SKIP_1) | instid1(VALU_DEP_2)
	v_add_f64 v[240:241], v[164:165], -v[166:167]
	v_add_f64 v[229:230], v[166:167], -v[229:230]
	;; [unrolled: 1-line block ×3, first 2 shown]
	s_delay_alu instid0(VALU_DEP_2) | instskip(NEXT) | instid1(VALU_DEP_2)
	v_add_f64 v[162:163], v[229:230], -v[162:163]
	v_add_f64 v[164:165], v[164:165], -v[166:167]
	s_delay_alu instid0(VALU_DEP_1) | instskip(SKIP_1) | instid1(VALU_DEP_2)
	v_add_f64 v[149:150], v[149:150], v[164:165]
	v_add_f64 v[164:165], v[176:177], v[227:228]
	;; [unrolled: 1-line block ×3, first 2 shown]
	s_delay_alu instid0(VALU_DEP_2) | instskip(NEXT) | instid1(VALU_DEP_2)
	v_add_f64 v[162:163], v[164:165], -v[176:177]
	v_add_f64 v[149:150], v[240:241], v[149:150]
	s_delay_alu instid0(VALU_DEP_2) | instskip(NEXT) | instid1(VALU_DEP_2)
	v_add_f64 v[162:163], v[227:228], -v[162:163]
	v_mul_f64 v[149:150], v[160:161], v[149:150]
	s_delay_alu instid0(VALU_DEP_1) | instskip(NEXT) | instid1(VALU_DEP_1)
	v_add_f64 v[149:150], v[162:163], v[149:150]
	v_add_f64 v[160:161], v[164:165], v[149:150]
	s_delay_alu instid0(VALU_DEP_1) | instskip(NEXT) | instid1(VALU_DEP_1)
	v_mul_f64 v[162:163], v[160:161], v[160:161]
	v_fma_f64 v[166:167], v[162:163], vcc, s[28:29]
	s_mov_b32 s28, 0xd7f4df2e
	s_mov_b32 s29, 0x3fc7474d
	v_mul_f64 v[176:177], v[160:161], v[162:163]
	v_cmp_eq_f64_e32 vcc_lo, 0x7ff00000, v[147:148]
	s_delay_alu instid0(VALU_DEP_3)
	v_fma_f64 v[166:167], v[162:163], v[166:167], s[28:29]
	s_mov_b32 s28, 0x16291751
	s_mov_b32 s29, 0x3fcc71c0
	s_delay_alu instid0(VALU_DEP_1) | instid1(SALU_CYCLE_1)
	v_fma_f64 v[166:167], v[162:163], v[166:167], s[28:29]
	s_mov_b32 s28, 0x9b27acf1
	s_mov_b32 s29, 0x3fd24924
	s_delay_alu instid0(VALU_DEP_1) | instid1(SALU_CYCLE_1)
	;; [unrolled: 4-line block ×3, first 2 shown]
	v_fma_f64 v[166:167], v[162:163], v[166:167], s[28:29]
	s_delay_alu instid0(VALU_DEP_1) | instskip(SKIP_2) | instid1(VALU_DEP_3)
	v_fma_f64 v[162:163], v[162:163], v[166:167], s[20:21]
	v_ldexp_f64 v[166:167], v[160:161], 1
	v_add_f64 v[160:161], v[160:161], -v[164:165]
	v_mul_f64 v[162:163], v[176:177], v[162:163]
	v_cvt_f64_i32_e32 v[176:177], v151
	s_delay_alu instid0(VALU_DEP_3) | instskip(NEXT) | instid1(VALU_DEP_3)
	v_add_f64 v[149:150], v[149:150], -v[160:161]
	v_add_f64 v[164:165], v[166:167], v[162:163]
	s_delay_alu instid0(VALU_DEP_3) | instskip(NEXT) | instid1(VALU_DEP_3)
	v_mul_f64 v[227:228], v[176:177], s[22:23]
	v_ldexp_f64 v[149:150], v[149:150], 1
	s_delay_alu instid0(VALU_DEP_3) | instskip(NEXT) | instid1(VALU_DEP_3)
	v_add_f64 v[160:161], v[164:165], -v[166:167]
	v_fma_f64 v[166:167], v[176:177], s[22:23], -v[227:228]
	s_delay_alu instid0(VALU_DEP_2) | instskip(NEXT) | instid1(VALU_DEP_2)
	v_add_f64 v[160:161], v[162:163], -v[160:161]
	v_fma_f64 v[162:163], v[176:177], s[24:25], v[166:167]
	s_delay_alu instid0(VALU_DEP_2) | instskip(NEXT) | instid1(VALU_DEP_2)
	v_add_f64 v[149:150], v[149:150], v[160:161]
	v_add_f64 v[160:161], v[227:228], v[162:163]
	s_delay_alu instid0(VALU_DEP_2) | instskip(NEXT) | instid1(VALU_DEP_2)
	v_add_f64 v[166:167], v[164:165], v[149:150]
	v_add_f64 v[227:228], v[160:161], -v[227:228]
	s_delay_alu instid0(VALU_DEP_2) | instskip(SKIP_1) | instid1(VALU_DEP_3)
	v_add_f64 v[176:177], v[160:161], v[166:167]
	v_add_f64 v[164:165], v[166:167], -v[164:165]
	v_add_f64 v[162:163], v[162:163], -v[227:228]
	s_delay_alu instid0(VALU_DEP_3) | instskip(NEXT) | instid1(VALU_DEP_3)
	v_add_f64 v[229:230], v[176:177], -v[160:161]
	v_add_f64 v[149:150], v[149:150], -v[164:165]
	s_delay_alu instid0(VALU_DEP_2) | instskip(SKIP_1) | instid1(VALU_DEP_3)
	v_add_f64 v[240:241], v[176:177], -v[229:230]
	v_add_f64 v[164:165], v[166:167], -v[229:230]
	v_add_f64 v[166:167], v[162:163], v[149:150]
	s_delay_alu instid0(VALU_DEP_3) | instskip(NEXT) | instid1(VALU_DEP_1)
	v_add_f64 v[160:161], v[160:161], -v[240:241]
	v_add_f64 v[160:161], v[164:165], v[160:161]
	s_delay_alu instid0(VALU_DEP_3) | instskip(NEXT) | instid1(VALU_DEP_2)
	v_add_f64 v[164:165], v[166:167], -v[162:163]
	v_add_f64 v[160:161], v[166:167], v[160:161]
	s_delay_alu instid0(VALU_DEP_2) | instskip(SKIP_1) | instid1(VALU_DEP_3)
	v_add_f64 v[166:167], v[166:167], -v[164:165]
	v_add_f64 v[149:150], v[149:150], -v[164:165]
	v_add_f64 v[227:228], v[176:177], v[160:161]
	s_delay_alu instid0(VALU_DEP_3) | instskip(NEXT) | instid1(VALU_DEP_2)
	v_add_f64 v[162:163], v[162:163], -v[166:167]
	v_add_f64 v[164:165], v[227:228], -v[176:177]
	s_delay_alu instid0(VALU_DEP_2) | instskip(NEXT) | instid1(VALU_DEP_2)
	v_add_f64 v[149:150], v[149:150], v[162:163]
	v_add_f64 v[160:161], v[160:161], -v[164:165]
	s_delay_alu instid0(VALU_DEP_1) | instskip(NEXT) | instid1(VALU_DEP_1)
	v_add_f64 v[149:150], v[149:150], v[160:161]
	v_add_f64 v[149:150], v[227:228], v[149:150]
	s_delay_alu instid0(VALU_DEP_1) | instskip(SKIP_1) | instid1(VALU_DEP_2)
	v_dual_cndmask_b32 v150, v150, v148 :: v_dual_cndmask_b32 v149, v149, v147
	v_cmp_ngt_f64_e32 vcc_lo, -1.0, v[147:148]
	v_cndmask_b32_e32 v150, 0x7ff80000, v150, vcc_lo
	v_cmp_nge_f64_e32 vcc_lo, -1.0, v[147:148]
	s_delay_alu instid0(VALU_DEP_4) | instskip(SKIP_1) | instid1(VALU_DEP_4)
	v_cndmask_b32_e32 v149, 0, v149, vcc_lo
	v_cmp_neq_f64_e32 vcc_lo, -1.0, v[147:148]
	v_cndmask_b32_e32 v150, 0xfff00000, v150, vcc_lo
	s_delay_alu instid0(VALU_DEP_1)
	v_add_f64 v[147:148], v[6:7], v[149:150]
.LBB36_149:
	s_or_b32 exec_lo, exec_lo, s27
	s_delay_alu instid0(VALU_DEP_1)
	v_dual_mov_b32 v149, v147 :: v_dual_mov_b32 v150, v148
	v_dual_mov_b32 v6, v147 :: v_dual_mov_b32 v7, v148
.LBB36_150:
	s_or_b32 exec_lo, exec_lo, s26
	v_cmp_gt_u32_e32 vcc_lo, 28, v212
	v_add_nc_u32_e32 v228, 4, v212
	s_mov_b32 s26, exec_lo
	s_waitcnt lgkmcnt(1)
	v_cndmask_b32_e64 v147, 0, 1, vcc_lo
	s_delay_alu instid0(VALU_DEP_1) | instskip(NEXT) | instid1(VALU_DEP_1)
	v_lshlrev_b32_e32 v147, 2, v147
	v_add_lshl_u32 v227, v147, v212, 2
	ds_bpermute_b32 v147, v227, v149
	s_waitcnt lgkmcnt(1)
	ds_bpermute_b32 v148, v227, v150
	v_cmpx_le_u32_e64 v228, v9
	s_cbranch_execz .LBB36_154
; %bb.151:
	s_waitcnt lgkmcnt(0)
	v_max_f64 v[149:150], v[147:148], v[147:148]
	v_max_f64 v[160:161], v[6:7], v[6:7]
	v_cmp_u_f64_e32 vcc_lo, v[147:148], v[147:148]
	v_cmp_u_f64_e64 s20, v[6:7], v[6:7]
	s_delay_alu instid0(VALU_DEP_3) | instskip(SKIP_1) | instid1(VALU_DEP_2)
	v_min_f64 v[162:163], v[149:150], v[160:161]
	v_max_f64 v[149:150], v[149:150], v[160:161]
	v_dual_cndmask_b32 v151, v162, v147 :: v_dual_cndmask_b32 v160, v163, v148
	s_delay_alu instid0(VALU_DEP_2) | instskip(NEXT) | instid1(VALU_DEP_2)
	v_dual_cndmask_b32 v161, v150, v148 :: v_dual_cndmask_b32 v162, v149, v147
	v_cndmask_b32_e64 v149, v151, v6, s20
	s_delay_alu instid0(VALU_DEP_3) | instskip(NEXT) | instid1(VALU_DEP_3)
	v_cndmask_b32_e64 v150, v160, v7, s20
	v_cndmask_b32_e64 v7, v161, v7, s20
	s_delay_alu instid0(VALU_DEP_4) | instskip(NEXT) | instid1(VALU_DEP_3)
	v_cndmask_b32_e64 v6, v162, v6, s20
	v_cmp_class_f64_e64 s20, v[149:150], 0x1f8
	s_delay_alu instid0(VALU_DEP_2) | instskip(NEXT) | instid1(VALU_DEP_2)
	v_cmp_neq_f64_e32 vcc_lo, v[149:150], v[6:7]
	s_or_b32 s20, vcc_lo, s20
	s_delay_alu instid0(SALU_CYCLE_1)
	s_and_saveexec_b32 s27, s20
	s_cbranch_execz .LBB36_153
; %bb.152:
	v_add_f64 v[147:148], v[149:150], -v[6:7]
	s_mov_b32 s20, 0x652b82fe
	s_mov_b32 s21, 0x3ff71547
	;; [unrolled: 1-line block ×8, first 2 shown]
	s_delay_alu instid0(VALU_DEP_1) | instskip(SKIP_3) | instid1(VALU_DEP_2)
	v_mul_f64 v[149:150], v[147:148], s[20:21]
	s_mov_b32 s20, 0xfca7ab0c
	s_mov_b32 s21, 0x3e928af3
	v_cmp_nlt_f64_e32 vcc_lo, 0x40900000, v[147:148]
	v_rndne_f64_e32 v[149:150], v[149:150]
	s_delay_alu instid0(VALU_DEP_1) | instskip(SKIP_1) | instid1(VALU_DEP_1)
	v_fma_f64 v[160:161], v[149:150], s[22:23], v[147:148]
	s_mov_b32 s23, 0x3fe62e42
	v_fma_f64 v[160:161], v[149:150], s[24:25], v[160:161]
	v_cvt_i32_f64_e32 v149, v[149:150]
	s_mov_b32 s25, 0x3c7abc9e
	s_delay_alu instid0(VALU_DEP_2) | instskip(SKIP_4) | instid1(VALU_DEP_1)
	v_fma_f64 v[162:163], v[160:161], s[28:29], s[20:21]
	s_mov_b32 s20, 0x623fde64
	s_mov_b32 s21, 0x3ec71dee
	;; [unrolled: 1-line block ×4, first 2 shown]
	v_fma_f64 v[162:163], v[160:161], v[162:163], s[20:21]
	s_mov_b32 s20, 0x7c89e6b0
	s_mov_b32 s21, 0x3efa0199
	s_delay_alu instid0(VALU_DEP_1) | instid1(SALU_CYCLE_1)
	v_fma_f64 v[162:163], v[160:161], v[162:163], s[20:21]
	s_mov_b32 s20, 0x14761f6e
	s_mov_b32 s21, 0x3f2a01a0
	s_delay_alu instid0(VALU_DEP_1) | instid1(SALU_CYCLE_1)
	;; [unrolled: 4-line block ×7, first 2 shown]
	v_fma_f64 v[162:163], v[160:161], v[162:163], s[20:21]
	v_cmp_ngt_f64_e64 s20, 0xc090cc00, v[147:148]
	s_mov_b32 s21, 0x3fe55555
	s_delay_alu instid0(VALU_DEP_2) | instskip(NEXT) | instid1(VALU_DEP_1)
	v_fma_f64 v[162:163], v[160:161], v[162:163], 1.0
	v_fma_f64 v[160:161], v[160:161], v[162:163], 1.0
	s_delay_alu instid0(VALU_DEP_1) | instskip(NEXT) | instid1(VALU_DEP_1)
	v_ldexp_f64 v[149:150], v[160:161], v149
	v_cndmask_b32_e32 v150, 0x7ff00000, v150, vcc_lo
	s_and_b32 vcc_lo, s20, vcc_lo
	s_delay_alu instid0(VALU_DEP_1) | instskip(NEXT) | instid1(VALU_DEP_3)
	v_cndmask_b32_e64 v148, 0, v150, s20
	v_cndmask_b32_e32 v147, 0, v149, vcc_lo
	s_mov_b32 s20, 0x55555555
	s_delay_alu instid0(VALU_DEP_1) | instskip(NEXT) | instid1(VALU_DEP_1)
	v_add_f64 v[149:150], v[147:148], 1.0
	v_add_f64 v[160:161], v[149:150], -1.0
	v_frexp_exp_i32_f64_e32 v151, v[149:150]
	s_delay_alu instid0(VALU_DEP_2) | instskip(SKIP_1) | instid1(VALU_DEP_2)
	v_add_f64 v[162:163], v[160:161], -v[149:150]
	v_add_f64 v[160:161], v[147:148], -v[160:161]
	v_add_f64 v[162:163], v[162:163], 1.0
	s_delay_alu instid0(VALU_DEP_1) | instskip(SKIP_1) | instid1(VALU_DEP_1)
	v_add_f64 v[160:161], v[160:161], v[162:163]
	v_frexp_mant_f64_e32 v[162:163], v[149:150]
	v_cmp_gt_f64_e32 vcc_lo, s[20:21], v[162:163]
	s_mov_b32 s20, 0x55555780
	v_subrev_co_ci_u32_e32 v151, vcc_lo, 0, v151, vcc_lo
	s_mov_b32 vcc_lo, 0xbf559e2b
	s_mov_b32 vcc_hi, 0x3fc3ab76
	s_delay_alu instid0(VALU_DEP_1) | instskip(NEXT) | instid1(VALU_DEP_1)
	v_sub_nc_u32_e32 v162, 0, v151
	v_ldexp_f64 v[149:150], v[149:150], v162
	v_ldexp_f64 v[160:161], v[160:161], v162
	s_delay_alu instid0(VALU_DEP_2) | instskip(NEXT) | instid1(VALU_DEP_1)
	v_add_f64 v[162:163], v[149:150], -1.0
	v_add_f64 v[164:165], v[162:163], 1.0
	s_delay_alu instid0(VALU_DEP_1) | instskip(NEXT) | instid1(VALU_DEP_1)
	v_add_f64 v[164:165], v[149:150], -v[164:165]
	v_add_f64 v[164:165], v[160:161], v[164:165]
	s_delay_alu instid0(VALU_DEP_1) | instskip(NEXT) | instid1(VALU_DEP_1)
	v_add_f64 v[166:167], v[162:163], v[164:165]
	v_add_f64 v[162:163], v[166:167], -v[162:163]
	s_delay_alu instid0(VALU_DEP_1) | instskip(SKIP_1) | instid1(VALU_DEP_1)
	v_add_f64 v[162:163], v[164:165], -v[162:163]
	v_add_f64 v[164:165], v[149:150], 1.0
	v_add_f64 v[176:177], v[164:165], -1.0
	s_delay_alu instid0(VALU_DEP_1) | instskip(NEXT) | instid1(VALU_DEP_1)
	v_add_f64 v[149:150], v[149:150], -v[176:177]
	v_add_f64 v[149:150], v[160:161], v[149:150]
	s_delay_alu instid0(VALU_DEP_1) | instskip(NEXT) | instid1(VALU_DEP_1)
	v_add_f64 v[160:161], v[164:165], v[149:150]
	v_add_f64 v[164:165], v[160:161], -v[164:165]
	s_delay_alu instid0(VALU_DEP_1) | instskip(SKIP_3) | instid1(VALU_DEP_1)
	v_add_f64 v[149:150], v[149:150], -v[164:165]
	v_rcp_f64_e32 v[164:165], v[160:161]
	s_waitcnt_depctr 0xfff
	v_fma_f64 v[176:177], -v[160:161], v[164:165], 1.0
	v_fma_f64 v[164:165], v[176:177], v[164:165], v[164:165]
	s_delay_alu instid0(VALU_DEP_1) | instskip(NEXT) | instid1(VALU_DEP_1)
	v_fma_f64 v[176:177], -v[160:161], v[164:165], 1.0
	v_fma_f64 v[164:165], v[176:177], v[164:165], v[164:165]
	s_delay_alu instid0(VALU_DEP_1) | instskip(NEXT) | instid1(VALU_DEP_1)
	v_mul_f64 v[176:177], v[166:167], v[164:165]
	v_mul_f64 v[229:230], v[160:161], v[176:177]
	s_delay_alu instid0(VALU_DEP_1) | instskip(NEXT) | instid1(VALU_DEP_1)
	v_fma_f64 v[240:241], v[176:177], v[160:161], -v[229:230]
	v_fma_f64 v[240:241], v[176:177], v[149:150], v[240:241]
	s_delay_alu instid0(VALU_DEP_1) | instskip(NEXT) | instid1(VALU_DEP_1)
	v_add_f64 v[242:243], v[229:230], v[240:241]
	v_add_f64 v[244:245], v[166:167], -v[242:243]
	v_add_f64 v[229:230], v[242:243], -v[229:230]
	s_delay_alu instid0(VALU_DEP_2) | instskip(NEXT) | instid1(VALU_DEP_1)
	v_add_f64 v[166:167], v[166:167], -v[244:245]
	v_add_f64 v[166:167], v[166:167], -v[242:243]
	s_delay_alu instid0(VALU_DEP_1) | instskip(NEXT) | instid1(VALU_DEP_4)
	v_add_f64 v[162:163], v[162:163], v[166:167]
	v_add_f64 v[166:167], v[229:230], -v[240:241]
	s_delay_alu instid0(VALU_DEP_1) | instskip(NEXT) | instid1(VALU_DEP_1)
	v_add_f64 v[162:163], v[166:167], v[162:163]
	v_add_f64 v[166:167], v[244:245], v[162:163]
	s_delay_alu instid0(VALU_DEP_1) | instskip(NEXT) | instid1(VALU_DEP_1)
	v_add_f64 v[229:230], v[244:245], -v[166:167]
	v_add_f64 v[162:163], v[162:163], v[229:230]
	v_mul_f64 v[229:230], v[164:165], v[166:167]
	s_delay_alu instid0(VALU_DEP_1) | instskip(NEXT) | instid1(VALU_DEP_1)
	v_mul_f64 v[240:241], v[160:161], v[229:230]
	v_fma_f64 v[160:161], v[229:230], v[160:161], -v[240:241]
	s_delay_alu instid0(VALU_DEP_1) | instskip(NEXT) | instid1(VALU_DEP_1)
	v_fma_f64 v[149:150], v[229:230], v[149:150], v[160:161]
	v_add_f64 v[160:161], v[240:241], v[149:150]
	s_delay_alu instid0(VALU_DEP_1) | instskip(SKIP_1) | instid1(VALU_DEP_2)
	v_add_f64 v[242:243], v[166:167], -v[160:161]
	v_add_f64 v[240:241], v[160:161], -v[240:241]
	;; [unrolled: 1-line block ×3, first 2 shown]
	s_delay_alu instid0(VALU_DEP_2) | instskip(NEXT) | instid1(VALU_DEP_2)
	v_add_f64 v[149:150], v[240:241], -v[149:150]
	v_add_f64 v[160:161], v[166:167], -v[160:161]
	v_cvt_f64_i32_e32 v[166:167], v151
	s_delay_alu instid0(VALU_DEP_2) | instskip(NEXT) | instid1(VALU_DEP_1)
	v_add_f64 v[160:161], v[162:163], v[160:161]
	v_add_f64 v[149:150], v[149:150], v[160:161]
	;; [unrolled: 1-line block ×3, first 2 shown]
	s_delay_alu instid0(VALU_DEP_2) | instskip(NEXT) | instid1(VALU_DEP_2)
	v_add_f64 v[149:150], v[242:243], v[149:150]
	v_add_f64 v[162:163], v[160:161], -v[176:177]
	v_mul_f64 v[176:177], v[166:167], s[22:23]
	s_delay_alu instid0(VALU_DEP_3) | instskip(NEXT) | instid1(VALU_DEP_3)
	v_mul_f64 v[149:150], v[164:165], v[149:150]
	v_add_f64 v[162:163], v[229:230], -v[162:163]
	s_delay_alu instid0(VALU_DEP_3) | instskip(NEXT) | instid1(VALU_DEP_2)
	v_fma_f64 v[229:230], v[166:167], s[22:23], -v[176:177]
	v_add_f64 v[149:150], v[162:163], v[149:150]
	s_delay_alu instid0(VALU_DEP_2) | instskip(NEXT) | instid1(VALU_DEP_2)
	v_fma_f64 v[166:167], v[166:167], s[24:25], v[229:230]
	v_add_f64 v[162:163], v[160:161], v[149:150]
	s_delay_alu instid0(VALU_DEP_2) | instskip(NEXT) | instid1(VALU_DEP_2)
	v_add_f64 v[229:230], v[176:177], v[166:167]
	v_add_f64 v[160:161], v[162:163], -v[160:161]
	s_delay_alu instid0(VALU_DEP_2) | instskip(NEXT) | instid1(VALU_DEP_2)
	v_add_f64 v[176:177], v[229:230], -v[176:177]
	v_add_f64 v[149:150], v[149:150], -v[160:161]
	v_mul_f64 v[160:161], v[162:163], v[162:163]
	s_delay_alu instid0(VALU_DEP_3) | instskip(SKIP_1) | instid1(VALU_DEP_4)
	v_add_f64 v[166:167], v[166:167], -v[176:177]
	v_ldexp_f64 v[176:177], v[162:163], 1
	v_ldexp_f64 v[149:150], v[149:150], 1
	s_delay_alu instid0(VALU_DEP_4) | instskip(SKIP_3) | instid1(VALU_DEP_2)
	v_fma_f64 v[164:165], v[160:161], vcc, s[28:29]
	s_mov_b32 s28, 0xd7f4df2e
	s_mov_b32 s29, 0x3fc7474d
	v_cmp_eq_f64_e32 vcc_lo, 0x7ff00000, v[147:148]
	v_fma_f64 v[164:165], v[160:161], v[164:165], s[28:29]
	s_mov_b32 s28, 0x16291751
	s_mov_b32 s29, 0x3fcc71c0
	s_delay_alu instid0(VALU_DEP_1) | instid1(SALU_CYCLE_1)
	v_fma_f64 v[164:165], v[160:161], v[164:165], s[28:29]
	s_mov_b32 s28, 0x9b27acf1
	s_mov_b32 s29, 0x3fd24924
	s_delay_alu instid0(VALU_DEP_1) | instid1(SALU_CYCLE_1)
	;; [unrolled: 4-line block ×3, first 2 shown]
	v_fma_f64 v[164:165], v[160:161], v[164:165], s[28:29]
	s_delay_alu instid0(VALU_DEP_1) | instskip(SKIP_1) | instid1(VALU_DEP_1)
	v_fma_f64 v[164:165], v[160:161], v[164:165], s[20:21]
	v_mul_f64 v[160:161], v[162:163], v[160:161]
	v_mul_f64 v[160:161], v[160:161], v[164:165]
	s_delay_alu instid0(VALU_DEP_1) | instskip(NEXT) | instid1(VALU_DEP_1)
	v_add_f64 v[162:163], v[176:177], v[160:161]
	v_add_f64 v[164:165], v[162:163], -v[176:177]
	s_delay_alu instid0(VALU_DEP_1) | instskip(NEXT) | instid1(VALU_DEP_1)
	v_add_f64 v[160:161], v[160:161], -v[164:165]
	v_add_f64 v[149:150], v[149:150], v[160:161]
	s_delay_alu instid0(VALU_DEP_1) | instskip(NEXT) | instid1(VALU_DEP_1)
	v_add_f64 v[160:161], v[162:163], v[149:150]
	v_add_f64 v[162:163], v[160:161], -v[162:163]
	s_delay_alu instid0(VALU_DEP_1) | instskip(SKIP_1) | instid1(VALU_DEP_1)
	v_add_f64 v[149:150], v[149:150], -v[162:163]
	v_add_f64 v[162:163], v[229:230], v[160:161]
	v_add_f64 v[164:165], v[162:163], -v[229:230]
	s_delay_alu instid0(VALU_DEP_1) | instskip(SKIP_2) | instid1(VALU_DEP_3)
	v_add_f64 v[176:177], v[162:163], -v[164:165]
	v_add_f64 v[160:161], v[160:161], -v[164:165]
	v_add_f64 v[164:165], v[166:167], v[149:150]
	v_add_f64 v[176:177], v[229:230], -v[176:177]
	s_delay_alu instid0(VALU_DEP_1) | instskip(NEXT) | instid1(VALU_DEP_3)
	v_add_f64 v[160:161], v[160:161], v[176:177]
	v_add_f64 v[176:177], v[164:165], -v[166:167]
	s_delay_alu instid0(VALU_DEP_2) | instskip(NEXT) | instid1(VALU_DEP_2)
	v_add_f64 v[160:161], v[164:165], v[160:161]
	v_add_f64 v[229:230], v[164:165], -v[176:177]
	v_add_f64 v[149:150], v[149:150], -v[176:177]
	s_delay_alu instid0(VALU_DEP_3) | instskip(NEXT) | instid1(VALU_DEP_3)
	v_add_f64 v[164:165], v[162:163], v[160:161]
	v_add_f64 v[166:167], v[166:167], -v[229:230]
	s_delay_alu instid0(VALU_DEP_2) | instskip(NEXT) | instid1(VALU_DEP_2)
	v_add_f64 v[162:163], v[164:165], -v[162:163]
	v_add_f64 v[149:150], v[149:150], v[166:167]
	s_delay_alu instid0(VALU_DEP_2) | instskip(NEXT) | instid1(VALU_DEP_1)
	v_add_f64 v[160:161], v[160:161], -v[162:163]
	v_add_f64 v[149:150], v[149:150], v[160:161]
	s_delay_alu instid0(VALU_DEP_1) | instskip(NEXT) | instid1(VALU_DEP_1)
	v_add_f64 v[149:150], v[164:165], v[149:150]
	v_dual_cndmask_b32 v150, v150, v148 :: v_dual_cndmask_b32 v149, v149, v147
	v_cmp_ngt_f64_e32 vcc_lo, -1.0, v[147:148]
	s_delay_alu instid0(VALU_DEP_2) | instskip(SKIP_1) | instid1(VALU_DEP_4)
	v_cndmask_b32_e32 v150, 0x7ff80000, v150, vcc_lo
	v_cmp_nge_f64_e32 vcc_lo, -1.0, v[147:148]
	v_cndmask_b32_e32 v149, 0, v149, vcc_lo
	v_cmp_neq_f64_e32 vcc_lo, -1.0, v[147:148]
	s_delay_alu instid0(VALU_DEP_4) | instskip(NEXT) | instid1(VALU_DEP_1)
	v_cndmask_b32_e32 v150, 0xfff00000, v150, vcc_lo
	v_add_f64 v[147:148], v[6:7], v[149:150]
.LBB36_153:
	s_or_b32 exec_lo, exec_lo, s27
	s_delay_alu instid0(VALU_DEP_1)
	v_dual_mov_b32 v149, v147 :: v_dual_mov_b32 v150, v148
	v_dual_mov_b32 v6, v147 :: v_dual_mov_b32 v7, v148
.LBB36_154:
	s_or_b32 exec_lo, exec_lo, s26
	v_cmp_gt_u32_e32 vcc_lo, 24, v212
	v_add_nc_u32_e32 v230, 8, v212
	s_mov_b32 s26, exec_lo
	s_waitcnt lgkmcnt(1)
	v_cndmask_b32_e64 v147, 0, 1, vcc_lo
	s_delay_alu instid0(VALU_DEP_1) | instskip(NEXT) | instid1(VALU_DEP_1)
	v_lshlrev_b32_e32 v147, 3, v147
	v_add_lshl_u32 v229, v147, v212, 2
	ds_bpermute_b32 v147, v229, v149
	s_waitcnt lgkmcnt(1)
	ds_bpermute_b32 v148, v229, v150
	v_cmpx_le_u32_e64 v230, v9
	s_cbranch_execz .LBB36_158
; %bb.155:
	s_waitcnt lgkmcnt(0)
	v_max_f64 v[149:150], v[147:148], v[147:148]
	v_max_f64 v[160:161], v[6:7], v[6:7]
	v_cmp_u_f64_e32 vcc_lo, v[147:148], v[147:148]
	v_cmp_u_f64_e64 s20, v[6:7], v[6:7]
	s_delay_alu instid0(VALU_DEP_3) | instskip(SKIP_1) | instid1(VALU_DEP_2)
	v_min_f64 v[162:163], v[149:150], v[160:161]
	v_max_f64 v[149:150], v[149:150], v[160:161]
	v_dual_cndmask_b32 v151, v162, v147 :: v_dual_cndmask_b32 v160, v163, v148
	s_delay_alu instid0(VALU_DEP_2) | instskip(NEXT) | instid1(VALU_DEP_2)
	v_dual_cndmask_b32 v161, v150, v148 :: v_dual_cndmask_b32 v162, v149, v147
	v_cndmask_b32_e64 v149, v151, v6, s20
	s_delay_alu instid0(VALU_DEP_3) | instskip(NEXT) | instid1(VALU_DEP_3)
	v_cndmask_b32_e64 v150, v160, v7, s20
	v_cndmask_b32_e64 v7, v161, v7, s20
	s_delay_alu instid0(VALU_DEP_4) | instskip(NEXT) | instid1(VALU_DEP_3)
	v_cndmask_b32_e64 v6, v162, v6, s20
	v_cmp_class_f64_e64 s20, v[149:150], 0x1f8
	s_delay_alu instid0(VALU_DEP_2) | instskip(NEXT) | instid1(VALU_DEP_2)
	v_cmp_neq_f64_e32 vcc_lo, v[149:150], v[6:7]
	s_or_b32 s20, vcc_lo, s20
	s_delay_alu instid0(SALU_CYCLE_1)
	s_and_saveexec_b32 s27, s20
	s_cbranch_execz .LBB36_157
; %bb.156:
	v_add_f64 v[147:148], v[149:150], -v[6:7]
	s_mov_b32 s20, 0x652b82fe
	s_mov_b32 s21, 0x3ff71547
	;; [unrolled: 1-line block ×8, first 2 shown]
	s_delay_alu instid0(VALU_DEP_1) | instskip(SKIP_3) | instid1(VALU_DEP_2)
	v_mul_f64 v[149:150], v[147:148], s[20:21]
	s_mov_b32 s20, 0xfca7ab0c
	s_mov_b32 s21, 0x3e928af3
	v_cmp_nlt_f64_e32 vcc_lo, 0x40900000, v[147:148]
	v_rndne_f64_e32 v[149:150], v[149:150]
	s_delay_alu instid0(VALU_DEP_1) | instskip(SKIP_2) | instid1(VALU_DEP_2)
	v_fma_f64 v[160:161], v[149:150], s[22:23], v[147:148]
	v_cvt_i32_f64_e32 v151, v[149:150]
	s_mov_b32 s23, 0x3fe62e42
	v_fma_f64 v[160:161], v[149:150], s[24:25], v[160:161]
	s_mov_b32 s25, 0x3c7abc9e
	s_delay_alu instid0(VALU_DEP_1) | instskip(SKIP_4) | instid1(VALU_DEP_1)
	v_fma_f64 v[162:163], v[160:161], s[28:29], s[20:21]
	s_mov_b32 s20, 0x623fde64
	s_mov_b32 s21, 0x3ec71dee
	;; [unrolled: 1-line block ×4, first 2 shown]
	v_fma_f64 v[162:163], v[160:161], v[162:163], s[20:21]
	s_mov_b32 s20, 0x7c89e6b0
	s_mov_b32 s21, 0x3efa0199
	s_delay_alu instid0(VALU_DEP_1) | instid1(SALU_CYCLE_1)
	v_fma_f64 v[162:163], v[160:161], v[162:163], s[20:21]
	s_mov_b32 s20, 0x14761f6e
	s_mov_b32 s21, 0x3f2a01a0
	s_delay_alu instid0(VALU_DEP_1) | instid1(SALU_CYCLE_1)
	;; [unrolled: 4-line block ×7, first 2 shown]
	v_fma_f64 v[162:163], v[160:161], v[162:163], s[20:21]
	v_cmp_ngt_f64_e64 s20, 0xc090cc00, v[147:148]
	s_mov_b32 s21, 0x3fe55555
	s_delay_alu instid0(VALU_DEP_2) | instskip(NEXT) | instid1(VALU_DEP_1)
	v_fma_f64 v[162:163], v[160:161], v[162:163], 1.0
	v_fma_f64 v[149:150], v[160:161], v[162:163], 1.0
	s_delay_alu instid0(VALU_DEP_1) | instskip(NEXT) | instid1(VALU_DEP_1)
	v_ldexp_f64 v[149:150], v[149:150], v151
	v_cndmask_b32_e32 v150, 0x7ff00000, v150, vcc_lo
	s_and_b32 vcc_lo, s20, vcc_lo
	s_delay_alu instid0(VALU_DEP_1) | instskip(NEXT) | instid1(VALU_DEP_3)
	v_cndmask_b32_e64 v148, 0, v150, s20
	v_cndmask_b32_e32 v147, 0, v149, vcc_lo
	s_mov_b32 s20, 0x55555555
	s_delay_alu instid0(VALU_DEP_1) | instskip(NEXT) | instid1(VALU_DEP_1)
	v_add_f64 v[149:150], v[147:148], 1.0
	v_frexp_mant_f64_e32 v[160:161], v[149:150]
	v_frexp_exp_i32_f64_e32 v151, v[149:150]
	v_add_f64 v[162:163], v[149:150], -1.0
	s_delay_alu instid0(VALU_DEP_3) | instskip(SKIP_1) | instid1(VALU_DEP_2)
	v_cmp_gt_f64_e32 vcc_lo, s[20:21], v[160:161]
	s_mov_b32 s20, 0x55555780
	v_add_f64 v[160:161], v[162:163], -v[149:150]
	v_add_f64 v[162:163], v[147:148], -v[162:163]
	v_subrev_co_ci_u32_e32 v151, vcc_lo, 0, v151, vcc_lo
	s_delay_alu instid0(VALU_DEP_3) | instskip(SKIP_2) | instid1(VALU_DEP_2)
	v_add_f64 v[160:161], v[160:161], 1.0
	s_mov_b32 vcc_lo, 0xbf559e2b
	s_mov_b32 vcc_hi, 0x3fc3ab76
	v_sub_nc_u32_e32 v166, 0, v151
	s_delay_alu instid0(VALU_DEP_1) | instskip(NEXT) | instid1(VALU_DEP_3)
	v_ldexp_f64 v[149:150], v[149:150], v166
	v_add_f64 v[160:161], v[162:163], v[160:161]
	s_delay_alu instid0(VALU_DEP_2) | instskip(SKIP_1) | instid1(VALU_DEP_3)
	v_add_f64 v[164:165], v[149:150], 1.0
	v_add_f64 v[240:241], v[149:150], -1.0
	v_ldexp_f64 v[160:161], v[160:161], v166
	s_delay_alu instid0(VALU_DEP_3) | instskip(NEXT) | instid1(VALU_DEP_3)
	v_add_f64 v[162:163], v[164:165], -1.0
	v_add_f64 v[242:243], v[240:241], 1.0
	s_delay_alu instid0(VALU_DEP_2) | instskip(NEXT) | instid1(VALU_DEP_2)
	v_add_f64 v[162:163], v[149:150], -v[162:163]
	v_add_f64 v[149:150], v[149:150], -v[242:243]
	s_delay_alu instid0(VALU_DEP_2) | instskip(NEXT) | instid1(VALU_DEP_2)
	v_add_f64 v[162:163], v[160:161], v[162:163]
	v_add_f64 v[149:150], v[160:161], v[149:150]
	s_delay_alu instid0(VALU_DEP_2) | instskip(NEXT) | instid1(VALU_DEP_2)
	v_add_f64 v[166:167], v[164:165], v[162:163]
	v_add_f64 v[242:243], v[240:241], v[149:150]
	s_delay_alu instid0(VALU_DEP_2) | instskip(SKIP_1) | instid1(VALU_DEP_2)
	v_rcp_f64_e32 v[176:177], v[166:167]
	v_add_f64 v[164:165], v[166:167], -v[164:165]
	v_add_f64 v[240:241], v[242:243], -v[240:241]
	s_delay_alu instid0(VALU_DEP_2) | instskip(SKIP_3) | instid1(VALU_DEP_2)
	v_add_f64 v[162:163], v[162:163], -v[164:165]
	s_waitcnt_depctr 0xfff
	v_fma_f64 v[244:245], -v[166:167], v[176:177], 1.0
	v_add_f64 v[149:150], v[149:150], -v[240:241]
	v_fma_f64 v[176:177], v[244:245], v[176:177], v[176:177]
	s_delay_alu instid0(VALU_DEP_1) | instskip(NEXT) | instid1(VALU_DEP_1)
	v_fma_f64 v[160:161], -v[166:167], v[176:177], 1.0
	v_fma_f64 v[160:161], v[160:161], v[176:177], v[176:177]
	s_delay_alu instid0(VALU_DEP_1) | instskip(NEXT) | instid1(VALU_DEP_1)
	v_mul_f64 v[176:177], v[242:243], v[160:161]
	v_mul_f64 v[244:245], v[166:167], v[176:177]
	s_delay_alu instid0(VALU_DEP_1) | instskip(NEXT) | instid1(VALU_DEP_1)
	v_fma_f64 v[164:165], v[176:177], v[166:167], -v[244:245]
	v_fma_f64 v[164:165], v[176:177], v[162:163], v[164:165]
	s_delay_alu instid0(VALU_DEP_1) | instskip(NEXT) | instid1(VALU_DEP_1)
	v_add_f64 v[246:247], v[244:245], v[164:165]
	v_add_f64 v[40:41], v[242:243], -v[246:247]
	v_add_f64 v[240:241], v[246:247], -v[244:245]
	s_delay_alu instid0(VALU_DEP_2) | instskip(NEXT) | instid1(VALU_DEP_2)
	v_add_f64 v[242:243], v[242:243], -v[40:41]
	v_add_f64 v[164:165], v[240:241], -v[164:165]
	s_delay_alu instid0(VALU_DEP_2) | instskip(NEXT) | instid1(VALU_DEP_1)
	v_add_f64 v[242:243], v[242:243], -v[246:247]
	v_add_f64 v[149:150], v[149:150], v[242:243]
	s_delay_alu instid0(VALU_DEP_1) | instskip(NEXT) | instid1(VALU_DEP_1)
	v_add_f64 v[149:150], v[164:165], v[149:150]
	v_add_f64 v[164:165], v[40:41], v[149:150]
	s_delay_alu instid0(VALU_DEP_1) | instskip(SKIP_1) | instid1(VALU_DEP_2)
	v_mul_f64 v[240:241], v[160:161], v[164:165]
	v_add_f64 v[246:247], v[40:41], -v[164:165]
	v_mul_f64 v[242:243], v[166:167], v[240:241]
	s_delay_alu instid0(VALU_DEP_2) | instskip(NEXT) | instid1(VALU_DEP_2)
	v_add_f64 v[149:150], v[149:150], v[246:247]
	v_fma_f64 v[166:167], v[240:241], v[166:167], -v[242:243]
	s_delay_alu instid0(VALU_DEP_1) | instskip(NEXT) | instid1(VALU_DEP_1)
	v_fma_f64 v[162:163], v[240:241], v[162:163], v[166:167]
	v_add_f64 v[166:167], v[242:243], v[162:163]
	s_delay_alu instid0(VALU_DEP_1) | instskip(SKIP_1) | instid1(VALU_DEP_2)
	v_add_f64 v[244:245], v[164:165], -v[166:167]
	v_add_f64 v[242:243], v[166:167], -v[242:243]
	;; [unrolled: 1-line block ×3, first 2 shown]
	s_delay_alu instid0(VALU_DEP_2) | instskip(NEXT) | instid1(VALU_DEP_2)
	v_add_f64 v[162:163], v[242:243], -v[162:163]
	v_add_f64 v[164:165], v[164:165], -v[166:167]
	s_delay_alu instid0(VALU_DEP_1) | instskip(SKIP_1) | instid1(VALU_DEP_2)
	v_add_f64 v[149:150], v[149:150], v[164:165]
	v_add_f64 v[164:165], v[176:177], v[240:241]
	;; [unrolled: 1-line block ×3, first 2 shown]
	s_delay_alu instid0(VALU_DEP_2) | instskip(NEXT) | instid1(VALU_DEP_2)
	v_add_f64 v[162:163], v[164:165], -v[176:177]
	v_add_f64 v[149:150], v[244:245], v[149:150]
	s_delay_alu instid0(VALU_DEP_2) | instskip(NEXT) | instid1(VALU_DEP_2)
	v_add_f64 v[162:163], v[240:241], -v[162:163]
	v_mul_f64 v[149:150], v[160:161], v[149:150]
	s_delay_alu instid0(VALU_DEP_1) | instskip(NEXT) | instid1(VALU_DEP_1)
	v_add_f64 v[149:150], v[162:163], v[149:150]
	v_add_f64 v[160:161], v[164:165], v[149:150]
	s_delay_alu instid0(VALU_DEP_1) | instskip(NEXT) | instid1(VALU_DEP_1)
	v_mul_f64 v[162:163], v[160:161], v[160:161]
	v_fma_f64 v[166:167], v[162:163], vcc, s[28:29]
	s_mov_b32 s28, 0xd7f4df2e
	s_mov_b32 s29, 0x3fc7474d
	v_mul_f64 v[176:177], v[160:161], v[162:163]
	v_cmp_eq_f64_e32 vcc_lo, 0x7ff00000, v[147:148]
	s_delay_alu instid0(VALU_DEP_3)
	v_fma_f64 v[166:167], v[162:163], v[166:167], s[28:29]
	s_mov_b32 s28, 0x16291751
	s_mov_b32 s29, 0x3fcc71c0
	s_delay_alu instid0(VALU_DEP_1) | instid1(SALU_CYCLE_1)
	v_fma_f64 v[166:167], v[162:163], v[166:167], s[28:29]
	s_mov_b32 s28, 0x9b27acf1
	s_mov_b32 s29, 0x3fd24924
	s_delay_alu instid0(VALU_DEP_1) | instid1(SALU_CYCLE_1)
	;; [unrolled: 4-line block ×3, first 2 shown]
	v_fma_f64 v[166:167], v[162:163], v[166:167], s[28:29]
	s_delay_alu instid0(VALU_DEP_1) | instskip(SKIP_2) | instid1(VALU_DEP_3)
	v_fma_f64 v[162:163], v[162:163], v[166:167], s[20:21]
	v_ldexp_f64 v[166:167], v[160:161], 1
	v_add_f64 v[160:161], v[160:161], -v[164:165]
	v_mul_f64 v[162:163], v[176:177], v[162:163]
	v_cvt_f64_i32_e32 v[176:177], v151
	s_delay_alu instid0(VALU_DEP_3) | instskip(NEXT) | instid1(VALU_DEP_3)
	v_add_f64 v[149:150], v[149:150], -v[160:161]
	v_add_f64 v[164:165], v[166:167], v[162:163]
	s_delay_alu instid0(VALU_DEP_3) | instskip(NEXT) | instid1(VALU_DEP_3)
	v_mul_f64 v[240:241], v[176:177], s[22:23]
	v_ldexp_f64 v[149:150], v[149:150], 1
	s_delay_alu instid0(VALU_DEP_3) | instskip(NEXT) | instid1(VALU_DEP_3)
	v_add_f64 v[160:161], v[164:165], -v[166:167]
	v_fma_f64 v[166:167], v[176:177], s[22:23], -v[240:241]
	s_delay_alu instid0(VALU_DEP_2) | instskip(NEXT) | instid1(VALU_DEP_2)
	v_add_f64 v[160:161], v[162:163], -v[160:161]
	v_fma_f64 v[162:163], v[176:177], s[24:25], v[166:167]
	s_delay_alu instid0(VALU_DEP_2) | instskip(NEXT) | instid1(VALU_DEP_2)
	v_add_f64 v[149:150], v[149:150], v[160:161]
	v_add_f64 v[160:161], v[240:241], v[162:163]
	s_delay_alu instid0(VALU_DEP_2) | instskip(NEXT) | instid1(VALU_DEP_2)
	v_add_f64 v[166:167], v[164:165], v[149:150]
	v_add_f64 v[240:241], v[160:161], -v[240:241]
	s_delay_alu instid0(VALU_DEP_2) | instskip(SKIP_1) | instid1(VALU_DEP_3)
	v_add_f64 v[176:177], v[160:161], v[166:167]
	v_add_f64 v[164:165], v[166:167], -v[164:165]
	v_add_f64 v[162:163], v[162:163], -v[240:241]
	s_delay_alu instid0(VALU_DEP_3) | instskip(NEXT) | instid1(VALU_DEP_3)
	v_add_f64 v[242:243], v[176:177], -v[160:161]
	v_add_f64 v[149:150], v[149:150], -v[164:165]
	s_delay_alu instid0(VALU_DEP_2) | instskip(SKIP_1) | instid1(VALU_DEP_3)
	v_add_f64 v[244:245], v[176:177], -v[242:243]
	v_add_f64 v[164:165], v[166:167], -v[242:243]
	v_add_f64 v[166:167], v[162:163], v[149:150]
	s_delay_alu instid0(VALU_DEP_3) | instskip(NEXT) | instid1(VALU_DEP_1)
	v_add_f64 v[160:161], v[160:161], -v[244:245]
	v_add_f64 v[160:161], v[164:165], v[160:161]
	s_delay_alu instid0(VALU_DEP_3) | instskip(NEXT) | instid1(VALU_DEP_2)
	v_add_f64 v[164:165], v[166:167], -v[162:163]
	v_add_f64 v[160:161], v[166:167], v[160:161]
	s_delay_alu instid0(VALU_DEP_2) | instskip(SKIP_1) | instid1(VALU_DEP_3)
	v_add_f64 v[166:167], v[166:167], -v[164:165]
	v_add_f64 v[149:150], v[149:150], -v[164:165]
	v_add_f64 v[240:241], v[176:177], v[160:161]
	s_delay_alu instid0(VALU_DEP_3) | instskip(NEXT) | instid1(VALU_DEP_2)
	v_add_f64 v[162:163], v[162:163], -v[166:167]
	v_add_f64 v[164:165], v[240:241], -v[176:177]
	s_delay_alu instid0(VALU_DEP_2) | instskip(NEXT) | instid1(VALU_DEP_2)
	v_add_f64 v[149:150], v[149:150], v[162:163]
	v_add_f64 v[160:161], v[160:161], -v[164:165]
	s_delay_alu instid0(VALU_DEP_1) | instskip(NEXT) | instid1(VALU_DEP_1)
	v_add_f64 v[149:150], v[149:150], v[160:161]
	v_add_f64 v[149:150], v[240:241], v[149:150]
	s_delay_alu instid0(VALU_DEP_1) | instskip(SKIP_1) | instid1(VALU_DEP_2)
	v_dual_cndmask_b32 v150, v150, v148 :: v_dual_cndmask_b32 v149, v149, v147
	v_cmp_ngt_f64_e32 vcc_lo, -1.0, v[147:148]
	v_cndmask_b32_e32 v150, 0x7ff80000, v150, vcc_lo
	v_cmp_nge_f64_e32 vcc_lo, -1.0, v[147:148]
	s_delay_alu instid0(VALU_DEP_4) | instskip(SKIP_1) | instid1(VALU_DEP_4)
	v_cndmask_b32_e32 v149, 0, v149, vcc_lo
	v_cmp_neq_f64_e32 vcc_lo, -1.0, v[147:148]
	v_cndmask_b32_e32 v150, 0xfff00000, v150, vcc_lo
	s_delay_alu instid0(VALU_DEP_1)
	v_add_f64 v[147:148], v[6:7], v[149:150]
.LBB36_157:
	s_or_b32 exec_lo, exec_lo, s27
	s_delay_alu instid0(VALU_DEP_1)
	v_dual_mov_b32 v149, v147 :: v_dual_mov_b32 v150, v148
	v_dual_mov_b32 v6, v147 :: v_dual_mov_b32 v7, v148
.LBB36_158:
	s_or_b32 exec_lo, exec_lo, s26
	v_cmp_gt_u32_e32 vcc_lo, 16, v212
	v_add_nc_u32_e32 v240, 16, v212
	s_mov_b32 s26, exec_lo
	s_waitcnt lgkmcnt(1)
	v_cndmask_b32_e64 v147, 0, 1, vcc_lo
	s_delay_alu instid0(VALU_DEP_1) | instskip(NEXT) | instid1(VALU_DEP_1)
	v_lshlrev_b32_e32 v147, 4, v147
	v_add_lshl_u32 v231, v147, v212, 2
	ds_bpermute_b32 v147, v231, v149
	s_waitcnt lgkmcnt(1)
	ds_bpermute_b32 v148, v231, v150
	v_cmpx_le_u32_e64 v240, v9
	s_cbranch_execz .LBB36_162
; %bb.159:
	s_waitcnt lgkmcnt(0)
	v_max_f64 v[149:150], v[147:148], v[147:148]
	v_max_f64 v[160:161], v[6:7], v[6:7]
	v_cmp_u_f64_e32 vcc_lo, v[147:148], v[147:148]
	v_cmp_u_f64_e64 s20, v[6:7], v[6:7]
	s_delay_alu instid0(VALU_DEP_3) | instskip(SKIP_1) | instid1(VALU_DEP_2)
	v_min_f64 v[162:163], v[149:150], v[160:161]
	v_max_f64 v[149:150], v[149:150], v[160:161]
	v_cndmask_b32_e32 v9, v162, v147, vcc_lo
	s_delay_alu instid0(VALU_DEP_3) | instskip(NEXT) | instid1(VALU_DEP_3)
	v_cndmask_b32_e32 v151, v163, v148, vcc_lo
	v_dual_cndmask_b32 v160, v150, v148 :: v_dual_cndmask_b32 v161, v149, v147
	s_delay_alu instid0(VALU_DEP_3) | instskip(NEXT) | instid1(VALU_DEP_3)
	v_cndmask_b32_e64 v149, v9, v6, s20
	v_cndmask_b32_e64 v150, v151, v7, s20
	s_delay_alu instid0(VALU_DEP_3) | instskip(NEXT) | instid1(VALU_DEP_4)
	v_cndmask_b32_e64 v7, v160, v7, s20
	v_cndmask_b32_e64 v6, v161, v6, s20
	s_delay_alu instid0(VALU_DEP_3) | instskip(NEXT) | instid1(VALU_DEP_2)
	v_cmp_class_f64_e64 s20, v[149:150], 0x1f8
	v_cmp_neq_f64_e32 vcc_lo, v[149:150], v[6:7]
	s_delay_alu instid0(VALU_DEP_2) | instskip(NEXT) | instid1(SALU_CYCLE_1)
	s_or_b32 s20, vcc_lo, s20
	s_and_saveexec_b32 s27, s20
	s_cbranch_execz .LBB36_161
; %bb.160:
	v_add_f64 v[147:148], v[149:150], -v[6:7]
	s_mov_b32 s20, 0x652b82fe
	s_mov_b32 s21, 0x3ff71547
	;; [unrolled: 1-line block ×8, first 2 shown]
	s_delay_alu instid0(VALU_DEP_1) | instskip(SKIP_3) | instid1(VALU_DEP_2)
	v_mul_f64 v[149:150], v[147:148], s[20:21]
	s_mov_b32 s20, 0xfca7ab0c
	s_mov_b32 s21, 0x3e928af3
	v_cmp_nlt_f64_e32 vcc_lo, 0x40900000, v[147:148]
	v_rndne_f64_e32 v[149:150], v[149:150]
	s_delay_alu instid0(VALU_DEP_1) | instskip(SKIP_2) | instid1(VALU_DEP_2)
	v_fma_f64 v[160:161], v[149:150], s[22:23], v[147:148]
	v_cvt_i32_f64_e32 v9, v[149:150]
	s_mov_b32 s23, 0x3fe62e42
	v_fma_f64 v[160:161], v[149:150], s[24:25], v[160:161]
	s_mov_b32 s25, 0x3c7abc9e
	s_delay_alu instid0(VALU_DEP_1) | instskip(SKIP_4) | instid1(VALU_DEP_1)
	v_fma_f64 v[162:163], v[160:161], s[28:29], s[20:21]
	s_mov_b32 s20, 0x623fde64
	s_mov_b32 s21, 0x3ec71dee
	;; [unrolled: 1-line block ×4, first 2 shown]
	v_fma_f64 v[162:163], v[160:161], v[162:163], s[20:21]
	s_mov_b32 s20, 0x7c89e6b0
	s_mov_b32 s21, 0x3efa0199
	s_delay_alu instid0(VALU_DEP_1) | instid1(SALU_CYCLE_1)
	v_fma_f64 v[162:163], v[160:161], v[162:163], s[20:21]
	s_mov_b32 s20, 0x14761f6e
	s_mov_b32 s21, 0x3f2a01a0
	s_delay_alu instid0(VALU_DEP_1) | instid1(SALU_CYCLE_1)
	v_fma_f64 v[162:163], v[160:161], v[162:163], s[20:21]
	s_mov_b32 s20, 0x1852b7b0
	s_mov_b32 s21, 0x3f56c16c
	s_delay_alu instid0(VALU_DEP_1) | instid1(SALU_CYCLE_1)
	v_fma_f64 v[162:163], v[160:161], v[162:163], s[20:21]
	s_mov_b32 s20, 0x11122322
	s_mov_b32 s21, 0x3f811111
	s_delay_alu instid0(VALU_DEP_1) | instid1(SALU_CYCLE_1)
	v_fma_f64 v[162:163], v[160:161], v[162:163], s[20:21]
	s_mov_b32 s20, 0x555502a1
	s_mov_b32 s21, 0x3fa55555
	s_delay_alu instid0(VALU_DEP_1) | instid1(SALU_CYCLE_1)
	v_fma_f64 v[162:163], v[160:161], v[162:163], s[20:21]
	s_mov_b32 s20, 0x55555511
	s_mov_b32 s21, 0x3fc55555
	s_delay_alu instid0(VALU_DEP_1) | instid1(SALU_CYCLE_1)
	v_fma_f64 v[162:163], v[160:161], v[162:163], s[20:21]
	s_mov_b32 s20, 11
	s_mov_b32 s21, 0x3fe00000
	s_delay_alu instid0(VALU_DEP_1) | instid1(SALU_CYCLE_1)
	v_fma_f64 v[162:163], v[160:161], v[162:163], s[20:21]
	v_cmp_ngt_f64_e64 s20, 0xc090cc00, v[147:148]
	s_mov_b32 s21, 0x3fe55555
	s_delay_alu instid0(VALU_DEP_2) | instskip(NEXT) | instid1(VALU_DEP_1)
	v_fma_f64 v[162:163], v[160:161], v[162:163], 1.0
	v_fma_f64 v[149:150], v[160:161], v[162:163], 1.0
	s_delay_alu instid0(VALU_DEP_1) | instskip(NEXT) | instid1(VALU_DEP_1)
	v_ldexp_f64 v[149:150], v[149:150], v9
	v_cndmask_b32_e32 v9, 0x7ff00000, v150, vcc_lo
	s_and_b32 vcc_lo, s20, vcc_lo
	s_delay_alu instid0(VALU_DEP_2) | instskip(NEXT) | instid1(VALU_DEP_2)
	v_cndmask_b32_e32 v147, 0, v149, vcc_lo
	v_cndmask_b32_e64 v148, 0, v9, s20
	s_mov_b32 s20, 0x55555555
	s_delay_alu instid0(VALU_DEP_1) | instskip(NEXT) | instid1(VALU_DEP_1)
	v_add_f64 v[149:150], v[147:148], 1.0
	v_frexp_mant_f64_e32 v[160:161], v[149:150]
	v_frexp_exp_i32_f64_e32 v9, v[149:150]
	v_add_f64 v[162:163], v[149:150], -1.0
	s_delay_alu instid0(VALU_DEP_3) | instskip(SKIP_1) | instid1(VALU_DEP_2)
	v_cmp_gt_f64_e32 vcc_lo, s[20:21], v[160:161]
	s_mov_b32 s20, 0x55555780
	v_add_f64 v[160:161], v[162:163], -v[149:150]
	v_add_f64 v[162:163], v[147:148], -v[162:163]
	v_subrev_co_ci_u32_e32 v9, vcc_lo, 0, v9, vcc_lo
	s_delay_alu instid0(VALU_DEP_3) | instskip(SKIP_2) | instid1(VALU_DEP_2)
	v_add_f64 v[160:161], v[160:161], 1.0
	s_mov_b32 vcc_lo, 0xbf559e2b
	s_mov_b32 vcc_hi, 0x3fc3ab76
	v_sub_nc_u32_e32 v151, 0, v9
	s_delay_alu instid0(VALU_DEP_1) | instskip(NEXT) | instid1(VALU_DEP_3)
	v_ldexp_f64 v[149:150], v[149:150], v151
	v_add_f64 v[160:161], v[162:163], v[160:161]
	s_delay_alu instid0(VALU_DEP_2) | instskip(SKIP_1) | instid1(VALU_DEP_3)
	v_add_f64 v[164:165], v[149:150], 1.0
	v_add_f64 v[241:242], v[149:150], -1.0
	v_ldexp_f64 v[160:161], v[160:161], v151
	s_delay_alu instid0(VALU_DEP_3) | instskip(NEXT) | instid1(VALU_DEP_3)
	v_add_f64 v[162:163], v[164:165], -1.0
	v_add_f64 v[243:244], v[241:242], 1.0
	s_delay_alu instid0(VALU_DEP_2) | instskip(NEXT) | instid1(VALU_DEP_2)
	v_add_f64 v[162:163], v[149:150], -v[162:163]
	v_add_f64 v[149:150], v[149:150], -v[243:244]
	s_delay_alu instid0(VALU_DEP_2) | instskip(NEXT) | instid1(VALU_DEP_2)
	v_add_f64 v[162:163], v[160:161], v[162:163]
	v_add_f64 v[149:150], v[160:161], v[149:150]
	s_delay_alu instid0(VALU_DEP_2) | instskip(NEXT) | instid1(VALU_DEP_2)
	v_add_f64 v[166:167], v[164:165], v[162:163]
	v_add_f64 v[243:244], v[241:242], v[149:150]
	s_delay_alu instid0(VALU_DEP_2) | instskip(SKIP_1) | instid1(VALU_DEP_2)
	v_rcp_f64_e32 v[176:177], v[166:167]
	v_add_f64 v[164:165], v[166:167], -v[164:165]
	v_add_f64 v[241:242], v[243:244], -v[241:242]
	s_delay_alu instid0(VALU_DEP_2) | instskip(SKIP_3) | instid1(VALU_DEP_2)
	v_add_f64 v[162:163], v[162:163], -v[164:165]
	s_waitcnt_depctr 0xfff
	v_fma_f64 v[245:246], -v[166:167], v[176:177], 1.0
	v_add_f64 v[149:150], v[149:150], -v[241:242]
	v_fma_f64 v[176:177], v[245:246], v[176:177], v[176:177]
	s_delay_alu instid0(VALU_DEP_1) | instskip(NEXT) | instid1(VALU_DEP_1)
	v_fma_f64 v[160:161], -v[166:167], v[176:177], 1.0
	v_fma_f64 v[160:161], v[160:161], v[176:177], v[176:177]
	s_delay_alu instid0(VALU_DEP_1) | instskip(NEXT) | instid1(VALU_DEP_1)
	v_mul_f64 v[176:177], v[243:244], v[160:161]
	v_mul_f64 v[245:246], v[166:167], v[176:177]
	s_delay_alu instid0(VALU_DEP_1) | instskip(NEXT) | instid1(VALU_DEP_1)
	v_fma_f64 v[164:165], v[176:177], v[166:167], -v[245:246]
	v_fma_f64 v[164:165], v[176:177], v[162:163], v[164:165]
	s_delay_alu instid0(VALU_DEP_1) | instskip(NEXT) | instid1(VALU_DEP_1)
	v_add_f64 v[40:41], v[245:246], v[164:165]
	v_add_f64 v[42:43], v[243:244], -v[40:41]
	v_add_f64 v[241:242], v[40:41], -v[245:246]
	s_delay_alu instid0(VALU_DEP_2) | instskip(NEXT) | instid1(VALU_DEP_2)
	v_add_f64 v[243:244], v[243:244], -v[42:43]
	v_add_f64 v[164:165], v[241:242], -v[164:165]
	s_delay_alu instid0(VALU_DEP_2) | instskip(NEXT) | instid1(VALU_DEP_1)
	v_add_f64 v[243:244], v[243:244], -v[40:41]
	v_add_f64 v[149:150], v[149:150], v[243:244]
	s_delay_alu instid0(VALU_DEP_1) | instskip(NEXT) | instid1(VALU_DEP_1)
	v_add_f64 v[149:150], v[164:165], v[149:150]
	v_add_f64 v[164:165], v[42:43], v[149:150]
	s_delay_alu instid0(VALU_DEP_1) | instskip(SKIP_1) | instid1(VALU_DEP_2)
	v_mul_f64 v[241:242], v[160:161], v[164:165]
	v_add_f64 v[40:41], v[42:43], -v[164:165]
	v_mul_f64 v[243:244], v[166:167], v[241:242]
	s_delay_alu instid0(VALU_DEP_2) | instskip(NEXT) | instid1(VALU_DEP_2)
	v_add_f64 v[149:150], v[149:150], v[40:41]
	v_fma_f64 v[166:167], v[241:242], v[166:167], -v[243:244]
	s_delay_alu instid0(VALU_DEP_1) | instskip(NEXT) | instid1(VALU_DEP_1)
	v_fma_f64 v[162:163], v[241:242], v[162:163], v[166:167]
	v_add_f64 v[166:167], v[243:244], v[162:163]
	s_delay_alu instid0(VALU_DEP_1) | instskip(SKIP_1) | instid1(VALU_DEP_2)
	v_add_f64 v[245:246], v[164:165], -v[166:167]
	v_add_f64 v[243:244], v[166:167], -v[243:244]
	;; [unrolled: 1-line block ×3, first 2 shown]
	s_delay_alu instid0(VALU_DEP_2) | instskip(NEXT) | instid1(VALU_DEP_2)
	v_add_f64 v[162:163], v[243:244], -v[162:163]
	v_add_f64 v[164:165], v[164:165], -v[166:167]
	s_delay_alu instid0(VALU_DEP_1) | instskip(SKIP_1) | instid1(VALU_DEP_2)
	v_add_f64 v[149:150], v[149:150], v[164:165]
	v_add_f64 v[164:165], v[176:177], v[241:242]
	;; [unrolled: 1-line block ×3, first 2 shown]
	s_delay_alu instid0(VALU_DEP_2) | instskip(NEXT) | instid1(VALU_DEP_2)
	v_add_f64 v[162:163], v[164:165], -v[176:177]
	v_add_f64 v[149:150], v[245:246], v[149:150]
	s_delay_alu instid0(VALU_DEP_2) | instskip(NEXT) | instid1(VALU_DEP_2)
	v_add_f64 v[162:163], v[241:242], -v[162:163]
	v_mul_f64 v[149:150], v[160:161], v[149:150]
	s_delay_alu instid0(VALU_DEP_1) | instskip(NEXT) | instid1(VALU_DEP_1)
	v_add_f64 v[149:150], v[162:163], v[149:150]
	v_add_f64 v[160:161], v[164:165], v[149:150]
	s_delay_alu instid0(VALU_DEP_1) | instskip(NEXT) | instid1(VALU_DEP_1)
	v_mul_f64 v[162:163], v[160:161], v[160:161]
	v_fma_f64 v[166:167], v[162:163], vcc, s[28:29]
	s_mov_b32 s28, 0xd7f4df2e
	s_mov_b32 s29, 0x3fc7474d
	v_mul_f64 v[176:177], v[160:161], v[162:163]
	v_cmp_eq_f64_e32 vcc_lo, 0x7ff00000, v[147:148]
	s_delay_alu instid0(VALU_DEP_3)
	v_fma_f64 v[166:167], v[162:163], v[166:167], s[28:29]
	s_mov_b32 s28, 0x16291751
	s_mov_b32 s29, 0x3fcc71c0
	s_delay_alu instid0(VALU_DEP_1) | instid1(SALU_CYCLE_1)
	v_fma_f64 v[166:167], v[162:163], v[166:167], s[28:29]
	s_mov_b32 s28, 0x9b27acf1
	s_mov_b32 s29, 0x3fd24924
	s_delay_alu instid0(VALU_DEP_1) | instid1(SALU_CYCLE_1)
	;; [unrolled: 4-line block ×3, first 2 shown]
	v_fma_f64 v[166:167], v[162:163], v[166:167], s[28:29]
	s_delay_alu instid0(VALU_DEP_1) | instskip(SKIP_2) | instid1(VALU_DEP_3)
	v_fma_f64 v[162:163], v[162:163], v[166:167], s[20:21]
	v_ldexp_f64 v[166:167], v[160:161], 1
	v_add_f64 v[160:161], v[160:161], -v[164:165]
	v_mul_f64 v[162:163], v[176:177], v[162:163]
	v_cvt_f64_i32_e32 v[176:177], v9
	s_delay_alu instid0(VALU_DEP_3) | instskip(NEXT) | instid1(VALU_DEP_3)
	v_add_f64 v[149:150], v[149:150], -v[160:161]
	v_add_f64 v[164:165], v[166:167], v[162:163]
	s_delay_alu instid0(VALU_DEP_3) | instskip(NEXT) | instid1(VALU_DEP_3)
	v_mul_f64 v[241:242], v[176:177], s[22:23]
	v_ldexp_f64 v[149:150], v[149:150], 1
	s_delay_alu instid0(VALU_DEP_3) | instskip(NEXT) | instid1(VALU_DEP_3)
	v_add_f64 v[160:161], v[164:165], -v[166:167]
	v_fma_f64 v[166:167], v[176:177], s[22:23], -v[241:242]
	s_delay_alu instid0(VALU_DEP_2) | instskip(NEXT) | instid1(VALU_DEP_2)
	v_add_f64 v[160:161], v[162:163], -v[160:161]
	v_fma_f64 v[162:163], v[176:177], s[24:25], v[166:167]
	s_delay_alu instid0(VALU_DEP_2) | instskip(NEXT) | instid1(VALU_DEP_2)
	v_add_f64 v[149:150], v[149:150], v[160:161]
	v_add_f64 v[160:161], v[241:242], v[162:163]
	s_delay_alu instid0(VALU_DEP_2) | instskip(NEXT) | instid1(VALU_DEP_2)
	v_add_f64 v[166:167], v[164:165], v[149:150]
	v_add_f64 v[241:242], v[160:161], -v[241:242]
	s_delay_alu instid0(VALU_DEP_2) | instskip(SKIP_1) | instid1(VALU_DEP_3)
	v_add_f64 v[176:177], v[160:161], v[166:167]
	v_add_f64 v[164:165], v[166:167], -v[164:165]
	v_add_f64 v[162:163], v[162:163], -v[241:242]
	s_delay_alu instid0(VALU_DEP_3) | instskip(NEXT) | instid1(VALU_DEP_3)
	v_add_f64 v[243:244], v[176:177], -v[160:161]
	v_add_f64 v[149:150], v[149:150], -v[164:165]
	s_delay_alu instid0(VALU_DEP_2) | instskip(SKIP_1) | instid1(VALU_DEP_3)
	v_add_f64 v[245:246], v[176:177], -v[243:244]
	v_add_f64 v[164:165], v[166:167], -v[243:244]
	v_add_f64 v[166:167], v[162:163], v[149:150]
	s_delay_alu instid0(VALU_DEP_3) | instskip(NEXT) | instid1(VALU_DEP_1)
	v_add_f64 v[160:161], v[160:161], -v[245:246]
	v_add_f64 v[160:161], v[164:165], v[160:161]
	s_delay_alu instid0(VALU_DEP_3) | instskip(NEXT) | instid1(VALU_DEP_2)
	v_add_f64 v[164:165], v[166:167], -v[162:163]
	v_add_f64 v[160:161], v[166:167], v[160:161]
	s_delay_alu instid0(VALU_DEP_2) | instskip(SKIP_1) | instid1(VALU_DEP_3)
	v_add_f64 v[166:167], v[166:167], -v[164:165]
	v_add_f64 v[149:150], v[149:150], -v[164:165]
	v_add_f64 v[241:242], v[176:177], v[160:161]
	s_delay_alu instid0(VALU_DEP_3) | instskip(NEXT) | instid1(VALU_DEP_2)
	v_add_f64 v[162:163], v[162:163], -v[166:167]
	v_add_f64 v[164:165], v[241:242], -v[176:177]
	s_delay_alu instid0(VALU_DEP_2) | instskip(NEXT) | instid1(VALU_DEP_2)
	v_add_f64 v[149:150], v[149:150], v[162:163]
	v_add_f64 v[160:161], v[160:161], -v[164:165]
	s_delay_alu instid0(VALU_DEP_1) | instskip(NEXT) | instid1(VALU_DEP_1)
	v_add_f64 v[149:150], v[149:150], v[160:161]
	v_add_f64 v[149:150], v[241:242], v[149:150]
	s_delay_alu instid0(VALU_DEP_1) | instskip(NEXT) | instid1(VALU_DEP_2)
	v_cndmask_b32_e32 v9, v149, v147, vcc_lo
	v_cndmask_b32_e32 v149, v150, v148, vcc_lo
	v_cmp_ngt_f64_e32 vcc_lo, -1.0, v[147:148]
	s_delay_alu instid0(VALU_DEP_2) | instskip(SKIP_3) | instid1(VALU_DEP_4)
	v_cndmask_b32_e32 v150, 0x7ff80000, v149, vcc_lo
	v_cmp_nge_f64_e32 vcc_lo, -1.0, v[147:148]
	v_cndmask_b32_e32 v149, 0, v9, vcc_lo
	v_cmp_neq_f64_e32 vcc_lo, -1.0, v[147:148]
	v_cndmask_b32_e32 v150, 0xfff00000, v150, vcc_lo
	s_delay_alu instid0(VALU_DEP_1)
	v_add_f64 v[147:148], v[6:7], v[149:150]
.LBB36_161:
	s_or_b32 exec_lo, exec_lo, s27
	s_delay_alu instid0(VALU_DEP_1)
	v_dual_mov_b32 v6, v147 :: v_dual_mov_b32 v7, v148
.LBB36_162:
	s_or_b32 exec_lo, exec_lo, s26
	s_waitcnt lgkmcnt(1)
	v_mov_b32_e32 v147, 0
	s_mov_b32 s24, 0x652b82fe
	s_mov_b32 s26, 0xfefa39ef
	;; [unrolled: 1-line block ×20, first 2 shown]
	s_mov_b64 s[22:23], src_shared_base
	s_mov_b32 s25, 0x3ff71547
	s_mov_b32 s27, 0xbfe62e42
	;; [unrolled: 1-line block ×20, first 2 shown]
	s_mov_b64 vcc, src_private_base
	s_mov_b32 s66, 0x55555780
	s_mov_b32 s69, 0x3fe62e42
	;; [unrolled: 1-line block ×3, first 2 shown]
	s_branch .LBB36_164
.LBB36_163:                             ;   in Loop: Header=BB36_164 Depth=1
	s_or_b32 exec_lo, exec_lo, s21
	v_subrev_nc_u32_e32 v146, 32, v146
.LBB36_164:                             ; =>This Loop Header: Depth=1
                                        ;     Child Loop BB36_176 Depth 2
                                        ;       Child Loop BB36_177 Depth 3
	s_waitcnt lgkmcnt(0)
	s_delay_alu instid0(VALU_DEP_2) | instskip(NEXT) | instid1(VALU_DEP_3)
	v_dual_mov_b32 v149, v7 :: v_dual_and_b32 v8, 0xff, v8
	v_mov_b32_e32 v148, v6
	s_delay_alu instid0(VALU_DEP_2) | instskip(SKIP_2) | instid1(VALU_DEP_1)
	v_cmp_ne_u16_e32 vcc_lo, 2, v8
	v_cndmask_b32_e64 v8, 0, 1, vcc_lo
	;;#ASMSTART
	;;#ASMEND
	v_cmp_ne_u32_e32 vcc_lo, 0, v8
	s_cmp_lg_u32 vcc_lo, exec_lo
	s_cbranch_scc1 .LBB36_186
; %bb.165:                              ;   in Loop: Header=BB36_164 Depth=1
	v_lshlrev_b64 v[6:7], 4, v[146:147]
                                        ; implicit-def: $vgpr162_vgpr163
                                        ; implicit-def: $vgpr163_vgpr164
                                        ; implicit-def: $vgpr164_vgpr165
                                        ; implicit-def: $vgpr8
                                        ; implicit-def: $vgpr165_vgpr166
                                        ; implicit-def: $vgpr176_vgpr177
                                        ; implicit-def: $vgpr160_vgpr161
	s_delay_alu instid0(VALU_DEP_1) | instskip(NEXT) | instid1(VALU_DEP_2)
	v_add_co_u32 v150, vcc_lo, v116, v6
	v_add_co_ci_u32_e32 v151, vcc_lo, v117, v7, vcc_lo
	s_delay_alu instid0(VALU_DEP_1) | instskip(SKIP_1) | instid1(SALU_CYCLE_1)
	v_cmp_ne_u32_e32 vcc_lo, s23, v151
	s_and_saveexec_b32 s20, vcc_lo
	s_xor_b32 s21, exec_lo, s20
	s_cbranch_execz .LBB36_171
; %bb.166:                              ;   in Loop: Header=BB36_164 Depth=1
	v_cmp_ne_u32_e64 s20, vcc_hi, v151
                                        ; implicit-def: $vgpr162_vgpr163
                                        ; implicit-def: $vgpr163_vgpr164
                                        ; implicit-def: $vgpr164_vgpr165
                                        ; implicit-def: $vgpr8
                                        ; implicit-def: $vgpr165_vgpr166
                                        ; implicit-def: $vgpr176_vgpr177
                                        ; implicit-def: $vgpr160_vgpr161
	s_delay_alu instid0(VALU_DEP_1) | instskip(NEXT) | instid1(SALU_CYCLE_1)
	s_and_saveexec_b32 s22, s20
	s_xor_b32 s20, exec_lo, s22
	s_cbranch_execz .LBB36_168
; %bb.167:                              ;   in Loop: Header=BB36_164 Depth=1
	;;#ASMSTART
	global_load_dwordx4 v[6:9], v[150:151] off glc	
s_waitcnt vmcnt(0)
	;;#ASMEND
	v_lshrrev_b64 v[160:161], 8, v[6:7]
	v_lshlrev_b64 v[161:162], 24, v[8:9]
	v_lshlrev_b64 v[162:163], 16, v[8:9]
	;; [unrolled: 1-line block ×3, first 2 shown]
	v_lshrrev_b32_e32 v164, 8, v7
	v_lshrrev_b32_e32 v163, 16, v7
	;; [unrolled: 1-line block ×3, first 2 shown]
	v_lshrrev_b64 v[176:177], 16, v[6:7]
	v_lshrrev_b64 v[165:166], 24, v[6:7]
	v_or_b32_e32 v164, v164, v161
	v_or_b32_e32 v163, v163, v162
	;; [unrolled: 1-line block ×3, first 2 shown]
.LBB36_168:                             ;   in Loop: Header=BB36_164 Depth=1
	s_and_not1_saveexec_b32 s20, s20
	s_cbranch_execz .LBB36_170
; %bb.169:                              ;   in Loop: Header=BB36_164 Depth=1
	;;#ASMSTART
	flat_load_dwordx4 v[6:9], v[150:151] glc	
s_waitcnt vmcnt(0)
	;;#ASMEND
	v_lshrrev_b64 v[160:161], 8, v[6:7]
	v_lshlrev_b64 v[161:162], 24, v[8:9]
	v_lshlrev_b64 v[162:163], 16, v[8:9]
	;; [unrolled: 1-line block ×3, first 2 shown]
	v_lshrrev_b32_e32 v164, 8, v7
	v_lshrrev_b32_e32 v163, 16, v7
	;; [unrolled: 1-line block ×3, first 2 shown]
	v_lshrrev_b64 v[176:177], 16, v[6:7]
	v_lshrrev_b64 v[165:166], 24, v[6:7]
	v_or_b32_e32 v164, v164, v161
	v_or_b32_e32 v163, v163, v162
	;; [unrolled: 1-line block ×3, first 2 shown]
.LBB36_170:                             ;   in Loop: Header=BB36_164 Depth=1
	s_or_b32 exec_lo, exec_lo, s20
.LBB36_171:                             ;   in Loop: Header=BB36_164 Depth=1
	s_and_not1_saveexec_b32 s21, s21
	s_cbranch_execz .LBB36_173
; %bb.172:                              ;   in Loop: Header=BB36_164 Depth=1
	v_cmp_ne_u64_e64 s20, 0, v[150:151]
	s_delay_alu instid0(VALU_DEP_1) | instskip(SKIP_1) | instid1(VALU_DEP_1)
	v_cndmask_b32_e64 v6, -1, v150, s20
	;;#ASMSTART
	ds_read_b128 v[6:9], v6 	
s_waitcnt lgkmcnt(0)
	;;#ASMEND
	v_lshrrev_b64 v[160:161], 8, v[6:7]
	v_lshlrev_b64 v[161:162], 24, v[8:9]
	v_lshlrev_b64 v[162:163], 16, v[8:9]
	;; [unrolled: 1-line block ×3, first 2 shown]
	v_lshrrev_b32_e32 v164, 8, v7
	v_lshrrev_b32_e32 v163, 16, v7
	v_lshrrev_b32_e32 v9, 24, v7
	v_lshrrev_b64 v[176:177], 16, v[6:7]
	v_lshrrev_b64 v[165:166], 24, v[6:7]
	v_or_b32_e32 v164, v164, v161
	v_or_b32_e32 v163, v163, v162
	;; [unrolled: 1-line block ×3, first 2 shown]
.LBB36_173:                             ;   in Loop: Header=BB36_164 Depth=1
	s_or_b32 exec_lo, exec_lo, s21
	v_lshlrev_b32_e32 v9, 8, v160
	v_lshlrev_b32_e32 v160, 16, v176
	;; [unrolled: 1-line block ×4, first 2 shown]
	v_and_b32_e32 v7, 0xff, v7
	v_perm_b32 v6, v9, v6, 0xc0c0500
	v_and_b32_e32 v9, 0xff0000, v160
	v_lshlrev_b32_e32 v160, 16, v163
	v_and_b32_e32 v163, 0xff00, v164
	s_mov_b32 s22, exec_lo
	s_delay_alu instid0(VALU_DEP_3)
	v_or3_b32 v6, v6, v9, v161
	v_lshlrev_b32_e32 v9, 24, v162
	v_and_b32_e32 v160, 0xff0000, v160
	v_or3_b32 v7, 0, v7, v163
	v_and_b32_e32 v162, 0xff, v8
	v_or3_b32 v6, v6, 0, 0
	s_delay_alu instid0(VALU_DEP_3) | instskip(NEXT) | instid1(VALU_DEP_2)
	v_or3_b32 v161, v7, v160, v9
	v_or3_b32 v160, v6, 0, 0
	s_delay_alu instid0(VALU_DEP_4)
	v_cmpx_eq_u16_e64 0, v162
	s_cbranch_execz .LBB36_188
; %bb.174:                              ;   in Loop: Header=BB36_164 Depth=1
	v_cmp_ne_u64_e64 s21, 0, v[150:151]
	v_cmp_ne_u32_e64 s20, vcc_hi, v151
	s_mov_b32 s68, 1
	s_mov_b32 s67, 0
	s_delay_alu instid0(VALU_DEP_2)
	v_cndmask_b32_e64 v241, -1, v150, s21
	s_branch .LBB36_176
.LBB36_175:                             ;   in Loop: Header=BB36_176 Depth=2
	s_or_b32 exec_lo, exec_lo, s21
	v_and_b32_e32 v9, 0xff, v8
	s_cmp_lt_u32 s68, 32
	s_cselect_b32 s70, -1, 0
	s_delay_alu instid0(SALU_CYCLE_1) | instskip(NEXT) | instid1(VALU_DEP_1)
	s_cmp_lg_u32 s70, 0
	v_cmp_ne_u16_e64 s21, 0, v9
	s_addc_u32 s68, s68, 0
	s_delay_alu instid0(VALU_DEP_1) | instskip(NEXT) | instid1(SALU_CYCLE_1)
	s_or_b32 s67, s21, s67
	s_and_not1_b32 exec_lo, exec_lo, s67
	s_cbranch_execz .LBB36_187
.LBB36_176:                             ;   Parent Loop BB36_164 Depth=1
                                        ; =>  This Loop Header: Depth=2
                                        ;       Child Loop BB36_177 Depth 3
	s_max_u32 s21, s68, 1
.LBB36_177:                             ;   Parent Loop BB36_164 Depth=1
                                        ;     Parent Loop BB36_176 Depth=2
                                        ; =>    This Inner Loop Header: Depth=3
	s_delay_alu instid0(SALU_CYCLE_1)
	s_add_i32 s21, s21, -1
	s_sleep 1
	s_cmp_eq_u32 s21, 0
	s_cbranch_scc0 .LBB36_177
; %bb.178:                              ;   in Loop: Header=BB36_176 Depth=2
                                        ; implicit-def: $vgpr162_vgpr163
                                        ; implicit-def: $vgpr8
                                        ; implicit-def: $vgpr166_vgpr167
                                        ; implicit-def: $vgpr176_vgpr177
                                        ; implicit-def: $vgpr160_vgpr161
                                        ; implicit-def: $vgpr163_vgpr164
                                        ; implicit-def: $vgpr164_vgpr165
	s_and_saveexec_b32 s21, vcc_lo
	s_delay_alu instid0(SALU_CYCLE_1)
	s_xor_b32 s21, exec_lo, s21
	s_cbranch_execz .LBB36_184
; %bb.179:                              ;   in Loop: Header=BB36_176 Depth=2
                                        ; implicit-def: $vgpr162_vgpr163
                                        ; implicit-def: $vgpr8
                                        ; implicit-def: $vgpr166_vgpr167
                                        ; implicit-def: $vgpr176_vgpr177
                                        ; implicit-def: $vgpr160_vgpr161
                                        ; implicit-def: $vgpr163_vgpr164
                                        ; implicit-def: $vgpr164_vgpr165
	s_and_saveexec_b32 s70, s20
	s_delay_alu instid0(SALU_CYCLE_1)
	s_xor_b32 s70, exec_lo, s70
	s_cbranch_execz .LBB36_181
; %bb.180:                              ;   in Loop: Header=BB36_176 Depth=2
	;;#ASMSTART
	global_load_dwordx4 v[6:9], v[150:151] off glc	
s_waitcnt vmcnt(0)
	;;#ASMEND
	v_lshrrev_b64 v[160:161], 8, v[6:7]
	v_lshlrev_b64 v[161:162], 24, v[8:9]
	v_lshlrev_b64 v[162:163], 16, v[8:9]
	;; [unrolled: 1-line block ×3, first 2 shown]
	v_lshrrev_b32_e32 v166, 8, v7
	v_lshrrev_b32_e32 v163, 16, v7
	;; [unrolled: 1-line block ×3, first 2 shown]
	v_lshrrev_b64 v[176:177], 16, v[6:7]
	v_lshrrev_b64 v[164:165], 24, v[6:7]
	v_or_b32_e32 v166, v166, v161
	v_or_b32_e32 v163, v163, v162
	;; [unrolled: 1-line block ×3, first 2 shown]
.LBB36_181:                             ;   in Loop: Header=BB36_176 Depth=2
	s_and_not1_saveexec_b32 s70, s70
	s_cbranch_execz .LBB36_183
; %bb.182:                              ;   in Loop: Header=BB36_176 Depth=2
	;;#ASMSTART
	flat_load_dwordx4 v[6:9], v[150:151] glc	
s_waitcnt vmcnt(0)
	;;#ASMEND
	v_lshrrev_b64 v[160:161], 8, v[6:7]
	v_lshlrev_b64 v[161:162], 24, v[8:9]
	v_lshlrev_b64 v[162:163], 16, v[8:9]
	;; [unrolled: 1-line block ×3, first 2 shown]
	v_lshrrev_b32_e32 v166, 8, v7
	v_lshrrev_b32_e32 v163, 16, v7
	;; [unrolled: 1-line block ×3, first 2 shown]
	v_lshrrev_b64 v[176:177], 16, v[6:7]
	v_lshrrev_b64 v[164:165], 24, v[6:7]
	v_or_b32_e32 v166, v166, v161
	v_or_b32_e32 v163, v163, v162
	;; [unrolled: 1-line block ×3, first 2 shown]
.LBB36_183:                             ;   in Loop: Header=BB36_176 Depth=2
	s_or_b32 exec_lo, exec_lo, s70
.LBB36_184:                             ;   in Loop: Header=BB36_176 Depth=2
	s_and_not1_saveexec_b32 s21, s21
	s_cbranch_execz .LBB36_175
; %bb.185:                              ;   in Loop: Header=BB36_176 Depth=2
	;;#ASMSTART
	ds_read_b128 v[6:9], v241 	
s_waitcnt lgkmcnt(0)
	;;#ASMEND
	v_lshrrev_b64 v[160:161], 8, v[6:7]
	v_lshlrev_b64 v[161:162], 24, v[8:9]
	v_lshlrev_b64 v[162:163], 16, v[8:9]
	;; [unrolled: 1-line block ×3, first 2 shown]
	v_lshrrev_b32_e32 v166, 8, v7
	v_lshrrev_b32_e32 v163, 16, v7
	v_lshrrev_b32_e32 v9, 24, v7
	v_lshrrev_b64 v[176:177], 16, v[6:7]
	v_lshrrev_b64 v[164:165], 24, v[6:7]
	v_or_b32_e32 v166, v166, v161
	v_or_b32_e32 v163, v163, v162
	;; [unrolled: 1-line block ×3, first 2 shown]
	s_branch .LBB36_175
.LBB36_186:                             ;   in Loop: Header=BB36_164 Depth=1
                                        ; implicit-def: $vgpr6_vgpr7
                                        ; implicit-def: $vgpr8
	s_cbranch_execz .LBB36_164
	s_branch .LBB36_210
.LBB36_187:                             ;   in Loop: Header=BB36_164 Depth=1
	s_or_b32 exec_lo, exec_lo, s67
	v_lshlrev_b32_e32 v9, 8, v160
	v_lshlrev_b32_e32 v150, 16, v176
	;; [unrolled: 1-line block ×3, first 2 shown]
	v_and_b32_e32 v7, 0xff, v7
	v_lshlrev_b32_e32 v160, 16, v163
	v_perm_b32 v6, v9, v6, 0xc0c0500
	v_and_b32_e32 v9, 0xff0000, v150
	v_lshlrev_b32_e32 v150, 24, v164
	v_and_b32_e32 v151, 0xff00, v151
	s_delay_alu instid0(VALU_DEP_2) | instskip(NEXT) | instid1(VALU_DEP_2)
	v_or3_b32 v6, v6, v9, v150
	v_or3_b32 v7, 0, v7, v151
	v_and_b32_e32 v9, 0xff0000, v160
	v_lshlrev_b32_e32 v150, 24, v162
	s_delay_alu instid0(VALU_DEP_4) | instskip(NEXT) | instid1(VALU_DEP_2)
	v_or3_b32 v6, v6, 0, 0
	v_or3_b32 v161, v7, v9, v150
	s_delay_alu instid0(VALU_DEP_2)
	v_or3_b32 v160, v6, 0, 0
.LBB36_188:                             ;   in Loop: Header=BB36_164 Depth=1
	s_or_b32 exec_lo, exec_lo, s22
	v_and_b32_e32 v6, 0xff, v8
	ds_bpermute_b32 v150, v215, v160
	ds_bpermute_b32 v151, v215, v161
	s_mov_b32 s21, exec_lo
	v_cmp_eq_u16_e32 vcc_lo, 2, v6
	v_and_or_b32 v6, vcc_lo, v224, 0x80000000
	s_delay_alu instid0(VALU_DEP_1) | instskip(SKIP_1) | instid1(VALU_DEP_2)
	v_ctz_i32_b32_e32 v9, v6
	v_dual_mov_b32 v6, v160 :: v_dual_mov_b32 v7, v161
	v_cmpx_lt_u32_e64 v212, v9
	s_cbranch_execz .LBB36_192
; %bb.189:                              ;   in Loop: Header=BB36_164 Depth=1
	s_waitcnt lgkmcnt(0)
	v_max_f64 v[6:7], v[150:151], v[150:151]
	v_max_f64 v[162:163], v[160:161], v[160:161]
	v_cmp_u_f64_e32 vcc_lo, v[150:151], v[150:151]
	v_cmp_u_f64_e64 s20, v[160:161], v[160:161]
	s_delay_alu instid0(VALU_DEP_3) | instskip(SKIP_1) | instid1(VALU_DEP_2)
	v_min_f64 v[164:165], v[6:7], v[162:163]
	v_max_f64 v[6:7], v[6:7], v[162:163]
	v_dual_cndmask_b32 v162, v164, v150 :: v_dual_cndmask_b32 v163, v165, v151
	s_delay_alu instid0(VALU_DEP_2) | instskip(NEXT) | instid1(VALU_DEP_2)
	v_dual_cndmask_b32 v7, v7, v151 :: v_dual_cndmask_b32 v6, v6, v150
	v_cndmask_b32_e64 v162, v162, v160, s20
	s_delay_alu instid0(VALU_DEP_3) | instskip(NEXT) | instid1(VALU_DEP_3)
	v_cndmask_b32_e64 v163, v163, v161, s20
	v_cndmask_b32_e64 v7, v7, v161, s20
	s_delay_alu instid0(VALU_DEP_4) | instskip(NEXT) | instid1(VALU_DEP_3)
	v_cndmask_b32_e64 v6, v6, v160, s20
	v_cmp_class_f64_e64 s20, v[162:163], 0x1f8
	s_delay_alu instid0(VALU_DEP_2) | instskip(NEXT) | instid1(VALU_DEP_2)
	v_cmp_neq_f64_e32 vcc_lo, v[162:163], v[6:7]
	s_or_b32 s20, vcc_lo, s20
	s_delay_alu instid0(SALU_CYCLE_1)
	s_and_saveexec_b32 s22, s20
	s_cbranch_execz .LBB36_191
; %bb.190:                              ;   in Loop: Header=BB36_164 Depth=1
	v_add_f64 v[150:151], v[162:163], -v[6:7]
	s_mov_b32 s67, s53
	s_mov_b32 s68, s26
	;; [unrolled: 1-line block ×3, first 2 shown]
	s_delay_alu instid0(VALU_DEP_1) | instskip(SKIP_2) | instid1(VALU_DEP_3)
	v_mul_f64 v[160:161], v[150:151], s[24:25]
	v_cmp_nlt_f64_e32 vcc_lo, 0x40900000, v[150:151]
	v_cmp_ngt_f64_e64 s20, 0xc090cc00, v[150:151]
	v_rndne_f64_e32 v[160:161], v[160:161]
	s_delay_alu instid0(VALU_DEP_1) | instskip(SKIP_1) | instid1(VALU_DEP_2)
	v_fma_f64 v[162:163], v[160:161], s[26:27], v[150:151]
	v_cvt_i32_f64_e32 v166, v[160:161]
	v_fma_f64 v[162:163], v[160:161], s[28:29], v[162:163]
	s_delay_alu instid0(VALU_DEP_1) | instskip(NEXT) | instid1(VALU_DEP_1)
	v_fma_f64 v[164:165], v[162:163], s[34:35], s[30:31]
	v_fma_f64 v[164:165], v[162:163], v[164:165], s[36:37]
	s_delay_alu instid0(VALU_DEP_1) | instskip(NEXT) | instid1(VALU_DEP_1)
	v_fma_f64 v[164:165], v[162:163], v[164:165], s[38:39]
	;; [unrolled: 3-line block ×5, first 2 shown]
	v_fma_f64 v[164:165], v[162:163], v[164:165], 1.0
	s_delay_alu instid0(VALU_DEP_1) | instskip(NEXT) | instid1(VALU_DEP_1)
	v_fma_f64 v[160:161], v[162:163], v[164:165], 1.0
	v_ldexp_f64 v[160:161], v[160:161], v166
	s_delay_alu instid0(VALU_DEP_1) | instskip(SKIP_1) | instid1(VALU_DEP_1)
	v_cndmask_b32_e32 v161, 0x7ff00000, v161, vcc_lo
	s_and_b32 vcc_lo, s20, vcc_lo
	v_cndmask_b32_e64 v151, 0, v161, s20
	s_delay_alu instid0(VALU_DEP_3) | instskip(NEXT) | instid1(VALU_DEP_1)
	v_cndmask_b32_e32 v150, 0, v160, vcc_lo
	v_add_f64 v[160:161], v[150:151], 1.0
	s_delay_alu instid0(VALU_DEP_1) | instskip(SKIP_2) | instid1(VALU_DEP_3)
	v_frexp_mant_f64_e32 v[162:163], v[160:161]
	v_frexp_exp_i32_f64_e32 v166, v[160:161]
	v_add_f64 v[164:165], v[160:161], -1.0
	v_cmp_gt_f64_e32 vcc_lo, s[52:53], v[162:163]
	s_delay_alu instid0(VALU_DEP_2) | instskip(SKIP_2) | instid1(VALU_DEP_3)
	v_add_f64 v[162:163], v[164:165], -v[160:161]
	v_add_f64 v[164:165], v[150:151], -v[164:165]
	v_subrev_co_ci_u32_e32 v247, vcc_lo, 0, v166, vcc_lo
	v_add_f64 v[162:163], v[162:163], 1.0
	v_cmp_eq_f64_e32 vcc_lo, 0x7ff00000, v[150:151]
	s_delay_alu instid0(VALU_DEP_3) | instskip(NEXT) | instid1(VALU_DEP_1)
	v_sub_nc_u32_e32 v176, 0, v247
	v_ldexp_f64 v[160:161], v[160:161], v176
	s_delay_alu instid0(VALU_DEP_4) | instskip(NEXT) | instid1(VALU_DEP_2)
	v_add_f64 v[162:163], v[164:165], v[162:163]
	v_add_f64 v[166:167], v[160:161], 1.0
	v_add_f64 v[243:244], v[160:161], -1.0
	s_delay_alu instid0(VALU_DEP_3) | instskip(NEXT) | instid1(VALU_DEP_3)
	v_ldexp_f64 v[162:163], v[162:163], v176
	v_add_f64 v[164:165], v[166:167], -1.0
	s_delay_alu instid0(VALU_DEP_3) | instskip(NEXT) | instid1(VALU_DEP_2)
	v_add_f64 v[245:246], v[243:244], 1.0
	v_add_f64 v[164:165], v[160:161], -v[164:165]
	s_delay_alu instid0(VALU_DEP_2) | instskip(NEXT) | instid1(VALU_DEP_2)
	v_add_f64 v[160:161], v[160:161], -v[245:246]
	v_add_f64 v[164:165], v[162:163], v[164:165]
	s_delay_alu instid0(VALU_DEP_2) | instskip(NEXT) | instid1(VALU_DEP_2)
	v_add_f64 v[160:161], v[162:163], v[160:161]
	v_add_f64 v[176:177], v[166:167], v[164:165]
	s_delay_alu instid0(VALU_DEP_2) | instskip(NEXT) | instid1(VALU_DEP_2)
	v_add_f64 v[245:246], v[243:244], v[160:161]
	v_rcp_f64_e32 v[241:242], v[176:177]
	v_add_f64 v[166:167], v[176:177], -v[166:167]
	s_delay_alu instid0(VALU_DEP_2) | instskip(NEXT) | instid1(VALU_DEP_2)
	v_add_f64 v[243:244], v[245:246], -v[243:244]
	v_add_f64 v[164:165], v[164:165], -v[166:167]
	s_waitcnt_depctr 0xfff
	v_fma_f64 v[40:41], -v[176:177], v[241:242], 1.0
	v_add_f64 v[160:161], v[160:161], -v[243:244]
	s_delay_alu instid0(VALU_DEP_2) | instskip(NEXT) | instid1(VALU_DEP_1)
	v_fma_f64 v[241:242], v[40:41], v[241:242], v[241:242]
	v_fma_f64 v[162:163], -v[176:177], v[241:242], 1.0
	s_delay_alu instid0(VALU_DEP_1) | instskip(NEXT) | instid1(VALU_DEP_1)
	v_fma_f64 v[162:163], v[162:163], v[241:242], v[241:242]
	v_mul_f64 v[241:242], v[245:246], v[162:163]
	s_delay_alu instid0(VALU_DEP_1) | instskip(NEXT) | instid1(VALU_DEP_1)
	v_mul_f64 v[40:41], v[176:177], v[241:242]
	v_fma_f64 v[166:167], v[241:242], v[176:177], -v[40:41]
	s_delay_alu instid0(VALU_DEP_1) | instskip(NEXT) | instid1(VALU_DEP_1)
	v_fma_f64 v[166:167], v[241:242], v[164:165], v[166:167]
	v_add_f64 v[42:43], v[40:41], v[166:167]
	s_delay_alu instid0(VALU_DEP_1) | instskip(SKIP_1) | instid1(VALU_DEP_2)
	v_add_f64 v[44:45], v[245:246], -v[42:43]
	v_add_f64 v[243:244], v[42:43], -v[40:41]
	;; [unrolled: 1-line block ×3, first 2 shown]
	s_delay_alu instid0(VALU_DEP_2) | instskip(NEXT) | instid1(VALU_DEP_2)
	v_add_f64 v[166:167], v[243:244], -v[166:167]
	v_add_f64 v[245:246], v[245:246], -v[42:43]
	s_delay_alu instid0(VALU_DEP_1) | instskip(NEXT) | instid1(VALU_DEP_1)
	v_add_f64 v[160:161], v[160:161], v[245:246]
	v_add_f64 v[160:161], v[166:167], v[160:161]
	s_delay_alu instid0(VALU_DEP_1) | instskip(NEXT) | instid1(VALU_DEP_1)
	v_add_f64 v[166:167], v[44:45], v[160:161]
	v_mul_f64 v[243:244], v[162:163], v[166:167]
	v_add_f64 v[42:43], v[44:45], -v[166:167]
	s_delay_alu instid0(VALU_DEP_2) | instskip(NEXT) | instid1(VALU_DEP_2)
	v_mul_f64 v[245:246], v[176:177], v[243:244]
	v_add_f64 v[160:161], v[160:161], v[42:43]
	s_delay_alu instid0(VALU_DEP_2) | instskip(NEXT) | instid1(VALU_DEP_1)
	v_fma_f64 v[176:177], v[243:244], v[176:177], -v[245:246]
	v_fma_f64 v[164:165], v[243:244], v[164:165], v[176:177]
	s_delay_alu instid0(VALU_DEP_1) | instskip(NEXT) | instid1(VALU_DEP_1)
	v_add_f64 v[176:177], v[245:246], v[164:165]
	v_add_f64 v[40:41], v[166:167], -v[176:177]
	v_add_f64 v[245:246], v[176:177], -v[245:246]
	s_delay_alu instid0(VALU_DEP_2) | instskip(NEXT) | instid1(VALU_DEP_2)
	v_add_f64 v[166:167], v[166:167], -v[40:41]
	v_add_f64 v[164:165], v[245:246], -v[164:165]
	s_delay_alu instid0(VALU_DEP_2) | instskip(NEXT) | instid1(VALU_DEP_1)
	v_add_f64 v[166:167], v[166:167], -v[176:177]
	v_add_f64 v[160:161], v[160:161], v[166:167]
	v_add_f64 v[166:167], v[241:242], v[243:244]
	s_delay_alu instid0(VALU_DEP_2) | instskip(NEXT) | instid1(VALU_DEP_2)
	v_add_f64 v[160:161], v[164:165], v[160:161]
	v_add_f64 v[164:165], v[166:167], -v[241:242]
	s_delay_alu instid0(VALU_DEP_2) | instskip(NEXT) | instid1(VALU_DEP_2)
	v_add_f64 v[160:161], v[40:41], v[160:161]
	v_add_f64 v[164:165], v[243:244], -v[164:165]
	s_delay_alu instid0(VALU_DEP_2) | instskip(NEXT) | instid1(VALU_DEP_1)
	v_mul_f64 v[160:161], v[162:163], v[160:161]
	v_add_f64 v[160:161], v[164:165], v[160:161]
	s_delay_alu instid0(VALU_DEP_1) | instskip(NEXT) | instid1(VALU_DEP_1)
	v_add_f64 v[162:163], v[166:167], v[160:161]
	v_mul_f64 v[164:165], v[162:163], v[162:163]
	s_delay_alu instid0(VALU_DEP_1) | instskip(SKIP_1) | instid1(VALU_DEP_2)
	v_fma_f64 v[176:177], v[164:165], s[56:57], s[54:55]
	v_mul_f64 v[241:242], v[162:163], v[164:165]
	v_fma_f64 v[176:177], v[164:165], v[176:177], s[58:59]
	s_delay_alu instid0(VALU_DEP_1) | instskip(NEXT) | instid1(VALU_DEP_1)
	v_fma_f64 v[176:177], v[164:165], v[176:177], s[60:61]
	v_fma_f64 v[176:177], v[164:165], v[176:177], s[62:63]
	s_delay_alu instid0(VALU_DEP_1) | instskip(NEXT) | instid1(VALU_DEP_1)
	v_fma_f64 v[176:177], v[164:165], v[176:177], s[64:65]
	v_fma_f64 v[164:165], v[164:165], v[176:177], s[66:67]
	v_ldexp_f64 v[176:177], v[162:163], 1
	v_add_f64 v[162:163], v[162:163], -v[166:167]
	s_delay_alu instid0(VALU_DEP_3) | instskip(SKIP_1) | instid1(VALU_DEP_3)
	v_mul_f64 v[164:165], v[241:242], v[164:165]
	v_cvt_f64_i32_e32 v[241:242], v247
	v_add_f64 v[160:161], v[160:161], -v[162:163]
	s_delay_alu instid0(VALU_DEP_3) | instskip(NEXT) | instid1(VALU_DEP_3)
	v_add_f64 v[166:167], v[176:177], v[164:165]
	v_mul_f64 v[243:244], v[241:242], s[68:69]
	s_delay_alu instid0(VALU_DEP_3) | instskip(NEXT) | instid1(VALU_DEP_3)
	v_ldexp_f64 v[160:161], v[160:161], 1
	v_add_f64 v[162:163], v[166:167], -v[176:177]
	s_delay_alu instid0(VALU_DEP_3) | instskip(NEXT) | instid1(VALU_DEP_2)
	v_fma_f64 v[176:177], v[241:242], s[68:69], -v[243:244]
	v_add_f64 v[162:163], v[164:165], -v[162:163]
	s_delay_alu instid0(VALU_DEP_2) | instskip(NEXT) | instid1(VALU_DEP_2)
	v_fma_f64 v[164:165], v[241:242], s[70:71], v[176:177]
	v_add_f64 v[160:161], v[160:161], v[162:163]
	s_delay_alu instid0(VALU_DEP_2) | instskip(NEXT) | instid1(VALU_DEP_2)
	v_add_f64 v[162:163], v[243:244], v[164:165]
	v_add_f64 v[176:177], v[166:167], v[160:161]
	s_delay_alu instid0(VALU_DEP_2) | instskip(NEXT) | instid1(VALU_DEP_2)
	v_add_f64 v[243:244], v[162:163], -v[243:244]
	v_add_f64 v[241:242], v[162:163], v[176:177]
	v_add_f64 v[166:167], v[176:177], -v[166:167]
	s_delay_alu instid0(VALU_DEP_3) | instskip(NEXT) | instid1(VALU_DEP_3)
	v_add_f64 v[164:165], v[164:165], -v[243:244]
	v_add_f64 v[245:246], v[241:242], -v[162:163]
	s_delay_alu instid0(VALU_DEP_3) | instskip(NEXT) | instid1(VALU_DEP_2)
	v_add_f64 v[160:161], v[160:161], -v[166:167]
	v_add_f64 v[40:41], v[241:242], -v[245:246]
	;; [unrolled: 1-line block ×3, first 2 shown]
	s_delay_alu instid0(VALU_DEP_3) | instskip(NEXT) | instid1(VALU_DEP_3)
	v_add_f64 v[176:177], v[164:165], v[160:161]
	v_add_f64 v[162:163], v[162:163], -v[40:41]
	s_delay_alu instid0(VALU_DEP_1) | instskip(NEXT) | instid1(VALU_DEP_3)
	v_add_f64 v[162:163], v[166:167], v[162:163]
	v_add_f64 v[166:167], v[176:177], -v[164:165]
	s_delay_alu instid0(VALU_DEP_2) | instskip(NEXT) | instid1(VALU_DEP_2)
	v_add_f64 v[162:163], v[176:177], v[162:163]
	v_add_f64 v[176:177], v[176:177], -v[166:167]
	v_add_f64 v[160:161], v[160:161], -v[166:167]
	s_delay_alu instid0(VALU_DEP_3) | instskip(NEXT) | instid1(VALU_DEP_3)
	v_add_f64 v[243:244], v[241:242], v[162:163]
	v_add_f64 v[164:165], v[164:165], -v[176:177]
	s_delay_alu instid0(VALU_DEP_2) | instskip(NEXT) | instid1(VALU_DEP_2)
	v_add_f64 v[166:167], v[243:244], -v[241:242]
	v_add_f64 v[160:161], v[160:161], v[164:165]
	s_delay_alu instid0(VALU_DEP_2) | instskip(NEXT) | instid1(VALU_DEP_1)
	v_add_f64 v[162:163], v[162:163], -v[166:167]
	v_add_f64 v[160:161], v[160:161], v[162:163]
	s_delay_alu instid0(VALU_DEP_1) | instskip(NEXT) | instid1(VALU_DEP_1)
	v_add_f64 v[160:161], v[243:244], v[160:161]
	v_dual_cndmask_b32 v161, v161, v151 :: v_dual_cndmask_b32 v160, v160, v150
	v_cmp_ngt_f64_e32 vcc_lo, -1.0, v[150:151]
	s_delay_alu instid0(VALU_DEP_2) | instskip(SKIP_1) | instid1(VALU_DEP_4)
	v_cndmask_b32_e32 v161, 0x7ff80000, v161, vcc_lo
	v_cmp_nge_f64_e32 vcc_lo, -1.0, v[150:151]
	v_cndmask_b32_e32 v160, 0, v160, vcc_lo
	v_cmp_neq_f64_e32 vcc_lo, -1.0, v[150:151]
	s_delay_alu instid0(VALU_DEP_4) | instskip(NEXT) | instid1(VALU_DEP_1)
	v_cndmask_b32_e32 v161, 0xfff00000, v161, vcc_lo
	v_add_f64 v[150:151], v[6:7], v[160:161]
.LBB36_191:                             ;   in Loop: Header=BB36_164 Depth=1
	s_or_b32 exec_lo, exec_lo, s22
	s_delay_alu instid0(VALU_DEP_1)
	v_dual_mov_b32 v160, v150 :: v_dual_mov_b32 v161, v151
	v_dual_mov_b32 v6, v150 :: v_dual_mov_b32 v7, v151
.LBB36_192:                             ;   in Loop: Header=BB36_164 Depth=1
	s_or_b32 exec_lo, exec_lo, s21
	s_waitcnt lgkmcnt(1)
	ds_bpermute_b32 v150, v225, v160
	s_waitcnt lgkmcnt(1)
	ds_bpermute_b32 v151, v225, v161
	s_mov_b32 s21, exec_lo
	v_cmpx_le_u32_e64 v226, v9
	s_cbranch_execz .LBB36_196
; %bb.193:                              ;   in Loop: Header=BB36_164 Depth=1
	s_waitcnt lgkmcnt(0)
	v_max_f64 v[160:161], v[150:151], v[150:151]
	v_max_f64 v[162:163], v[6:7], v[6:7]
	v_cmp_u_f64_e32 vcc_lo, v[150:151], v[150:151]
	v_cmp_u_f64_e64 s20, v[6:7], v[6:7]
	s_delay_alu instid0(VALU_DEP_3) | instskip(SKIP_1) | instid1(VALU_DEP_2)
	v_min_f64 v[164:165], v[160:161], v[162:163]
	v_max_f64 v[160:161], v[160:161], v[162:163]
	v_dual_cndmask_b32 v162, v164, v150 :: v_dual_cndmask_b32 v163, v165, v151
	s_delay_alu instid0(VALU_DEP_2) | instskip(NEXT) | instid1(VALU_DEP_2)
	v_dual_cndmask_b32 v164, v161, v151 :: v_dual_cndmask_b32 v165, v160, v150
	v_cndmask_b32_e64 v160, v162, v6, s20
	s_delay_alu instid0(VALU_DEP_3) | instskip(NEXT) | instid1(VALU_DEP_3)
	v_cndmask_b32_e64 v161, v163, v7, s20
	v_cndmask_b32_e64 v7, v164, v7, s20
	s_delay_alu instid0(VALU_DEP_4) | instskip(NEXT) | instid1(VALU_DEP_3)
	v_cndmask_b32_e64 v6, v165, v6, s20
	v_cmp_class_f64_e64 s20, v[160:161], 0x1f8
	s_delay_alu instid0(VALU_DEP_2) | instskip(NEXT) | instid1(VALU_DEP_2)
	v_cmp_neq_f64_e32 vcc_lo, v[160:161], v[6:7]
	s_or_b32 s20, vcc_lo, s20
	s_delay_alu instid0(SALU_CYCLE_1)
	s_and_saveexec_b32 s22, s20
	s_cbranch_execz .LBB36_195
; %bb.194:                              ;   in Loop: Header=BB36_164 Depth=1
	v_add_f64 v[150:151], v[160:161], -v[6:7]
	s_mov_b32 s67, s53
	s_mov_b32 s68, s26
	;; [unrolled: 1-line block ×3, first 2 shown]
	s_delay_alu instid0(VALU_DEP_1) | instskip(SKIP_2) | instid1(VALU_DEP_3)
	v_mul_f64 v[160:161], v[150:151], s[24:25]
	v_cmp_nlt_f64_e32 vcc_lo, 0x40900000, v[150:151]
	v_cmp_ngt_f64_e64 s20, 0xc090cc00, v[150:151]
	v_rndne_f64_e32 v[160:161], v[160:161]
	s_delay_alu instid0(VALU_DEP_1) | instskip(SKIP_1) | instid1(VALU_DEP_2)
	v_fma_f64 v[162:163], v[160:161], s[26:27], v[150:151]
	v_cvt_i32_f64_e32 v166, v[160:161]
	v_fma_f64 v[162:163], v[160:161], s[28:29], v[162:163]
	s_delay_alu instid0(VALU_DEP_1) | instskip(NEXT) | instid1(VALU_DEP_1)
	v_fma_f64 v[164:165], v[162:163], s[34:35], s[30:31]
	v_fma_f64 v[164:165], v[162:163], v[164:165], s[36:37]
	s_delay_alu instid0(VALU_DEP_1) | instskip(NEXT) | instid1(VALU_DEP_1)
	v_fma_f64 v[164:165], v[162:163], v[164:165], s[38:39]
	;; [unrolled: 3-line block ×5, first 2 shown]
	v_fma_f64 v[164:165], v[162:163], v[164:165], 1.0
	s_delay_alu instid0(VALU_DEP_1) | instskip(NEXT) | instid1(VALU_DEP_1)
	v_fma_f64 v[160:161], v[162:163], v[164:165], 1.0
	v_ldexp_f64 v[160:161], v[160:161], v166
	s_delay_alu instid0(VALU_DEP_1) | instskip(SKIP_1) | instid1(VALU_DEP_1)
	v_cndmask_b32_e32 v161, 0x7ff00000, v161, vcc_lo
	s_and_b32 vcc_lo, s20, vcc_lo
	v_cndmask_b32_e64 v151, 0, v161, s20
	s_delay_alu instid0(VALU_DEP_3) | instskip(NEXT) | instid1(VALU_DEP_1)
	v_cndmask_b32_e32 v150, 0, v160, vcc_lo
	v_add_f64 v[160:161], v[150:151], 1.0
	s_delay_alu instid0(VALU_DEP_1) | instskip(SKIP_2) | instid1(VALU_DEP_3)
	v_frexp_mant_f64_e32 v[162:163], v[160:161]
	v_frexp_exp_i32_f64_e32 v166, v[160:161]
	v_add_f64 v[164:165], v[160:161], -1.0
	v_cmp_gt_f64_e32 vcc_lo, s[52:53], v[162:163]
	s_delay_alu instid0(VALU_DEP_2) | instskip(SKIP_2) | instid1(VALU_DEP_3)
	v_add_f64 v[162:163], v[164:165], -v[160:161]
	v_add_f64 v[164:165], v[150:151], -v[164:165]
	v_subrev_co_ci_u32_e32 v247, vcc_lo, 0, v166, vcc_lo
	v_add_f64 v[162:163], v[162:163], 1.0
	v_cmp_eq_f64_e32 vcc_lo, 0x7ff00000, v[150:151]
	s_delay_alu instid0(VALU_DEP_3) | instskip(NEXT) | instid1(VALU_DEP_1)
	v_sub_nc_u32_e32 v176, 0, v247
	v_ldexp_f64 v[160:161], v[160:161], v176
	s_delay_alu instid0(VALU_DEP_4) | instskip(NEXT) | instid1(VALU_DEP_2)
	v_add_f64 v[162:163], v[164:165], v[162:163]
	v_add_f64 v[166:167], v[160:161], 1.0
	v_add_f64 v[243:244], v[160:161], -1.0
	s_delay_alu instid0(VALU_DEP_3) | instskip(NEXT) | instid1(VALU_DEP_3)
	v_ldexp_f64 v[162:163], v[162:163], v176
	v_add_f64 v[164:165], v[166:167], -1.0
	s_delay_alu instid0(VALU_DEP_3) | instskip(NEXT) | instid1(VALU_DEP_2)
	v_add_f64 v[245:246], v[243:244], 1.0
	v_add_f64 v[164:165], v[160:161], -v[164:165]
	s_delay_alu instid0(VALU_DEP_2) | instskip(NEXT) | instid1(VALU_DEP_2)
	v_add_f64 v[160:161], v[160:161], -v[245:246]
	v_add_f64 v[164:165], v[162:163], v[164:165]
	s_delay_alu instid0(VALU_DEP_2) | instskip(NEXT) | instid1(VALU_DEP_2)
	v_add_f64 v[160:161], v[162:163], v[160:161]
	v_add_f64 v[176:177], v[166:167], v[164:165]
	s_delay_alu instid0(VALU_DEP_2) | instskip(NEXT) | instid1(VALU_DEP_2)
	v_add_f64 v[245:246], v[243:244], v[160:161]
	v_rcp_f64_e32 v[241:242], v[176:177]
	v_add_f64 v[166:167], v[176:177], -v[166:167]
	s_delay_alu instid0(VALU_DEP_2) | instskip(NEXT) | instid1(VALU_DEP_2)
	v_add_f64 v[243:244], v[245:246], -v[243:244]
	v_add_f64 v[164:165], v[164:165], -v[166:167]
	s_waitcnt_depctr 0xfff
	v_fma_f64 v[40:41], -v[176:177], v[241:242], 1.0
	v_add_f64 v[160:161], v[160:161], -v[243:244]
	s_delay_alu instid0(VALU_DEP_2) | instskip(NEXT) | instid1(VALU_DEP_1)
	v_fma_f64 v[241:242], v[40:41], v[241:242], v[241:242]
	v_fma_f64 v[162:163], -v[176:177], v[241:242], 1.0
	s_delay_alu instid0(VALU_DEP_1) | instskip(NEXT) | instid1(VALU_DEP_1)
	v_fma_f64 v[162:163], v[162:163], v[241:242], v[241:242]
	v_mul_f64 v[241:242], v[245:246], v[162:163]
	s_delay_alu instid0(VALU_DEP_1) | instskip(NEXT) | instid1(VALU_DEP_1)
	v_mul_f64 v[40:41], v[176:177], v[241:242]
	v_fma_f64 v[166:167], v[241:242], v[176:177], -v[40:41]
	s_delay_alu instid0(VALU_DEP_1) | instskip(NEXT) | instid1(VALU_DEP_1)
	v_fma_f64 v[166:167], v[241:242], v[164:165], v[166:167]
	v_add_f64 v[42:43], v[40:41], v[166:167]
	s_delay_alu instid0(VALU_DEP_1) | instskip(SKIP_1) | instid1(VALU_DEP_2)
	v_add_f64 v[44:45], v[245:246], -v[42:43]
	v_add_f64 v[243:244], v[42:43], -v[40:41]
	;; [unrolled: 1-line block ×3, first 2 shown]
	s_delay_alu instid0(VALU_DEP_2) | instskip(NEXT) | instid1(VALU_DEP_2)
	v_add_f64 v[166:167], v[243:244], -v[166:167]
	v_add_f64 v[245:246], v[245:246], -v[42:43]
	s_delay_alu instid0(VALU_DEP_1) | instskip(NEXT) | instid1(VALU_DEP_1)
	v_add_f64 v[160:161], v[160:161], v[245:246]
	v_add_f64 v[160:161], v[166:167], v[160:161]
	s_delay_alu instid0(VALU_DEP_1) | instskip(NEXT) | instid1(VALU_DEP_1)
	v_add_f64 v[166:167], v[44:45], v[160:161]
	v_mul_f64 v[243:244], v[162:163], v[166:167]
	v_add_f64 v[42:43], v[44:45], -v[166:167]
	s_delay_alu instid0(VALU_DEP_2) | instskip(NEXT) | instid1(VALU_DEP_2)
	v_mul_f64 v[245:246], v[176:177], v[243:244]
	v_add_f64 v[160:161], v[160:161], v[42:43]
	s_delay_alu instid0(VALU_DEP_2) | instskip(NEXT) | instid1(VALU_DEP_1)
	v_fma_f64 v[176:177], v[243:244], v[176:177], -v[245:246]
	v_fma_f64 v[164:165], v[243:244], v[164:165], v[176:177]
	s_delay_alu instid0(VALU_DEP_1) | instskip(NEXT) | instid1(VALU_DEP_1)
	v_add_f64 v[176:177], v[245:246], v[164:165]
	v_add_f64 v[40:41], v[166:167], -v[176:177]
	v_add_f64 v[245:246], v[176:177], -v[245:246]
	s_delay_alu instid0(VALU_DEP_2) | instskip(NEXT) | instid1(VALU_DEP_2)
	v_add_f64 v[166:167], v[166:167], -v[40:41]
	v_add_f64 v[164:165], v[245:246], -v[164:165]
	s_delay_alu instid0(VALU_DEP_2) | instskip(NEXT) | instid1(VALU_DEP_1)
	v_add_f64 v[166:167], v[166:167], -v[176:177]
	v_add_f64 v[160:161], v[160:161], v[166:167]
	v_add_f64 v[166:167], v[241:242], v[243:244]
	s_delay_alu instid0(VALU_DEP_2) | instskip(NEXT) | instid1(VALU_DEP_2)
	v_add_f64 v[160:161], v[164:165], v[160:161]
	v_add_f64 v[164:165], v[166:167], -v[241:242]
	s_delay_alu instid0(VALU_DEP_2) | instskip(NEXT) | instid1(VALU_DEP_2)
	v_add_f64 v[160:161], v[40:41], v[160:161]
	v_add_f64 v[164:165], v[243:244], -v[164:165]
	s_delay_alu instid0(VALU_DEP_2) | instskip(NEXT) | instid1(VALU_DEP_1)
	v_mul_f64 v[160:161], v[162:163], v[160:161]
	v_add_f64 v[160:161], v[164:165], v[160:161]
	s_delay_alu instid0(VALU_DEP_1) | instskip(NEXT) | instid1(VALU_DEP_1)
	v_add_f64 v[162:163], v[166:167], v[160:161]
	v_mul_f64 v[164:165], v[162:163], v[162:163]
	s_delay_alu instid0(VALU_DEP_1) | instskip(SKIP_1) | instid1(VALU_DEP_2)
	v_fma_f64 v[176:177], v[164:165], s[56:57], s[54:55]
	v_mul_f64 v[241:242], v[162:163], v[164:165]
	v_fma_f64 v[176:177], v[164:165], v[176:177], s[58:59]
	s_delay_alu instid0(VALU_DEP_1) | instskip(NEXT) | instid1(VALU_DEP_1)
	v_fma_f64 v[176:177], v[164:165], v[176:177], s[60:61]
	v_fma_f64 v[176:177], v[164:165], v[176:177], s[62:63]
	s_delay_alu instid0(VALU_DEP_1) | instskip(NEXT) | instid1(VALU_DEP_1)
	v_fma_f64 v[176:177], v[164:165], v[176:177], s[64:65]
	v_fma_f64 v[164:165], v[164:165], v[176:177], s[66:67]
	v_ldexp_f64 v[176:177], v[162:163], 1
	v_add_f64 v[162:163], v[162:163], -v[166:167]
	s_delay_alu instid0(VALU_DEP_3) | instskip(SKIP_1) | instid1(VALU_DEP_3)
	v_mul_f64 v[164:165], v[241:242], v[164:165]
	v_cvt_f64_i32_e32 v[241:242], v247
	v_add_f64 v[160:161], v[160:161], -v[162:163]
	s_delay_alu instid0(VALU_DEP_3) | instskip(NEXT) | instid1(VALU_DEP_3)
	v_add_f64 v[166:167], v[176:177], v[164:165]
	v_mul_f64 v[243:244], v[241:242], s[68:69]
	s_delay_alu instid0(VALU_DEP_3) | instskip(NEXT) | instid1(VALU_DEP_3)
	v_ldexp_f64 v[160:161], v[160:161], 1
	v_add_f64 v[162:163], v[166:167], -v[176:177]
	s_delay_alu instid0(VALU_DEP_3) | instskip(NEXT) | instid1(VALU_DEP_2)
	v_fma_f64 v[176:177], v[241:242], s[68:69], -v[243:244]
	v_add_f64 v[162:163], v[164:165], -v[162:163]
	s_delay_alu instid0(VALU_DEP_2) | instskip(NEXT) | instid1(VALU_DEP_2)
	v_fma_f64 v[164:165], v[241:242], s[70:71], v[176:177]
	v_add_f64 v[160:161], v[160:161], v[162:163]
	s_delay_alu instid0(VALU_DEP_2) | instskip(NEXT) | instid1(VALU_DEP_2)
	v_add_f64 v[162:163], v[243:244], v[164:165]
	v_add_f64 v[176:177], v[166:167], v[160:161]
	s_delay_alu instid0(VALU_DEP_2) | instskip(NEXT) | instid1(VALU_DEP_2)
	v_add_f64 v[243:244], v[162:163], -v[243:244]
	v_add_f64 v[241:242], v[162:163], v[176:177]
	v_add_f64 v[166:167], v[176:177], -v[166:167]
	s_delay_alu instid0(VALU_DEP_3) | instskip(NEXT) | instid1(VALU_DEP_3)
	v_add_f64 v[164:165], v[164:165], -v[243:244]
	v_add_f64 v[245:246], v[241:242], -v[162:163]
	s_delay_alu instid0(VALU_DEP_3) | instskip(NEXT) | instid1(VALU_DEP_2)
	v_add_f64 v[160:161], v[160:161], -v[166:167]
	v_add_f64 v[40:41], v[241:242], -v[245:246]
	;; [unrolled: 1-line block ×3, first 2 shown]
	s_delay_alu instid0(VALU_DEP_3) | instskip(NEXT) | instid1(VALU_DEP_3)
	v_add_f64 v[176:177], v[164:165], v[160:161]
	v_add_f64 v[162:163], v[162:163], -v[40:41]
	s_delay_alu instid0(VALU_DEP_1) | instskip(NEXT) | instid1(VALU_DEP_3)
	v_add_f64 v[162:163], v[166:167], v[162:163]
	v_add_f64 v[166:167], v[176:177], -v[164:165]
	s_delay_alu instid0(VALU_DEP_2) | instskip(NEXT) | instid1(VALU_DEP_2)
	v_add_f64 v[162:163], v[176:177], v[162:163]
	v_add_f64 v[176:177], v[176:177], -v[166:167]
	v_add_f64 v[160:161], v[160:161], -v[166:167]
	s_delay_alu instid0(VALU_DEP_3) | instskip(NEXT) | instid1(VALU_DEP_3)
	v_add_f64 v[243:244], v[241:242], v[162:163]
	v_add_f64 v[164:165], v[164:165], -v[176:177]
	s_delay_alu instid0(VALU_DEP_2) | instskip(NEXT) | instid1(VALU_DEP_2)
	v_add_f64 v[166:167], v[243:244], -v[241:242]
	v_add_f64 v[160:161], v[160:161], v[164:165]
	s_delay_alu instid0(VALU_DEP_2) | instskip(NEXT) | instid1(VALU_DEP_1)
	v_add_f64 v[162:163], v[162:163], -v[166:167]
	v_add_f64 v[160:161], v[160:161], v[162:163]
	s_delay_alu instid0(VALU_DEP_1) | instskip(NEXT) | instid1(VALU_DEP_1)
	v_add_f64 v[160:161], v[243:244], v[160:161]
	v_dual_cndmask_b32 v161, v161, v151 :: v_dual_cndmask_b32 v160, v160, v150
	v_cmp_ngt_f64_e32 vcc_lo, -1.0, v[150:151]
	s_delay_alu instid0(VALU_DEP_2) | instskip(SKIP_1) | instid1(VALU_DEP_4)
	v_cndmask_b32_e32 v161, 0x7ff80000, v161, vcc_lo
	v_cmp_nge_f64_e32 vcc_lo, -1.0, v[150:151]
	v_cndmask_b32_e32 v160, 0, v160, vcc_lo
	v_cmp_neq_f64_e32 vcc_lo, -1.0, v[150:151]
	s_delay_alu instid0(VALU_DEP_4) | instskip(NEXT) | instid1(VALU_DEP_1)
	v_cndmask_b32_e32 v161, 0xfff00000, v161, vcc_lo
	v_add_f64 v[150:151], v[6:7], v[160:161]
.LBB36_195:                             ;   in Loop: Header=BB36_164 Depth=1
	s_or_b32 exec_lo, exec_lo, s22
	s_delay_alu instid0(VALU_DEP_1)
	v_dual_mov_b32 v160, v150 :: v_dual_mov_b32 v161, v151
	v_dual_mov_b32 v6, v150 :: v_dual_mov_b32 v7, v151
.LBB36_196:                             ;   in Loop: Header=BB36_164 Depth=1
	s_or_b32 exec_lo, exec_lo, s21
	s_waitcnt lgkmcnt(1)
	ds_bpermute_b32 v150, v227, v160
	s_waitcnt lgkmcnt(1)
	ds_bpermute_b32 v151, v227, v161
	s_mov_b32 s21, exec_lo
	v_cmpx_le_u32_e64 v228, v9
	s_cbranch_execz .LBB36_200
; %bb.197:                              ;   in Loop: Header=BB36_164 Depth=1
	s_waitcnt lgkmcnt(0)
	v_max_f64 v[160:161], v[150:151], v[150:151]
	v_max_f64 v[162:163], v[6:7], v[6:7]
	v_cmp_u_f64_e32 vcc_lo, v[150:151], v[150:151]
	v_cmp_u_f64_e64 s20, v[6:7], v[6:7]
	s_delay_alu instid0(VALU_DEP_3) | instskip(SKIP_1) | instid1(VALU_DEP_2)
	v_min_f64 v[164:165], v[160:161], v[162:163]
	v_max_f64 v[160:161], v[160:161], v[162:163]
	v_dual_cndmask_b32 v162, v164, v150 :: v_dual_cndmask_b32 v163, v165, v151
	s_delay_alu instid0(VALU_DEP_2) | instskip(NEXT) | instid1(VALU_DEP_2)
	v_dual_cndmask_b32 v164, v161, v151 :: v_dual_cndmask_b32 v165, v160, v150
	v_cndmask_b32_e64 v160, v162, v6, s20
	s_delay_alu instid0(VALU_DEP_3) | instskip(NEXT) | instid1(VALU_DEP_3)
	v_cndmask_b32_e64 v161, v163, v7, s20
	v_cndmask_b32_e64 v7, v164, v7, s20
	s_delay_alu instid0(VALU_DEP_4) | instskip(NEXT) | instid1(VALU_DEP_3)
	v_cndmask_b32_e64 v6, v165, v6, s20
	v_cmp_class_f64_e64 s20, v[160:161], 0x1f8
	s_delay_alu instid0(VALU_DEP_2) | instskip(NEXT) | instid1(VALU_DEP_2)
	v_cmp_neq_f64_e32 vcc_lo, v[160:161], v[6:7]
	s_or_b32 s20, vcc_lo, s20
	s_delay_alu instid0(SALU_CYCLE_1)
	s_and_saveexec_b32 s22, s20
	s_cbranch_execz .LBB36_199
; %bb.198:                              ;   in Loop: Header=BB36_164 Depth=1
	v_add_f64 v[150:151], v[160:161], -v[6:7]
	s_mov_b32 s67, s53
	s_mov_b32 s68, s26
	;; [unrolled: 1-line block ×3, first 2 shown]
	s_delay_alu instid0(VALU_DEP_1) | instskip(SKIP_2) | instid1(VALU_DEP_3)
	v_mul_f64 v[160:161], v[150:151], s[24:25]
	v_cmp_nlt_f64_e32 vcc_lo, 0x40900000, v[150:151]
	v_cmp_ngt_f64_e64 s20, 0xc090cc00, v[150:151]
	v_rndne_f64_e32 v[160:161], v[160:161]
	s_delay_alu instid0(VALU_DEP_1) | instskip(SKIP_1) | instid1(VALU_DEP_2)
	v_fma_f64 v[162:163], v[160:161], s[26:27], v[150:151]
	v_cvt_i32_f64_e32 v166, v[160:161]
	v_fma_f64 v[162:163], v[160:161], s[28:29], v[162:163]
	s_delay_alu instid0(VALU_DEP_1) | instskip(NEXT) | instid1(VALU_DEP_1)
	v_fma_f64 v[164:165], v[162:163], s[34:35], s[30:31]
	v_fma_f64 v[164:165], v[162:163], v[164:165], s[36:37]
	s_delay_alu instid0(VALU_DEP_1) | instskip(NEXT) | instid1(VALU_DEP_1)
	v_fma_f64 v[164:165], v[162:163], v[164:165], s[38:39]
	;; [unrolled: 3-line block ×5, first 2 shown]
	v_fma_f64 v[164:165], v[162:163], v[164:165], 1.0
	s_delay_alu instid0(VALU_DEP_1) | instskip(NEXT) | instid1(VALU_DEP_1)
	v_fma_f64 v[160:161], v[162:163], v[164:165], 1.0
	v_ldexp_f64 v[160:161], v[160:161], v166
	s_delay_alu instid0(VALU_DEP_1) | instskip(SKIP_1) | instid1(VALU_DEP_1)
	v_cndmask_b32_e32 v161, 0x7ff00000, v161, vcc_lo
	s_and_b32 vcc_lo, s20, vcc_lo
	v_cndmask_b32_e64 v151, 0, v161, s20
	s_delay_alu instid0(VALU_DEP_3) | instskip(NEXT) | instid1(VALU_DEP_1)
	v_cndmask_b32_e32 v150, 0, v160, vcc_lo
	v_add_f64 v[160:161], v[150:151], 1.0
	s_delay_alu instid0(VALU_DEP_1) | instskip(SKIP_2) | instid1(VALU_DEP_3)
	v_frexp_mant_f64_e32 v[162:163], v[160:161]
	v_frexp_exp_i32_f64_e32 v166, v[160:161]
	v_add_f64 v[164:165], v[160:161], -1.0
	v_cmp_gt_f64_e32 vcc_lo, s[52:53], v[162:163]
	s_delay_alu instid0(VALU_DEP_2) | instskip(SKIP_2) | instid1(VALU_DEP_3)
	v_add_f64 v[162:163], v[164:165], -v[160:161]
	v_add_f64 v[164:165], v[150:151], -v[164:165]
	v_subrev_co_ci_u32_e32 v247, vcc_lo, 0, v166, vcc_lo
	v_add_f64 v[162:163], v[162:163], 1.0
	v_cmp_eq_f64_e32 vcc_lo, 0x7ff00000, v[150:151]
	s_delay_alu instid0(VALU_DEP_3) | instskip(NEXT) | instid1(VALU_DEP_1)
	v_sub_nc_u32_e32 v176, 0, v247
	v_ldexp_f64 v[160:161], v[160:161], v176
	s_delay_alu instid0(VALU_DEP_4) | instskip(NEXT) | instid1(VALU_DEP_2)
	v_add_f64 v[162:163], v[164:165], v[162:163]
	v_add_f64 v[166:167], v[160:161], 1.0
	v_add_f64 v[243:244], v[160:161], -1.0
	s_delay_alu instid0(VALU_DEP_3) | instskip(NEXT) | instid1(VALU_DEP_3)
	v_ldexp_f64 v[162:163], v[162:163], v176
	v_add_f64 v[164:165], v[166:167], -1.0
	s_delay_alu instid0(VALU_DEP_3) | instskip(NEXT) | instid1(VALU_DEP_2)
	v_add_f64 v[245:246], v[243:244], 1.0
	v_add_f64 v[164:165], v[160:161], -v[164:165]
	s_delay_alu instid0(VALU_DEP_2) | instskip(NEXT) | instid1(VALU_DEP_2)
	v_add_f64 v[160:161], v[160:161], -v[245:246]
	v_add_f64 v[164:165], v[162:163], v[164:165]
	s_delay_alu instid0(VALU_DEP_2) | instskip(NEXT) | instid1(VALU_DEP_2)
	v_add_f64 v[160:161], v[162:163], v[160:161]
	v_add_f64 v[176:177], v[166:167], v[164:165]
	s_delay_alu instid0(VALU_DEP_2) | instskip(NEXT) | instid1(VALU_DEP_2)
	v_add_f64 v[245:246], v[243:244], v[160:161]
	v_rcp_f64_e32 v[241:242], v[176:177]
	v_add_f64 v[166:167], v[176:177], -v[166:167]
	s_delay_alu instid0(VALU_DEP_2) | instskip(NEXT) | instid1(VALU_DEP_2)
	v_add_f64 v[243:244], v[245:246], -v[243:244]
	v_add_f64 v[164:165], v[164:165], -v[166:167]
	s_waitcnt_depctr 0xfff
	v_fma_f64 v[40:41], -v[176:177], v[241:242], 1.0
	v_add_f64 v[160:161], v[160:161], -v[243:244]
	s_delay_alu instid0(VALU_DEP_2) | instskip(NEXT) | instid1(VALU_DEP_1)
	v_fma_f64 v[241:242], v[40:41], v[241:242], v[241:242]
	v_fma_f64 v[162:163], -v[176:177], v[241:242], 1.0
	s_delay_alu instid0(VALU_DEP_1) | instskip(NEXT) | instid1(VALU_DEP_1)
	v_fma_f64 v[162:163], v[162:163], v[241:242], v[241:242]
	v_mul_f64 v[241:242], v[245:246], v[162:163]
	s_delay_alu instid0(VALU_DEP_1) | instskip(NEXT) | instid1(VALU_DEP_1)
	v_mul_f64 v[40:41], v[176:177], v[241:242]
	v_fma_f64 v[166:167], v[241:242], v[176:177], -v[40:41]
	s_delay_alu instid0(VALU_DEP_1) | instskip(NEXT) | instid1(VALU_DEP_1)
	v_fma_f64 v[166:167], v[241:242], v[164:165], v[166:167]
	v_add_f64 v[42:43], v[40:41], v[166:167]
	s_delay_alu instid0(VALU_DEP_1) | instskip(SKIP_1) | instid1(VALU_DEP_2)
	v_add_f64 v[44:45], v[245:246], -v[42:43]
	v_add_f64 v[243:244], v[42:43], -v[40:41]
	v_add_f64 v[245:246], v[245:246], -v[44:45]
	s_delay_alu instid0(VALU_DEP_2) | instskip(NEXT) | instid1(VALU_DEP_2)
	v_add_f64 v[166:167], v[243:244], -v[166:167]
	v_add_f64 v[245:246], v[245:246], -v[42:43]
	s_delay_alu instid0(VALU_DEP_1) | instskip(NEXT) | instid1(VALU_DEP_1)
	v_add_f64 v[160:161], v[160:161], v[245:246]
	v_add_f64 v[160:161], v[166:167], v[160:161]
	s_delay_alu instid0(VALU_DEP_1) | instskip(NEXT) | instid1(VALU_DEP_1)
	v_add_f64 v[166:167], v[44:45], v[160:161]
	v_mul_f64 v[243:244], v[162:163], v[166:167]
	v_add_f64 v[42:43], v[44:45], -v[166:167]
	s_delay_alu instid0(VALU_DEP_2) | instskip(NEXT) | instid1(VALU_DEP_2)
	v_mul_f64 v[245:246], v[176:177], v[243:244]
	v_add_f64 v[160:161], v[160:161], v[42:43]
	s_delay_alu instid0(VALU_DEP_2) | instskip(NEXT) | instid1(VALU_DEP_1)
	v_fma_f64 v[176:177], v[243:244], v[176:177], -v[245:246]
	v_fma_f64 v[164:165], v[243:244], v[164:165], v[176:177]
	s_delay_alu instid0(VALU_DEP_1) | instskip(NEXT) | instid1(VALU_DEP_1)
	v_add_f64 v[176:177], v[245:246], v[164:165]
	v_add_f64 v[40:41], v[166:167], -v[176:177]
	v_add_f64 v[245:246], v[176:177], -v[245:246]
	s_delay_alu instid0(VALU_DEP_2) | instskip(NEXT) | instid1(VALU_DEP_2)
	v_add_f64 v[166:167], v[166:167], -v[40:41]
	v_add_f64 v[164:165], v[245:246], -v[164:165]
	s_delay_alu instid0(VALU_DEP_2) | instskip(NEXT) | instid1(VALU_DEP_1)
	v_add_f64 v[166:167], v[166:167], -v[176:177]
	v_add_f64 v[160:161], v[160:161], v[166:167]
	v_add_f64 v[166:167], v[241:242], v[243:244]
	s_delay_alu instid0(VALU_DEP_2) | instskip(NEXT) | instid1(VALU_DEP_2)
	v_add_f64 v[160:161], v[164:165], v[160:161]
	v_add_f64 v[164:165], v[166:167], -v[241:242]
	s_delay_alu instid0(VALU_DEP_2) | instskip(NEXT) | instid1(VALU_DEP_2)
	v_add_f64 v[160:161], v[40:41], v[160:161]
	v_add_f64 v[164:165], v[243:244], -v[164:165]
	s_delay_alu instid0(VALU_DEP_2) | instskip(NEXT) | instid1(VALU_DEP_1)
	v_mul_f64 v[160:161], v[162:163], v[160:161]
	v_add_f64 v[160:161], v[164:165], v[160:161]
	s_delay_alu instid0(VALU_DEP_1) | instskip(NEXT) | instid1(VALU_DEP_1)
	v_add_f64 v[162:163], v[166:167], v[160:161]
	v_mul_f64 v[164:165], v[162:163], v[162:163]
	s_delay_alu instid0(VALU_DEP_1) | instskip(SKIP_1) | instid1(VALU_DEP_2)
	v_fma_f64 v[176:177], v[164:165], s[56:57], s[54:55]
	v_mul_f64 v[241:242], v[162:163], v[164:165]
	v_fma_f64 v[176:177], v[164:165], v[176:177], s[58:59]
	s_delay_alu instid0(VALU_DEP_1) | instskip(NEXT) | instid1(VALU_DEP_1)
	v_fma_f64 v[176:177], v[164:165], v[176:177], s[60:61]
	v_fma_f64 v[176:177], v[164:165], v[176:177], s[62:63]
	s_delay_alu instid0(VALU_DEP_1) | instskip(NEXT) | instid1(VALU_DEP_1)
	v_fma_f64 v[176:177], v[164:165], v[176:177], s[64:65]
	v_fma_f64 v[164:165], v[164:165], v[176:177], s[66:67]
	v_ldexp_f64 v[176:177], v[162:163], 1
	v_add_f64 v[162:163], v[162:163], -v[166:167]
	s_delay_alu instid0(VALU_DEP_3) | instskip(SKIP_1) | instid1(VALU_DEP_3)
	v_mul_f64 v[164:165], v[241:242], v[164:165]
	v_cvt_f64_i32_e32 v[241:242], v247
	v_add_f64 v[160:161], v[160:161], -v[162:163]
	s_delay_alu instid0(VALU_DEP_3) | instskip(NEXT) | instid1(VALU_DEP_3)
	v_add_f64 v[166:167], v[176:177], v[164:165]
	v_mul_f64 v[243:244], v[241:242], s[68:69]
	s_delay_alu instid0(VALU_DEP_3) | instskip(NEXT) | instid1(VALU_DEP_3)
	v_ldexp_f64 v[160:161], v[160:161], 1
	v_add_f64 v[162:163], v[166:167], -v[176:177]
	s_delay_alu instid0(VALU_DEP_3) | instskip(NEXT) | instid1(VALU_DEP_2)
	v_fma_f64 v[176:177], v[241:242], s[68:69], -v[243:244]
	v_add_f64 v[162:163], v[164:165], -v[162:163]
	s_delay_alu instid0(VALU_DEP_2) | instskip(NEXT) | instid1(VALU_DEP_2)
	v_fma_f64 v[164:165], v[241:242], s[70:71], v[176:177]
	v_add_f64 v[160:161], v[160:161], v[162:163]
	s_delay_alu instid0(VALU_DEP_2) | instskip(NEXT) | instid1(VALU_DEP_2)
	v_add_f64 v[162:163], v[243:244], v[164:165]
	v_add_f64 v[176:177], v[166:167], v[160:161]
	s_delay_alu instid0(VALU_DEP_2) | instskip(NEXT) | instid1(VALU_DEP_2)
	v_add_f64 v[243:244], v[162:163], -v[243:244]
	v_add_f64 v[241:242], v[162:163], v[176:177]
	v_add_f64 v[166:167], v[176:177], -v[166:167]
	s_delay_alu instid0(VALU_DEP_3) | instskip(NEXT) | instid1(VALU_DEP_3)
	v_add_f64 v[164:165], v[164:165], -v[243:244]
	v_add_f64 v[245:246], v[241:242], -v[162:163]
	s_delay_alu instid0(VALU_DEP_3) | instskip(NEXT) | instid1(VALU_DEP_2)
	v_add_f64 v[160:161], v[160:161], -v[166:167]
	v_add_f64 v[40:41], v[241:242], -v[245:246]
	;; [unrolled: 1-line block ×3, first 2 shown]
	s_delay_alu instid0(VALU_DEP_3) | instskip(NEXT) | instid1(VALU_DEP_3)
	v_add_f64 v[176:177], v[164:165], v[160:161]
	v_add_f64 v[162:163], v[162:163], -v[40:41]
	s_delay_alu instid0(VALU_DEP_1) | instskip(NEXT) | instid1(VALU_DEP_3)
	v_add_f64 v[162:163], v[166:167], v[162:163]
	v_add_f64 v[166:167], v[176:177], -v[164:165]
	s_delay_alu instid0(VALU_DEP_2) | instskip(NEXT) | instid1(VALU_DEP_2)
	v_add_f64 v[162:163], v[176:177], v[162:163]
	v_add_f64 v[176:177], v[176:177], -v[166:167]
	v_add_f64 v[160:161], v[160:161], -v[166:167]
	s_delay_alu instid0(VALU_DEP_3) | instskip(NEXT) | instid1(VALU_DEP_3)
	v_add_f64 v[243:244], v[241:242], v[162:163]
	v_add_f64 v[164:165], v[164:165], -v[176:177]
	s_delay_alu instid0(VALU_DEP_2) | instskip(NEXT) | instid1(VALU_DEP_2)
	v_add_f64 v[166:167], v[243:244], -v[241:242]
	v_add_f64 v[160:161], v[160:161], v[164:165]
	s_delay_alu instid0(VALU_DEP_2) | instskip(NEXT) | instid1(VALU_DEP_1)
	v_add_f64 v[162:163], v[162:163], -v[166:167]
	v_add_f64 v[160:161], v[160:161], v[162:163]
	s_delay_alu instid0(VALU_DEP_1) | instskip(NEXT) | instid1(VALU_DEP_1)
	v_add_f64 v[160:161], v[243:244], v[160:161]
	v_dual_cndmask_b32 v161, v161, v151 :: v_dual_cndmask_b32 v160, v160, v150
	v_cmp_ngt_f64_e32 vcc_lo, -1.0, v[150:151]
	s_delay_alu instid0(VALU_DEP_2) | instskip(SKIP_1) | instid1(VALU_DEP_4)
	v_cndmask_b32_e32 v161, 0x7ff80000, v161, vcc_lo
	v_cmp_nge_f64_e32 vcc_lo, -1.0, v[150:151]
	v_cndmask_b32_e32 v160, 0, v160, vcc_lo
	v_cmp_neq_f64_e32 vcc_lo, -1.0, v[150:151]
	s_delay_alu instid0(VALU_DEP_4) | instskip(NEXT) | instid1(VALU_DEP_1)
	v_cndmask_b32_e32 v161, 0xfff00000, v161, vcc_lo
	v_add_f64 v[150:151], v[6:7], v[160:161]
.LBB36_199:                             ;   in Loop: Header=BB36_164 Depth=1
	s_or_b32 exec_lo, exec_lo, s22
	s_delay_alu instid0(VALU_DEP_1)
	v_dual_mov_b32 v160, v150 :: v_dual_mov_b32 v161, v151
	v_dual_mov_b32 v6, v150 :: v_dual_mov_b32 v7, v151
.LBB36_200:                             ;   in Loop: Header=BB36_164 Depth=1
	s_or_b32 exec_lo, exec_lo, s21
	s_waitcnt lgkmcnt(1)
	ds_bpermute_b32 v150, v229, v160
	s_waitcnt lgkmcnt(1)
	ds_bpermute_b32 v151, v229, v161
	s_mov_b32 s21, exec_lo
	v_cmpx_le_u32_e64 v230, v9
	s_cbranch_execz .LBB36_204
; %bb.201:                              ;   in Loop: Header=BB36_164 Depth=1
	s_waitcnt lgkmcnt(0)
	v_max_f64 v[160:161], v[150:151], v[150:151]
	v_max_f64 v[162:163], v[6:7], v[6:7]
	v_cmp_u_f64_e32 vcc_lo, v[150:151], v[150:151]
	v_cmp_u_f64_e64 s20, v[6:7], v[6:7]
	s_delay_alu instid0(VALU_DEP_3) | instskip(SKIP_1) | instid1(VALU_DEP_2)
	v_min_f64 v[164:165], v[160:161], v[162:163]
	v_max_f64 v[160:161], v[160:161], v[162:163]
	v_dual_cndmask_b32 v162, v164, v150 :: v_dual_cndmask_b32 v163, v165, v151
	s_delay_alu instid0(VALU_DEP_2) | instskip(NEXT) | instid1(VALU_DEP_2)
	v_dual_cndmask_b32 v164, v161, v151 :: v_dual_cndmask_b32 v165, v160, v150
	v_cndmask_b32_e64 v160, v162, v6, s20
	s_delay_alu instid0(VALU_DEP_3) | instskip(NEXT) | instid1(VALU_DEP_3)
	v_cndmask_b32_e64 v161, v163, v7, s20
	v_cndmask_b32_e64 v7, v164, v7, s20
	s_delay_alu instid0(VALU_DEP_4) | instskip(NEXT) | instid1(VALU_DEP_3)
	v_cndmask_b32_e64 v6, v165, v6, s20
	v_cmp_class_f64_e64 s20, v[160:161], 0x1f8
	s_delay_alu instid0(VALU_DEP_2) | instskip(NEXT) | instid1(VALU_DEP_2)
	v_cmp_neq_f64_e32 vcc_lo, v[160:161], v[6:7]
	s_or_b32 s20, vcc_lo, s20
	s_delay_alu instid0(SALU_CYCLE_1)
	s_and_saveexec_b32 s22, s20
	s_cbranch_execz .LBB36_203
; %bb.202:                              ;   in Loop: Header=BB36_164 Depth=1
	v_add_f64 v[150:151], v[160:161], -v[6:7]
	s_mov_b32 s67, s53
	s_mov_b32 s68, s26
	;; [unrolled: 1-line block ×3, first 2 shown]
	s_delay_alu instid0(VALU_DEP_1) | instskip(SKIP_2) | instid1(VALU_DEP_3)
	v_mul_f64 v[160:161], v[150:151], s[24:25]
	v_cmp_nlt_f64_e32 vcc_lo, 0x40900000, v[150:151]
	v_cmp_ngt_f64_e64 s20, 0xc090cc00, v[150:151]
	v_rndne_f64_e32 v[160:161], v[160:161]
	s_delay_alu instid0(VALU_DEP_1) | instskip(SKIP_1) | instid1(VALU_DEP_2)
	v_fma_f64 v[162:163], v[160:161], s[26:27], v[150:151]
	v_cvt_i32_f64_e32 v166, v[160:161]
	v_fma_f64 v[162:163], v[160:161], s[28:29], v[162:163]
	s_delay_alu instid0(VALU_DEP_1) | instskip(NEXT) | instid1(VALU_DEP_1)
	v_fma_f64 v[164:165], v[162:163], s[34:35], s[30:31]
	v_fma_f64 v[164:165], v[162:163], v[164:165], s[36:37]
	s_delay_alu instid0(VALU_DEP_1) | instskip(NEXT) | instid1(VALU_DEP_1)
	v_fma_f64 v[164:165], v[162:163], v[164:165], s[38:39]
	;; [unrolled: 3-line block ×5, first 2 shown]
	v_fma_f64 v[164:165], v[162:163], v[164:165], 1.0
	s_delay_alu instid0(VALU_DEP_1) | instskip(NEXT) | instid1(VALU_DEP_1)
	v_fma_f64 v[160:161], v[162:163], v[164:165], 1.0
	v_ldexp_f64 v[160:161], v[160:161], v166
	s_delay_alu instid0(VALU_DEP_1) | instskip(SKIP_1) | instid1(VALU_DEP_1)
	v_cndmask_b32_e32 v161, 0x7ff00000, v161, vcc_lo
	s_and_b32 vcc_lo, s20, vcc_lo
	v_cndmask_b32_e64 v151, 0, v161, s20
	s_delay_alu instid0(VALU_DEP_3) | instskip(NEXT) | instid1(VALU_DEP_1)
	v_cndmask_b32_e32 v150, 0, v160, vcc_lo
	v_add_f64 v[160:161], v[150:151], 1.0
	s_delay_alu instid0(VALU_DEP_1) | instskip(SKIP_2) | instid1(VALU_DEP_3)
	v_frexp_mant_f64_e32 v[162:163], v[160:161]
	v_frexp_exp_i32_f64_e32 v166, v[160:161]
	v_add_f64 v[164:165], v[160:161], -1.0
	v_cmp_gt_f64_e32 vcc_lo, s[52:53], v[162:163]
	s_delay_alu instid0(VALU_DEP_2) | instskip(SKIP_2) | instid1(VALU_DEP_3)
	v_add_f64 v[162:163], v[164:165], -v[160:161]
	v_add_f64 v[164:165], v[150:151], -v[164:165]
	v_subrev_co_ci_u32_e32 v247, vcc_lo, 0, v166, vcc_lo
	v_add_f64 v[162:163], v[162:163], 1.0
	v_cmp_eq_f64_e32 vcc_lo, 0x7ff00000, v[150:151]
	s_delay_alu instid0(VALU_DEP_3) | instskip(NEXT) | instid1(VALU_DEP_1)
	v_sub_nc_u32_e32 v176, 0, v247
	v_ldexp_f64 v[160:161], v[160:161], v176
	s_delay_alu instid0(VALU_DEP_4) | instskip(NEXT) | instid1(VALU_DEP_2)
	v_add_f64 v[162:163], v[164:165], v[162:163]
	v_add_f64 v[166:167], v[160:161], 1.0
	v_add_f64 v[243:244], v[160:161], -1.0
	s_delay_alu instid0(VALU_DEP_3) | instskip(NEXT) | instid1(VALU_DEP_3)
	v_ldexp_f64 v[162:163], v[162:163], v176
	v_add_f64 v[164:165], v[166:167], -1.0
	s_delay_alu instid0(VALU_DEP_3) | instskip(NEXT) | instid1(VALU_DEP_2)
	v_add_f64 v[245:246], v[243:244], 1.0
	v_add_f64 v[164:165], v[160:161], -v[164:165]
	s_delay_alu instid0(VALU_DEP_2) | instskip(NEXT) | instid1(VALU_DEP_2)
	v_add_f64 v[160:161], v[160:161], -v[245:246]
	v_add_f64 v[164:165], v[162:163], v[164:165]
	s_delay_alu instid0(VALU_DEP_2) | instskip(NEXT) | instid1(VALU_DEP_2)
	v_add_f64 v[160:161], v[162:163], v[160:161]
	v_add_f64 v[176:177], v[166:167], v[164:165]
	s_delay_alu instid0(VALU_DEP_2) | instskip(NEXT) | instid1(VALU_DEP_2)
	v_add_f64 v[245:246], v[243:244], v[160:161]
	v_rcp_f64_e32 v[241:242], v[176:177]
	v_add_f64 v[166:167], v[176:177], -v[166:167]
	s_delay_alu instid0(VALU_DEP_2) | instskip(NEXT) | instid1(VALU_DEP_2)
	v_add_f64 v[243:244], v[245:246], -v[243:244]
	v_add_f64 v[164:165], v[164:165], -v[166:167]
	s_waitcnt_depctr 0xfff
	v_fma_f64 v[40:41], -v[176:177], v[241:242], 1.0
	v_add_f64 v[160:161], v[160:161], -v[243:244]
	s_delay_alu instid0(VALU_DEP_2) | instskip(NEXT) | instid1(VALU_DEP_1)
	v_fma_f64 v[241:242], v[40:41], v[241:242], v[241:242]
	v_fma_f64 v[162:163], -v[176:177], v[241:242], 1.0
	s_delay_alu instid0(VALU_DEP_1) | instskip(NEXT) | instid1(VALU_DEP_1)
	v_fma_f64 v[162:163], v[162:163], v[241:242], v[241:242]
	v_mul_f64 v[241:242], v[245:246], v[162:163]
	s_delay_alu instid0(VALU_DEP_1) | instskip(NEXT) | instid1(VALU_DEP_1)
	v_mul_f64 v[40:41], v[176:177], v[241:242]
	v_fma_f64 v[166:167], v[241:242], v[176:177], -v[40:41]
	s_delay_alu instid0(VALU_DEP_1) | instskip(NEXT) | instid1(VALU_DEP_1)
	v_fma_f64 v[166:167], v[241:242], v[164:165], v[166:167]
	v_add_f64 v[42:43], v[40:41], v[166:167]
	s_delay_alu instid0(VALU_DEP_1) | instskip(SKIP_1) | instid1(VALU_DEP_2)
	v_add_f64 v[44:45], v[245:246], -v[42:43]
	v_add_f64 v[243:244], v[42:43], -v[40:41]
	;; [unrolled: 1-line block ×3, first 2 shown]
	s_delay_alu instid0(VALU_DEP_2) | instskip(NEXT) | instid1(VALU_DEP_2)
	v_add_f64 v[166:167], v[243:244], -v[166:167]
	v_add_f64 v[245:246], v[245:246], -v[42:43]
	s_delay_alu instid0(VALU_DEP_1) | instskip(NEXT) | instid1(VALU_DEP_1)
	v_add_f64 v[160:161], v[160:161], v[245:246]
	v_add_f64 v[160:161], v[166:167], v[160:161]
	s_delay_alu instid0(VALU_DEP_1) | instskip(NEXT) | instid1(VALU_DEP_1)
	v_add_f64 v[166:167], v[44:45], v[160:161]
	v_mul_f64 v[243:244], v[162:163], v[166:167]
	v_add_f64 v[42:43], v[44:45], -v[166:167]
	s_delay_alu instid0(VALU_DEP_2) | instskip(NEXT) | instid1(VALU_DEP_2)
	v_mul_f64 v[245:246], v[176:177], v[243:244]
	v_add_f64 v[160:161], v[160:161], v[42:43]
	s_delay_alu instid0(VALU_DEP_2) | instskip(NEXT) | instid1(VALU_DEP_1)
	v_fma_f64 v[176:177], v[243:244], v[176:177], -v[245:246]
	v_fma_f64 v[164:165], v[243:244], v[164:165], v[176:177]
	s_delay_alu instid0(VALU_DEP_1) | instskip(NEXT) | instid1(VALU_DEP_1)
	v_add_f64 v[176:177], v[245:246], v[164:165]
	v_add_f64 v[40:41], v[166:167], -v[176:177]
	v_add_f64 v[245:246], v[176:177], -v[245:246]
	s_delay_alu instid0(VALU_DEP_2) | instskip(NEXT) | instid1(VALU_DEP_2)
	v_add_f64 v[166:167], v[166:167], -v[40:41]
	v_add_f64 v[164:165], v[245:246], -v[164:165]
	s_delay_alu instid0(VALU_DEP_2) | instskip(NEXT) | instid1(VALU_DEP_1)
	v_add_f64 v[166:167], v[166:167], -v[176:177]
	v_add_f64 v[160:161], v[160:161], v[166:167]
	v_add_f64 v[166:167], v[241:242], v[243:244]
	s_delay_alu instid0(VALU_DEP_2) | instskip(NEXT) | instid1(VALU_DEP_2)
	v_add_f64 v[160:161], v[164:165], v[160:161]
	v_add_f64 v[164:165], v[166:167], -v[241:242]
	s_delay_alu instid0(VALU_DEP_2) | instskip(NEXT) | instid1(VALU_DEP_2)
	v_add_f64 v[160:161], v[40:41], v[160:161]
	v_add_f64 v[164:165], v[243:244], -v[164:165]
	s_delay_alu instid0(VALU_DEP_2) | instskip(NEXT) | instid1(VALU_DEP_1)
	v_mul_f64 v[160:161], v[162:163], v[160:161]
	v_add_f64 v[160:161], v[164:165], v[160:161]
	s_delay_alu instid0(VALU_DEP_1) | instskip(NEXT) | instid1(VALU_DEP_1)
	v_add_f64 v[162:163], v[166:167], v[160:161]
	v_mul_f64 v[164:165], v[162:163], v[162:163]
	s_delay_alu instid0(VALU_DEP_1) | instskip(SKIP_1) | instid1(VALU_DEP_2)
	v_fma_f64 v[176:177], v[164:165], s[56:57], s[54:55]
	v_mul_f64 v[241:242], v[162:163], v[164:165]
	v_fma_f64 v[176:177], v[164:165], v[176:177], s[58:59]
	s_delay_alu instid0(VALU_DEP_1) | instskip(NEXT) | instid1(VALU_DEP_1)
	v_fma_f64 v[176:177], v[164:165], v[176:177], s[60:61]
	v_fma_f64 v[176:177], v[164:165], v[176:177], s[62:63]
	s_delay_alu instid0(VALU_DEP_1) | instskip(NEXT) | instid1(VALU_DEP_1)
	v_fma_f64 v[176:177], v[164:165], v[176:177], s[64:65]
	v_fma_f64 v[164:165], v[164:165], v[176:177], s[66:67]
	v_ldexp_f64 v[176:177], v[162:163], 1
	v_add_f64 v[162:163], v[162:163], -v[166:167]
	s_delay_alu instid0(VALU_DEP_3) | instskip(SKIP_1) | instid1(VALU_DEP_3)
	v_mul_f64 v[164:165], v[241:242], v[164:165]
	v_cvt_f64_i32_e32 v[241:242], v247
	v_add_f64 v[160:161], v[160:161], -v[162:163]
	s_delay_alu instid0(VALU_DEP_3) | instskip(NEXT) | instid1(VALU_DEP_3)
	v_add_f64 v[166:167], v[176:177], v[164:165]
	v_mul_f64 v[243:244], v[241:242], s[68:69]
	s_delay_alu instid0(VALU_DEP_3) | instskip(NEXT) | instid1(VALU_DEP_3)
	v_ldexp_f64 v[160:161], v[160:161], 1
	v_add_f64 v[162:163], v[166:167], -v[176:177]
	s_delay_alu instid0(VALU_DEP_3) | instskip(NEXT) | instid1(VALU_DEP_2)
	v_fma_f64 v[176:177], v[241:242], s[68:69], -v[243:244]
	v_add_f64 v[162:163], v[164:165], -v[162:163]
	s_delay_alu instid0(VALU_DEP_2) | instskip(NEXT) | instid1(VALU_DEP_2)
	v_fma_f64 v[164:165], v[241:242], s[70:71], v[176:177]
	v_add_f64 v[160:161], v[160:161], v[162:163]
	s_delay_alu instid0(VALU_DEP_2) | instskip(NEXT) | instid1(VALU_DEP_2)
	v_add_f64 v[162:163], v[243:244], v[164:165]
	v_add_f64 v[176:177], v[166:167], v[160:161]
	s_delay_alu instid0(VALU_DEP_2) | instskip(NEXT) | instid1(VALU_DEP_2)
	v_add_f64 v[243:244], v[162:163], -v[243:244]
	v_add_f64 v[241:242], v[162:163], v[176:177]
	v_add_f64 v[166:167], v[176:177], -v[166:167]
	s_delay_alu instid0(VALU_DEP_3) | instskip(NEXT) | instid1(VALU_DEP_3)
	v_add_f64 v[164:165], v[164:165], -v[243:244]
	v_add_f64 v[245:246], v[241:242], -v[162:163]
	s_delay_alu instid0(VALU_DEP_3) | instskip(NEXT) | instid1(VALU_DEP_2)
	v_add_f64 v[160:161], v[160:161], -v[166:167]
	v_add_f64 v[40:41], v[241:242], -v[245:246]
	;; [unrolled: 1-line block ×3, first 2 shown]
	s_delay_alu instid0(VALU_DEP_3) | instskip(NEXT) | instid1(VALU_DEP_3)
	v_add_f64 v[176:177], v[164:165], v[160:161]
	v_add_f64 v[162:163], v[162:163], -v[40:41]
	s_delay_alu instid0(VALU_DEP_1) | instskip(NEXT) | instid1(VALU_DEP_3)
	v_add_f64 v[162:163], v[166:167], v[162:163]
	v_add_f64 v[166:167], v[176:177], -v[164:165]
	s_delay_alu instid0(VALU_DEP_2) | instskip(NEXT) | instid1(VALU_DEP_2)
	v_add_f64 v[162:163], v[176:177], v[162:163]
	v_add_f64 v[176:177], v[176:177], -v[166:167]
	v_add_f64 v[160:161], v[160:161], -v[166:167]
	s_delay_alu instid0(VALU_DEP_3) | instskip(NEXT) | instid1(VALU_DEP_3)
	v_add_f64 v[243:244], v[241:242], v[162:163]
	v_add_f64 v[164:165], v[164:165], -v[176:177]
	s_delay_alu instid0(VALU_DEP_2) | instskip(NEXT) | instid1(VALU_DEP_2)
	v_add_f64 v[166:167], v[243:244], -v[241:242]
	v_add_f64 v[160:161], v[160:161], v[164:165]
	s_delay_alu instid0(VALU_DEP_2) | instskip(NEXT) | instid1(VALU_DEP_1)
	v_add_f64 v[162:163], v[162:163], -v[166:167]
	v_add_f64 v[160:161], v[160:161], v[162:163]
	s_delay_alu instid0(VALU_DEP_1) | instskip(NEXT) | instid1(VALU_DEP_1)
	v_add_f64 v[160:161], v[243:244], v[160:161]
	v_dual_cndmask_b32 v161, v161, v151 :: v_dual_cndmask_b32 v160, v160, v150
	v_cmp_ngt_f64_e32 vcc_lo, -1.0, v[150:151]
	s_delay_alu instid0(VALU_DEP_2) | instskip(SKIP_1) | instid1(VALU_DEP_4)
	v_cndmask_b32_e32 v161, 0x7ff80000, v161, vcc_lo
	v_cmp_nge_f64_e32 vcc_lo, -1.0, v[150:151]
	v_cndmask_b32_e32 v160, 0, v160, vcc_lo
	v_cmp_neq_f64_e32 vcc_lo, -1.0, v[150:151]
	s_delay_alu instid0(VALU_DEP_4) | instskip(NEXT) | instid1(VALU_DEP_1)
	v_cndmask_b32_e32 v161, 0xfff00000, v161, vcc_lo
	v_add_f64 v[150:151], v[6:7], v[160:161]
.LBB36_203:                             ;   in Loop: Header=BB36_164 Depth=1
	s_or_b32 exec_lo, exec_lo, s22
	s_delay_alu instid0(VALU_DEP_1)
	v_dual_mov_b32 v160, v150 :: v_dual_mov_b32 v161, v151
	v_dual_mov_b32 v6, v150 :: v_dual_mov_b32 v7, v151
.LBB36_204:                             ;   in Loop: Header=BB36_164 Depth=1
	s_or_b32 exec_lo, exec_lo, s21
	s_waitcnt lgkmcnt(1)
	ds_bpermute_b32 v150, v231, v160
	s_waitcnt lgkmcnt(1)
	ds_bpermute_b32 v151, v231, v161
	s_mov_b32 s21, exec_lo
	v_cmpx_le_u32_e64 v240, v9
	s_cbranch_execz .LBB36_208
; %bb.205:                              ;   in Loop: Header=BB36_164 Depth=1
	s_waitcnt lgkmcnt(0)
	v_max_f64 v[160:161], v[150:151], v[150:151]
	v_max_f64 v[162:163], v[6:7], v[6:7]
	v_cmp_u_f64_e32 vcc_lo, v[150:151], v[150:151]
	v_cmp_u_f64_e64 s20, v[6:7], v[6:7]
	s_delay_alu instid0(VALU_DEP_3) | instskip(SKIP_1) | instid1(VALU_DEP_2)
	v_min_f64 v[164:165], v[160:161], v[162:163]
	v_max_f64 v[160:161], v[160:161], v[162:163]
	v_dual_cndmask_b32 v9, v164, v150 :: v_dual_cndmask_b32 v162, v165, v151
	s_delay_alu instid0(VALU_DEP_2) | instskip(NEXT) | instid1(VALU_DEP_2)
	v_dual_cndmask_b32 v163, v161, v151 :: v_dual_cndmask_b32 v164, v160, v150
	v_cndmask_b32_e64 v160, v9, v6, s20
	s_delay_alu instid0(VALU_DEP_3) | instskip(NEXT) | instid1(VALU_DEP_3)
	v_cndmask_b32_e64 v161, v162, v7, s20
	v_cndmask_b32_e64 v7, v163, v7, s20
	s_delay_alu instid0(VALU_DEP_4) | instskip(NEXT) | instid1(VALU_DEP_3)
	v_cndmask_b32_e64 v6, v164, v6, s20
	v_cmp_class_f64_e64 s20, v[160:161], 0x1f8
	s_delay_alu instid0(VALU_DEP_2) | instskip(NEXT) | instid1(VALU_DEP_2)
	v_cmp_neq_f64_e32 vcc_lo, v[160:161], v[6:7]
	s_or_b32 s20, vcc_lo, s20
	s_delay_alu instid0(SALU_CYCLE_1)
	s_and_saveexec_b32 s22, s20
	s_cbranch_execz .LBB36_207
; %bb.206:                              ;   in Loop: Header=BB36_164 Depth=1
	v_add_f64 v[150:151], v[160:161], -v[6:7]
	s_mov_b32 s67, s53
	s_mov_b32 s68, s26
	;; [unrolled: 1-line block ×3, first 2 shown]
	s_delay_alu instid0(VALU_DEP_1) | instskip(SKIP_2) | instid1(VALU_DEP_3)
	v_mul_f64 v[160:161], v[150:151], s[24:25]
	v_cmp_nlt_f64_e32 vcc_lo, 0x40900000, v[150:151]
	v_cmp_ngt_f64_e64 s20, 0xc090cc00, v[150:151]
	v_rndne_f64_e32 v[160:161], v[160:161]
	s_delay_alu instid0(VALU_DEP_1) | instskip(SKIP_1) | instid1(VALU_DEP_2)
	v_fma_f64 v[162:163], v[160:161], s[26:27], v[150:151]
	v_cvt_i32_f64_e32 v9, v[160:161]
	v_fma_f64 v[162:163], v[160:161], s[28:29], v[162:163]
	s_delay_alu instid0(VALU_DEP_1) | instskip(NEXT) | instid1(VALU_DEP_1)
	v_fma_f64 v[164:165], v[162:163], s[34:35], s[30:31]
	v_fma_f64 v[164:165], v[162:163], v[164:165], s[36:37]
	s_delay_alu instid0(VALU_DEP_1) | instskip(NEXT) | instid1(VALU_DEP_1)
	v_fma_f64 v[164:165], v[162:163], v[164:165], s[38:39]
	;; [unrolled: 3-line block ×5, first 2 shown]
	v_fma_f64 v[164:165], v[162:163], v[164:165], 1.0
	s_delay_alu instid0(VALU_DEP_1) | instskip(NEXT) | instid1(VALU_DEP_1)
	v_fma_f64 v[160:161], v[162:163], v[164:165], 1.0
	v_ldexp_f64 v[160:161], v[160:161], v9
	s_delay_alu instid0(VALU_DEP_1) | instskip(SKIP_1) | instid1(VALU_DEP_2)
	v_cndmask_b32_e32 v9, 0x7ff00000, v161, vcc_lo
	s_and_b32 vcc_lo, s20, vcc_lo
	v_cndmask_b32_e32 v150, 0, v160, vcc_lo
	s_delay_alu instid0(VALU_DEP_2) | instskip(NEXT) | instid1(VALU_DEP_1)
	v_cndmask_b32_e64 v151, 0, v9, s20
	v_add_f64 v[160:161], v[150:151], 1.0
	s_delay_alu instid0(VALU_DEP_1) | instskip(SKIP_2) | instid1(VALU_DEP_3)
	v_frexp_mant_f64_e32 v[162:163], v[160:161]
	v_frexp_exp_i32_f64_e32 v9, v[160:161]
	v_add_f64 v[164:165], v[160:161], -1.0
	v_cmp_gt_f64_e32 vcc_lo, s[52:53], v[162:163]
	s_delay_alu instid0(VALU_DEP_2) | instskip(SKIP_2) | instid1(VALU_DEP_3)
	v_add_f64 v[162:163], v[164:165], -v[160:161]
	v_add_f64 v[164:165], v[150:151], -v[164:165]
	v_subrev_co_ci_u32_e32 v9, vcc_lo, 0, v9, vcc_lo
	v_add_f64 v[162:163], v[162:163], 1.0
	v_cmp_eq_f64_e32 vcc_lo, 0x7ff00000, v[150:151]
	s_delay_alu instid0(VALU_DEP_3) | instskip(NEXT) | instid1(VALU_DEP_1)
	v_sub_nc_u32_e32 v176, 0, v9
	v_ldexp_f64 v[160:161], v[160:161], v176
	s_delay_alu instid0(VALU_DEP_4) | instskip(NEXT) | instid1(VALU_DEP_2)
	v_add_f64 v[162:163], v[164:165], v[162:163]
	v_add_f64 v[166:167], v[160:161], 1.0
	v_add_f64 v[243:244], v[160:161], -1.0
	s_delay_alu instid0(VALU_DEP_3) | instskip(NEXT) | instid1(VALU_DEP_3)
	v_ldexp_f64 v[162:163], v[162:163], v176
	v_add_f64 v[164:165], v[166:167], -1.0
	s_delay_alu instid0(VALU_DEP_3) | instskip(NEXT) | instid1(VALU_DEP_2)
	v_add_f64 v[245:246], v[243:244], 1.0
	v_add_f64 v[164:165], v[160:161], -v[164:165]
	s_delay_alu instid0(VALU_DEP_2) | instskip(NEXT) | instid1(VALU_DEP_2)
	v_add_f64 v[160:161], v[160:161], -v[245:246]
	v_add_f64 v[164:165], v[162:163], v[164:165]
	s_delay_alu instid0(VALU_DEP_2) | instskip(NEXT) | instid1(VALU_DEP_2)
	v_add_f64 v[160:161], v[162:163], v[160:161]
	v_add_f64 v[176:177], v[166:167], v[164:165]
	s_delay_alu instid0(VALU_DEP_2) | instskip(NEXT) | instid1(VALU_DEP_2)
	v_add_f64 v[245:246], v[243:244], v[160:161]
	v_rcp_f64_e32 v[241:242], v[176:177]
	v_add_f64 v[166:167], v[176:177], -v[166:167]
	s_delay_alu instid0(VALU_DEP_2) | instskip(NEXT) | instid1(VALU_DEP_2)
	v_add_f64 v[243:244], v[245:246], -v[243:244]
	v_add_f64 v[164:165], v[164:165], -v[166:167]
	s_waitcnt_depctr 0xfff
	v_fma_f64 v[40:41], -v[176:177], v[241:242], 1.0
	v_add_f64 v[160:161], v[160:161], -v[243:244]
	s_delay_alu instid0(VALU_DEP_2) | instskip(NEXT) | instid1(VALU_DEP_1)
	v_fma_f64 v[241:242], v[40:41], v[241:242], v[241:242]
	v_fma_f64 v[162:163], -v[176:177], v[241:242], 1.0
	s_delay_alu instid0(VALU_DEP_1) | instskip(NEXT) | instid1(VALU_DEP_1)
	v_fma_f64 v[162:163], v[162:163], v[241:242], v[241:242]
	v_mul_f64 v[241:242], v[245:246], v[162:163]
	s_delay_alu instid0(VALU_DEP_1) | instskip(NEXT) | instid1(VALU_DEP_1)
	v_mul_f64 v[40:41], v[176:177], v[241:242]
	v_fma_f64 v[166:167], v[241:242], v[176:177], -v[40:41]
	s_delay_alu instid0(VALU_DEP_1) | instskip(NEXT) | instid1(VALU_DEP_1)
	v_fma_f64 v[166:167], v[241:242], v[164:165], v[166:167]
	v_add_f64 v[42:43], v[40:41], v[166:167]
	s_delay_alu instid0(VALU_DEP_1) | instskip(SKIP_1) | instid1(VALU_DEP_2)
	v_add_f64 v[44:45], v[245:246], -v[42:43]
	v_add_f64 v[243:244], v[42:43], -v[40:41]
	;; [unrolled: 1-line block ×3, first 2 shown]
	s_delay_alu instid0(VALU_DEP_2) | instskip(NEXT) | instid1(VALU_DEP_2)
	v_add_f64 v[166:167], v[243:244], -v[166:167]
	v_add_f64 v[245:246], v[245:246], -v[42:43]
	s_delay_alu instid0(VALU_DEP_1) | instskip(NEXT) | instid1(VALU_DEP_1)
	v_add_f64 v[160:161], v[160:161], v[245:246]
	v_add_f64 v[160:161], v[166:167], v[160:161]
	s_delay_alu instid0(VALU_DEP_1) | instskip(NEXT) | instid1(VALU_DEP_1)
	v_add_f64 v[166:167], v[44:45], v[160:161]
	v_mul_f64 v[243:244], v[162:163], v[166:167]
	v_add_f64 v[42:43], v[44:45], -v[166:167]
	s_delay_alu instid0(VALU_DEP_2) | instskip(NEXT) | instid1(VALU_DEP_2)
	v_mul_f64 v[245:246], v[176:177], v[243:244]
	v_add_f64 v[160:161], v[160:161], v[42:43]
	s_delay_alu instid0(VALU_DEP_2) | instskip(NEXT) | instid1(VALU_DEP_1)
	v_fma_f64 v[176:177], v[243:244], v[176:177], -v[245:246]
	v_fma_f64 v[164:165], v[243:244], v[164:165], v[176:177]
	s_delay_alu instid0(VALU_DEP_1) | instskip(NEXT) | instid1(VALU_DEP_1)
	v_add_f64 v[176:177], v[245:246], v[164:165]
	v_add_f64 v[40:41], v[166:167], -v[176:177]
	v_add_f64 v[245:246], v[176:177], -v[245:246]
	s_delay_alu instid0(VALU_DEP_2) | instskip(NEXT) | instid1(VALU_DEP_2)
	v_add_f64 v[166:167], v[166:167], -v[40:41]
	v_add_f64 v[164:165], v[245:246], -v[164:165]
	s_delay_alu instid0(VALU_DEP_2) | instskip(NEXT) | instid1(VALU_DEP_1)
	v_add_f64 v[166:167], v[166:167], -v[176:177]
	v_add_f64 v[160:161], v[160:161], v[166:167]
	v_add_f64 v[166:167], v[241:242], v[243:244]
	s_delay_alu instid0(VALU_DEP_2) | instskip(NEXT) | instid1(VALU_DEP_2)
	v_add_f64 v[160:161], v[164:165], v[160:161]
	v_add_f64 v[164:165], v[166:167], -v[241:242]
	s_delay_alu instid0(VALU_DEP_2) | instskip(NEXT) | instid1(VALU_DEP_2)
	v_add_f64 v[160:161], v[40:41], v[160:161]
	v_add_f64 v[164:165], v[243:244], -v[164:165]
	s_delay_alu instid0(VALU_DEP_2) | instskip(NEXT) | instid1(VALU_DEP_1)
	v_mul_f64 v[160:161], v[162:163], v[160:161]
	v_add_f64 v[160:161], v[164:165], v[160:161]
	s_delay_alu instid0(VALU_DEP_1) | instskip(NEXT) | instid1(VALU_DEP_1)
	v_add_f64 v[162:163], v[166:167], v[160:161]
	v_mul_f64 v[164:165], v[162:163], v[162:163]
	s_delay_alu instid0(VALU_DEP_1) | instskip(SKIP_1) | instid1(VALU_DEP_2)
	v_fma_f64 v[176:177], v[164:165], s[56:57], s[54:55]
	v_mul_f64 v[241:242], v[162:163], v[164:165]
	v_fma_f64 v[176:177], v[164:165], v[176:177], s[58:59]
	s_delay_alu instid0(VALU_DEP_1) | instskip(NEXT) | instid1(VALU_DEP_1)
	v_fma_f64 v[176:177], v[164:165], v[176:177], s[60:61]
	v_fma_f64 v[176:177], v[164:165], v[176:177], s[62:63]
	s_delay_alu instid0(VALU_DEP_1) | instskip(NEXT) | instid1(VALU_DEP_1)
	v_fma_f64 v[176:177], v[164:165], v[176:177], s[64:65]
	v_fma_f64 v[164:165], v[164:165], v[176:177], s[66:67]
	v_ldexp_f64 v[176:177], v[162:163], 1
	v_add_f64 v[162:163], v[162:163], -v[166:167]
	s_delay_alu instid0(VALU_DEP_3) | instskip(SKIP_1) | instid1(VALU_DEP_3)
	v_mul_f64 v[164:165], v[241:242], v[164:165]
	v_cvt_f64_i32_e32 v[241:242], v9
	v_add_f64 v[160:161], v[160:161], -v[162:163]
	s_delay_alu instid0(VALU_DEP_3) | instskip(NEXT) | instid1(VALU_DEP_3)
	v_add_f64 v[166:167], v[176:177], v[164:165]
	v_mul_f64 v[243:244], v[241:242], s[68:69]
	s_delay_alu instid0(VALU_DEP_3) | instskip(NEXT) | instid1(VALU_DEP_3)
	v_ldexp_f64 v[160:161], v[160:161], 1
	v_add_f64 v[162:163], v[166:167], -v[176:177]
	s_delay_alu instid0(VALU_DEP_3) | instskip(NEXT) | instid1(VALU_DEP_2)
	v_fma_f64 v[176:177], v[241:242], s[68:69], -v[243:244]
	v_add_f64 v[162:163], v[164:165], -v[162:163]
	s_delay_alu instid0(VALU_DEP_2) | instskip(NEXT) | instid1(VALU_DEP_2)
	v_fma_f64 v[164:165], v[241:242], s[70:71], v[176:177]
	v_add_f64 v[160:161], v[160:161], v[162:163]
	s_delay_alu instid0(VALU_DEP_2) | instskip(NEXT) | instid1(VALU_DEP_2)
	v_add_f64 v[162:163], v[243:244], v[164:165]
	v_add_f64 v[176:177], v[166:167], v[160:161]
	s_delay_alu instid0(VALU_DEP_2) | instskip(NEXT) | instid1(VALU_DEP_2)
	v_add_f64 v[243:244], v[162:163], -v[243:244]
	v_add_f64 v[241:242], v[162:163], v[176:177]
	v_add_f64 v[166:167], v[176:177], -v[166:167]
	s_delay_alu instid0(VALU_DEP_3) | instskip(NEXT) | instid1(VALU_DEP_3)
	v_add_f64 v[164:165], v[164:165], -v[243:244]
	v_add_f64 v[245:246], v[241:242], -v[162:163]
	s_delay_alu instid0(VALU_DEP_3) | instskip(NEXT) | instid1(VALU_DEP_2)
	v_add_f64 v[160:161], v[160:161], -v[166:167]
	v_add_f64 v[40:41], v[241:242], -v[245:246]
	;; [unrolled: 1-line block ×3, first 2 shown]
	s_delay_alu instid0(VALU_DEP_3) | instskip(NEXT) | instid1(VALU_DEP_3)
	v_add_f64 v[176:177], v[164:165], v[160:161]
	v_add_f64 v[162:163], v[162:163], -v[40:41]
	s_delay_alu instid0(VALU_DEP_1) | instskip(NEXT) | instid1(VALU_DEP_3)
	v_add_f64 v[162:163], v[166:167], v[162:163]
	v_add_f64 v[166:167], v[176:177], -v[164:165]
	s_delay_alu instid0(VALU_DEP_2) | instskip(NEXT) | instid1(VALU_DEP_2)
	v_add_f64 v[162:163], v[176:177], v[162:163]
	v_add_f64 v[176:177], v[176:177], -v[166:167]
	v_add_f64 v[160:161], v[160:161], -v[166:167]
	s_delay_alu instid0(VALU_DEP_3) | instskip(NEXT) | instid1(VALU_DEP_3)
	v_add_f64 v[243:244], v[241:242], v[162:163]
	v_add_f64 v[164:165], v[164:165], -v[176:177]
	s_delay_alu instid0(VALU_DEP_2) | instskip(NEXT) | instid1(VALU_DEP_2)
	v_add_f64 v[166:167], v[243:244], -v[241:242]
	v_add_f64 v[160:161], v[160:161], v[164:165]
	s_delay_alu instid0(VALU_DEP_2) | instskip(NEXT) | instid1(VALU_DEP_1)
	v_add_f64 v[162:163], v[162:163], -v[166:167]
	v_add_f64 v[160:161], v[160:161], v[162:163]
	s_delay_alu instid0(VALU_DEP_1) | instskip(NEXT) | instid1(VALU_DEP_1)
	v_add_f64 v[160:161], v[243:244], v[160:161]
	v_dual_cndmask_b32 v9, v160, v150 :: v_dual_cndmask_b32 v160, v161, v151
	v_cmp_ngt_f64_e32 vcc_lo, -1.0, v[150:151]
	s_delay_alu instid0(VALU_DEP_2) | instskip(SKIP_1) | instid1(VALU_DEP_4)
	v_cndmask_b32_e32 v161, 0x7ff80000, v160, vcc_lo
	v_cmp_nge_f64_e32 vcc_lo, -1.0, v[150:151]
	v_cndmask_b32_e32 v160, 0, v9, vcc_lo
	v_cmp_neq_f64_e32 vcc_lo, -1.0, v[150:151]
	s_delay_alu instid0(VALU_DEP_4) | instskip(NEXT) | instid1(VALU_DEP_1)
	v_cndmask_b32_e32 v161, 0xfff00000, v161, vcc_lo
	v_add_f64 v[150:151], v[6:7], v[160:161]
.LBB36_207:                             ;   in Loop: Header=BB36_164 Depth=1
	s_or_b32 exec_lo, exec_lo, s22
	s_delay_alu instid0(VALU_DEP_1)
	v_dual_mov_b32 v6, v150 :: v_dual_mov_b32 v7, v151
.LBB36_208:                             ;   in Loop: Header=BB36_164 Depth=1
	s_or_b32 exec_lo, exec_lo, s21
	s_waitcnt lgkmcnt(0)
	v_max_f64 v[150:151], v[148:149], v[148:149]
	s_delay_alu instid0(VALU_DEP_2) | instskip(SKIP_2) | instid1(VALU_DEP_3)
	v_max_f64 v[160:161], v[6:7], v[6:7]
	v_cmp_u_f64_e32 vcc_lo, v[6:7], v[6:7]
	v_cmp_u_f64_e64 s20, v[148:149], v[148:149]
	v_min_f64 v[162:163], v[160:161], v[150:151]
	v_max_f64 v[150:151], v[160:161], v[150:151]
	s_delay_alu instid0(VALU_DEP_2) | instskip(NEXT) | instid1(VALU_DEP_2)
	v_dual_cndmask_b32 v9, v162, v6 :: v_dual_cndmask_b32 v160, v163, v7
	v_dual_cndmask_b32 v151, v151, v7 :: v_dual_cndmask_b32 v150, v150, v6
	s_delay_alu instid0(VALU_DEP_2) | instskip(NEXT) | instid1(VALU_DEP_3)
	v_cndmask_b32_e64 v161, v160, v149, s20
	v_cndmask_b32_e64 v160, v9, v148, s20
	s_delay_alu instid0(VALU_DEP_3) | instskip(NEXT) | instid1(VALU_DEP_4)
	v_cndmask_b32_e64 v151, v151, v149, s20
	v_cndmask_b32_e64 v150, v150, v148, s20
	s_delay_alu instid0(VALU_DEP_3) | instskip(NEXT) | instid1(VALU_DEP_2)
	v_cmp_class_f64_e64 s20, v[160:161], 0x1f8
	v_cmp_neq_f64_e32 vcc_lo, v[160:161], v[150:151]
	s_delay_alu instid0(VALU_DEP_2) | instskip(NEXT) | instid1(SALU_CYCLE_1)
	s_or_b32 s20, vcc_lo, s20
	s_and_saveexec_b32 s21, s20
	s_delay_alu instid0(SALU_CYCLE_1)
	s_xor_b32 s21, exec_lo, s21
	s_cbranch_execz .LBB36_163
; %bb.209:                              ;   in Loop: Header=BB36_164 Depth=1
	v_add_f64 v[6:7], v[160:161], -v[150:151]
	s_mov_b32 s67, s53
	s_mov_b32 s68, s26
	;; [unrolled: 1-line block ×3, first 2 shown]
	s_delay_alu instid0(VALU_DEP_1) | instskip(SKIP_2) | instid1(VALU_DEP_3)
	v_mul_f64 v[160:161], v[6:7], s[24:25]
	v_cmp_nlt_f64_e32 vcc_lo, 0x40900000, v[6:7]
	v_cmp_ngt_f64_e64 s20, 0xc090cc00, v[6:7]
	v_rndne_f64_e32 v[160:161], v[160:161]
	s_delay_alu instid0(VALU_DEP_1) | instskip(SKIP_1) | instid1(VALU_DEP_2)
	v_fma_f64 v[162:163], v[160:161], s[26:27], v[6:7]
	v_cvt_i32_f64_e32 v9, v[160:161]
	v_fma_f64 v[162:163], v[160:161], s[28:29], v[162:163]
	s_delay_alu instid0(VALU_DEP_1) | instskip(NEXT) | instid1(VALU_DEP_1)
	v_fma_f64 v[164:165], v[162:163], s[34:35], s[30:31]
	v_fma_f64 v[164:165], v[162:163], v[164:165], s[36:37]
	s_delay_alu instid0(VALU_DEP_1) | instskip(NEXT) | instid1(VALU_DEP_1)
	v_fma_f64 v[164:165], v[162:163], v[164:165], s[38:39]
	;; [unrolled: 3-line block ×5, first 2 shown]
	v_fma_f64 v[164:165], v[162:163], v[164:165], 1.0
	s_delay_alu instid0(VALU_DEP_1) | instskip(NEXT) | instid1(VALU_DEP_1)
	v_fma_f64 v[160:161], v[162:163], v[164:165], 1.0
	v_ldexp_f64 v[160:161], v[160:161], v9
	s_delay_alu instid0(VALU_DEP_1) | instskip(SKIP_1) | instid1(VALU_DEP_2)
	v_cndmask_b32_e32 v9, 0x7ff00000, v161, vcc_lo
	s_and_b32 vcc_lo, s20, vcc_lo
	v_cndmask_b32_e32 v6, 0, v160, vcc_lo
	s_delay_alu instid0(VALU_DEP_2) | instskip(NEXT) | instid1(VALU_DEP_1)
	v_cndmask_b32_e64 v7, 0, v9, s20
	v_add_f64 v[160:161], v[6:7], 1.0
	s_delay_alu instid0(VALU_DEP_1) | instskip(SKIP_2) | instid1(VALU_DEP_3)
	v_frexp_mant_f64_e32 v[162:163], v[160:161]
	v_frexp_exp_i32_f64_e32 v9, v[160:161]
	v_add_f64 v[164:165], v[160:161], -1.0
	v_cmp_gt_f64_e32 vcc_lo, s[52:53], v[162:163]
	s_delay_alu instid0(VALU_DEP_2) | instskip(SKIP_2) | instid1(VALU_DEP_3)
	v_add_f64 v[162:163], v[164:165], -v[160:161]
	v_add_f64 v[164:165], v[6:7], -v[164:165]
	v_subrev_co_ci_u32_e32 v9, vcc_lo, 0, v9, vcc_lo
	v_add_f64 v[162:163], v[162:163], 1.0
	v_cmp_eq_f64_e32 vcc_lo, 0x7ff00000, v[6:7]
	s_delay_alu instid0(VALU_DEP_3) | instskip(NEXT) | instid1(VALU_DEP_1)
	v_sub_nc_u32_e32 v176, 0, v9
	v_ldexp_f64 v[160:161], v[160:161], v176
	s_delay_alu instid0(VALU_DEP_4) | instskip(NEXT) | instid1(VALU_DEP_2)
	v_add_f64 v[162:163], v[164:165], v[162:163]
	v_add_f64 v[166:167], v[160:161], 1.0
	v_add_f64 v[243:244], v[160:161], -1.0
	s_delay_alu instid0(VALU_DEP_3) | instskip(NEXT) | instid1(VALU_DEP_3)
	v_ldexp_f64 v[162:163], v[162:163], v176
	v_add_f64 v[164:165], v[166:167], -1.0
	s_delay_alu instid0(VALU_DEP_3) | instskip(NEXT) | instid1(VALU_DEP_2)
	v_add_f64 v[245:246], v[243:244], 1.0
	v_add_f64 v[164:165], v[160:161], -v[164:165]
	s_delay_alu instid0(VALU_DEP_2) | instskip(NEXT) | instid1(VALU_DEP_2)
	v_add_f64 v[160:161], v[160:161], -v[245:246]
	v_add_f64 v[164:165], v[162:163], v[164:165]
	s_delay_alu instid0(VALU_DEP_2) | instskip(NEXT) | instid1(VALU_DEP_2)
	v_add_f64 v[160:161], v[162:163], v[160:161]
	v_add_f64 v[176:177], v[166:167], v[164:165]
	s_delay_alu instid0(VALU_DEP_2) | instskip(NEXT) | instid1(VALU_DEP_2)
	v_add_f64 v[245:246], v[243:244], v[160:161]
	v_rcp_f64_e32 v[241:242], v[176:177]
	v_add_f64 v[166:167], v[176:177], -v[166:167]
	s_delay_alu instid0(VALU_DEP_2) | instskip(NEXT) | instid1(VALU_DEP_2)
	v_add_f64 v[243:244], v[245:246], -v[243:244]
	v_add_f64 v[164:165], v[164:165], -v[166:167]
	s_waitcnt_depctr 0xfff
	v_fma_f64 v[40:41], -v[176:177], v[241:242], 1.0
	v_add_f64 v[160:161], v[160:161], -v[243:244]
	s_delay_alu instid0(VALU_DEP_2) | instskip(NEXT) | instid1(VALU_DEP_1)
	v_fma_f64 v[241:242], v[40:41], v[241:242], v[241:242]
	v_fma_f64 v[162:163], -v[176:177], v[241:242], 1.0
	s_delay_alu instid0(VALU_DEP_1) | instskip(NEXT) | instid1(VALU_DEP_1)
	v_fma_f64 v[162:163], v[162:163], v[241:242], v[241:242]
	v_mul_f64 v[241:242], v[245:246], v[162:163]
	s_delay_alu instid0(VALU_DEP_1) | instskip(NEXT) | instid1(VALU_DEP_1)
	v_mul_f64 v[40:41], v[176:177], v[241:242]
	v_fma_f64 v[166:167], v[241:242], v[176:177], -v[40:41]
	s_delay_alu instid0(VALU_DEP_1) | instskip(NEXT) | instid1(VALU_DEP_1)
	v_fma_f64 v[166:167], v[241:242], v[164:165], v[166:167]
	v_add_f64 v[42:43], v[40:41], v[166:167]
	s_delay_alu instid0(VALU_DEP_1) | instskip(SKIP_1) | instid1(VALU_DEP_2)
	v_add_f64 v[44:45], v[245:246], -v[42:43]
	v_add_f64 v[243:244], v[42:43], -v[40:41]
	;; [unrolled: 1-line block ×3, first 2 shown]
	s_delay_alu instid0(VALU_DEP_2) | instskip(NEXT) | instid1(VALU_DEP_2)
	v_add_f64 v[166:167], v[243:244], -v[166:167]
	v_add_f64 v[245:246], v[245:246], -v[42:43]
	s_delay_alu instid0(VALU_DEP_1) | instskip(NEXT) | instid1(VALU_DEP_1)
	v_add_f64 v[160:161], v[160:161], v[245:246]
	v_add_f64 v[160:161], v[166:167], v[160:161]
	s_delay_alu instid0(VALU_DEP_1) | instskip(NEXT) | instid1(VALU_DEP_1)
	v_add_f64 v[166:167], v[44:45], v[160:161]
	v_mul_f64 v[243:244], v[162:163], v[166:167]
	v_add_f64 v[42:43], v[44:45], -v[166:167]
	s_delay_alu instid0(VALU_DEP_2) | instskip(NEXT) | instid1(VALU_DEP_2)
	v_mul_f64 v[245:246], v[176:177], v[243:244]
	v_add_f64 v[160:161], v[160:161], v[42:43]
	s_delay_alu instid0(VALU_DEP_2) | instskip(NEXT) | instid1(VALU_DEP_1)
	v_fma_f64 v[176:177], v[243:244], v[176:177], -v[245:246]
	v_fma_f64 v[164:165], v[243:244], v[164:165], v[176:177]
	s_delay_alu instid0(VALU_DEP_1) | instskip(NEXT) | instid1(VALU_DEP_1)
	v_add_f64 v[176:177], v[245:246], v[164:165]
	v_add_f64 v[40:41], v[166:167], -v[176:177]
	v_add_f64 v[245:246], v[176:177], -v[245:246]
	s_delay_alu instid0(VALU_DEP_2) | instskip(NEXT) | instid1(VALU_DEP_2)
	v_add_f64 v[166:167], v[166:167], -v[40:41]
	v_add_f64 v[164:165], v[245:246], -v[164:165]
	s_delay_alu instid0(VALU_DEP_2) | instskip(NEXT) | instid1(VALU_DEP_1)
	v_add_f64 v[166:167], v[166:167], -v[176:177]
	v_add_f64 v[160:161], v[160:161], v[166:167]
	v_add_f64 v[166:167], v[241:242], v[243:244]
	s_delay_alu instid0(VALU_DEP_2) | instskip(NEXT) | instid1(VALU_DEP_2)
	v_add_f64 v[160:161], v[164:165], v[160:161]
	v_add_f64 v[164:165], v[166:167], -v[241:242]
	s_delay_alu instid0(VALU_DEP_2) | instskip(NEXT) | instid1(VALU_DEP_2)
	v_add_f64 v[160:161], v[40:41], v[160:161]
	v_add_f64 v[164:165], v[243:244], -v[164:165]
	s_delay_alu instid0(VALU_DEP_2) | instskip(NEXT) | instid1(VALU_DEP_1)
	v_mul_f64 v[160:161], v[162:163], v[160:161]
	v_add_f64 v[160:161], v[164:165], v[160:161]
	s_delay_alu instid0(VALU_DEP_1) | instskip(NEXT) | instid1(VALU_DEP_1)
	v_add_f64 v[162:163], v[166:167], v[160:161]
	v_mul_f64 v[164:165], v[162:163], v[162:163]
	s_delay_alu instid0(VALU_DEP_1) | instskip(SKIP_1) | instid1(VALU_DEP_2)
	v_fma_f64 v[176:177], v[164:165], s[56:57], s[54:55]
	v_mul_f64 v[241:242], v[162:163], v[164:165]
	v_fma_f64 v[176:177], v[164:165], v[176:177], s[58:59]
	s_delay_alu instid0(VALU_DEP_1) | instskip(NEXT) | instid1(VALU_DEP_1)
	v_fma_f64 v[176:177], v[164:165], v[176:177], s[60:61]
	v_fma_f64 v[176:177], v[164:165], v[176:177], s[62:63]
	s_delay_alu instid0(VALU_DEP_1) | instskip(NEXT) | instid1(VALU_DEP_1)
	v_fma_f64 v[176:177], v[164:165], v[176:177], s[64:65]
	v_fma_f64 v[164:165], v[164:165], v[176:177], s[66:67]
	v_ldexp_f64 v[176:177], v[162:163], 1
	v_add_f64 v[162:163], v[162:163], -v[166:167]
	s_delay_alu instid0(VALU_DEP_3) | instskip(SKIP_1) | instid1(VALU_DEP_3)
	v_mul_f64 v[164:165], v[241:242], v[164:165]
	v_cvt_f64_i32_e32 v[241:242], v9
	v_add_f64 v[160:161], v[160:161], -v[162:163]
	s_delay_alu instid0(VALU_DEP_3) | instskip(NEXT) | instid1(VALU_DEP_3)
	v_add_f64 v[166:167], v[176:177], v[164:165]
	v_mul_f64 v[243:244], v[241:242], s[68:69]
	s_delay_alu instid0(VALU_DEP_3) | instskip(NEXT) | instid1(VALU_DEP_3)
	v_ldexp_f64 v[160:161], v[160:161], 1
	v_add_f64 v[162:163], v[166:167], -v[176:177]
	s_delay_alu instid0(VALU_DEP_3) | instskip(NEXT) | instid1(VALU_DEP_2)
	v_fma_f64 v[176:177], v[241:242], s[68:69], -v[243:244]
	v_add_f64 v[162:163], v[164:165], -v[162:163]
	s_delay_alu instid0(VALU_DEP_2) | instskip(NEXT) | instid1(VALU_DEP_2)
	v_fma_f64 v[164:165], v[241:242], s[70:71], v[176:177]
	v_add_f64 v[160:161], v[160:161], v[162:163]
	s_delay_alu instid0(VALU_DEP_2) | instskip(NEXT) | instid1(VALU_DEP_2)
	v_add_f64 v[162:163], v[243:244], v[164:165]
	v_add_f64 v[176:177], v[166:167], v[160:161]
	s_delay_alu instid0(VALU_DEP_2) | instskip(NEXT) | instid1(VALU_DEP_2)
	v_add_f64 v[243:244], v[162:163], -v[243:244]
	v_add_f64 v[241:242], v[162:163], v[176:177]
	v_add_f64 v[166:167], v[176:177], -v[166:167]
	s_delay_alu instid0(VALU_DEP_3) | instskip(NEXT) | instid1(VALU_DEP_3)
	v_add_f64 v[164:165], v[164:165], -v[243:244]
	v_add_f64 v[245:246], v[241:242], -v[162:163]
	s_delay_alu instid0(VALU_DEP_3) | instskip(NEXT) | instid1(VALU_DEP_2)
	v_add_f64 v[160:161], v[160:161], -v[166:167]
	v_add_f64 v[40:41], v[241:242], -v[245:246]
	;; [unrolled: 1-line block ×3, first 2 shown]
	s_delay_alu instid0(VALU_DEP_3) | instskip(NEXT) | instid1(VALU_DEP_3)
	v_add_f64 v[176:177], v[164:165], v[160:161]
	v_add_f64 v[162:163], v[162:163], -v[40:41]
	s_delay_alu instid0(VALU_DEP_1) | instskip(NEXT) | instid1(VALU_DEP_3)
	v_add_f64 v[162:163], v[166:167], v[162:163]
	v_add_f64 v[166:167], v[176:177], -v[164:165]
	s_delay_alu instid0(VALU_DEP_2) | instskip(NEXT) | instid1(VALU_DEP_2)
	v_add_f64 v[162:163], v[176:177], v[162:163]
	v_add_f64 v[176:177], v[176:177], -v[166:167]
	v_add_f64 v[160:161], v[160:161], -v[166:167]
	s_delay_alu instid0(VALU_DEP_3) | instskip(NEXT) | instid1(VALU_DEP_3)
	v_add_f64 v[243:244], v[241:242], v[162:163]
	v_add_f64 v[164:165], v[164:165], -v[176:177]
	s_delay_alu instid0(VALU_DEP_2) | instskip(NEXT) | instid1(VALU_DEP_2)
	v_add_f64 v[166:167], v[243:244], -v[241:242]
	v_add_f64 v[160:161], v[160:161], v[164:165]
	s_delay_alu instid0(VALU_DEP_2) | instskip(NEXT) | instid1(VALU_DEP_1)
	v_add_f64 v[162:163], v[162:163], -v[166:167]
	v_add_f64 v[160:161], v[160:161], v[162:163]
	s_delay_alu instid0(VALU_DEP_1) | instskip(NEXT) | instid1(VALU_DEP_1)
	v_add_f64 v[160:161], v[243:244], v[160:161]
	v_dual_cndmask_b32 v9, v160, v6 :: v_dual_cndmask_b32 v160, v161, v7
	v_cmp_ngt_f64_e32 vcc_lo, -1.0, v[6:7]
	s_delay_alu instid0(VALU_DEP_2) | instskip(SKIP_1) | instid1(VALU_DEP_4)
	v_cndmask_b32_e32 v161, 0x7ff80000, v160, vcc_lo
	v_cmp_nge_f64_e32 vcc_lo, -1.0, v[6:7]
	v_cndmask_b32_e32 v160, 0, v9, vcc_lo
	v_cmp_neq_f64_e32 vcc_lo, -1.0, v[6:7]
	s_delay_alu instid0(VALU_DEP_4) | instskip(NEXT) | instid1(VALU_DEP_1)
	v_cndmask_b32_e32 v161, 0xfff00000, v161, vcc_lo
	v_add_f64 v[6:7], v[150:151], v[160:161]
	s_branch .LBB36_163
.LBB36_210:
	s_and_saveexec_b32 s26, s19
	s_cbranch_execz .LBB36_221
; %bb.211:
	v_max_f64 v[6:7], v[4:5], v[4:5]
	v_max_f64 v[8:9], v[148:149], v[148:149]
	v_cmp_u_f64_e32 vcc_lo, v[148:149], v[148:149]
	v_cmp_u_f64_e64 s20, v[4:5], v[4:5]
	s_delay_alu instid0(VALU_DEP_3) | instskip(SKIP_1) | instid1(VALU_DEP_2)
	v_min_f64 v[146:147], v[8:9], v[6:7]
	v_max_f64 v[6:7], v[8:9], v[6:7]
	v_dual_cndmask_b32 v8, v146, v148 :: v_dual_cndmask_b32 v9, v147, v149
	s_delay_alu instid0(VALU_DEP_2) | instskip(NEXT) | instid1(VALU_DEP_2)
	v_dual_cndmask_b32 v7, v7, v149 :: v_dual_cndmask_b32 v6, v6, v148
	v_cndmask_b32_e64 v8, v8, v4, s20
	s_delay_alu instid0(VALU_DEP_3) | instskip(NEXT) | instid1(VALU_DEP_3)
	v_cndmask_b32_e64 v9, v9, v5, s20
	v_cndmask_b32_e64 v7, v7, v5, s20
	s_delay_alu instid0(VALU_DEP_4) | instskip(SKIP_1) | instid1(VALU_DEP_4)
	v_cndmask_b32_e64 v6, v6, v4, s20
	v_dual_mov_b32 v4, v148 :: v_dual_mov_b32 v5, v149
	v_cmp_class_f64_e64 s20, v[8:9], 0x1f8
	s_delay_alu instid0(VALU_DEP_3) | instskip(NEXT) | instid1(VALU_DEP_2)
	v_cmp_neq_f64_e32 vcc_lo, v[8:9], v[6:7]
	s_or_b32 s20, vcc_lo, s20
	s_delay_alu instid0(SALU_CYCLE_1)
	s_and_saveexec_b32 s27, s20
	s_cbranch_execz .LBB36_213
; %bb.212:
	v_add_f64 v[4:5], v[8:9], -v[6:7]
	s_mov_b32 s20, 0x652b82fe
	s_mov_b32 s21, 0x3ff71547
	;; [unrolled: 1-line block ×8, first 2 shown]
	s_delay_alu instid0(VALU_DEP_1) | instskip(SKIP_3) | instid1(VALU_DEP_2)
	v_mul_f64 v[8:9], v[4:5], s[20:21]
	s_mov_b32 s20, 0xfca7ab0c
	s_mov_b32 s21, 0x3e928af3
	v_cmp_nlt_f64_e32 vcc_lo, 0x40900000, v[4:5]
	v_rndne_f64_e32 v[8:9], v[8:9]
	s_delay_alu instid0(VALU_DEP_1) | instskip(SKIP_2) | instid1(VALU_DEP_2)
	v_fma_f64 v[146:147], v[8:9], s[22:23], v[4:5]
	v_cvt_i32_f64_e32 v160, v[8:9]
	s_mov_b32 s23, 0x3fe62e42
	v_fma_f64 v[146:147], v[8:9], s[24:25], v[146:147]
	s_mov_b32 s25, 0x3c7abc9e
	s_delay_alu instid0(VALU_DEP_1) | instskip(SKIP_4) | instid1(VALU_DEP_1)
	v_fma_f64 v[150:151], v[146:147], s[28:29], s[20:21]
	s_mov_b32 s20, 0x623fde64
	s_mov_b32 s21, 0x3ec71dee
	;; [unrolled: 1-line block ×4, first 2 shown]
	v_fma_f64 v[150:151], v[146:147], v[150:151], s[20:21]
	s_mov_b32 s20, 0x7c89e6b0
	s_mov_b32 s21, 0x3efa0199
	s_delay_alu instid0(VALU_DEP_1) | instid1(SALU_CYCLE_1)
	v_fma_f64 v[150:151], v[146:147], v[150:151], s[20:21]
	s_mov_b32 s20, 0x14761f6e
	s_mov_b32 s21, 0x3f2a01a0
	s_delay_alu instid0(VALU_DEP_1) | instid1(SALU_CYCLE_1)
	;; [unrolled: 4-line block ×7, first 2 shown]
	v_fma_f64 v[150:151], v[146:147], v[150:151], s[20:21]
	v_cmp_ngt_f64_e64 s20, 0xc090cc00, v[4:5]
	s_mov_b32 s21, 0x3fe55555
	s_delay_alu instid0(VALU_DEP_2) | instskip(NEXT) | instid1(VALU_DEP_1)
	v_fma_f64 v[150:151], v[146:147], v[150:151], 1.0
	v_fma_f64 v[8:9], v[146:147], v[150:151], 1.0
	s_delay_alu instid0(VALU_DEP_1) | instskip(NEXT) | instid1(VALU_DEP_1)
	v_ldexp_f64 v[8:9], v[8:9], v160
	v_cndmask_b32_e32 v9, 0x7ff00000, v9, vcc_lo
	s_and_b32 vcc_lo, s20, vcc_lo
	s_delay_alu instid0(VALU_DEP_1) | instskip(NEXT) | instid1(VALU_DEP_3)
	v_cndmask_b32_e64 v5, 0, v9, s20
	v_cndmask_b32_e32 v4, 0, v8, vcc_lo
	s_mov_b32 s20, 0x55555555
	s_delay_alu instid0(VALU_DEP_1) | instskip(NEXT) | instid1(VALU_DEP_1)
	v_add_f64 v[8:9], v[4:5], 1.0
	v_frexp_mant_f64_e32 v[146:147], v[8:9]
	v_frexp_exp_i32_f64_e32 v160, v[8:9]
	v_add_f64 v[150:151], v[8:9], -1.0
	s_delay_alu instid0(VALU_DEP_3) | instskip(SKIP_1) | instid1(VALU_DEP_2)
	v_cmp_gt_f64_e32 vcc_lo, s[20:21], v[146:147]
	s_mov_b32 s20, 0x55555780
	v_add_f64 v[146:147], v[150:151], -v[8:9]
	v_add_f64 v[150:151], v[4:5], -v[150:151]
	v_subrev_co_ci_u32_e32 v212, vcc_lo, 0, v160, vcc_lo
	s_delay_alu instid0(VALU_DEP_3) | instskip(SKIP_2) | instid1(VALU_DEP_2)
	v_add_f64 v[146:147], v[146:147], 1.0
	s_mov_b32 vcc_lo, 0xbf559e2b
	s_mov_b32 vcc_hi, 0x3fc3ab76
	v_sub_nc_u32_e32 v162, 0, v212
	s_delay_alu instid0(VALU_DEP_1) | instskip(NEXT) | instid1(VALU_DEP_3)
	v_ldexp_f64 v[8:9], v[8:9], v162
	v_add_f64 v[146:147], v[150:151], v[146:147]
	s_delay_alu instid0(VALU_DEP_2) | instskip(SKIP_1) | instid1(VALU_DEP_3)
	v_add_f64 v[160:161], v[8:9], 1.0
	v_add_f64 v[166:167], v[8:9], -1.0
	v_ldexp_f64 v[146:147], v[146:147], v162
	s_delay_alu instid0(VALU_DEP_3) | instskip(NEXT) | instid1(VALU_DEP_3)
	v_add_f64 v[150:151], v[160:161], -1.0
	v_add_f64 v[176:177], v[166:167], 1.0
	s_delay_alu instid0(VALU_DEP_2) | instskip(NEXT) | instid1(VALU_DEP_2)
	v_add_f64 v[150:151], v[8:9], -v[150:151]
	v_add_f64 v[8:9], v[8:9], -v[176:177]
	s_delay_alu instid0(VALU_DEP_2) | instskip(NEXT) | instid1(VALU_DEP_2)
	v_add_f64 v[150:151], v[146:147], v[150:151]
	v_add_f64 v[8:9], v[146:147], v[8:9]
	s_delay_alu instid0(VALU_DEP_2) | instskip(NEXT) | instid1(VALU_DEP_2)
	v_add_f64 v[162:163], v[160:161], v[150:151]
	v_add_f64 v[176:177], v[166:167], v[8:9]
	s_delay_alu instid0(VALU_DEP_2) | instskip(SKIP_1) | instid1(VALU_DEP_2)
	v_rcp_f64_e32 v[164:165], v[162:163]
	v_add_f64 v[160:161], v[162:163], -v[160:161]
	v_add_f64 v[166:167], v[176:177], -v[166:167]
	s_delay_alu instid0(VALU_DEP_2) | instskip(SKIP_3) | instid1(VALU_DEP_2)
	v_add_f64 v[150:151], v[150:151], -v[160:161]
	s_waitcnt_depctr 0xfff
	v_fma_f64 v[224:225], -v[162:163], v[164:165], 1.0
	v_add_f64 v[8:9], v[8:9], -v[166:167]
	v_fma_f64 v[164:165], v[224:225], v[164:165], v[164:165]
	s_delay_alu instid0(VALU_DEP_1) | instskip(NEXT) | instid1(VALU_DEP_1)
	v_fma_f64 v[146:147], -v[162:163], v[164:165], 1.0
	v_fma_f64 v[146:147], v[146:147], v[164:165], v[164:165]
	s_delay_alu instid0(VALU_DEP_1) | instskip(NEXT) | instid1(VALU_DEP_1)
	v_mul_f64 v[164:165], v[176:177], v[146:147]
	v_mul_f64 v[224:225], v[162:163], v[164:165]
	s_delay_alu instid0(VALU_DEP_1) | instskip(NEXT) | instid1(VALU_DEP_1)
	v_fma_f64 v[160:161], v[164:165], v[162:163], -v[224:225]
	v_fma_f64 v[160:161], v[164:165], v[150:151], v[160:161]
	s_delay_alu instid0(VALU_DEP_1) | instskip(NEXT) | instid1(VALU_DEP_1)
	v_add_f64 v[226:227], v[224:225], v[160:161]
	v_add_f64 v[228:229], v[176:177], -v[226:227]
	v_add_f64 v[166:167], v[226:227], -v[224:225]
	s_delay_alu instid0(VALU_DEP_2) | instskip(NEXT) | instid1(VALU_DEP_2)
	v_add_f64 v[176:177], v[176:177], -v[228:229]
	v_add_f64 v[160:161], v[166:167], -v[160:161]
	s_delay_alu instid0(VALU_DEP_2) | instskip(NEXT) | instid1(VALU_DEP_1)
	v_add_f64 v[176:177], v[176:177], -v[226:227]
	v_add_f64 v[8:9], v[8:9], v[176:177]
	s_delay_alu instid0(VALU_DEP_1) | instskip(NEXT) | instid1(VALU_DEP_1)
	v_add_f64 v[8:9], v[160:161], v[8:9]
	v_add_f64 v[160:161], v[228:229], v[8:9]
	s_delay_alu instid0(VALU_DEP_1) | instskip(SKIP_1) | instid1(VALU_DEP_2)
	v_mul_f64 v[166:167], v[146:147], v[160:161]
	v_add_f64 v[226:227], v[228:229], -v[160:161]
	v_mul_f64 v[176:177], v[162:163], v[166:167]
	s_delay_alu instid0(VALU_DEP_2) | instskip(NEXT) | instid1(VALU_DEP_2)
	v_add_f64 v[8:9], v[8:9], v[226:227]
	v_fma_f64 v[162:163], v[166:167], v[162:163], -v[176:177]
	s_delay_alu instid0(VALU_DEP_1) | instskip(NEXT) | instid1(VALU_DEP_1)
	v_fma_f64 v[150:151], v[166:167], v[150:151], v[162:163]
	v_add_f64 v[162:163], v[176:177], v[150:151]
	s_delay_alu instid0(VALU_DEP_1) | instskip(SKIP_1) | instid1(VALU_DEP_2)
	v_add_f64 v[224:225], v[160:161], -v[162:163]
	v_add_f64 v[176:177], v[162:163], -v[176:177]
	;; [unrolled: 1-line block ×3, first 2 shown]
	s_delay_alu instid0(VALU_DEP_2) | instskip(NEXT) | instid1(VALU_DEP_2)
	v_add_f64 v[150:151], v[176:177], -v[150:151]
	v_add_f64 v[160:161], v[160:161], -v[162:163]
	s_delay_alu instid0(VALU_DEP_1) | instskip(SKIP_1) | instid1(VALU_DEP_2)
	v_add_f64 v[8:9], v[8:9], v[160:161]
	v_add_f64 v[160:161], v[164:165], v[166:167]
	;; [unrolled: 1-line block ×3, first 2 shown]
	s_delay_alu instid0(VALU_DEP_2) | instskip(NEXT) | instid1(VALU_DEP_2)
	v_add_f64 v[150:151], v[160:161], -v[164:165]
	v_add_f64 v[8:9], v[224:225], v[8:9]
	s_delay_alu instid0(VALU_DEP_2) | instskip(NEXT) | instid1(VALU_DEP_2)
	v_add_f64 v[150:151], v[166:167], -v[150:151]
	v_mul_f64 v[8:9], v[146:147], v[8:9]
	s_delay_alu instid0(VALU_DEP_1) | instskip(NEXT) | instid1(VALU_DEP_1)
	v_add_f64 v[8:9], v[150:151], v[8:9]
	v_add_f64 v[146:147], v[160:161], v[8:9]
	s_delay_alu instid0(VALU_DEP_1) | instskip(NEXT) | instid1(VALU_DEP_1)
	v_mul_f64 v[150:151], v[146:147], v[146:147]
	v_fma_f64 v[162:163], v[150:151], vcc, s[28:29]
	s_mov_b32 s28, 0xd7f4df2e
	s_mov_b32 s29, 0x3fc7474d
	v_mul_f64 v[164:165], v[146:147], v[150:151]
	v_cmp_eq_f64_e32 vcc_lo, 0x7ff00000, v[4:5]
	s_delay_alu instid0(VALU_DEP_3)
	v_fma_f64 v[162:163], v[150:151], v[162:163], s[28:29]
	s_mov_b32 s28, 0x16291751
	s_mov_b32 s29, 0x3fcc71c0
	s_delay_alu instid0(VALU_DEP_1) | instid1(SALU_CYCLE_1)
	v_fma_f64 v[162:163], v[150:151], v[162:163], s[28:29]
	s_mov_b32 s28, 0x9b27acf1
	s_mov_b32 s29, 0x3fd24924
	s_delay_alu instid0(VALU_DEP_1) | instid1(SALU_CYCLE_1)
	;; [unrolled: 4-line block ×3, first 2 shown]
	v_fma_f64 v[162:163], v[150:151], v[162:163], s[28:29]
	s_delay_alu instid0(VALU_DEP_1) | instskip(SKIP_2) | instid1(VALU_DEP_3)
	v_fma_f64 v[150:151], v[150:151], v[162:163], s[20:21]
	v_ldexp_f64 v[162:163], v[146:147], 1
	v_add_f64 v[146:147], v[146:147], -v[160:161]
	v_mul_f64 v[150:151], v[164:165], v[150:151]
	v_cvt_f64_i32_e32 v[164:165], v212
	s_delay_alu instid0(VALU_DEP_3) | instskip(NEXT) | instid1(VALU_DEP_3)
	v_add_f64 v[8:9], v[8:9], -v[146:147]
	v_add_f64 v[160:161], v[162:163], v[150:151]
	s_delay_alu instid0(VALU_DEP_3) | instskip(NEXT) | instid1(VALU_DEP_3)
	v_mul_f64 v[166:167], v[164:165], s[22:23]
	v_ldexp_f64 v[8:9], v[8:9], 1
	s_delay_alu instid0(VALU_DEP_3) | instskip(NEXT) | instid1(VALU_DEP_3)
	v_add_f64 v[146:147], v[160:161], -v[162:163]
	v_fma_f64 v[162:163], v[164:165], s[22:23], -v[166:167]
	s_delay_alu instid0(VALU_DEP_2) | instskip(NEXT) | instid1(VALU_DEP_2)
	v_add_f64 v[146:147], v[150:151], -v[146:147]
	v_fma_f64 v[150:151], v[164:165], s[24:25], v[162:163]
	s_delay_alu instid0(VALU_DEP_2) | instskip(NEXT) | instid1(VALU_DEP_2)
	v_add_f64 v[8:9], v[8:9], v[146:147]
	v_add_f64 v[146:147], v[166:167], v[150:151]
	s_delay_alu instid0(VALU_DEP_2) | instskip(NEXT) | instid1(VALU_DEP_2)
	v_add_f64 v[162:163], v[160:161], v[8:9]
	v_add_f64 v[166:167], v[146:147], -v[166:167]
	s_delay_alu instid0(VALU_DEP_2) | instskip(SKIP_1) | instid1(VALU_DEP_3)
	v_add_f64 v[164:165], v[146:147], v[162:163]
	v_add_f64 v[160:161], v[162:163], -v[160:161]
	v_add_f64 v[150:151], v[150:151], -v[166:167]
	s_delay_alu instid0(VALU_DEP_3) | instskip(NEXT) | instid1(VALU_DEP_3)
	v_add_f64 v[176:177], v[164:165], -v[146:147]
	v_add_f64 v[8:9], v[8:9], -v[160:161]
	s_delay_alu instid0(VALU_DEP_2) | instskip(SKIP_1) | instid1(VALU_DEP_3)
	v_add_f64 v[224:225], v[164:165], -v[176:177]
	v_add_f64 v[160:161], v[162:163], -v[176:177]
	v_add_f64 v[162:163], v[150:151], v[8:9]
	s_delay_alu instid0(VALU_DEP_3) | instskip(NEXT) | instid1(VALU_DEP_1)
	v_add_f64 v[146:147], v[146:147], -v[224:225]
	v_add_f64 v[146:147], v[160:161], v[146:147]
	s_delay_alu instid0(VALU_DEP_3) | instskip(NEXT) | instid1(VALU_DEP_2)
	v_add_f64 v[160:161], v[162:163], -v[150:151]
	v_add_f64 v[146:147], v[162:163], v[146:147]
	s_delay_alu instid0(VALU_DEP_2) | instskip(SKIP_1) | instid1(VALU_DEP_3)
	v_add_f64 v[162:163], v[162:163], -v[160:161]
	v_add_f64 v[8:9], v[8:9], -v[160:161]
	v_add_f64 v[166:167], v[164:165], v[146:147]
	s_delay_alu instid0(VALU_DEP_3) | instskip(NEXT) | instid1(VALU_DEP_2)
	v_add_f64 v[150:151], v[150:151], -v[162:163]
	v_add_f64 v[160:161], v[166:167], -v[164:165]
	s_delay_alu instid0(VALU_DEP_2) | instskip(NEXT) | instid1(VALU_DEP_2)
	v_add_f64 v[8:9], v[8:9], v[150:151]
	v_add_f64 v[146:147], v[146:147], -v[160:161]
	s_delay_alu instid0(VALU_DEP_1) | instskip(NEXT) | instid1(VALU_DEP_1)
	v_add_f64 v[8:9], v[8:9], v[146:147]
	v_add_f64 v[8:9], v[166:167], v[8:9]
	s_delay_alu instid0(VALU_DEP_1) | instskip(SKIP_1) | instid1(VALU_DEP_2)
	v_dual_cndmask_b32 v9, v9, v5 :: v_dual_cndmask_b32 v8, v8, v4
	v_cmp_ngt_f64_e32 vcc_lo, -1.0, v[4:5]
	v_cndmask_b32_e32 v9, 0x7ff80000, v9, vcc_lo
	v_cmp_nge_f64_e32 vcc_lo, -1.0, v[4:5]
	s_delay_alu instid0(VALU_DEP_4) | instskip(SKIP_1) | instid1(VALU_DEP_4)
	v_cndmask_b32_e32 v8, 0, v8, vcc_lo
	v_cmp_neq_f64_e32 vcc_lo, -1.0, v[4:5]
	v_cndmask_b32_e32 v9, 0xfff00000, v9, vcc_lo
	s_delay_alu instid0(VALU_DEP_1)
	v_add_f64 v[4:5], v[6:7], v[8:9]
.LBB36_213:
	s_or_b32 exec_lo, exec_lo, s27
	s_add_i32 s20, s72, 32
	s_mov_b32 s21, 0
	s_delay_alu instid0(SALU_CYCLE_1) | instskip(NEXT) | instid1(SALU_CYCLE_1)
	s_lshl_b64 s[20:21], s[20:21], 4
	v_add_co_u32 v8, vcc_lo, v116, s20
	v_add_co_ci_u32_e32 v9, vcc_lo, s21, v117, vcc_lo
	s_mov_b64 s[20:21], src_shared_base
	s_mov_b32 s20, exec_lo
	s_delay_alu instid0(VALU_DEP_1)
	v_cmpx_ne_u32_e64 s21, v9
	s_xor_b32 s20, exec_lo, s20
	s_cbranch_execz .LBB36_219
; %bb.214:
	s_mov_b64 s[22:23], src_private_base
	s_mov_b32 s21, exec_lo
	v_cmpx_ne_u32_e64 s23, v9
	s_xor_b32 s21, exec_lo, s21
	s_cbranch_execz .LBB36_216
; %bb.215:
	v_dual_mov_b32 v7, 0 :: v_dual_mov_b32 v6, 2
	;;#ASMSTART
	global_store_dwordx4 v[8:9], v[4:7] off	
s_waitcnt vmcnt(0)
	;;#ASMEND
                                        ; implicit-def: $vgpr4_vgpr5
                                        ; implicit-def: $vgpr8_vgpr9
.LBB36_216:
	s_and_not1_saveexec_b32 s21, s21
	s_cbranch_execz .LBB36_218
; %bb.217:
	v_dual_mov_b32 v7, 0 :: v_dual_mov_b32 v6, 2
	;;#ASMSTART
	flat_store_dwordx4 v[8:9], v[4:7] 	
s_waitcnt vmcnt(0)
	;;#ASMEND
.LBB36_218:
	s_or_b32 exec_lo, exec_lo, s21
                                        ; implicit-def: $vgpr8_vgpr9
                                        ; implicit-def: $vgpr4_vgpr5
.LBB36_219:
	s_and_not1_saveexec_b32 s20, s20
	s_cbranch_execz .LBB36_221
; %bb.220:
	v_cmp_ne_u64_e32 vcc_lo, 0, v[8:9]
	v_dual_mov_b32 v6, 2 :: v_dual_mov_b32 v7, 0
	v_cndmask_b32_e32 v8, -1, v8, vcc_lo
	;;#ASMSTART
	ds_write_b128 v8, v[4:7] 	
s_waitcnt lgkmcnt(0)
	;;#ASMEND
.LBB36_221:
	s_or_b32 exec_lo, exec_lo, s26
	s_delay_alu instid0(SALU_CYCLE_1)
	s_and_b32 exec_lo, exec_lo, s2
	s_cbranch_execz .LBB36_223
; %bb.222:
	v_mov_b32_e32 v4, 0
	ds_store_b64 v4, v[148:149] offset:56
.LBB36_223:
	s_or_b32 exec_lo, exec_lo, s73
	v_dual_mov_b32 v4, 0 :: v_dual_mov_b32 v9, v1
	s_waitcnt lgkmcnt(0)
	s_barrier
	buffer_gl0_inv
	ds_load_b64 v[4:5], v4 offset:56
	v_mov_b32_e32 v8, v0
	s_and_saveexec_b32 s24, s1
	s_cbranch_execz .LBB36_227
; %bb.224:
	v_cndmask_b32_e64 v9, v214, v145, s19
	v_cndmask_b32_e64 v8, v213, v144, s19
	s_delay_alu instid0(VALU_DEP_1) | instskip(SKIP_1) | instid1(VALU_DEP_2)
	v_max_f64 v[6:7], v[8:9], v[8:9]
	v_cmp_u_f64_e32 vcc_lo, v[8:9], v[8:9]
	v_min_f64 v[144:145], v[6:7], v[133:134]
	v_max_f64 v[6:7], v[6:7], v[133:134]
	s_delay_alu instid0(VALU_DEP_2) | instskip(NEXT) | instid1(VALU_DEP_2)
	v_dual_cndmask_b32 v133, v144, v8 :: v_dual_cndmask_b32 v134, v145, v9
	v_dual_cndmask_b32 v7, v7, v9 :: v_dual_cndmask_b32 v6, v6, v8
	s_delay_alu instid0(VALU_DEP_2) | instskip(NEXT) | instid1(VALU_DEP_3)
	v_cndmask_b32_e64 v133, v133, v0, s18
	v_cndmask_b32_e64 v134, v134, v1, s18
	s_delay_alu instid0(VALU_DEP_3) | instskip(NEXT) | instid1(VALU_DEP_4)
	v_cndmask_b32_e64 v7, v7, v1, s18
	v_cndmask_b32_e64 v6, v6, v0, s18
	s_delay_alu instid0(VALU_DEP_3) | instskip(NEXT) | instid1(VALU_DEP_2)
	v_cmp_class_f64_e64 s18, v[133:134], 0x1f8
	v_cmp_neq_f64_e32 vcc_lo, v[133:134], v[6:7]
	s_delay_alu instid0(VALU_DEP_2) | instskip(NEXT) | instid1(SALU_CYCLE_1)
	s_or_b32 s18, vcc_lo, s18
	s_and_saveexec_b32 s25, s18
	s_cbranch_execz .LBB36_226
; %bb.225:
	v_add_f64 v[8:9], v[133:134], -v[6:7]
	s_mov_b32 s18, 0x652b82fe
	s_mov_b32 s19, 0x3ff71547
	;; [unrolled: 1-line block ×10, first 2 shown]
	s_delay_alu instid0(VALU_DEP_1) | instskip(SKIP_3) | instid1(VALU_DEP_2)
	v_mul_f64 v[133:134], v[8:9], s[18:19]
	s_mov_b32 s18, 0xfca7ab0c
	s_mov_b32 s19, 0x3e928af3
	v_cmp_nlt_f64_e32 vcc_lo, 0x40900000, v[8:9]
	v_rndne_f64_e32 v[133:134], v[133:134]
	s_delay_alu instid0(VALU_DEP_1) | instskip(SKIP_2) | instid1(VALU_DEP_2)
	v_fma_f64 v[144:145], v[133:134], s[20:21], v[8:9]
	v_cvt_i32_f64_e32 v148, v[133:134]
	s_mov_b32 s21, 0x3fe62e42
	v_fma_f64 v[144:145], v[133:134], s[22:23], v[144:145]
	s_mov_b32 s23, 0x3c7abc9e
	s_delay_alu instid0(VALU_DEP_1) | instskip(SKIP_4) | instid1(VALU_DEP_1)
	v_fma_f64 v[146:147], v[144:145], s[26:27], s[18:19]
	s_mov_b32 s18, 0x623fde64
	s_mov_b32 s19, 0x3ec71dee
	;; [unrolled: 1-line block ×4, first 2 shown]
	v_fma_f64 v[146:147], v[144:145], v[146:147], s[18:19]
	s_mov_b32 s18, 0x7c89e6b0
	s_mov_b32 s19, 0x3efa0199
	s_delay_alu instid0(VALU_DEP_1) | instid1(SALU_CYCLE_1)
	v_fma_f64 v[146:147], v[144:145], v[146:147], s[18:19]
	s_mov_b32 s18, 0x14761f6e
	s_mov_b32 s19, 0x3f2a01a0
	s_delay_alu instid0(VALU_DEP_1) | instid1(SALU_CYCLE_1)
	;; [unrolled: 4-line block ×7, first 2 shown]
	v_fma_f64 v[146:147], v[144:145], v[146:147], s[18:19]
	v_cmp_ngt_f64_e64 s18, 0xc090cc00, v[8:9]
	s_mov_b32 s19, 0x3fe55555
	s_delay_alu instid0(VALU_DEP_2) | instskip(NEXT) | instid1(VALU_DEP_1)
	v_fma_f64 v[146:147], v[144:145], v[146:147], 1.0
	v_fma_f64 v[133:134], v[144:145], v[146:147], 1.0
	s_delay_alu instid0(VALU_DEP_1) | instskip(NEXT) | instid1(VALU_DEP_1)
	v_ldexp_f64 v[133:134], v[133:134], v148
	v_cndmask_b32_e32 v134, 0x7ff00000, v134, vcc_lo
	s_and_b32 vcc_lo, s18, vcc_lo
	s_delay_alu instid0(VALU_DEP_2) | instskip(NEXT) | instid1(VALU_DEP_2)
	v_cndmask_b32_e32 v8, 0, v133, vcc_lo
	v_cndmask_b32_e64 v9, 0, v134, s18
	s_mov_b32 s18, 0x55555555
	s_delay_alu instid0(VALU_DEP_1) | instskip(NEXT) | instid1(VALU_DEP_1)
	v_add_f64 v[133:134], v[8:9], 1.0
	v_frexp_mant_f64_e32 v[144:145], v[133:134]
	v_frexp_exp_i32_f64_e32 v148, v[133:134]
	v_add_f64 v[146:147], v[133:134], -1.0
	s_delay_alu instid0(VALU_DEP_3) | instskip(SKIP_1) | instid1(VALU_DEP_2)
	v_cmp_gt_f64_e32 vcc_lo, s[18:19], v[144:145]
	s_mov_b32 s18, 0x55555780
	v_add_f64 v[144:145], v[146:147], -v[133:134]
	v_add_f64 v[146:147], v[8:9], -v[146:147]
	v_subrev_co_ci_u32_e32 v214, vcc_lo, 0, v148, vcc_lo
	s_delay_alu instid0(VALU_DEP_3) | instskip(SKIP_1) | instid1(VALU_DEP_3)
	v_add_f64 v[144:145], v[144:145], 1.0
	v_cmp_eq_f64_e32 vcc_lo, 0x7ff00000, v[8:9]
	v_sub_nc_u32_e32 v150, 0, v214
	s_delay_alu instid0(VALU_DEP_1) | instskip(NEXT) | instid1(VALU_DEP_4)
	v_ldexp_f64 v[133:134], v[133:134], v150
	v_add_f64 v[144:145], v[146:147], v[144:145]
	s_delay_alu instid0(VALU_DEP_2) | instskip(SKIP_1) | instid1(VALU_DEP_3)
	v_add_f64 v[148:149], v[133:134], 1.0
	v_add_f64 v[162:163], v[133:134], -1.0
	v_ldexp_f64 v[144:145], v[144:145], v150
	s_delay_alu instid0(VALU_DEP_3) | instskip(NEXT) | instid1(VALU_DEP_3)
	v_add_f64 v[146:147], v[148:149], -1.0
	v_add_f64 v[164:165], v[162:163], 1.0
	s_delay_alu instid0(VALU_DEP_2) | instskip(NEXT) | instid1(VALU_DEP_2)
	v_add_f64 v[146:147], v[133:134], -v[146:147]
	v_add_f64 v[133:134], v[133:134], -v[164:165]
	s_delay_alu instid0(VALU_DEP_2) | instskip(NEXT) | instid1(VALU_DEP_2)
	v_add_f64 v[146:147], v[144:145], v[146:147]
	v_add_f64 v[133:134], v[144:145], v[133:134]
	s_delay_alu instid0(VALU_DEP_2) | instskip(NEXT) | instid1(VALU_DEP_2)
	v_add_f64 v[150:151], v[148:149], v[146:147]
	v_add_f64 v[164:165], v[162:163], v[133:134]
	s_delay_alu instid0(VALU_DEP_2) | instskip(SKIP_1) | instid1(VALU_DEP_2)
	v_rcp_f64_e32 v[160:161], v[150:151]
	v_add_f64 v[148:149], v[150:151], -v[148:149]
	v_add_f64 v[162:163], v[164:165], -v[162:163]
	s_delay_alu instid0(VALU_DEP_2) | instskip(SKIP_3) | instid1(VALU_DEP_2)
	v_add_f64 v[146:147], v[146:147], -v[148:149]
	s_waitcnt_depctr 0xfff
	v_fma_f64 v[166:167], -v[150:151], v[160:161], 1.0
	v_add_f64 v[133:134], v[133:134], -v[162:163]
	v_fma_f64 v[160:161], v[166:167], v[160:161], v[160:161]
	s_delay_alu instid0(VALU_DEP_1) | instskip(NEXT) | instid1(VALU_DEP_1)
	v_fma_f64 v[144:145], -v[150:151], v[160:161], 1.0
	v_fma_f64 v[144:145], v[144:145], v[160:161], v[160:161]
	s_delay_alu instid0(VALU_DEP_1) | instskip(NEXT) | instid1(VALU_DEP_1)
	v_mul_f64 v[160:161], v[164:165], v[144:145]
	v_mul_f64 v[166:167], v[150:151], v[160:161]
	s_delay_alu instid0(VALU_DEP_1) | instskip(NEXT) | instid1(VALU_DEP_1)
	v_fma_f64 v[148:149], v[160:161], v[150:151], -v[166:167]
	v_fma_f64 v[148:149], v[160:161], v[146:147], v[148:149]
	s_delay_alu instid0(VALU_DEP_1) | instskip(NEXT) | instid1(VALU_DEP_1)
	v_add_f64 v[176:177], v[166:167], v[148:149]
	v_add_f64 v[212:213], v[164:165], -v[176:177]
	v_add_f64 v[162:163], v[176:177], -v[166:167]
	s_delay_alu instid0(VALU_DEP_2) | instskip(NEXT) | instid1(VALU_DEP_2)
	v_add_f64 v[164:165], v[164:165], -v[212:213]
	v_add_f64 v[148:149], v[162:163], -v[148:149]
	s_delay_alu instid0(VALU_DEP_2) | instskip(NEXT) | instid1(VALU_DEP_1)
	v_add_f64 v[164:165], v[164:165], -v[176:177]
	v_add_f64 v[133:134], v[133:134], v[164:165]
	s_delay_alu instid0(VALU_DEP_1) | instskip(NEXT) | instid1(VALU_DEP_1)
	v_add_f64 v[133:134], v[148:149], v[133:134]
	v_add_f64 v[148:149], v[212:213], v[133:134]
	s_delay_alu instid0(VALU_DEP_1) | instskip(SKIP_1) | instid1(VALU_DEP_2)
	v_mul_f64 v[162:163], v[144:145], v[148:149]
	v_add_f64 v[176:177], v[212:213], -v[148:149]
	v_mul_f64 v[164:165], v[150:151], v[162:163]
	s_delay_alu instid0(VALU_DEP_2) | instskip(NEXT) | instid1(VALU_DEP_2)
	v_add_f64 v[133:134], v[133:134], v[176:177]
	v_fma_f64 v[150:151], v[162:163], v[150:151], -v[164:165]
	s_delay_alu instid0(VALU_DEP_1) | instskip(NEXT) | instid1(VALU_DEP_1)
	v_fma_f64 v[146:147], v[162:163], v[146:147], v[150:151]
	v_add_f64 v[150:151], v[164:165], v[146:147]
	s_delay_alu instid0(VALU_DEP_1) | instskip(SKIP_1) | instid1(VALU_DEP_2)
	v_add_f64 v[166:167], v[148:149], -v[150:151]
	v_add_f64 v[164:165], v[150:151], -v[164:165]
	;; [unrolled: 1-line block ×3, first 2 shown]
	s_delay_alu instid0(VALU_DEP_2) | instskip(NEXT) | instid1(VALU_DEP_2)
	v_add_f64 v[146:147], v[164:165], -v[146:147]
	v_add_f64 v[148:149], v[148:149], -v[150:151]
	s_delay_alu instid0(VALU_DEP_1) | instskip(SKIP_1) | instid1(VALU_DEP_2)
	v_add_f64 v[133:134], v[133:134], v[148:149]
	v_add_f64 v[148:149], v[160:161], v[162:163]
	;; [unrolled: 1-line block ×3, first 2 shown]
	s_delay_alu instid0(VALU_DEP_2) | instskip(NEXT) | instid1(VALU_DEP_2)
	v_add_f64 v[146:147], v[148:149], -v[160:161]
	v_add_f64 v[133:134], v[166:167], v[133:134]
	s_delay_alu instid0(VALU_DEP_2) | instskip(NEXT) | instid1(VALU_DEP_2)
	v_add_f64 v[146:147], v[162:163], -v[146:147]
	v_mul_f64 v[133:134], v[144:145], v[133:134]
	s_delay_alu instid0(VALU_DEP_1) | instskip(NEXT) | instid1(VALU_DEP_1)
	v_add_f64 v[133:134], v[146:147], v[133:134]
	v_add_f64 v[144:145], v[148:149], v[133:134]
	s_delay_alu instid0(VALU_DEP_1) | instskip(NEXT) | instid1(VALU_DEP_1)
	v_mul_f64 v[146:147], v[144:145], v[144:145]
	v_fma_f64 v[150:151], v[146:147], s[28:29], s[26:27]
	s_mov_b32 s26, 0xd7f4df2e
	s_mov_b32 s27, 0x3fc7474d
	v_mul_f64 v[160:161], v[144:145], v[146:147]
	s_delay_alu instid0(VALU_DEP_2)
	v_fma_f64 v[150:151], v[146:147], v[150:151], s[26:27]
	s_mov_b32 s26, 0x16291751
	s_mov_b32 s27, 0x3fcc71c0
	s_delay_alu instid0(VALU_DEP_1) | instid1(SALU_CYCLE_1)
	v_fma_f64 v[150:151], v[146:147], v[150:151], s[26:27]
	s_mov_b32 s26, 0x9b27acf1
	s_mov_b32 s27, 0x3fd24924
	s_delay_alu instid0(VALU_DEP_1) | instid1(SALU_CYCLE_1)
	v_fma_f64 v[150:151], v[146:147], v[150:151], s[26:27]
	s_mov_b32 s26, 0x998ef7b6
	s_mov_b32 s27, 0x3fd99999
	s_delay_alu instid0(VALU_DEP_1) | instid1(SALU_CYCLE_1)
	v_fma_f64 v[150:151], v[146:147], v[150:151], s[26:27]
	s_delay_alu instid0(VALU_DEP_1) | instskip(SKIP_2) | instid1(VALU_DEP_3)
	v_fma_f64 v[146:147], v[146:147], v[150:151], s[18:19]
	v_ldexp_f64 v[150:151], v[144:145], 1
	v_add_f64 v[144:145], v[144:145], -v[148:149]
	v_mul_f64 v[146:147], v[160:161], v[146:147]
	v_cvt_f64_i32_e32 v[160:161], v214
	s_delay_alu instid0(VALU_DEP_3) | instskip(NEXT) | instid1(VALU_DEP_3)
	v_add_f64 v[133:134], v[133:134], -v[144:145]
	v_add_f64 v[148:149], v[150:151], v[146:147]
	s_delay_alu instid0(VALU_DEP_3) | instskip(NEXT) | instid1(VALU_DEP_3)
	v_mul_f64 v[162:163], v[160:161], s[20:21]
	v_ldexp_f64 v[133:134], v[133:134], 1
	s_delay_alu instid0(VALU_DEP_3) | instskip(NEXT) | instid1(VALU_DEP_3)
	v_add_f64 v[144:145], v[148:149], -v[150:151]
	v_fma_f64 v[150:151], v[160:161], s[20:21], -v[162:163]
	s_delay_alu instid0(VALU_DEP_2) | instskip(NEXT) | instid1(VALU_DEP_2)
	v_add_f64 v[144:145], v[146:147], -v[144:145]
	v_fma_f64 v[146:147], v[160:161], s[22:23], v[150:151]
	s_delay_alu instid0(VALU_DEP_2) | instskip(NEXT) | instid1(VALU_DEP_2)
	v_add_f64 v[133:134], v[133:134], v[144:145]
	v_add_f64 v[144:145], v[162:163], v[146:147]
	s_delay_alu instid0(VALU_DEP_2) | instskip(NEXT) | instid1(VALU_DEP_2)
	v_add_f64 v[150:151], v[148:149], v[133:134]
	v_add_f64 v[162:163], v[144:145], -v[162:163]
	s_delay_alu instid0(VALU_DEP_2) | instskip(SKIP_1) | instid1(VALU_DEP_3)
	v_add_f64 v[160:161], v[144:145], v[150:151]
	v_add_f64 v[148:149], v[150:151], -v[148:149]
	v_add_f64 v[146:147], v[146:147], -v[162:163]
	s_delay_alu instid0(VALU_DEP_3) | instskip(NEXT) | instid1(VALU_DEP_3)
	v_add_f64 v[164:165], v[160:161], -v[144:145]
	v_add_f64 v[133:134], v[133:134], -v[148:149]
	s_delay_alu instid0(VALU_DEP_2) | instskip(SKIP_1) | instid1(VALU_DEP_3)
	v_add_f64 v[166:167], v[160:161], -v[164:165]
	v_add_f64 v[148:149], v[150:151], -v[164:165]
	v_add_f64 v[150:151], v[146:147], v[133:134]
	s_delay_alu instid0(VALU_DEP_3) | instskip(NEXT) | instid1(VALU_DEP_1)
	v_add_f64 v[144:145], v[144:145], -v[166:167]
	v_add_f64 v[144:145], v[148:149], v[144:145]
	s_delay_alu instid0(VALU_DEP_3) | instskip(NEXT) | instid1(VALU_DEP_2)
	v_add_f64 v[148:149], v[150:151], -v[146:147]
	v_add_f64 v[144:145], v[150:151], v[144:145]
	s_delay_alu instid0(VALU_DEP_2) | instskip(SKIP_1) | instid1(VALU_DEP_3)
	v_add_f64 v[150:151], v[150:151], -v[148:149]
	v_add_f64 v[133:134], v[133:134], -v[148:149]
	v_add_f64 v[162:163], v[160:161], v[144:145]
	s_delay_alu instid0(VALU_DEP_3) | instskip(NEXT) | instid1(VALU_DEP_2)
	v_add_f64 v[146:147], v[146:147], -v[150:151]
	v_add_f64 v[148:149], v[162:163], -v[160:161]
	s_delay_alu instid0(VALU_DEP_2) | instskip(NEXT) | instid1(VALU_DEP_2)
	v_add_f64 v[133:134], v[133:134], v[146:147]
	v_add_f64 v[144:145], v[144:145], -v[148:149]
	s_delay_alu instid0(VALU_DEP_1) | instskip(NEXT) | instid1(VALU_DEP_1)
	v_add_f64 v[133:134], v[133:134], v[144:145]
	v_add_f64 v[133:134], v[162:163], v[133:134]
	s_delay_alu instid0(VALU_DEP_1) | instskip(SKIP_1) | instid1(VALU_DEP_2)
	v_dual_cndmask_b32 v133, v133, v8 :: v_dual_cndmask_b32 v134, v134, v9
	v_cmp_ngt_f64_e32 vcc_lo, -1.0, v[8:9]
	v_cndmask_b32_e32 v134, 0x7ff80000, v134, vcc_lo
	v_cmp_nge_f64_e32 vcc_lo, -1.0, v[8:9]
	s_delay_alu instid0(VALU_DEP_4) | instskip(SKIP_1) | instid1(VALU_DEP_4)
	v_cndmask_b32_e32 v133, 0, v133, vcc_lo
	v_cmp_neq_f64_e32 vcc_lo, -1.0, v[8:9]
	v_cndmask_b32_e32 v134, 0xfff00000, v134, vcc_lo
	s_delay_alu instid0(VALU_DEP_1)
	v_add_f64 v[8:9], v[6:7], v[133:134]
.LBB36_226:
	s_or_b32 exec_lo, exec_lo, s25
.LBB36_227:
	s_delay_alu instid0(SALU_CYCLE_1) | instskip(NEXT) | instid1(VALU_DEP_1)
	s_or_b32 exec_lo, exec_lo, s24
	v_max_f64 v[6:7], v[8:9], v[8:9]
	s_waitcnt lgkmcnt(0)
	v_max_f64 v[133:134], v[4:5], v[4:5]
	v_cmp_u_f64_e32 vcc_lo, v[4:5], v[4:5]
	v_cmp_u_f64_e64 s18, v[8:9], v[8:9]
	s_delay_alu instid0(VALU_DEP_3) | instskip(SKIP_1) | instid1(VALU_DEP_2)
	v_min_f64 v[144:145], v[133:134], v[6:7]
	v_max_f64 v[6:7], v[133:134], v[6:7]
	v_dual_cndmask_b32 v133, v144, v4 :: v_dual_cndmask_b32 v134, v145, v5
	s_delay_alu instid0(VALU_DEP_2) | instskip(NEXT) | instid1(VALU_DEP_2)
	v_dual_cndmask_b32 v7, v7, v5 :: v_dual_cndmask_b32 v6, v6, v4
	v_cndmask_b32_e64 v133, v133, v8, s18
	s_delay_alu instid0(VALU_DEP_3) | instskip(NEXT) | instid1(VALU_DEP_3)
	v_cndmask_b32_e64 v134, v134, v9, s18
	v_cndmask_b32_e64 v7, v7, v9, s18
	s_delay_alu instid0(VALU_DEP_4) | instskip(NEXT) | instid1(VALU_DEP_3)
	v_cndmask_b32_e64 v6, v6, v8, s18
	v_cmp_class_f64_e64 s18, v[133:134], 0x1f8
	s_delay_alu instid0(VALU_DEP_2) | instskip(NEXT) | instid1(VALU_DEP_2)
	v_cmp_neq_f64_e32 vcc_lo, v[133:134], v[6:7]
	s_or_b32 s18, vcc_lo, s18
	s_delay_alu instid0(SALU_CYCLE_1)
	s_and_saveexec_b32 s24, s18
	s_cbranch_execz .LBB36_229
; %bb.228:
	v_add_f64 v[4:5], v[133:134], -v[6:7]
	s_mov_b32 s18, 0x652b82fe
	s_mov_b32 s19, 0x3ff71547
	;; [unrolled: 1-line block ×10, first 2 shown]
	s_delay_alu instid0(VALU_DEP_1) | instskip(SKIP_3) | instid1(VALU_DEP_2)
	v_mul_f64 v[8:9], v[4:5], s[18:19]
	s_mov_b32 s18, 0xfca7ab0c
	s_mov_b32 s19, 0x3e928af3
	v_cmp_nlt_f64_e32 vcc_lo, 0x40900000, v[4:5]
	v_rndne_f64_e32 v[8:9], v[8:9]
	s_delay_alu instid0(VALU_DEP_1) | instskip(SKIP_2) | instid1(VALU_DEP_2)
	v_fma_f64 v[133:134], v[8:9], s[20:21], v[4:5]
	v_cvt_i32_f64_e32 v146, v[8:9]
	s_mov_b32 s21, 0x3fe62e42
	v_fma_f64 v[133:134], v[8:9], s[22:23], v[133:134]
	s_mov_b32 s23, 0x3c7abc9e
	s_delay_alu instid0(VALU_DEP_1) | instskip(SKIP_4) | instid1(VALU_DEP_1)
	v_fma_f64 v[144:145], v[133:134], s[26:27], s[18:19]
	s_mov_b32 s18, 0x623fde64
	s_mov_b32 s19, 0x3ec71dee
	;; [unrolled: 1-line block ×4, first 2 shown]
	v_fma_f64 v[144:145], v[133:134], v[144:145], s[18:19]
	s_mov_b32 s18, 0x7c89e6b0
	s_mov_b32 s19, 0x3efa0199
	s_delay_alu instid0(VALU_DEP_1) | instid1(SALU_CYCLE_1)
	v_fma_f64 v[144:145], v[133:134], v[144:145], s[18:19]
	s_mov_b32 s18, 0x14761f6e
	s_mov_b32 s19, 0x3f2a01a0
	s_delay_alu instid0(VALU_DEP_1) | instid1(SALU_CYCLE_1)
	;; [unrolled: 4-line block ×7, first 2 shown]
	v_fma_f64 v[144:145], v[133:134], v[144:145], s[18:19]
	v_cmp_ngt_f64_e64 s18, 0xc090cc00, v[4:5]
	s_mov_b32 s19, 0x3fe55555
	s_delay_alu instid0(VALU_DEP_2) | instskip(NEXT) | instid1(VALU_DEP_1)
	v_fma_f64 v[144:145], v[133:134], v[144:145], 1.0
	v_fma_f64 v[8:9], v[133:134], v[144:145], 1.0
	s_delay_alu instid0(VALU_DEP_1) | instskip(NEXT) | instid1(VALU_DEP_1)
	v_ldexp_f64 v[8:9], v[8:9], v146
	v_cndmask_b32_e32 v9, 0x7ff00000, v9, vcc_lo
	s_and_b32 vcc_lo, s18, vcc_lo
	s_delay_alu instid0(VALU_DEP_1) | instskip(NEXT) | instid1(VALU_DEP_3)
	v_cndmask_b32_e64 v5, 0, v9, s18
	v_cndmask_b32_e32 v4, 0, v8, vcc_lo
	s_mov_b32 s18, 0x55555555
	s_delay_alu instid0(VALU_DEP_1) | instskip(NEXT) | instid1(VALU_DEP_1)
	v_add_f64 v[8:9], v[4:5], 1.0
	v_frexp_mant_f64_e32 v[133:134], v[8:9]
	v_frexp_exp_i32_f64_e32 v146, v[8:9]
	v_add_f64 v[144:145], v[8:9], -1.0
	s_delay_alu instid0(VALU_DEP_3) | instskip(SKIP_1) | instid1(VALU_DEP_2)
	v_cmp_gt_f64_e32 vcc_lo, s[18:19], v[133:134]
	s_mov_b32 s18, 0x55555780
	v_add_f64 v[133:134], v[144:145], -v[8:9]
	v_add_f64 v[144:145], v[4:5], -v[144:145]
	v_subrev_co_ci_u32_e32 v212, vcc_lo, 0, v146, vcc_lo
	s_delay_alu instid0(VALU_DEP_3) | instskip(SKIP_1) | instid1(VALU_DEP_3)
	v_add_f64 v[133:134], v[133:134], 1.0
	v_cmp_eq_f64_e32 vcc_lo, 0x7ff00000, v[4:5]
	v_sub_nc_u32_e32 v148, 0, v212
	s_delay_alu instid0(VALU_DEP_1) | instskip(NEXT) | instid1(VALU_DEP_4)
	v_ldexp_f64 v[8:9], v[8:9], v148
	v_add_f64 v[133:134], v[144:145], v[133:134]
	s_delay_alu instid0(VALU_DEP_2) | instskip(SKIP_1) | instid1(VALU_DEP_3)
	v_add_f64 v[146:147], v[8:9], 1.0
	v_add_f64 v[160:161], v[8:9], -1.0
	v_ldexp_f64 v[133:134], v[133:134], v148
	s_delay_alu instid0(VALU_DEP_3) | instskip(NEXT) | instid1(VALU_DEP_3)
	v_add_f64 v[144:145], v[146:147], -1.0
	v_add_f64 v[162:163], v[160:161], 1.0
	s_delay_alu instid0(VALU_DEP_2) | instskip(NEXT) | instid1(VALU_DEP_2)
	v_add_f64 v[144:145], v[8:9], -v[144:145]
	v_add_f64 v[8:9], v[8:9], -v[162:163]
	s_delay_alu instid0(VALU_DEP_2) | instskip(NEXT) | instid1(VALU_DEP_2)
	v_add_f64 v[144:145], v[133:134], v[144:145]
	v_add_f64 v[8:9], v[133:134], v[8:9]
	s_delay_alu instid0(VALU_DEP_2) | instskip(NEXT) | instid1(VALU_DEP_2)
	v_add_f64 v[148:149], v[146:147], v[144:145]
	v_add_f64 v[162:163], v[160:161], v[8:9]
	s_delay_alu instid0(VALU_DEP_2) | instskip(SKIP_1) | instid1(VALU_DEP_2)
	v_rcp_f64_e32 v[150:151], v[148:149]
	v_add_f64 v[146:147], v[148:149], -v[146:147]
	v_add_f64 v[160:161], v[162:163], -v[160:161]
	s_delay_alu instid0(VALU_DEP_2) | instskip(SKIP_3) | instid1(VALU_DEP_2)
	v_add_f64 v[144:145], v[144:145], -v[146:147]
	s_waitcnt_depctr 0xfff
	v_fma_f64 v[164:165], -v[148:149], v[150:151], 1.0
	v_add_f64 v[8:9], v[8:9], -v[160:161]
	v_fma_f64 v[150:151], v[164:165], v[150:151], v[150:151]
	s_delay_alu instid0(VALU_DEP_1) | instskip(NEXT) | instid1(VALU_DEP_1)
	v_fma_f64 v[133:134], -v[148:149], v[150:151], 1.0
	v_fma_f64 v[133:134], v[133:134], v[150:151], v[150:151]
	s_delay_alu instid0(VALU_DEP_1) | instskip(NEXT) | instid1(VALU_DEP_1)
	v_mul_f64 v[150:151], v[162:163], v[133:134]
	v_mul_f64 v[164:165], v[148:149], v[150:151]
	s_delay_alu instid0(VALU_DEP_1) | instskip(NEXT) | instid1(VALU_DEP_1)
	v_fma_f64 v[146:147], v[150:151], v[148:149], -v[164:165]
	v_fma_f64 v[146:147], v[150:151], v[144:145], v[146:147]
	s_delay_alu instid0(VALU_DEP_1) | instskip(NEXT) | instid1(VALU_DEP_1)
	v_add_f64 v[166:167], v[164:165], v[146:147]
	v_add_f64 v[176:177], v[162:163], -v[166:167]
	v_add_f64 v[160:161], v[166:167], -v[164:165]
	s_delay_alu instid0(VALU_DEP_2) | instskip(NEXT) | instid1(VALU_DEP_2)
	v_add_f64 v[162:163], v[162:163], -v[176:177]
	v_add_f64 v[146:147], v[160:161], -v[146:147]
	s_delay_alu instid0(VALU_DEP_2) | instskip(NEXT) | instid1(VALU_DEP_1)
	v_add_f64 v[162:163], v[162:163], -v[166:167]
	v_add_f64 v[8:9], v[8:9], v[162:163]
	s_delay_alu instid0(VALU_DEP_1) | instskip(NEXT) | instid1(VALU_DEP_1)
	v_add_f64 v[8:9], v[146:147], v[8:9]
	v_add_f64 v[146:147], v[176:177], v[8:9]
	s_delay_alu instid0(VALU_DEP_1) | instskip(SKIP_1) | instid1(VALU_DEP_2)
	v_mul_f64 v[160:161], v[133:134], v[146:147]
	v_add_f64 v[166:167], v[176:177], -v[146:147]
	v_mul_f64 v[162:163], v[148:149], v[160:161]
	s_delay_alu instid0(VALU_DEP_2) | instskip(NEXT) | instid1(VALU_DEP_2)
	v_add_f64 v[8:9], v[8:9], v[166:167]
	v_fma_f64 v[148:149], v[160:161], v[148:149], -v[162:163]
	s_delay_alu instid0(VALU_DEP_1) | instskip(NEXT) | instid1(VALU_DEP_1)
	v_fma_f64 v[144:145], v[160:161], v[144:145], v[148:149]
	v_add_f64 v[148:149], v[162:163], v[144:145]
	s_delay_alu instid0(VALU_DEP_1) | instskip(SKIP_1) | instid1(VALU_DEP_2)
	v_add_f64 v[164:165], v[146:147], -v[148:149]
	v_add_f64 v[162:163], v[148:149], -v[162:163]
	;; [unrolled: 1-line block ×3, first 2 shown]
	s_delay_alu instid0(VALU_DEP_2) | instskip(NEXT) | instid1(VALU_DEP_2)
	v_add_f64 v[144:145], v[162:163], -v[144:145]
	v_add_f64 v[146:147], v[146:147], -v[148:149]
	s_delay_alu instid0(VALU_DEP_1) | instskip(SKIP_1) | instid1(VALU_DEP_2)
	v_add_f64 v[8:9], v[8:9], v[146:147]
	v_add_f64 v[146:147], v[150:151], v[160:161]
	;; [unrolled: 1-line block ×3, first 2 shown]
	s_delay_alu instid0(VALU_DEP_2) | instskip(NEXT) | instid1(VALU_DEP_2)
	v_add_f64 v[144:145], v[146:147], -v[150:151]
	v_add_f64 v[8:9], v[164:165], v[8:9]
	s_delay_alu instid0(VALU_DEP_2) | instskip(NEXT) | instid1(VALU_DEP_2)
	v_add_f64 v[144:145], v[160:161], -v[144:145]
	v_mul_f64 v[8:9], v[133:134], v[8:9]
	s_delay_alu instid0(VALU_DEP_1) | instskip(NEXT) | instid1(VALU_DEP_1)
	v_add_f64 v[8:9], v[144:145], v[8:9]
	v_add_f64 v[133:134], v[146:147], v[8:9]
	s_delay_alu instid0(VALU_DEP_1) | instskip(NEXT) | instid1(VALU_DEP_1)
	v_mul_f64 v[144:145], v[133:134], v[133:134]
	v_fma_f64 v[148:149], v[144:145], s[28:29], s[26:27]
	s_mov_b32 s26, 0xd7f4df2e
	s_mov_b32 s27, 0x3fc7474d
	v_mul_f64 v[150:151], v[133:134], v[144:145]
	s_delay_alu instid0(VALU_DEP_2)
	v_fma_f64 v[148:149], v[144:145], v[148:149], s[26:27]
	s_mov_b32 s26, 0x16291751
	s_mov_b32 s27, 0x3fcc71c0
	s_delay_alu instid0(VALU_DEP_1) | instid1(SALU_CYCLE_1)
	v_fma_f64 v[148:149], v[144:145], v[148:149], s[26:27]
	s_mov_b32 s26, 0x9b27acf1
	s_mov_b32 s27, 0x3fd24924
	s_delay_alu instid0(VALU_DEP_1) | instid1(SALU_CYCLE_1)
	v_fma_f64 v[148:149], v[144:145], v[148:149], s[26:27]
	s_mov_b32 s26, 0x998ef7b6
	s_mov_b32 s27, 0x3fd99999
	s_delay_alu instid0(VALU_DEP_1) | instid1(SALU_CYCLE_1)
	v_fma_f64 v[148:149], v[144:145], v[148:149], s[26:27]
	s_delay_alu instid0(VALU_DEP_1) | instskip(SKIP_2) | instid1(VALU_DEP_3)
	v_fma_f64 v[144:145], v[144:145], v[148:149], s[18:19]
	v_ldexp_f64 v[148:149], v[133:134], 1
	v_add_f64 v[133:134], v[133:134], -v[146:147]
	v_mul_f64 v[144:145], v[150:151], v[144:145]
	v_cvt_f64_i32_e32 v[150:151], v212
	s_delay_alu instid0(VALU_DEP_3) | instskip(NEXT) | instid1(VALU_DEP_3)
	v_add_f64 v[8:9], v[8:9], -v[133:134]
	v_add_f64 v[146:147], v[148:149], v[144:145]
	s_delay_alu instid0(VALU_DEP_3) | instskip(NEXT) | instid1(VALU_DEP_3)
	v_mul_f64 v[160:161], v[150:151], s[20:21]
	v_ldexp_f64 v[8:9], v[8:9], 1
	s_delay_alu instid0(VALU_DEP_3) | instskip(NEXT) | instid1(VALU_DEP_3)
	v_add_f64 v[133:134], v[146:147], -v[148:149]
	v_fma_f64 v[148:149], v[150:151], s[20:21], -v[160:161]
	s_delay_alu instid0(VALU_DEP_2) | instskip(NEXT) | instid1(VALU_DEP_2)
	v_add_f64 v[133:134], v[144:145], -v[133:134]
	v_fma_f64 v[144:145], v[150:151], s[22:23], v[148:149]
	s_delay_alu instid0(VALU_DEP_2) | instskip(NEXT) | instid1(VALU_DEP_2)
	v_add_f64 v[8:9], v[8:9], v[133:134]
	v_add_f64 v[133:134], v[160:161], v[144:145]
	s_delay_alu instid0(VALU_DEP_2) | instskip(NEXT) | instid1(VALU_DEP_2)
	v_add_f64 v[148:149], v[146:147], v[8:9]
	v_add_f64 v[160:161], v[133:134], -v[160:161]
	s_delay_alu instid0(VALU_DEP_2) | instskip(SKIP_1) | instid1(VALU_DEP_3)
	v_add_f64 v[150:151], v[133:134], v[148:149]
	v_add_f64 v[146:147], v[148:149], -v[146:147]
	v_add_f64 v[144:145], v[144:145], -v[160:161]
	s_delay_alu instid0(VALU_DEP_3) | instskip(NEXT) | instid1(VALU_DEP_3)
	v_add_f64 v[162:163], v[150:151], -v[133:134]
	v_add_f64 v[8:9], v[8:9], -v[146:147]
	s_delay_alu instid0(VALU_DEP_2) | instskip(SKIP_1) | instid1(VALU_DEP_3)
	v_add_f64 v[164:165], v[150:151], -v[162:163]
	v_add_f64 v[146:147], v[148:149], -v[162:163]
	v_add_f64 v[148:149], v[144:145], v[8:9]
	s_delay_alu instid0(VALU_DEP_3) | instskip(NEXT) | instid1(VALU_DEP_1)
	v_add_f64 v[133:134], v[133:134], -v[164:165]
	v_add_f64 v[133:134], v[146:147], v[133:134]
	s_delay_alu instid0(VALU_DEP_3) | instskip(NEXT) | instid1(VALU_DEP_2)
	v_add_f64 v[146:147], v[148:149], -v[144:145]
	v_add_f64 v[133:134], v[148:149], v[133:134]
	s_delay_alu instid0(VALU_DEP_2) | instskip(SKIP_1) | instid1(VALU_DEP_3)
	v_add_f64 v[148:149], v[148:149], -v[146:147]
	v_add_f64 v[8:9], v[8:9], -v[146:147]
	v_add_f64 v[160:161], v[150:151], v[133:134]
	s_delay_alu instid0(VALU_DEP_3) | instskip(NEXT) | instid1(VALU_DEP_2)
	v_add_f64 v[144:145], v[144:145], -v[148:149]
	v_add_f64 v[146:147], v[160:161], -v[150:151]
	s_delay_alu instid0(VALU_DEP_2) | instskip(NEXT) | instid1(VALU_DEP_2)
	v_add_f64 v[8:9], v[8:9], v[144:145]
	v_add_f64 v[133:134], v[133:134], -v[146:147]
	s_delay_alu instid0(VALU_DEP_1) | instskip(NEXT) | instid1(VALU_DEP_1)
	v_add_f64 v[8:9], v[8:9], v[133:134]
	v_add_f64 v[8:9], v[160:161], v[8:9]
	s_delay_alu instid0(VALU_DEP_1) | instskip(SKIP_1) | instid1(VALU_DEP_2)
	v_dual_cndmask_b32 v9, v9, v5 :: v_dual_cndmask_b32 v8, v8, v4
	v_cmp_ngt_f64_e32 vcc_lo, -1.0, v[4:5]
	v_cndmask_b32_e32 v9, 0x7ff80000, v9, vcc_lo
	v_cmp_nge_f64_e32 vcc_lo, -1.0, v[4:5]
	s_delay_alu instid0(VALU_DEP_4) | instskip(SKIP_1) | instid1(VALU_DEP_4)
	v_cndmask_b32_e32 v8, 0, v8, vcc_lo
	v_cmp_neq_f64_e32 vcc_lo, -1.0, v[4:5]
	v_cndmask_b32_e32 v9, 0xfff00000, v9, vcc_lo
	s_delay_alu instid0(VALU_DEP_1)
	v_add_f64 v[4:5], v[6:7], v[8:9]
.LBB36_229:
	s_or_b32 exec_lo, exec_lo, s24
	s_delay_alu instid0(VALU_DEP_1) | instskip(SKIP_1) | instid1(VALU_DEP_2)
	v_max_f64 v[6:7], v[4:5], v[4:5]
	v_cmp_u_f64_e32 vcc_lo, v[4:5], v[4:5]
	v_min_f64 v[8:9], v[6:7], v[54:55]
	v_max_f64 v[6:7], v[6:7], v[54:55]
	s_delay_alu instid0(VALU_DEP_2) | instskip(NEXT) | instid1(VALU_DEP_2)
	v_dual_cndmask_b32 v8, v8, v4 :: v_dual_cndmask_b32 v9, v9, v5
	v_dual_cndmask_b32 v7, v7, v5 :: v_dual_cndmask_b32 v6, v6, v4
	s_delay_alu instid0(VALU_DEP_2) | instskip(NEXT) | instid1(VALU_DEP_3)
	v_cndmask_b32_e64 v133, v8, v2, s3
	v_cndmask_b32_e64 v134, v9, v3, s3
	s_delay_alu instid0(VALU_DEP_3) | instskip(NEXT) | instid1(VALU_DEP_4)
	v_cndmask_b32_e64 v9, v7, v3, s3
	v_cndmask_b32_e64 v8, v6, v2, s3
	v_dual_mov_b32 v7, v5 :: v_dual_mov_b32 v6, v4
	s_delay_alu instid0(VALU_DEP_4) | instskip(NEXT) | instid1(VALU_DEP_3)
	v_cmp_class_f64_e64 s3, v[133:134], 0x1f8
	v_cmp_neq_f64_e32 vcc_lo, v[133:134], v[8:9]
	s_delay_alu instid0(VALU_DEP_2) | instskip(NEXT) | instid1(SALU_CYCLE_1)
	s_or_b32 s3, vcc_lo, s3
	s_and_saveexec_b32 s24, s3
	s_cbranch_execz .LBB36_231
; %bb.230:
	v_add_f64 v[6:7], v[133:134], -v[8:9]
	s_mov_b32 s18, 0x652b82fe
	s_mov_b32 s19, 0x3ff71547
	;; [unrolled: 1-line block ×10, first 2 shown]
	s_delay_alu instid0(VALU_DEP_1) | instskip(SKIP_4) | instid1(VALU_DEP_3)
	v_mul_f64 v[133:134], v[6:7], s[18:19]
	s_mov_b32 s19, 0xbfe62e42
	s_mov_b32 s18, 0xfefa39ef
	v_cmp_nlt_f64_e32 vcc_lo, 0x40900000, v[6:7]
	v_cmp_ngt_f64_e64 s3, 0xc090cc00, v[6:7]
	v_rndne_f64_e32 v[133:134], v[133:134]
	s_delay_alu instid0(VALU_DEP_1) | instskip(SKIP_2) | instid1(VALU_DEP_2)
	v_fma_f64 v[144:145], v[133:134], s[18:19], v[6:7]
	v_cvt_i32_f64_e32 v148, v[133:134]
	s_mov_b32 s19, 0x3fe62e42
	v_fma_f64 v[144:145], v[133:134], s[20:21], v[144:145]
	s_mov_b32 s21, 0x3c7abc9e
	s_delay_alu instid0(VALU_DEP_1) | instskip(SKIP_4) | instid1(VALU_DEP_1)
	v_fma_f64 v[146:147], v[144:145], s[26:27], s[22:23]
	s_mov_b32 s22, 0x623fde64
	s_mov_b32 s23, 0x3ec71dee
	;; [unrolled: 1-line block ×4, first 2 shown]
	v_fma_f64 v[146:147], v[144:145], v[146:147], s[22:23]
	s_mov_b32 s22, 0x7c89e6b0
	s_mov_b32 s23, 0x3efa0199
	s_delay_alu instid0(VALU_DEP_1) | instid1(SALU_CYCLE_1)
	v_fma_f64 v[146:147], v[144:145], v[146:147], s[22:23]
	s_mov_b32 s22, 0x14761f6e
	s_mov_b32 s23, 0x3f2a01a0
	s_delay_alu instid0(VALU_DEP_1) | instid1(SALU_CYCLE_1)
	;; [unrolled: 4-line block ×7, first 2 shown]
	v_fma_f64 v[146:147], v[144:145], v[146:147], s[22:23]
	s_mov_b32 s23, 0x3fe55555
	s_mov_b32 s22, 0x55555555
	s_delay_alu instid0(VALU_DEP_1) | instskip(NEXT) | instid1(VALU_DEP_1)
	v_fma_f64 v[146:147], v[144:145], v[146:147], 1.0
	v_fma_f64 v[133:134], v[144:145], v[146:147], 1.0
	s_delay_alu instid0(VALU_DEP_1) | instskip(NEXT) | instid1(VALU_DEP_1)
	v_ldexp_f64 v[133:134], v[133:134], v148
	v_cndmask_b32_e32 v134, 0x7ff00000, v134, vcc_lo
	s_and_b32 vcc_lo, s3, vcc_lo
	s_delay_alu instid0(VALU_DEP_2) | instskip(NEXT) | instid1(VALU_DEP_2)
	v_cndmask_b32_e32 v6, 0, v133, vcc_lo
	v_cndmask_b32_e64 v7, 0, v134, s3
	s_delay_alu instid0(VALU_DEP_1) | instskip(NEXT) | instid1(VALU_DEP_1)
	v_add_f64 v[133:134], v[6:7], 1.0
	v_frexp_mant_f64_e32 v[144:145], v[133:134]
	v_frexp_exp_i32_f64_e32 v148, v[133:134]
	v_add_f64 v[146:147], v[133:134], -1.0
	s_delay_alu instid0(VALU_DEP_3) | instskip(SKIP_1) | instid1(VALU_DEP_2)
	v_cmp_gt_f64_e32 vcc_lo, s[22:23], v[144:145]
	s_mov_b32 s22, 0x55555780
	v_add_f64 v[144:145], v[146:147], -v[133:134]
	v_add_f64 v[146:147], v[6:7], -v[146:147]
	v_subrev_co_ci_u32_e32 v214, vcc_lo, 0, v148, vcc_lo
	s_delay_alu instid0(VALU_DEP_3) | instskip(SKIP_1) | instid1(VALU_DEP_3)
	v_add_f64 v[144:145], v[144:145], 1.0
	v_cmp_eq_f64_e32 vcc_lo, 0x7ff00000, v[6:7]
	v_sub_nc_u32_e32 v150, 0, v214
	s_delay_alu instid0(VALU_DEP_1) | instskip(NEXT) | instid1(VALU_DEP_4)
	v_ldexp_f64 v[133:134], v[133:134], v150
	v_add_f64 v[144:145], v[146:147], v[144:145]
	s_delay_alu instid0(VALU_DEP_2) | instskip(SKIP_1) | instid1(VALU_DEP_3)
	v_add_f64 v[148:149], v[133:134], 1.0
	v_add_f64 v[162:163], v[133:134], -1.0
	v_ldexp_f64 v[144:145], v[144:145], v150
	s_delay_alu instid0(VALU_DEP_3) | instskip(NEXT) | instid1(VALU_DEP_3)
	v_add_f64 v[146:147], v[148:149], -1.0
	v_add_f64 v[164:165], v[162:163], 1.0
	s_delay_alu instid0(VALU_DEP_2) | instskip(NEXT) | instid1(VALU_DEP_2)
	v_add_f64 v[146:147], v[133:134], -v[146:147]
	v_add_f64 v[133:134], v[133:134], -v[164:165]
	s_delay_alu instid0(VALU_DEP_2) | instskip(NEXT) | instid1(VALU_DEP_2)
	v_add_f64 v[146:147], v[144:145], v[146:147]
	v_add_f64 v[133:134], v[144:145], v[133:134]
	s_delay_alu instid0(VALU_DEP_2) | instskip(NEXT) | instid1(VALU_DEP_2)
	v_add_f64 v[150:151], v[148:149], v[146:147]
	v_add_f64 v[164:165], v[162:163], v[133:134]
	s_delay_alu instid0(VALU_DEP_2) | instskip(SKIP_1) | instid1(VALU_DEP_2)
	v_rcp_f64_e32 v[160:161], v[150:151]
	v_add_f64 v[148:149], v[150:151], -v[148:149]
	v_add_f64 v[162:163], v[164:165], -v[162:163]
	s_delay_alu instid0(VALU_DEP_2) | instskip(SKIP_3) | instid1(VALU_DEP_2)
	v_add_f64 v[146:147], v[146:147], -v[148:149]
	s_waitcnt_depctr 0xfff
	v_fma_f64 v[166:167], -v[150:151], v[160:161], 1.0
	v_add_f64 v[133:134], v[133:134], -v[162:163]
	v_fma_f64 v[160:161], v[166:167], v[160:161], v[160:161]
	s_delay_alu instid0(VALU_DEP_1) | instskip(NEXT) | instid1(VALU_DEP_1)
	v_fma_f64 v[144:145], -v[150:151], v[160:161], 1.0
	v_fma_f64 v[144:145], v[144:145], v[160:161], v[160:161]
	s_delay_alu instid0(VALU_DEP_1) | instskip(NEXT) | instid1(VALU_DEP_1)
	v_mul_f64 v[160:161], v[164:165], v[144:145]
	v_mul_f64 v[166:167], v[150:151], v[160:161]
	s_delay_alu instid0(VALU_DEP_1) | instskip(NEXT) | instid1(VALU_DEP_1)
	v_fma_f64 v[148:149], v[160:161], v[150:151], -v[166:167]
	v_fma_f64 v[148:149], v[160:161], v[146:147], v[148:149]
	s_delay_alu instid0(VALU_DEP_1) | instskip(NEXT) | instid1(VALU_DEP_1)
	v_add_f64 v[176:177], v[166:167], v[148:149]
	v_add_f64 v[212:213], v[164:165], -v[176:177]
	v_add_f64 v[162:163], v[176:177], -v[166:167]
	s_delay_alu instid0(VALU_DEP_2) | instskip(NEXT) | instid1(VALU_DEP_2)
	v_add_f64 v[164:165], v[164:165], -v[212:213]
	v_add_f64 v[148:149], v[162:163], -v[148:149]
	s_delay_alu instid0(VALU_DEP_2) | instskip(NEXT) | instid1(VALU_DEP_1)
	v_add_f64 v[164:165], v[164:165], -v[176:177]
	v_add_f64 v[133:134], v[133:134], v[164:165]
	s_delay_alu instid0(VALU_DEP_1) | instskip(NEXT) | instid1(VALU_DEP_1)
	v_add_f64 v[133:134], v[148:149], v[133:134]
	v_add_f64 v[148:149], v[212:213], v[133:134]
	s_delay_alu instid0(VALU_DEP_1) | instskip(SKIP_1) | instid1(VALU_DEP_2)
	v_mul_f64 v[162:163], v[144:145], v[148:149]
	v_add_f64 v[176:177], v[212:213], -v[148:149]
	v_mul_f64 v[164:165], v[150:151], v[162:163]
	s_delay_alu instid0(VALU_DEP_2) | instskip(NEXT) | instid1(VALU_DEP_2)
	v_add_f64 v[133:134], v[133:134], v[176:177]
	v_fma_f64 v[150:151], v[162:163], v[150:151], -v[164:165]
	s_delay_alu instid0(VALU_DEP_1) | instskip(NEXT) | instid1(VALU_DEP_1)
	v_fma_f64 v[146:147], v[162:163], v[146:147], v[150:151]
	v_add_f64 v[150:151], v[164:165], v[146:147]
	s_delay_alu instid0(VALU_DEP_1) | instskip(SKIP_1) | instid1(VALU_DEP_2)
	v_add_f64 v[166:167], v[148:149], -v[150:151]
	v_add_f64 v[164:165], v[150:151], -v[164:165]
	;; [unrolled: 1-line block ×3, first 2 shown]
	s_delay_alu instid0(VALU_DEP_2) | instskip(NEXT) | instid1(VALU_DEP_2)
	v_add_f64 v[146:147], v[164:165], -v[146:147]
	v_add_f64 v[148:149], v[148:149], -v[150:151]
	s_delay_alu instid0(VALU_DEP_1) | instskip(SKIP_1) | instid1(VALU_DEP_2)
	v_add_f64 v[133:134], v[133:134], v[148:149]
	v_add_f64 v[148:149], v[160:161], v[162:163]
	;; [unrolled: 1-line block ×3, first 2 shown]
	s_delay_alu instid0(VALU_DEP_2) | instskip(NEXT) | instid1(VALU_DEP_2)
	v_add_f64 v[146:147], v[148:149], -v[160:161]
	v_add_f64 v[133:134], v[166:167], v[133:134]
	s_delay_alu instid0(VALU_DEP_2) | instskip(NEXT) | instid1(VALU_DEP_2)
	v_add_f64 v[146:147], v[162:163], -v[146:147]
	v_mul_f64 v[133:134], v[144:145], v[133:134]
	s_delay_alu instid0(VALU_DEP_1) | instskip(NEXT) | instid1(VALU_DEP_1)
	v_add_f64 v[133:134], v[146:147], v[133:134]
	v_add_f64 v[144:145], v[148:149], v[133:134]
	s_delay_alu instid0(VALU_DEP_1) | instskip(NEXT) | instid1(VALU_DEP_1)
	v_mul_f64 v[146:147], v[144:145], v[144:145]
	v_fma_f64 v[150:151], v[146:147], s[28:29], s[26:27]
	s_mov_b32 s26, 0xd7f4df2e
	s_mov_b32 s27, 0x3fc7474d
	v_mul_f64 v[160:161], v[144:145], v[146:147]
	s_delay_alu instid0(VALU_DEP_2)
	v_fma_f64 v[150:151], v[146:147], v[150:151], s[26:27]
	s_mov_b32 s26, 0x16291751
	s_mov_b32 s27, 0x3fcc71c0
	s_delay_alu instid0(VALU_DEP_1) | instid1(SALU_CYCLE_1)
	v_fma_f64 v[150:151], v[146:147], v[150:151], s[26:27]
	s_mov_b32 s26, 0x9b27acf1
	s_mov_b32 s27, 0x3fd24924
	s_delay_alu instid0(VALU_DEP_1) | instid1(SALU_CYCLE_1)
	;; [unrolled: 4-line block ×3, first 2 shown]
	v_fma_f64 v[150:151], v[146:147], v[150:151], s[26:27]
	s_delay_alu instid0(VALU_DEP_1) | instskip(SKIP_2) | instid1(VALU_DEP_3)
	v_fma_f64 v[146:147], v[146:147], v[150:151], s[22:23]
	v_ldexp_f64 v[150:151], v[144:145], 1
	v_add_f64 v[144:145], v[144:145], -v[148:149]
	v_mul_f64 v[146:147], v[160:161], v[146:147]
	v_cvt_f64_i32_e32 v[160:161], v214
	s_delay_alu instid0(VALU_DEP_3) | instskip(NEXT) | instid1(VALU_DEP_3)
	v_add_f64 v[133:134], v[133:134], -v[144:145]
	v_add_f64 v[148:149], v[150:151], v[146:147]
	s_delay_alu instid0(VALU_DEP_3) | instskip(NEXT) | instid1(VALU_DEP_3)
	v_mul_f64 v[162:163], v[160:161], s[18:19]
	v_ldexp_f64 v[133:134], v[133:134], 1
	s_delay_alu instid0(VALU_DEP_3) | instskip(NEXT) | instid1(VALU_DEP_3)
	v_add_f64 v[144:145], v[148:149], -v[150:151]
	v_fma_f64 v[150:151], v[160:161], s[18:19], -v[162:163]
	s_delay_alu instid0(VALU_DEP_2) | instskip(NEXT) | instid1(VALU_DEP_2)
	v_add_f64 v[144:145], v[146:147], -v[144:145]
	v_fma_f64 v[146:147], v[160:161], s[20:21], v[150:151]
	s_delay_alu instid0(VALU_DEP_2) | instskip(NEXT) | instid1(VALU_DEP_2)
	v_add_f64 v[133:134], v[133:134], v[144:145]
	v_add_f64 v[144:145], v[162:163], v[146:147]
	s_delay_alu instid0(VALU_DEP_2) | instskip(NEXT) | instid1(VALU_DEP_2)
	v_add_f64 v[150:151], v[148:149], v[133:134]
	v_add_f64 v[162:163], v[144:145], -v[162:163]
	s_delay_alu instid0(VALU_DEP_2) | instskip(SKIP_1) | instid1(VALU_DEP_3)
	v_add_f64 v[160:161], v[144:145], v[150:151]
	v_add_f64 v[148:149], v[150:151], -v[148:149]
	v_add_f64 v[146:147], v[146:147], -v[162:163]
	s_delay_alu instid0(VALU_DEP_3) | instskip(NEXT) | instid1(VALU_DEP_3)
	v_add_f64 v[164:165], v[160:161], -v[144:145]
	v_add_f64 v[133:134], v[133:134], -v[148:149]
	s_delay_alu instid0(VALU_DEP_2) | instskip(SKIP_1) | instid1(VALU_DEP_3)
	v_add_f64 v[166:167], v[160:161], -v[164:165]
	v_add_f64 v[148:149], v[150:151], -v[164:165]
	v_add_f64 v[150:151], v[146:147], v[133:134]
	s_delay_alu instid0(VALU_DEP_3) | instskip(NEXT) | instid1(VALU_DEP_1)
	v_add_f64 v[144:145], v[144:145], -v[166:167]
	v_add_f64 v[144:145], v[148:149], v[144:145]
	s_delay_alu instid0(VALU_DEP_3) | instskip(NEXT) | instid1(VALU_DEP_2)
	v_add_f64 v[148:149], v[150:151], -v[146:147]
	v_add_f64 v[144:145], v[150:151], v[144:145]
	s_delay_alu instid0(VALU_DEP_2) | instskip(SKIP_1) | instid1(VALU_DEP_3)
	v_add_f64 v[150:151], v[150:151], -v[148:149]
	v_add_f64 v[133:134], v[133:134], -v[148:149]
	v_add_f64 v[162:163], v[160:161], v[144:145]
	s_delay_alu instid0(VALU_DEP_3) | instskip(NEXT) | instid1(VALU_DEP_2)
	v_add_f64 v[146:147], v[146:147], -v[150:151]
	v_add_f64 v[148:149], v[162:163], -v[160:161]
	s_delay_alu instid0(VALU_DEP_2) | instskip(NEXT) | instid1(VALU_DEP_2)
	v_add_f64 v[133:134], v[133:134], v[146:147]
	v_add_f64 v[144:145], v[144:145], -v[148:149]
	s_delay_alu instid0(VALU_DEP_1) | instskip(NEXT) | instid1(VALU_DEP_1)
	v_add_f64 v[133:134], v[133:134], v[144:145]
	v_add_f64 v[133:134], v[162:163], v[133:134]
	s_delay_alu instid0(VALU_DEP_1) | instskip(SKIP_1) | instid1(VALU_DEP_2)
	v_dual_cndmask_b32 v133, v133, v6 :: v_dual_cndmask_b32 v134, v134, v7
	v_cmp_ngt_f64_e32 vcc_lo, -1.0, v[6:7]
	v_cndmask_b32_e32 v134, 0x7ff80000, v134, vcc_lo
	v_cmp_nge_f64_e32 vcc_lo, -1.0, v[6:7]
	s_delay_alu instid0(VALU_DEP_4) | instskip(SKIP_1) | instid1(VALU_DEP_4)
	v_cndmask_b32_e32 v133, 0, v133, vcc_lo
	v_cmp_neq_f64_e32 vcc_lo, -1.0, v[6:7]
	v_cndmask_b32_e32 v134, 0xfff00000, v134, vcc_lo
	s_delay_alu instid0(VALU_DEP_1)
	v_add_f64 v[6:7], v[8:9], v[133:134]
.LBB36_231:
	s_or_b32 exec_lo, exec_lo, s24
	s_delay_alu instid0(VALU_DEP_1) | instskip(SKIP_1) | instid1(VALU_DEP_2)
	v_max_f64 v[8:9], v[6:7], v[6:7]
	v_cmp_u_f64_e32 vcc_lo, v[6:7], v[6:7]
	v_min_f64 v[133:134], v[8:9], v[10:11]
	v_max_f64 v[8:9], v[8:9], v[10:11]
	s_delay_alu instid0(VALU_DEP_2) | instskip(NEXT) | instid1(VALU_DEP_2)
	v_dual_cndmask_b32 v10, v133, v6 :: v_dual_cndmask_b32 v11, v134, v7
	v_dual_cndmask_b32 v9, v9, v7 :: v_dual_cndmask_b32 v8, v8, v6
	s_delay_alu instid0(VALU_DEP_2) | instskip(NEXT) | instid1(VALU_DEP_3)
	v_cndmask_b32_e64 v133, v10, v112, s4
	v_cndmask_b32_e64 v134, v11, v113, s4
	s_delay_alu instid0(VALU_DEP_3) | instskip(NEXT) | instid1(VALU_DEP_4)
	v_cndmask_b32_e64 v11, v9, v113, s4
	v_cndmask_b32_e64 v10, v8, v112, s4
	v_dual_mov_b32 v9, v7 :: v_dual_mov_b32 v8, v6
	s_delay_alu instid0(VALU_DEP_4) | instskip(NEXT) | instid1(VALU_DEP_3)
	v_cmp_class_f64_e64 s3, v[133:134], 0x1f8
	v_cmp_neq_f64_e32 vcc_lo, v[133:134], v[10:11]
	s_delay_alu instid0(VALU_DEP_2) | instskip(NEXT) | instid1(SALU_CYCLE_1)
	s_or_b32 s3, vcc_lo, s3
	s_and_saveexec_b32 s4, s3
	s_cbranch_execz .LBB36_233
; %bb.232:
	v_add_f64 v[8:9], v[133:134], -v[10:11]
	s_mov_b32 s18, 0x652b82fe
	s_mov_b32 s19, 0x3ff71547
	;; [unrolled: 1-line block ×10, first 2 shown]
	s_delay_alu instid0(VALU_DEP_1) | instskip(SKIP_4) | instid1(VALU_DEP_3)
	v_mul_f64 v[133:134], v[8:9], s[18:19]
	s_mov_b32 s19, 0xbfe62e42
	s_mov_b32 s18, 0xfefa39ef
	v_cmp_nlt_f64_e32 vcc_lo, 0x40900000, v[8:9]
	v_cmp_ngt_f64_e64 s3, 0xc090cc00, v[8:9]
	v_rndne_f64_e32 v[133:134], v[133:134]
	s_delay_alu instid0(VALU_DEP_1) | instskip(SKIP_2) | instid1(VALU_DEP_2)
	v_fma_f64 v[144:145], v[133:134], s[18:19], v[8:9]
	v_cvt_i32_f64_e32 v148, v[133:134]
	s_mov_b32 s19, 0x3fe62e42
	v_fma_f64 v[144:145], v[133:134], s[20:21], v[144:145]
	s_mov_b32 s21, 0x3c7abc9e
	s_delay_alu instid0(VALU_DEP_1) | instskip(SKIP_4) | instid1(VALU_DEP_1)
	v_fma_f64 v[146:147], v[144:145], s[24:25], s[22:23]
	s_mov_b32 s22, 0x623fde64
	s_mov_b32 s23, 0x3ec71dee
	;; [unrolled: 1-line block ×4, first 2 shown]
	v_fma_f64 v[146:147], v[144:145], v[146:147], s[22:23]
	s_mov_b32 s22, 0x7c89e6b0
	s_mov_b32 s23, 0x3efa0199
	s_delay_alu instid0(VALU_DEP_1) | instid1(SALU_CYCLE_1)
	v_fma_f64 v[146:147], v[144:145], v[146:147], s[22:23]
	s_mov_b32 s22, 0x14761f6e
	s_mov_b32 s23, 0x3f2a01a0
	s_delay_alu instid0(VALU_DEP_1) | instid1(SALU_CYCLE_1)
	;; [unrolled: 4-line block ×7, first 2 shown]
	v_fma_f64 v[146:147], v[144:145], v[146:147], s[22:23]
	s_mov_b32 s23, 0x3fe55555
	s_mov_b32 s22, 0x55555555
	s_delay_alu instid0(VALU_DEP_1) | instskip(NEXT) | instid1(VALU_DEP_1)
	v_fma_f64 v[146:147], v[144:145], v[146:147], 1.0
	v_fma_f64 v[133:134], v[144:145], v[146:147], 1.0
	s_delay_alu instid0(VALU_DEP_1) | instskip(NEXT) | instid1(VALU_DEP_1)
	v_ldexp_f64 v[133:134], v[133:134], v148
	v_cndmask_b32_e32 v134, 0x7ff00000, v134, vcc_lo
	s_and_b32 vcc_lo, s3, vcc_lo
	s_delay_alu instid0(VALU_DEP_2) | instskip(NEXT) | instid1(VALU_DEP_2)
	v_cndmask_b32_e32 v8, 0, v133, vcc_lo
	v_cndmask_b32_e64 v9, 0, v134, s3
	s_delay_alu instid0(VALU_DEP_1) | instskip(NEXT) | instid1(VALU_DEP_1)
	v_add_f64 v[133:134], v[8:9], 1.0
	v_frexp_mant_f64_e32 v[144:145], v[133:134]
	v_frexp_exp_i32_f64_e32 v148, v[133:134]
	v_add_f64 v[146:147], v[133:134], -1.0
	s_delay_alu instid0(VALU_DEP_3) | instskip(SKIP_1) | instid1(VALU_DEP_2)
	v_cmp_gt_f64_e32 vcc_lo, s[22:23], v[144:145]
	s_mov_b32 s22, 0x55555780
	v_add_f64 v[144:145], v[146:147], -v[133:134]
	v_add_f64 v[146:147], v[8:9], -v[146:147]
	v_subrev_co_ci_u32_e32 v214, vcc_lo, 0, v148, vcc_lo
	s_delay_alu instid0(VALU_DEP_3) | instskip(SKIP_1) | instid1(VALU_DEP_3)
	v_add_f64 v[144:145], v[144:145], 1.0
	v_cmp_eq_f64_e32 vcc_lo, 0x7ff00000, v[8:9]
	v_sub_nc_u32_e32 v150, 0, v214
	s_delay_alu instid0(VALU_DEP_1) | instskip(NEXT) | instid1(VALU_DEP_4)
	v_ldexp_f64 v[133:134], v[133:134], v150
	v_add_f64 v[144:145], v[146:147], v[144:145]
	s_delay_alu instid0(VALU_DEP_2) | instskip(SKIP_1) | instid1(VALU_DEP_3)
	v_add_f64 v[148:149], v[133:134], 1.0
	v_add_f64 v[162:163], v[133:134], -1.0
	v_ldexp_f64 v[144:145], v[144:145], v150
	s_delay_alu instid0(VALU_DEP_3) | instskip(NEXT) | instid1(VALU_DEP_3)
	v_add_f64 v[146:147], v[148:149], -1.0
	v_add_f64 v[164:165], v[162:163], 1.0
	s_delay_alu instid0(VALU_DEP_2) | instskip(NEXT) | instid1(VALU_DEP_2)
	v_add_f64 v[146:147], v[133:134], -v[146:147]
	v_add_f64 v[133:134], v[133:134], -v[164:165]
	s_delay_alu instid0(VALU_DEP_2) | instskip(NEXT) | instid1(VALU_DEP_2)
	v_add_f64 v[146:147], v[144:145], v[146:147]
	v_add_f64 v[133:134], v[144:145], v[133:134]
	s_delay_alu instid0(VALU_DEP_2) | instskip(NEXT) | instid1(VALU_DEP_2)
	v_add_f64 v[150:151], v[148:149], v[146:147]
	v_add_f64 v[164:165], v[162:163], v[133:134]
	s_delay_alu instid0(VALU_DEP_2) | instskip(SKIP_1) | instid1(VALU_DEP_2)
	v_rcp_f64_e32 v[160:161], v[150:151]
	v_add_f64 v[148:149], v[150:151], -v[148:149]
	v_add_f64 v[162:163], v[164:165], -v[162:163]
	s_delay_alu instid0(VALU_DEP_2) | instskip(SKIP_3) | instid1(VALU_DEP_2)
	v_add_f64 v[146:147], v[146:147], -v[148:149]
	s_waitcnt_depctr 0xfff
	v_fma_f64 v[166:167], -v[150:151], v[160:161], 1.0
	v_add_f64 v[133:134], v[133:134], -v[162:163]
	v_fma_f64 v[160:161], v[166:167], v[160:161], v[160:161]
	s_delay_alu instid0(VALU_DEP_1) | instskip(NEXT) | instid1(VALU_DEP_1)
	v_fma_f64 v[144:145], -v[150:151], v[160:161], 1.0
	v_fma_f64 v[144:145], v[144:145], v[160:161], v[160:161]
	s_delay_alu instid0(VALU_DEP_1) | instskip(NEXT) | instid1(VALU_DEP_1)
	v_mul_f64 v[160:161], v[164:165], v[144:145]
	v_mul_f64 v[166:167], v[150:151], v[160:161]
	s_delay_alu instid0(VALU_DEP_1) | instskip(NEXT) | instid1(VALU_DEP_1)
	v_fma_f64 v[148:149], v[160:161], v[150:151], -v[166:167]
	v_fma_f64 v[148:149], v[160:161], v[146:147], v[148:149]
	s_delay_alu instid0(VALU_DEP_1) | instskip(NEXT) | instid1(VALU_DEP_1)
	v_add_f64 v[176:177], v[166:167], v[148:149]
	v_add_f64 v[212:213], v[164:165], -v[176:177]
	v_add_f64 v[162:163], v[176:177], -v[166:167]
	s_delay_alu instid0(VALU_DEP_2) | instskip(NEXT) | instid1(VALU_DEP_2)
	v_add_f64 v[164:165], v[164:165], -v[212:213]
	v_add_f64 v[148:149], v[162:163], -v[148:149]
	s_delay_alu instid0(VALU_DEP_2) | instskip(NEXT) | instid1(VALU_DEP_1)
	v_add_f64 v[164:165], v[164:165], -v[176:177]
	v_add_f64 v[133:134], v[133:134], v[164:165]
	s_delay_alu instid0(VALU_DEP_1) | instskip(NEXT) | instid1(VALU_DEP_1)
	v_add_f64 v[133:134], v[148:149], v[133:134]
	v_add_f64 v[148:149], v[212:213], v[133:134]
	s_delay_alu instid0(VALU_DEP_1) | instskip(SKIP_1) | instid1(VALU_DEP_2)
	v_mul_f64 v[162:163], v[144:145], v[148:149]
	v_add_f64 v[176:177], v[212:213], -v[148:149]
	v_mul_f64 v[164:165], v[150:151], v[162:163]
	s_delay_alu instid0(VALU_DEP_2) | instskip(NEXT) | instid1(VALU_DEP_2)
	v_add_f64 v[133:134], v[133:134], v[176:177]
	v_fma_f64 v[150:151], v[162:163], v[150:151], -v[164:165]
	s_delay_alu instid0(VALU_DEP_1) | instskip(NEXT) | instid1(VALU_DEP_1)
	v_fma_f64 v[146:147], v[162:163], v[146:147], v[150:151]
	v_add_f64 v[150:151], v[164:165], v[146:147]
	s_delay_alu instid0(VALU_DEP_1) | instskip(SKIP_1) | instid1(VALU_DEP_2)
	v_add_f64 v[166:167], v[148:149], -v[150:151]
	v_add_f64 v[164:165], v[150:151], -v[164:165]
	;; [unrolled: 1-line block ×3, first 2 shown]
	s_delay_alu instid0(VALU_DEP_2) | instskip(NEXT) | instid1(VALU_DEP_2)
	v_add_f64 v[146:147], v[164:165], -v[146:147]
	v_add_f64 v[148:149], v[148:149], -v[150:151]
	s_delay_alu instid0(VALU_DEP_1) | instskip(SKIP_1) | instid1(VALU_DEP_2)
	v_add_f64 v[133:134], v[133:134], v[148:149]
	v_add_f64 v[148:149], v[160:161], v[162:163]
	;; [unrolled: 1-line block ×3, first 2 shown]
	s_delay_alu instid0(VALU_DEP_2) | instskip(NEXT) | instid1(VALU_DEP_2)
	v_add_f64 v[146:147], v[148:149], -v[160:161]
	v_add_f64 v[133:134], v[166:167], v[133:134]
	s_delay_alu instid0(VALU_DEP_2) | instskip(NEXT) | instid1(VALU_DEP_2)
	v_add_f64 v[146:147], v[162:163], -v[146:147]
	v_mul_f64 v[133:134], v[144:145], v[133:134]
	s_delay_alu instid0(VALU_DEP_1) | instskip(NEXT) | instid1(VALU_DEP_1)
	v_add_f64 v[133:134], v[146:147], v[133:134]
	v_add_f64 v[144:145], v[148:149], v[133:134]
	s_delay_alu instid0(VALU_DEP_1) | instskip(NEXT) | instid1(VALU_DEP_1)
	v_mul_f64 v[146:147], v[144:145], v[144:145]
	v_fma_f64 v[150:151], v[146:147], s[26:27], s[24:25]
	s_mov_b32 s24, 0xd7f4df2e
	s_mov_b32 s25, 0x3fc7474d
	v_mul_f64 v[160:161], v[144:145], v[146:147]
	s_delay_alu instid0(VALU_DEP_2)
	v_fma_f64 v[150:151], v[146:147], v[150:151], s[24:25]
	s_mov_b32 s24, 0x16291751
	s_mov_b32 s25, 0x3fcc71c0
	s_delay_alu instid0(VALU_DEP_1) | instid1(SALU_CYCLE_1)
	v_fma_f64 v[150:151], v[146:147], v[150:151], s[24:25]
	s_mov_b32 s24, 0x9b27acf1
	s_mov_b32 s25, 0x3fd24924
	s_delay_alu instid0(VALU_DEP_1) | instid1(SALU_CYCLE_1)
	;; [unrolled: 4-line block ×3, first 2 shown]
	v_fma_f64 v[150:151], v[146:147], v[150:151], s[24:25]
	s_delay_alu instid0(VALU_DEP_1) | instskip(SKIP_2) | instid1(VALU_DEP_3)
	v_fma_f64 v[146:147], v[146:147], v[150:151], s[22:23]
	v_ldexp_f64 v[150:151], v[144:145], 1
	v_add_f64 v[144:145], v[144:145], -v[148:149]
	v_mul_f64 v[146:147], v[160:161], v[146:147]
	v_cvt_f64_i32_e32 v[160:161], v214
	s_delay_alu instid0(VALU_DEP_3) | instskip(NEXT) | instid1(VALU_DEP_3)
	v_add_f64 v[133:134], v[133:134], -v[144:145]
	v_add_f64 v[148:149], v[150:151], v[146:147]
	s_delay_alu instid0(VALU_DEP_3) | instskip(NEXT) | instid1(VALU_DEP_3)
	v_mul_f64 v[162:163], v[160:161], s[18:19]
	v_ldexp_f64 v[133:134], v[133:134], 1
	s_delay_alu instid0(VALU_DEP_3) | instskip(NEXT) | instid1(VALU_DEP_3)
	v_add_f64 v[144:145], v[148:149], -v[150:151]
	v_fma_f64 v[150:151], v[160:161], s[18:19], -v[162:163]
	s_delay_alu instid0(VALU_DEP_2) | instskip(NEXT) | instid1(VALU_DEP_2)
	v_add_f64 v[144:145], v[146:147], -v[144:145]
	v_fma_f64 v[146:147], v[160:161], s[20:21], v[150:151]
	s_delay_alu instid0(VALU_DEP_2) | instskip(NEXT) | instid1(VALU_DEP_2)
	v_add_f64 v[133:134], v[133:134], v[144:145]
	v_add_f64 v[144:145], v[162:163], v[146:147]
	s_delay_alu instid0(VALU_DEP_2) | instskip(NEXT) | instid1(VALU_DEP_2)
	v_add_f64 v[150:151], v[148:149], v[133:134]
	v_add_f64 v[162:163], v[144:145], -v[162:163]
	s_delay_alu instid0(VALU_DEP_2) | instskip(SKIP_1) | instid1(VALU_DEP_3)
	v_add_f64 v[160:161], v[144:145], v[150:151]
	v_add_f64 v[148:149], v[150:151], -v[148:149]
	v_add_f64 v[146:147], v[146:147], -v[162:163]
	s_delay_alu instid0(VALU_DEP_3) | instskip(NEXT) | instid1(VALU_DEP_3)
	v_add_f64 v[164:165], v[160:161], -v[144:145]
	v_add_f64 v[133:134], v[133:134], -v[148:149]
	s_delay_alu instid0(VALU_DEP_2) | instskip(SKIP_1) | instid1(VALU_DEP_3)
	v_add_f64 v[166:167], v[160:161], -v[164:165]
	v_add_f64 v[148:149], v[150:151], -v[164:165]
	v_add_f64 v[150:151], v[146:147], v[133:134]
	s_delay_alu instid0(VALU_DEP_3) | instskip(NEXT) | instid1(VALU_DEP_1)
	v_add_f64 v[144:145], v[144:145], -v[166:167]
	v_add_f64 v[144:145], v[148:149], v[144:145]
	s_delay_alu instid0(VALU_DEP_3) | instskip(NEXT) | instid1(VALU_DEP_2)
	v_add_f64 v[148:149], v[150:151], -v[146:147]
	v_add_f64 v[144:145], v[150:151], v[144:145]
	s_delay_alu instid0(VALU_DEP_2) | instskip(SKIP_1) | instid1(VALU_DEP_3)
	v_add_f64 v[150:151], v[150:151], -v[148:149]
	v_add_f64 v[133:134], v[133:134], -v[148:149]
	v_add_f64 v[162:163], v[160:161], v[144:145]
	s_delay_alu instid0(VALU_DEP_3) | instskip(NEXT) | instid1(VALU_DEP_2)
	v_add_f64 v[146:147], v[146:147], -v[150:151]
	v_add_f64 v[148:149], v[162:163], -v[160:161]
	s_delay_alu instid0(VALU_DEP_2) | instskip(NEXT) | instid1(VALU_DEP_2)
	v_add_f64 v[133:134], v[133:134], v[146:147]
	v_add_f64 v[144:145], v[144:145], -v[148:149]
	s_delay_alu instid0(VALU_DEP_1) | instskip(NEXT) | instid1(VALU_DEP_1)
	v_add_f64 v[133:134], v[133:134], v[144:145]
	v_add_f64 v[133:134], v[162:163], v[133:134]
	s_delay_alu instid0(VALU_DEP_1) | instskip(SKIP_1) | instid1(VALU_DEP_2)
	v_dual_cndmask_b32 v133, v133, v8 :: v_dual_cndmask_b32 v134, v134, v9
	v_cmp_ngt_f64_e32 vcc_lo, -1.0, v[8:9]
	v_cndmask_b32_e32 v134, 0x7ff80000, v134, vcc_lo
	v_cmp_nge_f64_e32 vcc_lo, -1.0, v[8:9]
	s_delay_alu instid0(VALU_DEP_4) | instskip(SKIP_1) | instid1(VALU_DEP_4)
	v_cndmask_b32_e32 v133, 0, v133, vcc_lo
	v_cmp_neq_f64_e32 vcc_lo, -1.0, v[8:9]
	v_cndmask_b32_e32 v134, 0xfff00000, v134, vcc_lo
	s_delay_alu instid0(VALU_DEP_1)
	v_add_f64 v[8:9], v[10:11], v[133:134]
.LBB36_233:
	s_or_b32 exec_lo, exec_lo, s4
	s_delay_alu instid0(VALU_DEP_1) | instskip(SKIP_1) | instid1(VALU_DEP_2)
	v_max_f64 v[10:11], v[8:9], v[8:9]
	v_cmp_u_f64_e32 vcc_lo, v[8:9], v[8:9]
	v_min_f64 v[133:134], v[10:11], v[12:13]
	v_max_f64 v[10:11], v[10:11], v[12:13]
	s_delay_alu instid0(VALU_DEP_2) | instskip(NEXT) | instid1(VALU_DEP_2)
	v_dual_cndmask_b32 v12, v133, v8 :: v_dual_cndmask_b32 v13, v134, v9
	v_dual_cndmask_b32 v11, v11, v9 :: v_dual_cndmask_b32 v10, v10, v8
	s_delay_alu instid0(VALU_DEP_2) | instskip(NEXT) | instid1(VALU_DEP_3)
	v_cndmask_b32_e64 v133, v12, v114, s5
	v_cndmask_b32_e64 v134, v13, v115, s5
	s_delay_alu instid0(VALU_DEP_3) | instskip(NEXT) | instid1(VALU_DEP_4)
	v_cndmask_b32_e64 v13, v11, v115, s5
	v_cndmask_b32_e64 v12, v10, v114, s5
	v_dual_mov_b32 v11, v9 :: v_dual_mov_b32 v10, v8
	s_delay_alu instid0(VALU_DEP_4) | instskip(NEXT) | instid1(VALU_DEP_3)
	v_cmp_class_f64_e64 s3, v[133:134], 0x1f8
	v_cmp_neq_f64_e32 vcc_lo, v[133:134], v[12:13]
	s_delay_alu instid0(VALU_DEP_2) | instskip(NEXT) | instid1(SALU_CYCLE_1)
	s_or_b32 s3, vcc_lo, s3
	s_and_saveexec_b32 s22, s3
	s_cbranch_execz .LBB36_235
; %bb.234:
	v_add_f64 v[10:11], v[133:134], -v[12:13]
	s_mov_b32 s4, 0x652b82fe
	s_mov_b32 s5, 0x3ff71547
	;; [unrolled: 1-line block ×10, first 2 shown]
	s_delay_alu instid0(VALU_DEP_1) | instskip(SKIP_4) | instid1(VALU_DEP_3)
	v_mul_f64 v[133:134], v[10:11], s[4:5]
	s_mov_b32 s5, 0xbfe62e42
	s_mov_b32 s4, 0xfefa39ef
	v_cmp_nlt_f64_e32 vcc_lo, 0x40900000, v[10:11]
	v_cmp_ngt_f64_e64 s3, 0xc090cc00, v[10:11]
	v_rndne_f64_e32 v[133:134], v[133:134]
	s_delay_alu instid0(VALU_DEP_1) | instskip(SKIP_2) | instid1(VALU_DEP_2)
	v_fma_f64 v[144:145], v[133:134], s[4:5], v[10:11]
	v_cvt_i32_f64_e32 v148, v[133:134]
	s_mov_b32 s5, 0x3fe62e42
	v_fma_f64 v[144:145], v[133:134], s[18:19], v[144:145]
	s_mov_b32 s19, 0x3c7abc9e
	s_delay_alu instid0(VALU_DEP_1) | instskip(SKIP_4) | instid1(VALU_DEP_1)
	v_fma_f64 v[146:147], v[144:145], s[24:25], s[20:21]
	s_mov_b32 s20, 0x623fde64
	s_mov_b32 s21, 0x3ec71dee
	;; [unrolled: 1-line block ×4, first 2 shown]
	v_fma_f64 v[146:147], v[144:145], v[146:147], s[20:21]
	s_mov_b32 s20, 0x7c89e6b0
	s_mov_b32 s21, 0x3efa0199
	s_delay_alu instid0(VALU_DEP_1) | instid1(SALU_CYCLE_1)
	v_fma_f64 v[146:147], v[144:145], v[146:147], s[20:21]
	s_mov_b32 s20, 0x14761f6e
	s_mov_b32 s21, 0x3f2a01a0
	s_delay_alu instid0(VALU_DEP_1) | instid1(SALU_CYCLE_1)
	;; [unrolled: 4-line block ×7, first 2 shown]
	v_fma_f64 v[146:147], v[144:145], v[146:147], s[20:21]
	s_mov_b32 s21, 0x3fe55555
	s_mov_b32 s20, 0x55555555
	s_delay_alu instid0(VALU_DEP_1) | instskip(NEXT) | instid1(VALU_DEP_1)
	v_fma_f64 v[146:147], v[144:145], v[146:147], 1.0
	v_fma_f64 v[133:134], v[144:145], v[146:147], 1.0
	s_delay_alu instid0(VALU_DEP_1) | instskip(NEXT) | instid1(VALU_DEP_1)
	v_ldexp_f64 v[133:134], v[133:134], v148
	v_cndmask_b32_e32 v134, 0x7ff00000, v134, vcc_lo
	s_and_b32 vcc_lo, s3, vcc_lo
	s_delay_alu instid0(VALU_DEP_2) | instskip(NEXT) | instid1(VALU_DEP_2)
	v_cndmask_b32_e32 v10, 0, v133, vcc_lo
	v_cndmask_b32_e64 v11, 0, v134, s3
	s_delay_alu instid0(VALU_DEP_1) | instskip(NEXT) | instid1(VALU_DEP_1)
	v_add_f64 v[133:134], v[10:11], 1.0
	v_frexp_mant_f64_e32 v[144:145], v[133:134]
	v_frexp_exp_i32_f64_e32 v148, v[133:134]
	v_add_f64 v[146:147], v[133:134], -1.0
	s_delay_alu instid0(VALU_DEP_3) | instskip(SKIP_1) | instid1(VALU_DEP_2)
	v_cmp_gt_f64_e32 vcc_lo, s[20:21], v[144:145]
	s_mov_b32 s20, 0x55555780
	v_add_f64 v[144:145], v[146:147], -v[133:134]
	v_add_f64 v[146:147], v[10:11], -v[146:147]
	v_subrev_co_ci_u32_e32 v214, vcc_lo, 0, v148, vcc_lo
	s_delay_alu instid0(VALU_DEP_3) | instskip(SKIP_1) | instid1(VALU_DEP_3)
	v_add_f64 v[144:145], v[144:145], 1.0
	v_cmp_eq_f64_e32 vcc_lo, 0x7ff00000, v[10:11]
	v_sub_nc_u32_e32 v150, 0, v214
	s_delay_alu instid0(VALU_DEP_1) | instskip(NEXT) | instid1(VALU_DEP_4)
	v_ldexp_f64 v[133:134], v[133:134], v150
	v_add_f64 v[144:145], v[146:147], v[144:145]
	s_delay_alu instid0(VALU_DEP_2) | instskip(SKIP_1) | instid1(VALU_DEP_3)
	v_add_f64 v[148:149], v[133:134], 1.0
	v_add_f64 v[162:163], v[133:134], -1.0
	v_ldexp_f64 v[144:145], v[144:145], v150
	s_delay_alu instid0(VALU_DEP_3) | instskip(NEXT) | instid1(VALU_DEP_3)
	v_add_f64 v[146:147], v[148:149], -1.0
	v_add_f64 v[164:165], v[162:163], 1.0
	s_delay_alu instid0(VALU_DEP_2) | instskip(NEXT) | instid1(VALU_DEP_2)
	v_add_f64 v[146:147], v[133:134], -v[146:147]
	v_add_f64 v[133:134], v[133:134], -v[164:165]
	s_delay_alu instid0(VALU_DEP_2) | instskip(NEXT) | instid1(VALU_DEP_2)
	v_add_f64 v[146:147], v[144:145], v[146:147]
	v_add_f64 v[133:134], v[144:145], v[133:134]
	s_delay_alu instid0(VALU_DEP_2) | instskip(NEXT) | instid1(VALU_DEP_2)
	v_add_f64 v[150:151], v[148:149], v[146:147]
	v_add_f64 v[164:165], v[162:163], v[133:134]
	s_delay_alu instid0(VALU_DEP_2) | instskip(SKIP_1) | instid1(VALU_DEP_2)
	v_rcp_f64_e32 v[160:161], v[150:151]
	v_add_f64 v[148:149], v[150:151], -v[148:149]
	v_add_f64 v[162:163], v[164:165], -v[162:163]
	s_delay_alu instid0(VALU_DEP_2) | instskip(SKIP_3) | instid1(VALU_DEP_2)
	v_add_f64 v[146:147], v[146:147], -v[148:149]
	s_waitcnt_depctr 0xfff
	v_fma_f64 v[166:167], -v[150:151], v[160:161], 1.0
	v_add_f64 v[133:134], v[133:134], -v[162:163]
	v_fma_f64 v[160:161], v[166:167], v[160:161], v[160:161]
	s_delay_alu instid0(VALU_DEP_1) | instskip(NEXT) | instid1(VALU_DEP_1)
	v_fma_f64 v[144:145], -v[150:151], v[160:161], 1.0
	v_fma_f64 v[144:145], v[144:145], v[160:161], v[160:161]
	s_delay_alu instid0(VALU_DEP_1) | instskip(NEXT) | instid1(VALU_DEP_1)
	v_mul_f64 v[160:161], v[164:165], v[144:145]
	v_mul_f64 v[166:167], v[150:151], v[160:161]
	s_delay_alu instid0(VALU_DEP_1) | instskip(NEXT) | instid1(VALU_DEP_1)
	v_fma_f64 v[148:149], v[160:161], v[150:151], -v[166:167]
	v_fma_f64 v[148:149], v[160:161], v[146:147], v[148:149]
	s_delay_alu instid0(VALU_DEP_1) | instskip(NEXT) | instid1(VALU_DEP_1)
	v_add_f64 v[176:177], v[166:167], v[148:149]
	v_add_f64 v[212:213], v[164:165], -v[176:177]
	v_add_f64 v[162:163], v[176:177], -v[166:167]
	s_delay_alu instid0(VALU_DEP_2) | instskip(NEXT) | instid1(VALU_DEP_2)
	v_add_f64 v[164:165], v[164:165], -v[212:213]
	v_add_f64 v[148:149], v[162:163], -v[148:149]
	s_delay_alu instid0(VALU_DEP_2) | instskip(NEXT) | instid1(VALU_DEP_1)
	v_add_f64 v[164:165], v[164:165], -v[176:177]
	v_add_f64 v[133:134], v[133:134], v[164:165]
	s_delay_alu instid0(VALU_DEP_1) | instskip(NEXT) | instid1(VALU_DEP_1)
	v_add_f64 v[133:134], v[148:149], v[133:134]
	v_add_f64 v[148:149], v[212:213], v[133:134]
	s_delay_alu instid0(VALU_DEP_1) | instskip(SKIP_1) | instid1(VALU_DEP_2)
	v_mul_f64 v[162:163], v[144:145], v[148:149]
	v_add_f64 v[176:177], v[212:213], -v[148:149]
	v_mul_f64 v[164:165], v[150:151], v[162:163]
	s_delay_alu instid0(VALU_DEP_2) | instskip(NEXT) | instid1(VALU_DEP_2)
	v_add_f64 v[133:134], v[133:134], v[176:177]
	v_fma_f64 v[150:151], v[162:163], v[150:151], -v[164:165]
	s_delay_alu instid0(VALU_DEP_1) | instskip(NEXT) | instid1(VALU_DEP_1)
	v_fma_f64 v[146:147], v[162:163], v[146:147], v[150:151]
	v_add_f64 v[150:151], v[164:165], v[146:147]
	s_delay_alu instid0(VALU_DEP_1) | instskip(SKIP_1) | instid1(VALU_DEP_2)
	v_add_f64 v[166:167], v[148:149], -v[150:151]
	v_add_f64 v[164:165], v[150:151], -v[164:165]
	v_add_f64 v[148:149], v[148:149], -v[166:167]
	s_delay_alu instid0(VALU_DEP_2) | instskip(NEXT) | instid1(VALU_DEP_2)
	v_add_f64 v[146:147], v[164:165], -v[146:147]
	v_add_f64 v[148:149], v[148:149], -v[150:151]
	s_delay_alu instid0(VALU_DEP_1) | instskip(SKIP_1) | instid1(VALU_DEP_2)
	v_add_f64 v[133:134], v[133:134], v[148:149]
	v_add_f64 v[148:149], v[160:161], v[162:163]
	;; [unrolled: 1-line block ×3, first 2 shown]
	s_delay_alu instid0(VALU_DEP_2) | instskip(NEXT) | instid1(VALU_DEP_2)
	v_add_f64 v[146:147], v[148:149], -v[160:161]
	v_add_f64 v[133:134], v[166:167], v[133:134]
	s_delay_alu instid0(VALU_DEP_2) | instskip(NEXT) | instid1(VALU_DEP_2)
	v_add_f64 v[146:147], v[162:163], -v[146:147]
	v_mul_f64 v[133:134], v[144:145], v[133:134]
	s_delay_alu instid0(VALU_DEP_1) | instskip(NEXT) | instid1(VALU_DEP_1)
	v_add_f64 v[133:134], v[146:147], v[133:134]
	v_add_f64 v[144:145], v[148:149], v[133:134]
	s_delay_alu instid0(VALU_DEP_1) | instskip(NEXT) | instid1(VALU_DEP_1)
	v_mul_f64 v[146:147], v[144:145], v[144:145]
	v_fma_f64 v[150:151], v[146:147], s[26:27], s[24:25]
	s_mov_b32 s24, 0xd7f4df2e
	s_mov_b32 s25, 0x3fc7474d
	v_mul_f64 v[160:161], v[144:145], v[146:147]
	s_delay_alu instid0(VALU_DEP_2)
	v_fma_f64 v[150:151], v[146:147], v[150:151], s[24:25]
	s_mov_b32 s24, 0x16291751
	s_mov_b32 s25, 0x3fcc71c0
	s_delay_alu instid0(VALU_DEP_1) | instid1(SALU_CYCLE_1)
	v_fma_f64 v[150:151], v[146:147], v[150:151], s[24:25]
	s_mov_b32 s24, 0x9b27acf1
	s_mov_b32 s25, 0x3fd24924
	s_delay_alu instid0(VALU_DEP_1) | instid1(SALU_CYCLE_1)
	;; [unrolled: 4-line block ×3, first 2 shown]
	v_fma_f64 v[150:151], v[146:147], v[150:151], s[24:25]
	s_delay_alu instid0(VALU_DEP_1) | instskip(SKIP_2) | instid1(VALU_DEP_3)
	v_fma_f64 v[146:147], v[146:147], v[150:151], s[20:21]
	v_ldexp_f64 v[150:151], v[144:145], 1
	v_add_f64 v[144:145], v[144:145], -v[148:149]
	v_mul_f64 v[146:147], v[160:161], v[146:147]
	v_cvt_f64_i32_e32 v[160:161], v214
	s_delay_alu instid0(VALU_DEP_3) | instskip(NEXT) | instid1(VALU_DEP_3)
	v_add_f64 v[133:134], v[133:134], -v[144:145]
	v_add_f64 v[148:149], v[150:151], v[146:147]
	s_delay_alu instid0(VALU_DEP_3) | instskip(NEXT) | instid1(VALU_DEP_3)
	v_mul_f64 v[162:163], v[160:161], s[4:5]
	v_ldexp_f64 v[133:134], v[133:134], 1
	s_delay_alu instid0(VALU_DEP_3) | instskip(NEXT) | instid1(VALU_DEP_3)
	v_add_f64 v[144:145], v[148:149], -v[150:151]
	v_fma_f64 v[150:151], v[160:161], s[4:5], -v[162:163]
	s_delay_alu instid0(VALU_DEP_2) | instskip(NEXT) | instid1(VALU_DEP_2)
	v_add_f64 v[144:145], v[146:147], -v[144:145]
	v_fma_f64 v[146:147], v[160:161], s[18:19], v[150:151]
	s_delay_alu instid0(VALU_DEP_2) | instskip(NEXT) | instid1(VALU_DEP_2)
	v_add_f64 v[133:134], v[133:134], v[144:145]
	v_add_f64 v[144:145], v[162:163], v[146:147]
	s_delay_alu instid0(VALU_DEP_2) | instskip(NEXT) | instid1(VALU_DEP_2)
	v_add_f64 v[150:151], v[148:149], v[133:134]
	v_add_f64 v[162:163], v[144:145], -v[162:163]
	s_delay_alu instid0(VALU_DEP_2) | instskip(SKIP_1) | instid1(VALU_DEP_3)
	v_add_f64 v[160:161], v[144:145], v[150:151]
	v_add_f64 v[148:149], v[150:151], -v[148:149]
	v_add_f64 v[146:147], v[146:147], -v[162:163]
	s_delay_alu instid0(VALU_DEP_3) | instskip(NEXT) | instid1(VALU_DEP_3)
	v_add_f64 v[164:165], v[160:161], -v[144:145]
	v_add_f64 v[133:134], v[133:134], -v[148:149]
	s_delay_alu instid0(VALU_DEP_2) | instskip(SKIP_1) | instid1(VALU_DEP_3)
	v_add_f64 v[166:167], v[160:161], -v[164:165]
	v_add_f64 v[148:149], v[150:151], -v[164:165]
	v_add_f64 v[150:151], v[146:147], v[133:134]
	s_delay_alu instid0(VALU_DEP_3) | instskip(NEXT) | instid1(VALU_DEP_1)
	v_add_f64 v[144:145], v[144:145], -v[166:167]
	v_add_f64 v[144:145], v[148:149], v[144:145]
	s_delay_alu instid0(VALU_DEP_3) | instskip(NEXT) | instid1(VALU_DEP_2)
	v_add_f64 v[148:149], v[150:151], -v[146:147]
	v_add_f64 v[144:145], v[150:151], v[144:145]
	s_delay_alu instid0(VALU_DEP_2) | instskip(SKIP_1) | instid1(VALU_DEP_3)
	v_add_f64 v[150:151], v[150:151], -v[148:149]
	v_add_f64 v[133:134], v[133:134], -v[148:149]
	v_add_f64 v[162:163], v[160:161], v[144:145]
	s_delay_alu instid0(VALU_DEP_3) | instskip(NEXT) | instid1(VALU_DEP_2)
	v_add_f64 v[146:147], v[146:147], -v[150:151]
	v_add_f64 v[148:149], v[162:163], -v[160:161]
	s_delay_alu instid0(VALU_DEP_2) | instskip(NEXT) | instid1(VALU_DEP_2)
	v_add_f64 v[133:134], v[133:134], v[146:147]
	v_add_f64 v[144:145], v[144:145], -v[148:149]
	s_delay_alu instid0(VALU_DEP_1) | instskip(NEXT) | instid1(VALU_DEP_1)
	v_add_f64 v[133:134], v[133:134], v[144:145]
	v_add_f64 v[133:134], v[162:163], v[133:134]
	s_delay_alu instid0(VALU_DEP_1) | instskip(SKIP_1) | instid1(VALU_DEP_2)
	v_dual_cndmask_b32 v133, v133, v10 :: v_dual_cndmask_b32 v134, v134, v11
	v_cmp_ngt_f64_e32 vcc_lo, -1.0, v[10:11]
	v_cndmask_b32_e32 v134, 0x7ff80000, v134, vcc_lo
	v_cmp_nge_f64_e32 vcc_lo, -1.0, v[10:11]
	s_delay_alu instid0(VALU_DEP_4) | instskip(SKIP_1) | instid1(VALU_DEP_4)
	v_cndmask_b32_e32 v133, 0, v133, vcc_lo
	v_cmp_neq_f64_e32 vcc_lo, -1.0, v[10:11]
	v_cndmask_b32_e32 v134, 0xfff00000, v134, vcc_lo
	s_delay_alu instid0(VALU_DEP_1)
	v_add_f64 v[10:11], v[12:13], v[133:134]
.LBB36_235:
	s_or_b32 exec_lo, exec_lo, s22
	s_delay_alu instid0(VALU_DEP_1) | instskip(SKIP_1) | instid1(VALU_DEP_2)
	v_max_f64 v[12:13], v[10:11], v[10:11]
	v_cmp_u_f64_e32 vcc_lo, v[10:11], v[10:11]
	v_min_f64 v[133:134], v[12:13], v[14:15]
	v_max_f64 v[12:13], v[12:13], v[14:15]
	s_delay_alu instid0(VALU_DEP_2) | instskip(NEXT) | instid1(VALU_DEP_2)
	v_dual_cndmask_b32 v14, v133, v10 :: v_dual_cndmask_b32 v15, v134, v11
	v_dual_cndmask_b32 v13, v13, v11 :: v_dual_cndmask_b32 v12, v12, v10
	s_delay_alu instid0(VALU_DEP_2) | instskip(NEXT) | instid1(VALU_DEP_3)
	v_cndmask_b32_e64 v133, v14, v100, s6
	v_cndmask_b32_e64 v134, v15, v101, s6
	s_delay_alu instid0(VALU_DEP_3) | instskip(NEXT) | instid1(VALU_DEP_4)
	v_cndmask_b32_e64 v15, v13, v101, s6
	v_cndmask_b32_e64 v14, v12, v100, s6
	v_dual_mov_b32 v13, v11 :: v_dual_mov_b32 v12, v10
	s_delay_alu instid0(VALU_DEP_4) | instskip(NEXT) | instid1(VALU_DEP_3)
	v_cmp_class_f64_e64 s3, v[133:134], 0x1f8
	v_cmp_neq_f64_e32 vcc_lo, v[133:134], v[14:15]
	s_delay_alu instid0(VALU_DEP_2) | instskip(NEXT) | instid1(SALU_CYCLE_1)
	s_or_b32 s3, vcc_lo, s3
	s_and_saveexec_b32 s6, s3
	s_cbranch_execz .LBB36_237
; %bb.236:
	v_add_f64 v[12:13], v[133:134], -v[14:15]
	s_mov_b32 s4, 0x652b82fe
	s_mov_b32 s5, 0x3ff71547
	;; [unrolled: 1-line block ×10, first 2 shown]
	s_delay_alu instid0(VALU_DEP_1) | instskip(SKIP_4) | instid1(VALU_DEP_3)
	v_mul_f64 v[133:134], v[12:13], s[4:5]
	s_mov_b32 s5, 0xbfe62e42
	s_mov_b32 s4, 0xfefa39ef
	v_cmp_nlt_f64_e32 vcc_lo, 0x40900000, v[12:13]
	v_cmp_ngt_f64_e64 s3, 0xc090cc00, v[12:13]
	v_rndne_f64_e32 v[133:134], v[133:134]
	s_delay_alu instid0(VALU_DEP_1) | instskip(SKIP_2) | instid1(VALU_DEP_2)
	v_fma_f64 v[144:145], v[133:134], s[4:5], v[12:13]
	v_cvt_i32_f64_e32 v148, v[133:134]
	s_mov_b32 s5, 0x3fe62e42
	v_fma_f64 v[144:145], v[133:134], s[18:19], v[144:145]
	s_mov_b32 s19, 0x3c7abc9e
	s_delay_alu instid0(VALU_DEP_1) | instskip(SKIP_4) | instid1(VALU_DEP_1)
	v_fma_f64 v[146:147], v[144:145], s[22:23], s[20:21]
	s_mov_b32 s20, 0x623fde64
	s_mov_b32 s21, 0x3ec71dee
	;; [unrolled: 1-line block ×4, first 2 shown]
	v_fma_f64 v[146:147], v[144:145], v[146:147], s[20:21]
	s_mov_b32 s20, 0x7c89e6b0
	s_mov_b32 s21, 0x3efa0199
	s_delay_alu instid0(VALU_DEP_1) | instid1(SALU_CYCLE_1)
	v_fma_f64 v[146:147], v[144:145], v[146:147], s[20:21]
	s_mov_b32 s20, 0x14761f6e
	s_mov_b32 s21, 0x3f2a01a0
	s_delay_alu instid0(VALU_DEP_1) | instid1(SALU_CYCLE_1)
	;; [unrolled: 4-line block ×7, first 2 shown]
	v_fma_f64 v[146:147], v[144:145], v[146:147], s[20:21]
	s_mov_b32 s21, 0x3fe55555
	s_mov_b32 s20, 0x55555555
	s_delay_alu instid0(VALU_DEP_1) | instskip(NEXT) | instid1(VALU_DEP_1)
	v_fma_f64 v[146:147], v[144:145], v[146:147], 1.0
	v_fma_f64 v[133:134], v[144:145], v[146:147], 1.0
	s_delay_alu instid0(VALU_DEP_1) | instskip(NEXT) | instid1(VALU_DEP_1)
	v_ldexp_f64 v[133:134], v[133:134], v148
	v_cndmask_b32_e32 v134, 0x7ff00000, v134, vcc_lo
	s_and_b32 vcc_lo, s3, vcc_lo
	s_delay_alu instid0(VALU_DEP_2) | instskip(NEXT) | instid1(VALU_DEP_2)
	v_cndmask_b32_e32 v12, 0, v133, vcc_lo
	v_cndmask_b32_e64 v13, 0, v134, s3
	s_delay_alu instid0(VALU_DEP_1) | instskip(NEXT) | instid1(VALU_DEP_1)
	v_add_f64 v[133:134], v[12:13], 1.0
	v_frexp_mant_f64_e32 v[144:145], v[133:134]
	v_frexp_exp_i32_f64_e32 v148, v[133:134]
	v_add_f64 v[146:147], v[133:134], -1.0
	s_delay_alu instid0(VALU_DEP_3) | instskip(SKIP_1) | instid1(VALU_DEP_2)
	v_cmp_gt_f64_e32 vcc_lo, s[20:21], v[144:145]
	s_mov_b32 s20, 0x55555780
	v_add_f64 v[144:145], v[146:147], -v[133:134]
	v_add_f64 v[146:147], v[12:13], -v[146:147]
	v_subrev_co_ci_u32_e32 v214, vcc_lo, 0, v148, vcc_lo
	s_delay_alu instid0(VALU_DEP_3) | instskip(SKIP_1) | instid1(VALU_DEP_3)
	v_add_f64 v[144:145], v[144:145], 1.0
	v_cmp_eq_f64_e32 vcc_lo, 0x7ff00000, v[12:13]
	v_sub_nc_u32_e32 v150, 0, v214
	s_delay_alu instid0(VALU_DEP_1) | instskip(NEXT) | instid1(VALU_DEP_4)
	v_ldexp_f64 v[133:134], v[133:134], v150
	v_add_f64 v[144:145], v[146:147], v[144:145]
	s_delay_alu instid0(VALU_DEP_2) | instskip(SKIP_1) | instid1(VALU_DEP_3)
	v_add_f64 v[148:149], v[133:134], 1.0
	v_add_f64 v[162:163], v[133:134], -1.0
	v_ldexp_f64 v[144:145], v[144:145], v150
	s_delay_alu instid0(VALU_DEP_3) | instskip(NEXT) | instid1(VALU_DEP_3)
	v_add_f64 v[146:147], v[148:149], -1.0
	v_add_f64 v[164:165], v[162:163], 1.0
	s_delay_alu instid0(VALU_DEP_2) | instskip(NEXT) | instid1(VALU_DEP_2)
	v_add_f64 v[146:147], v[133:134], -v[146:147]
	v_add_f64 v[133:134], v[133:134], -v[164:165]
	s_delay_alu instid0(VALU_DEP_2) | instskip(NEXT) | instid1(VALU_DEP_2)
	v_add_f64 v[146:147], v[144:145], v[146:147]
	v_add_f64 v[133:134], v[144:145], v[133:134]
	s_delay_alu instid0(VALU_DEP_2) | instskip(NEXT) | instid1(VALU_DEP_2)
	v_add_f64 v[150:151], v[148:149], v[146:147]
	v_add_f64 v[164:165], v[162:163], v[133:134]
	s_delay_alu instid0(VALU_DEP_2) | instskip(SKIP_1) | instid1(VALU_DEP_2)
	v_rcp_f64_e32 v[160:161], v[150:151]
	v_add_f64 v[148:149], v[150:151], -v[148:149]
	v_add_f64 v[162:163], v[164:165], -v[162:163]
	s_delay_alu instid0(VALU_DEP_2) | instskip(SKIP_3) | instid1(VALU_DEP_2)
	v_add_f64 v[146:147], v[146:147], -v[148:149]
	s_waitcnt_depctr 0xfff
	v_fma_f64 v[166:167], -v[150:151], v[160:161], 1.0
	v_add_f64 v[133:134], v[133:134], -v[162:163]
	v_fma_f64 v[160:161], v[166:167], v[160:161], v[160:161]
	s_delay_alu instid0(VALU_DEP_1) | instskip(NEXT) | instid1(VALU_DEP_1)
	v_fma_f64 v[144:145], -v[150:151], v[160:161], 1.0
	v_fma_f64 v[144:145], v[144:145], v[160:161], v[160:161]
	s_delay_alu instid0(VALU_DEP_1) | instskip(NEXT) | instid1(VALU_DEP_1)
	v_mul_f64 v[160:161], v[164:165], v[144:145]
	v_mul_f64 v[166:167], v[150:151], v[160:161]
	s_delay_alu instid0(VALU_DEP_1) | instskip(NEXT) | instid1(VALU_DEP_1)
	v_fma_f64 v[148:149], v[160:161], v[150:151], -v[166:167]
	v_fma_f64 v[148:149], v[160:161], v[146:147], v[148:149]
	s_delay_alu instid0(VALU_DEP_1) | instskip(NEXT) | instid1(VALU_DEP_1)
	v_add_f64 v[176:177], v[166:167], v[148:149]
	v_add_f64 v[212:213], v[164:165], -v[176:177]
	v_add_f64 v[162:163], v[176:177], -v[166:167]
	s_delay_alu instid0(VALU_DEP_2) | instskip(NEXT) | instid1(VALU_DEP_2)
	v_add_f64 v[164:165], v[164:165], -v[212:213]
	v_add_f64 v[148:149], v[162:163], -v[148:149]
	s_delay_alu instid0(VALU_DEP_2) | instskip(NEXT) | instid1(VALU_DEP_1)
	v_add_f64 v[164:165], v[164:165], -v[176:177]
	v_add_f64 v[133:134], v[133:134], v[164:165]
	s_delay_alu instid0(VALU_DEP_1) | instskip(NEXT) | instid1(VALU_DEP_1)
	v_add_f64 v[133:134], v[148:149], v[133:134]
	v_add_f64 v[148:149], v[212:213], v[133:134]
	s_delay_alu instid0(VALU_DEP_1) | instskip(SKIP_1) | instid1(VALU_DEP_2)
	v_mul_f64 v[162:163], v[144:145], v[148:149]
	v_add_f64 v[176:177], v[212:213], -v[148:149]
	v_mul_f64 v[164:165], v[150:151], v[162:163]
	s_delay_alu instid0(VALU_DEP_2) | instskip(NEXT) | instid1(VALU_DEP_2)
	v_add_f64 v[133:134], v[133:134], v[176:177]
	v_fma_f64 v[150:151], v[162:163], v[150:151], -v[164:165]
	s_delay_alu instid0(VALU_DEP_1) | instskip(NEXT) | instid1(VALU_DEP_1)
	v_fma_f64 v[146:147], v[162:163], v[146:147], v[150:151]
	v_add_f64 v[150:151], v[164:165], v[146:147]
	s_delay_alu instid0(VALU_DEP_1) | instskip(SKIP_1) | instid1(VALU_DEP_2)
	v_add_f64 v[166:167], v[148:149], -v[150:151]
	v_add_f64 v[164:165], v[150:151], -v[164:165]
	;; [unrolled: 1-line block ×3, first 2 shown]
	s_delay_alu instid0(VALU_DEP_2) | instskip(NEXT) | instid1(VALU_DEP_2)
	v_add_f64 v[146:147], v[164:165], -v[146:147]
	v_add_f64 v[148:149], v[148:149], -v[150:151]
	s_delay_alu instid0(VALU_DEP_1) | instskip(SKIP_1) | instid1(VALU_DEP_2)
	v_add_f64 v[133:134], v[133:134], v[148:149]
	v_add_f64 v[148:149], v[160:161], v[162:163]
	;; [unrolled: 1-line block ×3, first 2 shown]
	s_delay_alu instid0(VALU_DEP_2) | instskip(NEXT) | instid1(VALU_DEP_2)
	v_add_f64 v[146:147], v[148:149], -v[160:161]
	v_add_f64 v[133:134], v[166:167], v[133:134]
	s_delay_alu instid0(VALU_DEP_2) | instskip(NEXT) | instid1(VALU_DEP_2)
	v_add_f64 v[146:147], v[162:163], -v[146:147]
	v_mul_f64 v[133:134], v[144:145], v[133:134]
	s_delay_alu instid0(VALU_DEP_1) | instskip(NEXT) | instid1(VALU_DEP_1)
	v_add_f64 v[133:134], v[146:147], v[133:134]
	v_add_f64 v[144:145], v[148:149], v[133:134]
	s_delay_alu instid0(VALU_DEP_1) | instskip(NEXT) | instid1(VALU_DEP_1)
	v_mul_f64 v[146:147], v[144:145], v[144:145]
	v_fma_f64 v[150:151], v[146:147], s[24:25], s[22:23]
	s_mov_b32 s22, 0xd7f4df2e
	s_mov_b32 s23, 0x3fc7474d
	v_mul_f64 v[160:161], v[144:145], v[146:147]
	s_delay_alu instid0(VALU_DEP_2)
	v_fma_f64 v[150:151], v[146:147], v[150:151], s[22:23]
	s_mov_b32 s22, 0x16291751
	s_mov_b32 s23, 0x3fcc71c0
	s_delay_alu instid0(VALU_DEP_1) | instid1(SALU_CYCLE_1)
	v_fma_f64 v[150:151], v[146:147], v[150:151], s[22:23]
	s_mov_b32 s22, 0x9b27acf1
	s_mov_b32 s23, 0x3fd24924
	s_delay_alu instid0(VALU_DEP_1) | instid1(SALU_CYCLE_1)
	;; [unrolled: 4-line block ×3, first 2 shown]
	v_fma_f64 v[150:151], v[146:147], v[150:151], s[22:23]
	s_delay_alu instid0(VALU_DEP_1) | instskip(SKIP_2) | instid1(VALU_DEP_3)
	v_fma_f64 v[146:147], v[146:147], v[150:151], s[20:21]
	v_ldexp_f64 v[150:151], v[144:145], 1
	v_add_f64 v[144:145], v[144:145], -v[148:149]
	v_mul_f64 v[146:147], v[160:161], v[146:147]
	v_cvt_f64_i32_e32 v[160:161], v214
	s_delay_alu instid0(VALU_DEP_3) | instskip(NEXT) | instid1(VALU_DEP_3)
	v_add_f64 v[133:134], v[133:134], -v[144:145]
	v_add_f64 v[148:149], v[150:151], v[146:147]
	s_delay_alu instid0(VALU_DEP_3) | instskip(NEXT) | instid1(VALU_DEP_3)
	v_mul_f64 v[162:163], v[160:161], s[4:5]
	v_ldexp_f64 v[133:134], v[133:134], 1
	s_delay_alu instid0(VALU_DEP_3) | instskip(NEXT) | instid1(VALU_DEP_3)
	v_add_f64 v[144:145], v[148:149], -v[150:151]
	v_fma_f64 v[150:151], v[160:161], s[4:5], -v[162:163]
	s_delay_alu instid0(VALU_DEP_2) | instskip(NEXT) | instid1(VALU_DEP_2)
	v_add_f64 v[144:145], v[146:147], -v[144:145]
	v_fma_f64 v[146:147], v[160:161], s[18:19], v[150:151]
	s_delay_alu instid0(VALU_DEP_2) | instskip(NEXT) | instid1(VALU_DEP_2)
	v_add_f64 v[133:134], v[133:134], v[144:145]
	v_add_f64 v[144:145], v[162:163], v[146:147]
	s_delay_alu instid0(VALU_DEP_2) | instskip(NEXT) | instid1(VALU_DEP_2)
	v_add_f64 v[150:151], v[148:149], v[133:134]
	v_add_f64 v[162:163], v[144:145], -v[162:163]
	s_delay_alu instid0(VALU_DEP_2) | instskip(SKIP_1) | instid1(VALU_DEP_3)
	v_add_f64 v[160:161], v[144:145], v[150:151]
	v_add_f64 v[148:149], v[150:151], -v[148:149]
	v_add_f64 v[146:147], v[146:147], -v[162:163]
	s_delay_alu instid0(VALU_DEP_3) | instskip(NEXT) | instid1(VALU_DEP_3)
	v_add_f64 v[164:165], v[160:161], -v[144:145]
	v_add_f64 v[133:134], v[133:134], -v[148:149]
	s_delay_alu instid0(VALU_DEP_2) | instskip(SKIP_1) | instid1(VALU_DEP_3)
	v_add_f64 v[166:167], v[160:161], -v[164:165]
	v_add_f64 v[148:149], v[150:151], -v[164:165]
	v_add_f64 v[150:151], v[146:147], v[133:134]
	s_delay_alu instid0(VALU_DEP_3) | instskip(NEXT) | instid1(VALU_DEP_1)
	v_add_f64 v[144:145], v[144:145], -v[166:167]
	v_add_f64 v[144:145], v[148:149], v[144:145]
	s_delay_alu instid0(VALU_DEP_3) | instskip(NEXT) | instid1(VALU_DEP_2)
	v_add_f64 v[148:149], v[150:151], -v[146:147]
	v_add_f64 v[144:145], v[150:151], v[144:145]
	s_delay_alu instid0(VALU_DEP_2) | instskip(SKIP_1) | instid1(VALU_DEP_3)
	v_add_f64 v[150:151], v[150:151], -v[148:149]
	v_add_f64 v[133:134], v[133:134], -v[148:149]
	v_add_f64 v[162:163], v[160:161], v[144:145]
	s_delay_alu instid0(VALU_DEP_3) | instskip(NEXT) | instid1(VALU_DEP_2)
	v_add_f64 v[146:147], v[146:147], -v[150:151]
	v_add_f64 v[148:149], v[162:163], -v[160:161]
	s_delay_alu instid0(VALU_DEP_2) | instskip(NEXT) | instid1(VALU_DEP_2)
	v_add_f64 v[133:134], v[133:134], v[146:147]
	v_add_f64 v[144:145], v[144:145], -v[148:149]
	s_delay_alu instid0(VALU_DEP_1) | instskip(NEXT) | instid1(VALU_DEP_1)
	v_add_f64 v[133:134], v[133:134], v[144:145]
	v_add_f64 v[133:134], v[162:163], v[133:134]
	s_delay_alu instid0(VALU_DEP_1) | instskip(SKIP_1) | instid1(VALU_DEP_2)
	v_dual_cndmask_b32 v133, v133, v12 :: v_dual_cndmask_b32 v134, v134, v13
	v_cmp_ngt_f64_e32 vcc_lo, -1.0, v[12:13]
	v_cndmask_b32_e32 v134, 0x7ff80000, v134, vcc_lo
	v_cmp_nge_f64_e32 vcc_lo, -1.0, v[12:13]
	s_delay_alu instid0(VALU_DEP_4) | instskip(SKIP_1) | instid1(VALU_DEP_4)
	v_cndmask_b32_e32 v133, 0, v133, vcc_lo
	v_cmp_neq_f64_e32 vcc_lo, -1.0, v[12:13]
	v_cndmask_b32_e32 v134, 0xfff00000, v134, vcc_lo
	s_delay_alu instid0(VALU_DEP_1)
	v_add_f64 v[12:13], v[14:15], v[133:134]
.LBB36_237:
	s_or_b32 exec_lo, exec_lo, s6
	s_delay_alu instid0(VALU_DEP_1) | instskip(SKIP_1) | instid1(VALU_DEP_2)
	v_max_f64 v[14:15], v[12:13], v[12:13]
	v_cmp_u_f64_e32 vcc_lo, v[12:13], v[12:13]
	v_min_f64 v[133:134], v[14:15], v[16:17]
	v_max_f64 v[14:15], v[14:15], v[16:17]
	s_delay_alu instid0(VALU_DEP_2) | instskip(NEXT) | instid1(VALU_DEP_2)
	v_dual_cndmask_b32 v16, v133, v12 :: v_dual_cndmask_b32 v17, v134, v13
	v_dual_cndmask_b32 v15, v15, v13 :: v_dual_cndmask_b32 v14, v14, v12
	s_delay_alu instid0(VALU_DEP_2) | instskip(NEXT) | instid1(VALU_DEP_3)
	v_cndmask_b32_e64 v133, v16, v102, s7
	v_cndmask_b32_e64 v134, v17, v103, s7
	s_delay_alu instid0(VALU_DEP_3) | instskip(NEXT) | instid1(VALU_DEP_4)
	v_cndmask_b32_e64 v17, v15, v103, s7
	v_cndmask_b32_e64 v16, v14, v102, s7
	v_dual_mov_b32 v15, v13 :: v_dual_mov_b32 v14, v12
	s_delay_alu instid0(VALU_DEP_4) | instskip(NEXT) | instid1(VALU_DEP_3)
	v_cmp_class_f64_e64 s3, v[133:134], 0x1f8
	v_cmp_neq_f64_e32 vcc_lo, v[133:134], v[16:17]
	s_delay_alu instid0(VALU_DEP_2) | instskip(NEXT) | instid1(SALU_CYCLE_1)
	s_or_b32 s3, vcc_lo, s3
	s_and_saveexec_b32 s20, s3
	s_cbranch_execz .LBB36_239
; %bb.238:
	v_add_f64 v[14:15], v[133:134], -v[16:17]
	s_mov_b32 s4, 0x652b82fe
	s_mov_b32 s5, 0x3ff71547
	s_mov_b32 s7, 0xbc7abc9e
	s_mov_b32 s6, 0x3b39803f
	s_mov_b32 s18, 0xfca7ab0c
	s_mov_b32 s22, 0x6a5dcb37
	s_mov_b32 s19, 0x3e928af3
	s_mov_b32 s23, 0x3e5ade15
	s_mov_b32 s24, 0xbf559e2b
	s_mov_b32 s25, 0x3fc3ab76
	s_delay_alu instid0(VALU_DEP_1) | instskip(SKIP_4) | instid1(VALU_DEP_3)
	v_mul_f64 v[133:134], v[14:15], s[4:5]
	s_mov_b32 s5, 0xbfe62e42
	s_mov_b32 s4, 0xfefa39ef
	v_cmp_nlt_f64_e32 vcc_lo, 0x40900000, v[14:15]
	v_cmp_ngt_f64_e64 s3, 0xc090cc00, v[14:15]
	v_rndne_f64_e32 v[133:134], v[133:134]
	s_delay_alu instid0(VALU_DEP_1) | instskip(SKIP_2) | instid1(VALU_DEP_2)
	v_fma_f64 v[144:145], v[133:134], s[4:5], v[14:15]
	v_cvt_i32_f64_e32 v148, v[133:134]
	s_mov_b32 s5, 0x3fe62e42
	v_fma_f64 v[144:145], v[133:134], s[6:7], v[144:145]
	s_mov_b32 s7, 0x3c7abc9e
	s_delay_alu instid0(VALU_DEP_1) | instskip(SKIP_4) | instid1(VALU_DEP_1)
	v_fma_f64 v[146:147], v[144:145], s[22:23], s[18:19]
	s_mov_b32 s18, 0x623fde64
	s_mov_b32 s19, 0x3ec71dee
	;; [unrolled: 1-line block ×4, first 2 shown]
	v_fma_f64 v[146:147], v[144:145], v[146:147], s[18:19]
	s_mov_b32 s18, 0x7c89e6b0
	s_mov_b32 s19, 0x3efa0199
	s_delay_alu instid0(VALU_DEP_1) | instid1(SALU_CYCLE_1)
	v_fma_f64 v[146:147], v[144:145], v[146:147], s[18:19]
	s_mov_b32 s18, 0x14761f6e
	s_mov_b32 s19, 0x3f2a01a0
	s_delay_alu instid0(VALU_DEP_1) | instid1(SALU_CYCLE_1)
	;; [unrolled: 4-line block ×7, first 2 shown]
	v_fma_f64 v[146:147], v[144:145], v[146:147], s[18:19]
	s_mov_b32 s19, 0x3fe55555
	s_mov_b32 s18, 0x55555555
	s_delay_alu instid0(VALU_DEP_1) | instskip(NEXT) | instid1(VALU_DEP_1)
	v_fma_f64 v[146:147], v[144:145], v[146:147], 1.0
	v_fma_f64 v[133:134], v[144:145], v[146:147], 1.0
	s_delay_alu instid0(VALU_DEP_1) | instskip(NEXT) | instid1(VALU_DEP_1)
	v_ldexp_f64 v[133:134], v[133:134], v148
	v_cndmask_b32_e32 v134, 0x7ff00000, v134, vcc_lo
	s_and_b32 vcc_lo, s3, vcc_lo
	s_delay_alu instid0(VALU_DEP_2) | instskip(NEXT) | instid1(VALU_DEP_2)
	v_cndmask_b32_e32 v14, 0, v133, vcc_lo
	v_cndmask_b32_e64 v15, 0, v134, s3
	s_delay_alu instid0(VALU_DEP_1) | instskip(NEXT) | instid1(VALU_DEP_1)
	v_add_f64 v[133:134], v[14:15], 1.0
	v_frexp_mant_f64_e32 v[144:145], v[133:134]
	v_frexp_exp_i32_f64_e32 v148, v[133:134]
	v_add_f64 v[146:147], v[133:134], -1.0
	s_delay_alu instid0(VALU_DEP_3) | instskip(SKIP_1) | instid1(VALU_DEP_2)
	v_cmp_gt_f64_e32 vcc_lo, s[18:19], v[144:145]
	s_mov_b32 s18, 0x55555780
	v_add_f64 v[144:145], v[146:147], -v[133:134]
	v_add_f64 v[146:147], v[14:15], -v[146:147]
	v_subrev_co_ci_u32_e32 v214, vcc_lo, 0, v148, vcc_lo
	s_delay_alu instid0(VALU_DEP_3) | instskip(SKIP_1) | instid1(VALU_DEP_3)
	v_add_f64 v[144:145], v[144:145], 1.0
	v_cmp_eq_f64_e32 vcc_lo, 0x7ff00000, v[14:15]
	v_sub_nc_u32_e32 v150, 0, v214
	s_delay_alu instid0(VALU_DEP_1) | instskip(NEXT) | instid1(VALU_DEP_4)
	v_ldexp_f64 v[133:134], v[133:134], v150
	v_add_f64 v[144:145], v[146:147], v[144:145]
	s_delay_alu instid0(VALU_DEP_2) | instskip(SKIP_1) | instid1(VALU_DEP_3)
	v_add_f64 v[148:149], v[133:134], 1.0
	v_add_f64 v[162:163], v[133:134], -1.0
	v_ldexp_f64 v[144:145], v[144:145], v150
	s_delay_alu instid0(VALU_DEP_3) | instskip(NEXT) | instid1(VALU_DEP_3)
	v_add_f64 v[146:147], v[148:149], -1.0
	v_add_f64 v[164:165], v[162:163], 1.0
	s_delay_alu instid0(VALU_DEP_2) | instskip(NEXT) | instid1(VALU_DEP_2)
	v_add_f64 v[146:147], v[133:134], -v[146:147]
	v_add_f64 v[133:134], v[133:134], -v[164:165]
	s_delay_alu instid0(VALU_DEP_2) | instskip(NEXT) | instid1(VALU_DEP_2)
	v_add_f64 v[146:147], v[144:145], v[146:147]
	v_add_f64 v[133:134], v[144:145], v[133:134]
	s_delay_alu instid0(VALU_DEP_2) | instskip(NEXT) | instid1(VALU_DEP_2)
	v_add_f64 v[150:151], v[148:149], v[146:147]
	v_add_f64 v[164:165], v[162:163], v[133:134]
	s_delay_alu instid0(VALU_DEP_2) | instskip(SKIP_1) | instid1(VALU_DEP_2)
	v_rcp_f64_e32 v[160:161], v[150:151]
	v_add_f64 v[148:149], v[150:151], -v[148:149]
	v_add_f64 v[162:163], v[164:165], -v[162:163]
	s_delay_alu instid0(VALU_DEP_2) | instskip(SKIP_3) | instid1(VALU_DEP_2)
	v_add_f64 v[146:147], v[146:147], -v[148:149]
	s_waitcnt_depctr 0xfff
	v_fma_f64 v[166:167], -v[150:151], v[160:161], 1.0
	v_add_f64 v[133:134], v[133:134], -v[162:163]
	v_fma_f64 v[160:161], v[166:167], v[160:161], v[160:161]
	s_delay_alu instid0(VALU_DEP_1) | instskip(NEXT) | instid1(VALU_DEP_1)
	v_fma_f64 v[144:145], -v[150:151], v[160:161], 1.0
	v_fma_f64 v[144:145], v[144:145], v[160:161], v[160:161]
	s_delay_alu instid0(VALU_DEP_1) | instskip(NEXT) | instid1(VALU_DEP_1)
	v_mul_f64 v[160:161], v[164:165], v[144:145]
	v_mul_f64 v[166:167], v[150:151], v[160:161]
	s_delay_alu instid0(VALU_DEP_1) | instskip(NEXT) | instid1(VALU_DEP_1)
	v_fma_f64 v[148:149], v[160:161], v[150:151], -v[166:167]
	v_fma_f64 v[148:149], v[160:161], v[146:147], v[148:149]
	s_delay_alu instid0(VALU_DEP_1) | instskip(NEXT) | instid1(VALU_DEP_1)
	v_add_f64 v[176:177], v[166:167], v[148:149]
	v_add_f64 v[212:213], v[164:165], -v[176:177]
	v_add_f64 v[162:163], v[176:177], -v[166:167]
	s_delay_alu instid0(VALU_DEP_2) | instskip(NEXT) | instid1(VALU_DEP_2)
	v_add_f64 v[164:165], v[164:165], -v[212:213]
	v_add_f64 v[148:149], v[162:163], -v[148:149]
	s_delay_alu instid0(VALU_DEP_2) | instskip(NEXT) | instid1(VALU_DEP_1)
	v_add_f64 v[164:165], v[164:165], -v[176:177]
	v_add_f64 v[133:134], v[133:134], v[164:165]
	s_delay_alu instid0(VALU_DEP_1) | instskip(NEXT) | instid1(VALU_DEP_1)
	v_add_f64 v[133:134], v[148:149], v[133:134]
	v_add_f64 v[148:149], v[212:213], v[133:134]
	s_delay_alu instid0(VALU_DEP_1) | instskip(SKIP_1) | instid1(VALU_DEP_2)
	v_mul_f64 v[162:163], v[144:145], v[148:149]
	v_add_f64 v[176:177], v[212:213], -v[148:149]
	v_mul_f64 v[164:165], v[150:151], v[162:163]
	s_delay_alu instid0(VALU_DEP_2) | instskip(NEXT) | instid1(VALU_DEP_2)
	v_add_f64 v[133:134], v[133:134], v[176:177]
	v_fma_f64 v[150:151], v[162:163], v[150:151], -v[164:165]
	s_delay_alu instid0(VALU_DEP_1) | instskip(NEXT) | instid1(VALU_DEP_1)
	v_fma_f64 v[146:147], v[162:163], v[146:147], v[150:151]
	v_add_f64 v[150:151], v[164:165], v[146:147]
	s_delay_alu instid0(VALU_DEP_1) | instskip(SKIP_1) | instid1(VALU_DEP_2)
	v_add_f64 v[166:167], v[148:149], -v[150:151]
	v_add_f64 v[164:165], v[150:151], -v[164:165]
	;; [unrolled: 1-line block ×3, first 2 shown]
	s_delay_alu instid0(VALU_DEP_2) | instskip(NEXT) | instid1(VALU_DEP_2)
	v_add_f64 v[146:147], v[164:165], -v[146:147]
	v_add_f64 v[148:149], v[148:149], -v[150:151]
	s_delay_alu instid0(VALU_DEP_1) | instskip(SKIP_1) | instid1(VALU_DEP_2)
	v_add_f64 v[133:134], v[133:134], v[148:149]
	v_add_f64 v[148:149], v[160:161], v[162:163]
	;; [unrolled: 1-line block ×3, first 2 shown]
	s_delay_alu instid0(VALU_DEP_2) | instskip(NEXT) | instid1(VALU_DEP_2)
	v_add_f64 v[146:147], v[148:149], -v[160:161]
	v_add_f64 v[133:134], v[166:167], v[133:134]
	s_delay_alu instid0(VALU_DEP_2) | instskip(NEXT) | instid1(VALU_DEP_2)
	v_add_f64 v[146:147], v[162:163], -v[146:147]
	v_mul_f64 v[133:134], v[144:145], v[133:134]
	s_delay_alu instid0(VALU_DEP_1) | instskip(NEXT) | instid1(VALU_DEP_1)
	v_add_f64 v[133:134], v[146:147], v[133:134]
	v_add_f64 v[144:145], v[148:149], v[133:134]
	s_delay_alu instid0(VALU_DEP_1) | instskip(NEXT) | instid1(VALU_DEP_1)
	v_mul_f64 v[146:147], v[144:145], v[144:145]
	v_fma_f64 v[150:151], v[146:147], s[24:25], s[22:23]
	s_mov_b32 s22, 0xd7f4df2e
	s_mov_b32 s23, 0x3fc7474d
	v_mul_f64 v[160:161], v[144:145], v[146:147]
	s_delay_alu instid0(VALU_DEP_2)
	v_fma_f64 v[150:151], v[146:147], v[150:151], s[22:23]
	s_mov_b32 s22, 0x16291751
	s_mov_b32 s23, 0x3fcc71c0
	s_delay_alu instid0(VALU_DEP_1) | instid1(SALU_CYCLE_1)
	v_fma_f64 v[150:151], v[146:147], v[150:151], s[22:23]
	s_mov_b32 s22, 0x9b27acf1
	s_mov_b32 s23, 0x3fd24924
	s_delay_alu instid0(VALU_DEP_1) | instid1(SALU_CYCLE_1)
	;; [unrolled: 4-line block ×3, first 2 shown]
	v_fma_f64 v[150:151], v[146:147], v[150:151], s[22:23]
	s_delay_alu instid0(VALU_DEP_1) | instskip(SKIP_2) | instid1(VALU_DEP_3)
	v_fma_f64 v[146:147], v[146:147], v[150:151], s[18:19]
	v_ldexp_f64 v[150:151], v[144:145], 1
	v_add_f64 v[144:145], v[144:145], -v[148:149]
	v_mul_f64 v[146:147], v[160:161], v[146:147]
	v_cvt_f64_i32_e32 v[160:161], v214
	s_delay_alu instid0(VALU_DEP_3) | instskip(NEXT) | instid1(VALU_DEP_3)
	v_add_f64 v[133:134], v[133:134], -v[144:145]
	v_add_f64 v[148:149], v[150:151], v[146:147]
	s_delay_alu instid0(VALU_DEP_3) | instskip(NEXT) | instid1(VALU_DEP_3)
	v_mul_f64 v[162:163], v[160:161], s[4:5]
	v_ldexp_f64 v[133:134], v[133:134], 1
	s_delay_alu instid0(VALU_DEP_3) | instskip(NEXT) | instid1(VALU_DEP_3)
	v_add_f64 v[144:145], v[148:149], -v[150:151]
	v_fma_f64 v[150:151], v[160:161], s[4:5], -v[162:163]
	s_delay_alu instid0(VALU_DEP_2) | instskip(NEXT) | instid1(VALU_DEP_2)
	v_add_f64 v[144:145], v[146:147], -v[144:145]
	v_fma_f64 v[146:147], v[160:161], s[6:7], v[150:151]
	s_delay_alu instid0(VALU_DEP_2) | instskip(NEXT) | instid1(VALU_DEP_2)
	v_add_f64 v[133:134], v[133:134], v[144:145]
	v_add_f64 v[144:145], v[162:163], v[146:147]
	s_delay_alu instid0(VALU_DEP_2) | instskip(NEXT) | instid1(VALU_DEP_2)
	v_add_f64 v[150:151], v[148:149], v[133:134]
	v_add_f64 v[162:163], v[144:145], -v[162:163]
	s_delay_alu instid0(VALU_DEP_2) | instskip(SKIP_1) | instid1(VALU_DEP_3)
	v_add_f64 v[160:161], v[144:145], v[150:151]
	v_add_f64 v[148:149], v[150:151], -v[148:149]
	v_add_f64 v[146:147], v[146:147], -v[162:163]
	s_delay_alu instid0(VALU_DEP_3) | instskip(NEXT) | instid1(VALU_DEP_3)
	v_add_f64 v[164:165], v[160:161], -v[144:145]
	v_add_f64 v[133:134], v[133:134], -v[148:149]
	s_delay_alu instid0(VALU_DEP_2) | instskip(SKIP_1) | instid1(VALU_DEP_3)
	v_add_f64 v[166:167], v[160:161], -v[164:165]
	v_add_f64 v[148:149], v[150:151], -v[164:165]
	v_add_f64 v[150:151], v[146:147], v[133:134]
	s_delay_alu instid0(VALU_DEP_3) | instskip(NEXT) | instid1(VALU_DEP_1)
	v_add_f64 v[144:145], v[144:145], -v[166:167]
	v_add_f64 v[144:145], v[148:149], v[144:145]
	s_delay_alu instid0(VALU_DEP_3) | instskip(NEXT) | instid1(VALU_DEP_2)
	v_add_f64 v[148:149], v[150:151], -v[146:147]
	v_add_f64 v[144:145], v[150:151], v[144:145]
	s_delay_alu instid0(VALU_DEP_2) | instskip(SKIP_1) | instid1(VALU_DEP_3)
	v_add_f64 v[150:151], v[150:151], -v[148:149]
	v_add_f64 v[133:134], v[133:134], -v[148:149]
	v_add_f64 v[162:163], v[160:161], v[144:145]
	s_delay_alu instid0(VALU_DEP_3) | instskip(NEXT) | instid1(VALU_DEP_2)
	v_add_f64 v[146:147], v[146:147], -v[150:151]
	v_add_f64 v[148:149], v[162:163], -v[160:161]
	s_delay_alu instid0(VALU_DEP_2) | instskip(NEXT) | instid1(VALU_DEP_2)
	v_add_f64 v[133:134], v[133:134], v[146:147]
	v_add_f64 v[144:145], v[144:145], -v[148:149]
	s_delay_alu instid0(VALU_DEP_1) | instskip(NEXT) | instid1(VALU_DEP_1)
	v_add_f64 v[133:134], v[133:134], v[144:145]
	v_add_f64 v[133:134], v[162:163], v[133:134]
	s_delay_alu instid0(VALU_DEP_1) | instskip(SKIP_1) | instid1(VALU_DEP_2)
	v_dual_cndmask_b32 v133, v133, v14 :: v_dual_cndmask_b32 v134, v134, v15
	v_cmp_ngt_f64_e32 vcc_lo, -1.0, v[14:15]
	v_cndmask_b32_e32 v134, 0x7ff80000, v134, vcc_lo
	v_cmp_nge_f64_e32 vcc_lo, -1.0, v[14:15]
	s_delay_alu instid0(VALU_DEP_4) | instskip(SKIP_1) | instid1(VALU_DEP_4)
	v_cndmask_b32_e32 v133, 0, v133, vcc_lo
	v_cmp_neq_f64_e32 vcc_lo, -1.0, v[14:15]
	v_cndmask_b32_e32 v134, 0xfff00000, v134, vcc_lo
	s_delay_alu instid0(VALU_DEP_1)
	v_add_f64 v[14:15], v[16:17], v[133:134]
.LBB36_239:
	s_or_b32 exec_lo, exec_lo, s20
	s_delay_alu instid0(VALU_DEP_1) | instskip(SKIP_1) | instid1(VALU_DEP_2)
	v_max_f64 v[16:17], v[14:15], v[14:15]
	v_cmp_u_f64_e32 vcc_lo, v[14:15], v[14:15]
	v_min_f64 v[133:134], v[16:17], v[18:19]
	v_max_f64 v[16:17], v[16:17], v[18:19]
	s_delay_alu instid0(VALU_DEP_2) | instskip(NEXT) | instid1(VALU_DEP_2)
	v_dual_cndmask_b32 v18, v133, v14 :: v_dual_cndmask_b32 v19, v134, v15
	v_dual_cndmask_b32 v17, v17, v15 :: v_dual_cndmask_b32 v16, v16, v14
	s_delay_alu instid0(VALU_DEP_2) | instskip(NEXT) | instid1(VALU_DEP_3)
	v_cndmask_b32_e64 v133, v18, v96, s8
	v_cndmask_b32_e64 v134, v19, v97, s8
	s_delay_alu instid0(VALU_DEP_3) | instskip(NEXT) | instid1(VALU_DEP_4)
	v_cndmask_b32_e64 v19, v17, v97, s8
	v_cndmask_b32_e64 v18, v16, v96, s8
	v_dual_mov_b32 v17, v15 :: v_dual_mov_b32 v16, v14
	s_delay_alu instid0(VALU_DEP_4) | instskip(NEXT) | instid1(VALU_DEP_3)
	v_cmp_class_f64_e64 s3, v[133:134], 0x1f8
	v_cmp_neq_f64_e32 vcc_lo, v[133:134], v[18:19]
	s_delay_alu instid0(VALU_DEP_2) | instskip(NEXT) | instid1(SALU_CYCLE_1)
	s_or_b32 s3, vcc_lo, s3
	s_and_saveexec_b32 s8, s3
	s_cbranch_execz .LBB36_241
; %bb.240:
	v_add_f64 v[16:17], v[133:134], -v[18:19]
	s_mov_b32 s4, 0x652b82fe
	s_mov_b32 s5, 0x3ff71547
	;; [unrolled: 1-line block ×10, first 2 shown]
	s_delay_alu instid0(VALU_DEP_1) | instskip(SKIP_4) | instid1(VALU_DEP_3)
	v_mul_f64 v[133:134], v[16:17], s[4:5]
	s_mov_b32 s5, 0xbfe62e42
	s_mov_b32 s4, 0xfefa39ef
	v_cmp_nlt_f64_e32 vcc_lo, 0x40900000, v[16:17]
	v_cmp_ngt_f64_e64 s3, 0xc090cc00, v[16:17]
	v_rndne_f64_e32 v[133:134], v[133:134]
	s_delay_alu instid0(VALU_DEP_1) | instskip(SKIP_2) | instid1(VALU_DEP_2)
	v_fma_f64 v[144:145], v[133:134], s[4:5], v[16:17]
	v_cvt_i32_f64_e32 v148, v[133:134]
	s_mov_b32 s5, 0x3fe62e42
	v_fma_f64 v[144:145], v[133:134], s[6:7], v[144:145]
	s_mov_b32 s7, 0x3c7abc9e
	s_delay_alu instid0(VALU_DEP_1) | instskip(SKIP_4) | instid1(VALU_DEP_1)
	v_fma_f64 v[146:147], v[144:145], s[20:21], s[18:19]
	s_mov_b32 s18, 0x623fde64
	s_mov_b32 s19, 0x3ec71dee
	;; [unrolled: 1-line block ×4, first 2 shown]
	v_fma_f64 v[146:147], v[144:145], v[146:147], s[18:19]
	s_mov_b32 s18, 0x7c89e6b0
	s_mov_b32 s19, 0x3efa0199
	s_delay_alu instid0(VALU_DEP_1) | instid1(SALU_CYCLE_1)
	v_fma_f64 v[146:147], v[144:145], v[146:147], s[18:19]
	s_mov_b32 s18, 0x14761f6e
	s_mov_b32 s19, 0x3f2a01a0
	s_delay_alu instid0(VALU_DEP_1) | instid1(SALU_CYCLE_1)
	;; [unrolled: 4-line block ×7, first 2 shown]
	v_fma_f64 v[146:147], v[144:145], v[146:147], s[18:19]
	s_mov_b32 s19, 0x3fe55555
	s_mov_b32 s18, 0x55555555
	s_delay_alu instid0(VALU_DEP_1) | instskip(NEXT) | instid1(VALU_DEP_1)
	v_fma_f64 v[146:147], v[144:145], v[146:147], 1.0
	v_fma_f64 v[133:134], v[144:145], v[146:147], 1.0
	s_delay_alu instid0(VALU_DEP_1) | instskip(NEXT) | instid1(VALU_DEP_1)
	v_ldexp_f64 v[133:134], v[133:134], v148
	v_cndmask_b32_e32 v134, 0x7ff00000, v134, vcc_lo
	s_and_b32 vcc_lo, s3, vcc_lo
	s_delay_alu instid0(VALU_DEP_2) | instskip(NEXT) | instid1(VALU_DEP_2)
	v_cndmask_b32_e32 v16, 0, v133, vcc_lo
	v_cndmask_b32_e64 v17, 0, v134, s3
	s_delay_alu instid0(VALU_DEP_1) | instskip(NEXT) | instid1(VALU_DEP_1)
	v_add_f64 v[133:134], v[16:17], 1.0
	v_frexp_mant_f64_e32 v[144:145], v[133:134]
	v_frexp_exp_i32_f64_e32 v148, v[133:134]
	v_add_f64 v[146:147], v[133:134], -1.0
	s_delay_alu instid0(VALU_DEP_3) | instskip(SKIP_1) | instid1(VALU_DEP_2)
	v_cmp_gt_f64_e32 vcc_lo, s[18:19], v[144:145]
	s_mov_b32 s18, 0x55555780
	v_add_f64 v[144:145], v[146:147], -v[133:134]
	v_add_f64 v[146:147], v[16:17], -v[146:147]
	v_subrev_co_ci_u32_e32 v214, vcc_lo, 0, v148, vcc_lo
	s_delay_alu instid0(VALU_DEP_3) | instskip(SKIP_1) | instid1(VALU_DEP_3)
	v_add_f64 v[144:145], v[144:145], 1.0
	v_cmp_eq_f64_e32 vcc_lo, 0x7ff00000, v[16:17]
	v_sub_nc_u32_e32 v150, 0, v214
	s_delay_alu instid0(VALU_DEP_1) | instskip(NEXT) | instid1(VALU_DEP_4)
	v_ldexp_f64 v[133:134], v[133:134], v150
	v_add_f64 v[144:145], v[146:147], v[144:145]
	s_delay_alu instid0(VALU_DEP_2) | instskip(SKIP_1) | instid1(VALU_DEP_3)
	v_add_f64 v[148:149], v[133:134], 1.0
	v_add_f64 v[162:163], v[133:134], -1.0
	v_ldexp_f64 v[144:145], v[144:145], v150
	s_delay_alu instid0(VALU_DEP_3) | instskip(NEXT) | instid1(VALU_DEP_3)
	v_add_f64 v[146:147], v[148:149], -1.0
	v_add_f64 v[164:165], v[162:163], 1.0
	s_delay_alu instid0(VALU_DEP_2) | instskip(NEXT) | instid1(VALU_DEP_2)
	v_add_f64 v[146:147], v[133:134], -v[146:147]
	v_add_f64 v[133:134], v[133:134], -v[164:165]
	s_delay_alu instid0(VALU_DEP_2) | instskip(NEXT) | instid1(VALU_DEP_2)
	v_add_f64 v[146:147], v[144:145], v[146:147]
	v_add_f64 v[133:134], v[144:145], v[133:134]
	s_delay_alu instid0(VALU_DEP_2) | instskip(NEXT) | instid1(VALU_DEP_2)
	v_add_f64 v[150:151], v[148:149], v[146:147]
	v_add_f64 v[164:165], v[162:163], v[133:134]
	s_delay_alu instid0(VALU_DEP_2) | instskip(SKIP_1) | instid1(VALU_DEP_2)
	v_rcp_f64_e32 v[160:161], v[150:151]
	v_add_f64 v[148:149], v[150:151], -v[148:149]
	v_add_f64 v[162:163], v[164:165], -v[162:163]
	s_delay_alu instid0(VALU_DEP_2) | instskip(SKIP_3) | instid1(VALU_DEP_2)
	v_add_f64 v[146:147], v[146:147], -v[148:149]
	s_waitcnt_depctr 0xfff
	v_fma_f64 v[166:167], -v[150:151], v[160:161], 1.0
	v_add_f64 v[133:134], v[133:134], -v[162:163]
	v_fma_f64 v[160:161], v[166:167], v[160:161], v[160:161]
	s_delay_alu instid0(VALU_DEP_1) | instskip(NEXT) | instid1(VALU_DEP_1)
	v_fma_f64 v[144:145], -v[150:151], v[160:161], 1.0
	v_fma_f64 v[144:145], v[144:145], v[160:161], v[160:161]
	s_delay_alu instid0(VALU_DEP_1) | instskip(NEXT) | instid1(VALU_DEP_1)
	v_mul_f64 v[160:161], v[164:165], v[144:145]
	v_mul_f64 v[166:167], v[150:151], v[160:161]
	s_delay_alu instid0(VALU_DEP_1) | instskip(NEXT) | instid1(VALU_DEP_1)
	v_fma_f64 v[148:149], v[160:161], v[150:151], -v[166:167]
	v_fma_f64 v[148:149], v[160:161], v[146:147], v[148:149]
	s_delay_alu instid0(VALU_DEP_1) | instskip(NEXT) | instid1(VALU_DEP_1)
	v_add_f64 v[176:177], v[166:167], v[148:149]
	v_add_f64 v[212:213], v[164:165], -v[176:177]
	v_add_f64 v[162:163], v[176:177], -v[166:167]
	s_delay_alu instid0(VALU_DEP_2) | instskip(NEXT) | instid1(VALU_DEP_2)
	v_add_f64 v[164:165], v[164:165], -v[212:213]
	v_add_f64 v[148:149], v[162:163], -v[148:149]
	s_delay_alu instid0(VALU_DEP_2) | instskip(NEXT) | instid1(VALU_DEP_1)
	v_add_f64 v[164:165], v[164:165], -v[176:177]
	v_add_f64 v[133:134], v[133:134], v[164:165]
	s_delay_alu instid0(VALU_DEP_1) | instskip(NEXT) | instid1(VALU_DEP_1)
	v_add_f64 v[133:134], v[148:149], v[133:134]
	v_add_f64 v[148:149], v[212:213], v[133:134]
	s_delay_alu instid0(VALU_DEP_1) | instskip(SKIP_1) | instid1(VALU_DEP_2)
	v_mul_f64 v[162:163], v[144:145], v[148:149]
	v_add_f64 v[176:177], v[212:213], -v[148:149]
	v_mul_f64 v[164:165], v[150:151], v[162:163]
	s_delay_alu instid0(VALU_DEP_2) | instskip(NEXT) | instid1(VALU_DEP_2)
	v_add_f64 v[133:134], v[133:134], v[176:177]
	v_fma_f64 v[150:151], v[162:163], v[150:151], -v[164:165]
	s_delay_alu instid0(VALU_DEP_1) | instskip(NEXT) | instid1(VALU_DEP_1)
	v_fma_f64 v[146:147], v[162:163], v[146:147], v[150:151]
	v_add_f64 v[150:151], v[164:165], v[146:147]
	s_delay_alu instid0(VALU_DEP_1) | instskip(SKIP_1) | instid1(VALU_DEP_2)
	v_add_f64 v[166:167], v[148:149], -v[150:151]
	v_add_f64 v[164:165], v[150:151], -v[164:165]
	;; [unrolled: 1-line block ×3, first 2 shown]
	s_delay_alu instid0(VALU_DEP_2) | instskip(NEXT) | instid1(VALU_DEP_2)
	v_add_f64 v[146:147], v[164:165], -v[146:147]
	v_add_f64 v[148:149], v[148:149], -v[150:151]
	s_delay_alu instid0(VALU_DEP_1) | instskip(SKIP_1) | instid1(VALU_DEP_2)
	v_add_f64 v[133:134], v[133:134], v[148:149]
	v_add_f64 v[148:149], v[160:161], v[162:163]
	;; [unrolled: 1-line block ×3, first 2 shown]
	s_delay_alu instid0(VALU_DEP_2) | instskip(NEXT) | instid1(VALU_DEP_2)
	v_add_f64 v[146:147], v[148:149], -v[160:161]
	v_add_f64 v[133:134], v[166:167], v[133:134]
	s_delay_alu instid0(VALU_DEP_2) | instskip(NEXT) | instid1(VALU_DEP_2)
	v_add_f64 v[146:147], v[162:163], -v[146:147]
	v_mul_f64 v[133:134], v[144:145], v[133:134]
	s_delay_alu instid0(VALU_DEP_1) | instskip(NEXT) | instid1(VALU_DEP_1)
	v_add_f64 v[133:134], v[146:147], v[133:134]
	v_add_f64 v[144:145], v[148:149], v[133:134]
	s_delay_alu instid0(VALU_DEP_1) | instskip(NEXT) | instid1(VALU_DEP_1)
	v_mul_f64 v[146:147], v[144:145], v[144:145]
	v_fma_f64 v[150:151], v[146:147], s[22:23], s[20:21]
	s_mov_b32 s20, 0xd7f4df2e
	s_mov_b32 s21, 0x3fc7474d
	v_mul_f64 v[160:161], v[144:145], v[146:147]
	s_delay_alu instid0(VALU_DEP_2)
	v_fma_f64 v[150:151], v[146:147], v[150:151], s[20:21]
	s_mov_b32 s20, 0x16291751
	s_mov_b32 s21, 0x3fcc71c0
	s_delay_alu instid0(VALU_DEP_1) | instid1(SALU_CYCLE_1)
	v_fma_f64 v[150:151], v[146:147], v[150:151], s[20:21]
	s_mov_b32 s20, 0x9b27acf1
	s_mov_b32 s21, 0x3fd24924
	s_delay_alu instid0(VALU_DEP_1) | instid1(SALU_CYCLE_1)
	;; [unrolled: 4-line block ×3, first 2 shown]
	v_fma_f64 v[150:151], v[146:147], v[150:151], s[20:21]
	s_delay_alu instid0(VALU_DEP_1) | instskip(SKIP_2) | instid1(VALU_DEP_3)
	v_fma_f64 v[146:147], v[146:147], v[150:151], s[18:19]
	v_ldexp_f64 v[150:151], v[144:145], 1
	v_add_f64 v[144:145], v[144:145], -v[148:149]
	v_mul_f64 v[146:147], v[160:161], v[146:147]
	v_cvt_f64_i32_e32 v[160:161], v214
	s_delay_alu instid0(VALU_DEP_3) | instskip(NEXT) | instid1(VALU_DEP_3)
	v_add_f64 v[133:134], v[133:134], -v[144:145]
	v_add_f64 v[148:149], v[150:151], v[146:147]
	s_delay_alu instid0(VALU_DEP_3) | instskip(NEXT) | instid1(VALU_DEP_3)
	v_mul_f64 v[162:163], v[160:161], s[4:5]
	v_ldexp_f64 v[133:134], v[133:134], 1
	s_delay_alu instid0(VALU_DEP_3) | instskip(NEXT) | instid1(VALU_DEP_3)
	v_add_f64 v[144:145], v[148:149], -v[150:151]
	v_fma_f64 v[150:151], v[160:161], s[4:5], -v[162:163]
	s_delay_alu instid0(VALU_DEP_2) | instskip(NEXT) | instid1(VALU_DEP_2)
	v_add_f64 v[144:145], v[146:147], -v[144:145]
	v_fma_f64 v[146:147], v[160:161], s[6:7], v[150:151]
	s_delay_alu instid0(VALU_DEP_2) | instskip(NEXT) | instid1(VALU_DEP_2)
	v_add_f64 v[133:134], v[133:134], v[144:145]
	v_add_f64 v[144:145], v[162:163], v[146:147]
	s_delay_alu instid0(VALU_DEP_2) | instskip(NEXT) | instid1(VALU_DEP_2)
	v_add_f64 v[150:151], v[148:149], v[133:134]
	v_add_f64 v[162:163], v[144:145], -v[162:163]
	s_delay_alu instid0(VALU_DEP_2) | instskip(SKIP_1) | instid1(VALU_DEP_3)
	v_add_f64 v[160:161], v[144:145], v[150:151]
	v_add_f64 v[148:149], v[150:151], -v[148:149]
	v_add_f64 v[146:147], v[146:147], -v[162:163]
	s_delay_alu instid0(VALU_DEP_3) | instskip(NEXT) | instid1(VALU_DEP_3)
	v_add_f64 v[164:165], v[160:161], -v[144:145]
	v_add_f64 v[133:134], v[133:134], -v[148:149]
	s_delay_alu instid0(VALU_DEP_2) | instskip(SKIP_1) | instid1(VALU_DEP_3)
	v_add_f64 v[166:167], v[160:161], -v[164:165]
	v_add_f64 v[148:149], v[150:151], -v[164:165]
	v_add_f64 v[150:151], v[146:147], v[133:134]
	s_delay_alu instid0(VALU_DEP_3) | instskip(NEXT) | instid1(VALU_DEP_1)
	v_add_f64 v[144:145], v[144:145], -v[166:167]
	v_add_f64 v[144:145], v[148:149], v[144:145]
	s_delay_alu instid0(VALU_DEP_3) | instskip(NEXT) | instid1(VALU_DEP_2)
	v_add_f64 v[148:149], v[150:151], -v[146:147]
	v_add_f64 v[144:145], v[150:151], v[144:145]
	s_delay_alu instid0(VALU_DEP_2) | instskip(SKIP_1) | instid1(VALU_DEP_3)
	v_add_f64 v[150:151], v[150:151], -v[148:149]
	v_add_f64 v[133:134], v[133:134], -v[148:149]
	v_add_f64 v[162:163], v[160:161], v[144:145]
	s_delay_alu instid0(VALU_DEP_3) | instskip(NEXT) | instid1(VALU_DEP_2)
	v_add_f64 v[146:147], v[146:147], -v[150:151]
	v_add_f64 v[148:149], v[162:163], -v[160:161]
	s_delay_alu instid0(VALU_DEP_2) | instskip(NEXT) | instid1(VALU_DEP_2)
	v_add_f64 v[133:134], v[133:134], v[146:147]
	v_add_f64 v[144:145], v[144:145], -v[148:149]
	s_delay_alu instid0(VALU_DEP_1) | instskip(NEXT) | instid1(VALU_DEP_1)
	v_add_f64 v[133:134], v[133:134], v[144:145]
	v_add_f64 v[133:134], v[162:163], v[133:134]
	s_delay_alu instid0(VALU_DEP_1) | instskip(SKIP_1) | instid1(VALU_DEP_2)
	v_dual_cndmask_b32 v133, v133, v16 :: v_dual_cndmask_b32 v134, v134, v17
	v_cmp_ngt_f64_e32 vcc_lo, -1.0, v[16:17]
	v_cndmask_b32_e32 v134, 0x7ff80000, v134, vcc_lo
	v_cmp_nge_f64_e32 vcc_lo, -1.0, v[16:17]
	s_delay_alu instid0(VALU_DEP_4) | instskip(SKIP_1) | instid1(VALU_DEP_4)
	v_cndmask_b32_e32 v133, 0, v133, vcc_lo
	v_cmp_neq_f64_e32 vcc_lo, -1.0, v[16:17]
	v_cndmask_b32_e32 v134, 0xfff00000, v134, vcc_lo
	s_delay_alu instid0(VALU_DEP_1)
	v_add_f64 v[16:17], v[18:19], v[133:134]
.LBB36_241:
	s_or_b32 exec_lo, exec_lo, s8
	s_delay_alu instid0(VALU_DEP_1) | instskip(SKIP_1) | instid1(VALU_DEP_2)
	v_max_f64 v[18:19], v[16:17], v[16:17]
	v_cmp_u_f64_e32 vcc_lo, v[16:17], v[16:17]
	v_min_f64 v[133:134], v[18:19], v[20:21]
	v_max_f64 v[18:19], v[18:19], v[20:21]
	s_delay_alu instid0(VALU_DEP_2) | instskip(NEXT) | instid1(VALU_DEP_2)
	v_dual_cndmask_b32 v20, v133, v16 :: v_dual_cndmask_b32 v21, v134, v17
	v_dual_cndmask_b32 v19, v19, v17 :: v_dual_cndmask_b32 v18, v18, v16
	s_delay_alu instid0(VALU_DEP_2) | instskip(NEXT) | instid1(VALU_DEP_3)
	v_cndmask_b32_e64 v133, v20, v98, s9
	v_cndmask_b32_e64 v134, v21, v99, s9
	s_delay_alu instid0(VALU_DEP_3) | instskip(NEXT) | instid1(VALU_DEP_4)
	v_cndmask_b32_e64 v21, v19, v99, s9
	v_cndmask_b32_e64 v20, v18, v98, s9
	v_dual_mov_b32 v19, v17 :: v_dual_mov_b32 v18, v16
	s_delay_alu instid0(VALU_DEP_4) | instskip(NEXT) | instid1(VALU_DEP_3)
	v_cmp_class_f64_e64 s3, v[133:134], 0x1f8
	v_cmp_neq_f64_e32 vcc_lo, v[133:134], v[20:21]
	s_delay_alu instid0(VALU_DEP_2) | instskip(NEXT) | instid1(SALU_CYCLE_1)
	s_or_b32 s3, vcc_lo, s3
	s_and_saveexec_b32 s18, s3
	s_cbranch_execz .LBB36_243
; %bb.242:
	v_add_f64 v[18:19], v[133:134], -v[20:21]
	s_mov_b32 s4, 0x652b82fe
	s_mov_b32 s5, 0x3ff71547
	;; [unrolled: 1-line block ×10, first 2 shown]
	s_delay_alu instid0(VALU_DEP_1) | instskip(SKIP_4) | instid1(VALU_DEP_3)
	v_mul_f64 v[133:134], v[18:19], s[4:5]
	s_mov_b32 s5, 0xbfe62e42
	s_mov_b32 s4, 0xfefa39ef
	v_cmp_nlt_f64_e32 vcc_lo, 0x40900000, v[18:19]
	v_cmp_ngt_f64_e64 s3, 0xc090cc00, v[18:19]
	v_rndne_f64_e32 v[133:134], v[133:134]
	s_delay_alu instid0(VALU_DEP_1) | instskip(SKIP_2) | instid1(VALU_DEP_2)
	v_fma_f64 v[144:145], v[133:134], s[4:5], v[18:19]
	v_cvt_i32_f64_e32 v148, v[133:134]
	s_mov_b32 s5, 0x3fe62e42
	v_fma_f64 v[144:145], v[133:134], s[6:7], v[144:145]
	s_mov_b32 s7, 0x3c7abc9e
	s_delay_alu instid0(VALU_DEP_1) | instskip(SKIP_4) | instid1(VALU_DEP_1)
	v_fma_f64 v[146:147], v[144:145], s[20:21], s[8:9]
	s_mov_b32 s8, 0x623fde64
	s_mov_b32 s9, 0x3ec71dee
	;; [unrolled: 1-line block ×4, first 2 shown]
	v_fma_f64 v[146:147], v[144:145], v[146:147], s[8:9]
	s_mov_b32 s8, 0x7c89e6b0
	s_mov_b32 s9, 0x3efa0199
	s_delay_alu instid0(VALU_DEP_1) | instid1(SALU_CYCLE_1)
	v_fma_f64 v[146:147], v[144:145], v[146:147], s[8:9]
	s_mov_b32 s8, 0x14761f6e
	s_mov_b32 s9, 0x3f2a01a0
	s_delay_alu instid0(VALU_DEP_1) | instid1(SALU_CYCLE_1)
	;; [unrolled: 4-line block ×7, first 2 shown]
	v_fma_f64 v[146:147], v[144:145], v[146:147], s[8:9]
	s_mov_b32 s9, 0x3fe55555
	s_mov_b32 s8, 0x55555555
	s_delay_alu instid0(VALU_DEP_1) | instskip(NEXT) | instid1(VALU_DEP_1)
	v_fma_f64 v[146:147], v[144:145], v[146:147], 1.0
	v_fma_f64 v[133:134], v[144:145], v[146:147], 1.0
	s_delay_alu instid0(VALU_DEP_1) | instskip(NEXT) | instid1(VALU_DEP_1)
	v_ldexp_f64 v[133:134], v[133:134], v148
	v_cndmask_b32_e32 v134, 0x7ff00000, v134, vcc_lo
	s_and_b32 vcc_lo, s3, vcc_lo
	s_delay_alu instid0(VALU_DEP_2) | instskip(NEXT) | instid1(VALU_DEP_2)
	v_cndmask_b32_e32 v18, 0, v133, vcc_lo
	v_cndmask_b32_e64 v19, 0, v134, s3
	s_delay_alu instid0(VALU_DEP_1) | instskip(NEXT) | instid1(VALU_DEP_1)
	v_add_f64 v[133:134], v[18:19], 1.0
	v_frexp_mant_f64_e32 v[144:145], v[133:134]
	v_frexp_exp_i32_f64_e32 v148, v[133:134]
	v_add_f64 v[146:147], v[133:134], -1.0
	s_delay_alu instid0(VALU_DEP_3) | instskip(SKIP_1) | instid1(VALU_DEP_2)
	v_cmp_gt_f64_e32 vcc_lo, s[8:9], v[144:145]
	s_mov_b32 s8, 0x55555780
	v_add_f64 v[144:145], v[146:147], -v[133:134]
	v_add_f64 v[146:147], v[18:19], -v[146:147]
	v_subrev_co_ci_u32_e32 v214, vcc_lo, 0, v148, vcc_lo
	s_delay_alu instid0(VALU_DEP_3) | instskip(SKIP_1) | instid1(VALU_DEP_3)
	v_add_f64 v[144:145], v[144:145], 1.0
	v_cmp_eq_f64_e32 vcc_lo, 0x7ff00000, v[18:19]
	v_sub_nc_u32_e32 v150, 0, v214
	s_delay_alu instid0(VALU_DEP_1) | instskip(NEXT) | instid1(VALU_DEP_4)
	v_ldexp_f64 v[133:134], v[133:134], v150
	v_add_f64 v[144:145], v[146:147], v[144:145]
	s_delay_alu instid0(VALU_DEP_2) | instskip(SKIP_1) | instid1(VALU_DEP_3)
	v_add_f64 v[148:149], v[133:134], 1.0
	v_add_f64 v[162:163], v[133:134], -1.0
	v_ldexp_f64 v[144:145], v[144:145], v150
	s_delay_alu instid0(VALU_DEP_3) | instskip(NEXT) | instid1(VALU_DEP_3)
	v_add_f64 v[146:147], v[148:149], -1.0
	v_add_f64 v[164:165], v[162:163], 1.0
	s_delay_alu instid0(VALU_DEP_2) | instskip(NEXT) | instid1(VALU_DEP_2)
	v_add_f64 v[146:147], v[133:134], -v[146:147]
	v_add_f64 v[133:134], v[133:134], -v[164:165]
	s_delay_alu instid0(VALU_DEP_2) | instskip(NEXT) | instid1(VALU_DEP_2)
	v_add_f64 v[146:147], v[144:145], v[146:147]
	v_add_f64 v[133:134], v[144:145], v[133:134]
	s_delay_alu instid0(VALU_DEP_2) | instskip(NEXT) | instid1(VALU_DEP_2)
	v_add_f64 v[150:151], v[148:149], v[146:147]
	v_add_f64 v[164:165], v[162:163], v[133:134]
	s_delay_alu instid0(VALU_DEP_2) | instskip(SKIP_1) | instid1(VALU_DEP_2)
	v_rcp_f64_e32 v[160:161], v[150:151]
	v_add_f64 v[148:149], v[150:151], -v[148:149]
	v_add_f64 v[162:163], v[164:165], -v[162:163]
	s_delay_alu instid0(VALU_DEP_2) | instskip(SKIP_3) | instid1(VALU_DEP_2)
	v_add_f64 v[146:147], v[146:147], -v[148:149]
	s_waitcnt_depctr 0xfff
	v_fma_f64 v[166:167], -v[150:151], v[160:161], 1.0
	v_add_f64 v[133:134], v[133:134], -v[162:163]
	v_fma_f64 v[160:161], v[166:167], v[160:161], v[160:161]
	s_delay_alu instid0(VALU_DEP_1) | instskip(NEXT) | instid1(VALU_DEP_1)
	v_fma_f64 v[144:145], -v[150:151], v[160:161], 1.0
	v_fma_f64 v[144:145], v[144:145], v[160:161], v[160:161]
	s_delay_alu instid0(VALU_DEP_1) | instskip(NEXT) | instid1(VALU_DEP_1)
	v_mul_f64 v[160:161], v[164:165], v[144:145]
	v_mul_f64 v[166:167], v[150:151], v[160:161]
	s_delay_alu instid0(VALU_DEP_1) | instskip(NEXT) | instid1(VALU_DEP_1)
	v_fma_f64 v[148:149], v[160:161], v[150:151], -v[166:167]
	v_fma_f64 v[148:149], v[160:161], v[146:147], v[148:149]
	s_delay_alu instid0(VALU_DEP_1) | instskip(NEXT) | instid1(VALU_DEP_1)
	v_add_f64 v[176:177], v[166:167], v[148:149]
	v_add_f64 v[212:213], v[164:165], -v[176:177]
	v_add_f64 v[162:163], v[176:177], -v[166:167]
	s_delay_alu instid0(VALU_DEP_2) | instskip(NEXT) | instid1(VALU_DEP_2)
	v_add_f64 v[164:165], v[164:165], -v[212:213]
	v_add_f64 v[148:149], v[162:163], -v[148:149]
	s_delay_alu instid0(VALU_DEP_2) | instskip(NEXT) | instid1(VALU_DEP_1)
	v_add_f64 v[164:165], v[164:165], -v[176:177]
	v_add_f64 v[133:134], v[133:134], v[164:165]
	s_delay_alu instid0(VALU_DEP_1) | instskip(NEXT) | instid1(VALU_DEP_1)
	v_add_f64 v[133:134], v[148:149], v[133:134]
	v_add_f64 v[148:149], v[212:213], v[133:134]
	s_delay_alu instid0(VALU_DEP_1) | instskip(SKIP_1) | instid1(VALU_DEP_2)
	v_mul_f64 v[162:163], v[144:145], v[148:149]
	v_add_f64 v[176:177], v[212:213], -v[148:149]
	v_mul_f64 v[164:165], v[150:151], v[162:163]
	s_delay_alu instid0(VALU_DEP_2) | instskip(NEXT) | instid1(VALU_DEP_2)
	v_add_f64 v[133:134], v[133:134], v[176:177]
	v_fma_f64 v[150:151], v[162:163], v[150:151], -v[164:165]
	s_delay_alu instid0(VALU_DEP_1) | instskip(NEXT) | instid1(VALU_DEP_1)
	v_fma_f64 v[146:147], v[162:163], v[146:147], v[150:151]
	v_add_f64 v[150:151], v[164:165], v[146:147]
	s_delay_alu instid0(VALU_DEP_1) | instskip(SKIP_1) | instid1(VALU_DEP_2)
	v_add_f64 v[166:167], v[148:149], -v[150:151]
	v_add_f64 v[164:165], v[150:151], -v[164:165]
	;; [unrolled: 1-line block ×3, first 2 shown]
	s_delay_alu instid0(VALU_DEP_2) | instskip(NEXT) | instid1(VALU_DEP_2)
	v_add_f64 v[146:147], v[164:165], -v[146:147]
	v_add_f64 v[148:149], v[148:149], -v[150:151]
	s_delay_alu instid0(VALU_DEP_1) | instskip(SKIP_1) | instid1(VALU_DEP_2)
	v_add_f64 v[133:134], v[133:134], v[148:149]
	v_add_f64 v[148:149], v[160:161], v[162:163]
	;; [unrolled: 1-line block ×3, first 2 shown]
	s_delay_alu instid0(VALU_DEP_2) | instskip(NEXT) | instid1(VALU_DEP_2)
	v_add_f64 v[146:147], v[148:149], -v[160:161]
	v_add_f64 v[133:134], v[166:167], v[133:134]
	s_delay_alu instid0(VALU_DEP_2) | instskip(NEXT) | instid1(VALU_DEP_2)
	v_add_f64 v[146:147], v[162:163], -v[146:147]
	v_mul_f64 v[133:134], v[144:145], v[133:134]
	s_delay_alu instid0(VALU_DEP_1) | instskip(NEXT) | instid1(VALU_DEP_1)
	v_add_f64 v[133:134], v[146:147], v[133:134]
	v_add_f64 v[144:145], v[148:149], v[133:134]
	s_delay_alu instid0(VALU_DEP_1) | instskip(NEXT) | instid1(VALU_DEP_1)
	v_mul_f64 v[146:147], v[144:145], v[144:145]
	v_fma_f64 v[150:151], v[146:147], s[22:23], s[20:21]
	s_mov_b32 s20, 0xd7f4df2e
	s_mov_b32 s21, 0x3fc7474d
	v_mul_f64 v[160:161], v[144:145], v[146:147]
	s_delay_alu instid0(VALU_DEP_2)
	v_fma_f64 v[150:151], v[146:147], v[150:151], s[20:21]
	s_mov_b32 s20, 0x16291751
	s_mov_b32 s21, 0x3fcc71c0
	s_delay_alu instid0(VALU_DEP_1) | instid1(SALU_CYCLE_1)
	v_fma_f64 v[150:151], v[146:147], v[150:151], s[20:21]
	s_mov_b32 s20, 0x9b27acf1
	s_mov_b32 s21, 0x3fd24924
	s_delay_alu instid0(VALU_DEP_1) | instid1(SALU_CYCLE_1)
	;; [unrolled: 4-line block ×3, first 2 shown]
	v_fma_f64 v[150:151], v[146:147], v[150:151], s[20:21]
	s_delay_alu instid0(VALU_DEP_1) | instskip(SKIP_2) | instid1(VALU_DEP_3)
	v_fma_f64 v[146:147], v[146:147], v[150:151], s[8:9]
	v_ldexp_f64 v[150:151], v[144:145], 1
	v_add_f64 v[144:145], v[144:145], -v[148:149]
	v_mul_f64 v[146:147], v[160:161], v[146:147]
	v_cvt_f64_i32_e32 v[160:161], v214
	s_delay_alu instid0(VALU_DEP_3) | instskip(NEXT) | instid1(VALU_DEP_3)
	v_add_f64 v[133:134], v[133:134], -v[144:145]
	v_add_f64 v[148:149], v[150:151], v[146:147]
	s_delay_alu instid0(VALU_DEP_3) | instskip(NEXT) | instid1(VALU_DEP_3)
	v_mul_f64 v[162:163], v[160:161], s[4:5]
	v_ldexp_f64 v[133:134], v[133:134], 1
	s_delay_alu instid0(VALU_DEP_3) | instskip(NEXT) | instid1(VALU_DEP_3)
	v_add_f64 v[144:145], v[148:149], -v[150:151]
	v_fma_f64 v[150:151], v[160:161], s[4:5], -v[162:163]
	s_delay_alu instid0(VALU_DEP_2) | instskip(NEXT) | instid1(VALU_DEP_2)
	v_add_f64 v[144:145], v[146:147], -v[144:145]
	v_fma_f64 v[146:147], v[160:161], s[6:7], v[150:151]
	s_delay_alu instid0(VALU_DEP_2) | instskip(NEXT) | instid1(VALU_DEP_2)
	v_add_f64 v[133:134], v[133:134], v[144:145]
	v_add_f64 v[144:145], v[162:163], v[146:147]
	s_delay_alu instid0(VALU_DEP_2) | instskip(NEXT) | instid1(VALU_DEP_2)
	v_add_f64 v[150:151], v[148:149], v[133:134]
	v_add_f64 v[162:163], v[144:145], -v[162:163]
	s_delay_alu instid0(VALU_DEP_2) | instskip(SKIP_1) | instid1(VALU_DEP_3)
	v_add_f64 v[160:161], v[144:145], v[150:151]
	v_add_f64 v[148:149], v[150:151], -v[148:149]
	v_add_f64 v[146:147], v[146:147], -v[162:163]
	s_delay_alu instid0(VALU_DEP_3) | instskip(NEXT) | instid1(VALU_DEP_3)
	v_add_f64 v[164:165], v[160:161], -v[144:145]
	v_add_f64 v[133:134], v[133:134], -v[148:149]
	s_delay_alu instid0(VALU_DEP_2) | instskip(SKIP_1) | instid1(VALU_DEP_3)
	v_add_f64 v[166:167], v[160:161], -v[164:165]
	v_add_f64 v[148:149], v[150:151], -v[164:165]
	v_add_f64 v[150:151], v[146:147], v[133:134]
	s_delay_alu instid0(VALU_DEP_3) | instskip(NEXT) | instid1(VALU_DEP_1)
	v_add_f64 v[144:145], v[144:145], -v[166:167]
	v_add_f64 v[144:145], v[148:149], v[144:145]
	s_delay_alu instid0(VALU_DEP_3) | instskip(NEXT) | instid1(VALU_DEP_2)
	v_add_f64 v[148:149], v[150:151], -v[146:147]
	v_add_f64 v[144:145], v[150:151], v[144:145]
	s_delay_alu instid0(VALU_DEP_2) | instskip(SKIP_1) | instid1(VALU_DEP_3)
	v_add_f64 v[150:151], v[150:151], -v[148:149]
	v_add_f64 v[133:134], v[133:134], -v[148:149]
	v_add_f64 v[162:163], v[160:161], v[144:145]
	s_delay_alu instid0(VALU_DEP_3) | instskip(NEXT) | instid1(VALU_DEP_2)
	v_add_f64 v[146:147], v[146:147], -v[150:151]
	v_add_f64 v[148:149], v[162:163], -v[160:161]
	s_delay_alu instid0(VALU_DEP_2) | instskip(NEXT) | instid1(VALU_DEP_2)
	v_add_f64 v[133:134], v[133:134], v[146:147]
	v_add_f64 v[144:145], v[144:145], -v[148:149]
	s_delay_alu instid0(VALU_DEP_1) | instskip(NEXT) | instid1(VALU_DEP_1)
	v_add_f64 v[133:134], v[133:134], v[144:145]
	v_add_f64 v[133:134], v[162:163], v[133:134]
	s_delay_alu instid0(VALU_DEP_1) | instskip(SKIP_1) | instid1(VALU_DEP_2)
	v_dual_cndmask_b32 v133, v133, v18 :: v_dual_cndmask_b32 v134, v134, v19
	v_cmp_ngt_f64_e32 vcc_lo, -1.0, v[18:19]
	v_cndmask_b32_e32 v134, 0x7ff80000, v134, vcc_lo
	v_cmp_nge_f64_e32 vcc_lo, -1.0, v[18:19]
	s_delay_alu instid0(VALU_DEP_4) | instskip(SKIP_1) | instid1(VALU_DEP_4)
	v_cndmask_b32_e32 v133, 0, v133, vcc_lo
	v_cmp_neq_f64_e32 vcc_lo, -1.0, v[18:19]
	v_cndmask_b32_e32 v134, 0xfff00000, v134, vcc_lo
	s_delay_alu instid0(VALU_DEP_1)
	v_add_f64 v[18:19], v[20:21], v[133:134]
.LBB36_243:
	s_or_b32 exec_lo, exec_lo, s18
	s_delay_alu instid0(VALU_DEP_1) | instskip(SKIP_1) | instid1(VALU_DEP_2)
	v_max_f64 v[20:21], v[18:19], v[18:19]
	v_cmp_u_f64_e32 vcc_lo, v[18:19], v[18:19]
	v_min_f64 v[133:134], v[20:21], v[22:23]
	v_max_f64 v[20:21], v[20:21], v[22:23]
	s_delay_alu instid0(VALU_DEP_2) | instskip(NEXT) | instid1(VALU_DEP_2)
	v_dual_cndmask_b32 v22, v133, v18 :: v_dual_cndmask_b32 v23, v134, v19
	v_dual_cndmask_b32 v21, v21, v19 :: v_dual_cndmask_b32 v20, v20, v18
	s_delay_alu instid0(VALU_DEP_2) | instskip(NEXT) | instid1(VALU_DEP_3)
	v_cndmask_b32_e64 v133, v22, v84, s10
	v_cndmask_b32_e64 v134, v23, v85, s10
	s_delay_alu instid0(VALU_DEP_3) | instskip(NEXT) | instid1(VALU_DEP_4)
	v_cndmask_b32_e64 v23, v21, v85, s10
	v_cndmask_b32_e64 v22, v20, v84, s10
	v_dual_mov_b32 v21, v19 :: v_dual_mov_b32 v20, v18
	s_delay_alu instid0(VALU_DEP_4) | instskip(NEXT) | instid1(VALU_DEP_3)
	v_cmp_class_f64_e64 s3, v[133:134], 0x1f8
	v_cmp_neq_f64_e32 vcc_lo, v[133:134], v[22:23]
	s_delay_alu instid0(VALU_DEP_2) | instskip(NEXT) | instid1(SALU_CYCLE_1)
	s_or_b32 s3, vcc_lo, s3
	s_and_saveexec_b32 s10, s3
	s_cbranch_execz .LBB36_245
; %bb.244:
	v_add_f64 v[20:21], v[133:134], -v[22:23]
	s_mov_b32 s4, 0x652b82fe
	s_mov_b32 s5, 0x3ff71547
	;; [unrolled: 1-line block ×10, first 2 shown]
	s_delay_alu instid0(VALU_DEP_1) | instskip(SKIP_4) | instid1(VALU_DEP_3)
	v_mul_f64 v[133:134], v[20:21], s[4:5]
	s_mov_b32 s5, 0xbfe62e42
	s_mov_b32 s4, 0xfefa39ef
	v_cmp_nlt_f64_e32 vcc_lo, 0x40900000, v[20:21]
	v_cmp_ngt_f64_e64 s3, 0xc090cc00, v[20:21]
	v_rndne_f64_e32 v[133:134], v[133:134]
	s_delay_alu instid0(VALU_DEP_1) | instskip(SKIP_2) | instid1(VALU_DEP_2)
	v_fma_f64 v[144:145], v[133:134], s[4:5], v[20:21]
	v_cvt_i32_f64_e32 v148, v[133:134]
	s_mov_b32 s5, 0x3fe62e42
	v_fma_f64 v[144:145], v[133:134], s[6:7], v[144:145]
	s_mov_b32 s7, 0x3c7abc9e
	s_delay_alu instid0(VALU_DEP_1) | instskip(SKIP_4) | instid1(VALU_DEP_1)
	v_fma_f64 v[146:147], v[144:145], s[18:19], s[8:9]
	s_mov_b32 s8, 0x623fde64
	s_mov_b32 s9, 0x3ec71dee
	;; [unrolled: 1-line block ×4, first 2 shown]
	v_fma_f64 v[146:147], v[144:145], v[146:147], s[8:9]
	s_mov_b32 s8, 0x7c89e6b0
	s_mov_b32 s9, 0x3efa0199
	s_delay_alu instid0(VALU_DEP_1) | instid1(SALU_CYCLE_1)
	v_fma_f64 v[146:147], v[144:145], v[146:147], s[8:9]
	s_mov_b32 s8, 0x14761f6e
	s_mov_b32 s9, 0x3f2a01a0
	s_delay_alu instid0(VALU_DEP_1) | instid1(SALU_CYCLE_1)
	;; [unrolled: 4-line block ×7, first 2 shown]
	v_fma_f64 v[146:147], v[144:145], v[146:147], s[8:9]
	s_mov_b32 s9, 0x3fe55555
	s_mov_b32 s8, 0x55555555
	s_delay_alu instid0(VALU_DEP_1) | instskip(NEXT) | instid1(VALU_DEP_1)
	v_fma_f64 v[146:147], v[144:145], v[146:147], 1.0
	v_fma_f64 v[133:134], v[144:145], v[146:147], 1.0
	s_delay_alu instid0(VALU_DEP_1) | instskip(NEXT) | instid1(VALU_DEP_1)
	v_ldexp_f64 v[133:134], v[133:134], v148
	v_cndmask_b32_e32 v134, 0x7ff00000, v134, vcc_lo
	s_and_b32 vcc_lo, s3, vcc_lo
	s_delay_alu instid0(VALU_DEP_2) | instskip(NEXT) | instid1(VALU_DEP_2)
	v_cndmask_b32_e32 v20, 0, v133, vcc_lo
	v_cndmask_b32_e64 v21, 0, v134, s3
	s_delay_alu instid0(VALU_DEP_1) | instskip(NEXT) | instid1(VALU_DEP_1)
	v_add_f64 v[133:134], v[20:21], 1.0
	v_frexp_mant_f64_e32 v[144:145], v[133:134]
	v_frexp_exp_i32_f64_e32 v148, v[133:134]
	v_add_f64 v[146:147], v[133:134], -1.0
	s_delay_alu instid0(VALU_DEP_3) | instskip(SKIP_1) | instid1(VALU_DEP_2)
	v_cmp_gt_f64_e32 vcc_lo, s[8:9], v[144:145]
	s_mov_b32 s8, 0x55555780
	v_add_f64 v[144:145], v[146:147], -v[133:134]
	v_add_f64 v[146:147], v[20:21], -v[146:147]
	v_subrev_co_ci_u32_e32 v214, vcc_lo, 0, v148, vcc_lo
	s_delay_alu instid0(VALU_DEP_3) | instskip(SKIP_1) | instid1(VALU_DEP_3)
	v_add_f64 v[144:145], v[144:145], 1.0
	v_cmp_eq_f64_e32 vcc_lo, 0x7ff00000, v[20:21]
	v_sub_nc_u32_e32 v150, 0, v214
	s_delay_alu instid0(VALU_DEP_1) | instskip(NEXT) | instid1(VALU_DEP_4)
	v_ldexp_f64 v[133:134], v[133:134], v150
	v_add_f64 v[144:145], v[146:147], v[144:145]
	s_delay_alu instid0(VALU_DEP_2) | instskip(SKIP_1) | instid1(VALU_DEP_3)
	v_add_f64 v[148:149], v[133:134], 1.0
	v_add_f64 v[162:163], v[133:134], -1.0
	v_ldexp_f64 v[144:145], v[144:145], v150
	s_delay_alu instid0(VALU_DEP_3) | instskip(NEXT) | instid1(VALU_DEP_3)
	v_add_f64 v[146:147], v[148:149], -1.0
	v_add_f64 v[164:165], v[162:163], 1.0
	s_delay_alu instid0(VALU_DEP_2) | instskip(NEXT) | instid1(VALU_DEP_2)
	v_add_f64 v[146:147], v[133:134], -v[146:147]
	v_add_f64 v[133:134], v[133:134], -v[164:165]
	s_delay_alu instid0(VALU_DEP_2) | instskip(NEXT) | instid1(VALU_DEP_2)
	v_add_f64 v[146:147], v[144:145], v[146:147]
	v_add_f64 v[133:134], v[144:145], v[133:134]
	s_delay_alu instid0(VALU_DEP_2) | instskip(NEXT) | instid1(VALU_DEP_2)
	v_add_f64 v[150:151], v[148:149], v[146:147]
	v_add_f64 v[164:165], v[162:163], v[133:134]
	s_delay_alu instid0(VALU_DEP_2) | instskip(SKIP_1) | instid1(VALU_DEP_2)
	v_rcp_f64_e32 v[160:161], v[150:151]
	v_add_f64 v[148:149], v[150:151], -v[148:149]
	v_add_f64 v[162:163], v[164:165], -v[162:163]
	s_delay_alu instid0(VALU_DEP_2) | instskip(SKIP_3) | instid1(VALU_DEP_2)
	v_add_f64 v[146:147], v[146:147], -v[148:149]
	s_waitcnt_depctr 0xfff
	v_fma_f64 v[166:167], -v[150:151], v[160:161], 1.0
	v_add_f64 v[133:134], v[133:134], -v[162:163]
	v_fma_f64 v[160:161], v[166:167], v[160:161], v[160:161]
	s_delay_alu instid0(VALU_DEP_1) | instskip(NEXT) | instid1(VALU_DEP_1)
	v_fma_f64 v[144:145], -v[150:151], v[160:161], 1.0
	v_fma_f64 v[144:145], v[144:145], v[160:161], v[160:161]
	s_delay_alu instid0(VALU_DEP_1) | instskip(NEXT) | instid1(VALU_DEP_1)
	v_mul_f64 v[160:161], v[164:165], v[144:145]
	v_mul_f64 v[166:167], v[150:151], v[160:161]
	s_delay_alu instid0(VALU_DEP_1) | instskip(NEXT) | instid1(VALU_DEP_1)
	v_fma_f64 v[148:149], v[160:161], v[150:151], -v[166:167]
	v_fma_f64 v[148:149], v[160:161], v[146:147], v[148:149]
	s_delay_alu instid0(VALU_DEP_1) | instskip(NEXT) | instid1(VALU_DEP_1)
	v_add_f64 v[176:177], v[166:167], v[148:149]
	v_add_f64 v[212:213], v[164:165], -v[176:177]
	v_add_f64 v[162:163], v[176:177], -v[166:167]
	s_delay_alu instid0(VALU_DEP_2) | instskip(NEXT) | instid1(VALU_DEP_2)
	v_add_f64 v[164:165], v[164:165], -v[212:213]
	v_add_f64 v[148:149], v[162:163], -v[148:149]
	s_delay_alu instid0(VALU_DEP_2) | instskip(NEXT) | instid1(VALU_DEP_1)
	v_add_f64 v[164:165], v[164:165], -v[176:177]
	v_add_f64 v[133:134], v[133:134], v[164:165]
	s_delay_alu instid0(VALU_DEP_1) | instskip(NEXT) | instid1(VALU_DEP_1)
	v_add_f64 v[133:134], v[148:149], v[133:134]
	v_add_f64 v[148:149], v[212:213], v[133:134]
	s_delay_alu instid0(VALU_DEP_1) | instskip(SKIP_1) | instid1(VALU_DEP_2)
	v_mul_f64 v[162:163], v[144:145], v[148:149]
	v_add_f64 v[176:177], v[212:213], -v[148:149]
	v_mul_f64 v[164:165], v[150:151], v[162:163]
	s_delay_alu instid0(VALU_DEP_2) | instskip(NEXT) | instid1(VALU_DEP_2)
	v_add_f64 v[133:134], v[133:134], v[176:177]
	v_fma_f64 v[150:151], v[162:163], v[150:151], -v[164:165]
	s_delay_alu instid0(VALU_DEP_1) | instskip(NEXT) | instid1(VALU_DEP_1)
	v_fma_f64 v[146:147], v[162:163], v[146:147], v[150:151]
	v_add_f64 v[150:151], v[164:165], v[146:147]
	s_delay_alu instid0(VALU_DEP_1) | instskip(SKIP_1) | instid1(VALU_DEP_2)
	v_add_f64 v[166:167], v[148:149], -v[150:151]
	v_add_f64 v[164:165], v[150:151], -v[164:165]
	;; [unrolled: 1-line block ×3, first 2 shown]
	s_delay_alu instid0(VALU_DEP_2) | instskip(NEXT) | instid1(VALU_DEP_2)
	v_add_f64 v[146:147], v[164:165], -v[146:147]
	v_add_f64 v[148:149], v[148:149], -v[150:151]
	s_delay_alu instid0(VALU_DEP_1) | instskip(SKIP_1) | instid1(VALU_DEP_2)
	v_add_f64 v[133:134], v[133:134], v[148:149]
	v_add_f64 v[148:149], v[160:161], v[162:163]
	;; [unrolled: 1-line block ×3, first 2 shown]
	s_delay_alu instid0(VALU_DEP_2) | instskip(NEXT) | instid1(VALU_DEP_2)
	v_add_f64 v[146:147], v[148:149], -v[160:161]
	v_add_f64 v[133:134], v[166:167], v[133:134]
	s_delay_alu instid0(VALU_DEP_2) | instskip(NEXT) | instid1(VALU_DEP_2)
	v_add_f64 v[146:147], v[162:163], -v[146:147]
	v_mul_f64 v[133:134], v[144:145], v[133:134]
	s_delay_alu instid0(VALU_DEP_1) | instskip(NEXT) | instid1(VALU_DEP_1)
	v_add_f64 v[133:134], v[146:147], v[133:134]
	v_add_f64 v[144:145], v[148:149], v[133:134]
	s_delay_alu instid0(VALU_DEP_1) | instskip(NEXT) | instid1(VALU_DEP_1)
	v_mul_f64 v[146:147], v[144:145], v[144:145]
	v_fma_f64 v[150:151], v[146:147], s[20:21], s[18:19]
	s_mov_b32 s18, 0xd7f4df2e
	s_mov_b32 s19, 0x3fc7474d
	v_mul_f64 v[160:161], v[144:145], v[146:147]
	s_delay_alu instid0(VALU_DEP_2)
	v_fma_f64 v[150:151], v[146:147], v[150:151], s[18:19]
	s_mov_b32 s18, 0x16291751
	s_mov_b32 s19, 0x3fcc71c0
	s_delay_alu instid0(VALU_DEP_1) | instid1(SALU_CYCLE_1)
	v_fma_f64 v[150:151], v[146:147], v[150:151], s[18:19]
	s_mov_b32 s18, 0x9b27acf1
	s_mov_b32 s19, 0x3fd24924
	s_delay_alu instid0(VALU_DEP_1) | instid1(SALU_CYCLE_1)
	;; [unrolled: 4-line block ×3, first 2 shown]
	v_fma_f64 v[150:151], v[146:147], v[150:151], s[18:19]
	s_delay_alu instid0(VALU_DEP_1) | instskip(SKIP_2) | instid1(VALU_DEP_3)
	v_fma_f64 v[146:147], v[146:147], v[150:151], s[8:9]
	v_ldexp_f64 v[150:151], v[144:145], 1
	v_add_f64 v[144:145], v[144:145], -v[148:149]
	v_mul_f64 v[146:147], v[160:161], v[146:147]
	v_cvt_f64_i32_e32 v[160:161], v214
	s_delay_alu instid0(VALU_DEP_3) | instskip(NEXT) | instid1(VALU_DEP_3)
	v_add_f64 v[133:134], v[133:134], -v[144:145]
	v_add_f64 v[148:149], v[150:151], v[146:147]
	s_delay_alu instid0(VALU_DEP_3) | instskip(NEXT) | instid1(VALU_DEP_3)
	v_mul_f64 v[162:163], v[160:161], s[4:5]
	v_ldexp_f64 v[133:134], v[133:134], 1
	s_delay_alu instid0(VALU_DEP_3) | instskip(NEXT) | instid1(VALU_DEP_3)
	v_add_f64 v[144:145], v[148:149], -v[150:151]
	v_fma_f64 v[150:151], v[160:161], s[4:5], -v[162:163]
	s_delay_alu instid0(VALU_DEP_2) | instskip(NEXT) | instid1(VALU_DEP_2)
	v_add_f64 v[144:145], v[146:147], -v[144:145]
	v_fma_f64 v[146:147], v[160:161], s[6:7], v[150:151]
	s_delay_alu instid0(VALU_DEP_2) | instskip(NEXT) | instid1(VALU_DEP_2)
	v_add_f64 v[133:134], v[133:134], v[144:145]
	v_add_f64 v[144:145], v[162:163], v[146:147]
	s_delay_alu instid0(VALU_DEP_2) | instskip(NEXT) | instid1(VALU_DEP_2)
	v_add_f64 v[150:151], v[148:149], v[133:134]
	v_add_f64 v[162:163], v[144:145], -v[162:163]
	s_delay_alu instid0(VALU_DEP_2) | instskip(SKIP_1) | instid1(VALU_DEP_3)
	v_add_f64 v[160:161], v[144:145], v[150:151]
	v_add_f64 v[148:149], v[150:151], -v[148:149]
	v_add_f64 v[146:147], v[146:147], -v[162:163]
	s_delay_alu instid0(VALU_DEP_3) | instskip(NEXT) | instid1(VALU_DEP_3)
	v_add_f64 v[164:165], v[160:161], -v[144:145]
	v_add_f64 v[133:134], v[133:134], -v[148:149]
	s_delay_alu instid0(VALU_DEP_2) | instskip(SKIP_1) | instid1(VALU_DEP_3)
	v_add_f64 v[166:167], v[160:161], -v[164:165]
	v_add_f64 v[148:149], v[150:151], -v[164:165]
	v_add_f64 v[150:151], v[146:147], v[133:134]
	s_delay_alu instid0(VALU_DEP_3) | instskip(NEXT) | instid1(VALU_DEP_1)
	v_add_f64 v[144:145], v[144:145], -v[166:167]
	v_add_f64 v[144:145], v[148:149], v[144:145]
	s_delay_alu instid0(VALU_DEP_3) | instskip(NEXT) | instid1(VALU_DEP_2)
	v_add_f64 v[148:149], v[150:151], -v[146:147]
	v_add_f64 v[144:145], v[150:151], v[144:145]
	s_delay_alu instid0(VALU_DEP_2) | instskip(SKIP_1) | instid1(VALU_DEP_3)
	v_add_f64 v[150:151], v[150:151], -v[148:149]
	v_add_f64 v[133:134], v[133:134], -v[148:149]
	v_add_f64 v[162:163], v[160:161], v[144:145]
	s_delay_alu instid0(VALU_DEP_3) | instskip(NEXT) | instid1(VALU_DEP_2)
	v_add_f64 v[146:147], v[146:147], -v[150:151]
	v_add_f64 v[148:149], v[162:163], -v[160:161]
	s_delay_alu instid0(VALU_DEP_2) | instskip(NEXT) | instid1(VALU_DEP_2)
	v_add_f64 v[133:134], v[133:134], v[146:147]
	v_add_f64 v[144:145], v[144:145], -v[148:149]
	s_delay_alu instid0(VALU_DEP_1) | instskip(NEXT) | instid1(VALU_DEP_1)
	v_add_f64 v[133:134], v[133:134], v[144:145]
	v_add_f64 v[133:134], v[162:163], v[133:134]
	s_delay_alu instid0(VALU_DEP_1) | instskip(SKIP_1) | instid1(VALU_DEP_2)
	v_dual_cndmask_b32 v133, v133, v20 :: v_dual_cndmask_b32 v134, v134, v21
	v_cmp_ngt_f64_e32 vcc_lo, -1.0, v[20:21]
	v_cndmask_b32_e32 v134, 0x7ff80000, v134, vcc_lo
	v_cmp_nge_f64_e32 vcc_lo, -1.0, v[20:21]
	s_delay_alu instid0(VALU_DEP_4) | instskip(SKIP_1) | instid1(VALU_DEP_4)
	v_cndmask_b32_e32 v133, 0, v133, vcc_lo
	v_cmp_neq_f64_e32 vcc_lo, -1.0, v[20:21]
	v_cndmask_b32_e32 v134, 0xfff00000, v134, vcc_lo
	s_delay_alu instid0(VALU_DEP_1)
	v_add_f64 v[20:21], v[22:23], v[133:134]
.LBB36_245:
	s_or_b32 exec_lo, exec_lo, s10
	s_delay_alu instid0(VALU_DEP_1) | instskip(SKIP_1) | instid1(VALU_DEP_2)
	v_max_f64 v[22:23], v[20:21], v[20:21]
	v_cmp_u_f64_e32 vcc_lo, v[20:21], v[20:21]
	v_min_f64 v[133:134], v[22:23], v[24:25]
	v_max_f64 v[22:23], v[22:23], v[24:25]
	s_delay_alu instid0(VALU_DEP_2) | instskip(NEXT) | instid1(VALU_DEP_2)
	v_dual_cndmask_b32 v24, v133, v20 :: v_dual_cndmask_b32 v25, v134, v21
	v_dual_cndmask_b32 v23, v23, v21 :: v_dual_cndmask_b32 v22, v22, v20
	s_delay_alu instid0(VALU_DEP_2) | instskip(NEXT) | instid1(VALU_DEP_3)
	v_cndmask_b32_e64 v133, v24, v86, s11
	v_cndmask_b32_e64 v134, v25, v87, s11
	s_delay_alu instid0(VALU_DEP_3) | instskip(NEXT) | instid1(VALU_DEP_4)
	v_cndmask_b32_e64 v25, v23, v87, s11
	v_cndmask_b32_e64 v24, v22, v86, s11
	v_dual_mov_b32 v23, v21 :: v_dual_mov_b32 v22, v20
	s_delay_alu instid0(VALU_DEP_4) | instskip(NEXT) | instid1(VALU_DEP_3)
	v_cmp_class_f64_e64 s3, v[133:134], 0x1f8
	v_cmp_neq_f64_e32 vcc_lo, v[133:134], v[24:25]
	s_delay_alu instid0(VALU_DEP_2) | instskip(NEXT) | instid1(SALU_CYCLE_1)
	s_or_b32 s3, vcc_lo, s3
	s_and_saveexec_b32 s10, s3
	s_cbranch_execz .LBB36_247
; %bb.246:
	v_add_f64 v[22:23], v[133:134], -v[24:25]
	s_mov_b32 s4, 0x652b82fe
	s_mov_b32 s5, 0x3ff71547
	;; [unrolled: 1-line block ×10, first 2 shown]
	s_delay_alu instid0(VALU_DEP_1) | instskip(SKIP_4) | instid1(VALU_DEP_3)
	v_mul_f64 v[133:134], v[22:23], s[4:5]
	s_mov_b32 s5, 0xbfe62e42
	s_mov_b32 s4, 0xfefa39ef
	v_cmp_nlt_f64_e32 vcc_lo, 0x40900000, v[22:23]
	v_cmp_ngt_f64_e64 s3, 0xc090cc00, v[22:23]
	v_rndne_f64_e32 v[133:134], v[133:134]
	s_delay_alu instid0(VALU_DEP_1) | instskip(SKIP_2) | instid1(VALU_DEP_2)
	v_fma_f64 v[144:145], v[133:134], s[4:5], v[22:23]
	v_cvt_i32_f64_e32 v148, v[133:134]
	s_mov_b32 s5, 0x3fe62e42
	v_fma_f64 v[144:145], v[133:134], s[6:7], v[144:145]
	s_mov_b32 s7, 0x3c7abc9e
	s_delay_alu instid0(VALU_DEP_1) | instskip(SKIP_4) | instid1(VALU_DEP_1)
	v_fma_f64 v[146:147], v[144:145], s[18:19], s[8:9]
	s_mov_b32 s8, 0x623fde64
	s_mov_b32 s9, 0x3ec71dee
	;; [unrolled: 1-line block ×4, first 2 shown]
	v_fma_f64 v[146:147], v[144:145], v[146:147], s[8:9]
	s_mov_b32 s8, 0x7c89e6b0
	s_mov_b32 s9, 0x3efa0199
	s_delay_alu instid0(VALU_DEP_1) | instid1(SALU_CYCLE_1)
	v_fma_f64 v[146:147], v[144:145], v[146:147], s[8:9]
	s_mov_b32 s8, 0x14761f6e
	s_mov_b32 s9, 0x3f2a01a0
	s_delay_alu instid0(VALU_DEP_1) | instid1(SALU_CYCLE_1)
	v_fma_f64 v[146:147], v[144:145], v[146:147], s[8:9]
	s_mov_b32 s8, 0x1852b7b0
	s_mov_b32 s9, 0x3f56c16c
	s_delay_alu instid0(VALU_DEP_1) | instid1(SALU_CYCLE_1)
	v_fma_f64 v[146:147], v[144:145], v[146:147], s[8:9]
	s_mov_b32 s8, 0x11122322
	s_mov_b32 s9, 0x3f811111
	s_delay_alu instid0(VALU_DEP_1) | instid1(SALU_CYCLE_1)
	v_fma_f64 v[146:147], v[144:145], v[146:147], s[8:9]
	s_mov_b32 s8, 0x555502a1
	s_mov_b32 s9, 0x3fa55555
	s_delay_alu instid0(VALU_DEP_1) | instid1(SALU_CYCLE_1)
	v_fma_f64 v[146:147], v[144:145], v[146:147], s[8:9]
	s_mov_b32 s8, 0x55555511
	s_mov_b32 s9, 0x3fc55555
	s_delay_alu instid0(VALU_DEP_1) | instid1(SALU_CYCLE_1)
	v_fma_f64 v[146:147], v[144:145], v[146:147], s[8:9]
	s_mov_b32 s8, 11
	s_mov_b32 s9, 0x3fe00000
	s_delay_alu instid0(VALU_DEP_1) | instid1(SALU_CYCLE_1)
	v_fma_f64 v[146:147], v[144:145], v[146:147], s[8:9]
	s_mov_b32 s9, 0x3fe55555
	s_mov_b32 s8, 0x55555555
	s_delay_alu instid0(VALU_DEP_1) | instskip(NEXT) | instid1(VALU_DEP_1)
	v_fma_f64 v[146:147], v[144:145], v[146:147], 1.0
	v_fma_f64 v[133:134], v[144:145], v[146:147], 1.0
	s_delay_alu instid0(VALU_DEP_1) | instskip(NEXT) | instid1(VALU_DEP_1)
	v_ldexp_f64 v[133:134], v[133:134], v148
	v_cndmask_b32_e32 v134, 0x7ff00000, v134, vcc_lo
	s_and_b32 vcc_lo, s3, vcc_lo
	s_delay_alu instid0(VALU_DEP_2) | instskip(NEXT) | instid1(VALU_DEP_2)
	v_cndmask_b32_e32 v22, 0, v133, vcc_lo
	v_cndmask_b32_e64 v23, 0, v134, s3
	s_delay_alu instid0(VALU_DEP_1) | instskip(NEXT) | instid1(VALU_DEP_1)
	v_add_f64 v[133:134], v[22:23], 1.0
	v_frexp_mant_f64_e32 v[144:145], v[133:134]
	v_frexp_exp_i32_f64_e32 v148, v[133:134]
	v_add_f64 v[146:147], v[133:134], -1.0
	s_delay_alu instid0(VALU_DEP_3) | instskip(SKIP_1) | instid1(VALU_DEP_2)
	v_cmp_gt_f64_e32 vcc_lo, s[8:9], v[144:145]
	s_mov_b32 s8, 0x55555780
	v_add_f64 v[144:145], v[146:147], -v[133:134]
	v_add_f64 v[146:147], v[22:23], -v[146:147]
	v_subrev_co_ci_u32_e32 v214, vcc_lo, 0, v148, vcc_lo
	s_delay_alu instid0(VALU_DEP_3) | instskip(SKIP_1) | instid1(VALU_DEP_3)
	v_add_f64 v[144:145], v[144:145], 1.0
	v_cmp_eq_f64_e32 vcc_lo, 0x7ff00000, v[22:23]
	v_sub_nc_u32_e32 v150, 0, v214
	s_delay_alu instid0(VALU_DEP_1) | instskip(NEXT) | instid1(VALU_DEP_4)
	v_ldexp_f64 v[133:134], v[133:134], v150
	v_add_f64 v[144:145], v[146:147], v[144:145]
	s_delay_alu instid0(VALU_DEP_2) | instskip(SKIP_1) | instid1(VALU_DEP_3)
	v_add_f64 v[148:149], v[133:134], 1.0
	v_add_f64 v[162:163], v[133:134], -1.0
	v_ldexp_f64 v[144:145], v[144:145], v150
	s_delay_alu instid0(VALU_DEP_3) | instskip(NEXT) | instid1(VALU_DEP_3)
	v_add_f64 v[146:147], v[148:149], -1.0
	v_add_f64 v[164:165], v[162:163], 1.0
	s_delay_alu instid0(VALU_DEP_2) | instskip(NEXT) | instid1(VALU_DEP_2)
	v_add_f64 v[146:147], v[133:134], -v[146:147]
	v_add_f64 v[133:134], v[133:134], -v[164:165]
	s_delay_alu instid0(VALU_DEP_2) | instskip(NEXT) | instid1(VALU_DEP_2)
	v_add_f64 v[146:147], v[144:145], v[146:147]
	v_add_f64 v[133:134], v[144:145], v[133:134]
	s_delay_alu instid0(VALU_DEP_2) | instskip(NEXT) | instid1(VALU_DEP_2)
	v_add_f64 v[150:151], v[148:149], v[146:147]
	v_add_f64 v[164:165], v[162:163], v[133:134]
	s_delay_alu instid0(VALU_DEP_2) | instskip(SKIP_1) | instid1(VALU_DEP_2)
	v_rcp_f64_e32 v[160:161], v[150:151]
	v_add_f64 v[148:149], v[150:151], -v[148:149]
	v_add_f64 v[162:163], v[164:165], -v[162:163]
	s_delay_alu instid0(VALU_DEP_2) | instskip(SKIP_3) | instid1(VALU_DEP_2)
	v_add_f64 v[146:147], v[146:147], -v[148:149]
	s_waitcnt_depctr 0xfff
	v_fma_f64 v[166:167], -v[150:151], v[160:161], 1.0
	v_add_f64 v[133:134], v[133:134], -v[162:163]
	v_fma_f64 v[160:161], v[166:167], v[160:161], v[160:161]
	s_delay_alu instid0(VALU_DEP_1) | instskip(NEXT) | instid1(VALU_DEP_1)
	v_fma_f64 v[144:145], -v[150:151], v[160:161], 1.0
	v_fma_f64 v[144:145], v[144:145], v[160:161], v[160:161]
	s_delay_alu instid0(VALU_DEP_1) | instskip(NEXT) | instid1(VALU_DEP_1)
	v_mul_f64 v[160:161], v[164:165], v[144:145]
	v_mul_f64 v[166:167], v[150:151], v[160:161]
	s_delay_alu instid0(VALU_DEP_1) | instskip(NEXT) | instid1(VALU_DEP_1)
	v_fma_f64 v[148:149], v[160:161], v[150:151], -v[166:167]
	v_fma_f64 v[148:149], v[160:161], v[146:147], v[148:149]
	s_delay_alu instid0(VALU_DEP_1) | instskip(NEXT) | instid1(VALU_DEP_1)
	v_add_f64 v[176:177], v[166:167], v[148:149]
	v_add_f64 v[212:213], v[164:165], -v[176:177]
	v_add_f64 v[162:163], v[176:177], -v[166:167]
	s_delay_alu instid0(VALU_DEP_2) | instskip(NEXT) | instid1(VALU_DEP_2)
	v_add_f64 v[164:165], v[164:165], -v[212:213]
	v_add_f64 v[148:149], v[162:163], -v[148:149]
	s_delay_alu instid0(VALU_DEP_2) | instskip(NEXT) | instid1(VALU_DEP_1)
	v_add_f64 v[164:165], v[164:165], -v[176:177]
	v_add_f64 v[133:134], v[133:134], v[164:165]
	s_delay_alu instid0(VALU_DEP_1) | instskip(NEXT) | instid1(VALU_DEP_1)
	v_add_f64 v[133:134], v[148:149], v[133:134]
	v_add_f64 v[148:149], v[212:213], v[133:134]
	s_delay_alu instid0(VALU_DEP_1) | instskip(SKIP_1) | instid1(VALU_DEP_2)
	v_mul_f64 v[162:163], v[144:145], v[148:149]
	v_add_f64 v[176:177], v[212:213], -v[148:149]
	v_mul_f64 v[164:165], v[150:151], v[162:163]
	s_delay_alu instid0(VALU_DEP_2) | instskip(NEXT) | instid1(VALU_DEP_2)
	v_add_f64 v[133:134], v[133:134], v[176:177]
	v_fma_f64 v[150:151], v[162:163], v[150:151], -v[164:165]
	s_delay_alu instid0(VALU_DEP_1) | instskip(NEXT) | instid1(VALU_DEP_1)
	v_fma_f64 v[146:147], v[162:163], v[146:147], v[150:151]
	v_add_f64 v[150:151], v[164:165], v[146:147]
	s_delay_alu instid0(VALU_DEP_1) | instskip(SKIP_1) | instid1(VALU_DEP_2)
	v_add_f64 v[166:167], v[148:149], -v[150:151]
	v_add_f64 v[164:165], v[150:151], -v[164:165]
	;; [unrolled: 1-line block ×3, first 2 shown]
	s_delay_alu instid0(VALU_DEP_2) | instskip(NEXT) | instid1(VALU_DEP_2)
	v_add_f64 v[146:147], v[164:165], -v[146:147]
	v_add_f64 v[148:149], v[148:149], -v[150:151]
	s_delay_alu instid0(VALU_DEP_1) | instskip(SKIP_1) | instid1(VALU_DEP_2)
	v_add_f64 v[133:134], v[133:134], v[148:149]
	v_add_f64 v[148:149], v[160:161], v[162:163]
	v_add_f64 v[133:134], v[146:147], v[133:134]
	s_delay_alu instid0(VALU_DEP_2) | instskip(NEXT) | instid1(VALU_DEP_2)
	v_add_f64 v[146:147], v[148:149], -v[160:161]
	v_add_f64 v[133:134], v[166:167], v[133:134]
	s_delay_alu instid0(VALU_DEP_2) | instskip(NEXT) | instid1(VALU_DEP_2)
	v_add_f64 v[146:147], v[162:163], -v[146:147]
	v_mul_f64 v[133:134], v[144:145], v[133:134]
	s_delay_alu instid0(VALU_DEP_1) | instskip(NEXT) | instid1(VALU_DEP_1)
	v_add_f64 v[133:134], v[146:147], v[133:134]
	v_add_f64 v[144:145], v[148:149], v[133:134]
	s_delay_alu instid0(VALU_DEP_1) | instskip(NEXT) | instid1(VALU_DEP_1)
	v_mul_f64 v[146:147], v[144:145], v[144:145]
	v_fma_f64 v[150:151], v[146:147], s[20:21], s[18:19]
	s_mov_b32 s18, 0xd7f4df2e
	s_mov_b32 s19, 0x3fc7474d
	v_mul_f64 v[160:161], v[144:145], v[146:147]
	s_delay_alu instid0(VALU_DEP_2)
	v_fma_f64 v[150:151], v[146:147], v[150:151], s[18:19]
	s_mov_b32 s18, 0x16291751
	s_mov_b32 s19, 0x3fcc71c0
	s_delay_alu instid0(VALU_DEP_1) | instid1(SALU_CYCLE_1)
	v_fma_f64 v[150:151], v[146:147], v[150:151], s[18:19]
	s_mov_b32 s18, 0x9b27acf1
	s_mov_b32 s19, 0x3fd24924
	s_delay_alu instid0(VALU_DEP_1) | instid1(SALU_CYCLE_1)
	;; [unrolled: 4-line block ×3, first 2 shown]
	v_fma_f64 v[150:151], v[146:147], v[150:151], s[18:19]
	s_delay_alu instid0(VALU_DEP_1) | instskip(SKIP_2) | instid1(VALU_DEP_3)
	v_fma_f64 v[146:147], v[146:147], v[150:151], s[8:9]
	v_ldexp_f64 v[150:151], v[144:145], 1
	v_add_f64 v[144:145], v[144:145], -v[148:149]
	v_mul_f64 v[146:147], v[160:161], v[146:147]
	v_cvt_f64_i32_e32 v[160:161], v214
	s_delay_alu instid0(VALU_DEP_3) | instskip(NEXT) | instid1(VALU_DEP_3)
	v_add_f64 v[133:134], v[133:134], -v[144:145]
	v_add_f64 v[148:149], v[150:151], v[146:147]
	s_delay_alu instid0(VALU_DEP_3) | instskip(NEXT) | instid1(VALU_DEP_3)
	v_mul_f64 v[162:163], v[160:161], s[4:5]
	v_ldexp_f64 v[133:134], v[133:134], 1
	s_delay_alu instid0(VALU_DEP_3) | instskip(NEXT) | instid1(VALU_DEP_3)
	v_add_f64 v[144:145], v[148:149], -v[150:151]
	v_fma_f64 v[150:151], v[160:161], s[4:5], -v[162:163]
	s_delay_alu instid0(VALU_DEP_2) | instskip(NEXT) | instid1(VALU_DEP_2)
	v_add_f64 v[144:145], v[146:147], -v[144:145]
	v_fma_f64 v[146:147], v[160:161], s[6:7], v[150:151]
	s_delay_alu instid0(VALU_DEP_2) | instskip(NEXT) | instid1(VALU_DEP_2)
	v_add_f64 v[133:134], v[133:134], v[144:145]
	v_add_f64 v[144:145], v[162:163], v[146:147]
	s_delay_alu instid0(VALU_DEP_2) | instskip(NEXT) | instid1(VALU_DEP_2)
	v_add_f64 v[150:151], v[148:149], v[133:134]
	v_add_f64 v[162:163], v[144:145], -v[162:163]
	s_delay_alu instid0(VALU_DEP_2) | instskip(SKIP_1) | instid1(VALU_DEP_3)
	v_add_f64 v[160:161], v[144:145], v[150:151]
	v_add_f64 v[148:149], v[150:151], -v[148:149]
	v_add_f64 v[146:147], v[146:147], -v[162:163]
	s_delay_alu instid0(VALU_DEP_3) | instskip(NEXT) | instid1(VALU_DEP_3)
	v_add_f64 v[164:165], v[160:161], -v[144:145]
	v_add_f64 v[133:134], v[133:134], -v[148:149]
	s_delay_alu instid0(VALU_DEP_2) | instskip(SKIP_1) | instid1(VALU_DEP_3)
	v_add_f64 v[166:167], v[160:161], -v[164:165]
	v_add_f64 v[148:149], v[150:151], -v[164:165]
	v_add_f64 v[150:151], v[146:147], v[133:134]
	s_delay_alu instid0(VALU_DEP_3) | instskip(NEXT) | instid1(VALU_DEP_1)
	v_add_f64 v[144:145], v[144:145], -v[166:167]
	v_add_f64 v[144:145], v[148:149], v[144:145]
	s_delay_alu instid0(VALU_DEP_3) | instskip(NEXT) | instid1(VALU_DEP_2)
	v_add_f64 v[148:149], v[150:151], -v[146:147]
	v_add_f64 v[144:145], v[150:151], v[144:145]
	s_delay_alu instid0(VALU_DEP_2) | instskip(SKIP_1) | instid1(VALU_DEP_3)
	v_add_f64 v[150:151], v[150:151], -v[148:149]
	v_add_f64 v[133:134], v[133:134], -v[148:149]
	v_add_f64 v[162:163], v[160:161], v[144:145]
	s_delay_alu instid0(VALU_DEP_3) | instskip(NEXT) | instid1(VALU_DEP_2)
	v_add_f64 v[146:147], v[146:147], -v[150:151]
	v_add_f64 v[148:149], v[162:163], -v[160:161]
	s_delay_alu instid0(VALU_DEP_2) | instskip(NEXT) | instid1(VALU_DEP_2)
	v_add_f64 v[133:134], v[133:134], v[146:147]
	v_add_f64 v[144:145], v[144:145], -v[148:149]
	s_delay_alu instid0(VALU_DEP_1) | instskip(NEXT) | instid1(VALU_DEP_1)
	v_add_f64 v[133:134], v[133:134], v[144:145]
	v_add_f64 v[133:134], v[162:163], v[133:134]
	s_delay_alu instid0(VALU_DEP_1) | instskip(SKIP_1) | instid1(VALU_DEP_2)
	v_dual_cndmask_b32 v133, v133, v22 :: v_dual_cndmask_b32 v134, v134, v23
	v_cmp_ngt_f64_e32 vcc_lo, -1.0, v[22:23]
	v_cndmask_b32_e32 v134, 0x7ff80000, v134, vcc_lo
	v_cmp_nge_f64_e32 vcc_lo, -1.0, v[22:23]
	s_delay_alu instid0(VALU_DEP_4) | instskip(SKIP_1) | instid1(VALU_DEP_4)
	v_cndmask_b32_e32 v133, 0, v133, vcc_lo
	v_cmp_neq_f64_e32 vcc_lo, -1.0, v[22:23]
	v_cndmask_b32_e32 v134, 0xfff00000, v134, vcc_lo
	s_delay_alu instid0(VALU_DEP_1)
	v_add_f64 v[22:23], v[24:25], v[133:134]
.LBB36_247:
	s_or_b32 exec_lo, exec_lo, s10
	s_delay_alu instid0(VALU_DEP_1) | instskip(SKIP_1) | instid1(VALU_DEP_2)
	v_max_f64 v[24:25], v[22:23], v[22:23]
	v_cmp_u_f64_e32 vcc_lo, v[22:23], v[22:23]
	v_min_f64 v[133:134], v[24:25], v[26:27]
	v_max_f64 v[24:25], v[24:25], v[26:27]
	s_delay_alu instid0(VALU_DEP_2) | instskip(NEXT) | instid1(VALU_DEP_2)
	v_dual_cndmask_b32 v26, v133, v22 :: v_dual_cndmask_b32 v27, v134, v23
	v_dual_cndmask_b32 v25, v25, v23 :: v_dual_cndmask_b32 v24, v24, v22
	s_delay_alu instid0(VALU_DEP_2) | instskip(NEXT) | instid1(VALU_DEP_3)
	v_cndmask_b32_e64 v133, v26, v80, s12
	v_cndmask_b32_e64 v134, v27, v81, s12
	s_delay_alu instid0(VALU_DEP_3) | instskip(NEXT) | instid1(VALU_DEP_4)
	v_cndmask_b32_e64 v27, v25, v81, s12
	v_cndmask_b32_e64 v26, v24, v80, s12
	v_dual_mov_b32 v25, v23 :: v_dual_mov_b32 v24, v22
	s_delay_alu instid0(VALU_DEP_4) | instskip(NEXT) | instid1(VALU_DEP_3)
	v_cmp_class_f64_e64 s3, v[133:134], 0x1f8
	v_cmp_neq_f64_e32 vcc_lo, v[133:134], v[26:27]
	s_delay_alu instid0(VALU_DEP_2) | instskip(NEXT) | instid1(SALU_CYCLE_1)
	s_or_b32 s3, vcc_lo, s3
	s_and_saveexec_b32 s10, s3
	s_cbranch_execz .LBB36_249
; %bb.248:
	v_add_f64 v[24:25], v[133:134], -v[26:27]
	s_mov_b32 s4, 0x652b82fe
	s_mov_b32 s5, 0x3ff71547
	;; [unrolled: 1-line block ×10, first 2 shown]
	s_delay_alu instid0(VALU_DEP_1) | instskip(SKIP_4) | instid1(VALU_DEP_3)
	v_mul_f64 v[133:134], v[24:25], s[4:5]
	s_mov_b32 s5, 0xbfe62e42
	s_mov_b32 s4, 0xfefa39ef
	v_cmp_nlt_f64_e32 vcc_lo, 0x40900000, v[24:25]
	v_cmp_ngt_f64_e64 s3, 0xc090cc00, v[24:25]
	v_rndne_f64_e32 v[133:134], v[133:134]
	s_delay_alu instid0(VALU_DEP_1) | instskip(SKIP_2) | instid1(VALU_DEP_2)
	v_fma_f64 v[144:145], v[133:134], s[4:5], v[24:25]
	v_cvt_i32_f64_e32 v148, v[133:134]
	s_mov_b32 s5, 0x3fe62e42
	v_fma_f64 v[144:145], v[133:134], s[6:7], v[144:145]
	s_mov_b32 s7, 0x3c7abc9e
	s_delay_alu instid0(VALU_DEP_1) | instskip(SKIP_4) | instid1(VALU_DEP_1)
	v_fma_f64 v[146:147], v[144:145], s[18:19], s[8:9]
	s_mov_b32 s8, 0x623fde64
	s_mov_b32 s9, 0x3ec71dee
	;; [unrolled: 1-line block ×4, first 2 shown]
	v_fma_f64 v[146:147], v[144:145], v[146:147], s[8:9]
	s_mov_b32 s8, 0x7c89e6b0
	s_mov_b32 s9, 0x3efa0199
	s_delay_alu instid0(VALU_DEP_1) | instid1(SALU_CYCLE_1)
	v_fma_f64 v[146:147], v[144:145], v[146:147], s[8:9]
	s_mov_b32 s8, 0x14761f6e
	s_mov_b32 s9, 0x3f2a01a0
	s_delay_alu instid0(VALU_DEP_1) | instid1(SALU_CYCLE_1)
	;; [unrolled: 4-line block ×7, first 2 shown]
	v_fma_f64 v[146:147], v[144:145], v[146:147], s[8:9]
	s_mov_b32 s9, 0x3fe55555
	s_mov_b32 s8, 0x55555555
	s_delay_alu instid0(VALU_DEP_1) | instskip(NEXT) | instid1(VALU_DEP_1)
	v_fma_f64 v[146:147], v[144:145], v[146:147], 1.0
	v_fma_f64 v[133:134], v[144:145], v[146:147], 1.0
	s_delay_alu instid0(VALU_DEP_1) | instskip(NEXT) | instid1(VALU_DEP_1)
	v_ldexp_f64 v[133:134], v[133:134], v148
	v_cndmask_b32_e32 v134, 0x7ff00000, v134, vcc_lo
	s_and_b32 vcc_lo, s3, vcc_lo
	s_delay_alu instid0(VALU_DEP_2) | instskip(NEXT) | instid1(VALU_DEP_2)
	v_cndmask_b32_e32 v24, 0, v133, vcc_lo
	v_cndmask_b32_e64 v25, 0, v134, s3
	s_delay_alu instid0(VALU_DEP_1) | instskip(NEXT) | instid1(VALU_DEP_1)
	v_add_f64 v[133:134], v[24:25], 1.0
	v_frexp_mant_f64_e32 v[144:145], v[133:134]
	v_frexp_exp_i32_f64_e32 v148, v[133:134]
	v_add_f64 v[146:147], v[133:134], -1.0
	s_delay_alu instid0(VALU_DEP_3) | instskip(SKIP_1) | instid1(VALU_DEP_2)
	v_cmp_gt_f64_e32 vcc_lo, s[8:9], v[144:145]
	s_mov_b32 s8, 0x55555780
	v_add_f64 v[144:145], v[146:147], -v[133:134]
	v_add_f64 v[146:147], v[24:25], -v[146:147]
	v_subrev_co_ci_u32_e32 v214, vcc_lo, 0, v148, vcc_lo
	s_delay_alu instid0(VALU_DEP_3) | instskip(SKIP_1) | instid1(VALU_DEP_3)
	v_add_f64 v[144:145], v[144:145], 1.0
	v_cmp_eq_f64_e32 vcc_lo, 0x7ff00000, v[24:25]
	v_sub_nc_u32_e32 v150, 0, v214
	s_delay_alu instid0(VALU_DEP_1) | instskip(NEXT) | instid1(VALU_DEP_4)
	v_ldexp_f64 v[133:134], v[133:134], v150
	v_add_f64 v[144:145], v[146:147], v[144:145]
	s_delay_alu instid0(VALU_DEP_2) | instskip(SKIP_1) | instid1(VALU_DEP_3)
	v_add_f64 v[148:149], v[133:134], 1.0
	v_add_f64 v[162:163], v[133:134], -1.0
	v_ldexp_f64 v[144:145], v[144:145], v150
	s_delay_alu instid0(VALU_DEP_3) | instskip(NEXT) | instid1(VALU_DEP_3)
	v_add_f64 v[146:147], v[148:149], -1.0
	v_add_f64 v[164:165], v[162:163], 1.0
	s_delay_alu instid0(VALU_DEP_2) | instskip(NEXT) | instid1(VALU_DEP_2)
	v_add_f64 v[146:147], v[133:134], -v[146:147]
	v_add_f64 v[133:134], v[133:134], -v[164:165]
	s_delay_alu instid0(VALU_DEP_2) | instskip(NEXT) | instid1(VALU_DEP_2)
	v_add_f64 v[146:147], v[144:145], v[146:147]
	v_add_f64 v[133:134], v[144:145], v[133:134]
	s_delay_alu instid0(VALU_DEP_2) | instskip(NEXT) | instid1(VALU_DEP_2)
	v_add_f64 v[150:151], v[148:149], v[146:147]
	v_add_f64 v[164:165], v[162:163], v[133:134]
	s_delay_alu instid0(VALU_DEP_2) | instskip(SKIP_1) | instid1(VALU_DEP_2)
	v_rcp_f64_e32 v[160:161], v[150:151]
	v_add_f64 v[148:149], v[150:151], -v[148:149]
	v_add_f64 v[162:163], v[164:165], -v[162:163]
	s_delay_alu instid0(VALU_DEP_2) | instskip(SKIP_3) | instid1(VALU_DEP_2)
	v_add_f64 v[146:147], v[146:147], -v[148:149]
	s_waitcnt_depctr 0xfff
	v_fma_f64 v[166:167], -v[150:151], v[160:161], 1.0
	v_add_f64 v[133:134], v[133:134], -v[162:163]
	v_fma_f64 v[160:161], v[166:167], v[160:161], v[160:161]
	s_delay_alu instid0(VALU_DEP_1) | instskip(NEXT) | instid1(VALU_DEP_1)
	v_fma_f64 v[144:145], -v[150:151], v[160:161], 1.0
	v_fma_f64 v[144:145], v[144:145], v[160:161], v[160:161]
	s_delay_alu instid0(VALU_DEP_1) | instskip(NEXT) | instid1(VALU_DEP_1)
	v_mul_f64 v[160:161], v[164:165], v[144:145]
	v_mul_f64 v[166:167], v[150:151], v[160:161]
	s_delay_alu instid0(VALU_DEP_1) | instskip(NEXT) | instid1(VALU_DEP_1)
	v_fma_f64 v[148:149], v[160:161], v[150:151], -v[166:167]
	v_fma_f64 v[148:149], v[160:161], v[146:147], v[148:149]
	s_delay_alu instid0(VALU_DEP_1) | instskip(NEXT) | instid1(VALU_DEP_1)
	v_add_f64 v[176:177], v[166:167], v[148:149]
	v_add_f64 v[212:213], v[164:165], -v[176:177]
	v_add_f64 v[162:163], v[176:177], -v[166:167]
	s_delay_alu instid0(VALU_DEP_2) | instskip(NEXT) | instid1(VALU_DEP_2)
	v_add_f64 v[164:165], v[164:165], -v[212:213]
	v_add_f64 v[148:149], v[162:163], -v[148:149]
	s_delay_alu instid0(VALU_DEP_2) | instskip(NEXT) | instid1(VALU_DEP_1)
	v_add_f64 v[164:165], v[164:165], -v[176:177]
	v_add_f64 v[133:134], v[133:134], v[164:165]
	s_delay_alu instid0(VALU_DEP_1) | instskip(NEXT) | instid1(VALU_DEP_1)
	v_add_f64 v[133:134], v[148:149], v[133:134]
	v_add_f64 v[148:149], v[212:213], v[133:134]
	s_delay_alu instid0(VALU_DEP_1) | instskip(SKIP_1) | instid1(VALU_DEP_2)
	v_mul_f64 v[162:163], v[144:145], v[148:149]
	v_add_f64 v[176:177], v[212:213], -v[148:149]
	v_mul_f64 v[164:165], v[150:151], v[162:163]
	s_delay_alu instid0(VALU_DEP_2) | instskip(NEXT) | instid1(VALU_DEP_2)
	v_add_f64 v[133:134], v[133:134], v[176:177]
	v_fma_f64 v[150:151], v[162:163], v[150:151], -v[164:165]
	s_delay_alu instid0(VALU_DEP_1) | instskip(NEXT) | instid1(VALU_DEP_1)
	v_fma_f64 v[146:147], v[162:163], v[146:147], v[150:151]
	v_add_f64 v[150:151], v[164:165], v[146:147]
	s_delay_alu instid0(VALU_DEP_1) | instskip(SKIP_1) | instid1(VALU_DEP_2)
	v_add_f64 v[166:167], v[148:149], -v[150:151]
	v_add_f64 v[164:165], v[150:151], -v[164:165]
	;; [unrolled: 1-line block ×3, first 2 shown]
	s_delay_alu instid0(VALU_DEP_2) | instskip(NEXT) | instid1(VALU_DEP_2)
	v_add_f64 v[146:147], v[164:165], -v[146:147]
	v_add_f64 v[148:149], v[148:149], -v[150:151]
	s_delay_alu instid0(VALU_DEP_1) | instskip(SKIP_1) | instid1(VALU_DEP_2)
	v_add_f64 v[133:134], v[133:134], v[148:149]
	v_add_f64 v[148:149], v[160:161], v[162:163]
	;; [unrolled: 1-line block ×3, first 2 shown]
	s_delay_alu instid0(VALU_DEP_2) | instskip(NEXT) | instid1(VALU_DEP_2)
	v_add_f64 v[146:147], v[148:149], -v[160:161]
	v_add_f64 v[133:134], v[166:167], v[133:134]
	s_delay_alu instid0(VALU_DEP_2) | instskip(NEXT) | instid1(VALU_DEP_2)
	v_add_f64 v[146:147], v[162:163], -v[146:147]
	v_mul_f64 v[133:134], v[144:145], v[133:134]
	s_delay_alu instid0(VALU_DEP_1) | instskip(NEXT) | instid1(VALU_DEP_1)
	v_add_f64 v[133:134], v[146:147], v[133:134]
	v_add_f64 v[144:145], v[148:149], v[133:134]
	s_delay_alu instid0(VALU_DEP_1) | instskip(NEXT) | instid1(VALU_DEP_1)
	v_mul_f64 v[146:147], v[144:145], v[144:145]
	v_fma_f64 v[150:151], v[146:147], s[20:21], s[18:19]
	s_mov_b32 s18, 0xd7f4df2e
	s_mov_b32 s19, 0x3fc7474d
	v_mul_f64 v[160:161], v[144:145], v[146:147]
	s_delay_alu instid0(VALU_DEP_2)
	v_fma_f64 v[150:151], v[146:147], v[150:151], s[18:19]
	s_mov_b32 s18, 0x16291751
	s_mov_b32 s19, 0x3fcc71c0
	s_delay_alu instid0(VALU_DEP_1) | instid1(SALU_CYCLE_1)
	v_fma_f64 v[150:151], v[146:147], v[150:151], s[18:19]
	s_mov_b32 s18, 0x9b27acf1
	s_mov_b32 s19, 0x3fd24924
	s_delay_alu instid0(VALU_DEP_1) | instid1(SALU_CYCLE_1)
	;; [unrolled: 4-line block ×3, first 2 shown]
	v_fma_f64 v[150:151], v[146:147], v[150:151], s[18:19]
	s_delay_alu instid0(VALU_DEP_1) | instskip(SKIP_2) | instid1(VALU_DEP_3)
	v_fma_f64 v[146:147], v[146:147], v[150:151], s[8:9]
	v_ldexp_f64 v[150:151], v[144:145], 1
	v_add_f64 v[144:145], v[144:145], -v[148:149]
	v_mul_f64 v[146:147], v[160:161], v[146:147]
	v_cvt_f64_i32_e32 v[160:161], v214
	s_delay_alu instid0(VALU_DEP_3) | instskip(NEXT) | instid1(VALU_DEP_3)
	v_add_f64 v[133:134], v[133:134], -v[144:145]
	v_add_f64 v[148:149], v[150:151], v[146:147]
	s_delay_alu instid0(VALU_DEP_3) | instskip(NEXT) | instid1(VALU_DEP_3)
	v_mul_f64 v[162:163], v[160:161], s[4:5]
	v_ldexp_f64 v[133:134], v[133:134], 1
	s_delay_alu instid0(VALU_DEP_3) | instskip(NEXT) | instid1(VALU_DEP_3)
	v_add_f64 v[144:145], v[148:149], -v[150:151]
	v_fma_f64 v[150:151], v[160:161], s[4:5], -v[162:163]
	s_delay_alu instid0(VALU_DEP_2) | instskip(NEXT) | instid1(VALU_DEP_2)
	v_add_f64 v[144:145], v[146:147], -v[144:145]
	v_fma_f64 v[146:147], v[160:161], s[6:7], v[150:151]
	s_delay_alu instid0(VALU_DEP_2) | instskip(NEXT) | instid1(VALU_DEP_2)
	v_add_f64 v[133:134], v[133:134], v[144:145]
	v_add_f64 v[144:145], v[162:163], v[146:147]
	s_delay_alu instid0(VALU_DEP_2) | instskip(NEXT) | instid1(VALU_DEP_2)
	v_add_f64 v[150:151], v[148:149], v[133:134]
	v_add_f64 v[162:163], v[144:145], -v[162:163]
	s_delay_alu instid0(VALU_DEP_2) | instskip(SKIP_1) | instid1(VALU_DEP_3)
	v_add_f64 v[160:161], v[144:145], v[150:151]
	v_add_f64 v[148:149], v[150:151], -v[148:149]
	v_add_f64 v[146:147], v[146:147], -v[162:163]
	s_delay_alu instid0(VALU_DEP_3) | instskip(NEXT) | instid1(VALU_DEP_3)
	v_add_f64 v[164:165], v[160:161], -v[144:145]
	v_add_f64 v[133:134], v[133:134], -v[148:149]
	s_delay_alu instid0(VALU_DEP_2) | instskip(SKIP_1) | instid1(VALU_DEP_3)
	v_add_f64 v[166:167], v[160:161], -v[164:165]
	v_add_f64 v[148:149], v[150:151], -v[164:165]
	v_add_f64 v[150:151], v[146:147], v[133:134]
	s_delay_alu instid0(VALU_DEP_3) | instskip(NEXT) | instid1(VALU_DEP_1)
	v_add_f64 v[144:145], v[144:145], -v[166:167]
	v_add_f64 v[144:145], v[148:149], v[144:145]
	s_delay_alu instid0(VALU_DEP_3) | instskip(NEXT) | instid1(VALU_DEP_2)
	v_add_f64 v[148:149], v[150:151], -v[146:147]
	v_add_f64 v[144:145], v[150:151], v[144:145]
	s_delay_alu instid0(VALU_DEP_2) | instskip(SKIP_1) | instid1(VALU_DEP_3)
	v_add_f64 v[150:151], v[150:151], -v[148:149]
	v_add_f64 v[133:134], v[133:134], -v[148:149]
	v_add_f64 v[162:163], v[160:161], v[144:145]
	s_delay_alu instid0(VALU_DEP_3) | instskip(NEXT) | instid1(VALU_DEP_2)
	v_add_f64 v[146:147], v[146:147], -v[150:151]
	v_add_f64 v[148:149], v[162:163], -v[160:161]
	s_delay_alu instid0(VALU_DEP_2) | instskip(NEXT) | instid1(VALU_DEP_2)
	v_add_f64 v[133:134], v[133:134], v[146:147]
	v_add_f64 v[144:145], v[144:145], -v[148:149]
	s_delay_alu instid0(VALU_DEP_1) | instskip(NEXT) | instid1(VALU_DEP_1)
	v_add_f64 v[133:134], v[133:134], v[144:145]
	v_add_f64 v[133:134], v[162:163], v[133:134]
	s_delay_alu instid0(VALU_DEP_1) | instskip(SKIP_1) | instid1(VALU_DEP_2)
	v_dual_cndmask_b32 v133, v133, v24 :: v_dual_cndmask_b32 v134, v134, v25
	v_cmp_ngt_f64_e32 vcc_lo, -1.0, v[24:25]
	v_cndmask_b32_e32 v134, 0x7ff80000, v134, vcc_lo
	v_cmp_nge_f64_e32 vcc_lo, -1.0, v[24:25]
	s_delay_alu instid0(VALU_DEP_4) | instskip(SKIP_1) | instid1(VALU_DEP_4)
	v_cndmask_b32_e32 v133, 0, v133, vcc_lo
	v_cmp_neq_f64_e32 vcc_lo, -1.0, v[24:25]
	v_cndmask_b32_e32 v134, 0xfff00000, v134, vcc_lo
	s_delay_alu instid0(VALU_DEP_1)
	v_add_f64 v[24:25], v[26:27], v[133:134]
.LBB36_249:
	s_or_b32 exec_lo, exec_lo, s10
	s_delay_alu instid0(VALU_DEP_1) | instskip(SKIP_1) | instid1(VALU_DEP_2)
	v_max_f64 v[26:27], v[24:25], v[24:25]
	v_cmp_u_f64_e32 vcc_lo, v[24:25], v[24:25]
	v_min_f64 v[133:134], v[26:27], v[28:29]
	v_max_f64 v[26:27], v[26:27], v[28:29]
	s_delay_alu instid0(VALU_DEP_2) | instskip(NEXT) | instid1(VALU_DEP_2)
	v_dual_cndmask_b32 v28, v133, v24 :: v_dual_cndmask_b32 v29, v134, v25
	v_dual_cndmask_b32 v27, v27, v25 :: v_dual_cndmask_b32 v26, v26, v24
	s_delay_alu instid0(VALU_DEP_2) | instskip(NEXT) | instid1(VALU_DEP_3)
	v_cndmask_b32_e64 v133, v28, v82, s13
	v_cndmask_b32_e64 v134, v29, v83, s13
	s_delay_alu instid0(VALU_DEP_3) | instskip(NEXT) | instid1(VALU_DEP_4)
	v_cndmask_b32_e64 v29, v27, v83, s13
	v_cndmask_b32_e64 v28, v26, v82, s13
	v_dual_mov_b32 v27, v25 :: v_dual_mov_b32 v26, v24
	s_delay_alu instid0(VALU_DEP_4) | instskip(NEXT) | instid1(VALU_DEP_3)
	v_cmp_class_f64_e64 s3, v[133:134], 0x1f8
	v_cmp_neq_f64_e32 vcc_lo, v[133:134], v[28:29]
	s_delay_alu instid0(VALU_DEP_2) | instskip(NEXT) | instid1(SALU_CYCLE_1)
	s_or_b32 s3, vcc_lo, s3
	s_and_saveexec_b32 s10, s3
	s_cbranch_execz .LBB36_251
; %bb.250:
	v_add_f64 v[26:27], v[133:134], -v[28:29]
	s_mov_b32 s4, 0x652b82fe
	s_mov_b32 s5, 0x3ff71547
	;; [unrolled: 1-line block ×10, first 2 shown]
	s_delay_alu instid0(VALU_DEP_1) | instskip(SKIP_4) | instid1(VALU_DEP_3)
	v_mul_f64 v[133:134], v[26:27], s[4:5]
	s_mov_b32 s5, 0xbfe62e42
	s_mov_b32 s4, 0xfefa39ef
	v_cmp_nlt_f64_e32 vcc_lo, 0x40900000, v[26:27]
	v_cmp_ngt_f64_e64 s3, 0xc090cc00, v[26:27]
	v_rndne_f64_e32 v[133:134], v[133:134]
	s_delay_alu instid0(VALU_DEP_1) | instskip(SKIP_2) | instid1(VALU_DEP_2)
	v_fma_f64 v[144:145], v[133:134], s[4:5], v[26:27]
	v_cvt_i32_f64_e32 v148, v[133:134]
	s_mov_b32 s5, 0x3fe62e42
	v_fma_f64 v[144:145], v[133:134], s[6:7], v[144:145]
	s_mov_b32 s7, 0x3c7abc9e
	s_delay_alu instid0(VALU_DEP_1) | instskip(SKIP_4) | instid1(VALU_DEP_1)
	v_fma_f64 v[146:147], v[144:145], s[12:13], s[8:9]
	s_mov_b32 s8, 0x623fde64
	s_mov_b32 s9, 0x3ec71dee
	;; [unrolled: 1-line block ×4, first 2 shown]
	v_fma_f64 v[146:147], v[144:145], v[146:147], s[8:9]
	s_mov_b32 s8, 0x7c89e6b0
	s_mov_b32 s9, 0x3efa0199
	s_delay_alu instid0(VALU_DEP_1) | instid1(SALU_CYCLE_1)
	v_fma_f64 v[146:147], v[144:145], v[146:147], s[8:9]
	s_mov_b32 s8, 0x14761f6e
	s_mov_b32 s9, 0x3f2a01a0
	s_delay_alu instid0(VALU_DEP_1) | instid1(SALU_CYCLE_1)
	;; [unrolled: 4-line block ×7, first 2 shown]
	v_fma_f64 v[146:147], v[144:145], v[146:147], s[8:9]
	s_mov_b32 s9, 0x3fe55555
	s_mov_b32 s8, 0x55555555
	s_delay_alu instid0(VALU_DEP_1) | instskip(NEXT) | instid1(VALU_DEP_1)
	v_fma_f64 v[146:147], v[144:145], v[146:147], 1.0
	v_fma_f64 v[133:134], v[144:145], v[146:147], 1.0
	s_delay_alu instid0(VALU_DEP_1) | instskip(NEXT) | instid1(VALU_DEP_1)
	v_ldexp_f64 v[133:134], v[133:134], v148
	v_cndmask_b32_e32 v134, 0x7ff00000, v134, vcc_lo
	s_and_b32 vcc_lo, s3, vcc_lo
	s_delay_alu instid0(VALU_DEP_2) | instskip(NEXT) | instid1(VALU_DEP_2)
	v_cndmask_b32_e32 v26, 0, v133, vcc_lo
	v_cndmask_b32_e64 v27, 0, v134, s3
	s_delay_alu instid0(VALU_DEP_1) | instskip(NEXT) | instid1(VALU_DEP_1)
	v_add_f64 v[133:134], v[26:27], 1.0
	v_frexp_mant_f64_e32 v[144:145], v[133:134]
	v_frexp_exp_i32_f64_e32 v148, v[133:134]
	v_add_f64 v[146:147], v[133:134], -1.0
	s_delay_alu instid0(VALU_DEP_3) | instskip(SKIP_1) | instid1(VALU_DEP_2)
	v_cmp_gt_f64_e32 vcc_lo, s[8:9], v[144:145]
	s_mov_b32 s8, 0x55555780
	v_add_f64 v[144:145], v[146:147], -v[133:134]
	v_add_f64 v[146:147], v[26:27], -v[146:147]
	v_subrev_co_ci_u32_e32 v214, vcc_lo, 0, v148, vcc_lo
	s_delay_alu instid0(VALU_DEP_3) | instskip(SKIP_1) | instid1(VALU_DEP_3)
	v_add_f64 v[144:145], v[144:145], 1.0
	v_cmp_eq_f64_e32 vcc_lo, 0x7ff00000, v[26:27]
	v_sub_nc_u32_e32 v150, 0, v214
	s_delay_alu instid0(VALU_DEP_1) | instskip(NEXT) | instid1(VALU_DEP_4)
	v_ldexp_f64 v[133:134], v[133:134], v150
	v_add_f64 v[144:145], v[146:147], v[144:145]
	s_delay_alu instid0(VALU_DEP_2) | instskip(SKIP_1) | instid1(VALU_DEP_3)
	v_add_f64 v[148:149], v[133:134], 1.0
	v_add_f64 v[162:163], v[133:134], -1.0
	v_ldexp_f64 v[144:145], v[144:145], v150
	s_delay_alu instid0(VALU_DEP_3) | instskip(NEXT) | instid1(VALU_DEP_3)
	v_add_f64 v[146:147], v[148:149], -1.0
	v_add_f64 v[164:165], v[162:163], 1.0
	s_delay_alu instid0(VALU_DEP_2) | instskip(NEXT) | instid1(VALU_DEP_2)
	v_add_f64 v[146:147], v[133:134], -v[146:147]
	v_add_f64 v[133:134], v[133:134], -v[164:165]
	s_delay_alu instid0(VALU_DEP_2) | instskip(NEXT) | instid1(VALU_DEP_2)
	v_add_f64 v[146:147], v[144:145], v[146:147]
	v_add_f64 v[133:134], v[144:145], v[133:134]
	s_delay_alu instid0(VALU_DEP_2) | instskip(NEXT) | instid1(VALU_DEP_2)
	v_add_f64 v[150:151], v[148:149], v[146:147]
	v_add_f64 v[164:165], v[162:163], v[133:134]
	s_delay_alu instid0(VALU_DEP_2) | instskip(SKIP_1) | instid1(VALU_DEP_2)
	v_rcp_f64_e32 v[160:161], v[150:151]
	v_add_f64 v[148:149], v[150:151], -v[148:149]
	v_add_f64 v[162:163], v[164:165], -v[162:163]
	s_delay_alu instid0(VALU_DEP_2) | instskip(SKIP_3) | instid1(VALU_DEP_2)
	v_add_f64 v[146:147], v[146:147], -v[148:149]
	s_waitcnt_depctr 0xfff
	v_fma_f64 v[166:167], -v[150:151], v[160:161], 1.0
	v_add_f64 v[133:134], v[133:134], -v[162:163]
	v_fma_f64 v[160:161], v[166:167], v[160:161], v[160:161]
	s_delay_alu instid0(VALU_DEP_1) | instskip(NEXT) | instid1(VALU_DEP_1)
	v_fma_f64 v[144:145], -v[150:151], v[160:161], 1.0
	v_fma_f64 v[144:145], v[144:145], v[160:161], v[160:161]
	s_delay_alu instid0(VALU_DEP_1) | instskip(NEXT) | instid1(VALU_DEP_1)
	v_mul_f64 v[160:161], v[164:165], v[144:145]
	v_mul_f64 v[166:167], v[150:151], v[160:161]
	s_delay_alu instid0(VALU_DEP_1) | instskip(NEXT) | instid1(VALU_DEP_1)
	v_fma_f64 v[148:149], v[160:161], v[150:151], -v[166:167]
	v_fma_f64 v[148:149], v[160:161], v[146:147], v[148:149]
	s_delay_alu instid0(VALU_DEP_1) | instskip(NEXT) | instid1(VALU_DEP_1)
	v_add_f64 v[176:177], v[166:167], v[148:149]
	v_add_f64 v[212:213], v[164:165], -v[176:177]
	v_add_f64 v[162:163], v[176:177], -v[166:167]
	s_delay_alu instid0(VALU_DEP_2) | instskip(NEXT) | instid1(VALU_DEP_2)
	v_add_f64 v[164:165], v[164:165], -v[212:213]
	v_add_f64 v[148:149], v[162:163], -v[148:149]
	s_delay_alu instid0(VALU_DEP_2) | instskip(NEXT) | instid1(VALU_DEP_1)
	v_add_f64 v[164:165], v[164:165], -v[176:177]
	v_add_f64 v[133:134], v[133:134], v[164:165]
	s_delay_alu instid0(VALU_DEP_1) | instskip(NEXT) | instid1(VALU_DEP_1)
	v_add_f64 v[133:134], v[148:149], v[133:134]
	v_add_f64 v[148:149], v[212:213], v[133:134]
	s_delay_alu instid0(VALU_DEP_1) | instskip(SKIP_1) | instid1(VALU_DEP_2)
	v_mul_f64 v[162:163], v[144:145], v[148:149]
	v_add_f64 v[176:177], v[212:213], -v[148:149]
	v_mul_f64 v[164:165], v[150:151], v[162:163]
	s_delay_alu instid0(VALU_DEP_2) | instskip(NEXT) | instid1(VALU_DEP_2)
	v_add_f64 v[133:134], v[133:134], v[176:177]
	v_fma_f64 v[150:151], v[162:163], v[150:151], -v[164:165]
	s_delay_alu instid0(VALU_DEP_1) | instskip(NEXT) | instid1(VALU_DEP_1)
	v_fma_f64 v[146:147], v[162:163], v[146:147], v[150:151]
	v_add_f64 v[150:151], v[164:165], v[146:147]
	s_delay_alu instid0(VALU_DEP_1) | instskip(SKIP_1) | instid1(VALU_DEP_2)
	v_add_f64 v[166:167], v[148:149], -v[150:151]
	v_add_f64 v[164:165], v[150:151], -v[164:165]
	;; [unrolled: 1-line block ×3, first 2 shown]
	s_delay_alu instid0(VALU_DEP_2) | instskip(NEXT) | instid1(VALU_DEP_2)
	v_add_f64 v[146:147], v[164:165], -v[146:147]
	v_add_f64 v[148:149], v[148:149], -v[150:151]
	s_delay_alu instid0(VALU_DEP_1) | instskip(SKIP_1) | instid1(VALU_DEP_2)
	v_add_f64 v[133:134], v[133:134], v[148:149]
	v_add_f64 v[148:149], v[160:161], v[162:163]
	v_add_f64 v[133:134], v[146:147], v[133:134]
	s_delay_alu instid0(VALU_DEP_2) | instskip(NEXT) | instid1(VALU_DEP_2)
	v_add_f64 v[146:147], v[148:149], -v[160:161]
	v_add_f64 v[133:134], v[166:167], v[133:134]
	s_delay_alu instid0(VALU_DEP_2) | instskip(NEXT) | instid1(VALU_DEP_2)
	v_add_f64 v[146:147], v[162:163], -v[146:147]
	v_mul_f64 v[133:134], v[144:145], v[133:134]
	s_delay_alu instid0(VALU_DEP_1) | instskip(NEXT) | instid1(VALU_DEP_1)
	v_add_f64 v[133:134], v[146:147], v[133:134]
	v_add_f64 v[144:145], v[148:149], v[133:134]
	s_delay_alu instid0(VALU_DEP_1) | instskip(NEXT) | instid1(VALU_DEP_1)
	v_mul_f64 v[146:147], v[144:145], v[144:145]
	v_fma_f64 v[150:151], v[146:147], s[18:19], s[12:13]
	s_mov_b32 s12, 0xd7f4df2e
	s_mov_b32 s13, 0x3fc7474d
	v_mul_f64 v[160:161], v[144:145], v[146:147]
	s_delay_alu instid0(VALU_DEP_2)
	v_fma_f64 v[150:151], v[146:147], v[150:151], s[12:13]
	s_mov_b32 s12, 0x16291751
	s_mov_b32 s13, 0x3fcc71c0
	s_delay_alu instid0(VALU_DEP_1) | instid1(SALU_CYCLE_1)
	v_fma_f64 v[150:151], v[146:147], v[150:151], s[12:13]
	s_mov_b32 s12, 0x9b27acf1
	s_mov_b32 s13, 0x3fd24924
	s_delay_alu instid0(VALU_DEP_1) | instid1(SALU_CYCLE_1)
	;; [unrolled: 4-line block ×3, first 2 shown]
	v_fma_f64 v[150:151], v[146:147], v[150:151], s[12:13]
	s_delay_alu instid0(VALU_DEP_1) | instskip(SKIP_2) | instid1(VALU_DEP_3)
	v_fma_f64 v[146:147], v[146:147], v[150:151], s[8:9]
	v_ldexp_f64 v[150:151], v[144:145], 1
	v_add_f64 v[144:145], v[144:145], -v[148:149]
	v_mul_f64 v[146:147], v[160:161], v[146:147]
	v_cvt_f64_i32_e32 v[160:161], v214
	s_delay_alu instid0(VALU_DEP_3) | instskip(NEXT) | instid1(VALU_DEP_3)
	v_add_f64 v[133:134], v[133:134], -v[144:145]
	v_add_f64 v[148:149], v[150:151], v[146:147]
	s_delay_alu instid0(VALU_DEP_3) | instskip(NEXT) | instid1(VALU_DEP_3)
	v_mul_f64 v[162:163], v[160:161], s[4:5]
	v_ldexp_f64 v[133:134], v[133:134], 1
	s_delay_alu instid0(VALU_DEP_3) | instskip(NEXT) | instid1(VALU_DEP_3)
	v_add_f64 v[144:145], v[148:149], -v[150:151]
	v_fma_f64 v[150:151], v[160:161], s[4:5], -v[162:163]
	s_delay_alu instid0(VALU_DEP_2) | instskip(NEXT) | instid1(VALU_DEP_2)
	v_add_f64 v[144:145], v[146:147], -v[144:145]
	v_fma_f64 v[146:147], v[160:161], s[6:7], v[150:151]
	s_delay_alu instid0(VALU_DEP_2) | instskip(NEXT) | instid1(VALU_DEP_2)
	v_add_f64 v[133:134], v[133:134], v[144:145]
	v_add_f64 v[144:145], v[162:163], v[146:147]
	s_delay_alu instid0(VALU_DEP_2) | instskip(NEXT) | instid1(VALU_DEP_2)
	v_add_f64 v[150:151], v[148:149], v[133:134]
	v_add_f64 v[162:163], v[144:145], -v[162:163]
	s_delay_alu instid0(VALU_DEP_2) | instskip(SKIP_1) | instid1(VALU_DEP_3)
	v_add_f64 v[160:161], v[144:145], v[150:151]
	v_add_f64 v[148:149], v[150:151], -v[148:149]
	v_add_f64 v[146:147], v[146:147], -v[162:163]
	s_delay_alu instid0(VALU_DEP_3) | instskip(NEXT) | instid1(VALU_DEP_3)
	v_add_f64 v[164:165], v[160:161], -v[144:145]
	v_add_f64 v[133:134], v[133:134], -v[148:149]
	s_delay_alu instid0(VALU_DEP_2) | instskip(SKIP_1) | instid1(VALU_DEP_3)
	v_add_f64 v[166:167], v[160:161], -v[164:165]
	v_add_f64 v[148:149], v[150:151], -v[164:165]
	v_add_f64 v[150:151], v[146:147], v[133:134]
	s_delay_alu instid0(VALU_DEP_3) | instskip(NEXT) | instid1(VALU_DEP_1)
	v_add_f64 v[144:145], v[144:145], -v[166:167]
	v_add_f64 v[144:145], v[148:149], v[144:145]
	s_delay_alu instid0(VALU_DEP_3) | instskip(NEXT) | instid1(VALU_DEP_2)
	v_add_f64 v[148:149], v[150:151], -v[146:147]
	v_add_f64 v[144:145], v[150:151], v[144:145]
	s_delay_alu instid0(VALU_DEP_2) | instskip(SKIP_1) | instid1(VALU_DEP_3)
	v_add_f64 v[150:151], v[150:151], -v[148:149]
	v_add_f64 v[133:134], v[133:134], -v[148:149]
	v_add_f64 v[162:163], v[160:161], v[144:145]
	s_delay_alu instid0(VALU_DEP_3) | instskip(NEXT) | instid1(VALU_DEP_2)
	v_add_f64 v[146:147], v[146:147], -v[150:151]
	v_add_f64 v[148:149], v[162:163], -v[160:161]
	s_delay_alu instid0(VALU_DEP_2) | instskip(NEXT) | instid1(VALU_DEP_2)
	v_add_f64 v[133:134], v[133:134], v[146:147]
	v_add_f64 v[144:145], v[144:145], -v[148:149]
	s_delay_alu instid0(VALU_DEP_1) | instskip(NEXT) | instid1(VALU_DEP_1)
	v_add_f64 v[133:134], v[133:134], v[144:145]
	v_add_f64 v[133:134], v[162:163], v[133:134]
	s_delay_alu instid0(VALU_DEP_1) | instskip(SKIP_1) | instid1(VALU_DEP_2)
	v_dual_cndmask_b32 v133, v133, v26 :: v_dual_cndmask_b32 v134, v134, v27
	v_cmp_ngt_f64_e32 vcc_lo, -1.0, v[26:27]
	v_cndmask_b32_e32 v134, 0x7ff80000, v134, vcc_lo
	v_cmp_nge_f64_e32 vcc_lo, -1.0, v[26:27]
	s_delay_alu instid0(VALU_DEP_4) | instskip(SKIP_1) | instid1(VALU_DEP_4)
	v_cndmask_b32_e32 v133, 0, v133, vcc_lo
	v_cmp_neq_f64_e32 vcc_lo, -1.0, v[26:27]
	v_cndmask_b32_e32 v134, 0xfff00000, v134, vcc_lo
	s_delay_alu instid0(VALU_DEP_1)
	v_add_f64 v[26:27], v[28:29], v[133:134]
.LBB36_251:
	s_or_b32 exec_lo, exec_lo, s10
	s_delay_alu instid0(VALU_DEP_1) | instskip(SKIP_1) | instid1(VALU_DEP_2)
	v_max_f64 v[28:29], v[26:27], v[26:27]
	v_cmp_u_f64_e32 vcc_lo, v[26:27], v[26:27]
	v_min_f64 v[133:134], v[28:29], v[30:31]
	v_max_f64 v[28:29], v[28:29], v[30:31]
	s_delay_alu instid0(VALU_DEP_2) | instskip(NEXT) | instid1(VALU_DEP_2)
	v_dual_cndmask_b32 v30, v133, v26 :: v_dual_cndmask_b32 v31, v134, v27
	v_dual_cndmask_b32 v29, v29, v27 :: v_dual_cndmask_b32 v28, v28, v26
	s_delay_alu instid0(VALU_DEP_2) | instskip(NEXT) | instid1(VALU_DEP_3)
	v_cndmask_b32_e64 v133, v30, v68, s14
	v_cndmask_b32_e64 v134, v31, v69, s14
	s_delay_alu instid0(VALU_DEP_3) | instskip(NEXT) | instid1(VALU_DEP_4)
	v_cndmask_b32_e64 v31, v29, v69, s14
	v_cndmask_b32_e64 v30, v28, v68, s14
	v_dual_mov_b32 v29, v27 :: v_dual_mov_b32 v28, v26
	s_delay_alu instid0(VALU_DEP_4) | instskip(NEXT) | instid1(VALU_DEP_3)
	v_cmp_class_f64_e64 s3, v[133:134], 0x1f8
	v_cmp_neq_f64_e32 vcc_lo, v[133:134], v[30:31]
	s_delay_alu instid0(VALU_DEP_2) | instskip(NEXT) | instid1(SALU_CYCLE_1)
	s_or_b32 s3, vcc_lo, s3
	s_and_saveexec_b32 s10, s3
	s_cbranch_execz .LBB36_253
; %bb.252:
	v_add_f64 v[28:29], v[133:134], -v[30:31]
	s_mov_b32 s4, 0x652b82fe
	s_mov_b32 s5, 0x3ff71547
	s_mov_b32 s7, 0xbc7abc9e
	s_mov_b32 s6, 0x3b39803f
	s_mov_b32 s8, 0xfca7ab0c
	s_mov_b32 s12, 0x6a5dcb37
	s_mov_b32 s9, 0x3e928af3
	s_mov_b32 s13, 0x3e5ade15
	s_mov_b32 s18, 0xbf559e2b
	s_mov_b32 s19, 0x3fc3ab76
	s_delay_alu instid0(VALU_DEP_1) | instskip(SKIP_4) | instid1(VALU_DEP_3)
	v_mul_f64 v[133:134], v[28:29], s[4:5]
	s_mov_b32 s5, 0xbfe62e42
	s_mov_b32 s4, 0xfefa39ef
	v_cmp_nlt_f64_e32 vcc_lo, 0x40900000, v[28:29]
	v_cmp_ngt_f64_e64 s3, 0xc090cc00, v[28:29]
	v_rndne_f64_e32 v[133:134], v[133:134]
	s_delay_alu instid0(VALU_DEP_1) | instskip(SKIP_2) | instid1(VALU_DEP_2)
	v_fma_f64 v[144:145], v[133:134], s[4:5], v[28:29]
	v_cvt_i32_f64_e32 v148, v[133:134]
	s_mov_b32 s5, 0x3fe62e42
	v_fma_f64 v[144:145], v[133:134], s[6:7], v[144:145]
	s_mov_b32 s7, 0x3c7abc9e
	s_delay_alu instid0(VALU_DEP_1) | instskip(SKIP_4) | instid1(VALU_DEP_1)
	v_fma_f64 v[146:147], v[144:145], s[12:13], s[8:9]
	s_mov_b32 s8, 0x623fde64
	s_mov_b32 s9, 0x3ec71dee
	;; [unrolled: 1-line block ×4, first 2 shown]
	v_fma_f64 v[146:147], v[144:145], v[146:147], s[8:9]
	s_mov_b32 s8, 0x7c89e6b0
	s_mov_b32 s9, 0x3efa0199
	s_delay_alu instid0(VALU_DEP_1) | instid1(SALU_CYCLE_1)
	v_fma_f64 v[146:147], v[144:145], v[146:147], s[8:9]
	s_mov_b32 s8, 0x14761f6e
	s_mov_b32 s9, 0x3f2a01a0
	s_delay_alu instid0(VALU_DEP_1) | instid1(SALU_CYCLE_1)
	;; [unrolled: 4-line block ×7, first 2 shown]
	v_fma_f64 v[146:147], v[144:145], v[146:147], s[8:9]
	s_mov_b32 s9, 0x3fe55555
	s_mov_b32 s8, 0x55555555
	s_delay_alu instid0(VALU_DEP_1) | instskip(NEXT) | instid1(VALU_DEP_1)
	v_fma_f64 v[146:147], v[144:145], v[146:147], 1.0
	v_fma_f64 v[133:134], v[144:145], v[146:147], 1.0
	s_delay_alu instid0(VALU_DEP_1) | instskip(NEXT) | instid1(VALU_DEP_1)
	v_ldexp_f64 v[133:134], v[133:134], v148
	v_cndmask_b32_e32 v134, 0x7ff00000, v134, vcc_lo
	s_and_b32 vcc_lo, s3, vcc_lo
	s_delay_alu instid0(VALU_DEP_2) | instskip(NEXT) | instid1(VALU_DEP_2)
	v_cndmask_b32_e32 v28, 0, v133, vcc_lo
	v_cndmask_b32_e64 v29, 0, v134, s3
	s_delay_alu instid0(VALU_DEP_1) | instskip(NEXT) | instid1(VALU_DEP_1)
	v_add_f64 v[133:134], v[28:29], 1.0
	v_frexp_mant_f64_e32 v[144:145], v[133:134]
	v_frexp_exp_i32_f64_e32 v148, v[133:134]
	v_add_f64 v[146:147], v[133:134], -1.0
	s_delay_alu instid0(VALU_DEP_3) | instskip(SKIP_1) | instid1(VALU_DEP_2)
	v_cmp_gt_f64_e32 vcc_lo, s[8:9], v[144:145]
	s_mov_b32 s8, 0x55555780
	v_add_f64 v[144:145], v[146:147], -v[133:134]
	v_add_f64 v[146:147], v[28:29], -v[146:147]
	v_subrev_co_ci_u32_e32 v214, vcc_lo, 0, v148, vcc_lo
	s_delay_alu instid0(VALU_DEP_3) | instskip(SKIP_1) | instid1(VALU_DEP_3)
	v_add_f64 v[144:145], v[144:145], 1.0
	v_cmp_eq_f64_e32 vcc_lo, 0x7ff00000, v[28:29]
	v_sub_nc_u32_e32 v150, 0, v214
	s_delay_alu instid0(VALU_DEP_1) | instskip(NEXT) | instid1(VALU_DEP_4)
	v_ldexp_f64 v[133:134], v[133:134], v150
	v_add_f64 v[144:145], v[146:147], v[144:145]
	s_delay_alu instid0(VALU_DEP_2) | instskip(SKIP_1) | instid1(VALU_DEP_3)
	v_add_f64 v[148:149], v[133:134], 1.0
	v_add_f64 v[162:163], v[133:134], -1.0
	v_ldexp_f64 v[144:145], v[144:145], v150
	s_delay_alu instid0(VALU_DEP_3) | instskip(NEXT) | instid1(VALU_DEP_3)
	v_add_f64 v[146:147], v[148:149], -1.0
	v_add_f64 v[164:165], v[162:163], 1.0
	s_delay_alu instid0(VALU_DEP_2) | instskip(NEXT) | instid1(VALU_DEP_2)
	v_add_f64 v[146:147], v[133:134], -v[146:147]
	v_add_f64 v[133:134], v[133:134], -v[164:165]
	s_delay_alu instid0(VALU_DEP_2) | instskip(NEXT) | instid1(VALU_DEP_2)
	v_add_f64 v[146:147], v[144:145], v[146:147]
	v_add_f64 v[133:134], v[144:145], v[133:134]
	s_delay_alu instid0(VALU_DEP_2) | instskip(NEXT) | instid1(VALU_DEP_2)
	v_add_f64 v[150:151], v[148:149], v[146:147]
	v_add_f64 v[164:165], v[162:163], v[133:134]
	s_delay_alu instid0(VALU_DEP_2) | instskip(SKIP_1) | instid1(VALU_DEP_2)
	v_rcp_f64_e32 v[160:161], v[150:151]
	v_add_f64 v[148:149], v[150:151], -v[148:149]
	v_add_f64 v[162:163], v[164:165], -v[162:163]
	s_delay_alu instid0(VALU_DEP_2) | instskip(SKIP_3) | instid1(VALU_DEP_2)
	v_add_f64 v[146:147], v[146:147], -v[148:149]
	s_waitcnt_depctr 0xfff
	v_fma_f64 v[166:167], -v[150:151], v[160:161], 1.0
	v_add_f64 v[133:134], v[133:134], -v[162:163]
	v_fma_f64 v[160:161], v[166:167], v[160:161], v[160:161]
	s_delay_alu instid0(VALU_DEP_1) | instskip(NEXT) | instid1(VALU_DEP_1)
	v_fma_f64 v[144:145], -v[150:151], v[160:161], 1.0
	v_fma_f64 v[144:145], v[144:145], v[160:161], v[160:161]
	s_delay_alu instid0(VALU_DEP_1) | instskip(NEXT) | instid1(VALU_DEP_1)
	v_mul_f64 v[160:161], v[164:165], v[144:145]
	v_mul_f64 v[166:167], v[150:151], v[160:161]
	s_delay_alu instid0(VALU_DEP_1) | instskip(NEXT) | instid1(VALU_DEP_1)
	v_fma_f64 v[148:149], v[160:161], v[150:151], -v[166:167]
	v_fma_f64 v[148:149], v[160:161], v[146:147], v[148:149]
	s_delay_alu instid0(VALU_DEP_1) | instskip(NEXT) | instid1(VALU_DEP_1)
	v_add_f64 v[176:177], v[166:167], v[148:149]
	v_add_f64 v[212:213], v[164:165], -v[176:177]
	v_add_f64 v[162:163], v[176:177], -v[166:167]
	s_delay_alu instid0(VALU_DEP_2) | instskip(NEXT) | instid1(VALU_DEP_2)
	v_add_f64 v[164:165], v[164:165], -v[212:213]
	v_add_f64 v[148:149], v[162:163], -v[148:149]
	s_delay_alu instid0(VALU_DEP_2) | instskip(NEXT) | instid1(VALU_DEP_1)
	v_add_f64 v[164:165], v[164:165], -v[176:177]
	v_add_f64 v[133:134], v[133:134], v[164:165]
	s_delay_alu instid0(VALU_DEP_1) | instskip(NEXT) | instid1(VALU_DEP_1)
	v_add_f64 v[133:134], v[148:149], v[133:134]
	v_add_f64 v[148:149], v[212:213], v[133:134]
	s_delay_alu instid0(VALU_DEP_1) | instskip(SKIP_1) | instid1(VALU_DEP_2)
	v_mul_f64 v[162:163], v[144:145], v[148:149]
	v_add_f64 v[176:177], v[212:213], -v[148:149]
	v_mul_f64 v[164:165], v[150:151], v[162:163]
	s_delay_alu instid0(VALU_DEP_2) | instskip(NEXT) | instid1(VALU_DEP_2)
	v_add_f64 v[133:134], v[133:134], v[176:177]
	v_fma_f64 v[150:151], v[162:163], v[150:151], -v[164:165]
	s_delay_alu instid0(VALU_DEP_1) | instskip(NEXT) | instid1(VALU_DEP_1)
	v_fma_f64 v[146:147], v[162:163], v[146:147], v[150:151]
	v_add_f64 v[150:151], v[164:165], v[146:147]
	s_delay_alu instid0(VALU_DEP_1) | instskip(SKIP_1) | instid1(VALU_DEP_2)
	v_add_f64 v[166:167], v[148:149], -v[150:151]
	v_add_f64 v[164:165], v[150:151], -v[164:165]
	;; [unrolled: 1-line block ×3, first 2 shown]
	s_delay_alu instid0(VALU_DEP_2) | instskip(NEXT) | instid1(VALU_DEP_2)
	v_add_f64 v[146:147], v[164:165], -v[146:147]
	v_add_f64 v[148:149], v[148:149], -v[150:151]
	s_delay_alu instid0(VALU_DEP_1) | instskip(SKIP_1) | instid1(VALU_DEP_2)
	v_add_f64 v[133:134], v[133:134], v[148:149]
	v_add_f64 v[148:149], v[160:161], v[162:163]
	;; [unrolled: 1-line block ×3, first 2 shown]
	s_delay_alu instid0(VALU_DEP_2) | instskip(NEXT) | instid1(VALU_DEP_2)
	v_add_f64 v[146:147], v[148:149], -v[160:161]
	v_add_f64 v[133:134], v[166:167], v[133:134]
	s_delay_alu instid0(VALU_DEP_2) | instskip(NEXT) | instid1(VALU_DEP_2)
	v_add_f64 v[146:147], v[162:163], -v[146:147]
	v_mul_f64 v[133:134], v[144:145], v[133:134]
	s_delay_alu instid0(VALU_DEP_1) | instskip(NEXT) | instid1(VALU_DEP_1)
	v_add_f64 v[133:134], v[146:147], v[133:134]
	v_add_f64 v[144:145], v[148:149], v[133:134]
	s_delay_alu instid0(VALU_DEP_1) | instskip(NEXT) | instid1(VALU_DEP_1)
	v_mul_f64 v[146:147], v[144:145], v[144:145]
	v_fma_f64 v[150:151], v[146:147], s[18:19], s[12:13]
	s_mov_b32 s12, 0xd7f4df2e
	s_mov_b32 s13, 0x3fc7474d
	v_mul_f64 v[160:161], v[144:145], v[146:147]
	s_delay_alu instid0(VALU_DEP_2)
	v_fma_f64 v[150:151], v[146:147], v[150:151], s[12:13]
	s_mov_b32 s12, 0x16291751
	s_mov_b32 s13, 0x3fcc71c0
	s_delay_alu instid0(VALU_DEP_1) | instid1(SALU_CYCLE_1)
	v_fma_f64 v[150:151], v[146:147], v[150:151], s[12:13]
	s_mov_b32 s12, 0x9b27acf1
	s_mov_b32 s13, 0x3fd24924
	s_delay_alu instid0(VALU_DEP_1) | instid1(SALU_CYCLE_1)
	;; [unrolled: 4-line block ×3, first 2 shown]
	v_fma_f64 v[150:151], v[146:147], v[150:151], s[12:13]
	s_delay_alu instid0(VALU_DEP_1) | instskip(SKIP_2) | instid1(VALU_DEP_3)
	v_fma_f64 v[146:147], v[146:147], v[150:151], s[8:9]
	v_ldexp_f64 v[150:151], v[144:145], 1
	v_add_f64 v[144:145], v[144:145], -v[148:149]
	v_mul_f64 v[146:147], v[160:161], v[146:147]
	v_cvt_f64_i32_e32 v[160:161], v214
	s_delay_alu instid0(VALU_DEP_3) | instskip(NEXT) | instid1(VALU_DEP_3)
	v_add_f64 v[133:134], v[133:134], -v[144:145]
	v_add_f64 v[148:149], v[150:151], v[146:147]
	s_delay_alu instid0(VALU_DEP_3) | instskip(NEXT) | instid1(VALU_DEP_3)
	v_mul_f64 v[162:163], v[160:161], s[4:5]
	v_ldexp_f64 v[133:134], v[133:134], 1
	s_delay_alu instid0(VALU_DEP_3) | instskip(NEXT) | instid1(VALU_DEP_3)
	v_add_f64 v[144:145], v[148:149], -v[150:151]
	v_fma_f64 v[150:151], v[160:161], s[4:5], -v[162:163]
	s_delay_alu instid0(VALU_DEP_2) | instskip(NEXT) | instid1(VALU_DEP_2)
	v_add_f64 v[144:145], v[146:147], -v[144:145]
	v_fma_f64 v[146:147], v[160:161], s[6:7], v[150:151]
	s_delay_alu instid0(VALU_DEP_2) | instskip(NEXT) | instid1(VALU_DEP_2)
	v_add_f64 v[133:134], v[133:134], v[144:145]
	v_add_f64 v[144:145], v[162:163], v[146:147]
	s_delay_alu instid0(VALU_DEP_2) | instskip(NEXT) | instid1(VALU_DEP_2)
	v_add_f64 v[150:151], v[148:149], v[133:134]
	v_add_f64 v[162:163], v[144:145], -v[162:163]
	s_delay_alu instid0(VALU_DEP_2) | instskip(SKIP_1) | instid1(VALU_DEP_3)
	v_add_f64 v[160:161], v[144:145], v[150:151]
	v_add_f64 v[148:149], v[150:151], -v[148:149]
	v_add_f64 v[146:147], v[146:147], -v[162:163]
	s_delay_alu instid0(VALU_DEP_3) | instskip(NEXT) | instid1(VALU_DEP_3)
	v_add_f64 v[164:165], v[160:161], -v[144:145]
	v_add_f64 v[133:134], v[133:134], -v[148:149]
	s_delay_alu instid0(VALU_DEP_2) | instskip(SKIP_1) | instid1(VALU_DEP_3)
	v_add_f64 v[166:167], v[160:161], -v[164:165]
	v_add_f64 v[148:149], v[150:151], -v[164:165]
	v_add_f64 v[150:151], v[146:147], v[133:134]
	s_delay_alu instid0(VALU_DEP_3) | instskip(NEXT) | instid1(VALU_DEP_1)
	v_add_f64 v[144:145], v[144:145], -v[166:167]
	v_add_f64 v[144:145], v[148:149], v[144:145]
	s_delay_alu instid0(VALU_DEP_3) | instskip(NEXT) | instid1(VALU_DEP_2)
	v_add_f64 v[148:149], v[150:151], -v[146:147]
	v_add_f64 v[144:145], v[150:151], v[144:145]
	s_delay_alu instid0(VALU_DEP_2) | instskip(SKIP_1) | instid1(VALU_DEP_3)
	v_add_f64 v[150:151], v[150:151], -v[148:149]
	v_add_f64 v[133:134], v[133:134], -v[148:149]
	v_add_f64 v[162:163], v[160:161], v[144:145]
	s_delay_alu instid0(VALU_DEP_3) | instskip(NEXT) | instid1(VALU_DEP_2)
	v_add_f64 v[146:147], v[146:147], -v[150:151]
	v_add_f64 v[148:149], v[162:163], -v[160:161]
	s_delay_alu instid0(VALU_DEP_2) | instskip(NEXT) | instid1(VALU_DEP_2)
	v_add_f64 v[133:134], v[133:134], v[146:147]
	v_add_f64 v[144:145], v[144:145], -v[148:149]
	s_delay_alu instid0(VALU_DEP_1) | instskip(NEXT) | instid1(VALU_DEP_1)
	v_add_f64 v[133:134], v[133:134], v[144:145]
	v_add_f64 v[133:134], v[162:163], v[133:134]
	s_delay_alu instid0(VALU_DEP_1) | instskip(SKIP_1) | instid1(VALU_DEP_2)
	v_dual_cndmask_b32 v133, v133, v28 :: v_dual_cndmask_b32 v134, v134, v29
	v_cmp_ngt_f64_e32 vcc_lo, -1.0, v[28:29]
	v_cndmask_b32_e32 v134, 0x7ff80000, v134, vcc_lo
	v_cmp_nge_f64_e32 vcc_lo, -1.0, v[28:29]
	s_delay_alu instid0(VALU_DEP_4) | instskip(SKIP_1) | instid1(VALU_DEP_4)
	v_cndmask_b32_e32 v133, 0, v133, vcc_lo
	v_cmp_neq_f64_e32 vcc_lo, -1.0, v[28:29]
	v_cndmask_b32_e32 v134, 0xfff00000, v134, vcc_lo
	s_delay_alu instid0(VALU_DEP_1)
	v_add_f64 v[28:29], v[30:31], v[133:134]
.LBB36_253:
	s_or_b32 exec_lo, exec_lo, s10
	s_delay_alu instid0(VALU_DEP_1) | instskip(SKIP_1) | instid1(VALU_DEP_2)
	v_max_f64 v[30:31], v[28:29], v[28:29]
	v_cmp_u_f64_e32 vcc_lo, v[28:29], v[28:29]
	v_min_f64 v[133:134], v[30:31], v[32:33]
	v_max_f64 v[30:31], v[30:31], v[32:33]
	s_delay_alu instid0(VALU_DEP_2) | instskip(NEXT) | instid1(VALU_DEP_2)
	v_dual_cndmask_b32 v32, v133, v28 :: v_dual_cndmask_b32 v33, v134, v29
	v_dual_cndmask_b32 v31, v31, v29 :: v_dual_cndmask_b32 v30, v30, v28
	s_delay_alu instid0(VALU_DEP_2) | instskip(NEXT) | instid1(VALU_DEP_3)
	v_cndmask_b32_e64 v133, v32, v70, s15
	v_cndmask_b32_e64 v134, v33, v71, s15
	s_delay_alu instid0(VALU_DEP_3) | instskip(NEXT) | instid1(VALU_DEP_4)
	v_cndmask_b32_e64 v33, v31, v71, s15
	v_cndmask_b32_e64 v32, v30, v70, s15
	v_dual_mov_b32 v31, v29 :: v_dual_mov_b32 v30, v28
	s_delay_alu instid0(VALU_DEP_4) | instskip(NEXT) | instid1(VALU_DEP_3)
	v_cmp_class_f64_e64 s3, v[133:134], 0x1f8
	v_cmp_neq_f64_e32 vcc_lo, v[133:134], v[32:33]
	s_delay_alu instid0(VALU_DEP_2) | instskip(NEXT) | instid1(SALU_CYCLE_1)
	s_or_b32 s3, vcc_lo, s3
	s_and_saveexec_b32 s10, s3
	s_cbranch_execz .LBB36_255
; %bb.254:
	v_add_f64 v[30:31], v[133:134], -v[32:33]
	s_mov_b32 s4, 0x652b82fe
	s_mov_b32 s5, 0x3ff71547
	;; [unrolled: 1-line block ×10, first 2 shown]
	s_delay_alu instid0(VALU_DEP_1) | instskip(SKIP_4) | instid1(VALU_DEP_3)
	v_mul_f64 v[133:134], v[30:31], s[4:5]
	s_mov_b32 s5, 0xbfe62e42
	s_mov_b32 s4, 0xfefa39ef
	v_cmp_nlt_f64_e32 vcc_lo, 0x40900000, v[30:31]
	v_cmp_ngt_f64_e64 s3, 0xc090cc00, v[30:31]
	v_rndne_f64_e32 v[133:134], v[133:134]
	s_delay_alu instid0(VALU_DEP_1) | instskip(SKIP_2) | instid1(VALU_DEP_2)
	v_fma_f64 v[144:145], v[133:134], s[4:5], v[30:31]
	v_cvt_i32_f64_e32 v148, v[133:134]
	s_mov_b32 s5, 0x3fe62e42
	v_fma_f64 v[144:145], v[133:134], s[6:7], v[144:145]
	s_mov_b32 s7, 0x3c7abc9e
	s_delay_alu instid0(VALU_DEP_1) | instskip(SKIP_4) | instid1(VALU_DEP_1)
	v_fma_f64 v[146:147], v[144:145], s[12:13], s[8:9]
	s_mov_b32 s8, 0x623fde64
	s_mov_b32 s9, 0x3ec71dee
	;; [unrolled: 1-line block ×4, first 2 shown]
	v_fma_f64 v[146:147], v[144:145], v[146:147], s[8:9]
	s_mov_b32 s8, 0x7c89e6b0
	s_mov_b32 s9, 0x3efa0199
	s_delay_alu instid0(VALU_DEP_1) | instid1(SALU_CYCLE_1)
	v_fma_f64 v[146:147], v[144:145], v[146:147], s[8:9]
	s_mov_b32 s8, 0x14761f6e
	s_mov_b32 s9, 0x3f2a01a0
	s_delay_alu instid0(VALU_DEP_1) | instid1(SALU_CYCLE_1)
	;; [unrolled: 4-line block ×7, first 2 shown]
	v_fma_f64 v[146:147], v[144:145], v[146:147], s[8:9]
	s_mov_b32 s9, 0x3fe55555
	s_mov_b32 s8, 0x55555555
	s_delay_alu instid0(VALU_DEP_1) | instskip(NEXT) | instid1(VALU_DEP_1)
	v_fma_f64 v[146:147], v[144:145], v[146:147], 1.0
	v_fma_f64 v[133:134], v[144:145], v[146:147], 1.0
	s_delay_alu instid0(VALU_DEP_1) | instskip(NEXT) | instid1(VALU_DEP_1)
	v_ldexp_f64 v[133:134], v[133:134], v148
	v_cndmask_b32_e32 v134, 0x7ff00000, v134, vcc_lo
	s_and_b32 vcc_lo, s3, vcc_lo
	s_delay_alu instid0(VALU_DEP_2) | instskip(NEXT) | instid1(VALU_DEP_2)
	v_cndmask_b32_e32 v30, 0, v133, vcc_lo
	v_cndmask_b32_e64 v31, 0, v134, s3
	s_delay_alu instid0(VALU_DEP_1) | instskip(NEXT) | instid1(VALU_DEP_1)
	v_add_f64 v[133:134], v[30:31], 1.0
	v_frexp_mant_f64_e32 v[144:145], v[133:134]
	v_frexp_exp_i32_f64_e32 v148, v[133:134]
	v_add_f64 v[146:147], v[133:134], -1.0
	s_delay_alu instid0(VALU_DEP_3) | instskip(SKIP_1) | instid1(VALU_DEP_2)
	v_cmp_gt_f64_e32 vcc_lo, s[8:9], v[144:145]
	s_mov_b32 s8, 0x55555780
	v_add_f64 v[144:145], v[146:147], -v[133:134]
	v_add_f64 v[146:147], v[30:31], -v[146:147]
	v_subrev_co_ci_u32_e32 v214, vcc_lo, 0, v148, vcc_lo
	s_delay_alu instid0(VALU_DEP_3) | instskip(SKIP_1) | instid1(VALU_DEP_3)
	v_add_f64 v[144:145], v[144:145], 1.0
	v_cmp_eq_f64_e32 vcc_lo, 0x7ff00000, v[30:31]
	v_sub_nc_u32_e32 v150, 0, v214
	s_delay_alu instid0(VALU_DEP_1) | instskip(NEXT) | instid1(VALU_DEP_4)
	v_ldexp_f64 v[133:134], v[133:134], v150
	v_add_f64 v[144:145], v[146:147], v[144:145]
	s_delay_alu instid0(VALU_DEP_2) | instskip(SKIP_1) | instid1(VALU_DEP_3)
	v_add_f64 v[148:149], v[133:134], 1.0
	v_add_f64 v[162:163], v[133:134], -1.0
	v_ldexp_f64 v[144:145], v[144:145], v150
	s_delay_alu instid0(VALU_DEP_3) | instskip(NEXT) | instid1(VALU_DEP_3)
	v_add_f64 v[146:147], v[148:149], -1.0
	v_add_f64 v[164:165], v[162:163], 1.0
	s_delay_alu instid0(VALU_DEP_2) | instskip(NEXT) | instid1(VALU_DEP_2)
	v_add_f64 v[146:147], v[133:134], -v[146:147]
	v_add_f64 v[133:134], v[133:134], -v[164:165]
	s_delay_alu instid0(VALU_DEP_2) | instskip(NEXT) | instid1(VALU_DEP_2)
	v_add_f64 v[146:147], v[144:145], v[146:147]
	v_add_f64 v[133:134], v[144:145], v[133:134]
	s_delay_alu instid0(VALU_DEP_2) | instskip(NEXT) | instid1(VALU_DEP_2)
	v_add_f64 v[150:151], v[148:149], v[146:147]
	v_add_f64 v[164:165], v[162:163], v[133:134]
	s_delay_alu instid0(VALU_DEP_2) | instskip(SKIP_1) | instid1(VALU_DEP_2)
	v_rcp_f64_e32 v[160:161], v[150:151]
	v_add_f64 v[148:149], v[150:151], -v[148:149]
	v_add_f64 v[162:163], v[164:165], -v[162:163]
	s_delay_alu instid0(VALU_DEP_2) | instskip(SKIP_3) | instid1(VALU_DEP_2)
	v_add_f64 v[146:147], v[146:147], -v[148:149]
	s_waitcnt_depctr 0xfff
	v_fma_f64 v[166:167], -v[150:151], v[160:161], 1.0
	v_add_f64 v[133:134], v[133:134], -v[162:163]
	v_fma_f64 v[160:161], v[166:167], v[160:161], v[160:161]
	s_delay_alu instid0(VALU_DEP_1) | instskip(NEXT) | instid1(VALU_DEP_1)
	v_fma_f64 v[144:145], -v[150:151], v[160:161], 1.0
	v_fma_f64 v[144:145], v[144:145], v[160:161], v[160:161]
	s_delay_alu instid0(VALU_DEP_1) | instskip(NEXT) | instid1(VALU_DEP_1)
	v_mul_f64 v[160:161], v[164:165], v[144:145]
	v_mul_f64 v[166:167], v[150:151], v[160:161]
	s_delay_alu instid0(VALU_DEP_1) | instskip(NEXT) | instid1(VALU_DEP_1)
	v_fma_f64 v[148:149], v[160:161], v[150:151], -v[166:167]
	v_fma_f64 v[148:149], v[160:161], v[146:147], v[148:149]
	s_delay_alu instid0(VALU_DEP_1) | instskip(NEXT) | instid1(VALU_DEP_1)
	v_add_f64 v[176:177], v[166:167], v[148:149]
	v_add_f64 v[212:213], v[164:165], -v[176:177]
	v_add_f64 v[162:163], v[176:177], -v[166:167]
	s_delay_alu instid0(VALU_DEP_2) | instskip(NEXT) | instid1(VALU_DEP_2)
	v_add_f64 v[164:165], v[164:165], -v[212:213]
	v_add_f64 v[148:149], v[162:163], -v[148:149]
	s_delay_alu instid0(VALU_DEP_2) | instskip(NEXT) | instid1(VALU_DEP_1)
	v_add_f64 v[164:165], v[164:165], -v[176:177]
	v_add_f64 v[133:134], v[133:134], v[164:165]
	s_delay_alu instid0(VALU_DEP_1) | instskip(NEXT) | instid1(VALU_DEP_1)
	v_add_f64 v[133:134], v[148:149], v[133:134]
	v_add_f64 v[148:149], v[212:213], v[133:134]
	s_delay_alu instid0(VALU_DEP_1) | instskip(SKIP_1) | instid1(VALU_DEP_2)
	v_mul_f64 v[162:163], v[144:145], v[148:149]
	v_add_f64 v[176:177], v[212:213], -v[148:149]
	v_mul_f64 v[164:165], v[150:151], v[162:163]
	s_delay_alu instid0(VALU_DEP_2) | instskip(NEXT) | instid1(VALU_DEP_2)
	v_add_f64 v[133:134], v[133:134], v[176:177]
	v_fma_f64 v[150:151], v[162:163], v[150:151], -v[164:165]
	s_delay_alu instid0(VALU_DEP_1) | instskip(NEXT) | instid1(VALU_DEP_1)
	v_fma_f64 v[146:147], v[162:163], v[146:147], v[150:151]
	v_add_f64 v[150:151], v[164:165], v[146:147]
	s_delay_alu instid0(VALU_DEP_1) | instskip(SKIP_1) | instid1(VALU_DEP_2)
	v_add_f64 v[166:167], v[148:149], -v[150:151]
	v_add_f64 v[164:165], v[150:151], -v[164:165]
	v_add_f64 v[148:149], v[148:149], -v[166:167]
	s_delay_alu instid0(VALU_DEP_2) | instskip(NEXT) | instid1(VALU_DEP_2)
	v_add_f64 v[146:147], v[164:165], -v[146:147]
	v_add_f64 v[148:149], v[148:149], -v[150:151]
	s_delay_alu instid0(VALU_DEP_1) | instskip(SKIP_1) | instid1(VALU_DEP_2)
	v_add_f64 v[133:134], v[133:134], v[148:149]
	v_add_f64 v[148:149], v[160:161], v[162:163]
	;; [unrolled: 1-line block ×3, first 2 shown]
	s_delay_alu instid0(VALU_DEP_2) | instskip(NEXT) | instid1(VALU_DEP_2)
	v_add_f64 v[146:147], v[148:149], -v[160:161]
	v_add_f64 v[133:134], v[166:167], v[133:134]
	s_delay_alu instid0(VALU_DEP_2) | instskip(NEXT) | instid1(VALU_DEP_2)
	v_add_f64 v[146:147], v[162:163], -v[146:147]
	v_mul_f64 v[133:134], v[144:145], v[133:134]
	s_delay_alu instid0(VALU_DEP_1) | instskip(NEXT) | instid1(VALU_DEP_1)
	v_add_f64 v[133:134], v[146:147], v[133:134]
	v_add_f64 v[144:145], v[148:149], v[133:134]
	s_delay_alu instid0(VALU_DEP_1) | instskip(NEXT) | instid1(VALU_DEP_1)
	v_mul_f64 v[146:147], v[144:145], v[144:145]
	v_fma_f64 v[150:151], v[146:147], s[14:15], s[12:13]
	s_mov_b32 s12, 0xd7f4df2e
	s_mov_b32 s13, 0x3fc7474d
	v_mul_f64 v[160:161], v[144:145], v[146:147]
	s_delay_alu instid0(VALU_DEP_2)
	v_fma_f64 v[150:151], v[146:147], v[150:151], s[12:13]
	s_mov_b32 s12, 0x16291751
	s_mov_b32 s13, 0x3fcc71c0
	s_delay_alu instid0(VALU_DEP_1) | instid1(SALU_CYCLE_1)
	v_fma_f64 v[150:151], v[146:147], v[150:151], s[12:13]
	s_mov_b32 s12, 0x9b27acf1
	s_mov_b32 s13, 0x3fd24924
	s_delay_alu instid0(VALU_DEP_1) | instid1(SALU_CYCLE_1)
	;; [unrolled: 4-line block ×3, first 2 shown]
	v_fma_f64 v[150:151], v[146:147], v[150:151], s[12:13]
	s_delay_alu instid0(VALU_DEP_1) | instskip(SKIP_2) | instid1(VALU_DEP_3)
	v_fma_f64 v[146:147], v[146:147], v[150:151], s[8:9]
	v_ldexp_f64 v[150:151], v[144:145], 1
	v_add_f64 v[144:145], v[144:145], -v[148:149]
	v_mul_f64 v[146:147], v[160:161], v[146:147]
	v_cvt_f64_i32_e32 v[160:161], v214
	s_delay_alu instid0(VALU_DEP_3) | instskip(NEXT) | instid1(VALU_DEP_3)
	v_add_f64 v[133:134], v[133:134], -v[144:145]
	v_add_f64 v[148:149], v[150:151], v[146:147]
	s_delay_alu instid0(VALU_DEP_3) | instskip(NEXT) | instid1(VALU_DEP_3)
	v_mul_f64 v[162:163], v[160:161], s[4:5]
	v_ldexp_f64 v[133:134], v[133:134], 1
	s_delay_alu instid0(VALU_DEP_3) | instskip(NEXT) | instid1(VALU_DEP_3)
	v_add_f64 v[144:145], v[148:149], -v[150:151]
	v_fma_f64 v[150:151], v[160:161], s[4:5], -v[162:163]
	s_delay_alu instid0(VALU_DEP_2) | instskip(NEXT) | instid1(VALU_DEP_2)
	v_add_f64 v[144:145], v[146:147], -v[144:145]
	v_fma_f64 v[146:147], v[160:161], s[6:7], v[150:151]
	s_delay_alu instid0(VALU_DEP_2) | instskip(NEXT) | instid1(VALU_DEP_2)
	v_add_f64 v[133:134], v[133:134], v[144:145]
	v_add_f64 v[144:145], v[162:163], v[146:147]
	s_delay_alu instid0(VALU_DEP_2) | instskip(NEXT) | instid1(VALU_DEP_2)
	v_add_f64 v[150:151], v[148:149], v[133:134]
	v_add_f64 v[162:163], v[144:145], -v[162:163]
	s_delay_alu instid0(VALU_DEP_2) | instskip(SKIP_1) | instid1(VALU_DEP_3)
	v_add_f64 v[160:161], v[144:145], v[150:151]
	v_add_f64 v[148:149], v[150:151], -v[148:149]
	v_add_f64 v[146:147], v[146:147], -v[162:163]
	s_delay_alu instid0(VALU_DEP_3) | instskip(NEXT) | instid1(VALU_DEP_3)
	v_add_f64 v[164:165], v[160:161], -v[144:145]
	v_add_f64 v[133:134], v[133:134], -v[148:149]
	s_delay_alu instid0(VALU_DEP_2) | instskip(SKIP_1) | instid1(VALU_DEP_3)
	v_add_f64 v[166:167], v[160:161], -v[164:165]
	v_add_f64 v[148:149], v[150:151], -v[164:165]
	v_add_f64 v[150:151], v[146:147], v[133:134]
	s_delay_alu instid0(VALU_DEP_3) | instskip(NEXT) | instid1(VALU_DEP_1)
	v_add_f64 v[144:145], v[144:145], -v[166:167]
	v_add_f64 v[144:145], v[148:149], v[144:145]
	s_delay_alu instid0(VALU_DEP_3) | instskip(NEXT) | instid1(VALU_DEP_2)
	v_add_f64 v[148:149], v[150:151], -v[146:147]
	v_add_f64 v[144:145], v[150:151], v[144:145]
	s_delay_alu instid0(VALU_DEP_2) | instskip(SKIP_1) | instid1(VALU_DEP_3)
	v_add_f64 v[150:151], v[150:151], -v[148:149]
	v_add_f64 v[133:134], v[133:134], -v[148:149]
	v_add_f64 v[162:163], v[160:161], v[144:145]
	s_delay_alu instid0(VALU_DEP_3) | instskip(NEXT) | instid1(VALU_DEP_2)
	v_add_f64 v[146:147], v[146:147], -v[150:151]
	v_add_f64 v[148:149], v[162:163], -v[160:161]
	s_delay_alu instid0(VALU_DEP_2) | instskip(NEXT) | instid1(VALU_DEP_2)
	v_add_f64 v[133:134], v[133:134], v[146:147]
	v_add_f64 v[144:145], v[144:145], -v[148:149]
	s_delay_alu instid0(VALU_DEP_1) | instskip(NEXT) | instid1(VALU_DEP_1)
	v_add_f64 v[133:134], v[133:134], v[144:145]
	v_add_f64 v[133:134], v[162:163], v[133:134]
	s_delay_alu instid0(VALU_DEP_1) | instskip(SKIP_1) | instid1(VALU_DEP_2)
	v_dual_cndmask_b32 v133, v133, v30 :: v_dual_cndmask_b32 v134, v134, v31
	v_cmp_ngt_f64_e32 vcc_lo, -1.0, v[30:31]
	v_cndmask_b32_e32 v134, 0x7ff80000, v134, vcc_lo
	v_cmp_nge_f64_e32 vcc_lo, -1.0, v[30:31]
	s_delay_alu instid0(VALU_DEP_4) | instskip(SKIP_1) | instid1(VALU_DEP_4)
	v_cndmask_b32_e32 v133, 0, v133, vcc_lo
	v_cmp_neq_f64_e32 vcc_lo, -1.0, v[30:31]
	v_cndmask_b32_e32 v134, 0xfff00000, v134, vcc_lo
	s_delay_alu instid0(VALU_DEP_1)
	v_add_f64 v[30:31], v[32:33], v[133:134]
.LBB36_255:
	s_or_b32 exec_lo, exec_lo, s10
	s_delay_alu instid0(VALU_DEP_1) | instskip(SKIP_1) | instid1(VALU_DEP_2)
	v_max_f64 v[32:33], v[30:31], v[30:31]
	v_cmp_u_f64_e32 vcc_lo, v[30:31], v[30:31]
	v_min_f64 v[133:134], v[32:33], v[34:35]
	v_max_f64 v[32:33], v[32:33], v[34:35]
	s_delay_alu instid0(VALU_DEP_2) | instskip(NEXT) | instid1(VALU_DEP_2)
	v_dual_cndmask_b32 v34, v133, v30 :: v_dual_cndmask_b32 v35, v134, v31
	v_dual_cndmask_b32 v33, v33, v31 :: v_dual_cndmask_b32 v32, v32, v30
	s_delay_alu instid0(VALU_DEP_2) | instskip(NEXT) | instid1(VALU_DEP_3)
	v_cndmask_b32_e64 v133, v34, v64, s16
	v_cndmask_b32_e64 v134, v35, v65, s16
	s_delay_alu instid0(VALU_DEP_3) | instskip(NEXT) | instid1(VALU_DEP_4)
	v_cndmask_b32_e64 v35, v33, v65, s16
	v_cndmask_b32_e64 v34, v32, v64, s16
	v_dual_mov_b32 v33, v31 :: v_dual_mov_b32 v32, v30
	s_delay_alu instid0(VALU_DEP_4) | instskip(NEXT) | instid1(VALU_DEP_3)
	v_cmp_class_f64_e64 s3, v[133:134], 0x1f8
	v_cmp_neq_f64_e32 vcc_lo, v[133:134], v[34:35]
	s_delay_alu instid0(VALU_DEP_2) | instskip(NEXT) | instid1(SALU_CYCLE_1)
	s_or_b32 s3, vcc_lo, s3
	s_and_saveexec_b32 s10, s3
	s_cbranch_execz .LBB36_257
; %bb.256:
	v_add_f64 v[32:33], v[133:134], -v[34:35]
	s_mov_b32 s4, 0x652b82fe
	s_mov_b32 s5, 0x3ff71547
	;; [unrolled: 1-line block ×10, first 2 shown]
	s_delay_alu instid0(VALU_DEP_1) | instskip(SKIP_4) | instid1(VALU_DEP_3)
	v_mul_f64 v[133:134], v[32:33], s[4:5]
	s_mov_b32 s5, 0xbfe62e42
	s_mov_b32 s4, 0xfefa39ef
	v_cmp_nlt_f64_e32 vcc_lo, 0x40900000, v[32:33]
	v_cmp_ngt_f64_e64 s3, 0xc090cc00, v[32:33]
	v_rndne_f64_e32 v[133:134], v[133:134]
	s_delay_alu instid0(VALU_DEP_1) | instskip(SKIP_2) | instid1(VALU_DEP_2)
	v_fma_f64 v[144:145], v[133:134], s[4:5], v[32:33]
	v_cvt_i32_f64_e32 v148, v[133:134]
	s_mov_b32 s5, 0x3fe62e42
	v_fma_f64 v[144:145], v[133:134], s[6:7], v[144:145]
	s_mov_b32 s7, 0x3c7abc9e
	s_delay_alu instid0(VALU_DEP_1) | instskip(SKIP_4) | instid1(VALU_DEP_1)
	v_fma_f64 v[146:147], v[144:145], s[12:13], s[8:9]
	s_mov_b32 s8, 0x623fde64
	s_mov_b32 s9, 0x3ec71dee
	;; [unrolled: 1-line block ×4, first 2 shown]
	v_fma_f64 v[146:147], v[144:145], v[146:147], s[8:9]
	s_mov_b32 s8, 0x7c89e6b0
	s_mov_b32 s9, 0x3efa0199
	s_delay_alu instid0(VALU_DEP_1) | instid1(SALU_CYCLE_1)
	v_fma_f64 v[146:147], v[144:145], v[146:147], s[8:9]
	s_mov_b32 s8, 0x14761f6e
	s_mov_b32 s9, 0x3f2a01a0
	s_delay_alu instid0(VALU_DEP_1) | instid1(SALU_CYCLE_1)
	;; [unrolled: 4-line block ×7, first 2 shown]
	v_fma_f64 v[146:147], v[144:145], v[146:147], s[8:9]
	s_mov_b32 s9, 0x3fe55555
	s_mov_b32 s8, 0x55555555
	s_delay_alu instid0(VALU_DEP_1) | instskip(NEXT) | instid1(VALU_DEP_1)
	v_fma_f64 v[146:147], v[144:145], v[146:147], 1.0
	v_fma_f64 v[133:134], v[144:145], v[146:147], 1.0
	s_delay_alu instid0(VALU_DEP_1) | instskip(NEXT) | instid1(VALU_DEP_1)
	v_ldexp_f64 v[133:134], v[133:134], v148
	v_cndmask_b32_e32 v134, 0x7ff00000, v134, vcc_lo
	s_and_b32 vcc_lo, s3, vcc_lo
	s_delay_alu instid0(VALU_DEP_2) | instskip(NEXT) | instid1(VALU_DEP_2)
	v_cndmask_b32_e32 v32, 0, v133, vcc_lo
	v_cndmask_b32_e64 v33, 0, v134, s3
	s_delay_alu instid0(VALU_DEP_1) | instskip(NEXT) | instid1(VALU_DEP_1)
	v_add_f64 v[133:134], v[32:33], 1.0
	v_frexp_mant_f64_e32 v[144:145], v[133:134]
	v_frexp_exp_i32_f64_e32 v148, v[133:134]
	v_add_f64 v[146:147], v[133:134], -1.0
	s_delay_alu instid0(VALU_DEP_3) | instskip(SKIP_1) | instid1(VALU_DEP_2)
	v_cmp_gt_f64_e32 vcc_lo, s[8:9], v[144:145]
	s_mov_b32 s8, 0x55555780
	v_add_f64 v[144:145], v[146:147], -v[133:134]
	v_add_f64 v[146:147], v[32:33], -v[146:147]
	v_subrev_co_ci_u32_e32 v214, vcc_lo, 0, v148, vcc_lo
	s_delay_alu instid0(VALU_DEP_3) | instskip(SKIP_1) | instid1(VALU_DEP_3)
	v_add_f64 v[144:145], v[144:145], 1.0
	v_cmp_eq_f64_e32 vcc_lo, 0x7ff00000, v[32:33]
	v_sub_nc_u32_e32 v150, 0, v214
	s_delay_alu instid0(VALU_DEP_1) | instskip(NEXT) | instid1(VALU_DEP_4)
	v_ldexp_f64 v[133:134], v[133:134], v150
	v_add_f64 v[144:145], v[146:147], v[144:145]
	s_delay_alu instid0(VALU_DEP_2) | instskip(SKIP_1) | instid1(VALU_DEP_3)
	v_add_f64 v[148:149], v[133:134], 1.0
	v_add_f64 v[162:163], v[133:134], -1.0
	v_ldexp_f64 v[144:145], v[144:145], v150
	s_delay_alu instid0(VALU_DEP_3) | instskip(NEXT) | instid1(VALU_DEP_3)
	v_add_f64 v[146:147], v[148:149], -1.0
	v_add_f64 v[164:165], v[162:163], 1.0
	s_delay_alu instid0(VALU_DEP_2) | instskip(NEXT) | instid1(VALU_DEP_2)
	v_add_f64 v[146:147], v[133:134], -v[146:147]
	v_add_f64 v[133:134], v[133:134], -v[164:165]
	s_delay_alu instid0(VALU_DEP_2) | instskip(NEXT) | instid1(VALU_DEP_2)
	v_add_f64 v[146:147], v[144:145], v[146:147]
	v_add_f64 v[133:134], v[144:145], v[133:134]
	s_delay_alu instid0(VALU_DEP_2) | instskip(NEXT) | instid1(VALU_DEP_2)
	v_add_f64 v[150:151], v[148:149], v[146:147]
	v_add_f64 v[164:165], v[162:163], v[133:134]
	s_delay_alu instid0(VALU_DEP_2) | instskip(SKIP_1) | instid1(VALU_DEP_2)
	v_rcp_f64_e32 v[160:161], v[150:151]
	v_add_f64 v[148:149], v[150:151], -v[148:149]
	v_add_f64 v[162:163], v[164:165], -v[162:163]
	s_delay_alu instid0(VALU_DEP_2) | instskip(SKIP_3) | instid1(VALU_DEP_2)
	v_add_f64 v[146:147], v[146:147], -v[148:149]
	s_waitcnt_depctr 0xfff
	v_fma_f64 v[166:167], -v[150:151], v[160:161], 1.0
	v_add_f64 v[133:134], v[133:134], -v[162:163]
	v_fma_f64 v[160:161], v[166:167], v[160:161], v[160:161]
	s_delay_alu instid0(VALU_DEP_1) | instskip(NEXT) | instid1(VALU_DEP_1)
	v_fma_f64 v[144:145], -v[150:151], v[160:161], 1.0
	v_fma_f64 v[144:145], v[144:145], v[160:161], v[160:161]
	s_delay_alu instid0(VALU_DEP_1) | instskip(NEXT) | instid1(VALU_DEP_1)
	v_mul_f64 v[160:161], v[164:165], v[144:145]
	v_mul_f64 v[166:167], v[150:151], v[160:161]
	s_delay_alu instid0(VALU_DEP_1) | instskip(NEXT) | instid1(VALU_DEP_1)
	v_fma_f64 v[148:149], v[160:161], v[150:151], -v[166:167]
	v_fma_f64 v[148:149], v[160:161], v[146:147], v[148:149]
	s_delay_alu instid0(VALU_DEP_1) | instskip(NEXT) | instid1(VALU_DEP_1)
	v_add_f64 v[176:177], v[166:167], v[148:149]
	v_add_f64 v[212:213], v[164:165], -v[176:177]
	v_add_f64 v[162:163], v[176:177], -v[166:167]
	s_delay_alu instid0(VALU_DEP_2) | instskip(NEXT) | instid1(VALU_DEP_2)
	v_add_f64 v[164:165], v[164:165], -v[212:213]
	v_add_f64 v[148:149], v[162:163], -v[148:149]
	s_delay_alu instid0(VALU_DEP_2) | instskip(NEXT) | instid1(VALU_DEP_1)
	v_add_f64 v[164:165], v[164:165], -v[176:177]
	v_add_f64 v[133:134], v[133:134], v[164:165]
	s_delay_alu instid0(VALU_DEP_1) | instskip(NEXT) | instid1(VALU_DEP_1)
	v_add_f64 v[133:134], v[148:149], v[133:134]
	v_add_f64 v[148:149], v[212:213], v[133:134]
	s_delay_alu instid0(VALU_DEP_1) | instskip(SKIP_1) | instid1(VALU_DEP_2)
	v_mul_f64 v[162:163], v[144:145], v[148:149]
	v_add_f64 v[176:177], v[212:213], -v[148:149]
	v_mul_f64 v[164:165], v[150:151], v[162:163]
	s_delay_alu instid0(VALU_DEP_2) | instskip(NEXT) | instid1(VALU_DEP_2)
	v_add_f64 v[133:134], v[133:134], v[176:177]
	v_fma_f64 v[150:151], v[162:163], v[150:151], -v[164:165]
	s_delay_alu instid0(VALU_DEP_1) | instskip(NEXT) | instid1(VALU_DEP_1)
	v_fma_f64 v[146:147], v[162:163], v[146:147], v[150:151]
	v_add_f64 v[150:151], v[164:165], v[146:147]
	s_delay_alu instid0(VALU_DEP_1) | instskip(SKIP_1) | instid1(VALU_DEP_2)
	v_add_f64 v[166:167], v[148:149], -v[150:151]
	v_add_f64 v[164:165], v[150:151], -v[164:165]
	;; [unrolled: 1-line block ×3, first 2 shown]
	s_delay_alu instid0(VALU_DEP_2) | instskip(NEXT) | instid1(VALU_DEP_2)
	v_add_f64 v[146:147], v[164:165], -v[146:147]
	v_add_f64 v[148:149], v[148:149], -v[150:151]
	s_delay_alu instid0(VALU_DEP_1) | instskip(SKIP_1) | instid1(VALU_DEP_2)
	v_add_f64 v[133:134], v[133:134], v[148:149]
	v_add_f64 v[148:149], v[160:161], v[162:163]
	;; [unrolled: 1-line block ×3, first 2 shown]
	s_delay_alu instid0(VALU_DEP_2) | instskip(NEXT) | instid1(VALU_DEP_2)
	v_add_f64 v[146:147], v[148:149], -v[160:161]
	v_add_f64 v[133:134], v[166:167], v[133:134]
	s_delay_alu instid0(VALU_DEP_2) | instskip(NEXT) | instid1(VALU_DEP_2)
	v_add_f64 v[146:147], v[162:163], -v[146:147]
	v_mul_f64 v[133:134], v[144:145], v[133:134]
	s_delay_alu instid0(VALU_DEP_1) | instskip(NEXT) | instid1(VALU_DEP_1)
	v_add_f64 v[133:134], v[146:147], v[133:134]
	v_add_f64 v[144:145], v[148:149], v[133:134]
	s_delay_alu instid0(VALU_DEP_1) | instskip(NEXT) | instid1(VALU_DEP_1)
	v_mul_f64 v[146:147], v[144:145], v[144:145]
	v_fma_f64 v[150:151], v[146:147], s[14:15], s[12:13]
	s_mov_b32 s12, 0xd7f4df2e
	s_mov_b32 s13, 0x3fc7474d
	v_mul_f64 v[160:161], v[144:145], v[146:147]
	s_delay_alu instid0(VALU_DEP_2)
	v_fma_f64 v[150:151], v[146:147], v[150:151], s[12:13]
	s_mov_b32 s12, 0x16291751
	s_mov_b32 s13, 0x3fcc71c0
	s_delay_alu instid0(VALU_DEP_1) | instid1(SALU_CYCLE_1)
	v_fma_f64 v[150:151], v[146:147], v[150:151], s[12:13]
	s_mov_b32 s12, 0x9b27acf1
	s_mov_b32 s13, 0x3fd24924
	s_delay_alu instid0(VALU_DEP_1) | instid1(SALU_CYCLE_1)
	;; [unrolled: 4-line block ×3, first 2 shown]
	v_fma_f64 v[150:151], v[146:147], v[150:151], s[12:13]
	s_delay_alu instid0(VALU_DEP_1) | instskip(SKIP_2) | instid1(VALU_DEP_3)
	v_fma_f64 v[146:147], v[146:147], v[150:151], s[8:9]
	v_ldexp_f64 v[150:151], v[144:145], 1
	v_add_f64 v[144:145], v[144:145], -v[148:149]
	v_mul_f64 v[146:147], v[160:161], v[146:147]
	v_cvt_f64_i32_e32 v[160:161], v214
	s_delay_alu instid0(VALU_DEP_3) | instskip(NEXT) | instid1(VALU_DEP_3)
	v_add_f64 v[133:134], v[133:134], -v[144:145]
	v_add_f64 v[148:149], v[150:151], v[146:147]
	s_delay_alu instid0(VALU_DEP_3) | instskip(NEXT) | instid1(VALU_DEP_3)
	v_mul_f64 v[162:163], v[160:161], s[4:5]
	v_ldexp_f64 v[133:134], v[133:134], 1
	s_delay_alu instid0(VALU_DEP_3) | instskip(NEXT) | instid1(VALU_DEP_3)
	v_add_f64 v[144:145], v[148:149], -v[150:151]
	v_fma_f64 v[150:151], v[160:161], s[4:5], -v[162:163]
	s_delay_alu instid0(VALU_DEP_2) | instskip(NEXT) | instid1(VALU_DEP_2)
	v_add_f64 v[144:145], v[146:147], -v[144:145]
	v_fma_f64 v[146:147], v[160:161], s[6:7], v[150:151]
	s_delay_alu instid0(VALU_DEP_2) | instskip(NEXT) | instid1(VALU_DEP_2)
	v_add_f64 v[133:134], v[133:134], v[144:145]
	v_add_f64 v[144:145], v[162:163], v[146:147]
	s_delay_alu instid0(VALU_DEP_2) | instskip(NEXT) | instid1(VALU_DEP_2)
	v_add_f64 v[150:151], v[148:149], v[133:134]
	v_add_f64 v[162:163], v[144:145], -v[162:163]
	s_delay_alu instid0(VALU_DEP_2) | instskip(SKIP_1) | instid1(VALU_DEP_3)
	v_add_f64 v[160:161], v[144:145], v[150:151]
	v_add_f64 v[148:149], v[150:151], -v[148:149]
	v_add_f64 v[146:147], v[146:147], -v[162:163]
	s_delay_alu instid0(VALU_DEP_3) | instskip(NEXT) | instid1(VALU_DEP_3)
	v_add_f64 v[164:165], v[160:161], -v[144:145]
	v_add_f64 v[133:134], v[133:134], -v[148:149]
	s_delay_alu instid0(VALU_DEP_2) | instskip(SKIP_1) | instid1(VALU_DEP_3)
	v_add_f64 v[166:167], v[160:161], -v[164:165]
	v_add_f64 v[148:149], v[150:151], -v[164:165]
	v_add_f64 v[150:151], v[146:147], v[133:134]
	s_delay_alu instid0(VALU_DEP_3) | instskip(NEXT) | instid1(VALU_DEP_1)
	v_add_f64 v[144:145], v[144:145], -v[166:167]
	v_add_f64 v[144:145], v[148:149], v[144:145]
	s_delay_alu instid0(VALU_DEP_3) | instskip(NEXT) | instid1(VALU_DEP_2)
	v_add_f64 v[148:149], v[150:151], -v[146:147]
	v_add_f64 v[144:145], v[150:151], v[144:145]
	s_delay_alu instid0(VALU_DEP_2) | instskip(SKIP_1) | instid1(VALU_DEP_3)
	v_add_f64 v[150:151], v[150:151], -v[148:149]
	v_add_f64 v[133:134], v[133:134], -v[148:149]
	v_add_f64 v[162:163], v[160:161], v[144:145]
	s_delay_alu instid0(VALU_DEP_3) | instskip(NEXT) | instid1(VALU_DEP_2)
	v_add_f64 v[146:147], v[146:147], -v[150:151]
	v_add_f64 v[148:149], v[162:163], -v[160:161]
	s_delay_alu instid0(VALU_DEP_2) | instskip(NEXT) | instid1(VALU_DEP_2)
	v_add_f64 v[133:134], v[133:134], v[146:147]
	v_add_f64 v[144:145], v[144:145], -v[148:149]
	s_delay_alu instid0(VALU_DEP_1) | instskip(NEXT) | instid1(VALU_DEP_1)
	v_add_f64 v[133:134], v[133:134], v[144:145]
	v_add_f64 v[133:134], v[162:163], v[133:134]
	s_delay_alu instid0(VALU_DEP_1) | instskip(SKIP_1) | instid1(VALU_DEP_2)
	v_dual_cndmask_b32 v133, v133, v32 :: v_dual_cndmask_b32 v134, v134, v33
	v_cmp_ngt_f64_e32 vcc_lo, -1.0, v[32:33]
	v_cndmask_b32_e32 v134, 0x7ff80000, v134, vcc_lo
	v_cmp_nge_f64_e32 vcc_lo, -1.0, v[32:33]
	s_delay_alu instid0(VALU_DEP_4) | instskip(SKIP_1) | instid1(VALU_DEP_4)
	v_cndmask_b32_e32 v133, 0, v133, vcc_lo
	v_cmp_neq_f64_e32 vcc_lo, -1.0, v[32:33]
	v_cndmask_b32_e32 v134, 0xfff00000, v134, vcc_lo
	s_delay_alu instid0(VALU_DEP_1)
	v_add_f64 v[32:33], v[34:35], v[133:134]
.LBB36_257:
	s_or_b32 exec_lo, exec_lo, s10
	s_delay_alu instid0(VALU_DEP_1) | instskip(SKIP_1) | instid1(VALU_DEP_2)
	v_max_f64 v[34:35], v[32:33], v[32:33]
	v_cmp_u_f64_e32 vcc_lo, v[32:33], v[32:33]
	v_min_f64 v[133:134], v[34:35], v[131:132]
	v_max_f64 v[34:35], v[34:35], v[131:132]
	s_delay_alu instid0(VALU_DEP_2) | instskip(NEXT) | instid1(VALU_DEP_2)
	v_dual_cndmask_b32 v131, v133, v32 :: v_dual_cndmask_b32 v132, v134, v33
	v_dual_cndmask_b32 v35, v35, v33 :: v_dual_cndmask_b32 v34, v34, v32
	s_delay_alu instid0(VALU_DEP_2) | instskip(NEXT) | instid1(VALU_DEP_3)
	v_cndmask_b32_e64 v133, v131, v66, s17
	v_cndmask_b32_e64 v134, v132, v67, s17
	s_delay_alu instid0(VALU_DEP_3) | instskip(NEXT) | instid1(VALU_DEP_4)
	v_cndmask_b32_e64 v132, v35, v67, s17
	v_cndmask_b32_e64 v131, v34, v66, s17
	v_dual_mov_b32 v35, v33 :: v_dual_mov_b32 v34, v32
	s_delay_alu instid0(VALU_DEP_4) | instskip(NEXT) | instid1(VALU_DEP_3)
	v_cmp_class_f64_e64 s3, v[133:134], 0x1f8
	v_cmp_neq_f64_e32 vcc_lo, v[133:134], v[131:132]
	s_delay_alu instid0(VALU_DEP_2) | instskip(NEXT) | instid1(SALU_CYCLE_1)
	s_or_b32 s3, vcc_lo, s3
	s_and_saveexec_b32 s10, s3
	s_cbranch_execz .LBB36_259
; %bb.258:
	v_add_f64 v[34:35], v[133:134], -v[131:132]
	s_mov_b32 s4, 0x652b82fe
	s_mov_b32 s5, 0x3ff71547
	s_mov_b32 s7, 0xbc7abc9e
	s_mov_b32 s6, 0x3b39803f
	s_mov_b32 s8, 0xfca7ab0c
	s_mov_b32 s12, 0x6a5dcb37
	s_mov_b32 s9, 0x3e928af3
	s_mov_b32 s13, 0x3e5ade15
	s_mov_b32 s14, 0xbf559e2b
	s_mov_b32 s15, 0x3fc3ab76
	s_delay_alu instid0(VALU_DEP_1) | instskip(SKIP_4) | instid1(VALU_DEP_3)
	v_mul_f64 v[133:134], v[34:35], s[4:5]
	s_mov_b32 s5, 0xbfe62e42
	s_mov_b32 s4, 0xfefa39ef
	v_cmp_nlt_f64_e32 vcc_lo, 0x40900000, v[34:35]
	v_cmp_ngt_f64_e64 s3, 0xc090cc00, v[34:35]
	v_rndne_f64_e32 v[133:134], v[133:134]
	s_delay_alu instid0(VALU_DEP_1) | instskip(SKIP_2) | instid1(VALU_DEP_2)
	v_fma_f64 v[144:145], v[133:134], s[4:5], v[34:35]
	v_cvt_i32_f64_e32 v148, v[133:134]
	s_mov_b32 s5, 0x3fe62e42
	v_fma_f64 v[144:145], v[133:134], s[6:7], v[144:145]
	s_mov_b32 s7, 0x3c7abc9e
	s_delay_alu instid0(VALU_DEP_1) | instskip(SKIP_4) | instid1(VALU_DEP_1)
	v_fma_f64 v[146:147], v[144:145], s[12:13], s[8:9]
	s_mov_b32 s8, 0x623fde64
	s_mov_b32 s9, 0x3ec71dee
	;; [unrolled: 1-line block ×4, first 2 shown]
	v_fma_f64 v[146:147], v[144:145], v[146:147], s[8:9]
	s_mov_b32 s8, 0x7c89e6b0
	s_mov_b32 s9, 0x3efa0199
	s_delay_alu instid0(VALU_DEP_1) | instid1(SALU_CYCLE_1)
	v_fma_f64 v[146:147], v[144:145], v[146:147], s[8:9]
	s_mov_b32 s8, 0x14761f6e
	s_mov_b32 s9, 0x3f2a01a0
	s_delay_alu instid0(VALU_DEP_1) | instid1(SALU_CYCLE_1)
	;; [unrolled: 4-line block ×7, first 2 shown]
	v_fma_f64 v[146:147], v[144:145], v[146:147], s[8:9]
	s_mov_b32 s9, 0x3fe55555
	s_mov_b32 s8, 0x55555555
	s_delay_alu instid0(VALU_DEP_1) | instskip(NEXT) | instid1(VALU_DEP_1)
	v_fma_f64 v[146:147], v[144:145], v[146:147], 1.0
	v_fma_f64 v[133:134], v[144:145], v[146:147], 1.0
	s_delay_alu instid0(VALU_DEP_1) | instskip(NEXT) | instid1(VALU_DEP_1)
	v_ldexp_f64 v[133:134], v[133:134], v148
	v_cndmask_b32_e32 v134, 0x7ff00000, v134, vcc_lo
	s_and_b32 vcc_lo, s3, vcc_lo
	s_delay_alu instid0(VALU_DEP_2) | instskip(NEXT) | instid1(VALU_DEP_2)
	v_cndmask_b32_e32 v34, 0, v133, vcc_lo
	v_cndmask_b32_e64 v35, 0, v134, s3
	s_delay_alu instid0(VALU_DEP_1) | instskip(NEXT) | instid1(VALU_DEP_1)
	v_add_f64 v[133:134], v[34:35], 1.0
	v_frexp_mant_f64_e32 v[144:145], v[133:134]
	v_frexp_exp_i32_f64_e32 v148, v[133:134]
	v_add_f64 v[146:147], v[133:134], -1.0
	s_delay_alu instid0(VALU_DEP_3) | instskip(SKIP_1) | instid1(VALU_DEP_2)
	v_cmp_gt_f64_e32 vcc_lo, s[8:9], v[144:145]
	s_mov_b32 s8, 0x55555780
	v_add_f64 v[144:145], v[146:147], -v[133:134]
	v_add_f64 v[146:147], v[34:35], -v[146:147]
	v_subrev_co_ci_u32_e32 v214, vcc_lo, 0, v148, vcc_lo
	s_delay_alu instid0(VALU_DEP_3) | instskip(SKIP_1) | instid1(VALU_DEP_3)
	v_add_f64 v[144:145], v[144:145], 1.0
	v_cmp_eq_f64_e32 vcc_lo, 0x7ff00000, v[34:35]
	v_sub_nc_u32_e32 v150, 0, v214
	s_delay_alu instid0(VALU_DEP_1) | instskip(NEXT) | instid1(VALU_DEP_4)
	v_ldexp_f64 v[133:134], v[133:134], v150
	v_add_f64 v[144:145], v[146:147], v[144:145]
	s_delay_alu instid0(VALU_DEP_2) | instskip(SKIP_1) | instid1(VALU_DEP_3)
	v_add_f64 v[148:149], v[133:134], 1.0
	v_add_f64 v[162:163], v[133:134], -1.0
	v_ldexp_f64 v[144:145], v[144:145], v150
	s_delay_alu instid0(VALU_DEP_3) | instskip(NEXT) | instid1(VALU_DEP_3)
	v_add_f64 v[146:147], v[148:149], -1.0
	v_add_f64 v[164:165], v[162:163], 1.0
	s_delay_alu instid0(VALU_DEP_2) | instskip(NEXT) | instid1(VALU_DEP_2)
	v_add_f64 v[146:147], v[133:134], -v[146:147]
	v_add_f64 v[133:134], v[133:134], -v[164:165]
	s_delay_alu instid0(VALU_DEP_2) | instskip(NEXT) | instid1(VALU_DEP_2)
	v_add_f64 v[146:147], v[144:145], v[146:147]
	v_add_f64 v[133:134], v[144:145], v[133:134]
	s_delay_alu instid0(VALU_DEP_2) | instskip(NEXT) | instid1(VALU_DEP_2)
	v_add_f64 v[150:151], v[148:149], v[146:147]
	v_add_f64 v[164:165], v[162:163], v[133:134]
	s_delay_alu instid0(VALU_DEP_2) | instskip(SKIP_1) | instid1(VALU_DEP_2)
	v_rcp_f64_e32 v[160:161], v[150:151]
	v_add_f64 v[148:149], v[150:151], -v[148:149]
	v_add_f64 v[162:163], v[164:165], -v[162:163]
	s_delay_alu instid0(VALU_DEP_2) | instskip(SKIP_3) | instid1(VALU_DEP_2)
	v_add_f64 v[146:147], v[146:147], -v[148:149]
	s_waitcnt_depctr 0xfff
	v_fma_f64 v[166:167], -v[150:151], v[160:161], 1.0
	v_add_f64 v[133:134], v[133:134], -v[162:163]
	v_fma_f64 v[160:161], v[166:167], v[160:161], v[160:161]
	s_delay_alu instid0(VALU_DEP_1) | instskip(NEXT) | instid1(VALU_DEP_1)
	v_fma_f64 v[144:145], -v[150:151], v[160:161], 1.0
	v_fma_f64 v[144:145], v[144:145], v[160:161], v[160:161]
	s_delay_alu instid0(VALU_DEP_1) | instskip(NEXT) | instid1(VALU_DEP_1)
	v_mul_f64 v[160:161], v[164:165], v[144:145]
	v_mul_f64 v[166:167], v[150:151], v[160:161]
	s_delay_alu instid0(VALU_DEP_1) | instskip(NEXT) | instid1(VALU_DEP_1)
	v_fma_f64 v[148:149], v[160:161], v[150:151], -v[166:167]
	v_fma_f64 v[148:149], v[160:161], v[146:147], v[148:149]
	s_delay_alu instid0(VALU_DEP_1) | instskip(NEXT) | instid1(VALU_DEP_1)
	v_add_f64 v[176:177], v[166:167], v[148:149]
	v_add_f64 v[212:213], v[164:165], -v[176:177]
	v_add_f64 v[162:163], v[176:177], -v[166:167]
	s_delay_alu instid0(VALU_DEP_2) | instskip(NEXT) | instid1(VALU_DEP_2)
	v_add_f64 v[164:165], v[164:165], -v[212:213]
	v_add_f64 v[148:149], v[162:163], -v[148:149]
	s_delay_alu instid0(VALU_DEP_2) | instskip(NEXT) | instid1(VALU_DEP_1)
	v_add_f64 v[164:165], v[164:165], -v[176:177]
	v_add_f64 v[133:134], v[133:134], v[164:165]
	s_delay_alu instid0(VALU_DEP_1) | instskip(NEXT) | instid1(VALU_DEP_1)
	v_add_f64 v[133:134], v[148:149], v[133:134]
	v_add_f64 v[148:149], v[212:213], v[133:134]
	s_delay_alu instid0(VALU_DEP_1) | instskip(SKIP_1) | instid1(VALU_DEP_2)
	v_mul_f64 v[162:163], v[144:145], v[148:149]
	v_add_f64 v[176:177], v[212:213], -v[148:149]
	v_mul_f64 v[164:165], v[150:151], v[162:163]
	s_delay_alu instid0(VALU_DEP_2) | instskip(NEXT) | instid1(VALU_DEP_2)
	v_add_f64 v[133:134], v[133:134], v[176:177]
	v_fma_f64 v[150:151], v[162:163], v[150:151], -v[164:165]
	s_delay_alu instid0(VALU_DEP_1) | instskip(NEXT) | instid1(VALU_DEP_1)
	v_fma_f64 v[146:147], v[162:163], v[146:147], v[150:151]
	v_add_f64 v[150:151], v[164:165], v[146:147]
	s_delay_alu instid0(VALU_DEP_1) | instskip(SKIP_1) | instid1(VALU_DEP_2)
	v_add_f64 v[166:167], v[148:149], -v[150:151]
	v_add_f64 v[164:165], v[150:151], -v[164:165]
	;; [unrolled: 1-line block ×3, first 2 shown]
	s_delay_alu instid0(VALU_DEP_2) | instskip(NEXT) | instid1(VALU_DEP_2)
	v_add_f64 v[146:147], v[164:165], -v[146:147]
	v_add_f64 v[148:149], v[148:149], -v[150:151]
	s_delay_alu instid0(VALU_DEP_1) | instskip(SKIP_1) | instid1(VALU_DEP_2)
	v_add_f64 v[133:134], v[133:134], v[148:149]
	v_add_f64 v[148:149], v[160:161], v[162:163]
	v_add_f64 v[133:134], v[146:147], v[133:134]
	s_delay_alu instid0(VALU_DEP_2) | instskip(NEXT) | instid1(VALU_DEP_2)
	v_add_f64 v[146:147], v[148:149], -v[160:161]
	v_add_f64 v[133:134], v[166:167], v[133:134]
	s_delay_alu instid0(VALU_DEP_2) | instskip(NEXT) | instid1(VALU_DEP_2)
	v_add_f64 v[146:147], v[162:163], -v[146:147]
	v_mul_f64 v[133:134], v[144:145], v[133:134]
	s_delay_alu instid0(VALU_DEP_1) | instskip(NEXT) | instid1(VALU_DEP_1)
	v_add_f64 v[133:134], v[146:147], v[133:134]
	v_add_f64 v[144:145], v[148:149], v[133:134]
	s_delay_alu instid0(VALU_DEP_1) | instskip(NEXT) | instid1(VALU_DEP_1)
	v_mul_f64 v[146:147], v[144:145], v[144:145]
	v_fma_f64 v[150:151], v[146:147], s[14:15], s[12:13]
	s_mov_b32 s12, 0xd7f4df2e
	s_mov_b32 s13, 0x3fc7474d
	v_mul_f64 v[160:161], v[144:145], v[146:147]
	s_delay_alu instid0(VALU_DEP_2)
	v_fma_f64 v[150:151], v[146:147], v[150:151], s[12:13]
	s_mov_b32 s12, 0x16291751
	s_mov_b32 s13, 0x3fcc71c0
	s_delay_alu instid0(VALU_DEP_1) | instid1(SALU_CYCLE_1)
	v_fma_f64 v[150:151], v[146:147], v[150:151], s[12:13]
	s_mov_b32 s12, 0x9b27acf1
	s_mov_b32 s13, 0x3fd24924
	s_delay_alu instid0(VALU_DEP_1) | instid1(SALU_CYCLE_1)
	;; [unrolled: 4-line block ×3, first 2 shown]
	v_fma_f64 v[150:151], v[146:147], v[150:151], s[12:13]
	s_delay_alu instid0(VALU_DEP_1) | instskip(SKIP_2) | instid1(VALU_DEP_3)
	v_fma_f64 v[146:147], v[146:147], v[150:151], s[8:9]
	v_ldexp_f64 v[150:151], v[144:145], 1
	v_add_f64 v[144:145], v[144:145], -v[148:149]
	v_mul_f64 v[146:147], v[160:161], v[146:147]
	v_cvt_f64_i32_e32 v[160:161], v214
	s_delay_alu instid0(VALU_DEP_3) | instskip(NEXT) | instid1(VALU_DEP_3)
	v_add_f64 v[133:134], v[133:134], -v[144:145]
	v_add_f64 v[148:149], v[150:151], v[146:147]
	s_delay_alu instid0(VALU_DEP_3) | instskip(NEXT) | instid1(VALU_DEP_3)
	v_mul_f64 v[162:163], v[160:161], s[4:5]
	v_ldexp_f64 v[133:134], v[133:134], 1
	s_delay_alu instid0(VALU_DEP_3) | instskip(NEXT) | instid1(VALU_DEP_3)
	v_add_f64 v[144:145], v[148:149], -v[150:151]
	v_fma_f64 v[150:151], v[160:161], s[4:5], -v[162:163]
	s_delay_alu instid0(VALU_DEP_2) | instskip(NEXT) | instid1(VALU_DEP_2)
	v_add_f64 v[144:145], v[146:147], -v[144:145]
	v_fma_f64 v[146:147], v[160:161], s[6:7], v[150:151]
	s_delay_alu instid0(VALU_DEP_2) | instskip(NEXT) | instid1(VALU_DEP_2)
	v_add_f64 v[133:134], v[133:134], v[144:145]
	v_add_f64 v[144:145], v[162:163], v[146:147]
	s_delay_alu instid0(VALU_DEP_2) | instskip(NEXT) | instid1(VALU_DEP_2)
	v_add_f64 v[150:151], v[148:149], v[133:134]
	v_add_f64 v[162:163], v[144:145], -v[162:163]
	s_delay_alu instid0(VALU_DEP_2) | instskip(SKIP_1) | instid1(VALU_DEP_3)
	v_add_f64 v[160:161], v[144:145], v[150:151]
	v_add_f64 v[148:149], v[150:151], -v[148:149]
	v_add_f64 v[146:147], v[146:147], -v[162:163]
	s_delay_alu instid0(VALU_DEP_3) | instskip(NEXT) | instid1(VALU_DEP_3)
	v_add_f64 v[164:165], v[160:161], -v[144:145]
	v_add_f64 v[133:134], v[133:134], -v[148:149]
	s_delay_alu instid0(VALU_DEP_2) | instskip(SKIP_1) | instid1(VALU_DEP_3)
	v_add_f64 v[166:167], v[160:161], -v[164:165]
	v_add_f64 v[148:149], v[150:151], -v[164:165]
	v_add_f64 v[150:151], v[146:147], v[133:134]
	s_delay_alu instid0(VALU_DEP_3) | instskip(NEXT) | instid1(VALU_DEP_1)
	v_add_f64 v[144:145], v[144:145], -v[166:167]
	v_add_f64 v[144:145], v[148:149], v[144:145]
	s_delay_alu instid0(VALU_DEP_3) | instskip(NEXT) | instid1(VALU_DEP_2)
	v_add_f64 v[148:149], v[150:151], -v[146:147]
	v_add_f64 v[144:145], v[150:151], v[144:145]
	s_delay_alu instid0(VALU_DEP_2) | instskip(SKIP_1) | instid1(VALU_DEP_3)
	v_add_f64 v[150:151], v[150:151], -v[148:149]
	v_add_f64 v[133:134], v[133:134], -v[148:149]
	v_add_f64 v[162:163], v[160:161], v[144:145]
	s_delay_alu instid0(VALU_DEP_3) | instskip(NEXT) | instid1(VALU_DEP_2)
	v_add_f64 v[146:147], v[146:147], -v[150:151]
	v_add_f64 v[148:149], v[162:163], -v[160:161]
	s_delay_alu instid0(VALU_DEP_2) | instskip(NEXT) | instid1(VALU_DEP_2)
	v_add_f64 v[133:134], v[133:134], v[146:147]
	v_add_f64 v[144:145], v[144:145], -v[148:149]
	s_delay_alu instid0(VALU_DEP_1) | instskip(NEXT) | instid1(VALU_DEP_1)
	v_add_f64 v[133:134], v[133:134], v[144:145]
	v_add_f64 v[133:134], v[162:163], v[133:134]
	s_delay_alu instid0(VALU_DEP_1) | instskip(SKIP_1) | instid1(VALU_DEP_2)
	v_dual_cndmask_b32 v133, v133, v34 :: v_dual_cndmask_b32 v134, v134, v35
	v_cmp_ngt_f64_e32 vcc_lo, -1.0, v[34:35]
	v_cndmask_b32_e32 v134, 0x7ff80000, v134, vcc_lo
	v_cmp_nge_f64_e32 vcc_lo, -1.0, v[34:35]
	s_delay_alu instid0(VALU_DEP_4) | instskip(SKIP_1) | instid1(VALU_DEP_4)
	v_cndmask_b32_e32 v133, 0, v133, vcc_lo
	v_cmp_neq_f64_e32 vcc_lo, -1.0, v[34:35]
	v_cndmask_b32_e32 v134, 0xfff00000, v134, vcc_lo
	s_delay_alu instid0(VALU_DEP_1)
	v_add_f64 v[34:35], v[131:132], v[133:134]
.LBB36_259:
	s_or_b32 exec_lo, exec_lo, s10
	s_branch .LBB36_379
.LBB36_260:
	v_cmp_ne_u64_e32 vcc_lo, 0, v[48:49]
	s_and_b32 s2, s2, vcc_lo
	s_delay_alu instid0(SALU_CYCLE_1)
	s_and_saveexec_b32 s8, s2
	s_cbranch_execz .LBB36_264
; %bb.261:
	flat_load_b64 v[4:5], v[36:37]
	v_max_f64 v[6:7], v[0:1], v[0:1]
	v_cmp_u_f64_e64 s2, v[0:1], v[0:1]
	s_waitcnt vmcnt(0) lgkmcnt(0)
	v_max_f64 v[8:9], v[4:5], v[4:5]
	v_cmp_u_f64_e32 vcc_lo, v[4:5], v[4:5]
	s_delay_alu instid0(VALU_DEP_2) | instskip(SKIP_1) | instid1(VALU_DEP_2)
	v_min_f64 v[10:11], v[8:9], v[6:7]
	v_max_f64 v[6:7], v[8:9], v[6:7]
	v_dual_cndmask_b32 v8, v10, v4 :: v_dual_cndmask_b32 v9, v11, v5
	s_delay_alu instid0(VALU_DEP_2) | instskip(NEXT) | instid1(VALU_DEP_2)
	v_dual_cndmask_b32 v10, v7, v5 :: v_dual_cndmask_b32 v11, v6, v4
	v_cndmask_b32_e64 v6, v8, v0, s2
	s_delay_alu instid0(VALU_DEP_3) | instskip(NEXT) | instid1(VALU_DEP_3)
	v_cndmask_b32_e64 v7, v9, v1, s2
	v_cndmask_b32_e64 v1, v10, v1, s2
	s_delay_alu instid0(VALU_DEP_4) | instskip(NEXT) | instid1(VALU_DEP_3)
	v_cndmask_b32_e64 v0, v11, v0, s2
	v_cmp_class_f64_e64 s2, v[6:7], 0x1f8
	s_delay_alu instid0(VALU_DEP_2) | instskip(NEXT) | instid1(VALU_DEP_2)
	v_cmp_neq_f64_e32 vcc_lo, v[6:7], v[0:1]
	s_or_b32 s2, vcc_lo, s2
	s_delay_alu instid0(SALU_CYCLE_1)
	s_and_saveexec_b32 s9, s2
	s_cbranch_execz .LBB36_263
; %bb.262:
	v_add_f64 v[4:5], v[6:7], -v[0:1]
	s_mov_b32 s2, 0x652b82fe
	s_mov_b32 s3, 0x3ff71547
	;; [unrolled: 1-line block ×10, first 2 shown]
	s_delay_alu instid0(VALU_DEP_1) | instskip(SKIP_3) | instid1(VALU_DEP_2)
	v_mul_f64 v[6:7], v[4:5], s[2:3]
	s_mov_b32 s2, 0xfca7ab0c
	s_mov_b32 s3, 0x3e928af3
	v_cmp_nlt_f64_e32 vcc_lo, 0x40900000, v[4:5]
	v_rndne_f64_e32 v[6:7], v[6:7]
	s_delay_alu instid0(VALU_DEP_1) | instskip(SKIP_2) | instid1(VALU_DEP_2)
	v_fma_f64 v[8:9], v[6:7], s[4:5], v[4:5]
	v_cvt_i32_f64_e32 v12, v[6:7]
	s_mov_b32 s5, 0x3fe62e42
	v_fma_f64 v[8:9], v[6:7], s[6:7], v[8:9]
	s_mov_b32 s7, 0x3c7abc9e
	s_delay_alu instid0(VALU_DEP_1) | instskip(SKIP_4) | instid1(VALU_DEP_1)
	v_fma_f64 v[10:11], v[8:9], s[10:11], s[2:3]
	s_mov_b32 s2, 0x623fde64
	s_mov_b32 s3, 0x3ec71dee
	;; [unrolled: 1-line block ×4, first 2 shown]
	v_fma_f64 v[10:11], v[8:9], v[10:11], s[2:3]
	s_mov_b32 s2, 0x7c89e6b0
	s_mov_b32 s3, 0x3efa0199
	s_delay_alu instid0(VALU_DEP_1) | instid1(SALU_CYCLE_1)
	v_fma_f64 v[10:11], v[8:9], v[10:11], s[2:3]
	s_mov_b32 s2, 0x14761f6e
	s_mov_b32 s3, 0x3f2a01a0
	s_delay_alu instid0(VALU_DEP_1) | instid1(SALU_CYCLE_1)
	;; [unrolled: 4-line block ×7, first 2 shown]
	v_fma_f64 v[10:11], v[8:9], v[10:11], s[2:3]
	v_cmp_ngt_f64_e64 s2, 0xc090cc00, v[4:5]
	s_mov_b32 s3, 0x3fe55555
	s_delay_alu instid0(VALU_DEP_2) | instskip(NEXT) | instid1(VALU_DEP_1)
	v_fma_f64 v[10:11], v[8:9], v[10:11], 1.0
	v_fma_f64 v[6:7], v[8:9], v[10:11], 1.0
	s_delay_alu instid0(VALU_DEP_1) | instskip(NEXT) | instid1(VALU_DEP_1)
	v_ldexp_f64 v[6:7], v[6:7], v12
	v_cndmask_b32_e32 v7, 0x7ff00000, v7, vcc_lo
	s_and_b32 vcc_lo, s2, vcc_lo
	s_delay_alu instid0(VALU_DEP_1) | instskip(NEXT) | instid1(VALU_DEP_3)
	v_cndmask_b32_e64 v5, 0, v7, s2
	v_cndmask_b32_e32 v4, 0, v6, vcc_lo
	s_mov_b32 s2, 0x55555555
	s_delay_alu instid0(VALU_DEP_1) | instskip(NEXT) | instid1(VALU_DEP_1)
	v_add_f64 v[6:7], v[4:5], 1.0
	v_frexp_mant_f64_e32 v[8:9], v[6:7]
	v_frexp_exp_i32_f64_e32 v12, v[6:7]
	v_add_f64 v[10:11], v[6:7], -1.0
	s_delay_alu instid0(VALU_DEP_3) | instskip(SKIP_1) | instid1(VALU_DEP_2)
	v_cmp_gt_f64_e32 vcc_lo, s[2:3], v[8:9]
	s_mov_b32 s2, 0x55555780
	v_add_f64 v[8:9], v[10:11], -v[6:7]
	v_add_f64 v[10:11], v[4:5], -v[10:11]
	v_subrev_co_ci_u32_e32 v28, vcc_lo, 0, v12, vcc_lo
	s_delay_alu instid0(VALU_DEP_3) | instskip(SKIP_1) | instid1(VALU_DEP_3)
	v_add_f64 v[8:9], v[8:9], 1.0
	v_cmp_eq_f64_e32 vcc_lo, 0x7ff00000, v[4:5]
	v_sub_nc_u32_e32 v14, 0, v28
	s_delay_alu instid0(VALU_DEP_1) | instskip(NEXT) | instid1(VALU_DEP_4)
	v_ldexp_f64 v[6:7], v[6:7], v14
	v_add_f64 v[8:9], v[10:11], v[8:9]
	s_delay_alu instid0(VALU_DEP_2) | instskip(SKIP_1) | instid1(VALU_DEP_3)
	v_add_f64 v[12:13], v[6:7], 1.0
	v_add_f64 v[18:19], v[6:7], -1.0
	v_ldexp_f64 v[8:9], v[8:9], v14
	s_delay_alu instid0(VALU_DEP_3) | instskip(NEXT) | instid1(VALU_DEP_3)
	v_add_f64 v[10:11], v[12:13], -1.0
	v_add_f64 v[20:21], v[18:19], 1.0
	s_delay_alu instid0(VALU_DEP_2) | instskip(NEXT) | instid1(VALU_DEP_2)
	v_add_f64 v[10:11], v[6:7], -v[10:11]
	v_add_f64 v[6:7], v[6:7], -v[20:21]
	s_delay_alu instid0(VALU_DEP_2) | instskip(NEXT) | instid1(VALU_DEP_2)
	v_add_f64 v[10:11], v[8:9], v[10:11]
	v_add_f64 v[6:7], v[8:9], v[6:7]
	s_delay_alu instid0(VALU_DEP_2) | instskip(NEXT) | instid1(VALU_DEP_2)
	v_add_f64 v[14:15], v[12:13], v[10:11]
	v_add_f64 v[20:21], v[18:19], v[6:7]
	s_delay_alu instid0(VALU_DEP_2) | instskip(SKIP_1) | instid1(VALU_DEP_2)
	v_rcp_f64_e32 v[16:17], v[14:15]
	v_add_f64 v[12:13], v[14:15], -v[12:13]
	v_add_f64 v[18:19], v[20:21], -v[18:19]
	s_delay_alu instid0(VALU_DEP_2) | instskip(SKIP_3) | instid1(VALU_DEP_2)
	v_add_f64 v[10:11], v[10:11], -v[12:13]
	s_waitcnt_depctr 0xfff
	v_fma_f64 v[22:23], -v[14:15], v[16:17], 1.0
	v_add_f64 v[6:7], v[6:7], -v[18:19]
	v_fma_f64 v[16:17], v[22:23], v[16:17], v[16:17]
	s_delay_alu instid0(VALU_DEP_1) | instskip(NEXT) | instid1(VALU_DEP_1)
	v_fma_f64 v[8:9], -v[14:15], v[16:17], 1.0
	v_fma_f64 v[8:9], v[8:9], v[16:17], v[16:17]
	s_delay_alu instid0(VALU_DEP_1) | instskip(NEXT) | instid1(VALU_DEP_1)
	v_mul_f64 v[16:17], v[20:21], v[8:9]
	v_mul_f64 v[22:23], v[14:15], v[16:17]
	s_delay_alu instid0(VALU_DEP_1) | instskip(NEXT) | instid1(VALU_DEP_1)
	v_fma_f64 v[12:13], v[16:17], v[14:15], -v[22:23]
	v_fma_f64 v[12:13], v[16:17], v[10:11], v[12:13]
	s_delay_alu instid0(VALU_DEP_1) | instskip(NEXT) | instid1(VALU_DEP_1)
	v_add_f64 v[24:25], v[22:23], v[12:13]
	v_add_f64 v[26:27], v[20:21], -v[24:25]
	v_add_f64 v[18:19], v[24:25], -v[22:23]
	s_delay_alu instid0(VALU_DEP_2) | instskip(NEXT) | instid1(VALU_DEP_2)
	v_add_f64 v[20:21], v[20:21], -v[26:27]
	v_add_f64 v[12:13], v[18:19], -v[12:13]
	s_delay_alu instid0(VALU_DEP_2) | instskip(NEXT) | instid1(VALU_DEP_1)
	v_add_f64 v[20:21], v[20:21], -v[24:25]
	v_add_f64 v[6:7], v[6:7], v[20:21]
	s_delay_alu instid0(VALU_DEP_1) | instskip(NEXT) | instid1(VALU_DEP_1)
	v_add_f64 v[6:7], v[12:13], v[6:7]
	v_add_f64 v[12:13], v[26:27], v[6:7]
	s_delay_alu instid0(VALU_DEP_1) | instskip(SKIP_1) | instid1(VALU_DEP_2)
	v_mul_f64 v[18:19], v[8:9], v[12:13]
	v_add_f64 v[24:25], v[26:27], -v[12:13]
	v_mul_f64 v[20:21], v[14:15], v[18:19]
	s_delay_alu instid0(VALU_DEP_2) | instskip(NEXT) | instid1(VALU_DEP_2)
	v_add_f64 v[6:7], v[6:7], v[24:25]
	v_fma_f64 v[14:15], v[18:19], v[14:15], -v[20:21]
	s_delay_alu instid0(VALU_DEP_1) | instskip(NEXT) | instid1(VALU_DEP_1)
	v_fma_f64 v[10:11], v[18:19], v[10:11], v[14:15]
	v_add_f64 v[14:15], v[20:21], v[10:11]
	s_delay_alu instid0(VALU_DEP_1) | instskip(SKIP_1) | instid1(VALU_DEP_2)
	v_add_f64 v[22:23], v[12:13], -v[14:15]
	v_add_f64 v[20:21], v[14:15], -v[20:21]
	;; [unrolled: 1-line block ×3, first 2 shown]
	s_delay_alu instid0(VALU_DEP_2) | instskip(NEXT) | instid1(VALU_DEP_2)
	v_add_f64 v[10:11], v[20:21], -v[10:11]
	v_add_f64 v[12:13], v[12:13], -v[14:15]
	s_delay_alu instid0(VALU_DEP_1) | instskip(SKIP_1) | instid1(VALU_DEP_2)
	v_add_f64 v[6:7], v[6:7], v[12:13]
	v_add_f64 v[12:13], v[16:17], v[18:19]
	;; [unrolled: 1-line block ×3, first 2 shown]
	s_delay_alu instid0(VALU_DEP_2) | instskip(NEXT) | instid1(VALU_DEP_2)
	v_add_f64 v[10:11], v[12:13], -v[16:17]
	v_add_f64 v[6:7], v[22:23], v[6:7]
	s_delay_alu instid0(VALU_DEP_2) | instskip(NEXT) | instid1(VALU_DEP_2)
	v_add_f64 v[10:11], v[18:19], -v[10:11]
	v_mul_f64 v[6:7], v[8:9], v[6:7]
	s_delay_alu instid0(VALU_DEP_1) | instskip(NEXT) | instid1(VALU_DEP_1)
	v_add_f64 v[6:7], v[10:11], v[6:7]
	v_add_f64 v[8:9], v[12:13], v[6:7]
	s_delay_alu instid0(VALU_DEP_1) | instskip(NEXT) | instid1(VALU_DEP_1)
	v_mul_f64 v[10:11], v[8:9], v[8:9]
	v_fma_f64 v[14:15], v[10:11], s[12:13], s[10:11]
	s_mov_b32 s10, 0xd7f4df2e
	s_mov_b32 s11, 0x3fc7474d
	v_mul_f64 v[16:17], v[8:9], v[10:11]
	s_delay_alu instid0(VALU_DEP_2)
	v_fma_f64 v[14:15], v[10:11], v[14:15], s[10:11]
	s_mov_b32 s10, 0x16291751
	s_mov_b32 s11, 0x3fcc71c0
	s_delay_alu instid0(VALU_DEP_1) | instid1(SALU_CYCLE_1)
	v_fma_f64 v[14:15], v[10:11], v[14:15], s[10:11]
	s_mov_b32 s10, 0x9b27acf1
	s_mov_b32 s11, 0x3fd24924
	s_delay_alu instid0(VALU_DEP_1) | instid1(SALU_CYCLE_1)
	;; [unrolled: 4-line block ×3, first 2 shown]
	v_fma_f64 v[14:15], v[10:11], v[14:15], s[10:11]
	s_delay_alu instid0(VALU_DEP_1) | instskip(SKIP_2) | instid1(VALU_DEP_3)
	v_fma_f64 v[10:11], v[10:11], v[14:15], s[2:3]
	v_ldexp_f64 v[14:15], v[8:9], 1
	v_add_f64 v[8:9], v[8:9], -v[12:13]
	v_mul_f64 v[10:11], v[16:17], v[10:11]
	v_cvt_f64_i32_e32 v[16:17], v28
	s_delay_alu instid0(VALU_DEP_3) | instskip(NEXT) | instid1(VALU_DEP_3)
	v_add_f64 v[6:7], v[6:7], -v[8:9]
	v_add_f64 v[12:13], v[14:15], v[10:11]
	s_delay_alu instid0(VALU_DEP_3) | instskip(NEXT) | instid1(VALU_DEP_3)
	v_mul_f64 v[18:19], v[16:17], s[4:5]
	v_ldexp_f64 v[6:7], v[6:7], 1
	s_delay_alu instid0(VALU_DEP_3) | instskip(NEXT) | instid1(VALU_DEP_3)
	v_add_f64 v[8:9], v[12:13], -v[14:15]
	v_fma_f64 v[14:15], v[16:17], s[4:5], -v[18:19]
	s_delay_alu instid0(VALU_DEP_2) | instskip(NEXT) | instid1(VALU_DEP_2)
	v_add_f64 v[8:9], v[10:11], -v[8:9]
	v_fma_f64 v[10:11], v[16:17], s[6:7], v[14:15]
	s_delay_alu instid0(VALU_DEP_2) | instskip(NEXT) | instid1(VALU_DEP_2)
	v_add_f64 v[6:7], v[6:7], v[8:9]
	v_add_f64 v[8:9], v[18:19], v[10:11]
	s_delay_alu instid0(VALU_DEP_2) | instskip(NEXT) | instid1(VALU_DEP_2)
	v_add_f64 v[14:15], v[12:13], v[6:7]
	v_add_f64 v[18:19], v[8:9], -v[18:19]
	s_delay_alu instid0(VALU_DEP_2) | instskip(SKIP_1) | instid1(VALU_DEP_3)
	v_add_f64 v[16:17], v[8:9], v[14:15]
	v_add_f64 v[12:13], v[14:15], -v[12:13]
	v_add_f64 v[10:11], v[10:11], -v[18:19]
	s_delay_alu instid0(VALU_DEP_3) | instskip(NEXT) | instid1(VALU_DEP_3)
	v_add_f64 v[20:21], v[16:17], -v[8:9]
	v_add_f64 v[6:7], v[6:7], -v[12:13]
	s_delay_alu instid0(VALU_DEP_2) | instskip(SKIP_1) | instid1(VALU_DEP_3)
	v_add_f64 v[22:23], v[16:17], -v[20:21]
	v_add_f64 v[12:13], v[14:15], -v[20:21]
	v_add_f64 v[14:15], v[10:11], v[6:7]
	s_delay_alu instid0(VALU_DEP_3) | instskip(NEXT) | instid1(VALU_DEP_1)
	v_add_f64 v[8:9], v[8:9], -v[22:23]
	v_add_f64 v[8:9], v[12:13], v[8:9]
	s_delay_alu instid0(VALU_DEP_3) | instskip(NEXT) | instid1(VALU_DEP_2)
	v_add_f64 v[12:13], v[14:15], -v[10:11]
	v_add_f64 v[8:9], v[14:15], v[8:9]
	s_delay_alu instid0(VALU_DEP_2) | instskip(SKIP_1) | instid1(VALU_DEP_3)
	v_add_f64 v[14:15], v[14:15], -v[12:13]
	v_add_f64 v[6:7], v[6:7], -v[12:13]
	v_add_f64 v[18:19], v[16:17], v[8:9]
	s_delay_alu instid0(VALU_DEP_3) | instskip(NEXT) | instid1(VALU_DEP_2)
	v_add_f64 v[10:11], v[10:11], -v[14:15]
	v_add_f64 v[12:13], v[18:19], -v[16:17]
	s_delay_alu instid0(VALU_DEP_2) | instskip(NEXT) | instid1(VALU_DEP_2)
	v_add_f64 v[6:7], v[6:7], v[10:11]
	v_add_f64 v[8:9], v[8:9], -v[12:13]
	s_delay_alu instid0(VALU_DEP_1) | instskip(NEXT) | instid1(VALU_DEP_1)
	v_add_f64 v[6:7], v[6:7], v[8:9]
	v_add_f64 v[6:7], v[18:19], v[6:7]
	s_delay_alu instid0(VALU_DEP_1) | instskip(SKIP_1) | instid1(VALU_DEP_2)
	v_dual_cndmask_b32 v7, v7, v5 :: v_dual_cndmask_b32 v6, v6, v4
	v_cmp_ngt_f64_e32 vcc_lo, -1.0, v[4:5]
	v_cndmask_b32_e32 v7, 0x7ff80000, v7, vcc_lo
	v_cmp_nge_f64_e32 vcc_lo, -1.0, v[4:5]
	s_delay_alu instid0(VALU_DEP_4) | instskip(SKIP_1) | instid1(VALU_DEP_4)
	v_cndmask_b32_e32 v6, 0, v6, vcc_lo
	v_cmp_neq_f64_e32 vcc_lo, -1.0, v[4:5]
	v_cndmask_b32_e32 v7, 0xfff00000, v7, vcc_lo
	s_delay_alu instid0(VALU_DEP_1)
	v_add_f64 v[4:5], v[0:1], v[6:7]
.LBB36_263:
	s_or_b32 exec_lo, exec_lo, s9
	s_delay_alu instid0(VALU_DEP_1)
	v_dual_mov_b32 v0, v4 :: v_dual_mov_b32 v1, v5
.LBB36_264:
	s_or_b32 exec_lo, exec_lo, s8
	s_delay_alu instid0(VALU_DEP_1) | instskip(SKIP_3) | instid1(VALU_DEP_4)
	v_max_f64 v[32:33], v[0:1], v[0:1]
	v_cmp_u_f64_e64 s16, v[0:1], v[0:1]
	v_cmp_u_f64_e32 vcc_lo, v[2:3], v[2:3]
	v_dual_mov_b32 v49, v1 :: v_dual_mov_b32 v48, v0
	v_min_f64 v[34:35], v[32:33], v[54:55]
	v_max_f64 v[36:37], v[32:33], v[54:55]
	s_delay_alu instid0(VALU_DEP_2) | instskip(NEXT) | instid1(VALU_DEP_3)
	v_cndmask_b32_e64 v4, v34, v0, s16
	v_cndmask_b32_e64 v5, v35, v1, s16
	s_delay_alu instid0(VALU_DEP_3) | instskip(NEXT) | instid1(VALU_DEP_4)
	v_cndmask_b32_e64 v8, v37, v1, s16
	v_cndmask_b32_e64 v9, v36, v0, s16
	s_delay_alu instid0(VALU_DEP_3) | instskip(NEXT) | instid1(VALU_DEP_2)
	v_dual_cndmask_b32 v6, v4, v2 :: v_dual_cndmask_b32 v7, v5, v3
	v_dual_cndmask_b32 v5, v8, v3 :: v_dual_cndmask_b32 v4, v9, v2
	s_delay_alu instid0(VALU_DEP_2) | instskip(NEXT) | instid1(VALU_DEP_2)
	v_cmp_class_f64_e64 s3, v[6:7], 0x1f8
	v_cmp_neq_f64_e64 s2, v[6:7], v[4:5]
	s_delay_alu instid0(VALU_DEP_1) | instskip(NEXT) | instid1(SALU_CYCLE_1)
	s_or_b32 s2, s2, s3
	s_and_saveexec_b32 s8, s2
	s_cbranch_execz .LBB36_266
; %bb.265:
	v_add_f64 v[6:7], v[6:7], -v[4:5]
	s_mov_b32 s2, 0x652b82fe
	s_mov_b32 s3, 0x3ff71547
	;; [unrolled: 1-line block ×10, first 2 shown]
	s_delay_alu instid0(VALU_DEP_1) | instskip(SKIP_2) | instid1(VALU_DEP_1)
	v_mul_f64 v[8:9], v[6:7], s[2:3]
	s_mov_b32 s2, 0xfca7ab0c
	s_mov_b32 s3, 0x3e928af3
	v_rndne_f64_e32 v[8:9], v[8:9]
	s_delay_alu instid0(VALU_DEP_1) | instskip(SKIP_2) | instid1(VALU_DEP_2)
	v_fma_f64 v[10:11], v[8:9], s[4:5], v[6:7]
	v_cvt_i32_f64_e32 v14, v[8:9]
	s_mov_b32 s5, 0x3fe62e42
	v_fma_f64 v[10:11], v[8:9], s[6:7], v[10:11]
	s_mov_b32 s7, 0x3c7abc9e
	s_delay_alu instid0(VALU_DEP_1) | instskip(SKIP_4) | instid1(VALU_DEP_1)
	v_fma_f64 v[12:13], v[10:11], s[10:11], s[2:3]
	s_mov_b32 s2, 0x623fde64
	s_mov_b32 s3, 0x3ec71dee
	;; [unrolled: 1-line block ×4, first 2 shown]
	v_fma_f64 v[12:13], v[10:11], v[12:13], s[2:3]
	s_mov_b32 s2, 0x7c89e6b0
	s_mov_b32 s3, 0x3efa0199
	s_delay_alu instid0(VALU_DEP_1) | instid1(SALU_CYCLE_1)
	v_fma_f64 v[12:13], v[10:11], v[12:13], s[2:3]
	s_mov_b32 s2, 0x14761f6e
	s_mov_b32 s3, 0x3f2a01a0
	s_delay_alu instid0(VALU_DEP_1) | instid1(SALU_CYCLE_1)
	;; [unrolled: 4-line block ×7, first 2 shown]
	v_fma_f64 v[12:13], v[10:11], v[12:13], s[2:3]
	v_cmp_nlt_f64_e64 s2, 0x40900000, v[6:7]
	v_cmp_ngt_f64_e64 s3, 0xc090cc00, v[6:7]
	s_delay_alu instid0(VALU_DEP_3) | instskip(NEXT) | instid1(VALU_DEP_1)
	v_fma_f64 v[12:13], v[10:11], v[12:13], 1.0
	v_fma_f64 v[8:9], v[10:11], v[12:13], 1.0
	s_delay_alu instid0(VALU_DEP_1) | instskip(NEXT) | instid1(VALU_DEP_1)
	v_ldexp_f64 v[8:9], v[8:9], v14
	v_cndmask_b32_e64 v9, 0x7ff00000, v9, s2
	s_and_b32 s2, s3, s2
	s_delay_alu instid0(VALU_DEP_2) | instid1(SALU_CYCLE_1)
	v_cndmask_b32_e64 v6, 0, v8, s2
	s_mov_b32 s2, 0x55555555
	s_delay_alu instid0(VALU_DEP_2) | instskip(SKIP_1) | instid1(VALU_DEP_1)
	v_cndmask_b32_e64 v7, 0, v9, s3
	s_mov_b32 s3, 0x3fe55555
	v_add_f64 v[8:9], v[6:7], 1.0
	s_delay_alu instid0(VALU_DEP_1) | instskip(SKIP_2) | instid1(VALU_DEP_3)
	v_frexp_mant_f64_e32 v[10:11], v[8:9]
	v_frexp_exp_i32_f64_e32 v14, v[8:9]
	v_add_f64 v[12:13], v[8:9], -1.0
	v_cmp_gt_f64_e64 s2, s[2:3], v[10:11]
	s_delay_alu instid0(VALU_DEP_2) | instskip(SKIP_1) | instid1(VALU_DEP_3)
	v_add_f64 v[10:11], v[12:13], -v[8:9]
	v_add_f64 v[12:13], v[6:7], -v[12:13]
	v_subrev_co_ci_u32_e64 v30, s2, 0, v14, s2
	s_delay_alu instid0(VALU_DEP_3) | instskip(SKIP_1) | instid1(VALU_DEP_2)
	v_add_f64 v[10:11], v[10:11], 1.0
	s_mov_b32 s2, 0x55555780
	v_sub_nc_u32_e32 v16, 0, v30
	s_delay_alu instid0(VALU_DEP_1) | instskip(NEXT) | instid1(VALU_DEP_3)
	v_ldexp_f64 v[8:9], v[8:9], v16
	v_add_f64 v[10:11], v[12:13], v[10:11]
	s_delay_alu instid0(VALU_DEP_2) | instskip(SKIP_1) | instid1(VALU_DEP_3)
	v_add_f64 v[14:15], v[8:9], 1.0
	v_add_f64 v[20:21], v[8:9], -1.0
	v_ldexp_f64 v[10:11], v[10:11], v16
	s_delay_alu instid0(VALU_DEP_3) | instskip(NEXT) | instid1(VALU_DEP_3)
	v_add_f64 v[12:13], v[14:15], -1.0
	v_add_f64 v[22:23], v[20:21], 1.0
	s_delay_alu instid0(VALU_DEP_2) | instskip(NEXT) | instid1(VALU_DEP_2)
	v_add_f64 v[12:13], v[8:9], -v[12:13]
	v_add_f64 v[8:9], v[8:9], -v[22:23]
	s_delay_alu instid0(VALU_DEP_2) | instskip(NEXT) | instid1(VALU_DEP_2)
	v_add_f64 v[12:13], v[10:11], v[12:13]
	v_add_f64 v[8:9], v[10:11], v[8:9]
	s_delay_alu instid0(VALU_DEP_2) | instskip(NEXT) | instid1(VALU_DEP_2)
	v_add_f64 v[16:17], v[14:15], v[12:13]
	v_add_f64 v[22:23], v[20:21], v[8:9]
	s_delay_alu instid0(VALU_DEP_2) | instskip(SKIP_1) | instid1(VALU_DEP_2)
	v_rcp_f64_e32 v[18:19], v[16:17]
	v_add_f64 v[14:15], v[16:17], -v[14:15]
	v_add_f64 v[20:21], v[22:23], -v[20:21]
	s_delay_alu instid0(VALU_DEP_2) | instskip(SKIP_3) | instid1(VALU_DEP_2)
	v_add_f64 v[12:13], v[12:13], -v[14:15]
	s_waitcnt_depctr 0xfff
	v_fma_f64 v[24:25], -v[16:17], v[18:19], 1.0
	v_add_f64 v[8:9], v[8:9], -v[20:21]
	v_fma_f64 v[18:19], v[24:25], v[18:19], v[18:19]
	s_delay_alu instid0(VALU_DEP_1) | instskip(NEXT) | instid1(VALU_DEP_1)
	v_fma_f64 v[10:11], -v[16:17], v[18:19], 1.0
	v_fma_f64 v[10:11], v[10:11], v[18:19], v[18:19]
	s_delay_alu instid0(VALU_DEP_1) | instskip(NEXT) | instid1(VALU_DEP_1)
	v_mul_f64 v[18:19], v[22:23], v[10:11]
	v_mul_f64 v[24:25], v[16:17], v[18:19]
	s_delay_alu instid0(VALU_DEP_1) | instskip(NEXT) | instid1(VALU_DEP_1)
	v_fma_f64 v[14:15], v[18:19], v[16:17], -v[24:25]
	v_fma_f64 v[14:15], v[18:19], v[12:13], v[14:15]
	s_delay_alu instid0(VALU_DEP_1) | instskip(NEXT) | instid1(VALU_DEP_1)
	v_add_f64 v[26:27], v[24:25], v[14:15]
	v_add_f64 v[28:29], v[22:23], -v[26:27]
	v_add_f64 v[20:21], v[26:27], -v[24:25]
	s_delay_alu instid0(VALU_DEP_2) | instskip(NEXT) | instid1(VALU_DEP_2)
	v_add_f64 v[22:23], v[22:23], -v[28:29]
	v_add_f64 v[14:15], v[20:21], -v[14:15]
	s_delay_alu instid0(VALU_DEP_2) | instskip(NEXT) | instid1(VALU_DEP_1)
	v_add_f64 v[22:23], v[22:23], -v[26:27]
	v_add_f64 v[8:9], v[8:9], v[22:23]
	s_delay_alu instid0(VALU_DEP_1) | instskip(NEXT) | instid1(VALU_DEP_1)
	v_add_f64 v[8:9], v[14:15], v[8:9]
	v_add_f64 v[14:15], v[28:29], v[8:9]
	s_delay_alu instid0(VALU_DEP_1) | instskip(SKIP_1) | instid1(VALU_DEP_2)
	v_mul_f64 v[20:21], v[10:11], v[14:15]
	v_add_f64 v[26:27], v[28:29], -v[14:15]
	v_mul_f64 v[22:23], v[16:17], v[20:21]
	s_delay_alu instid0(VALU_DEP_2) | instskip(NEXT) | instid1(VALU_DEP_2)
	v_add_f64 v[8:9], v[8:9], v[26:27]
	v_fma_f64 v[16:17], v[20:21], v[16:17], -v[22:23]
	s_delay_alu instid0(VALU_DEP_1) | instskip(NEXT) | instid1(VALU_DEP_1)
	v_fma_f64 v[12:13], v[20:21], v[12:13], v[16:17]
	v_add_f64 v[16:17], v[22:23], v[12:13]
	s_delay_alu instid0(VALU_DEP_1) | instskip(SKIP_1) | instid1(VALU_DEP_2)
	v_add_f64 v[24:25], v[14:15], -v[16:17]
	v_add_f64 v[22:23], v[16:17], -v[22:23]
	;; [unrolled: 1-line block ×3, first 2 shown]
	s_delay_alu instid0(VALU_DEP_2) | instskip(NEXT) | instid1(VALU_DEP_2)
	v_add_f64 v[12:13], v[22:23], -v[12:13]
	v_add_f64 v[14:15], v[14:15], -v[16:17]
	s_delay_alu instid0(VALU_DEP_1) | instskip(SKIP_1) | instid1(VALU_DEP_2)
	v_add_f64 v[8:9], v[8:9], v[14:15]
	v_add_f64 v[14:15], v[18:19], v[20:21]
	;; [unrolled: 1-line block ×3, first 2 shown]
	s_delay_alu instid0(VALU_DEP_2) | instskip(NEXT) | instid1(VALU_DEP_2)
	v_add_f64 v[12:13], v[14:15], -v[18:19]
	v_add_f64 v[8:9], v[24:25], v[8:9]
	s_delay_alu instid0(VALU_DEP_2) | instskip(NEXT) | instid1(VALU_DEP_2)
	v_add_f64 v[12:13], v[20:21], -v[12:13]
	v_mul_f64 v[8:9], v[10:11], v[8:9]
	s_delay_alu instid0(VALU_DEP_1) | instskip(NEXT) | instid1(VALU_DEP_1)
	v_add_f64 v[8:9], v[12:13], v[8:9]
	v_add_f64 v[10:11], v[14:15], v[8:9]
	s_delay_alu instid0(VALU_DEP_1) | instskip(NEXT) | instid1(VALU_DEP_1)
	v_mul_f64 v[12:13], v[10:11], v[10:11]
	v_fma_f64 v[16:17], v[12:13], s[12:13], s[10:11]
	s_mov_b32 s10, 0xd7f4df2e
	s_mov_b32 s11, 0x3fc7474d
	v_mul_f64 v[18:19], v[10:11], v[12:13]
	s_delay_alu instid0(VALU_DEP_2)
	v_fma_f64 v[16:17], v[12:13], v[16:17], s[10:11]
	s_mov_b32 s10, 0x16291751
	s_mov_b32 s11, 0x3fcc71c0
	s_delay_alu instid0(VALU_DEP_1) | instid1(SALU_CYCLE_1)
	v_fma_f64 v[16:17], v[12:13], v[16:17], s[10:11]
	s_mov_b32 s10, 0x9b27acf1
	s_mov_b32 s11, 0x3fd24924
	s_delay_alu instid0(VALU_DEP_1) | instid1(SALU_CYCLE_1)
	;; [unrolled: 4-line block ×3, first 2 shown]
	v_fma_f64 v[16:17], v[12:13], v[16:17], s[10:11]
	s_delay_alu instid0(VALU_DEP_1) | instskip(SKIP_3) | instid1(VALU_DEP_4)
	v_fma_f64 v[12:13], v[12:13], v[16:17], s[2:3]
	v_ldexp_f64 v[16:17], v[10:11], 1
	v_add_f64 v[10:11], v[10:11], -v[14:15]
	v_cmp_eq_f64_e64 s2, 0x7ff00000, v[6:7]
	v_mul_f64 v[12:13], v[18:19], v[12:13]
	v_cvt_f64_i32_e32 v[18:19], v30
	s_delay_alu instid0(VALU_DEP_4) | instskip(NEXT) | instid1(VALU_DEP_3)
	v_add_f64 v[8:9], v[8:9], -v[10:11]
	v_add_f64 v[14:15], v[16:17], v[12:13]
	s_delay_alu instid0(VALU_DEP_3) | instskip(NEXT) | instid1(VALU_DEP_3)
	v_mul_f64 v[20:21], v[18:19], s[4:5]
	v_ldexp_f64 v[8:9], v[8:9], 1
	s_delay_alu instid0(VALU_DEP_3) | instskip(NEXT) | instid1(VALU_DEP_3)
	v_add_f64 v[10:11], v[14:15], -v[16:17]
	v_fma_f64 v[16:17], v[18:19], s[4:5], -v[20:21]
	s_delay_alu instid0(VALU_DEP_2) | instskip(NEXT) | instid1(VALU_DEP_2)
	v_add_f64 v[10:11], v[12:13], -v[10:11]
	v_fma_f64 v[12:13], v[18:19], s[6:7], v[16:17]
	s_delay_alu instid0(VALU_DEP_2) | instskip(NEXT) | instid1(VALU_DEP_2)
	v_add_f64 v[8:9], v[8:9], v[10:11]
	v_add_f64 v[10:11], v[20:21], v[12:13]
	s_delay_alu instid0(VALU_DEP_2) | instskip(NEXT) | instid1(VALU_DEP_2)
	v_add_f64 v[16:17], v[14:15], v[8:9]
	v_add_f64 v[20:21], v[10:11], -v[20:21]
	s_delay_alu instid0(VALU_DEP_2) | instskip(SKIP_1) | instid1(VALU_DEP_3)
	v_add_f64 v[18:19], v[10:11], v[16:17]
	v_add_f64 v[14:15], v[16:17], -v[14:15]
	v_add_f64 v[12:13], v[12:13], -v[20:21]
	s_delay_alu instid0(VALU_DEP_3) | instskip(NEXT) | instid1(VALU_DEP_3)
	v_add_f64 v[22:23], v[18:19], -v[10:11]
	v_add_f64 v[8:9], v[8:9], -v[14:15]
	s_delay_alu instid0(VALU_DEP_2) | instskip(SKIP_1) | instid1(VALU_DEP_3)
	v_add_f64 v[24:25], v[18:19], -v[22:23]
	v_add_f64 v[14:15], v[16:17], -v[22:23]
	v_add_f64 v[16:17], v[12:13], v[8:9]
	s_delay_alu instid0(VALU_DEP_3) | instskip(NEXT) | instid1(VALU_DEP_1)
	v_add_f64 v[10:11], v[10:11], -v[24:25]
	v_add_f64 v[10:11], v[14:15], v[10:11]
	s_delay_alu instid0(VALU_DEP_3) | instskip(NEXT) | instid1(VALU_DEP_2)
	v_add_f64 v[14:15], v[16:17], -v[12:13]
	v_add_f64 v[10:11], v[16:17], v[10:11]
	s_delay_alu instid0(VALU_DEP_2) | instskip(SKIP_1) | instid1(VALU_DEP_3)
	v_add_f64 v[16:17], v[16:17], -v[14:15]
	v_add_f64 v[8:9], v[8:9], -v[14:15]
	v_add_f64 v[20:21], v[18:19], v[10:11]
	s_delay_alu instid0(VALU_DEP_3) | instskip(NEXT) | instid1(VALU_DEP_2)
	v_add_f64 v[12:13], v[12:13], -v[16:17]
	v_add_f64 v[14:15], v[20:21], -v[18:19]
	s_delay_alu instid0(VALU_DEP_2) | instskip(NEXT) | instid1(VALU_DEP_2)
	v_add_f64 v[8:9], v[8:9], v[12:13]
	v_add_f64 v[10:11], v[10:11], -v[14:15]
	s_delay_alu instid0(VALU_DEP_1) | instskip(NEXT) | instid1(VALU_DEP_1)
	v_add_f64 v[8:9], v[8:9], v[10:11]
	v_add_f64 v[8:9], v[20:21], v[8:9]
	s_delay_alu instid0(VALU_DEP_1) | instskip(NEXT) | instid1(VALU_DEP_2)
	v_cndmask_b32_e64 v8, v8, v6, s2
	v_cndmask_b32_e64 v9, v9, v7, s2
	v_cmp_ngt_f64_e64 s2, -1.0, v[6:7]
	s_delay_alu instid0(VALU_DEP_1) | instskip(SKIP_1) | instid1(VALU_DEP_1)
	v_cndmask_b32_e64 v9, 0x7ff80000, v9, s2
	v_cmp_nge_f64_e64 s2, -1.0, v[6:7]
	v_cndmask_b32_e64 v8, 0, v8, s2
	v_cmp_neq_f64_e64 s2, -1.0, v[6:7]
	s_delay_alu instid0(VALU_DEP_1) | instskip(NEXT) | instid1(VALU_DEP_1)
	v_cndmask_b32_e64 v9, 0xfff00000, v9, s2
	v_add_f64 v[48:49], v[4:5], v[8:9]
.LBB36_266:
	s_or_b32 exec_lo, exec_lo, s8
	v_max_f64 v[4:5], v[112:113], v[112:113]
	s_delay_alu instid0(VALU_DEP_2) | instskip(SKIP_2) | instid1(VALU_DEP_3)
	v_max_f64 v[6:7], v[48:49], v[48:49]
	v_cmp_u_f64_e64 s3, v[48:49], v[48:49]
	v_cmp_u_f64_e64 s2, v[112:113], v[112:113]
	v_min_f64 v[8:9], v[6:7], v[4:5]
	v_max_f64 v[6:7], v[6:7], v[4:5]
	s_delay_alu instid0(VALU_DEP_2) | instskip(NEXT) | instid1(VALU_DEP_3)
	v_cndmask_b32_e64 v8, v8, v48, s3
	v_cndmask_b32_e64 v9, v9, v49, s3
	s_delay_alu instid0(VALU_DEP_3) | instskip(NEXT) | instid1(VALU_DEP_4)
	v_cndmask_b32_e64 v7, v7, v49, s3
	v_cndmask_b32_e64 v6, v6, v48, s3
	s_delay_alu instid0(VALU_DEP_4) | instskip(NEXT) | instid1(VALU_DEP_4)
	v_cndmask_b32_e64 v8, v8, v112, s2
	v_cndmask_b32_e64 v9, v9, v113, s2
	s_delay_alu instid0(VALU_DEP_4) | instskip(NEXT) | instid1(VALU_DEP_4)
	v_cndmask_b32_e64 v7, v7, v113, s2
	v_cndmask_b32_e64 v6, v6, v112, s2
	s_delay_alu instid0(VALU_DEP_3) | instskip(NEXT) | instid1(VALU_DEP_2)
	v_cmp_class_f64_e64 s4, v[8:9], 0x1f8
	v_cmp_neq_f64_e64 s3, v[8:9], v[6:7]
	s_delay_alu instid0(VALU_DEP_1) | instskip(NEXT) | instid1(SALU_CYCLE_1)
	s_or_b32 s3, s3, s4
	s_and_saveexec_b32 s10, s3
	s_cbranch_execz .LBB36_268
; %bb.267:
	v_add_f64 v[8:9], v[8:9], -v[6:7]
	s_mov_b32 s4, 0x652b82fe
	s_mov_b32 s5, 0x3ff71547
	;; [unrolled: 1-line block ×10, first 2 shown]
	s_delay_alu instid0(VALU_DEP_1) | instskip(SKIP_3) | instid1(VALU_DEP_2)
	v_mul_f64 v[10:11], v[8:9], s[4:5]
	s_mov_b32 s4, 0xfca7ab0c
	s_mov_b32 s5, 0x3e928af3
	v_cmp_nlt_f64_e64 s3, 0x40900000, v[8:9]
	v_rndne_f64_e32 v[10:11], v[10:11]
	s_delay_alu instid0(VALU_DEP_1) | instskip(SKIP_2) | instid1(VALU_DEP_2)
	v_fma_f64 v[12:13], v[10:11], s[6:7], v[8:9]
	v_cvt_i32_f64_e32 v16, v[10:11]
	s_mov_b32 s7, 0x3fe62e42
	v_fma_f64 v[12:13], v[10:11], s[8:9], v[12:13]
	s_mov_b32 s9, 0x3c7abc9e
	s_delay_alu instid0(VALU_DEP_1) | instskip(SKIP_4) | instid1(VALU_DEP_1)
	v_fma_f64 v[14:15], v[12:13], s[12:13], s[4:5]
	s_mov_b32 s4, 0x623fde64
	s_mov_b32 s5, 0x3ec71dee
	;; [unrolled: 1-line block ×4, first 2 shown]
	v_fma_f64 v[14:15], v[12:13], v[14:15], s[4:5]
	s_mov_b32 s4, 0x7c89e6b0
	s_mov_b32 s5, 0x3efa0199
	s_delay_alu instid0(VALU_DEP_1) | instid1(SALU_CYCLE_1)
	v_fma_f64 v[14:15], v[12:13], v[14:15], s[4:5]
	s_mov_b32 s4, 0x14761f6e
	s_mov_b32 s5, 0x3f2a01a0
	s_delay_alu instid0(VALU_DEP_1) | instid1(SALU_CYCLE_1)
	;; [unrolled: 4-line block ×7, first 2 shown]
	v_fma_f64 v[14:15], v[12:13], v[14:15], s[4:5]
	v_cmp_ngt_f64_e64 s4, 0xc090cc00, v[8:9]
	s_mov_b32 s5, 0x3fe55555
	s_delay_alu instid0(VALU_DEP_2) | instskip(NEXT) | instid1(VALU_DEP_1)
	v_fma_f64 v[14:15], v[12:13], v[14:15], 1.0
	v_fma_f64 v[10:11], v[12:13], v[14:15], 1.0
	s_delay_alu instid0(VALU_DEP_1) | instskip(NEXT) | instid1(VALU_DEP_1)
	v_ldexp_f64 v[10:11], v[10:11], v16
	v_cndmask_b32_e64 v11, 0x7ff00000, v11, s3
	s_and_b32 s3, s4, s3
	s_delay_alu instid0(VALU_DEP_2) | instid1(SALU_CYCLE_1)
	v_cndmask_b32_e64 v8, 0, v10, s3
	s_delay_alu instid0(VALU_DEP_2) | instskip(SKIP_1) | instid1(VALU_DEP_1)
	v_cndmask_b32_e64 v9, 0, v11, s4
	s_mov_b32 s4, 0x55555555
	v_add_f64 v[10:11], v[8:9], 1.0
	s_delay_alu instid0(VALU_DEP_1) | instskip(SKIP_2) | instid1(VALU_DEP_3)
	v_frexp_mant_f64_e32 v[12:13], v[10:11]
	v_frexp_exp_i32_f64_e32 v16, v[10:11]
	v_add_f64 v[14:15], v[10:11], -1.0
	v_cmp_gt_f64_e64 s3, s[4:5], v[12:13]
	s_mov_b32 s4, 0x55555780
	s_delay_alu instid0(VALU_DEP_2) | instskip(SKIP_1) | instid1(VALU_DEP_3)
	v_add_f64 v[12:13], v[14:15], -v[10:11]
	v_add_f64 v[14:15], v[8:9], -v[14:15]
	v_subrev_co_ci_u32_e64 v48, s3, 0, v16, s3
	s_delay_alu instid0(VALU_DEP_3) | instskip(SKIP_1) | instid1(VALU_DEP_3)
	v_add_f64 v[12:13], v[12:13], 1.0
	v_cmp_eq_f64_e64 s3, 0x7ff00000, v[8:9]
	v_sub_nc_u32_e32 v18, 0, v48
	s_delay_alu instid0(VALU_DEP_1) | instskip(NEXT) | instid1(VALU_DEP_4)
	v_ldexp_f64 v[10:11], v[10:11], v18
	v_add_f64 v[12:13], v[14:15], v[12:13]
	s_delay_alu instid0(VALU_DEP_2) | instskip(SKIP_1) | instid1(VALU_DEP_3)
	v_add_f64 v[16:17], v[10:11], 1.0
	v_add_f64 v[22:23], v[10:11], -1.0
	v_ldexp_f64 v[12:13], v[12:13], v18
	s_delay_alu instid0(VALU_DEP_3) | instskip(NEXT) | instid1(VALU_DEP_3)
	v_add_f64 v[14:15], v[16:17], -1.0
	v_add_f64 v[24:25], v[22:23], 1.0
	s_delay_alu instid0(VALU_DEP_2) | instskip(NEXT) | instid1(VALU_DEP_2)
	v_add_f64 v[14:15], v[10:11], -v[14:15]
	v_add_f64 v[10:11], v[10:11], -v[24:25]
	s_delay_alu instid0(VALU_DEP_2) | instskip(NEXT) | instid1(VALU_DEP_2)
	v_add_f64 v[14:15], v[12:13], v[14:15]
	v_add_f64 v[10:11], v[12:13], v[10:11]
	s_delay_alu instid0(VALU_DEP_2) | instskip(NEXT) | instid1(VALU_DEP_2)
	v_add_f64 v[18:19], v[16:17], v[14:15]
	v_add_f64 v[24:25], v[22:23], v[10:11]
	s_delay_alu instid0(VALU_DEP_2) | instskip(SKIP_1) | instid1(VALU_DEP_2)
	v_rcp_f64_e32 v[20:21], v[18:19]
	v_add_f64 v[16:17], v[18:19], -v[16:17]
	v_add_f64 v[22:23], v[24:25], -v[22:23]
	s_delay_alu instid0(VALU_DEP_2) | instskip(SKIP_3) | instid1(VALU_DEP_2)
	v_add_f64 v[14:15], v[14:15], -v[16:17]
	s_waitcnt_depctr 0xfff
	v_fma_f64 v[26:27], -v[18:19], v[20:21], 1.0
	v_add_f64 v[10:11], v[10:11], -v[22:23]
	v_fma_f64 v[20:21], v[26:27], v[20:21], v[20:21]
	s_delay_alu instid0(VALU_DEP_1) | instskip(NEXT) | instid1(VALU_DEP_1)
	v_fma_f64 v[12:13], -v[18:19], v[20:21], 1.0
	v_fma_f64 v[12:13], v[12:13], v[20:21], v[20:21]
	s_delay_alu instid0(VALU_DEP_1) | instskip(NEXT) | instid1(VALU_DEP_1)
	v_mul_f64 v[20:21], v[24:25], v[12:13]
	v_mul_f64 v[26:27], v[18:19], v[20:21]
	s_delay_alu instid0(VALU_DEP_1) | instskip(NEXT) | instid1(VALU_DEP_1)
	v_fma_f64 v[16:17], v[20:21], v[18:19], -v[26:27]
	v_fma_f64 v[16:17], v[20:21], v[14:15], v[16:17]
	s_delay_alu instid0(VALU_DEP_1) | instskip(NEXT) | instid1(VALU_DEP_1)
	v_add_f64 v[28:29], v[26:27], v[16:17]
	v_add_f64 v[30:31], v[24:25], -v[28:29]
	v_add_f64 v[22:23], v[28:29], -v[26:27]
	s_delay_alu instid0(VALU_DEP_2) | instskip(NEXT) | instid1(VALU_DEP_2)
	v_add_f64 v[24:25], v[24:25], -v[30:31]
	v_add_f64 v[16:17], v[22:23], -v[16:17]
	s_delay_alu instid0(VALU_DEP_2) | instskip(NEXT) | instid1(VALU_DEP_1)
	v_add_f64 v[24:25], v[24:25], -v[28:29]
	v_add_f64 v[10:11], v[10:11], v[24:25]
	s_delay_alu instid0(VALU_DEP_1) | instskip(NEXT) | instid1(VALU_DEP_1)
	v_add_f64 v[10:11], v[16:17], v[10:11]
	v_add_f64 v[16:17], v[30:31], v[10:11]
	s_delay_alu instid0(VALU_DEP_1) | instskip(SKIP_1) | instid1(VALU_DEP_2)
	v_mul_f64 v[22:23], v[12:13], v[16:17]
	v_add_f64 v[28:29], v[30:31], -v[16:17]
	v_mul_f64 v[24:25], v[18:19], v[22:23]
	s_delay_alu instid0(VALU_DEP_2) | instskip(NEXT) | instid1(VALU_DEP_2)
	v_add_f64 v[10:11], v[10:11], v[28:29]
	v_fma_f64 v[18:19], v[22:23], v[18:19], -v[24:25]
	s_delay_alu instid0(VALU_DEP_1) | instskip(NEXT) | instid1(VALU_DEP_1)
	v_fma_f64 v[14:15], v[22:23], v[14:15], v[18:19]
	v_add_f64 v[18:19], v[24:25], v[14:15]
	s_delay_alu instid0(VALU_DEP_1) | instskip(SKIP_1) | instid1(VALU_DEP_2)
	v_add_f64 v[26:27], v[16:17], -v[18:19]
	v_add_f64 v[24:25], v[18:19], -v[24:25]
	;; [unrolled: 1-line block ×3, first 2 shown]
	s_delay_alu instid0(VALU_DEP_2) | instskip(NEXT) | instid1(VALU_DEP_2)
	v_add_f64 v[14:15], v[24:25], -v[14:15]
	v_add_f64 v[16:17], v[16:17], -v[18:19]
	s_delay_alu instid0(VALU_DEP_1) | instskip(SKIP_1) | instid1(VALU_DEP_2)
	v_add_f64 v[10:11], v[10:11], v[16:17]
	v_add_f64 v[16:17], v[20:21], v[22:23]
	v_add_f64 v[10:11], v[14:15], v[10:11]
	s_delay_alu instid0(VALU_DEP_2) | instskip(NEXT) | instid1(VALU_DEP_2)
	v_add_f64 v[14:15], v[16:17], -v[20:21]
	v_add_f64 v[10:11], v[26:27], v[10:11]
	s_delay_alu instid0(VALU_DEP_2) | instskip(NEXT) | instid1(VALU_DEP_2)
	v_add_f64 v[14:15], v[22:23], -v[14:15]
	v_mul_f64 v[10:11], v[12:13], v[10:11]
	s_delay_alu instid0(VALU_DEP_1) | instskip(NEXT) | instid1(VALU_DEP_1)
	v_add_f64 v[10:11], v[14:15], v[10:11]
	v_add_f64 v[12:13], v[16:17], v[10:11]
	s_delay_alu instid0(VALU_DEP_1) | instskip(NEXT) | instid1(VALU_DEP_1)
	v_mul_f64 v[14:15], v[12:13], v[12:13]
	v_fma_f64 v[18:19], v[14:15], s[14:15], s[12:13]
	s_mov_b32 s12, 0xd7f4df2e
	s_mov_b32 s13, 0x3fc7474d
	v_mul_f64 v[20:21], v[12:13], v[14:15]
	s_delay_alu instid0(VALU_DEP_2)
	v_fma_f64 v[18:19], v[14:15], v[18:19], s[12:13]
	s_mov_b32 s12, 0x16291751
	s_mov_b32 s13, 0x3fcc71c0
	s_delay_alu instid0(VALU_DEP_1) | instid1(SALU_CYCLE_1)
	v_fma_f64 v[18:19], v[14:15], v[18:19], s[12:13]
	s_mov_b32 s12, 0x9b27acf1
	s_mov_b32 s13, 0x3fd24924
	s_delay_alu instid0(VALU_DEP_1) | instid1(SALU_CYCLE_1)
	;; [unrolled: 4-line block ×3, first 2 shown]
	v_fma_f64 v[18:19], v[14:15], v[18:19], s[12:13]
	s_delay_alu instid0(VALU_DEP_1) | instskip(SKIP_2) | instid1(VALU_DEP_3)
	v_fma_f64 v[14:15], v[14:15], v[18:19], s[4:5]
	v_ldexp_f64 v[18:19], v[12:13], 1
	v_add_f64 v[12:13], v[12:13], -v[16:17]
	v_mul_f64 v[14:15], v[20:21], v[14:15]
	v_cvt_f64_i32_e32 v[20:21], v48
	s_delay_alu instid0(VALU_DEP_3) | instskip(NEXT) | instid1(VALU_DEP_3)
	v_add_f64 v[10:11], v[10:11], -v[12:13]
	v_add_f64 v[16:17], v[18:19], v[14:15]
	s_delay_alu instid0(VALU_DEP_3) | instskip(NEXT) | instid1(VALU_DEP_3)
	v_mul_f64 v[22:23], v[20:21], s[6:7]
	v_ldexp_f64 v[10:11], v[10:11], 1
	s_delay_alu instid0(VALU_DEP_3) | instskip(NEXT) | instid1(VALU_DEP_3)
	v_add_f64 v[12:13], v[16:17], -v[18:19]
	v_fma_f64 v[18:19], v[20:21], s[6:7], -v[22:23]
	s_delay_alu instid0(VALU_DEP_2) | instskip(NEXT) | instid1(VALU_DEP_2)
	v_add_f64 v[12:13], v[14:15], -v[12:13]
	v_fma_f64 v[14:15], v[20:21], s[8:9], v[18:19]
	s_delay_alu instid0(VALU_DEP_2) | instskip(NEXT) | instid1(VALU_DEP_2)
	v_add_f64 v[10:11], v[10:11], v[12:13]
	v_add_f64 v[12:13], v[22:23], v[14:15]
	s_delay_alu instid0(VALU_DEP_2) | instskip(NEXT) | instid1(VALU_DEP_2)
	v_add_f64 v[18:19], v[16:17], v[10:11]
	v_add_f64 v[22:23], v[12:13], -v[22:23]
	s_delay_alu instid0(VALU_DEP_2) | instskip(SKIP_1) | instid1(VALU_DEP_3)
	v_add_f64 v[20:21], v[12:13], v[18:19]
	v_add_f64 v[16:17], v[18:19], -v[16:17]
	v_add_f64 v[14:15], v[14:15], -v[22:23]
	s_delay_alu instid0(VALU_DEP_3) | instskip(NEXT) | instid1(VALU_DEP_3)
	v_add_f64 v[24:25], v[20:21], -v[12:13]
	v_add_f64 v[10:11], v[10:11], -v[16:17]
	s_delay_alu instid0(VALU_DEP_2) | instskip(SKIP_1) | instid1(VALU_DEP_3)
	v_add_f64 v[26:27], v[20:21], -v[24:25]
	v_add_f64 v[16:17], v[18:19], -v[24:25]
	v_add_f64 v[18:19], v[14:15], v[10:11]
	s_delay_alu instid0(VALU_DEP_3) | instskip(NEXT) | instid1(VALU_DEP_1)
	v_add_f64 v[12:13], v[12:13], -v[26:27]
	v_add_f64 v[12:13], v[16:17], v[12:13]
	s_delay_alu instid0(VALU_DEP_3) | instskip(NEXT) | instid1(VALU_DEP_2)
	v_add_f64 v[16:17], v[18:19], -v[14:15]
	v_add_f64 v[12:13], v[18:19], v[12:13]
	s_delay_alu instid0(VALU_DEP_2) | instskip(SKIP_1) | instid1(VALU_DEP_3)
	v_add_f64 v[18:19], v[18:19], -v[16:17]
	v_add_f64 v[10:11], v[10:11], -v[16:17]
	v_add_f64 v[22:23], v[20:21], v[12:13]
	s_delay_alu instid0(VALU_DEP_3) | instskip(NEXT) | instid1(VALU_DEP_2)
	v_add_f64 v[14:15], v[14:15], -v[18:19]
	v_add_f64 v[16:17], v[22:23], -v[20:21]
	s_delay_alu instid0(VALU_DEP_2) | instskip(NEXT) | instid1(VALU_DEP_2)
	v_add_f64 v[10:11], v[10:11], v[14:15]
	v_add_f64 v[12:13], v[12:13], -v[16:17]
	s_delay_alu instid0(VALU_DEP_1) | instskip(NEXT) | instid1(VALU_DEP_1)
	v_add_f64 v[10:11], v[10:11], v[12:13]
	v_add_f64 v[10:11], v[22:23], v[10:11]
	s_delay_alu instid0(VALU_DEP_1) | instskip(NEXT) | instid1(VALU_DEP_2)
	v_cndmask_b32_e64 v10, v10, v8, s3
	v_cndmask_b32_e64 v11, v11, v9, s3
	v_cmp_ngt_f64_e64 s3, -1.0, v[8:9]
	s_delay_alu instid0(VALU_DEP_1) | instskip(SKIP_1) | instid1(VALU_DEP_1)
	v_cndmask_b32_e64 v11, 0x7ff80000, v11, s3
	v_cmp_nge_f64_e64 s3, -1.0, v[8:9]
	v_cndmask_b32_e64 v10, 0, v10, s3
	v_cmp_neq_f64_e64 s3, -1.0, v[8:9]
	s_delay_alu instid0(VALU_DEP_1) | instskip(NEXT) | instid1(VALU_DEP_1)
	v_cndmask_b32_e64 v11, 0xfff00000, v11, s3
	v_add_f64 v[48:49], v[6:7], v[10:11]
.LBB36_268:
	s_or_b32 exec_lo, exec_lo, s10
	v_max_f64 v[6:7], v[114:115], v[114:115]
	s_delay_alu instid0(VALU_DEP_2) | instskip(SKIP_2) | instid1(VALU_DEP_3)
	v_max_f64 v[8:9], v[48:49], v[48:49]
	v_cmp_u_f64_e64 s4, v[48:49], v[48:49]
	v_cmp_u_f64_e64 s3, v[114:115], v[114:115]
	v_min_f64 v[10:11], v[8:9], v[6:7]
	v_max_f64 v[8:9], v[8:9], v[6:7]
	s_delay_alu instid0(VALU_DEP_2) | instskip(NEXT) | instid1(VALU_DEP_3)
	v_cndmask_b32_e64 v10, v10, v48, s4
	v_cndmask_b32_e64 v11, v11, v49, s4
	s_delay_alu instid0(VALU_DEP_3) | instskip(NEXT) | instid1(VALU_DEP_4)
	v_cndmask_b32_e64 v9, v9, v49, s4
	v_cndmask_b32_e64 v8, v8, v48, s4
	s_delay_alu instid0(VALU_DEP_4) | instskip(NEXT) | instid1(VALU_DEP_4)
	v_cndmask_b32_e64 v10, v10, v114, s3
	v_cndmask_b32_e64 v11, v11, v115, s3
	s_delay_alu instid0(VALU_DEP_4) | instskip(NEXT) | instid1(VALU_DEP_4)
	v_cndmask_b32_e64 v9, v9, v115, s3
	v_cndmask_b32_e64 v8, v8, v114, s3
	s_delay_alu instid0(VALU_DEP_3) | instskip(NEXT) | instid1(VALU_DEP_2)
	v_cmp_class_f64_e64 s5, v[10:11], 0x1f8
	v_cmp_neq_f64_e64 s4, v[10:11], v[8:9]
	s_delay_alu instid0(VALU_DEP_1) | instskip(NEXT) | instid1(SALU_CYCLE_1)
	s_or_b32 s4, s4, s5
	s_and_saveexec_b32 s10, s4
	s_cbranch_execz .LBB36_270
; %bb.269:
	v_add_f64 v[10:11], v[10:11], -v[8:9]
	s_mov_b32 s4, 0x652b82fe
	s_mov_b32 s5, 0x3ff71547
	;; [unrolled: 1-line block ×10, first 2 shown]
	s_delay_alu instid0(VALU_DEP_1) | instskip(SKIP_2) | instid1(VALU_DEP_1)
	v_mul_f64 v[12:13], v[10:11], s[4:5]
	s_mov_b32 s4, 0xfca7ab0c
	s_mov_b32 s5, 0x3e928af3
	v_rndne_f64_e32 v[12:13], v[12:13]
	s_delay_alu instid0(VALU_DEP_1) | instskip(SKIP_2) | instid1(VALU_DEP_2)
	v_fma_f64 v[14:15], v[12:13], s[6:7], v[10:11]
	v_cvt_i32_f64_e32 v18, v[12:13]
	s_mov_b32 s7, 0x3fe62e42
	v_fma_f64 v[14:15], v[12:13], s[8:9], v[14:15]
	s_mov_b32 s9, 0x3c7abc9e
	s_delay_alu instid0(VALU_DEP_1) | instskip(SKIP_4) | instid1(VALU_DEP_1)
	v_fma_f64 v[16:17], v[14:15], s[12:13], s[4:5]
	s_mov_b32 s4, 0x623fde64
	s_mov_b32 s5, 0x3ec71dee
	;; [unrolled: 1-line block ×4, first 2 shown]
	v_fma_f64 v[16:17], v[14:15], v[16:17], s[4:5]
	s_mov_b32 s4, 0x7c89e6b0
	s_mov_b32 s5, 0x3efa0199
	s_delay_alu instid0(VALU_DEP_1) | instid1(SALU_CYCLE_1)
	v_fma_f64 v[16:17], v[14:15], v[16:17], s[4:5]
	s_mov_b32 s4, 0x14761f6e
	s_mov_b32 s5, 0x3f2a01a0
	s_delay_alu instid0(VALU_DEP_1) | instid1(SALU_CYCLE_1)
	;; [unrolled: 4-line block ×7, first 2 shown]
	v_fma_f64 v[16:17], v[14:15], v[16:17], s[4:5]
	v_cmp_nlt_f64_e64 s4, 0x40900000, v[10:11]
	v_cmp_ngt_f64_e64 s5, 0xc090cc00, v[10:11]
	s_delay_alu instid0(VALU_DEP_3) | instskip(NEXT) | instid1(VALU_DEP_1)
	v_fma_f64 v[16:17], v[14:15], v[16:17], 1.0
	v_fma_f64 v[12:13], v[14:15], v[16:17], 1.0
	s_delay_alu instid0(VALU_DEP_1) | instskip(NEXT) | instid1(VALU_DEP_1)
	v_ldexp_f64 v[12:13], v[12:13], v18
	v_cndmask_b32_e64 v13, 0x7ff00000, v13, s4
	s_and_b32 s4, s5, s4
	s_delay_alu instid0(VALU_DEP_2) | instid1(SALU_CYCLE_1)
	v_cndmask_b32_e64 v10, 0, v12, s4
	s_mov_b32 s4, 0x55555555
	s_delay_alu instid0(VALU_DEP_2) | instskip(SKIP_1) | instid1(VALU_DEP_1)
	v_cndmask_b32_e64 v11, 0, v13, s5
	s_mov_b32 s5, 0x3fe55555
	v_add_f64 v[12:13], v[10:11], 1.0
	s_delay_alu instid0(VALU_DEP_1) | instskip(SKIP_2) | instid1(VALU_DEP_3)
	v_frexp_mant_f64_e32 v[14:15], v[12:13]
	v_frexp_exp_i32_f64_e32 v18, v[12:13]
	v_add_f64 v[16:17], v[12:13], -1.0
	v_cmp_gt_f64_e64 s4, s[4:5], v[14:15]
	s_delay_alu instid0(VALU_DEP_2) | instskip(SKIP_1) | instid1(VALU_DEP_3)
	v_add_f64 v[14:15], v[16:17], -v[12:13]
	v_add_f64 v[16:17], v[10:11], -v[16:17]
	v_subrev_co_ci_u32_e64 v131, s4, 0, v18, s4
	s_delay_alu instid0(VALU_DEP_3) | instskip(SKIP_1) | instid1(VALU_DEP_2)
	v_add_f64 v[14:15], v[14:15], 1.0
	s_mov_b32 s4, 0x55555780
	v_sub_nc_u32_e32 v20, 0, v131
	s_delay_alu instid0(VALU_DEP_1) | instskip(NEXT) | instid1(VALU_DEP_3)
	v_ldexp_f64 v[12:13], v[12:13], v20
	v_add_f64 v[14:15], v[16:17], v[14:15]
	s_delay_alu instid0(VALU_DEP_2) | instskip(SKIP_1) | instid1(VALU_DEP_3)
	v_add_f64 v[18:19], v[12:13], 1.0
	v_add_f64 v[24:25], v[12:13], -1.0
	v_ldexp_f64 v[14:15], v[14:15], v20
	s_delay_alu instid0(VALU_DEP_3) | instskip(NEXT) | instid1(VALU_DEP_3)
	v_add_f64 v[16:17], v[18:19], -1.0
	v_add_f64 v[26:27], v[24:25], 1.0
	s_delay_alu instid0(VALU_DEP_2) | instskip(NEXT) | instid1(VALU_DEP_2)
	v_add_f64 v[16:17], v[12:13], -v[16:17]
	v_add_f64 v[12:13], v[12:13], -v[26:27]
	s_delay_alu instid0(VALU_DEP_2) | instskip(NEXT) | instid1(VALU_DEP_2)
	v_add_f64 v[16:17], v[14:15], v[16:17]
	v_add_f64 v[12:13], v[14:15], v[12:13]
	s_delay_alu instid0(VALU_DEP_2) | instskip(NEXT) | instid1(VALU_DEP_2)
	v_add_f64 v[20:21], v[18:19], v[16:17]
	v_add_f64 v[26:27], v[24:25], v[12:13]
	s_delay_alu instid0(VALU_DEP_2) | instskip(SKIP_1) | instid1(VALU_DEP_2)
	v_rcp_f64_e32 v[22:23], v[20:21]
	v_add_f64 v[18:19], v[20:21], -v[18:19]
	v_add_f64 v[24:25], v[26:27], -v[24:25]
	s_delay_alu instid0(VALU_DEP_2) | instskip(SKIP_3) | instid1(VALU_DEP_2)
	v_add_f64 v[16:17], v[16:17], -v[18:19]
	s_waitcnt_depctr 0xfff
	v_fma_f64 v[28:29], -v[20:21], v[22:23], 1.0
	v_add_f64 v[12:13], v[12:13], -v[24:25]
	v_fma_f64 v[22:23], v[28:29], v[22:23], v[22:23]
	s_delay_alu instid0(VALU_DEP_1) | instskip(NEXT) | instid1(VALU_DEP_1)
	v_fma_f64 v[14:15], -v[20:21], v[22:23], 1.0
	v_fma_f64 v[14:15], v[14:15], v[22:23], v[22:23]
	s_delay_alu instid0(VALU_DEP_1) | instskip(NEXT) | instid1(VALU_DEP_1)
	v_mul_f64 v[22:23], v[26:27], v[14:15]
	v_mul_f64 v[28:29], v[20:21], v[22:23]
	s_delay_alu instid0(VALU_DEP_1) | instskip(NEXT) | instid1(VALU_DEP_1)
	v_fma_f64 v[18:19], v[22:23], v[20:21], -v[28:29]
	v_fma_f64 v[18:19], v[22:23], v[16:17], v[18:19]
	s_delay_alu instid0(VALU_DEP_1) | instskip(NEXT) | instid1(VALU_DEP_1)
	v_add_f64 v[30:31], v[28:29], v[18:19]
	v_add_f64 v[48:49], v[26:27], -v[30:31]
	v_add_f64 v[24:25], v[30:31], -v[28:29]
	s_delay_alu instid0(VALU_DEP_2) | instskip(NEXT) | instid1(VALU_DEP_2)
	v_add_f64 v[26:27], v[26:27], -v[48:49]
	v_add_f64 v[18:19], v[24:25], -v[18:19]
	s_delay_alu instid0(VALU_DEP_2) | instskip(NEXT) | instid1(VALU_DEP_1)
	v_add_f64 v[26:27], v[26:27], -v[30:31]
	v_add_f64 v[12:13], v[12:13], v[26:27]
	s_delay_alu instid0(VALU_DEP_1) | instskip(NEXT) | instid1(VALU_DEP_1)
	v_add_f64 v[12:13], v[18:19], v[12:13]
	v_add_f64 v[18:19], v[48:49], v[12:13]
	s_delay_alu instid0(VALU_DEP_1) | instskip(SKIP_1) | instid1(VALU_DEP_2)
	v_mul_f64 v[24:25], v[14:15], v[18:19]
	v_add_f64 v[30:31], v[48:49], -v[18:19]
	v_mul_f64 v[26:27], v[20:21], v[24:25]
	s_delay_alu instid0(VALU_DEP_2) | instskip(NEXT) | instid1(VALU_DEP_2)
	v_add_f64 v[12:13], v[12:13], v[30:31]
	v_fma_f64 v[20:21], v[24:25], v[20:21], -v[26:27]
	s_delay_alu instid0(VALU_DEP_1) | instskip(NEXT) | instid1(VALU_DEP_1)
	v_fma_f64 v[16:17], v[24:25], v[16:17], v[20:21]
	v_add_f64 v[20:21], v[26:27], v[16:17]
	s_delay_alu instid0(VALU_DEP_1) | instskip(SKIP_1) | instid1(VALU_DEP_2)
	v_add_f64 v[28:29], v[18:19], -v[20:21]
	v_add_f64 v[26:27], v[20:21], -v[26:27]
	;; [unrolled: 1-line block ×3, first 2 shown]
	s_delay_alu instid0(VALU_DEP_2) | instskip(NEXT) | instid1(VALU_DEP_2)
	v_add_f64 v[16:17], v[26:27], -v[16:17]
	v_add_f64 v[18:19], v[18:19], -v[20:21]
	s_delay_alu instid0(VALU_DEP_1) | instskip(SKIP_1) | instid1(VALU_DEP_2)
	v_add_f64 v[12:13], v[12:13], v[18:19]
	v_add_f64 v[18:19], v[22:23], v[24:25]
	;; [unrolled: 1-line block ×3, first 2 shown]
	s_delay_alu instid0(VALU_DEP_2) | instskip(NEXT) | instid1(VALU_DEP_2)
	v_add_f64 v[16:17], v[18:19], -v[22:23]
	v_add_f64 v[12:13], v[28:29], v[12:13]
	s_delay_alu instid0(VALU_DEP_2) | instskip(NEXT) | instid1(VALU_DEP_2)
	v_add_f64 v[16:17], v[24:25], -v[16:17]
	v_mul_f64 v[12:13], v[14:15], v[12:13]
	s_delay_alu instid0(VALU_DEP_1) | instskip(NEXT) | instid1(VALU_DEP_1)
	v_add_f64 v[12:13], v[16:17], v[12:13]
	v_add_f64 v[14:15], v[18:19], v[12:13]
	s_delay_alu instid0(VALU_DEP_1) | instskip(NEXT) | instid1(VALU_DEP_1)
	v_mul_f64 v[16:17], v[14:15], v[14:15]
	v_fma_f64 v[20:21], v[16:17], s[14:15], s[12:13]
	s_mov_b32 s12, 0xd7f4df2e
	s_mov_b32 s13, 0x3fc7474d
	v_mul_f64 v[22:23], v[14:15], v[16:17]
	s_delay_alu instid0(VALU_DEP_2)
	v_fma_f64 v[20:21], v[16:17], v[20:21], s[12:13]
	s_mov_b32 s12, 0x16291751
	s_mov_b32 s13, 0x3fcc71c0
	s_delay_alu instid0(VALU_DEP_1) | instid1(SALU_CYCLE_1)
	v_fma_f64 v[20:21], v[16:17], v[20:21], s[12:13]
	s_mov_b32 s12, 0x9b27acf1
	s_mov_b32 s13, 0x3fd24924
	s_delay_alu instid0(VALU_DEP_1) | instid1(SALU_CYCLE_1)
	;; [unrolled: 4-line block ×3, first 2 shown]
	v_fma_f64 v[20:21], v[16:17], v[20:21], s[12:13]
	s_delay_alu instid0(VALU_DEP_1) | instskip(SKIP_3) | instid1(VALU_DEP_4)
	v_fma_f64 v[16:17], v[16:17], v[20:21], s[4:5]
	v_ldexp_f64 v[20:21], v[14:15], 1
	v_add_f64 v[14:15], v[14:15], -v[18:19]
	v_cmp_eq_f64_e64 s4, 0x7ff00000, v[10:11]
	v_mul_f64 v[16:17], v[22:23], v[16:17]
	v_cvt_f64_i32_e32 v[22:23], v131
	s_delay_alu instid0(VALU_DEP_4) | instskip(NEXT) | instid1(VALU_DEP_3)
	v_add_f64 v[12:13], v[12:13], -v[14:15]
	v_add_f64 v[18:19], v[20:21], v[16:17]
	s_delay_alu instid0(VALU_DEP_3) | instskip(NEXT) | instid1(VALU_DEP_3)
	v_mul_f64 v[24:25], v[22:23], s[6:7]
	v_ldexp_f64 v[12:13], v[12:13], 1
	s_delay_alu instid0(VALU_DEP_3) | instskip(NEXT) | instid1(VALU_DEP_3)
	v_add_f64 v[14:15], v[18:19], -v[20:21]
	v_fma_f64 v[20:21], v[22:23], s[6:7], -v[24:25]
	s_delay_alu instid0(VALU_DEP_2) | instskip(NEXT) | instid1(VALU_DEP_2)
	v_add_f64 v[14:15], v[16:17], -v[14:15]
	v_fma_f64 v[16:17], v[22:23], s[8:9], v[20:21]
	s_delay_alu instid0(VALU_DEP_2) | instskip(NEXT) | instid1(VALU_DEP_2)
	v_add_f64 v[12:13], v[12:13], v[14:15]
	v_add_f64 v[14:15], v[24:25], v[16:17]
	s_delay_alu instid0(VALU_DEP_2) | instskip(NEXT) | instid1(VALU_DEP_2)
	v_add_f64 v[20:21], v[18:19], v[12:13]
	v_add_f64 v[24:25], v[14:15], -v[24:25]
	s_delay_alu instid0(VALU_DEP_2) | instskip(SKIP_1) | instid1(VALU_DEP_3)
	v_add_f64 v[22:23], v[14:15], v[20:21]
	v_add_f64 v[18:19], v[20:21], -v[18:19]
	v_add_f64 v[16:17], v[16:17], -v[24:25]
	s_delay_alu instid0(VALU_DEP_3) | instskip(NEXT) | instid1(VALU_DEP_3)
	v_add_f64 v[26:27], v[22:23], -v[14:15]
	v_add_f64 v[12:13], v[12:13], -v[18:19]
	s_delay_alu instid0(VALU_DEP_2) | instskip(SKIP_1) | instid1(VALU_DEP_3)
	v_add_f64 v[28:29], v[22:23], -v[26:27]
	v_add_f64 v[18:19], v[20:21], -v[26:27]
	v_add_f64 v[20:21], v[16:17], v[12:13]
	s_delay_alu instid0(VALU_DEP_3) | instskip(NEXT) | instid1(VALU_DEP_1)
	v_add_f64 v[14:15], v[14:15], -v[28:29]
	v_add_f64 v[14:15], v[18:19], v[14:15]
	s_delay_alu instid0(VALU_DEP_3) | instskip(NEXT) | instid1(VALU_DEP_2)
	v_add_f64 v[18:19], v[20:21], -v[16:17]
	v_add_f64 v[14:15], v[20:21], v[14:15]
	s_delay_alu instid0(VALU_DEP_2) | instskip(SKIP_1) | instid1(VALU_DEP_3)
	v_add_f64 v[20:21], v[20:21], -v[18:19]
	v_add_f64 v[12:13], v[12:13], -v[18:19]
	v_add_f64 v[24:25], v[22:23], v[14:15]
	s_delay_alu instid0(VALU_DEP_3) | instskip(NEXT) | instid1(VALU_DEP_2)
	v_add_f64 v[16:17], v[16:17], -v[20:21]
	v_add_f64 v[18:19], v[24:25], -v[22:23]
	s_delay_alu instid0(VALU_DEP_2) | instskip(NEXT) | instid1(VALU_DEP_2)
	v_add_f64 v[12:13], v[12:13], v[16:17]
	v_add_f64 v[14:15], v[14:15], -v[18:19]
	s_delay_alu instid0(VALU_DEP_1) | instskip(NEXT) | instid1(VALU_DEP_1)
	v_add_f64 v[12:13], v[12:13], v[14:15]
	v_add_f64 v[12:13], v[24:25], v[12:13]
	s_delay_alu instid0(VALU_DEP_1) | instskip(NEXT) | instid1(VALU_DEP_2)
	v_cndmask_b32_e64 v12, v12, v10, s4
	v_cndmask_b32_e64 v13, v13, v11, s4
	v_cmp_ngt_f64_e64 s4, -1.0, v[10:11]
	s_delay_alu instid0(VALU_DEP_1) | instskip(SKIP_1) | instid1(VALU_DEP_1)
	v_cndmask_b32_e64 v13, 0x7ff80000, v13, s4
	v_cmp_nge_f64_e64 s4, -1.0, v[10:11]
	v_cndmask_b32_e64 v12, 0, v12, s4
	v_cmp_neq_f64_e64 s4, -1.0, v[10:11]
	s_delay_alu instid0(VALU_DEP_1) | instskip(NEXT) | instid1(VALU_DEP_1)
	v_cndmask_b32_e64 v13, 0xfff00000, v13, s4
	v_add_f64 v[48:49], v[8:9], v[12:13]
.LBB36_270:
	s_or_b32 exec_lo, exec_lo, s10
	v_max_f64 v[8:9], v[100:101], v[100:101]
	s_delay_alu instid0(VALU_DEP_2) | instskip(SKIP_2) | instid1(VALU_DEP_3)
	v_max_f64 v[10:11], v[48:49], v[48:49]
	v_cmp_u_f64_e64 s5, v[48:49], v[48:49]
	v_cmp_u_f64_e64 s4, v[100:101], v[100:101]
	v_min_f64 v[12:13], v[10:11], v[8:9]
	v_max_f64 v[10:11], v[10:11], v[8:9]
	s_delay_alu instid0(VALU_DEP_2) | instskip(NEXT) | instid1(VALU_DEP_3)
	v_cndmask_b32_e64 v12, v12, v48, s5
	v_cndmask_b32_e64 v13, v13, v49, s5
	s_delay_alu instid0(VALU_DEP_3) | instskip(NEXT) | instid1(VALU_DEP_4)
	v_cndmask_b32_e64 v11, v11, v49, s5
	v_cndmask_b32_e64 v10, v10, v48, s5
	s_delay_alu instid0(VALU_DEP_4) | instskip(NEXT) | instid1(VALU_DEP_4)
	v_cndmask_b32_e64 v12, v12, v100, s4
	v_cndmask_b32_e64 v13, v13, v101, s4
	s_delay_alu instid0(VALU_DEP_4) | instskip(NEXT) | instid1(VALU_DEP_4)
	v_cndmask_b32_e64 v11, v11, v101, s4
	v_cndmask_b32_e64 v10, v10, v100, s4
	s_delay_alu instid0(VALU_DEP_3) | instskip(NEXT) | instid1(VALU_DEP_2)
	v_cmp_class_f64_e64 s6, v[12:13], 0x1f8
	v_cmp_neq_f64_e64 s5, v[12:13], v[10:11]
	s_delay_alu instid0(VALU_DEP_1) | instskip(NEXT) | instid1(SALU_CYCLE_1)
	s_or_b32 s5, s5, s6
	s_and_saveexec_b32 s12, s5
	s_cbranch_execz .LBB36_272
; %bb.271:
	v_add_f64 v[12:13], v[12:13], -v[10:11]
	s_mov_b32 s6, 0x652b82fe
	s_mov_b32 s7, 0x3ff71547
	;; [unrolled: 1-line block ×10, first 2 shown]
	s_delay_alu instid0(VALU_DEP_1) | instskip(SKIP_3) | instid1(VALU_DEP_2)
	v_mul_f64 v[14:15], v[12:13], s[6:7]
	s_mov_b32 s6, 0xfca7ab0c
	s_mov_b32 s7, 0x3e928af3
	v_cmp_nlt_f64_e64 s5, 0x40900000, v[12:13]
	v_rndne_f64_e32 v[14:15], v[14:15]
	s_delay_alu instid0(VALU_DEP_1) | instskip(SKIP_2) | instid1(VALU_DEP_2)
	v_fma_f64 v[16:17], v[14:15], s[8:9], v[12:13]
	v_cvt_i32_f64_e32 v20, v[14:15]
	s_mov_b32 s9, 0x3fe62e42
	v_fma_f64 v[16:17], v[14:15], s[10:11], v[16:17]
	s_mov_b32 s11, 0x3c7abc9e
	s_delay_alu instid0(VALU_DEP_1) | instskip(SKIP_4) | instid1(VALU_DEP_1)
	v_fma_f64 v[18:19], v[16:17], s[14:15], s[6:7]
	s_mov_b32 s6, 0x623fde64
	s_mov_b32 s7, 0x3ec71dee
	s_mov_b32 s14, 0x6b47b09a
	s_mov_b32 s15, 0x3fc38538
	v_fma_f64 v[18:19], v[16:17], v[18:19], s[6:7]
	s_mov_b32 s6, 0x7c89e6b0
	s_mov_b32 s7, 0x3efa0199
	s_delay_alu instid0(VALU_DEP_1) | instid1(SALU_CYCLE_1)
	v_fma_f64 v[18:19], v[16:17], v[18:19], s[6:7]
	s_mov_b32 s6, 0x14761f6e
	s_mov_b32 s7, 0x3f2a01a0
	s_delay_alu instid0(VALU_DEP_1) | instid1(SALU_CYCLE_1)
	;; [unrolled: 4-line block ×7, first 2 shown]
	v_fma_f64 v[18:19], v[16:17], v[18:19], s[6:7]
	v_cmp_ngt_f64_e64 s6, 0xc090cc00, v[12:13]
	s_mov_b32 s7, 0x3fe55555
	s_delay_alu instid0(VALU_DEP_2) | instskip(NEXT) | instid1(VALU_DEP_1)
	v_fma_f64 v[18:19], v[16:17], v[18:19], 1.0
	v_fma_f64 v[14:15], v[16:17], v[18:19], 1.0
	s_delay_alu instid0(VALU_DEP_1) | instskip(NEXT) | instid1(VALU_DEP_1)
	v_ldexp_f64 v[14:15], v[14:15], v20
	v_cndmask_b32_e64 v15, 0x7ff00000, v15, s5
	s_and_b32 s5, s6, s5
	s_delay_alu instid0(VALU_DEP_2) | instid1(SALU_CYCLE_1)
	v_cndmask_b32_e64 v12, 0, v14, s5
	s_delay_alu instid0(VALU_DEP_2) | instskip(SKIP_1) | instid1(VALU_DEP_1)
	v_cndmask_b32_e64 v13, 0, v15, s6
	s_mov_b32 s6, 0x55555555
	v_add_f64 v[14:15], v[12:13], 1.0
	s_delay_alu instid0(VALU_DEP_1) | instskip(SKIP_2) | instid1(VALU_DEP_3)
	v_frexp_mant_f64_e32 v[16:17], v[14:15]
	v_frexp_exp_i32_f64_e32 v20, v[14:15]
	v_add_f64 v[18:19], v[14:15], -1.0
	v_cmp_gt_f64_e64 s5, s[6:7], v[16:17]
	s_mov_b32 s6, 0x55555780
	s_delay_alu instid0(VALU_DEP_2) | instskip(SKIP_1) | instid1(VALU_DEP_3)
	v_add_f64 v[16:17], v[18:19], -v[14:15]
	v_add_f64 v[18:19], v[12:13], -v[18:19]
	v_subrev_co_ci_u32_e64 v133, s5, 0, v20, s5
	s_delay_alu instid0(VALU_DEP_3) | instskip(SKIP_1) | instid1(VALU_DEP_3)
	v_add_f64 v[16:17], v[16:17], 1.0
	v_cmp_eq_f64_e64 s5, 0x7ff00000, v[12:13]
	v_sub_nc_u32_e32 v22, 0, v133
	s_delay_alu instid0(VALU_DEP_1) | instskip(NEXT) | instid1(VALU_DEP_4)
	v_ldexp_f64 v[14:15], v[14:15], v22
	v_add_f64 v[16:17], v[18:19], v[16:17]
	s_delay_alu instid0(VALU_DEP_2) | instskip(SKIP_1) | instid1(VALU_DEP_3)
	v_add_f64 v[20:21], v[14:15], 1.0
	v_add_f64 v[26:27], v[14:15], -1.0
	v_ldexp_f64 v[16:17], v[16:17], v22
	s_delay_alu instid0(VALU_DEP_3) | instskip(NEXT) | instid1(VALU_DEP_3)
	v_add_f64 v[18:19], v[20:21], -1.0
	v_add_f64 v[28:29], v[26:27], 1.0
	s_delay_alu instid0(VALU_DEP_2) | instskip(NEXT) | instid1(VALU_DEP_2)
	v_add_f64 v[18:19], v[14:15], -v[18:19]
	v_add_f64 v[14:15], v[14:15], -v[28:29]
	s_delay_alu instid0(VALU_DEP_2) | instskip(NEXT) | instid1(VALU_DEP_2)
	v_add_f64 v[18:19], v[16:17], v[18:19]
	v_add_f64 v[14:15], v[16:17], v[14:15]
	s_delay_alu instid0(VALU_DEP_2) | instskip(NEXT) | instid1(VALU_DEP_2)
	v_add_f64 v[22:23], v[20:21], v[18:19]
	v_add_f64 v[28:29], v[26:27], v[14:15]
	s_delay_alu instid0(VALU_DEP_2) | instskip(SKIP_1) | instid1(VALU_DEP_2)
	v_rcp_f64_e32 v[24:25], v[22:23]
	v_add_f64 v[20:21], v[22:23], -v[20:21]
	v_add_f64 v[26:27], v[28:29], -v[26:27]
	s_delay_alu instid0(VALU_DEP_2) | instskip(SKIP_3) | instid1(VALU_DEP_2)
	v_add_f64 v[18:19], v[18:19], -v[20:21]
	s_waitcnt_depctr 0xfff
	v_fma_f64 v[30:31], -v[22:23], v[24:25], 1.0
	v_add_f64 v[14:15], v[14:15], -v[26:27]
	v_fma_f64 v[24:25], v[30:31], v[24:25], v[24:25]
	s_delay_alu instid0(VALU_DEP_1) | instskip(NEXT) | instid1(VALU_DEP_1)
	v_fma_f64 v[16:17], -v[22:23], v[24:25], 1.0
	v_fma_f64 v[16:17], v[16:17], v[24:25], v[24:25]
	s_delay_alu instid0(VALU_DEP_1) | instskip(NEXT) | instid1(VALU_DEP_1)
	v_mul_f64 v[24:25], v[28:29], v[16:17]
	v_mul_f64 v[30:31], v[22:23], v[24:25]
	s_delay_alu instid0(VALU_DEP_1) | instskip(NEXT) | instid1(VALU_DEP_1)
	v_fma_f64 v[20:21], v[24:25], v[22:23], -v[30:31]
	v_fma_f64 v[20:21], v[24:25], v[18:19], v[20:21]
	s_delay_alu instid0(VALU_DEP_1) | instskip(NEXT) | instid1(VALU_DEP_1)
	v_add_f64 v[48:49], v[30:31], v[20:21]
	v_add_f64 v[131:132], v[28:29], -v[48:49]
	v_add_f64 v[26:27], v[48:49], -v[30:31]
	s_delay_alu instid0(VALU_DEP_2) | instskip(NEXT) | instid1(VALU_DEP_2)
	v_add_f64 v[28:29], v[28:29], -v[131:132]
	v_add_f64 v[20:21], v[26:27], -v[20:21]
	s_delay_alu instid0(VALU_DEP_2) | instskip(NEXT) | instid1(VALU_DEP_1)
	v_add_f64 v[28:29], v[28:29], -v[48:49]
	v_add_f64 v[14:15], v[14:15], v[28:29]
	s_delay_alu instid0(VALU_DEP_1) | instskip(NEXT) | instid1(VALU_DEP_1)
	v_add_f64 v[14:15], v[20:21], v[14:15]
	v_add_f64 v[20:21], v[131:132], v[14:15]
	s_delay_alu instid0(VALU_DEP_1) | instskip(SKIP_1) | instid1(VALU_DEP_2)
	v_mul_f64 v[26:27], v[16:17], v[20:21]
	v_add_f64 v[48:49], v[131:132], -v[20:21]
	v_mul_f64 v[28:29], v[22:23], v[26:27]
	s_delay_alu instid0(VALU_DEP_2) | instskip(NEXT) | instid1(VALU_DEP_2)
	v_add_f64 v[14:15], v[14:15], v[48:49]
	v_fma_f64 v[22:23], v[26:27], v[22:23], -v[28:29]
	s_delay_alu instid0(VALU_DEP_1) | instskip(NEXT) | instid1(VALU_DEP_1)
	v_fma_f64 v[18:19], v[26:27], v[18:19], v[22:23]
	v_add_f64 v[22:23], v[28:29], v[18:19]
	s_delay_alu instid0(VALU_DEP_1) | instskip(SKIP_1) | instid1(VALU_DEP_2)
	v_add_f64 v[30:31], v[20:21], -v[22:23]
	v_add_f64 v[28:29], v[22:23], -v[28:29]
	;; [unrolled: 1-line block ×3, first 2 shown]
	s_delay_alu instid0(VALU_DEP_2) | instskip(NEXT) | instid1(VALU_DEP_2)
	v_add_f64 v[18:19], v[28:29], -v[18:19]
	v_add_f64 v[20:21], v[20:21], -v[22:23]
	s_delay_alu instid0(VALU_DEP_1) | instskip(SKIP_1) | instid1(VALU_DEP_2)
	v_add_f64 v[14:15], v[14:15], v[20:21]
	v_add_f64 v[20:21], v[24:25], v[26:27]
	;; [unrolled: 1-line block ×3, first 2 shown]
	s_delay_alu instid0(VALU_DEP_2) | instskip(NEXT) | instid1(VALU_DEP_2)
	v_add_f64 v[18:19], v[20:21], -v[24:25]
	v_add_f64 v[14:15], v[30:31], v[14:15]
	s_delay_alu instid0(VALU_DEP_2) | instskip(NEXT) | instid1(VALU_DEP_2)
	v_add_f64 v[18:19], v[26:27], -v[18:19]
	v_mul_f64 v[14:15], v[16:17], v[14:15]
	s_delay_alu instid0(VALU_DEP_1) | instskip(NEXT) | instid1(VALU_DEP_1)
	v_add_f64 v[14:15], v[18:19], v[14:15]
	v_add_f64 v[16:17], v[20:21], v[14:15]
	s_delay_alu instid0(VALU_DEP_1) | instskip(NEXT) | instid1(VALU_DEP_1)
	v_mul_f64 v[18:19], v[16:17], v[16:17]
	v_fma_f64 v[22:23], v[18:19], s[18:19], s[14:15]
	s_mov_b32 s14, 0xd7f4df2e
	s_mov_b32 s15, 0x3fc7474d
	v_mul_f64 v[24:25], v[16:17], v[18:19]
	s_delay_alu instid0(VALU_DEP_2)
	v_fma_f64 v[22:23], v[18:19], v[22:23], s[14:15]
	s_mov_b32 s14, 0x16291751
	s_mov_b32 s15, 0x3fcc71c0
	s_delay_alu instid0(VALU_DEP_1) | instid1(SALU_CYCLE_1)
	v_fma_f64 v[22:23], v[18:19], v[22:23], s[14:15]
	s_mov_b32 s14, 0x9b27acf1
	s_mov_b32 s15, 0x3fd24924
	s_delay_alu instid0(VALU_DEP_1) | instid1(SALU_CYCLE_1)
	;; [unrolled: 4-line block ×3, first 2 shown]
	v_fma_f64 v[22:23], v[18:19], v[22:23], s[14:15]
	s_delay_alu instid0(VALU_DEP_1) | instskip(SKIP_2) | instid1(VALU_DEP_3)
	v_fma_f64 v[18:19], v[18:19], v[22:23], s[6:7]
	v_ldexp_f64 v[22:23], v[16:17], 1
	v_add_f64 v[16:17], v[16:17], -v[20:21]
	v_mul_f64 v[18:19], v[24:25], v[18:19]
	v_cvt_f64_i32_e32 v[24:25], v133
	s_delay_alu instid0(VALU_DEP_3) | instskip(NEXT) | instid1(VALU_DEP_3)
	v_add_f64 v[14:15], v[14:15], -v[16:17]
	v_add_f64 v[20:21], v[22:23], v[18:19]
	s_delay_alu instid0(VALU_DEP_3) | instskip(NEXT) | instid1(VALU_DEP_3)
	v_mul_f64 v[26:27], v[24:25], s[8:9]
	v_ldexp_f64 v[14:15], v[14:15], 1
	s_delay_alu instid0(VALU_DEP_3) | instskip(NEXT) | instid1(VALU_DEP_3)
	v_add_f64 v[16:17], v[20:21], -v[22:23]
	v_fma_f64 v[22:23], v[24:25], s[8:9], -v[26:27]
	s_delay_alu instid0(VALU_DEP_2) | instskip(NEXT) | instid1(VALU_DEP_2)
	v_add_f64 v[16:17], v[18:19], -v[16:17]
	v_fma_f64 v[18:19], v[24:25], s[10:11], v[22:23]
	s_delay_alu instid0(VALU_DEP_2) | instskip(NEXT) | instid1(VALU_DEP_2)
	v_add_f64 v[14:15], v[14:15], v[16:17]
	v_add_f64 v[16:17], v[26:27], v[18:19]
	s_delay_alu instid0(VALU_DEP_2) | instskip(NEXT) | instid1(VALU_DEP_2)
	v_add_f64 v[22:23], v[20:21], v[14:15]
	v_add_f64 v[26:27], v[16:17], -v[26:27]
	s_delay_alu instid0(VALU_DEP_2) | instskip(SKIP_1) | instid1(VALU_DEP_3)
	v_add_f64 v[24:25], v[16:17], v[22:23]
	v_add_f64 v[20:21], v[22:23], -v[20:21]
	v_add_f64 v[18:19], v[18:19], -v[26:27]
	s_delay_alu instid0(VALU_DEP_3) | instskip(NEXT) | instid1(VALU_DEP_3)
	v_add_f64 v[28:29], v[24:25], -v[16:17]
	v_add_f64 v[14:15], v[14:15], -v[20:21]
	s_delay_alu instid0(VALU_DEP_2) | instskip(SKIP_1) | instid1(VALU_DEP_3)
	v_add_f64 v[30:31], v[24:25], -v[28:29]
	v_add_f64 v[20:21], v[22:23], -v[28:29]
	v_add_f64 v[22:23], v[18:19], v[14:15]
	s_delay_alu instid0(VALU_DEP_3) | instskip(NEXT) | instid1(VALU_DEP_1)
	v_add_f64 v[16:17], v[16:17], -v[30:31]
	v_add_f64 v[16:17], v[20:21], v[16:17]
	s_delay_alu instid0(VALU_DEP_3) | instskip(NEXT) | instid1(VALU_DEP_2)
	v_add_f64 v[20:21], v[22:23], -v[18:19]
	v_add_f64 v[16:17], v[22:23], v[16:17]
	s_delay_alu instid0(VALU_DEP_2) | instskip(SKIP_1) | instid1(VALU_DEP_3)
	v_add_f64 v[22:23], v[22:23], -v[20:21]
	v_add_f64 v[14:15], v[14:15], -v[20:21]
	v_add_f64 v[26:27], v[24:25], v[16:17]
	s_delay_alu instid0(VALU_DEP_3) | instskip(NEXT) | instid1(VALU_DEP_2)
	v_add_f64 v[18:19], v[18:19], -v[22:23]
	v_add_f64 v[20:21], v[26:27], -v[24:25]
	s_delay_alu instid0(VALU_DEP_2) | instskip(NEXT) | instid1(VALU_DEP_2)
	v_add_f64 v[14:15], v[14:15], v[18:19]
	v_add_f64 v[16:17], v[16:17], -v[20:21]
	s_delay_alu instid0(VALU_DEP_1) | instskip(NEXT) | instid1(VALU_DEP_1)
	v_add_f64 v[14:15], v[14:15], v[16:17]
	v_add_f64 v[14:15], v[26:27], v[14:15]
	s_delay_alu instid0(VALU_DEP_1) | instskip(NEXT) | instid1(VALU_DEP_2)
	v_cndmask_b32_e64 v14, v14, v12, s5
	v_cndmask_b32_e64 v15, v15, v13, s5
	v_cmp_ngt_f64_e64 s5, -1.0, v[12:13]
	s_delay_alu instid0(VALU_DEP_1) | instskip(SKIP_1) | instid1(VALU_DEP_1)
	v_cndmask_b32_e64 v15, 0x7ff80000, v15, s5
	v_cmp_nge_f64_e64 s5, -1.0, v[12:13]
	v_cndmask_b32_e64 v14, 0, v14, s5
	v_cmp_neq_f64_e64 s5, -1.0, v[12:13]
	s_delay_alu instid0(VALU_DEP_1) | instskip(NEXT) | instid1(VALU_DEP_1)
	v_cndmask_b32_e64 v15, 0xfff00000, v15, s5
	v_add_f64 v[48:49], v[10:11], v[14:15]
.LBB36_272:
	s_or_b32 exec_lo, exec_lo, s12
	v_max_f64 v[10:11], v[102:103], v[102:103]
	s_delay_alu instid0(VALU_DEP_2) | instskip(SKIP_2) | instid1(VALU_DEP_3)
	v_max_f64 v[12:13], v[48:49], v[48:49]
	v_cmp_u_f64_e64 s6, v[48:49], v[48:49]
	v_cmp_u_f64_e64 s5, v[102:103], v[102:103]
	v_min_f64 v[14:15], v[12:13], v[10:11]
	v_max_f64 v[12:13], v[12:13], v[10:11]
	s_delay_alu instid0(VALU_DEP_2) | instskip(NEXT) | instid1(VALU_DEP_3)
	v_cndmask_b32_e64 v14, v14, v48, s6
	v_cndmask_b32_e64 v15, v15, v49, s6
	s_delay_alu instid0(VALU_DEP_3) | instskip(NEXT) | instid1(VALU_DEP_4)
	v_cndmask_b32_e64 v13, v13, v49, s6
	v_cndmask_b32_e64 v12, v12, v48, s6
	s_delay_alu instid0(VALU_DEP_4) | instskip(NEXT) | instid1(VALU_DEP_4)
	v_cndmask_b32_e64 v14, v14, v102, s5
	v_cndmask_b32_e64 v15, v15, v103, s5
	s_delay_alu instid0(VALU_DEP_4) | instskip(NEXT) | instid1(VALU_DEP_4)
	v_cndmask_b32_e64 v13, v13, v103, s5
	v_cndmask_b32_e64 v12, v12, v102, s5
	s_delay_alu instid0(VALU_DEP_3) | instskip(NEXT) | instid1(VALU_DEP_2)
	v_cmp_class_f64_e64 s7, v[14:15], 0x1f8
	v_cmp_neq_f64_e64 s6, v[14:15], v[12:13]
	s_delay_alu instid0(VALU_DEP_1) | instskip(NEXT) | instid1(SALU_CYCLE_1)
	s_or_b32 s6, s6, s7
	s_and_saveexec_b32 s12, s6
	s_cbranch_execz .LBB36_274
; %bb.273:
	v_add_f64 v[14:15], v[14:15], -v[12:13]
	s_mov_b32 s6, 0x652b82fe
	s_mov_b32 s7, 0x3ff71547
	;; [unrolled: 1-line block ×10, first 2 shown]
	s_delay_alu instid0(VALU_DEP_1) | instskip(SKIP_2) | instid1(VALU_DEP_1)
	v_mul_f64 v[16:17], v[14:15], s[6:7]
	s_mov_b32 s6, 0xfca7ab0c
	s_mov_b32 s7, 0x3e928af3
	v_rndne_f64_e32 v[16:17], v[16:17]
	s_delay_alu instid0(VALU_DEP_1) | instskip(SKIP_2) | instid1(VALU_DEP_2)
	v_fma_f64 v[18:19], v[16:17], s[8:9], v[14:15]
	v_cvt_i32_f64_e32 v22, v[16:17]
	s_mov_b32 s9, 0x3fe62e42
	v_fma_f64 v[18:19], v[16:17], s[10:11], v[18:19]
	s_mov_b32 s11, 0x3c7abc9e
	s_delay_alu instid0(VALU_DEP_1) | instskip(SKIP_4) | instid1(VALU_DEP_1)
	v_fma_f64 v[20:21], v[18:19], s[14:15], s[6:7]
	s_mov_b32 s6, 0x623fde64
	s_mov_b32 s7, 0x3ec71dee
	;; [unrolled: 1-line block ×4, first 2 shown]
	v_fma_f64 v[20:21], v[18:19], v[20:21], s[6:7]
	s_mov_b32 s6, 0x7c89e6b0
	s_mov_b32 s7, 0x3efa0199
	s_delay_alu instid0(VALU_DEP_1) | instid1(SALU_CYCLE_1)
	v_fma_f64 v[20:21], v[18:19], v[20:21], s[6:7]
	s_mov_b32 s6, 0x14761f6e
	s_mov_b32 s7, 0x3f2a01a0
	s_delay_alu instid0(VALU_DEP_1) | instid1(SALU_CYCLE_1)
	;; [unrolled: 4-line block ×7, first 2 shown]
	v_fma_f64 v[20:21], v[18:19], v[20:21], s[6:7]
	v_cmp_nlt_f64_e64 s6, 0x40900000, v[14:15]
	v_cmp_ngt_f64_e64 s7, 0xc090cc00, v[14:15]
	s_delay_alu instid0(VALU_DEP_3) | instskip(NEXT) | instid1(VALU_DEP_1)
	v_fma_f64 v[20:21], v[18:19], v[20:21], 1.0
	v_fma_f64 v[16:17], v[18:19], v[20:21], 1.0
	s_delay_alu instid0(VALU_DEP_1) | instskip(NEXT) | instid1(VALU_DEP_1)
	v_ldexp_f64 v[16:17], v[16:17], v22
	v_cndmask_b32_e64 v17, 0x7ff00000, v17, s6
	s_and_b32 s6, s7, s6
	s_delay_alu instid0(VALU_DEP_2) | instid1(SALU_CYCLE_1)
	v_cndmask_b32_e64 v14, 0, v16, s6
	s_mov_b32 s6, 0x55555555
	s_delay_alu instid0(VALU_DEP_2) | instskip(SKIP_1) | instid1(VALU_DEP_1)
	v_cndmask_b32_e64 v15, 0, v17, s7
	s_mov_b32 s7, 0x3fe55555
	v_add_f64 v[16:17], v[14:15], 1.0
	s_delay_alu instid0(VALU_DEP_1) | instskip(SKIP_2) | instid1(VALU_DEP_3)
	v_frexp_mant_f64_e32 v[18:19], v[16:17]
	v_frexp_exp_i32_f64_e32 v22, v[16:17]
	v_add_f64 v[20:21], v[16:17], -1.0
	v_cmp_gt_f64_e64 s6, s[6:7], v[18:19]
	s_delay_alu instid0(VALU_DEP_2) | instskip(SKIP_1) | instid1(VALU_DEP_3)
	v_add_f64 v[18:19], v[20:21], -v[16:17]
	v_add_f64 v[20:21], v[14:15], -v[20:21]
	v_subrev_co_ci_u32_e64 v144, s6, 0, v22, s6
	s_delay_alu instid0(VALU_DEP_3) | instskip(SKIP_1) | instid1(VALU_DEP_2)
	v_add_f64 v[18:19], v[18:19], 1.0
	s_mov_b32 s6, 0x55555780
	v_sub_nc_u32_e32 v24, 0, v144
	s_delay_alu instid0(VALU_DEP_1) | instskip(NEXT) | instid1(VALU_DEP_3)
	v_ldexp_f64 v[16:17], v[16:17], v24
	v_add_f64 v[18:19], v[20:21], v[18:19]
	s_delay_alu instid0(VALU_DEP_2) | instskip(SKIP_1) | instid1(VALU_DEP_3)
	v_add_f64 v[22:23], v[16:17], 1.0
	v_add_f64 v[28:29], v[16:17], -1.0
	v_ldexp_f64 v[18:19], v[18:19], v24
	s_delay_alu instid0(VALU_DEP_3) | instskip(NEXT) | instid1(VALU_DEP_3)
	v_add_f64 v[20:21], v[22:23], -1.0
	v_add_f64 v[30:31], v[28:29], 1.0
	s_delay_alu instid0(VALU_DEP_2) | instskip(NEXT) | instid1(VALU_DEP_2)
	v_add_f64 v[20:21], v[16:17], -v[20:21]
	v_add_f64 v[16:17], v[16:17], -v[30:31]
	s_delay_alu instid0(VALU_DEP_2) | instskip(NEXT) | instid1(VALU_DEP_2)
	v_add_f64 v[20:21], v[18:19], v[20:21]
	v_add_f64 v[16:17], v[18:19], v[16:17]
	s_delay_alu instid0(VALU_DEP_2) | instskip(NEXT) | instid1(VALU_DEP_2)
	v_add_f64 v[24:25], v[22:23], v[20:21]
	v_add_f64 v[30:31], v[28:29], v[16:17]
	s_delay_alu instid0(VALU_DEP_2) | instskip(SKIP_1) | instid1(VALU_DEP_2)
	v_rcp_f64_e32 v[26:27], v[24:25]
	v_add_f64 v[22:23], v[24:25], -v[22:23]
	v_add_f64 v[28:29], v[30:31], -v[28:29]
	s_delay_alu instid0(VALU_DEP_2) | instskip(SKIP_3) | instid1(VALU_DEP_2)
	v_add_f64 v[20:21], v[20:21], -v[22:23]
	s_waitcnt_depctr 0xfff
	v_fma_f64 v[48:49], -v[24:25], v[26:27], 1.0
	v_add_f64 v[16:17], v[16:17], -v[28:29]
	v_fma_f64 v[26:27], v[48:49], v[26:27], v[26:27]
	s_delay_alu instid0(VALU_DEP_1) | instskip(NEXT) | instid1(VALU_DEP_1)
	v_fma_f64 v[18:19], -v[24:25], v[26:27], 1.0
	v_fma_f64 v[18:19], v[18:19], v[26:27], v[26:27]
	s_delay_alu instid0(VALU_DEP_1) | instskip(NEXT) | instid1(VALU_DEP_1)
	v_mul_f64 v[26:27], v[30:31], v[18:19]
	v_mul_f64 v[48:49], v[24:25], v[26:27]
	s_delay_alu instid0(VALU_DEP_1) | instskip(NEXT) | instid1(VALU_DEP_1)
	v_fma_f64 v[22:23], v[26:27], v[24:25], -v[48:49]
	v_fma_f64 v[22:23], v[26:27], v[20:21], v[22:23]
	s_delay_alu instid0(VALU_DEP_1) | instskip(NEXT) | instid1(VALU_DEP_1)
	v_add_f64 v[131:132], v[48:49], v[22:23]
	v_add_f64 v[133:134], v[30:31], -v[131:132]
	v_add_f64 v[28:29], v[131:132], -v[48:49]
	s_delay_alu instid0(VALU_DEP_2) | instskip(NEXT) | instid1(VALU_DEP_2)
	v_add_f64 v[30:31], v[30:31], -v[133:134]
	v_add_f64 v[22:23], v[28:29], -v[22:23]
	s_delay_alu instid0(VALU_DEP_2) | instskip(NEXT) | instid1(VALU_DEP_1)
	v_add_f64 v[30:31], v[30:31], -v[131:132]
	v_add_f64 v[16:17], v[16:17], v[30:31]
	s_delay_alu instid0(VALU_DEP_1) | instskip(NEXT) | instid1(VALU_DEP_1)
	v_add_f64 v[16:17], v[22:23], v[16:17]
	v_add_f64 v[22:23], v[133:134], v[16:17]
	s_delay_alu instid0(VALU_DEP_1) | instskip(SKIP_1) | instid1(VALU_DEP_2)
	v_mul_f64 v[28:29], v[18:19], v[22:23]
	v_add_f64 v[131:132], v[133:134], -v[22:23]
	v_mul_f64 v[30:31], v[24:25], v[28:29]
	s_delay_alu instid0(VALU_DEP_2) | instskip(NEXT) | instid1(VALU_DEP_2)
	v_add_f64 v[16:17], v[16:17], v[131:132]
	v_fma_f64 v[24:25], v[28:29], v[24:25], -v[30:31]
	s_delay_alu instid0(VALU_DEP_1) | instskip(NEXT) | instid1(VALU_DEP_1)
	v_fma_f64 v[20:21], v[28:29], v[20:21], v[24:25]
	v_add_f64 v[24:25], v[30:31], v[20:21]
	s_delay_alu instid0(VALU_DEP_1) | instskip(SKIP_1) | instid1(VALU_DEP_2)
	v_add_f64 v[48:49], v[22:23], -v[24:25]
	v_add_f64 v[30:31], v[24:25], -v[30:31]
	;; [unrolled: 1-line block ×3, first 2 shown]
	s_delay_alu instid0(VALU_DEP_2) | instskip(NEXT) | instid1(VALU_DEP_2)
	v_add_f64 v[20:21], v[30:31], -v[20:21]
	v_add_f64 v[22:23], v[22:23], -v[24:25]
	s_delay_alu instid0(VALU_DEP_1) | instskip(SKIP_1) | instid1(VALU_DEP_2)
	v_add_f64 v[16:17], v[16:17], v[22:23]
	v_add_f64 v[22:23], v[26:27], v[28:29]
	;; [unrolled: 1-line block ×3, first 2 shown]
	s_delay_alu instid0(VALU_DEP_2) | instskip(NEXT) | instid1(VALU_DEP_2)
	v_add_f64 v[20:21], v[22:23], -v[26:27]
	v_add_f64 v[16:17], v[48:49], v[16:17]
	s_delay_alu instid0(VALU_DEP_2) | instskip(NEXT) | instid1(VALU_DEP_2)
	v_add_f64 v[20:21], v[28:29], -v[20:21]
	v_mul_f64 v[16:17], v[18:19], v[16:17]
	s_delay_alu instid0(VALU_DEP_1) | instskip(NEXT) | instid1(VALU_DEP_1)
	v_add_f64 v[16:17], v[20:21], v[16:17]
	v_add_f64 v[18:19], v[22:23], v[16:17]
	s_delay_alu instid0(VALU_DEP_1) | instskip(NEXT) | instid1(VALU_DEP_1)
	v_mul_f64 v[20:21], v[18:19], v[18:19]
	v_fma_f64 v[24:25], v[20:21], s[18:19], s[14:15]
	s_mov_b32 s14, 0xd7f4df2e
	s_mov_b32 s15, 0x3fc7474d
	v_mul_f64 v[26:27], v[18:19], v[20:21]
	s_delay_alu instid0(VALU_DEP_2)
	v_fma_f64 v[24:25], v[20:21], v[24:25], s[14:15]
	s_mov_b32 s14, 0x16291751
	s_mov_b32 s15, 0x3fcc71c0
	s_delay_alu instid0(VALU_DEP_1) | instid1(SALU_CYCLE_1)
	v_fma_f64 v[24:25], v[20:21], v[24:25], s[14:15]
	s_mov_b32 s14, 0x9b27acf1
	s_mov_b32 s15, 0x3fd24924
	s_delay_alu instid0(VALU_DEP_1) | instid1(SALU_CYCLE_1)
	;; [unrolled: 4-line block ×3, first 2 shown]
	v_fma_f64 v[24:25], v[20:21], v[24:25], s[14:15]
	s_delay_alu instid0(VALU_DEP_1) | instskip(SKIP_3) | instid1(VALU_DEP_4)
	v_fma_f64 v[20:21], v[20:21], v[24:25], s[6:7]
	v_ldexp_f64 v[24:25], v[18:19], 1
	v_add_f64 v[18:19], v[18:19], -v[22:23]
	v_cmp_eq_f64_e64 s6, 0x7ff00000, v[14:15]
	v_mul_f64 v[20:21], v[26:27], v[20:21]
	v_cvt_f64_i32_e32 v[26:27], v144
	s_delay_alu instid0(VALU_DEP_4) | instskip(NEXT) | instid1(VALU_DEP_3)
	v_add_f64 v[16:17], v[16:17], -v[18:19]
	v_add_f64 v[22:23], v[24:25], v[20:21]
	s_delay_alu instid0(VALU_DEP_3) | instskip(NEXT) | instid1(VALU_DEP_3)
	v_mul_f64 v[28:29], v[26:27], s[8:9]
	v_ldexp_f64 v[16:17], v[16:17], 1
	s_delay_alu instid0(VALU_DEP_3) | instskip(NEXT) | instid1(VALU_DEP_3)
	v_add_f64 v[18:19], v[22:23], -v[24:25]
	v_fma_f64 v[24:25], v[26:27], s[8:9], -v[28:29]
	s_delay_alu instid0(VALU_DEP_2) | instskip(NEXT) | instid1(VALU_DEP_2)
	v_add_f64 v[18:19], v[20:21], -v[18:19]
	v_fma_f64 v[20:21], v[26:27], s[10:11], v[24:25]
	s_delay_alu instid0(VALU_DEP_2) | instskip(NEXT) | instid1(VALU_DEP_2)
	v_add_f64 v[16:17], v[16:17], v[18:19]
	v_add_f64 v[18:19], v[28:29], v[20:21]
	s_delay_alu instid0(VALU_DEP_2) | instskip(NEXT) | instid1(VALU_DEP_2)
	v_add_f64 v[24:25], v[22:23], v[16:17]
	v_add_f64 v[28:29], v[18:19], -v[28:29]
	s_delay_alu instid0(VALU_DEP_2) | instskip(SKIP_1) | instid1(VALU_DEP_3)
	v_add_f64 v[26:27], v[18:19], v[24:25]
	v_add_f64 v[22:23], v[24:25], -v[22:23]
	v_add_f64 v[20:21], v[20:21], -v[28:29]
	s_delay_alu instid0(VALU_DEP_3) | instskip(NEXT) | instid1(VALU_DEP_3)
	v_add_f64 v[30:31], v[26:27], -v[18:19]
	v_add_f64 v[16:17], v[16:17], -v[22:23]
	s_delay_alu instid0(VALU_DEP_2) | instskip(SKIP_1) | instid1(VALU_DEP_3)
	v_add_f64 v[48:49], v[26:27], -v[30:31]
	v_add_f64 v[22:23], v[24:25], -v[30:31]
	v_add_f64 v[24:25], v[20:21], v[16:17]
	s_delay_alu instid0(VALU_DEP_3) | instskip(NEXT) | instid1(VALU_DEP_1)
	v_add_f64 v[18:19], v[18:19], -v[48:49]
	v_add_f64 v[18:19], v[22:23], v[18:19]
	s_delay_alu instid0(VALU_DEP_3) | instskip(NEXT) | instid1(VALU_DEP_2)
	v_add_f64 v[22:23], v[24:25], -v[20:21]
	v_add_f64 v[18:19], v[24:25], v[18:19]
	s_delay_alu instid0(VALU_DEP_2) | instskip(SKIP_1) | instid1(VALU_DEP_3)
	v_add_f64 v[24:25], v[24:25], -v[22:23]
	v_add_f64 v[16:17], v[16:17], -v[22:23]
	v_add_f64 v[28:29], v[26:27], v[18:19]
	s_delay_alu instid0(VALU_DEP_3) | instskip(NEXT) | instid1(VALU_DEP_2)
	v_add_f64 v[20:21], v[20:21], -v[24:25]
	v_add_f64 v[22:23], v[28:29], -v[26:27]
	s_delay_alu instid0(VALU_DEP_2) | instskip(NEXT) | instid1(VALU_DEP_2)
	v_add_f64 v[16:17], v[16:17], v[20:21]
	v_add_f64 v[18:19], v[18:19], -v[22:23]
	s_delay_alu instid0(VALU_DEP_1) | instskip(NEXT) | instid1(VALU_DEP_1)
	v_add_f64 v[16:17], v[16:17], v[18:19]
	v_add_f64 v[16:17], v[28:29], v[16:17]
	s_delay_alu instid0(VALU_DEP_1) | instskip(NEXT) | instid1(VALU_DEP_2)
	v_cndmask_b32_e64 v16, v16, v14, s6
	v_cndmask_b32_e64 v17, v17, v15, s6
	v_cmp_ngt_f64_e64 s6, -1.0, v[14:15]
	s_delay_alu instid0(VALU_DEP_1) | instskip(SKIP_1) | instid1(VALU_DEP_1)
	v_cndmask_b32_e64 v17, 0x7ff80000, v17, s6
	v_cmp_nge_f64_e64 s6, -1.0, v[14:15]
	v_cndmask_b32_e64 v16, 0, v16, s6
	v_cmp_neq_f64_e64 s6, -1.0, v[14:15]
	s_delay_alu instid0(VALU_DEP_1) | instskip(NEXT) | instid1(VALU_DEP_1)
	v_cndmask_b32_e64 v17, 0xfff00000, v17, s6
	v_add_f64 v[48:49], v[12:13], v[16:17]
.LBB36_274:
	s_or_b32 exec_lo, exec_lo, s12
	v_max_f64 v[12:13], v[96:97], v[96:97]
	s_delay_alu instid0(VALU_DEP_2) | instskip(SKIP_2) | instid1(VALU_DEP_3)
	v_max_f64 v[14:15], v[48:49], v[48:49]
	v_cmp_u_f64_e64 s7, v[48:49], v[48:49]
	v_cmp_u_f64_e64 s6, v[96:97], v[96:97]
	v_min_f64 v[16:17], v[14:15], v[12:13]
	v_max_f64 v[14:15], v[14:15], v[12:13]
	s_delay_alu instid0(VALU_DEP_2) | instskip(NEXT) | instid1(VALU_DEP_3)
	v_cndmask_b32_e64 v16, v16, v48, s7
	v_cndmask_b32_e64 v17, v17, v49, s7
	s_delay_alu instid0(VALU_DEP_3) | instskip(NEXT) | instid1(VALU_DEP_4)
	v_cndmask_b32_e64 v15, v15, v49, s7
	v_cndmask_b32_e64 v14, v14, v48, s7
	s_delay_alu instid0(VALU_DEP_4) | instskip(NEXT) | instid1(VALU_DEP_4)
	v_cndmask_b32_e64 v16, v16, v96, s6
	v_cndmask_b32_e64 v17, v17, v97, s6
	s_delay_alu instid0(VALU_DEP_4) | instskip(NEXT) | instid1(VALU_DEP_4)
	v_cndmask_b32_e64 v15, v15, v97, s6
	v_cndmask_b32_e64 v14, v14, v96, s6
	s_delay_alu instid0(VALU_DEP_3) | instskip(NEXT) | instid1(VALU_DEP_2)
	v_cmp_class_f64_e64 s8, v[16:17], 0x1f8
	v_cmp_neq_f64_e64 s7, v[16:17], v[14:15]
	s_delay_alu instid0(VALU_DEP_1) | instskip(NEXT) | instid1(SALU_CYCLE_1)
	s_or_b32 s7, s7, s8
	s_and_saveexec_b32 s14, s7
	s_cbranch_execz .LBB36_276
; %bb.275:
	v_add_f64 v[16:17], v[16:17], -v[14:15]
	s_mov_b32 s8, 0x652b82fe
	s_mov_b32 s9, 0x3ff71547
	;; [unrolled: 1-line block ×10, first 2 shown]
	s_delay_alu instid0(VALU_DEP_1) | instskip(SKIP_3) | instid1(VALU_DEP_2)
	v_mul_f64 v[18:19], v[16:17], s[8:9]
	s_mov_b32 s8, 0xfca7ab0c
	s_mov_b32 s9, 0x3e928af3
	v_cmp_nlt_f64_e64 s7, 0x40900000, v[16:17]
	v_rndne_f64_e32 v[18:19], v[18:19]
	s_delay_alu instid0(VALU_DEP_1) | instskip(SKIP_2) | instid1(VALU_DEP_2)
	v_fma_f64 v[20:21], v[18:19], s[10:11], v[16:17]
	v_cvt_i32_f64_e32 v24, v[18:19]
	s_mov_b32 s11, 0x3fe62e42
	v_fma_f64 v[20:21], v[18:19], s[12:13], v[20:21]
	s_mov_b32 s13, 0x3c7abc9e
	s_delay_alu instid0(VALU_DEP_1) | instskip(SKIP_4) | instid1(VALU_DEP_1)
	v_fma_f64 v[22:23], v[20:21], s[18:19], s[8:9]
	s_mov_b32 s8, 0x623fde64
	s_mov_b32 s9, 0x3ec71dee
	s_mov_b32 s18, 0x6b47b09a
	s_mov_b32 s19, 0x3fc38538
	v_fma_f64 v[22:23], v[20:21], v[22:23], s[8:9]
	s_mov_b32 s8, 0x7c89e6b0
	s_mov_b32 s9, 0x3efa0199
	s_delay_alu instid0(VALU_DEP_1) | instid1(SALU_CYCLE_1)
	v_fma_f64 v[22:23], v[20:21], v[22:23], s[8:9]
	s_mov_b32 s8, 0x14761f6e
	s_mov_b32 s9, 0x3f2a01a0
	s_delay_alu instid0(VALU_DEP_1) | instid1(SALU_CYCLE_1)
	;; [unrolled: 4-line block ×7, first 2 shown]
	v_fma_f64 v[22:23], v[20:21], v[22:23], s[8:9]
	v_cmp_ngt_f64_e64 s8, 0xc090cc00, v[16:17]
	s_mov_b32 s9, 0x3fe55555
	s_delay_alu instid0(VALU_DEP_2) | instskip(NEXT) | instid1(VALU_DEP_1)
	v_fma_f64 v[22:23], v[20:21], v[22:23], 1.0
	v_fma_f64 v[18:19], v[20:21], v[22:23], 1.0
	s_delay_alu instid0(VALU_DEP_1) | instskip(NEXT) | instid1(VALU_DEP_1)
	v_ldexp_f64 v[18:19], v[18:19], v24
	v_cndmask_b32_e64 v19, 0x7ff00000, v19, s7
	s_and_b32 s7, s8, s7
	s_delay_alu instid0(VALU_DEP_2) | instid1(SALU_CYCLE_1)
	v_cndmask_b32_e64 v16, 0, v18, s7
	s_delay_alu instid0(VALU_DEP_2) | instskip(SKIP_1) | instid1(VALU_DEP_1)
	v_cndmask_b32_e64 v17, 0, v19, s8
	s_mov_b32 s8, 0x55555555
	v_add_f64 v[18:19], v[16:17], 1.0
	s_delay_alu instid0(VALU_DEP_1) | instskip(SKIP_2) | instid1(VALU_DEP_3)
	v_frexp_mant_f64_e32 v[20:21], v[18:19]
	v_frexp_exp_i32_f64_e32 v24, v[18:19]
	v_add_f64 v[22:23], v[18:19], -1.0
	v_cmp_gt_f64_e64 s7, s[8:9], v[20:21]
	s_mov_b32 s8, 0x55555780
	s_delay_alu instid0(VALU_DEP_2) | instskip(SKIP_1) | instid1(VALU_DEP_3)
	v_add_f64 v[20:21], v[22:23], -v[18:19]
	v_add_f64 v[22:23], v[16:17], -v[22:23]
	v_subrev_co_ci_u32_e64 v146, s7, 0, v24, s7
	s_delay_alu instid0(VALU_DEP_3) | instskip(SKIP_1) | instid1(VALU_DEP_3)
	v_add_f64 v[20:21], v[20:21], 1.0
	v_cmp_eq_f64_e64 s7, 0x7ff00000, v[16:17]
	v_sub_nc_u32_e32 v26, 0, v146
	s_delay_alu instid0(VALU_DEP_1) | instskip(NEXT) | instid1(VALU_DEP_4)
	v_ldexp_f64 v[18:19], v[18:19], v26
	v_add_f64 v[20:21], v[22:23], v[20:21]
	s_delay_alu instid0(VALU_DEP_2) | instskip(SKIP_1) | instid1(VALU_DEP_3)
	v_add_f64 v[24:25], v[18:19], 1.0
	v_add_f64 v[30:31], v[18:19], -1.0
	v_ldexp_f64 v[20:21], v[20:21], v26
	s_delay_alu instid0(VALU_DEP_3) | instskip(NEXT) | instid1(VALU_DEP_3)
	v_add_f64 v[22:23], v[24:25], -1.0
	v_add_f64 v[48:49], v[30:31], 1.0
	s_delay_alu instid0(VALU_DEP_2) | instskip(NEXT) | instid1(VALU_DEP_2)
	v_add_f64 v[22:23], v[18:19], -v[22:23]
	v_add_f64 v[18:19], v[18:19], -v[48:49]
	s_delay_alu instid0(VALU_DEP_2) | instskip(NEXT) | instid1(VALU_DEP_2)
	v_add_f64 v[22:23], v[20:21], v[22:23]
	v_add_f64 v[18:19], v[20:21], v[18:19]
	s_delay_alu instid0(VALU_DEP_2) | instskip(NEXT) | instid1(VALU_DEP_2)
	v_add_f64 v[26:27], v[24:25], v[22:23]
	v_add_f64 v[48:49], v[30:31], v[18:19]
	s_delay_alu instid0(VALU_DEP_2) | instskip(SKIP_1) | instid1(VALU_DEP_2)
	v_rcp_f64_e32 v[28:29], v[26:27]
	v_add_f64 v[24:25], v[26:27], -v[24:25]
	v_add_f64 v[30:31], v[48:49], -v[30:31]
	s_delay_alu instid0(VALU_DEP_2) | instskip(SKIP_3) | instid1(VALU_DEP_2)
	v_add_f64 v[22:23], v[22:23], -v[24:25]
	s_waitcnt_depctr 0xfff
	v_fma_f64 v[131:132], -v[26:27], v[28:29], 1.0
	v_add_f64 v[18:19], v[18:19], -v[30:31]
	v_fma_f64 v[28:29], v[131:132], v[28:29], v[28:29]
	s_delay_alu instid0(VALU_DEP_1) | instskip(NEXT) | instid1(VALU_DEP_1)
	v_fma_f64 v[20:21], -v[26:27], v[28:29], 1.0
	v_fma_f64 v[20:21], v[20:21], v[28:29], v[28:29]
	s_delay_alu instid0(VALU_DEP_1) | instskip(NEXT) | instid1(VALU_DEP_1)
	v_mul_f64 v[28:29], v[48:49], v[20:21]
	v_mul_f64 v[131:132], v[26:27], v[28:29]
	s_delay_alu instid0(VALU_DEP_1) | instskip(NEXT) | instid1(VALU_DEP_1)
	v_fma_f64 v[24:25], v[28:29], v[26:27], -v[131:132]
	v_fma_f64 v[24:25], v[28:29], v[22:23], v[24:25]
	s_delay_alu instid0(VALU_DEP_1) | instskip(NEXT) | instid1(VALU_DEP_1)
	v_add_f64 v[133:134], v[131:132], v[24:25]
	v_add_f64 v[144:145], v[48:49], -v[133:134]
	v_add_f64 v[30:31], v[133:134], -v[131:132]
	s_delay_alu instid0(VALU_DEP_2) | instskip(NEXT) | instid1(VALU_DEP_2)
	v_add_f64 v[48:49], v[48:49], -v[144:145]
	v_add_f64 v[24:25], v[30:31], -v[24:25]
	s_delay_alu instid0(VALU_DEP_2) | instskip(NEXT) | instid1(VALU_DEP_1)
	v_add_f64 v[48:49], v[48:49], -v[133:134]
	v_add_f64 v[18:19], v[18:19], v[48:49]
	s_delay_alu instid0(VALU_DEP_1) | instskip(NEXT) | instid1(VALU_DEP_1)
	v_add_f64 v[18:19], v[24:25], v[18:19]
	v_add_f64 v[24:25], v[144:145], v[18:19]
	s_delay_alu instid0(VALU_DEP_1) | instskip(SKIP_1) | instid1(VALU_DEP_2)
	v_mul_f64 v[30:31], v[20:21], v[24:25]
	v_add_f64 v[133:134], v[144:145], -v[24:25]
	v_mul_f64 v[48:49], v[26:27], v[30:31]
	s_delay_alu instid0(VALU_DEP_2) | instskip(NEXT) | instid1(VALU_DEP_2)
	v_add_f64 v[18:19], v[18:19], v[133:134]
	v_fma_f64 v[26:27], v[30:31], v[26:27], -v[48:49]
	s_delay_alu instid0(VALU_DEP_1) | instskip(NEXT) | instid1(VALU_DEP_1)
	v_fma_f64 v[22:23], v[30:31], v[22:23], v[26:27]
	v_add_f64 v[26:27], v[48:49], v[22:23]
	s_delay_alu instid0(VALU_DEP_1) | instskip(SKIP_1) | instid1(VALU_DEP_2)
	v_add_f64 v[131:132], v[24:25], -v[26:27]
	v_add_f64 v[48:49], v[26:27], -v[48:49]
	;; [unrolled: 1-line block ×3, first 2 shown]
	s_delay_alu instid0(VALU_DEP_2) | instskip(NEXT) | instid1(VALU_DEP_2)
	v_add_f64 v[22:23], v[48:49], -v[22:23]
	v_add_f64 v[24:25], v[24:25], -v[26:27]
	s_delay_alu instid0(VALU_DEP_1) | instskip(SKIP_1) | instid1(VALU_DEP_2)
	v_add_f64 v[18:19], v[18:19], v[24:25]
	v_add_f64 v[24:25], v[28:29], v[30:31]
	;; [unrolled: 1-line block ×3, first 2 shown]
	s_delay_alu instid0(VALU_DEP_2) | instskip(NEXT) | instid1(VALU_DEP_2)
	v_add_f64 v[22:23], v[24:25], -v[28:29]
	v_add_f64 v[18:19], v[131:132], v[18:19]
	s_delay_alu instid0(VALU_DEP_2) | instskip(NEXT) | instid1(VALU_DEP_2)
	v_add_f64 v[22:23], v[30:31], -v[22:23]
	v_mul_f64 v[18:19], v[20:21], v[18:19]
	s_delay_alu instid0(VALU_DEP_1) | instskip(NEXT) | instid1(VALU_DEP_1)
	v_add_f64 v[18:19], v[22:23], v[18:19]
	v_add_f64 v[20:21], v[24:25], v[18:19]
	s_delay_alu instid0(VALU_DEP_1) | instskip(NEXT) | instid1(VALU_DEP_1)
	v_mul_f64 v[22:23], v[20:21], v[20:21]
	v_fma_f64 v[26:27], v[22:23], s[20:21], s[18:19]
	s_mov_b32 s18, 0xd7f4df2e
	s_mov_b32 s19, 0x3fc7474d
	v_mul_f64 v[28:29], v[20:21], v[22:23]
	s_delay_alu instid0(VALU_DEP_2)
	v_fma_f64 v[26:27], v[22:23], v[26:27], s[18:19]
	s_mov_b32 s18, 0x16291751
	s_mov_b32 s19, 0x3fcc71c0
	s_delay_alu instid0(VALU_DEP_1) | instid1(SALU_CYCLE_1)
	v_fma_f64 v[26:27], v[22:23], v[26:27], s[18:19]
	s_mov_b32 s18, 0x9b27acf1
	s_mov_b32 s19, 0x3fd24924
	s_delay_alu instid0(VALU_DEP_1) | instid1(SALU_CYCLE_1)
	;; [unrolled: 4-line block ×3, first 2 shown]
	v_fma_f64 v[26:27], v[22:23], v[26:27], s[18:19]
	s_delay_alu instid0(VALU_DEP_1) | instskip(SKIP_2) | instid1(VALU_DEP_3)
	v_fma_f64 v[22:23], v[22:23], v[26:27], s[8:9]
	v_ldexp_f64 v[26:27], v[20:21], 1
	v_add_f64 v[20:21], v[20:21], -v[24:25]
	v_mul_f64 v[22:23], v[28:29], v[22:23]
	v_cvt_f64_i32_e32 v[28:29], v146
	s_delay_alu instid0(VALU_DEP_3) | instskip(NEXT) | instid1(VALU_DEP_3)
	v_add_f64 v[18:19], v[18:19], -v[20:21]
	v_add_f64 v[24:25], v[26:27], v[22:23]
	s_delay_alu instid0(VALU_DEP_3) | instskip(NEXT) | instid1(VALU_DEP_3)
	v_mul_f64 v[30:31], v[28:29], s[10:11]
	v_ldexp_f64 v[18:19], v[18:19], 1
	s_delay_alu instid0(VALU_DEP_3) | instskip(NEXT) | instid1(VALU_DEP_3)
	v_add_f64 v[20:21], v[24:25], -v[26:27]
	v_fma_f64 v[26:27], v[28:29], s[10:11], -v[30:31]
	s_delay_alu instid0(VALU_DEP_2) | instskip(NEXT) | instid1(VALU_DEP_2)
	v_add_f64 v[20:21], v[22:23], -v[20:21]
	v_fma_f64 v[22:23], v[28:29], s[12:13], v[26:27]
	s_delay_alu instid0(VALU_DEP_2) | instskip(NEXT) | instid1(VALU_DEP_2)
	v_add_f64 v[18:19], v[18:19], v[20:21]
	v_add_f64 v[20:21], v[30:31], v[22:23]
	s_delay_alu instid0(VALU_DEP_2) | instskip(NEXT) | instid1(VALU_DEP_2)
	v_add_f64 v[26:27], v[24:25], v[18:19]
	v_add_f64 v[30:31], v[20:21], -v[30:31]
	s_delay_alu instid0(VALU_DEP_2) | instskip(SKIP_1) | instid1(VALU_DEP_3)
	v_add_f64 v[28:29], v[20:21], v[26:27]
	v_add_f64 v[24:25], v[26:27], -v[24:25]
	v_add_f64 v[22:23], v[22:23], -v[30:31]
	s_delay_alu instid0(VALU_DEP_3) | instskip(NEXT) | instid1(VALU_DEP_3)
	v_add_f64 v[48:49], v[28:29], -v[20:21]
	v_add_f64 v[18:19], v[18:19], -v[24:25]
	s_delay_alu instid0(VALU_DEP_2) | instskip(SKIP_1) | instid1(VALU_DEP_3)
	v_add_f64 v[131:132], v[28:29], -v[48:49]
	v_add_f64 v[24:25], v[26:27], -v[48:49]
	v_add_f64 v[26:27], v[22:23], v[18:19]
	s_delay_alu instid0(VALU_DEP_3) | instskip(NEXT) | instid1(VALU_DEP_1)
	v_add_f64 v[20:21], v[20:21], -v[131:132]
	v_add_f64 v[20:21], v[24:25], v[20:21]
	s_delay_alu instid0(VALU_DEP_3) | instskip(NEXT) | instid1(VALU_DEP_2)
	v_add_f64 v[24:25], v[26:27], -v[22:23]
	v_add_f64 v[20:21], v[26:27], v[20:21]
	s_delay_alu instid0(VALU_DEP_2) | instskip(SKIP_1) | instid1(VALU_DEP_3)
	v_add_f64 v[26:27], v[26:27], -v[24:25]
	v_add_f64 v[18:19], v[18:19], -v[24:25]
	v_add_f64 v[30:31], v[28:29], v[20:21]
	s_delay_alu instid0(VALU_DEP_3) | instskip(NEXT) | instid1(VALU_DEP_2)
	v_add_f64 v[22:23], v[22:23], -v[26:27]
	v_add_f64 v[24:25], v[30:31], -v[28:29]
	s_delay_alu instid0(VALU_DEP_2) | instskip(NEXT) | instid1(VALU_DEP_2)
	v_add_f64 v[18:19], v[18:19], v[22:23]
	v_add_f64 v[20:21], v[20:21], -v[24:25]
	s_delay_alu instid0(VALU_DEP_1) | instskip(NEXT) | instid1(VALU_DEP_1)
	v_add_f64 v[18:19], v[18:19], v[20:21]
	v_add_f64 v[18:19], v[30:31], v[18:19]
	s_delay_alu instid0(VALU_DEP_1) | instskip(NEXT) | instid1(VALU_DEP_2)
	v_cndmask_b32_e64 v18, v18, v16, s7
	v_cndmask_b32_e64 v19, v19, v17, s7
	v_cmp_ngt_f64_e64 s7, -1.0, v[16:17]
	s_delay_alu instid0(VALU_DEP_1) | instskip(SKIP_1) | instid1(VALU_DEP_1)
	v_cndmask_b32_e64 v19, 0x7ff80000, v19, s7
	v_cmp_nge_f64_e64 s7, -1.0, v[16:17]
	v_cndmask_b32_e64 v18, 0, v18, s7
	v_cmp_neq_f64_e64 s7, -1.0, v[16:17]
	s_delay_alu instid0(VALU_DEP_1) | instskip(NEXT) | instid1(VALU_DEP_1)
	v_cndmask_b32_e64 v19, 0xfff00000, v19, s7
	v_add_f64 v[48:49], v[14:15], v[18:19]
.LBB36_276:
	s_or_b32 exec_lo, exec_lo, s14
	v_max_f64 v[14:15], v[98:99], v[98:99]
	s_delay_alu instid0(VALU_DEP_2) | instskip(SKIP_2) | instid1(VALU_DEP_3)
	v_max_f64 v[16:17], v[48:49], v[48:49]
	v_cmp_u_f64_e64 s8, v[48:49], v[48:49]
	v_cmp_u_f64_e64 s7, v[98:99], v[98:99]
	v_min_f64 v[18:19], v[16:17], v[14:15]
	v_max_f64 v[16:17], v[16:17], v[14:15]
	s_delay_alu instid0(VALU_DEP_2) | instskip(NEXT) | instid1(VALU_DEP_3)
	v_cndmask_b32_e64 v18, v18, v48, s8
	v_cndmask_b32_e64 v19, v19, v49, s8
	s_delay_alu instid0(VALU_DEP_3) | instskip(NEXT) | instid1(VALU_DEP_4)
	v_cndmask_b32_e64 v17, v17, v49, s8
	v_cndmask_b32_e64 v16, v16, v48, s8
	s_delay_alu instid0(VALU_DEP_4) | instskip(NEXT) | instid1(VALU_DEP_4)
	v_cndmask_b32_e64 v18, v18, v98, s7
	v_cndmask_b32_e64 v19, v19, v99, s7
	s_delay_alu instid0(VALU_DEP_4) | instskip(NEXT) | instid1(VALU_DEP_4)
	v_cndmask_b32_e64 v17, v17, v99, s7
	v_cndmask_b32_e64 v16, v16, v98, s7
	s_delay_alu instid0(VALU_DEP_3) | instskip(NEXT) | instid1(VALU_DEP_2)
	v_cmp_class_f64_e64 s9, v[18:19], 0x1f8
	v_cmp_neq_f64_e64 s8, v[18:19], v[16:17]
	s_delay_alu instid0(VALU_DEP_1) | instskip(NEXT) | instid1(SALU_CYCLE_1)
	s_or_b32 s8, s8, s9
	s_and_saveexec_b32 s14, s8
	s_cbranch_execz .LBB36_278
; %bb.277:
	v_add_f64 v[18:19], v[18:19], -v[16:17]
	s_mov_b32 s8, 0x652b82fe
	s_mov_b32 s9, 0x3ff71547
	;; [unrolled: 1-line block ×10, first 2 shown]
	s_delay_alu instid0(VALU_DEP_1) | instskip(SKIP_2) | instid1(VALU_DEP_1)
	v_mul_f64 v[20:21], v[18:19], s[8:9]
	s_mov_b32 s8, 0xfca7ab0c
	s_mov_b32 s9, 0x3e928af3
	v_rndne_f64_e32 v[20:21], v[20:21]
	s_delay_alu instid0(VALU_DEP_1) | instskip(SKIP_2) | instid1(VALU_DEP_2)
	v_fma_f64 v[22:23], v[20:21], s[10:11], v[18:19]
	v_cvt_i32_f64_e32 v26, v[20:21]
	s_mov_b32 s11, 0x3fe62e42
	v_fma_f64 v[22:23], v[20:21], s[12:13], v[22:23]
	s_mov_b32 s13, 0x3c7abc9e
	s_delay_alu instid0(VALU_DEP_1) | instskip(SKIP_4) | instid1(VALU_DEP_1)
	v_fma_f64 v[24:25], v[22:23], s[18:19], s[8:9]
	s_mov_b32 s8, 0x623fde64
	s_mov_b32 s9, 0x3ec71dee
	;; [unrolled: 1-line block ×4, first 2 shown]
	v_fma_f64 v[24:25], v[22:23], v[24:25], s[8:9]
	s_mov_b32 s8, 0x7c89e6b0
	s_mov_b32 s9, 0x3efa0199
	s_delay_alu instid0(VALU_DEP_1) | instid1(SALU_CYCLE_1)
	v_fma_f64 v[24:25], v[22:23], v[24:25], s[8:9]
	s_mov_b32 s8, 0x14761f6e
	s_mov_b32 s9, 0x3f2a01a0
	s_delay_alu instid0(VALU_DEP_1) | instid1(SALU_CYCLE_1)
	;; [unrolled: 4-line block ×7, first 2 shown]
	v_fma_f64 v[24:25], v[22:23], v[24:25], s[8:9]
	v_cmp_nlt_f64_e64 s8, 0x40900000, v[18:19]
	v_cmp_ngt_f64_e64 s9, 0xc090cc00, v[18:19]
	s_delay_alu instid0(VALU_DEP_3) | instskip(NEXT) | instid1(VALU_DEP_1)
	v_fma_f64 v[24:25], v[22:23], v[24:25], 1.0
	v_fma_f64 v[20:21], v[22:23], v[24:25], 1.0
	s_delay_alu instid0(VALU_DEP_1) | instskip(NEXT) | instid1(VALU_DEP_1)
	v_ldexp_f64 v[20:21], v[20:21], v26
	v_cndmask_b32_e64 v21, 0x7ff00000, v21, s8
	s_and_b32 s8, s9, s8
	s_delay_alu instid0(VALU_DEP_2) | instid1(SALU_CYCLE_1)
	v_cndmask_b32_e64 v18, 0, v20, s8
	s_mov_b32 s8, 0x55555555
	s_delay_alu instid0(VALU_DEP_2) | instskip(SKIP_1) | instid1(VALU_DEP_1)
	v_cndmask_b32_e64 v19, 0, v21, s9
	s_mov_b32 s9, 0x3fe55555
	v_add_f64 v[20:21], v[18:19], 1.0
	s_delay_alu instid0(VALU_DEP_1) | instskip(SKIP_2) | instid1(VALU_DEP_3)
	v_frexp_mant_f64_e32 v[22:23], v[20:21]
	v_frexp_exp_i32_f64_e32 v26, v[20:21]
	v_add_f64 v[24:25], v[20:21], -1.0
	v_cmp_gt_f64_e64 s8, s[8:9], v[22:23]
	s_delay_alu instid0(VALU_DEP_2) | instskip(SKIP_1) | instid1(VALU_DEP_3)
	v_add_f64 v[22:23], v[24:25], -v[20:21]
	v_add_f64 v[24:25], v[18:19], -v[24:25]
	v_subrev_co_ci_u32_e64 v148, s8, 0, v26, s8
	s_delay_alu instid0(VALU_DEP_3) | instskip(SKIP_1) | instid1(VALU_DEP_2)
	v_add_f64 v[22:23], v[22:23], 1.0
	s_mov_b32 s8, 0x55555780
	v_sub_nc_u32_e32 v28, 0, v148
	s_delay_alu instid0(VALU_DEP_1) | instskip(NEXT) | instid1(VALU_DEP_3)
	v_ldexp_f64 v[20:21], v[20:21], v28
	v_add_f64 v[22:23], v[24:25], v[22:23]
	s_delay_alu instid0(VALU_DEP_2) | instskip(SKIP_1) | instid1(VALU_DEP_3)
	v_add_f64 v[26:27], v[20:21], 1.0
	v_add_f64 v[48:49], v[20:21], -1.0
	v_ldexp_f64 v[22:23], v[22:23], v28
	s_delay_alu instid0(VALU_DEP_3) | instskip(NEXT) | instid1(VALU_DEP_3)
	v_add_f64 v[24:25], v[26:27], -1.0
	v_add_f64 v[131:132], v[48:49], 1.0
	s_delay_alu instid0(VALU_DEP_2) | instskip(NEXT) | instid1(VALU_DEP_2)
	v_add_f64 v[24:25], v[20:21], -v[24:25]
	v_add_f64 v[20:21], v[20:21], -v[131:132]
	s_delay_alu instid0(VALU_DEP_2) | instskip(NEXT) | instid1(VALU_DEP_2)
	v_add_f64 v[24:25], v[22:23], v[24:25]
	v_add_f64 v[20:21], v[22:23], v[20:21]
	s_delay_alu instid0(VALU_DEP_2) | instskip(NEXT) | instid1(VALU_DEP_2)
	v_add_f64 v[28:29], v[26:27], v[24:25]
	v_add_f64 v[131:132], v[48:49], v[20:21]
	s_delay_alu instid0(VALU_DEP_2) | instskip(SKIP_1) | instid1(VALU_DEP_2)
	v_rcp_f64_e32 v[30:31], v[28:29]
	v_add_f64 v[26:27], v[28:29], -v[26:27]
	v_add_f64 v[48:49], v[131:132], -v[48:49]
	s_delay_alu instid0(VALU_DEP_2) | instskip(SKIP_3) | instid1(VALU_DEP_2)
	v_add_f64 v[24:25], v[24:25], -v[26:27]
	s_waitcnt_depctr 0xfff
	v_fma_f64 v[133:134], -v[28:29], v[30:31], 1.0
	v_add_f64 v[20:21], v[20:21], -v[48:49]
	v_fma_f64 v[30:31], v[133:134], v[30:31], v[30:31]
	s_delay_alu instid0(VALU_DEP_1) | instskip(NEXT) | instid1(VALU_DEP_1)
	v_fma_f64 v[22:23], -v[28:29], v[30:31], 1.0
	v_fma_f64 v[22:23], v[22:23], v[30:31], v[30:31]
	s_delay_alu instid0(VALU_DEP_1) | instskip(NEXT) | instid1(VALU_DEP_1)
	v_mul_f64 v[30:31], v[131:132], v[22:23]
	v_mul_f64 v[133:134], v[28:29], v[30:31]
	s_delay_alu instid0(VALU_DEP_1) | instskip(NEXT) | instid1(VALU_DEP_1)
	v_fma_f64 v[26:27], v[30:31], v[28:29], -v[133:134]
	v_fma_f64 v[26:27], v[30:31], v[24:25], v[26:27]
	s_delay_alu instid0(VALU_DEP_1) | instskip(NEXT) | instid1(VALU_DEP_1)
	v_add_f64 v[144:145], v[133:134], v[26:27]
	v_add_f64 v[146:147], v[131:132], -v[144:145]
	v_add_f64 v[48:49], v[144:145], -v[133:134]
	s_delay_alu instid0(VALU_DEP_2) | instskip(NEXT) | instid1(VALU_DEP_2)
	v_add_f64 v[131:132], v[131:132], -v[146:147]
	v_add_f64 v[26:27], v[48:49], -v[26:27]
	s_delay_alu instid0(VALU_DEP_2) | instskip(NEXT) | instid1(VALU_DEP_1)
	v_add_f64 v[131:132], v[131:132], -v[144:145]
	v_add_f64 v[20:21], v[20:21], v[131:132]
	s_delay_alu instid0(VALU_DEP_1) | instskip(NEXT) | instid1(VALU_DEP_1)
	v_add_f64 v[20:21], v[26:27], v[20:21]
	v_add_f64 v[26:27], v[146:147], v[20:21]
	s_delay_alu instid0(VALU_DEP_1) | instskip(SKIP_1) | instid1(VALU_DEP_2)
	v_mul_f64 v[48:49], v[22:23], v[26:27]
	v_add_f64 v[144:145], v[146:147], -v[26:27]
	v_mul_f64 v[131:132], v[28:29], v[48:49]
	s_delay_alu instid0(VALU_DEP_2) | instskip(NEXT) | instid1(VALU_DEP_2)
	v_add_f64 v[20:21], v[20:21], v[144:145]
	v_fma_f64 v[28:29], v[48:49], v[28:29], -v[131:132]
	s_delay_alu instid0(VALU_DEP_1) | instskip(NEXT) | instid1(VALU_DEP_1)
	v_fma_f64 v[24:25], v[48:49], v[24:25], v[28:29]
	v_add_f64 v[28:29], v[131:132], v[24:25]
	s_delay_alu instid0(VALU_DEP_1) | instskip(SKIP_1) | instid1(VALU_DEP_2)
	v_add_f64 v[133:134], v[26:27], -v[28:29]
	v_add_f64 v[131:132], v[28:29], -v[131:132]
	;; [unrolled: 1-line block ×3, first 2 shown]
	s_delay_alu instid0(VALU_DEP_2) | instskip(NEXT) | instid1(VALU_DEP_2)
	v_add_f64 v[24:25], v[131:132], -v[24:25]
	v_add_f64 v[26:27], v[26:27], -v[28:29]
	s_delay_alu instid0(VALU_DEP_1) | instskip(SKIP_1) | instid1(VALU_DEP_2)
	v_add_f64 v[20:21], v[20:21], v[26:27]
	v_add_f64 v[26:27], v[30:31], v[48:49]
	;; [unrolled: 1-line block ×3, first 2 shown]
	s_delay_alu instid0(VALU_DEP_2) | instskip(NEXT) | instid1(VALU_DEP_2)
	v_add_f64 v[24:25], v[26:27], -v[30:31]
	v_add_f64 v[20:21], v[133:134], v[20:21]
	s_delay_alu instid0(VALU_DEP_2) | instskip(NEXT) | instid1(VALU_DEP_2)
	v_add_f64 v[24:25], v[48:49], -v[24:25]
	v_mul_f64 v[20:21], v[22:23], v[20:21]
	s_delay_alu instid0(VALU_DEP_1) | instskip(NEXT) | instid1(VALU_DEP_1)
	v_add_f64 v[20:21], v[24:25], v[20:21]
	v_add_f64 v[22:23], v[26:27], v[20:21]
	s_delay_alu instid0(VALU_DEP_1) | instskip(NEXT) | instid1(VALU_DEP_1)
	v_mul_f64 v[24:25], v[22:23], v[22:23]
	v_fma_f64 v[28:29], v[24:25], s[20:21], s[18:19]
	s_mov_b32 s18, 0xd7f4df2e
	s_mov_b32 s19, 0x3fc7474d
	v_mul_f64 v[30:31], v[22:23], v[24:25]
	s_delay_alu instid0(VALU_DEP_2)
	v_fma_f64 v[28:29], v[24:25], v[28:29], s[18:19]
	s_mov_b32 s18, 0x16291751
	s_mov_b32 s19, 0x3fcc71c0
	s_delay_alu instid0(VALU_DEP_1) | instid1(SALU_CYCLE_1)
	v_fma_f64 v[28:29], v[24:25], v[28:29], s[18:19]
	s_mov_b32 s18, 0x9b27acf1
	s_mov_b32 s19, 0x3fd24924
	s_delay_alu instid0(VALU_DEP_1) | instid1(SALU_CYCLE_1)
	;; [unrolled: 4-line block ×3, first 2 shown]
	v_fma_f64 v[28:29], v[24:25], v[28:29], s[18:19]
	s_delay_alu instid0(VALU_DEP_1) | instskip(SKIP_3) | instid1(VALU_DEP_4)
	v_fma_f64 v[24:25], v[24:25], v[28:29], s[8:9]
	v_ldexp_f64 v[28:29], v[22:23], 1
	v_add_f64 v[22:23], v[22:23], -v[26:27]
	v_cmp_eq_f64_e64 s8, 0x7ff00000, v[18:19]
	v_mul_f64 v[24:25], v[30:31], v[24:25]
	v_cvt_f64_i32_e32 v[30:31], v148
	s_delay_alu instid0(VALU_DEP_4) | instskip(NEXT) | instid1(VALU_DEP_3)
	v_add_f64 v[20:21], v[20:21], -v[22:23]
	v_add_f64 v[26:27], v[28:29], v[24:25]
	s_delay_alu instid0(VALU_DEP_3) | instskip(NEXT) | instid1(VALU_DEP_3)
	v_mul_f64 v[48:49], v[30:31], s[10:11]
	v_ldexp_f64 v[20:21], v[20:21], 1
	s_delay_alu instid0(VALU_DEP_3) | instskip(NEXT) | instid1(VALU_DEP_3)
	v_add_f64 v[22:23], v[26:27], -v[28:29]
	v_fma_f64 v[28:29], v[30:31], s[10:11], -v[48:49]
	s_delay_alu instid0(VALU_DEP_2) | instskip(NEXT) | instid1(VALU_DEP_2)
	v_add_f64 v[22:23], v[24:25], -v[22:23]
	v_fma_f64 v[24:25], v[30:31], s[12:13], v[28:29]
	s_delay_alu instid0(VALU_DEP_2) | instskip(NEXT) | instid1(VALU_DEP_2)
	v_add_f64 v[20:21], v[20:21], v[22:23]
	v_add_f64 v[22:23], v[48:49], v[24:25]
	s_delay_alu instid0(VALU_DEP_2) | instskip(NEXT) | instid1(VALU_DEP_2)
	v_add_f64 v[28:29], v[26:27], v[20:21]
	v_add_f64 v[48:49], v[22:23], -v[48:49]
	s_delay_alu instid0(VALU_DEP_2) | instskip(SKIP_1) | instid1(VALU_DEP_3)
	v_add_f64 v[30:31], v[22:23], v[28:29]
	v_add_f64 v[26:27], v[28:29], -v[26:27]
	v_add_f64 v[24:25], v[24:25], -v[48:49]
	s_delay_alu instid0(VALU_DEP_3) | instskip(NEXT) | instid1(VALU_DEP_3)
	v_add_f64 v[131:132], v[30:31], -v[22:23]
	v_add_f64 v[20:21], v[20:21], -v[26:27]
	s_delay_alu instid0(VALU_DEP_2) | instskip(SKIP_1) | instid1(VALU_DEP_3)
	v_add_f64 v[133:134], v[30:31], -v[131:132]
	v_add_f64 v[26:27], v[28:29], -v[131:132]
	v_add_f64 v[28:29], v[24:25], v[20:21]
	s_delay_alu instid0(VALU_DEP_3) | instskip(NEXT) | instid1(VALU_DEP_1)
	v_add_f64 v[22:23], v[22:23], -v[133:134]
	v_add_f64 v[22:23], v[26:27], v[22:23]
	s_delay_alu instid0(VALU_DEP_3) | instskip(NEXT) | instid1(VALU_DEP_2)
	v_add_f64 v[26:27], v[28:29], -v[24:25]
	v_add_f64 v[22:23], v[28:29], v[22:23]
	s_delay_alu instid0(VALU_DEP_2) | instskip(SKIP_1) | instid1(VALU_DEP_3)
	v_add_f64 v[28:29], v[28:29], -v[26:27]
	v_add_f64 v[20:21], v[20:21], -v[26:27]
	v_add_f64 v[48:49], v[30:31], v[22:23]
	s_delay_alu instid0(VALU_DEP_3) | instskip(NEXT) | instid1(VALU_DEP_2)
	v_add_f64 v[24:25], v[24:25], -v[28:29]
	v_add_f64 v[26:27], v[48:49], -v[30:31]
	s_delay_alu instid0(VALU_DEP_2) | instskip(NEXT) | instid1(VALU_DEP_2)
	v_add_f64 v[20:21], v[20:21], v[24:25]
	v_add_f64 v[22:23], v[22:23], -v[26:27]
	s_delay_alu instid0(VALU_DEP_1) | instskip(NEXT) | instid1(VALU_DEP_1)
	v_add_f64 v[20:21], v[20:21], v[22:23]
	v_add_f64 v[20:21], v[48:49], v[20:21]
	s_delay_alu instid0(VALU_DEP_1) | instskip(NEXT) | instid1(VALU_DEP_2)
	v_cndmask_b32_e64 v20, v20, v18, s8
	v_cndmask_b32_e64 v21, v21, v19, s8
	v_cmp_ngt_f64_e64 s8, -1.0, v[18:19]
	s_delay_alu instid0(VALU_DEP_1) | instskip(SKIP_1) | instid1(VALU_DEP_1)
	v_cndmask_b32_e64 v21, 0x7ff80000, v21, s8
	v_cmp_nge_f64_e64 s8, -1.0, v[18:19]
	v_cndmask_b32_e64 v20, 0, v20, s8
	v_cmp_neq_f64_e64 s8, -1.0, v[18:19]
	s_delay_alu instid0(VALU_DEP_1) | instskip(NEXT) | instid1(VALU_DEP_1)
	v_cndmask_b32_e64 v21, 0xfff00000, v21, s8
	v_add_f64 v[48:49], v[16:17], v[20:21]
.LBB36_278:
	s_or_b32 exec_lo, exec_lo, s14
	v_max_f64 v[16:17], v[84:85], v[84:85]
	s_delay_alu instid0(VALU_DEP_2) | instskip(SKIP_2) | instid1(VALU_DEP_3)
	v_max_f64 v[18:19], v[48:49], v[48:49]
	v_cmp_u_f64_e64 s9, v[48:49], v[48:49]
	v_cmp_u_f64_e64 s8, v[84:85], v[84:85]
	v_min_f64 v[20:21], v[18:19], v[16:17]
	v_max_f64 v[18:19], v[18:19], v[16:17]
	s_delay_alu instid0(VALU_DEP_2) | instskip(NEXT) | instid1(VALU_DEP_3)
	v_cndmask_b32_e64 v20, v20, v48, s9
	v_cndmask_b32_e64 v21, v21, v49, s9
	s_delay_alu instid0(VALU_DEP_3) | instskip(NEXT) | instid1(VALU_DEP_4)
	v_cndmask_b32_e64 v19, v19, v49, s9
	v_cndmask_b32_e64 v18, v18, v48, s9
	s_delay_alu instid0(VALU_DEP_4) | instskip(NEXT) | instid1(VALU_DEP_4)
	v_cndmask_b32_e64 v20, v20, v84, s8
	v_cndmask_b32_e64 v21, v21, v85, s8
	s_delay_alu instid0(VALU_DEP_4) | instskip(NEXT) | instid1(VALU_DEP_4)
	v_cndmask_b32_e64 v19, v19, v85, s8
	v_cndmask_b32_e64 v18, v18, v84, s8
	s_delay_alu instid0(VALU_DEP_3) | instskip(NEXT) | instid1(VALU_DEP_2)
	v_cmp_class_f64_e64 s10, v[20:21], 0x1f8
	v_cmp_neq_f64_e64 s9, v[20:21], v[18:19]
	s_delay_alu instid0(VALU_DEP_1) | instskip(NEXT) | instid1(SALU_CYCLE_1)
	s_or_b32 s9, s9, s10
	s_and_saveexec_b32 s17, s9
	s_cbranch_execz .LBB36_280
; %bb.279:
	v_add_f64 v[20:21], v[20:21], -v[18:19]
	s_mov_b32 s10, 0x652b82fe
	s_mov_b32 s11, 0x3ff71547
	;; [unrolled: 1-line block ×10, first 2 shown]
	s_delay_alu instid0(VALU_DEP_1) | instskip(SKIP_3) | instid1(VALU_DEP_2)
	v_mul_f64 v[22:23], v[20:21], s[10:11]
	s_mov_b32 s10, 0xfca7ab0c
	s_mov_b32 s11, 0x3e928af3
	v_cmp_nlt_f64_e64 s9, 0x40900000, v[20:21]
	v_rndne_f64_e32 v[22:23], v[22:23]
	s_delay_alu instid0(VALU_DEP_1) | instskip(SKIP_2) | instid1(VALU_DEP_2)
	v_fma_f64 v[24:25], v[22:23], s[12:13], v[20:21]
	v_cvt_i32_f64_e32 v28, v[22:23]
	s_mov_b32 s13, 0x3fe62e42
	v_fma_f64 v[24:25], v[22:23], s[14:15], v[24:25]
	s_mov_b32 s15, 0x3c7abc9e
	s_delay_alu instid0(VALU_DEP_1) | instskip(SKIP_4) | instid1(VALU_DEP_1)
	v_fma_f64 v[26:27], v[24:25], s[18:19], s[10:11]
	s_mov_b32 s10, 0x623fde64
	s_mov_b32 s11, 0x3ec71dee
	;; [unrolled: 1-line block ×4, first 2 shown]
	v_fma_f64 v[26:27], v[24:25], v[26:27], s[10:11]
	s_mov_b32 s10, 0x7c89e6b0
	s_mov_b32 s11, 0x3efa0199
	s_delay_alu instid0(VALU_DEP_1) | instid1(SALU_CYCLE_1)
	v_fma_f64 v[26:27], v[24:25], v[26:27], s[10:11]
	s_mov_b32 s10, 0x14761f6e
	s_mov_b32 s11, 0x3f2a01a0
	s_delay_alu instid0(VALU_DEP_1) | instid1(SALU_CYCLE_1)
	;; [unrolled: 4-line block ×7, first 2 shown]
	v_fma_f64 v[26:27], v[24:25], v[26:27], s[10:11]
	v_cmp_ngt_f64_e64 s10, 0xc090cc00, v[20:21]
	s_mov_b32 s11, 0x3fe55555
	s_delay_alu instid0(VALU_DEP_2) | instskip(NEXT) | instid1(VALU_DEP_1)
	v_fma_f64 v[26:27], v[24:25], v[26:27], 1.0
	v_fma_f64 v[22:23], v[24:25], v[26:27], 1.0
	s_delay_alu instid0(VALU_DEP_1) | instskip(NEXT) | instid1(VALU_DEP_1)
	v_ldexp_f64 v[22:23], v[22:23], v28
	v_cndmask_b32_e64 v23, 0x7ff00000, v23, s9
	s_and_b32 s9, s10, s9
	s_delay_alu instid0(VALU_DEP_2) | instid1(SALU_CYCLE_1)
	v_cndmask_b32_e64 v20, 0, v22, s9
	s_delay_alu instid0(VALU_DEP_2) | instskip(SKIP_1) | instid1(VALU_DEP_1)
	v_cndmask_b32_e64 v21, 0, v23, s10
	s_mov_b32 s10, 0x55555555
	v_add_f64 v[22:23], v[20:21], 1.0
	s_delay_alu instid0(VALU_DEP_1) | instskip(SKIP_2) | instid1(VALU_DEP_3)
	v_frexp_mant_f64_e32 v[24:25], v[22:23]
	v_frexp_exp_i32_f64_e32 v28, v[22:23]
	v_add_f64 v[26:27], v[22:23], -1.0
	v_cmp_gt_f64_e64 s9, s[10:11], v[24:25]
	s_mov_b32 s10, 0x55555780
	s_delay_alu instid0(VALU_DEP_2) | instskip(SKIP_1) | instid1(VALU_DEP_3)
	v_add_f64 v[24:25], v[26:27], -v[22:23]
	v_add_f64 v[26:27], v[20:21], -v[26:27]
	v_subrev_co_ci_u32_e64 v150, s9, 0, v28, s9
	s_delay_alu instid0(VALU_DEP_3) | instskip(SKIP_1) | instid1(VALU_DEP_3)
	v_add_f64 v[24:25], v[24:25], 1.0
	v_cmp_eq_f64_e64 s9, 0x7ff00000, v[20:21]
	v_sub_nc_u32_e32 v30, 0, v150
	s_delay_alu instid0(VALU_DEP_1) | instskip(NEXT) | instid1(VALU_DEP_4)
	v_ldexp_f64 v[22:23], v[22:23], v30
	v_add_f64 v[24:25], v[26:27], v[24:25]
	s_delay_alu instid0(VALU_DEP_2) | instskip(SKIP_1) | instid1(VALU_DEP_3)
	v_add_f64 v[28:29], v[22:23], 1.0
	v_add_f64 v[131:132], v[22:23], -1.0
	v_ldexp_f64 v[24:25], v[24:25], v30
	s_delay_alu instid0(VALU_DEP_3) | instskip(NEXT) | instid1(VALU_DEP_3)
	v_add_f64 v[26:27], v[28:29], -1.0
	v_add_f64 v[133:134], v[131:132], 1.0
	s_delay_alu instid0(VALU_DEP_2) | instskip(NEXT) | instid1(VALU_DEP_2)
	v_add_f64 v[26:27], v[22:23], -v[26:27]
	v_add_f64 v[22:23], v[22:23], -v[133:134]
	s_delay_alu instid0(VALU_DEP_2) | instskip(NEXT) | instid1(VALU_DEP_2)
	v_add_f64 v[26:27], v[24:25], v[26:27]
	v_add_f64 v[22:23], v[24:25], v[22:23]
	s_delay_alu instid0(VALU_DEP_2) | instskip(NEXT) | instid1(VALU_DEP_2)
	v_add_f64 v[30:31], v[28:29], v[26:27]
	v_add_f64 v[133:134], v[131:132], v[22:23]
	s_delay_alu instid0(VALU_DEP_2) | instskip(SKIP_1) | instid1(VALU_DEP_2)
	v_rcp_f64_e32 v[48:49], v[30:31]
	v_add_f64 v[28:29], v[30:31], -v[28:29]
	v_add_f64 v[131:132], v[133:134], -v[131:132]
	s_delay_alu instid0(VALU_DEP_2) | instskip(SKIP_3) | instid1(VALU_DEP_2)
	v_add_f64 v[26:27], v[26:27], -v[28:29]
	s_waitcnt_depctr 0xfff
	v_fma_f64 v[144:145], -v[30:31], v[48:49], 1.0
	v_add_f64 v[22:23], v[22:23], -v[131:132]
	v_fma_f64 v[48:49], v[144:145], v[48:49], v[48:49]
	s_delay_alu instid0(VALU_DEP_1) | instskip(NEXT) | instid1(VALU_DEP_1)
	v_fma_f64 v[24:25], -v[30:31], v[48:49], 1.0
	v_fma_f64 v[24:25], v[24:25], v[48:49], v[48:49]
	s_delay_alu instid0(VALU_DEP_1) | instskip(NEXT) | instid1(VALU_DEP_1)
	v_mul_f64 v[48:49], v[133:134], v[24:25]
	v_mul_f64 v[144:145], v[30:31], v[48:49]
	s_delay_alu instid0(VALU_DEP_1) | instskip(NEXT) | instid1(VALU_DEP_1)
	v_fma_f64 v[28:29], v[48:49], v[30:31], -v[144:145]
	v_fma_f64 v[28:29], v[48:49], v[26:27], v[28:29]
	s_delay_alu instid0(VALU_DEP_1) | instskip(NEXT) | instid1(VALU_DEP_1)
	v_add_f64 v[146:147], v[144:145], v[28:29]
	v_add_f64 v[148:149], v[133:134], -v[146:147]
	v_add_f64 v[131:132], v[146:147], -v[144:145]
	s_delay_alu instid0(VALU_DEP_2) | instskip(NEXT) | instid1(VALU_DEP_2)
	v_add_f64 v[133:134], v[133:134], -v[148:149]
	v_add_f64 v[28:29], v[131:132], -v[28:29]
	s_delay_alu instid0(VALU_DEP_2) | instskip(NEXT) | instid1(VALU_DEP_1)
	v_add_f64 v[133:134], v[133:134], -v[146:147]
	v_add_f64 v[22:23], v[22:23], v[133:134]
	s_delay_alu instid0(VALU_DEP_1) | instskip(NEXT) | instid1(VALU_DEP_1)
	v_add_f64 v[22:23], v[28:29], v[22:23]
	v_add_f64 v[28:29], v[148:149], v[22:23]
	s_delay_alu instid0(VALU_DEP_1) | instskip(SKIP_1) | instid1(VALU_DEP_2)
	v_mul_f64 v[131:132], v[24:25], v[28:29]
	v_add_f64 v[146:147], v[148:149], -v[28:29]
	v_mul_f64 v[133:134], v[30:31], v[131:132]
	s_delay_alu instid0(VALU_DEP_2) | instskip(NEXT) | instid1(VALU_DEP_2)
	v_add_f64 v[22:23], v[22:23], v[146:147]
	v_fma_f64 v[30:31], v[131:132], v[30:31], -v[133:134]
	s_delay_alu instid0(VALU_DEP_1) | instskip(NEXT) | instid1(VALU_DEP_1)
	v_fma_f64 v[26:27], v[131:132], v[26:27], v[30:31]
	v_add_f64 v[30:31], v[133:134], v[26:27]
	s_delay_alu instid0(VALU_DEP_1) | instskip(SKIP_1) | instid1(VALU_DEP_2)
	v_add_f64 v[144:145], v[28:29], -v[30:31]
	v_add_f64 v[133:134], v[30:31], -v[133:134]
	;; [unrolled: 1-line block ×3, first 2 shown]
	s_delay_alu instid0(VALU_DEP_2) | instskip(NEXT) | instid1(VALU_DEP_2)
	v_add_f64 v[26:27], v[133:134], -v[26:27]
	v_add_f64 v[28:29], v[28:29], -v[30:31]
	s_delay_alu instid0(VALU_DEP_1) | instskip(SKIP_1) | instid1(VALU_DEP_2)
	v_add_f64 v[22:23], v[22:23], v[28:29]
	v_add_f64 v[28:29], v[48:49], v[131:132]
	;; [unrolled: 1-line block ×3, first 2 shown]
	s_delay_alu instid0(VALU_DEP_2) | instskip(NEXT) | instid1(VALU_DEP_2)
	v_add_f64 v[26:27], v[28:29], -v[48:49]
	v_add_f64 v[22:23], v[144:145], v[22:23]
	s_delay_alu instid0(VALU_DEP_2) | instskip(NEXT) | instid1(VALU_DEP_2)
	v_add_f64 v[26:27], v[131:132], -v[26:27]
	v_mul_f64 v[22:23], v[24:25], v[22:23]
	s_delay_alu instid0(VALU_DEP_1) | instskip(NEXT) | instid1(VALU_DEP_1)
	v_add_f64 v[22:23], v[26:27], v[22:23]
	v_add_f64 v[24:25], v[28:29], v[22:23]
	s_delay_alu instid0(VALU_DEP_1) | instskip(NEXT) | instid1(VALU_DEP_1)
	v_mul_f64 v[26:27], v[24:25], v[24:25]
	v_fma_f64 v[30:31], v[26:27], s[20:21], s[18:19]
	s_mov_b32 s18, 0xd7f4df2e
	s_mov_b32 s19, 0x3fc7474d
	v_mul_f64 v[48:49], v[24:25], v[26:27]
	s_delay_alu instid0(VALU_DEP_2)
	v_fma_f64 v[30:31], v[26:27], v[30:31], s[18:19]
	s_mov_b32 s18, 0x16291751
	s_mov_b32 s19, 0x3fcc71c0
	s_delay_alu instid0(VALU_DEP_1) | instid1(SALU_CYCLE_1)
	v_fma_f64 v[30:31], v[26:27], v[30:31], s[18:19]
	s_mov_b32 s18, 0x9b27acf1
	s_mov_b32 s19, 0x3fd24924
	s_delay_alu instid0(VALU_DEP_1) | instid1(SALU_CYCLE_1)
	;; [unrolled: 4-line block ×3, first 2 shown]
	v_fma_f64 v[30:31], v[26:27], v[30:31], s[18:19]
	s_delay_alu instid0(VALU_DEP_1) | instskip(SKIP_2) | instid1(VALU_DEP_3)
	v_fma_f64 v[26:27], v[26:27], v[30:31], s[10:11]
	v_ldexp_f64 v[30:31], v[24:25], 1
	v_add_f64 v[24:25], v[24:25], -v[28:29]
	v_mul_f64 v[26:27], v[48:49], v[26:27]
	v_cvt_f64_i32_e32 v[48:49], v150
	s_delay_alu instid0(VALU_DEP_3) | instskip(NEXT) | instid1(VALU_DEP_3)
	v_add_f64 v[22:23], v[22:23], -v[24:25]
	v_add_f64 v[28:29], v[30:31], v[26:27]
	s_delay_alu instid0(VALU_DEP_3) | instskip(NEXT) | instid1(VALU_DEP_3)
	v_mul_f64 v[131:132], v[48:49], s[12:13]
	v_ldexp_f64 v[22:23], v[22:23], 1
	s_delay_alu instid0(VALU_DEP_3) | instskip(NEXT) | instid1(VALU_DEP_3)
	v_add_f64 v[24:25], v[28:29], -v[30:31]
	v_fma_f64 v[30:31], v[48:49], s[12:13], -v[131:132]
	s_delay_alu instid0(VALU_DEP_2) | instskip(NEXT) | instid1(VALU_DEP_2)
	v_add_f64 v[24:25], v[26:27], -v[24:25]
	v_fma_f64 v[26:27], v[48:49], s[14:15], v[30:31]
	s_delay_alu instid0(VALU_DEP_2) | instskip(NEXT) | instid1(VALU_DEP_2)
	v_add_f64 v[22:23], v[22:23], v[24:25]
	v_add_f64 v[24:25], v[131:132], v[26:27]
	s_delay_alu instid0(VALU_DEP_2) | instskip(NEXT) | instid1(VALU_DEP_2)
	v_add_f64 v[30:31], v[28:29], v[22:23]
	v_add_f64 v[131:132], v[24:25], -v[131:132]
	s_delay_alu instid0(VALU_DEP_2) | instskip(SKIP_1) | instid1(VALU_DEP_3)
	v_add_f64 v[48:49], v[24:25], v[30:31]
	v_add_f64 v[28:29], v[30:31], -v[28:29]
	v_add_f64 v[26:27], v[26:27], -v[131:132]
	s_delay_alu instid0(VALU_DEP_3) | instskip(NEXT) | instid1(VALU_DEP_3)
	v_add_f64 v[133:134], v[48:49], -v[24:25]
	v_add_f64 v[22:23], v[22:23], -v[28:29]
	s_delay_alu instid0(VALU_DEP_2) | instskip(SKIP_1) | instid1(VALU_DEP_3)
	v_add_f64 v[144:145], v[48:49], -v[133:134]
	v_add_f64 v[28:29], v[30:31], -v[133:134]
	v_add_f64 v[30:31], v[26:27], v[22:23]
	s_delay_alu instid0(VALU_DEP_3) | instskip(NEXT) | instid1(VALU_DEP_1)
	v_add_f64 v[24:25], v[24:25], -v[144:145]
	v_add_f64 v[24:25], v[28:29], v[24:25]
	s_delay_alu instid0(VALU_DEP_3) | instskip(NEXT) | instid1(VALU_DEP_2)
	v_add_f64 v[28:29], v[30:31], -v[26:27]
	v_add_f64 v[24:25], v[30:31], v[24:25]
	s_delay_alu instid0(VALU_DEP_2) | instskip(SKIP_1) | instid1(VALU_DEP_3)
	v_add_f64 v[30:31], v[30:31], -v[28:29]
	v_add_f64 v[22:23], v[22:23], -v[28:29]
	v_add_f64 v[131:132], v[48:49], v[24:25]
	s_delay_alu instid0(VALU_DEP_3) | instskip(NEXT) | instid1(VALU_DEP_2)
	v_add_f64 v[26:27], v[26:27], -v[30:31]
	v_add_f64 v[28:29], v[131:132], -v[48:49]
	s_delay_alu instid0(VALU_DEP_2) | instskip(NEXT) | instid1(VALU_DEP_2)
	v_add_f64 v[22:23], v[22:23], v[26:27]
	v_add_f64 v[24:25], v[24:25], -v[28:29]
	s_delay_alu instid0(VALU_DEP_1) | instskip(NEXT) | instid1(VALU_DEP_1)
	v_add_f64 v[22:23], v[22:23], v[24:25]
	v_add_f64 v[22:23], v[131:132], v[22:23]
	s_delay_alu instid0(VALU_DEP_1) | instskip(NEXT) | instid1(VALU_DEP_2)
	v_cndmask_b32_e64 v22, v22, v20, s9
	v_cndmask_b32_e64 v23, v23, v21, s9
	v_cmp_ngt_f64_e64 s9, -1.0, v[20:21]
	s_delay_alu instid0(VALU_DEP_1) | instskip(SKIP_1) | instid1(VALU_DEP_1)
	v_cndmask_b32_e64 v23, 0x7ff80000, v23, s9
	v_cmp_nge_f64_e64 s9, -1.0, v[20:21]
	v_cndmask_b32_e64 v22, 0, v22, s9
	v_cmp_neq_f64_e64 s9, -1.0, v[20:21]
	s_delay_alu instid0(VALU_DEP_1) | instskip(NEXT) | instid1(VALU_DEP_1)
	v_cndmask_b32_e64 v23, 0xfff00000, v23, s9
	v_add_f64 v[48:49], v[18:19], v[22:23]
.LBB36_280:
	s_or_b32 exec_lo, exec_lo, s17
	v_max_f64 v[18:19], v[86:87], v[86:87]
	s_delay_alu instid0(VALU_DEP_2) | instskip(SKIP_2) | instid1(VALU_DEP_3)
	v_max_f64 v[20:21], v[48:49], v[48:49]
	v_cmp_u_f64_e64 s10, v[48:49], v[48:49]
	v_cmp_u_f64_e64 s9, v[86:87], v[86:87]
	v_min_f64 v[22:23], v[20:21], v[18:19]
	v_max_f64 v[20:21], v[20:21], v[18:19]
	s_delay_alu instid0(VALU_DEP_2) | instskip(NEXT) | instid1(VALU_DEP_3)
	v_cndmask_b32_e64 v22, v22, v48, s10
	v_cndmask_b32_e64 v23, v23, v49, s10
	s_delay_alu instid0(VALU_DEP_3) | instskip(NEXT) | instid1(VALU_DEP_4)
	v_cndmask_b32_e64 v21, v21, v49, s10
	v_cndmask_b32_e64 v20, v20, v48, s10
	s_delay_alu instid0(VALU_DEP_4) | instskip(NEXT) | instid1(VALU_DEP_4)
	v_cndmask_b32_e64 v22, v22, v86, s9
	v_cndmask_b32_e64 v23, v23, v87, s9
	s_delay_alu instid0(VALU_DEP_4) | instskip(NEXT) | instid1(VALU_DEP_4)
	v_cndmask_b32_e64 v21, v21, v87, s9
	v_cndmask_b32_e64 v20, v20, v86, s9
	s_delay_alu instid0(VALU_DEP_3) | instskip(NEXT) | instid1(VALU_DEP_2)
	v_cmp_class_f64_e64 s11, v[22:23], 0x1f8
	v_cmp_neq_f64_e64 s10, v[22:23], v[20:21]
	s_delay_alu instid0(VALU_DEP_1) | instskip(NEXT) | instid1(SALU_CYCLE_1)
	s_or_b32 s10, s10, s11
	s_and_saveexec_b32 s17, s10
	s_cbranch_execz .LBB36_282
; %bb.281:
	v_add_f64 v[22:23], v[22:23], -v[20:21]
	s_mov_b32 s10, 0x652b82fe
	s_mov_b32 s11, 0x3ff71547
	;; [unrolled: 1-line block ×10, first 2 shown]
	s_delay_alu instid0(VALU_DEP_1) | instskip(SKIP_2) | instid1(VALU_DEP_1)
	v_mul_f64 v[24:25], v[22:23], s[10:11]
	s_mov_b32 s10, 0xfca7ab0c
	s_mov_b32 s11, 0x3e928af3
	v_rndne_f64_e32 v[24:25], v[24:25]
	s_delay_alu instid0(VALU_DEP_1) | instskip(SKIP_2) | instid1(VALU_DEP_2)
	v_fma_f64 v[26:27], v[24:25], s[12:13], v[22:23]
	v_cvt_i32_f64_e32 v30, v[24:25]
	s_mov_b32 s13, 0x3fe62e42
	v_fma_f64 v[26:27], v[24:25], s[14:15], v[26:27]
	s_mov_b32 s15, 0x3c7abc9e
	s_delay_alu instid0(VALU_DEP_1) | instskip(SKIP_4) | instid1(VALU_DEP_1)
	v_fma_f64 v[28:29], v[26:27], s[18:19], s[10:11]
	s_mov_b32 s10, 0x623fde64
	s_mov_b32 s11, 0x3ec71dee
	;; [unrolled: 1-line block ×4, first 2 shown]
	v_fma_f64 v[28:29], v[26:27], v[28:29], s[10:11]
	s_mov_b32 s10, 0x7c89e6b0
	s_mov_b32 s11, 0x3efa0199
	s_delay_alu instid0(VALU_DEP_1) | instid1(SALU_CYCLE_1)
	v_fma_f64 v[28:29], v[26:27], v[28:29], s[10:11]
	s_mov_b32 s10, 0x14761f6e
	s_mov_b32 s11, 0x3f2a01a0
	s_delay_alu instid0(VALU_DEP_1) | instid1(SALU_CYCLE_1)
	;; [unrolled: 4-line block ×7, first 2 shown]
	v_fma_f64 v[28:29], v[26:27], v[28:29], s[10:11]
	v_cmp_nlt_f64_e64 s10, 0x40900000, v[22:23]
	v_cmp_ngt_f64_e64 s11, 0xc090cc00, v[22:23]
	s_delay_alu instid0(VALU_DEP_3) | instskip(NEXT) | instid1(VALU_DEP_1)
	v_fma_f64 v[28:29], v[26:27], v[28:29], 1.0
	v_fma_f64 v[24:25], v[26:27], v[28:29], 1.0
	s_delay_alu instid0(VALU_DEP_1) | instskip(NEXT) | instid1(VALU_DEP_1)
	v_ldexp_f64 v[24:25], v[24:25], v30
	v_cndmask_b32_e64 v25, 0x7ff00000, v25, s10
	s_and_b32 s10, s11, s10
	s_delay_alu instid0(VALU_DEP_2) | instid1(SALU_CYCLE_1)
	v_cndmask_b32_e64 v22, 0, v24, s10
	s_mov_b32 s10, 0x55555555
	s_delay_alu instid0(VALU_DEP_2) | instskip(SKIP_1) | instid1(VALU_DEP_1)
	v_cndmask_b32_e64 v23, 0, v25, s11
	s_mov_b32 s11, 0x3fe55555
	v_add_f64 v[24:25], v[22:23], 1.0
	s_delay_alu instid0(VALU_DEP_1) | instskip(SKIP_2) | instid1(VALU_DEP_3)
	v_frexp_mant_f64_e32 v[26:27], v[24:25]
	v_frexp_exp_i32_f64_e32 v30, v[24:25]
	v_add_f64 v[28:29], v[24:25], -1.0
	v_cmp_gt_f64_e64 s10, s[10:11], v[26:27]
	s_delay_alu instid0(VALU_DEP_2) | instskip(SKIP_1) | instid1(VALU_DEP_3)
	v_add_f64 v[26:27], v[28:29], -v[24:25]
	v_add_f64 v[28:29], v[22:23], -v[28:29]
	v_subrev_co_ci_u32_e64 v160, s10, 0, v30, s10
	s_delay_alu instid0(VALU_DEP_3) | instskip(SKIP_1) | instid1(VALU_DEP_2)
	v_add_f64 v[26:27], v[26:27], 1.0
	s_mov_b32 s10, 0x55555780
	v_sub_nc_u32_e32 v48, 0, v160
	s_delay_alu instid0(VALU_DEP_1) | instskip(NEXT) | instid1(VALU_DEP_3)
	v_ldexp_f64 v[24:25], v[24:25], v48
	v_add_f64 v[26:27], v[28:29], v[26:27]
	s_delay_alu instid0(VALU_DEP_2) | instskip(SKIP_1) | instid1(VALU_DEP_3)
	v_add_f64 v[30:31], v[24:25], 1.0
	v_add_f64 v[133:134], v[24:25], -1.0
	v_ldexp_f64 v[26:27], v[26:27], v48
	s_delay_alu instid0(VALU_DEP_3) | instskip(NEXT) | instid1(VALU_DEP_3)
	v_add_f64 v[28:29], v[30:31], -1.0
	v_add_f64 v[144:145], v[133:134], 1.0
	s_delay_alu instid0(VALU_DEP_2) | instskip(NEXT) | instid1(VALU_DEP_2)
	v_add_f64 v[28:29], v[24:25], -v[28:29]
	v_add_f64 v[24:25], v[24:25], -v[144:145]
	s_delay_alu instid0(VALU_DEP_2) | instskip(NEXT) | instid1(VALU_DEP_2)
	v_add_f64 v[28:29], v[26:27], v[28:29]
	v_add_f64 v[24:25], v[26:27], v[24:25]
	s_delay_alu instid0(VALU_DEP_2) | instskip(NEXT) | instid1(VALU_DEP_2)
	v_add_f64 v[48:49], v[30:31], v[28:29]
	v_add_f64 v[144:145], v[133:134], v[24:25]
	s_delay_alu instid0(VALU_DEP_2) | instskip(SKIP_1) | instid1(VALU_DEP_2)
	v_rcp_f64_e32 v[131:132], v[48:49]
	v_add_f64 v[30:31], v[48:49], -v[30:31]
	v_add_f64 v[133:134], v[144:145], -v[133:134]
	s_delay_alu instid0(VALU_DEP_2) | instskip(SKIP_3) | instid1(VALU_DEP_2)
	v_add_f64 v[28:29], v[28:29], -v[30:31]
	s_waitcnt_depctr 0xfff
	v_fma_f64 v[146:147], -v[48:49], v[131:132], 1.0
	v_add_f64 v[24:25], v[24:25], -v[133:134]
	v_fma_f64 v[131:132], v[146:147], v[131:132], v[131:132]
	s_delay_alu instid0(VALU_DEP_1) | instskip(NEXT) | instid1(VALU_DEP_1)
	v_fma_f64 v[26:27], -v[48:49], v[131:132], 1.0
	v_fma_f64 v[26:27], v[26:27], v[131:132], v[131:132]
	s_delay_alu instid0(VALU_DEP_1) | instskip(NEXT) | instid1(VALU_DEP_1)
	v_mul_f64 v[131:132], v[144:145], v[26:27]
	v_mul_f64 v[146:147], v[48:49], v[131:132]
	s_delay_alu instid0(VALU_DEP_1) | instskip(NEXT) | instid1(VALU_DEP_1)
	v_fma_f64 v[30:31], v[131:132], v[48:49], -v[146:147]
	v_fma_f64 v[30:31], v[131:132], v[28:29], v[30:31]
	s_delay_alu instid0(VALU_DEP_1) | instskip(NEXT) | instid1(VALU_DEP_1)
	v_add_f64 v[148:149], v[146:147], v[30:31]
	v_add_f64 v[150:151], v[144:145], -v[148:149]
	v_add_f64 v[133:134], v[148:149], -v[146:147]
	s_delay_alu instid0(VALU_DEP_2) | instskip(NEXT) | instid1(VALU_DEP_2)
	v_add_f64 v[144:145], v[144:145], -v[150:151]
	v_add_f64 v[30:31], v[133:134], -v[30:31]
	s_delay_alu instid0(VALU_DEP_2) | instskip(NEXT) | instid1(VALU_DEP_1)
	v_add_f64 v[144:145], v[144:145], -v[148:149]
	v_add_f64 v[24:25], v[24:25], v[144:145]
	s_delay_alu instid0(VALU_DEP_1) | instskip(NEXT) | instid1(VALU_DEP_1)
	v_add_f64 v[24:25], v[30:31], v[24:25]
	v_add_f64 v[30:31], v[150:151], v[24:25]
	s_delay_alu instid0(VALU_DEP_1) | instskip(SKIP_1) | instid1(VALU_DEP_2)
	v_mul_f64 v[133:134], v[26:27], v[30:31]
	v_add_f64 v[148:149], v[150:151], -v[30:31]
	v_mul_f64 v[144:145], v[48:49], v[133:134]
	s_delay_alu instid0(VALU_DEP_2) | instskip(NEXT) | instid1(VALU_DEP_2)
	v_add_f64 v[24:25], v[24:25], v[148:149]
	v_fma_f64 v[48:49], v[133:134], v[48:49], -v[144:145]
	s_delay_alu instid0(VALU_DEP_1) | instskip(NEXT) | instid1(VALU_DEP_1)
	v_fma_f64 v[28:29], v[133:134], v[28:29], v[48:49]
	v_add_f64 v[48:49], v[144:145], v[28:29]
	s_delay_alu instid0(VALU_DEP_1) | instskip(SKIP_1) | instid1(VALU_DEP_2)
	v_add_f64 v[146:147], v[30:31], -v[48:49]
	v_add_f64 v[144:145], v[48:49], -v[144:145]
	;; [unrolled: 1-line block ×3, first 2 shown]
	s_delay_alu instid0(VALU_DEP_2) | instskip(NEXT) | instid1(VALU_DEP_2)
	v_add_f64 v[28:29], v[144:145], -v[28:29]
	v_add_f64 v[30:31], v[30:31], -v[48:49]
	s_delay_alu instid0(VALU_DEP_1) | instskip(SKIP_1) | instid1(VALU_DEP_2)
	v_add_f64 v[24:25], v[24:25], v[30:31]
	v_add_f64 v[30:31], v[131:132], v[133:134]
	;; [unrolled: 1-line block ×3, first 2 shown]
	s_delay_alu instid0(VALU_DEP_2) | instskip(NEXT) | instid1(VALU_DEP_2)
	v_add_f64 v[28:29], v[30:31], -v[131:132]
	v_add_f64 v[24:25], v[146:147], v[24:25]
	s_delay_alu instid0(VALU_DEP_2) | instskip(NEXT) | instid1(VALU_DEP_2)
	v_add_f64 v[28:29], v[133:134], -v[28:29]
	v_mul_f64 v[24:25], v[26:27], v[24:25]
	s_delay_alu instid0(VALU_DEP_1) | instskip(NEXT) | instid1(VALU_DEP_1)
	v_add_f64 v[24:25], v[28:29], v[24:25]
	v_add_f64 v[26:27], v[30:31], v[24:25]
	s_delay_alu instid0(VALU_DEP_1) | instskip(NEXT) | instid1(VALU_DEP_1)
	v_mul_f64 v[28:29], v[26:27], v[26:27]
	v_fma_f64 v[48:49], v[28:29], s[20:21], s[18:19]
	s_mov_b32 s18, 0xd7f4df2e
	s_mov_b32 s19, 0x3fc7474d
	v_mul_f64 v[131:132], v[26:27], v[28:29]
	s_delay_alu instid0(VALU_DEP_2)
	v_fma_f64 v[48:49], v[28:29], v[48:49], s[18:19]
	s_mov_b32 s18, 0x16291751
	s_mov_b32 s19, 0x3fcc71c0
	s_delay_alu instid0(VALU_DEP_1) | instid1(SALU_CYCLE_1)
	v_fma_f64 v[48:49], v[28:29], v[48:49], s[18:19]
	s_mov_b32 s18, 0x9b27acf1
	s_mov_b32 s19, 0x3fd24924
	s_delay_alu instid0(VALU_DEP_1) | instid1(SALU_CYCLE_1)
	v_fma_f64 v[48:49], v[28:29], v[48:49], s[18:19]
	s_mov_b32 s18, 0x998ef7b6
	s_mov_b32 s19, 0x3fd99999
	s_delay_alu instid0(VALU_DEP_1) | instid1(SALU_CYCLE_1)
	v_fma_f64 v[48:49], v[28:29], v[48:49], s[18:19]
	s_delay_alu instid0(VALU_DEP_1) | instskip(SKIP_3) | instid1(VALU_DEP_4)
	v_fma_f64 v[28:29], v[28:29], v[48:49], s[10:11]
	v_ldexp_f64 v[48:49], v[26:27], 1
	v_add_f64 v[26:27], v[26:27], -v[30:31]
	v_cmp_eq_f64_e64 s10, 0x7ff00000, v[22:23]
	v_mul_f64 v[28:29], v[131:132], v[28:29]
	v_cvt_f64_i32_e32 v[131:132], v160
	s_delay_alu instid0(VALU_DEP_4) | instskip(NEXT) | instid1(VALU_DEP_3)
	v_add_f64 v[24:25], v[24:25], -v[26:27]
	v_add_f64 v[30:31], v[48:49], v[28:29]
	s_delay_alu instid0(VALU_DEP_3) | instskip(NEXT) | instid1(VALU_DEP_3)
	v_mul_f64 v[133:134], v[131:132], s[12:13]
	v_ldexp_f64 v[24:25], v[24:25], 1
	s_delay_alu instid0(VALU_DEP_3) | instskip(NEXT) | instid1(VALU_DEP_3)
	v_add_f64 v[26:27], v[30:31], -v[48:49]
	v_fma_f64 v[48:49], v[131:132], s[12:13], -v[133:134]
	s_delay_alu instid0(VALU_DEP_2) | instskip(NEXT) | instid1(VALU_DEP_2)
	v_add_f64 v[26:27], v[28:29], -v[26:27]
	v_fma_f64 v[28:29], v[131:132], s[14:15], v[48:49]
	s_delay_alu instid0(VALU_DEP_2) | instskip(NEXT) | instid1(VALU_DEP_2)
	v_add_f64 v[24:25], v[24:25], v[26:27]
	v_add_f64 v[26:27], v[133:134], v[28:29]
	s_delay_alu instid0(VALU_DEP_2) | instskip(NEXT) | instid1(VALU_DEP_2)
	v_add_f64 v[48:49], v[30:31], v[24:25]
	v_add_f64 v[133:134], v[26:27], -v[133:134]
	s_delay_alu instid0(VALU_DEP_2) | instskip(SKIP_1) | instid1(VALU_DEP_3)
	v_add_f64 v[131:132], v[26:27], v[48:49]
	v_add_f64 v[30:31], v[48:49], -v[30:31]
	v_add_f64 v[28:29], v[28:29], -v[133:134]
	s_delay_alu instid0(VALU_DEP_3) | instskip(NEXT) | instid1(VALU_DEP_3)
	v_add_f64 v[144:145], v[131:132], -v[26:27]
	v_add_f64 v[24:25], v[24:25], -v[30:31]
	s_delay_alu instid0(VALU_DEP_2) | instskip(SKIP_1) | instid1(VALU_DEP_3)
	v_add_f64 v[146:147], v[131:132], -v[144:145]
	v_add_f64 v[30:31], v[48:49], -v[144:145]
	v_add_f64 v[48:49], v[28:29], v[24:25]
	s_delay_alu instid0(VALU_DEP_3) | instskip(NEXT) | instid1(VALU_DEP_1)
	v_add_f64 v[26:27], v[26:27], -v[146:147]
	v_add_f64 v[26:27], v[30:31], v[26:27]
	s_delay_alu instid0(VALU_DEP_3) | instskip(NEXT) | instid1(VALU_DEP_2)
	v_add_f64 v[30:31], v[48:49], -v[28:29]
	v_add_f64 v[26:27], v[48:49], v[26:27]
	s_delay_alu instid0(VALU_DEP_2) | instskip(SKIP_1) | instid1(VALU_DEP_3)
	v_add_f64 v[48:49], v[48:49], -v[30:31]
	v_add_f64 v[24:25], v[24:25], -v[30:31]
	v_add_f64 v[133:134], v[131:132], v[26:27]
	s_delay_alu instid0(VALU_DEP_3) | instskip(NEXT) | instid1(VALU_DEP_2)
	v_add_f64 v[28:29], v[28:29], -v[48:49]
	v_add_f64 v[30:31], v[133:134], -v[131:132]
	s_delay_alu instid0(VALU_DEP_2) | instskip(NEXT) | instid1(VALU_DEP_2)
	v_add_f64 v[24:25], v[24:25], v[28:29]
	v_add_f64 v[26:27], v[26:27], -v[30:31]
	s_delay_alu instid0(VALU_DEP_1) | instskip(NEXT) | instid1(VALU_DEP_1)
	v_add_f64 v[24:25], v[24:25], v[26:27]
	v_add_f64 v[24:25], v[133:134], v[24:25]
	s_delay_alu instid0(VALU_DEP_1) | instskip(NEXT) | instid1(VALU_DEP_2)
	v_cndmask_b32_e64 v24, v24, v22, s10
	v_cndmask_b32_e64 v25, v25, v23, s10
	v_cmp_ngt_f64_e64 s10, -1.0, v[22:23]
	s_delay_alu instid0(VALU_DEP_1) | instskip(SKIP_1) | instid1(VALU_DEP_1)
	v_cndmask_b32_e64 v25, 0x7ff80000, v25, s10
	v_cmp_nge_f64_e64 s10, -1.0, v[22:23]
	v_cndmask_b32_e64 v24, 0, v24, s10
	v_cmp_neq_f64_e64 s10, -1.0, v[22:23]
	s_delay_alu instid0(VALU_DEP_1) | instskip(NEXT) | instid1(VALU_DEP_1)
	v_cndmask_b32_e64 v25, 0xfff00000, v25, s10
	v_add_f64 v[48:49], v[20:21], v[24:25]
.LBB36_282:
	s_or_b32 exec_lo, exec_lo, s17
	v_max_f64 v[20:21], v[80:81], v[80:81]
	s_delay_alu instid0(VALU_DEP_2) | instskip(SKIP_2) | instid1(VALU_DEP_3)
	v_max_f64 v[22:23], v[48:49], v[48:49]
	v_cmp_u_f64_e64 s11, v[48:49], v[48:49]
	v_cmp_u_f64_e64 s10, v[80:81], v[80:81]
	v_min_f64 v[24:25], v[22:23], v[20:21]
	v_max_f64 v[22:23], v[22:23], v[20:21]
	s_delay_alu instid0(VALU_DEP_2) | instskip(NEXT) | instid1(VALU_DEP_3)
	v_cndmask_b32_e64 v24, v24, v48, s11
	v_cndmask_b32_e64 v25, v25, v49, s11
	s_delay_alu instid0(VALU_DEP_3) | instskip(NEXT) | instid1(VALU_DEP_4)
	v_cndmask_b32_e64 v23, v23, v49, s11
	v_cndmask_b32_e64 v22, v22, v48, s11
	s_delay_alu instid0(VALU_DEP_4) | instskip(NEXT) | instid1(VALU_DEP_4)
	v_cndmask_b32_e64 v24, v24, v80, s10
	v_cndmask_b32_e64 v25, v25, v81, s10
	s_delay_alu instid0(VALU_DEP_4) | instskip(NEXT) | instid1(VALU_DEP_4)
	v_cndmask_b32_e64 v23, v23, v81, s10
	v_cndmask_b32_e64 v22, v22, v80, s10
	s_delay_alu instid0(VALU_DEP_3) | instskip(NEXT) | instid1(VALU_DEP_2)
	v_cmp_class_f64_e64 s12, v[24:25], 0x1f8
	v_cmp_neq_f64_e64 s11, v[24:25], v[22:23]
	s_delay_alu instid0(VALU_DEP_1) | instskip(NEXT) | instid1(SALU_CYCLE_1)
	s_or_b32 s11, s11, s12
	s_and_saveexec_b32 s17, s11
	s_cbranch_execz .LBB36_284
; %bb.283:
	v_add_f64 v[24:25], v[24:25], -v[22:23]
	s_mov_b32 s12, 0x652b82fe
	s_mov_b32 s13, 0x3ff71547
	;; [unrolled: 1-line block ×10, first 2 shown]
	s_delay_alu instid0(VALU_DEP_1) | instskip(SKIP_3) | instid1(VALU_DEP_2)
	v_mul_f64 v[26:27], v[24:25], s[12:13]
	s_mov_b32 s12, 0xfca7ab0c
	s_mov_b32 s13, 0x3e928af3
	v_cmp_nlt_f64_e64 s11, 0x40900000, v[24:25]
	v_rndne_f64_e32 v[26:27], v[26:27]
	s_delay_alu instid0(VALU_DEP_1) | instskip(SKIP_2) | instid1(VALU_DEP_2)
	v_fma_f64 v[28:29], v[26:27], s[14:15], v[24:25]
	v_cvt_i32_f64_e32 v48, v[26:27]
	s_mov_b32 s15, 0x3fe62e42
	v_fma_f64 v[28:29], v[26:27], s[18:19], v[28:29]
	s_mov_b32 s19, 0x3c7abc9e
	s_delay_alu instid0(VALU_DEP_1) | instskip(SKIP_4) | instid1(VALU_DEP_1)
	v_fma_f64 v[30:31], v[28:29], s[20:21], s[12:13]
	s_mov_b32 s12, 0x623fde64
	s_mov_b32 s13, 0x3ec71dee
	;; [unrolled: 1-line block ×4, first 2 shown]
	v_fma_f64 v[30:31], v[28:29], v[30:31], s[12:13]
	s_mov_b32 s12, 0x7c89e6b0
	s_mov_b32 s13, 0x3efa0199
	s_delay_alu instid0(VALU_DEP_1) | instid1(SALU_CYCLE_1)
	v_fma_f64 v[30:31], v[28:29], v[30:31], s[12:13]
	s_mov_b32 s12, 0x14761f6e
	s_mov_b32 s13, 0x3f2a01a0
	s_delay_alu instid0(VALU_DEP_1) | instid1(SALU_CYCLE_1)
	;; [unrolled: 4-line block ×7, first 2 shown]
	v_fma_f64 v[30:31], v[28:29], v[30:31], s[12:13]
	v_cmp_ngt_f64_e64 s12, 0xc090cc00, v[24:25]
	s_mov_b32 s13, 0x3fe55555
	s_delay_alu instid0(VALU_DEP_2) | instskip(NEXT) | instid1(VALU_DEP_1)
	v_fma_f64 v[30:31], v[28:29], v[30:31], 1.0
	v_fma_f64 v[26:27], v[28:29], v[30:31], 1.0
	s_delay_alu instid0(VALU_DEP_1) | instskip(NEXT) | instid1(VALU_DEP_1)
	v_ldexp_f64 v[26:27], v[26:27], v48
	v_cndmask_b32_e64 v27, 0x7ff00000, v27, s11
	s_and_b32 s11, s12, s11
	s_delay_alu instid0(VALU_DEP_2) | instid1(SALU_CYCLE_1)
	v_cndmask_b32_e64 v24, 0, v26, s11
	s_delay_alu instid0(VALU_DEP_2) | instskip(SKIP_1) | instid1(VALU_DEP_1)
	v_cndmask_b32_e64 v25, 0, v27, s12
	s_mov_b32 s12, 0x55555555
	v_add_f64 v[26:27], v[24:25], 1.0
	s_delay_alu instid0(VALU_DEP_1) | instskip(SKIP_2) | instid1(VALU_DEP_3)
	v_frexp_mant_f64_e32 v[28:29], v[26:27]
	v_frexp_exp_i32_f64_e32 v48, v[26:27]
	v_add_f64 v[30:31], v[26:27], -1.0
	v_cmp_gt_f64_e64 s11, s[12:13], v[28:29]
	s_mov_b32 s12, 0x55555780
	s_delay_alu instid0(VALU_DEP_2) | instskip(SKIP_1) | instid1(VALU_DEP_3)
	v_add_f64 v[28:29], v[30:31], -v[26:27]
	v_add_f64 v[30:31], v[24:25], -v[30:31]
	v_subrev_co_ci_u32_e64 v162, s11, 0, v48, s11
	s_delay_alu instid0(VALU_DEP_3) | instskip(SKIP_1) | instid1(VALU_DEP_3)
	v_add_f64 v[28:29], v[28:29], 1.0
	v_cmp_eq_f64_e64 s11, 0x7ff00000, v[24:25]
	v_sub_nc_u32_e32 v131, 0, v162
	s_delay_alu instid0(VALU_DEP_1) | instskip(NEXT) | instid1(VALU_DEP_4)
	v_ldexp_f64 v[26:27], v[26:27], v131
	v_add_f64 v[28:29], v[30:31], v[28:29]
	s_delay_alu instid0(VALU_DEP_2) | instskip(SKIP_1) | instid1(VALU_DEP_3)
	v_add_f64 v[48:49], v[26:27], 1.0
	v_add_f64 v[144:145], v[26:27], -1.0
	v_ldexp_f64 v[28:29], v[28:29], v131
	s_delay_alu instid0(VALU_DEP_3) | instskip(NEXT) | instid1(VALU_DEP_3)
	v_add_f64 v[30:31], v[48:49], -1.0
	v_add_f64 v[146:147], v[144:145], 1.0
	s_delay_alu instid0(VALU_DEP_2) | instskip(NEXT) | instid1(VALU_DEP_2)
	v_add_f64 v[30:31], v[26:27], -v[30:31]
	v_add_f64 v[26:27], v[26:27], -v[146:147]
	s_delay_alu instid0(VALU_DEP_2) | instskip(NEXT) | instid1(VALU_DEP_2)
	v_add_f64 v[30:31], v[28:29], v[30:31]
	v_add_f64 v[26:27], v[28:29], v[26:27]
	s_delay_alu instid0(VALU_DEP_2) | instskip(NEXT) | instid1(VALU_DEP_2)
	v_add_f64 v[131:132], v[48:49], v[30:31]
	v_add_f64 v[146:147], v[144:145], v[26:27]
	s_delay_alu instid0(VALU_DEP_2) | instskip(SKIP_1) | instid1(VALU_DEP_2)
	v_rcp_f64_e32 v[133:134], v[131:132]
	v_add_f64 v[48:49], v[131:132], -v[48:49]
	v_add_f64 v[144:145], v[146:147], -v[144:145]
	s_delay_alu instid0(VALU_DEP_2) | instskip(SKIP_3) | instid1(VALU_DEP_2)
	v_add_f64 v[30:31], v[30:31], -v[48:49]
	s_waitcnt_depctr 0xfff
	v_fma_f64 v[148:149], -v[131:132], v[133:134], 1.0
	v_add_f64 v[26:27], v[26:27], -v[144:145]
	v_fma_f64 v[133:134], v[148:149], v[133:134], v[133:134]
	s_delay_alu instid0(VALU_DEP_1) | instskip(NEXT) | instid1(VALU_DEP_1)
	v_fma_f64 v[28:29], -v[131:132], v[133:134], 1.0
	v_fma_f64 v[28:29], v[28:29], v[133:134], v[133:134]
	s_delay_alu instid0(VALU_DEP_1) | instskip(NEXT) | instid1(VALU_DEP_1)
	v_mul_f64 v[133:134], v[146:147], v[28:29]
	v_mul_f64 v[148:149], v[131:132], v[133:134]
	s_delay_alu instid0(VALU_DEP_1) | instskip(NEXT) | instid1(VALU_DEP_1)
	v_fma_f64 v[48:49], v[133:134], v[131:132], -v[148:149]
	v_fma_f64 v[48:49], v[133:134], v[30:31], v[48:49]
	s_delay_alu instid0(VALU_DEP_1) | instskip(NEXT) | instid1(VALU_DEP_1)
	v_add_f64 v[150:151], v[148:149], v[48:49]
	v_add_f64 v[160:161], v[146:147], -v[150:151]
	v_add_f64 v[144:145], v[150:151], -v[148:149]
	s_delay_alu instid0(VALU_DEP_2) | instskip(NEXT) | instid1(VALU_DEP_2)
	v_add_f64 v[146:147], v[146:147], -v[160:161]
	v_add_f64 v[48:49], v[144:145], -v[48:49]
	s_delay_alu instid0(VALU_DEP_2) | instskip(NEXT) | instid1(VALU_DEP_1)
	v_add_f64 v[146:147], v[146:147], -v[150:151]
	v_add_f64 v[26:27], v[26:27], v[146:147]
	s_delay_alu instid0(VALU_DEP_1) | instskip(NEXT) | instid1(VALU_DEP_1)
	v_add_f64 v[26:27], v[48:49], v[26:27]
	v_add_f64 v[48:49], v[160:161], v[26:27]
	s_delay_alu instid0(VALU_DEP_1) | instskip(SKIP_1) | instid1(VALU_DEP_2)
	v_mul_f64 v[144:145], v[28:29], v[48:49]
	v_add_f64 v[150:151], v[160:161], -v[48:49]
	v_mul_f64 v[146:147], v[131:132], v[144:145]
	s_delay_alu instid0(VALU_DEP_2) | instskip(NEXT) | instid1(VALU_DEP_2)
	v_add_f64 v[26:27], v[26:27], v[150:151]
	v_fma_f64 v[131:132], v[144:145], v[131:132], -v[146:147]
	s_delay_alu instid0(VALU_DEP_1) | instskip(NEXT) | instid1(VALU_DEP_1)
	v_fma_f64 v[30:31], v[144:145], v[30:31], v[131:132]
	v_add_f64 v[131:132], v[146:147], v[30:31]
	s_delay_alu instid0(VALU_DEP_1) | instskip(SKIP_1) | instid1(VALU_DEP_2)
	v_add_f64 v[148:149], v[48:49], -v[131:132]
	v_add_f64 v[146:147], v[131:132], -v[146:147]
	;; [unrolled: 1-line block ×3, first 2 shown]
	s_delay_alu instid0(VALU_DEP_2) | instskip(NEXT) | instid1(VALU_DEP_2)
	v_add_f64 v[30:31], v[146:147], -v[30:31]
	v_add_f64 v[48:49], v[48:49], -v[131:132]
	s_delay_alu instid0(VALU_DEP_1) | instskip(SKIP_1) | instid1(VALU_DEP_2)
	v_add_f64 v[26:27], v[26:27], v[48:49]
	v_add_f64 v[48:49], v[133:134], v[144:145]
	;; [unrolled: 1-line block ×3, first 2 shown]
	s_delay_alu instid0(VALU_DEP_2) | instskip(NEXT) | instid1(VALU_DEP_2)
	v_add_f64 v[30:31], v[48:49], -v[133:134]
	v_add_f64 v[26:27], v[148:149], v[26:27]
	s_delay_alu instid0(VALU_DEP_2) | instskip(NEXT) | instid1(VALU_DEP_2)
	v_add_f64 v[30:31], v[144:145], -v[30:31]
	v_mul_f64 v[26:27], v[28:29], v[26:27]
	s_delay_alu instid0(VALU_DEP_1) | instskip(NEXT) | instid1(VALU_DEP_1)
	v_add_f64 v[26:27], v[30:31], v[26:27]
	v_add_f64 v[28:29], v[48:49], v[26:27]
	s_delay_alu instid0(VALU_DEP_1) | instskip(NEXT) | instid1(VALU_DEP_1)
	v_mul_f64 v[30:31], v[28:29], v[28:29]
	v_fma_f64 v[131:132], v[30:31], s[22:23], s[20:21]
	s_mov_b32 s20, 0xd7f4df2e
	s_mov_b32 s21, 0x3fc7474d
	v_mul_f64 v[133:134], v[28:29], v[30:31]
	s_delay_alu instid0(VALU_DEP_2)
	v_fma_f64 v[131:132], v[30:31], v[131:132], s[20:21]
	s_mov_b32 s20, 0x16291751
	s_mov_b32 s21, 0x3fcc71c0
	s_delay_alu instid0(VALU_DEP_1) | instid1(SALU_CYCLE_1)
	v_fma_f64 v[131:132], v[30:31], v[131:132], s[20:21]
	s_mov_b32 s20, 0x9b27acf1
	s_mov_b32 s21, 0x3fd24924
	s_delay_alu instid0(VALU_DEP_1) | instid1(SALU_CYCLE_1)
	;; [unrolled: 4-line block ×3, first 2 shown]
	v_fma_f64 v[131:132], v[30:31], v[131:132], s[20:21]
	s_delay_alu instid0(VALU_DEP_1) | instskip(SKIP_2) | instid1(VALU_DEP_3)
	v_fma_f64 v[30:31], v[30:31], v[131:132], s[12:13]
	v_ldexp_f64 v[131:132], v[28:29], 1
	v_add_f64 v[28:29], v[28:29], -v[48:49]
	v_mul_f64 v[30:31], v[133:134], v[30:31]
	v_cvt_f64_i32_e32 v[133:134], v162
	s_delay_alu instid0(VALU_DEP_3) | instskip(NEXT) | instid1(VALU_DEP_3)
	v_add_f64 v[26:27], v[26:27], -v[28:29]
	v_add_f64 v[48:49], v[131:132], v[30:31]
	s_delay_alu instid0(VALU_DEP_3) | instskip(NEXT) | instid1(VALU_DEP_3)
	v_mul_f64 v[144:145], v[133:134], s[14:15]
	v_ldexp_f64 v[26:27], v[26:27], 1
	s_delay_alu instid0(VALU_DEP_3) | instskip(NEXT) | instid1(VALU_DEP_3)
	v_add_f64 v[28:29], v[48:49], -v[131:132]
	v_fma_f64 v[131:132], v[133:134], s[14:15], -v[144:145]
	s_delay_alu instid0(VALU_DEP_2) | instskip(NEXT) | instid1(VALU_DEP_2)
	v_add_f64 v[28:29], v[30:31], -v[28:29]
	v_fma_f64 v[30:31], v[133:134], s[18:19], v[131:132]
	s_delay_alu instid0(VALU_DEP_2) | instskip(NEXT) | instid1(VALU_DEP_2)
	v_add_f64 v[26:27], v[26:27], v[28:29]
	v_add_f64 v[28:29], v[144:145], v[30:31]
	s_delay_alu instid0(VALU_DEP_2) | instskip(NEXT) | instid1(VALU_DEP_2)
	v_add_f64 v[131:132], v[48:49], v[26:27]
	v_add_f64 v[144:145], v[28:29], -v[144:145]
	s_delay_alu instid0(VALU_DEP_2) | instskip(SKIP_1) | instid1(VALU_DEP_3)
	v_add_f64 v[133:134], v[28:29], v[131:132]
	v_add_f64 v[48:49], v[131:132], -v[48:49]
	v_add_f64 v[30:31], v[30:31], -v[144:145]
	s_delay_alu instid0(VALU_DEP_3) | instskip(NEXT) | instid1(VALU_DEP_3)
	v_add_f64 v[146:147], v[133:134], -v[28:29]
	v_add_f64 v[26:27], v[26:27], -v[48:49]
	s_delay_alu instid0(VALU_DEP_2) | instskip(SKIP_1) | instid1(VALU_DEP_3)
	v_add_f64 v[148:149], v[133:134], -v[146:147]
	v_add_f64 v[48:49], v[131:132], -v[146:147]
	v_add_f64 v[131:132], v[30:31], v[26:27]
	s_delay_alu instid0(VALU_DEP_3) | instskip(NEXT) | instid1(VALU_DEP_1)
	v_add_f64 v[28:29], v[28:29], -v[148:149]
	v_add_f64 v[28:29], v[48:49], v[28:29]
	s_delay_alu instid0(VALU_DEP_3) | instskip(NEXT) | instid1(VALU_DEP_2)
	v_add_f64 v[48:49], v[131:132], -v[30:31]
	v_add_f64 v[28:29], v[131:132], v[28:29]
	s_delay_alu instid0(VALU_DEP_2) | instskip(SKIP_1) | instid1(VALU_DEP_3)
	v_add_f64 v[131:132], v[131:132], -v[48:49]
	v_add_f64 v[26:27], v[26:27], -v[48:49]
	v_add_f64 v[144:145], v[133:134], v[28:29]
	s_delay_alu instid0(VALU_DEP_3) | instskip(NEXT) | instid1(VALU_DEP_2)
	v_add_f64 v[30:31], v[30:31], -v[131:132]
	v_add_f64 v[48:49], v[144:145], -v[133:134]
	s_delay_alu instid0(VALU_DEP_2) | instskip(NEXT) | instid1(VALU_DEP_2)
	v_add_f64 v[26:27], v[26:27], v[30:31]
	v_add_f64 v[28:29], v[28:29], -v[48:49]
	s_delay_alu instid0(VALU_DEP_1) | instskip(NEXT) | instid1(VALU_DEP_1)
	v_add_f64 v[26:27], v[26:27], v[28:29]
	v_add_f64 v[26:27], v[144:145], v[26:27]
	s_delay_alu instid0(VALU_DEP_1) | instskip(NEXT) | instid1(VALU_DEP_2)
	v_cndmask_b32_e64 v26, v26, v24, s11
	v_cndmask_b32_e64 v27, v27, v25, s11
	v_cmp_ngt_f64_e64 s11, -1.0, v[24:25]
	s_delay_alu instid0(VALU_DEP_1) | instskip(SKIP_1) | instid1(VALU_DEP_1)
	v_cndmask_b32_e64 v27, 0x7ff80000, v27, s11
	v_cmp_nge_f64_e64 s11, -1.0, v[24:25]
	v_cndmask_b32_e64 v26, 0, v26, s11
	v_cmp_neq_f64_e64 s11, -1.0, v[24:25]
	s_delay_alu instid0(VALU_DEP_1) | instskip(NEXT) | instid1(VALU_DEP_1)
	v_cndmask_b32_e64 v27, 0xfff00000, v27, s11
	v_add_f64 v[48:49], v[22:23], v[26:27]
.LBB36_284:
	s_or_b32 exec_lo, exec_lo, s17
	v_max_f64 v[22:23], v[82:83], v[82:83]
	s_delay_alu instid0(VALU_DEP_2) | instskip(SKIP_2) | instid1(VALU_DEP_3)
	v_max_f64 v[24:25], v[48:49], v[48:49]
	v_cmp_u_f64_e64 s12, v[48:49], v[48:49]
	v_cmp_u_f64_e64 s11, v[82:83], v[82:83]
	v_min_f64 v[26:27], v[24:25], v[22:23]
	v_max_f64 v[24:25], v[24:25], v[22:23]
	s_delay_alu instid0(VALU_DEP_2) | instskip(NEXT) | instid1(VALU_DEP_3)
	v_cndmask_b32_e64 v26, v26, v48, s12
	v_cndmask_b32_e64 v27, v27, v49, s12
	s_delay_alu instid0(VALU_DEP_3) | instskip(NEXT) | instid1(VALU_DEP_4)
	v_cndmask_b32_e64 v25, v25, v49, s12
	v_cndmask_b32_e64 v24, v24, v48, s12
	s_delay_alu instid0(VALU_DEP_4) | instskip(NEXT) | instid1(VALU_DEP_4)
	v_cndmask_b32_e64 v26, v26, v82, s11
	v_cndmask_b32_e64 v27, v27, v83, s11
	s_delay_alu instid0(VALU_DEP_4) | instskip(NEXT) | instid1(VALU_DEP_4)
	v_cndmask_b32_e64 v25, v25, v83, s11
	v_cndmask_b32_e64 v24, v24, v82, s11
	s_delay_alu instid0(VALU_DEP_3) | instskip(NEXT) | instid1(VALU_DEP_2)
	v_cmp_class_f64_e64 s13, v[26:27], 0x1f8
	v_cmp_neq_f64_e64 s12, v[26:27], v[24:25]
	s_delay_alu instid0(VALU_DEP_1) | instskip(NEXT) | instid1(SALU_CYCLE_1)
	s_or_b32 s12, s12, s13
	s_and_saveexec_b32 s17, s12
	s_cbranch_execz .LBB36_286
; %bb.285:
	v_add_f64 v[26:27], v[26:27], -v[24:25]
	s_mov_b32 s12, 0x652b82fe
	s_mov_b32 s13, 0x3ff71547
	;; [unrolled: 1-line block ×10, first 2 shown]
	s_delay_alu instid0(VALU_DEP_1) | instskip(SKIP_2) | instid1(VALU_DEP_1)
	v_mul_f64 v[28:29], v[26:27], s[12:13]
	s_mov_b32 s12, 0xfca7ab0c
	s_mov_b32 s13, 0x3e928af3
	v_rndne_f64_e32 v[28:29], v[28:29]
	s_delay_alu instid0(VALU_DEP_1) | instskip(SKIP_1) | instid1(VALU_DEP_1)
	v_fma_f64 v[30:31], v[28:29], s[14:15], v[26:27]
	s_mov_b32 s15, 0x3fe62e42
	v_fma_f64 v[30:31], v[28:29], s[18:19], v[30:31]
	v_cvt_i32_f64_e32 v28, v[28:29]
	s_mov_b32 s19, 0x3c7abc9e
	s_delay_alu instid0(VALU_DEP_2) | instskip(SKIP_4) | instid1(VALU_DEP_1)
	v_fma_f64 v[48:49], v[30:31], s[20:21], s[12:13]
	s_mov_b32 s12, 0x623fde64
	s_mov_b32 s13, 0x3ec71dee
	;; [unrolled: 1-line block ×4, first 2 shown]
	v_fma_f64 v[48:49], v[30:31], v[48:49], s[12:13]
	s_mov_b32 s12, 0x7c89e6b0
	s_mov_b32 s13, 0x3efa0199
	s_delay_alu instid0(VALU_DEP_1) | instid1(SALU_CYCLE_1)
	v_fma_f64 v[48:49], v[30:31], v[48:49], s[12:13]
	s_mov_b32 s12, 0x14761f6e
	s_mov_b32 s13, 0x3f2a01a0
	s_delay_alu instid0(VALU_DEP_1) | instid1(SALU_CYCLE_1)
	;; [unrolled: 4-line block ×7, first 2 shown]
	v_fma_f64 v[48:49], v[30:31], v[48:49], s[12:13]
	v_cmp_nlt_f64_e64 s12, 0x40900000, v[26:27]
	v_cmp_ngt_f64_e64 s13, 0xc090cc00, v[26:27]
	s_delay_alu instid0(VALU_DEP_3) | instskip(NEXT) | instid1(VALU_DEP_1)
	v_fma_f64 v[48:49], v[30:31], v[48:49], 1.0
	v_fma_f64 v[30:31], v[30:31], v[48:49], 1.0
	s_delay_alu instid0(VALU_DEP_1) | instskip(NEXT) | instid1(VALU_DEP_1)
	v_ldexp_f64 v[28:29], v[30:31], v28
	v_cndmask_b32_e64 v29, 0x7ff00000, v29, s12
	s_and_b32 s12, s13, s12
	s_delay_alu instid0(VALU_DEP_2) | instid1(SALU_CYCLE_1)
	v_cndmask_b32_e64 v26, 0, v28, s12
	s_mov_b32 s12, 0x55555555
	s_delay_alu instid0(VALU_DEP_2) | instskip(SKIP_1) | instid1(VALU_DEP_1)
	v_cndmask_b32_e64 v27, 0, v29, s13
	s_mov_b32 s13, 0x3fe55555
	v_add_f64 v[28:29], v[26:27], 1.0
	s_delay_alu instid0(VALU_DEP_1) | instskip(SKIP_1) | instid1(VALU_DEP_2)
	v_add_f64 v[30:31], v[28:29], -1.0
	v_frexp_exp_i32_f64_e32 v131, v[28:29]
	v_add_f64 v[48:49], v[30:31], -v[28:29]
	v_add_f64 v[30:31], v[26:27], -v[30:31]
	s_delay_alu instid0(VALU_DEP_2) | instskip(NEXT) | instid1(VALU_DEP_1)
	v_add_f64 v[48:49], v[48:49], 1.0
	v_add_f64 v[30:31], v[30:31], v[48:49]
	v_frexp_mant_f64_e32 v[48:49], v[28:29]
	s_delay_alu instid0(VALU_DEP_1) | instskip(NEXT) | instid1(VALU_DEP_1)
	v_cmp_gt_f64_e64 s12, s[12:13], v[48:49]
	v_subrev_co_ci_u32_e64 v162, s12, 0, v131, s12
	s_mov_b32 s12, 0x55555780
	s_delay_alu instid0(VALU_DEP_1) | instskip(NEXT) | instid1(VALU_DEP_1)
	v_sub_nc_u32_e32 v48, 0, v162
	v_ldexp_f64 v[28:29], v[28:29], v48
	v_ldexp_f64 v[30:31], v[30:31], v48
	s_delay_alu instid0(VALU_DEP_2) | instskip(NEXT) | instid1(VALU_DEP_1)
	v_add_f64 v[48:49], v[28:29], -1.0
	v_add_f64 v[131:132], v[48:49], 1.0
	s_delay_alu instid0(VALU_DEP_1) | instskip(NEXT) | instid1(VALU_DEP_1)
	v_add_f64 v[131:132], v[28:29], -v[131:132]
	v_add_f64 v[131:132], v[30:31], v[131:132]
	s_delay_alu instid0(VALU_DEP_1) | instskip(NEXT) | instid1(VALU_DEP_1)
	v_add_f64 v[133:134], v[48:49], v[131:132]
	v_add_f64 v[48:49], v[133:134], -v[48:49]
	s_delay_alu instid0(VALU_DEP_1) | instskip(SKIP_1) | instid1(VALU_DEP_1)
	v_add_f64 v[48:49], v[131:132], -v[48:49]
	v_add_f64 v[131:132], v[28:29], 1.0
	v_add_f64 v[144:145], v[131:132], -1.0
	s_delay_alu instid0(VALU_DEP_1) | instskip(NEXT) | instid1(VALU_DEP_1)
	v_add_f64 v[28:29], v[28:29], -v[144:145]
	v_add_f64 v[28:29], v[30:31], v[28:29]
	s_delay_alu instid0(VALU_DEP_1) | instskip(NEXT) | instid1(VALU_DEP_1)
	v_add_f64 v[30:31], v[131:132], v[28:29]
	v_add_f64 v[131:132], v[30:31], -v[131:132]
	s_delay_alu instid0(VALU_DEP_1) | instskip(SKIP_3) | instid1(VALU_DEP_1)
	v_add_f64 v[28:29], v[28:29], -v[131:132]
	v_rcp_f64_e32 v[131:132], v[30:31]
	s_waitcnt_depctr 0xfff
	v_fma_f64 v[144:145], -v[30:31], v[131:132], 1.0
	v_fma_f64 v[131:132], v[144:145], v[131:132], v[131:132]
	s_delay_alu instid0(VALU_DEP_1) | instskip(NEXT) | instid1(VALU_DEP_1)
	v_fma_f64 v[144:145], -v[30:31], v[131:132], 1.0
	v_fma_f64 v[131:132], v[144:145], v[131:132], v[131:132]
	s_delay_alu instid0(VALU_DEP_1) | instskip(NEXT) | instid1(VALU_DEP_1)
	v_mul_f64 v[144:145], v[133:134], v[131:132]
	v_mul_f64 v[146:147], v[30:31], v[144:145]
	s_delay_alu instid0(VALU_DEP_1) | instskip(NEXT) | instid1(VALU_DEP_1)
	v_fma_f64 v[148:149], v[144:145], v[30:31], -v[146:147]
	v_fma_f64 v[148:149], v[144:145], v[28:29], v[148:149]
	s_delay_alu instid0(VALU_DEP_1) | instskip(NEXT) | instid1(VALU_DEP_1)
	v_add_f64 v[150:151], v[146:147], v[148:149]
	v_add_f64 v[160:161], v[133:134], -v[150:151]
	v_add_f64 v[146:147], v[150:151], -v[146:147]
	s_delay_alu instid0(VALU_DEP_2) | instskip(NEXT) | instid1(VALU_DEP_1)
	v_add_f64 v[133:134], v[133:134], -v[160:161]
	v_add_f64 v[133:134], v[133:134], -v[150:151]
	s_delay_alu instid0(VALU_DEP_1) | instskip(NEXT) | instid1(VALU_DEP_4)
	v_add_f64 v[48:49], v[48:49], v[133:134]
	v_add_f64 v[133:134], v[146:147], -v[148:149]
	s_delay_alu instid0(VALU_DEP_1) | instskip(NEXT) | instid1(VALU_DEP_1)
	v_add_f64 v[48:49], v[133:134], v[48:49]
	v_add_f64 v[133:134], v[160:161], v[48:49]
	s_delay_alu instid0(VALU_DEP_1) | instskip(NEXT) | instid1(VALU_DEP_1)
	v_add_f64 v[146:147], v[160:161], -v[133:134]
	v_add_f64 v[48:49], v[48:49], v[146:147]
	v_mul_f64 v[146:147], v[131:132], v[133:134]
	s_delay_alu instid0(VALU_DEP_1) | instskip(NEXT) | instid1(VALU_DEP_1)
	v_mul_f64 v[148:149], v[30:31], v[146:147]
	v_fma_f64 v[30:31], v[146:147], v[30:31], -v[148:149]
	s_delay_alu instid0(VALU_DEP_1) | instskip(NEXT) | instid1(VALU_DEP_1)
	v_fma_f64 v[28:29], v[146:147], v[28:29], v[30:31]
	v_add_f64 v[30:31], v[148:149], v[28:29]
	s_delay_alu instid0(VALU_DEP_1) | instskip(SKIP_1) | instid1(VALU_DEP_2)
	v_add_f64 v[150:151], v[133:134], -v[30:31]
	v_add_f64 v[148:149], v[30:31], -v[148:149]
	;; [unrolled: 1-line block ×3, first 2 shown]
	s_delay_alu instid0(VALU_DEP_2) | instskip(NEXT) | instid1(VALU_DEP_2)
	v_add_f64 v[28:29], v[148:149], -v[28:29]
	v_add_f64 v[30:31], v[133:134], -v[30:31]
	v_cvt_f64_i32_e32 v[133:134], v162
	s_delay_alu instid0(VALU_DEP_2) | instskip(NEXT) | instid1(VALU_DEP_1)
	v_add_f64 v[30:31], v[48:49], v[30:31]
	v_add_f64 v[28:29], v[28:29], v[30:31]
	v_add_f64 v[30:31], v[144:145], v[146:147]
	s_delay_alu instid0(VALU_DEP_2) | instskip(NEXT) | instid1(VALU_DEP_2)
	v_add_f64 v[28:29], v[150:151], v[28:29]
	v_add_f64 v[48:49], v[30:31], -v[144:145]
	v_mul_f64 v[144:145], v[133:134], s[14:15]
	s_delay_alu instid0(VALU_DEP_3) | instskip(NEXT) | instid1(VALU_DEP_3)
	v_mul_f64 v[28:29], v[131:132], v[28:29]
	v_add_f64 v[48:49], v[146:147], -v[48:49]
	s_delay_alu instid0(VALU_DEP_3) | instskip(NEXT) | instid1(VALU_DEP_2)
	v_fma_f64 v[146:147], v[133:134], s[14:15], -v[144:145]
	v_add_f64 v[28:29], v[48:49], v[28:29]
	s_delay_alu instid0(VALU_DEP_2) | instskip(NEXT) | instid1(VALU_DEP_2)
	v_fma_f64 v[133:134], v[133:134], s[18:19], v[146:147]
	v_add_f64 v[48:49], v[30:31], v[28:29]
	s_delay_alu instid0(VALU_DEP_2) | instskip(NEXT) | instid1(VALU_DEP_2)
	v_add_f64 v[146:147], v[144:145], v[133:134]
	v_add_f64 v[30:31], v[48:49], -v[30:31]
	s_delay_alu instid0(VALU_DEP_2) | instskip(NEXT) | instid1(VALU_DEP_2)
	v_add_f64 v[144:145], v[146:147], -v[144:145]
	v_add_f64 v[28:29], v[28:29], -v[30:31]
	v_mul_f64 v[30:31], v[48:49], v[48:49]
	s_delay_alu instid0(VALU_DEP_3) | instskip(SKIP_1) | instid1(VALU_DEP_4)
	v_add_f64 v[133:134], v[133:134], -v[144:145]
	v_ldexp_f64 v[144:145], v[48:49], 1
	v_ldexp_f64 v[28:29], v[28:29], 1
	s_delay_alu instid0(VALU_DEP_4)
	v_fma_f64 v[131:132], v[30:31], s[22:23], s[20:21]
	s_mov_b32 s20, 0xd7f4df2e
	s_mov_b32 s21, 0x3fc7474d
	s_delay_alu instid0(VALU_DEP_1) | instid1(SALU_CYCLE_1)
	v_fma_f64 v[131:132], v[30:31], v[131:132], s[20:21]
	s_mov_b32 s20, 0x16291751
	s_mov_b32 s21, 0x3fcc71c0
	s_delay_alu instid0(VALU_DEP_1) | instid1(SALU_CYCLE_1)
	;; [unrolled: 4-line block ×4, first 2 shown]
	v_fma_f64 v[131:132], v[30:31], v[131:132], s[20:21]
	s_delay_alu instid0(VALU_DEP_1) | instskip(SKIP_2) | instid1(VALU_DEP_2)
	v_fma_f64 v[131:132], v[30:31], v[131:132], s[12:13]
	v_mul_f64 v[30:31], v[48:49], v[30:31]
	v_cmp_eq_f64_e64 s12, 0x7ff00000, v[26:27]
	v_mul_f64 v[30:31], v[30:31], v[131:132]
	s_delay_alu instid0(VALU_DEP_1) | instskip(NEXT) | instid1(VALU_DEP_1)
	v_add_f64 v[48:49], v[144:145], v[30:31]
	v_add_f64 v[131:132], v[48:49], -v[144:145]
	s_delay_alu instid0(VALU_DEP_1) | instskip(NEXT) | instid1(VALU_DEP_1)
	v_add_f64 v[30:31], v[30:31], -v[131:132]
	v_add_f64 v[28:29], v[28:29], v[30:31]
	s_delay_alu instid0(VALU_DEP_1) | instskip(NEXT) | instid1(VALU_DEP_1)
	v_add_f64 v[30:31], v[48:49], v[28:29]
	v_add_f64 v[48:49], v[30:31], -v[48:49]
	s_delay_alu instid0(VALU_DEP_1) | instskip(SKIP_1) | instid1(VALU_DEP_1)
	v_add_f64 v[28:29], v[28:29], -v[48:49]
	v_add_f64 v[48:49], v[146:147], v[30:31]
	v_add_f64 v[131:132], v[48:49], -v[146:147]
	s_delay_alu instid0(VALU_DEP_1) | instskip(SKIP_2) | instid1(VALU_DEP_3)
	v_add_f64 v[144:145], v[48:49], -v[131:132]
	v_add_f64 v[30:31], v[30:31], -v[131:132]
	v_add_f64 v[131:132], v[133:134], v[28:29]
	v_add_f64 v[144:145], v[146:147], -v[144:145]
	s_delay_alu instid0(VALU_DEP_1) | instskip(NEXT) | instid1(VALU_DEP_3)
	v_add_f64 v[30:31], v[30:31], v[144:145]
	v_add_f64 v[144:145], v[131:132], -v[133:134]
	s_delay_alu instid0(VALU_DEP_2) | instskip(NEXT) | instid1(VALU_DEP_2)
	v_add_f64 v[30:31], v[131:132], v[30:31]
	v_add_f64 v[146:147], v[131:132], -v[144:145]
	v_add_f64 v[28:29], v[28:29], -v[144:145]
	s_delay_alu instid0(VALU_DEP_3) | instskip(NEXT) | instid1(VALU_DEP_3)
	v_add_f64 v[131:132], v[48:49], v[30:31]
	v_add_f64 v[133:134], v[133:134], -v[146:147]
	s_delay_alu instid0(VALU_DEP_2) | instskip(NEXT) | instid1(VALU_DEP_2)
	v_add_f64 v[48:49], v[131:132], -v[48:49]
	v_add_f64 v[28:29], v[28:29], v[133:134]
	s_delay_alu instid0(VALU_DEP_2) | instskip(NEXT) | instid1(VALU_DEP_1)
	v_add_f64 v[30:31], v[30:31], -v[48:49]
	v_add_f64 v[28:29], v[28:29], v[30:31]
	s_delay_alu instid0(VALU_DEP_1) | instskip(NEXT) | instid1(VALU_DEP_1)
	v_add_f64 v[28:29], v[131:132], v[28:29]
	v_cndmask_b32_e64 v28, v28, v26, s12
	s_delay_alu instid0(VALU_DEP_2) | instskip(SKIP_1) | instid1(VALU_DEP_1)
	v_cndmask_b32_e64 v29, v29, v27, s12
	v_cmp_ngt_f64_e64 s12, -1.0, v[26:27]
	v_cndmask_b32_e64 v29, 0x7ff80000, v29, s12
	v_cmp_nge_f64_e64 s12, -1.0, v[26:27]
	s_delay_alu instid0(VALU_DEP_1) | instskip(SKIP_1) | instid1(VALU_DEP_1)
	v_cndmask_b32_e64 v28, 0, v28, s12
	v_cmp_neq_f64_e64 s12, -1.0, v[26:27]
	v_cndmask_b32_e64 v29, 0xfff00000, v29, s12
	s_delay_alu instid0(VALU_DEP_1)
	v_add_f64 v[48:49], v[24:25], v[28:29]
.LBB36_286:
	s_or_b32 exec_lo, exec_lo, s17
	v_max_f64 v[24:25], v[68:69], v[68:69]
	s_delay_alu instid0(VALU_DEP_2) | instskip(SKIP_2) | instid1(VALU_DEP_3)
	v_max_f64 v[26:27], v[48:49], v[48:49]
	v_cmp_u_f64_e64 s13, v[48:49], v[48:49]
	v_cmp_u_f64_e64 s12, v[68:69], v[68:69]
	v_min_f64 v[28:29], v[26:27], v[24:25]
	v_max_f64 v[26:27], v[26:27], v[24:25]
	s_delay_alu instid0(VALU_DEP_2) | instskip(NEXT) | instid1(VALU_DEP_3)
	v_cndmask_b32_e64 v28, v28, v48, s13
	v_cndmask_b32_e64 v29, v29, v49, s13
	s_delay_alu instid0(VALU_DEP_3) | instskip(NEXT) | instid1(VALU_DEP_4)
	v_cndmask_b32_e64 v27, v27, v49, s13
	v_cndmask_b32_e64 v26, v26, v48, s13
	s_delay_alu instid0(VALU_DEP_4) | instskip(NEXT) | instid1(VALU_DEP_4)
	v_cndmask_b32_e64 v28, v28, v68, s12
	v_cndmask_b32_e64 v29, v29, v69, s12
	s_delay_alu instid0(VALU_DEP_4) | instskip(NEXT) | instid1(VALU_DEP_4)
	v_cndmask_b32_e64 v27, v27, v69, s12
	v_cndmask_b32_e64 v26, v26, v68, s12
	s_delay_alu instid0(VALU_DEP_3) | instskip(NEXT) | instid1(VALU_DEP_2)
	v_cmp_class_f64_e64 s14, v[28:29], 0x1f8
	v_cmp_neq_f64_e64 s13, v[28:29], v[26:27]
	s_delay_alu instid0(VALU_DEP_1) | instskip(NEXT) | instid1(SALU_CYCLE_1)
	s_or_b32 s13, s13, s14
	s_and_saveexec_b32 s17, s13
	s_cbranch_execz .LBB36_288
; %bb.287:
	v_add_f64 v[28:29], v[28:29], -v[26:27]
	s_mov_b32 s14, 0x652b82fe
	s_mov_b32 s15, 0x3ff71547
	;; [unrolled: 1-line block ×10, first 2 shown]
	s_delay_alu instid0(VALU_DEP_1) | instskip(SKIP_3) | instid1(VALU_DEP_2)
	v_mul_f64 v[30:31], v[28:29], s[14:15]
	s_mov_b32 s14, 0xfca7ab0c
	s_mov_b32 s15, 0x3e928af3
	v_cmp_nlt_f64_e64 s13, 0x40900000, v[28:29]
	v_rndne_f64_e32 v[30:31], v[30:31]
	s_delay_alu instid0(VALU_DEP_1) | instskip(SKIP_2) | instid1(VALU_DEP_2)
	v_fma_f64 v[48:49], v[30:31], s[18:19], v[28:29]
	v_cvt_i32_f64_e32 v133, v[30:31]
	s_mov_b32 s19, 0x3fe62e42
	v_fma_f64 v[48:49], v[30:31], s[20:21], v[48:49]
	s_mov_b32 s21, 0x3c7abc9e
	s_delay_alu instid0(VALU_DEP_1) | instskip(SKIP_4) | instid1(VALU_DEP_1)
	v_fma_f64 v[131:132], v[48:49], s[22:23], s[14:15]
	s_mov_b32 s14, 0x623fde64
	s_mov_b32 s15, 0x3ec71dee
	;; [unrolled: 1-line block ×4, first 2 shown]
	v_fma_f64 v[131:132], v[48:49], v[131:132], s[14:15]
	s_mov_b32 s14, 0x7c89e6b0
	s_mov_b32 s15, 0x3efa0199
	s_delay_alu instid0(VALU_DEP_1) | instid1(SALU_CYCLE_1)
	v_fma_f64 v[131:132], v[48:49], v[131:132], s[14:15]
	s_mov_b32 s14, 0x14761f6e
	s_mov_b32 s15, 0x3f2a01a0
	s_delay_alu instid0(VALU_DEP_1) | instid1(SALU_CYCLE_1)
	;; [unrolled: 4-line block ×7, first 2 shown]
	v_fma_f64 v[131:132], v[48:49], v[131:132], s[14:15]
	v_cmp_ngt_f64_e64 s14, 0xc090cc00, v[28:29]
	s_mov_b32 s15, 0x3fe55555
	s_delay_alu instid0(VALU_DEP_2) | instskip(NEXT) | instid1(VALU_DEP_1)
	v_fma_f64 v[131:132], v[48:49], v[131:132], 1.0
	v_fma_f64 v[30:31], v[48:49], v[131:132], 1.0
	s_delay_alu instid0(VALU_DEP_1) | instskip(NEXT) | instid1(VALU_DEP_1)
	v_ldexp_f64 v[30:31], v[30:31], v133
	v_cndmask_b32_e64 v31, 0x7ff00000, v31, s13
	s_and_b32 s13, s14, s13
	s_delay_alu instid0(VALU_DEP_2) | instid1(SALU_CYCLE_1)
	v_cndmask_b32_e64 v28, 0, v30, s13
	s_delay_alu instid0(VALU_DEP_2) | instskip(SKIP_1) | instid1(VALU_DEP_1)
	v_cndmask_b32_e64 v29, 0, v31, s14
	s_mov_b32 s14, 0x55555555
	v_add_f64 v[30:31], v[28:29], 1.0
	s_delay_alu instid0(VALU_DEP_1) | instskip(SKIP_2) | instid1(VALU_DEP_3)
	v_frexp_mant_f64_e32 v[48:49], v[30:31]
	v_frexp_exp_i32_f64_e32 v133, v[30:31]
	v_add_f64 v[131:132], v[30:31], -1.0
	v_cmp_gt_f64_e64 s13, s[14:15], v[48:49]
	s_mov_b32 s14, 0x55555780
	s_delay_alu instid0(VALU_DEP_2) | instskip(SKIP_1) | instid1(VALU_DEP_3)
	v_add_f64 v[48:49], v[131:132], -v[30:31]
	v_add_f64 v[131:132], v[28:29], -v[131:132]
	v_subrev_co_ci_u32_e64 v166, s13, 0, v133, s13
	s_delay_alu instid0(VALU_DEP_3) | instskip(SKIP_1) | instid1(VALU_DEP_3)
	v_add_f64 v[48:49], v[48:49], 1.0
	v_cmp_eq_f64_e64 s13, 0x7ff00000, v[28:29]
	v_sub_nc_u32_e32 v144, 0, v166
	s_delay_alu instid0(VALU_DEP_1) | instskip(NEXT) | instid1(VALU_DEP_4)
	v_ldexp_f64 v[30:31], v[30:31], v144
	v_add_f64 v[48:49], v[131:132], v[48:49]
	s_delay_alu instid0(VALU_DEP_2) | instskip(SKIP_1) | instid1(VALU_DEP_3)
	v_add_f64 v[133:134], v[30:31], 1.0
	v_add_f64 v[148:149], v[30:31], -1.0
	v_ldexp_f64 v[48:49], v[48:49], v144
	s_delay_alu instid0(VALU_DEP_3) | instskip(NEXT) | instid1(VALU_DEP_3)
	v_add_f64 v[131:132], v[133:134], -1.0
	v_add_f64 v[150:151], v[148:149], 1.0
	s_delay_alu instid0(VALU_DEP_2) | instskip(NEXT) | instid1(VALU_DEP_2)
	v_add_f64 v[131:132], v[30:31], -v[131:132]
	v_add_f64 v[30:31], v[30:31], -v[150:151]
	s_delay_alu instid0(VALU_DEP_2) | instskip(NEXT) | instid1(VALU_DEP_2)
	v_add_f64 v[131:132], v[48:49], v[131:132]
	v_add_f64 v[30:31], v[48:49], v[30:31]
	s_delay_alu instid0(VALU_DEP_2) | instskip(NEXT) | instid1(VALU_DEP_2)
	v_add_f64 v[144:145], v[133:134], v[131:132]
	v_add_f64 v[150:151], v[148:149], v[30:31]
	s_delay_alu instid0(VALU_DEP_2) | instskip(SKIP_1) | instid1(VALU_DEP_2)
	v_rcp_f64_e32 v[146:147], v[144:145]
	v_add_f64 v[133:134], v[144:145], -v[133:134]
	v_add_f64 v[148:149], v[150:151], -v[148:149]
	s_delay_alu instid0(VALU_DEP_2) | instskip(SKIP_3) | instid1(VALU_DEP_2)
	v_add_f64 v[131:132], v[131:132], -v[133:134]
	s_waitcnt_depctr 0xfff
	v_fma_f64 v[160:161], -v[144:145], v[146:147], 1.0
	v_add_f64 v[30:31], v[30:31], -v[148:149]
	v_fma_f64 v[146:147], v[160:161], v[146:147], v[146:147]
	s_delay_alu instid0(VALU_DEP_1) | instskip(NEXT) | instid1(VALU_DEP_1)
	v_fma_f64 v[48:49], -v[144:145], v[146:147], 1.0
	v_fma_f64 v[48:49], v[48:49], v[146:147], v[146:147]
	s_delay_alu instid0(VALU_DEP_1) | instskip(NEXT) | instid1(VALU_DEP_1)
	v_mul_f64 v[146:147], v[150:151], v[48:49]
	v_mul_f64 v[160:161], v[144:145], v[146:147]
	s_delay_alu instid0(VALU_DEP_1) | instskip(NEXT) | instid1(VALU_DEP_1)
	v_fma_f64 v[133:134], v[146:147], v[144:145], -v[160:161]
	v_fma_f64 v[133:134], v[146:147], v[131:132], v[133:134]
	s_delay_alu instid0(VALU_DEP_1) | instskip(NEXT) | instid1(VALU_DEP_1)
	v_add_f64 v[162:163], v[160:161], v[133:134]
	v_add_f64 v[164:165], v[150:151], -v[162:163]
	v_add_f64 v[148:149], v[162:163], -v[160:161]
	s_delay_alu instid0(VALU_DEP_2) | instskip(NEXT) | instid1(VALU_DEP_2)
	v_add_f64 v[150:151], v[150:151], -v[164:165]
	v_add_f64 v[133:134], v[148:149], -v[133:134]
	s_delay_alu instid0(VALU_DEP_2) | instskip(NEXT) | instid1(VALU_DEP_1)
	v_add_f64 v[150:151], v[150:151], -v[162:163]
	v_add_f64 v[30:31], v[30:31], v[150:151]
	s_delay_alu instid0(VALU_DEP_1) | instskip(NEXT) | instid1(VALU_DEP_1)
	v_add_f64 v[30:31], v[133:134], v[30:31]
	v_add_f64 v[133:134], v[164:165], v[30:31]
	s_delay_alu instid0(VALU_DEP_1) | instskip(SKIP_1) | instid1(VALU_DEP_2)
	v_mul_f64 v[148:149], v[48:49], v[133:134]
	v_add_f64 v[162:163], v[164:165], -v[133:134]
	v_mul_f64 v[150:151], v[144:145], v[148:149]
	s_delay_alu instid0(VALU_DEP_2) | instskip(NEXT) | instid1(VALU_DEP_2)
	v_add_f64 v[30:31], v[30:31], v[162:163]
	v_fma_f64 v[144:145], v[148:149], v[144:145], -v[150:151]
	s_delay_alu instid0(VALU_DEP_1) | instskip(NEXT) | instid1(VALU_DEP_1)
	v_fma_f64 v[131:132], v[148:149], v[131:132], v[144:145]
	v_add_f64 v[144:145], v[150:151], v[131:132]
	s_delay_alu instid0(VALU_DEP_1) | instskip(SKIP_1) | instid1(VALU_DEP_2)
	v_add_f64 v[160:161], v[133:134], -v[144:145]
	v_add_f64 v[150:151], v[144:145], -v[150:151]
	;; [unrolled: 1-line block ×3, first 2 shown]
	s_delay_alu instid0(VALU_DEP_2) | instskip(NEXT) | instid1(VALU_DEP_2)
	v_add_f64 v[131:132], v[150:151], -v[131:132]
	v_add_f64 v[133:134], v[133:134], -v[144:145]
	s_delay_alu instid0(VALU_DEP_1) | instskip(SKIP_1) | instid1(VALU_DEP_2)
	v_add_f64 v[30:31], v[30:31], v[133:134]
	v_add_f64 v[133:134], v[146:147], v[148:149]
	;; [unrolled: 1-line block ×3, first 2 shown]
	s_delay_alu instid0(VALU_DEP_2) | instskip(NEXT) | instid1(VALU_DEP_2)
	v_add_f64 v[131:132], v[133:134], -v[146:147]
	v_add_f64 v[30:31], v[160:161], v[30:31]
	s_delay_alu instid0(VALU_DEP_2) | instskip(NEXT) | instid1(VALU_DEP_2)
	v_add_f64 v[131:132], v[148:149], -v[131:132]
	v_mul_f64 v[30:31], v[48:49], v[30:31]
	s_delay_alu instid0(VALU_DEP_1) | instskip(NEXT) | instid1(VALU_DEP_1)
	v_add_f64 v[30:31], v[131:132], v[30:31]
	v_add_f64 v[48:49], v[133:134], v[30:31]
	s_delay_alu instid0(VALU_DEP_1) | instskip(NEXT) | instid1(VALU_DEP_1)
	v_mul_f64 v[131:132], v[48:49], v[48:49]
	v_fma_f64 v[144:145], v[131:132], s[24:25], s[22:23]
	s_mov_b32 s22, 0xd7f4df2e
	s_mov_b32 s23, 0x3fc7474d
	v_mul_f64 v[146:147], v[48:49], v[131:132]
	s_delay_alu instid0(VALU_DEP_2)
	v_fma_f64 v[144:145], v[131:132], v[144:145], s[22:23]
	s_mov_b32 s22, 0x16291751
	s_mov_b32 s23, 0x3fcc71c0
	s_delay_alu instid0(VALU_DEP_1) | instid1(SALU_CYCLE_1)
	v_fma_f64 v[144:145], v[131:132], v[144:145], s[22:23]
	s_mov_b32 s22, 0x9b27acf1
	s_mov_b32 s23, 0x3fd24924
	s_delay_alu instid0(VALU_DEP_1) | instid1(SALU_CYCLE_1)
	v_fma_f64 v[144:145], v[131:132], v[144:145], s[22:23]
	s_mov_b32 s22, 0x998ef7b6
	s_mov_b32 s23, 0x3fd99999
	s_delay_alu instid0(VALU_DEP_1) | instid1(SALU_CYCLE_1)
	v_fma_f64 v[144:145], v[131:132], v[144:145], s[22:23]
	s_delay_alu instid0(VALU_DEP_1) | instskip(SKIP_2) | instid1(VALU_DEP_3)
	v_fma_f64 v[131:132], v[131:132], v[144:145], s[14:15]
	v_ldexp_f64 v[144:145], v[48:49], 1
	v_add_f64 v[48:49], v[48:49], -v[133:134]
	v_mul_f64 v[131:132], v[146:147], v[131:132]
	v_cvt_f64_i32_e32 v[146:147], v166
	s_delay_alu instid0(VALU_DEP_3) | instskip(NEXT) | instid1(VALU_DEP_3)
	v_add_f64 v[30:31], v[30:31], -v[48:49]
	v_add_f64 v[133:134], v[144:145], v[131:132]
	s_delay_alu instid0(VALU_DEP_3) | instskip(NEXT) | instid1(VALU_DEP_3)
	v_mul_f64 v[148:149], v[146:147], s[18:19]
	v_ldexp_f64 v[30:31], v[30:31], 1
	s_delay_alu instid0(VALU_DEP_3) | instskip(NEXT) | instid1(VALU_DEP_3)
	v_add_f64 v[48:49], v[133:134], -v[144:145]
	v_fma_f64 v[144:145], v[146:147], s[18:19], -v[148:149]
	s_delay_alu instid0(VALU_DEP_2) | instskip(NEXT) | instid1(VALU_DEP_2)
	v_add_f64 v[48:49], v[131:132], -v[48:49]
	v_fma_f64 v[131:132], v[146:147], s[20:21], v[144:145]
	s_delay_alu instid0(VALU_DEP_2) | instskip(NEXT) | instid1(VALU_DEP_2)
	v_add_f64 v[30:31], v[30:31], v[48:49]
	v_add_f64 v[48:49], v[148:149], v[131:132]
	s_delay_alu instid0(VALU_DEP_2) | instskip(NEXT) | instid1(VALU_DEP_2)
	v_add_f64 v[144:145], v[133:134], v[30:31]
	v_add_f64 v[148:149], v[48:49], -v[148:149]
	s_delay_alu instid0(VALU_DEP_2) | instskip(SKIP_1) | instid1(VALU_DEP_3)
	v_add_f64 v[146:147], v[48:49], v[144:145]
	v_add_f64 v[133:134], v[144:145], -v[133:134]
	v_add_f64 v[131:132], v[131:132], -v[148:149]
	s_delay_alu instid0(VALU_DEP_3) | instskip(NEXT) | instid1(VALU_DEP_3)
	v_add_f64 v[150:151], v[146:147], -v[48:49]
	v_add_f64 v[30:31], v[30:31], -v[133:134]
	s_delay_alu instid0(VALU_DEP_2) | instskip(SKIP_1) | instid1(VALU_DEP_3)
	v_add_f64 v[160:161], v[146:147], -v[150:151]
	v_add_f64 v[133:134], v[144:145], -v[150:151]
	v_add_f64 v[144:145], v[131:132], v[30:31]
	s_delay_alu instid0(VALU_DEP_3) | instskip(NEXT) | instid1(VALU_DEP_1)
	v_add_f64 v[48:49], v[48:49], -v[160:161]
	v_add_f64 v[48:49], v[133:134], v[48:49]
	s_delay_alu instid0(VALU_DEP_3) | instskip(NEXT) | instid1(VALU_DEP_2)
	v_add_f64 v[133:134], v[144:145], -v[131:132]
	v_add_f64 v[48:49], v[144:145], v[48:49]
	s_delay_alu instid0(VALU_DEP_2) | instskip(SKIP_1) | instid1(VALU_DEP_3)
	v_add_f64 v[144:145], v[144:145], -v[133:134]
	v_add_f64 v[30:31], v[30:31], -v[133:134]
	v_add_f64 v[148:149], v[146:147], v[48:49]
	s_delay_alu instid0(VALU_DEP_3) | instskip(NEXT) | instid1(VALU_DEP_2)
	v_add_f64 v[131:132], v[131:132], -v[144:145]
	v_add_f64 v[133:134], v[148:149], -v[146:147]
	s_delay_alu instid0(VALU_DEP_2) | instskip(NEXT) | instid1(VALU_DEP_2)
	v_add_f64 v[30:31], v[30:31], v[131:132]
	v_add_f64 v[48:49], v[48:49], -v[133:134]
	s_delay_alu instid0(VALU_DEP_1) | instskip(NEXT) | instid1(VALU_DEP_1)
	v_add_f64 v[30:31], v[30:31], v[48:49]
	v_add_f64 v[30:31], v[148:149], v[30:31]
	s_delay_alu instid0(VALU_DEP_1) | instskip(NEXT) | instid1(VALU_DEP_2)
	v_cndmask_b32_e64 v30, v30, v28, s13
	v_cndmask_b32_e64 v31, v31, v29, s13
	v_cmp_ngt_f64_e64 s13, -1.0, v[28:29]
	s_delay_alu instid0(VALU_DEP_1) | instskip(SKIP_1) | instid1(VALU_DEP_1)
	v_cndmask_b32_e64 v31, 0x7ff80000, v31, s13
	v_cmp_nge_f64_e64 s13, -1.0, v[28:29]
	v_cndmask_b32_e64 v30, 0, v30, s13
	v_cmp_neq_f64_e64 s13, -1.0, v[28:29]
	s_delay_alu instid0(VALU_DEP_1) | instskip(NEXT) | instid1(VALU_DEP_1)
	v_cndmask_b32_e64 v31, 0xfff00000, v31, s13
	v_add_f64 v[48:49], v[26:27], v[30:31]
.LBB36_288:
	s_or_b32 exec_lo, exec_lo, s17
	v_max_f64 v[26:27], v[70:71], v[70:71]
	s_delay_alu instid0(VALU_DEP_2) | instskip(SKIP_2) | instid1(VALU_DEP_3)
	v_max_f64 v[28:29], v[48:49], v[48:49]
	v_cmp_u_f64_e64 s14, v[48:49], v[48:49]
	v_cmp_u_f64_e64 s13, v[70:71], v[70:71]
	v_min_f64 v[30:31], v[28:29], v[26:27]
	v_max_f64 v[28:29], v[28:29], v[26:27]
	s_delay_alu instid0(VALU_DEP_2) | instskip(NEXT) | instid1(VALU_DEP_3)
	v_cndmask_b32_e64 v30, v30, v48, s14
	v_cndmask_b32_e64 v31, v31, v49, s14
	s_delay_alu instid0(VALU_DEP_3) | instskip(NEXT) | instid1(VALU_DEP_4)
	v_cndmask_b32_e64 v29, v29, v49, s14
	v_cndmask_b32_e64 v28, v28, v48, s14
	s_delay_alu instid0(VALU_DEP_4) | instskip(NEXT) | instid1(VALU_DEP_4)
	v_cndmask_b32_e64 v30, v30, v70, s13
	v_cndmask_b32_e64 v31, v31, v71, s13
	s_delay_alu instid0(VALU_DEP_4) | instskip(NEXT) | instid1(VALU_DEP_4)
	v_cndmask_b32_e64 v29, v29, v71, s13
	v_cndmask_b32_e64 v28, v28, v70, s13
	s_delay_alu instid0(VALU_DEP_3) | instskip(NEXT) | instid1(VALU_DEP_2)
	v_cmp_class_f64_e64 s15, v[30:31], 0x1f8
	v_cmp_neq_f64_e64 s14, v[30:31], v[28:29]
	s_delay_alu instid0(VALU_DEP_1) | instskip(NEXT) | instid1(SALU_CYCLE_1)
	s_or_b32 s14, s14, s15
	s_and_saveexec_b32 s17, s14
	s_cbranch_execz .LBB36_290
; %bb.289:
	v_add_f64 v[30:31], v[30:31], -v[28:29]
	s_mov_b32 s14, 0x652b82fe
	s_mov_b32 s15, 0x3ff71547
	s_mov_b32 s19, 0xbfe62e42
	s_mov_b32 s18, 0xfefa39ef
	s_mov_b32 s21, 0xbc7abc9e
	s_mov_b32 s20, 0x3b39803f
	s_mov_b32 s22, 0x6a5dcb37
	s_mov_b32 s23, 0x3e5ade15
	s_mov_b32 s24, 0xbf559e2b
	s_mov_b32 s25, 0x3fc3ab76
	s_delay_alu instid0(VALU_DEP_1) | instskip(SKIP_2) | instid1(VALU_DEP_1)
	v_mul_f64 v[48:49], v[30:31], s[14:15]
	s_mov_b32 s14, 0xfca7ab0c
	s_mov_b32 s15, 0x3e928af3
	v_rndne_f64_e32 v[48:49], v[48:49]
	s_delay_alu instid0(VALU_DEP_1) | instskip(SKIP_2) | instid1(VALU_DEP_2)
	v_fma_f64 v[131:132], v[48:49], s[18:19], v[30:31]
	v_cvt_i32_f64_e32 v144, v[48:49]
	s_mov_b32 s19, 0x3fe62e42
	v_fma_f64 v[131:132], v[48:49], s[20:21], v[131:132]
	s_mov_b32 s21, 0x3c7abc9e
	s_delay_alu instid0(VALU_DEP_1) | instskip(SKIP_4) | instid1(VALU_DEP_1)
	v_fma_f64 v[133:134], v[131:132], s[22:23], s[14:15]
	s_mov_b32 s14, 0x623fde64
	s_mov_b32 s15, 0x3ec71dee
	;; [unrolled: 1-line block ×4, first 2 shown]
	v_fma_f64 v[133:134], v[131:132], v[133:134], s[14:15]
	s_mov_b32 s14, 0x7c89e6b0
	s_mov_b32 s15, 0x3efa0199
	s_delay_alu instid0(VALU_DEP_1) | instid1(SALU_CYCLE_1)
	v_fma_f64 v[133:134], v[131:132], v[133:134], s[14:15]
	s_mov_b32 s14, 0x14761f6e
	s_mov_b32 s15, 0x3f2a01a0
	s_delay_alu instid0(VALU_DEP_1) | instid1(SALU_CYCLE_1)
	;; [unrolled: 4-line block ×7, first 2 shown]
	v_fma_f64 v[133:134], v[131:132], v[133:134], s[14:15]
	v_cmp_nlt_f64_e64 s14, 0x40900000, v[30:31]
	v_cmp_ngt_f64_e64 s15, 0xc090cc00, v[30:31]
	s_delay_alu instid0(VALU_DEP_3) | instskip(NEXT) | instid1(VALU_DEP_1)
	v_fma_f64 v[133:134], v[131:132], v[133:134], 1.0
	v_fma_f64 v[48:49], v[131:132], v[133:134], 1.0
	s_delay_alu instid0(VALU_DEP_1) | instskip(NEXT) | instid1(VALU_DEP_1)
	v_ldexp_f64 v[48:49], v[48:49], v144
	v_cndmask_b32_e64 v49, 0x7ff00000, v49, s14
	s_and_b32 s14, s15, s14
	s_delay_alu instid0(VALU_DEP_2) | instid1(SALU_CYCLE_1)
	v_cndmask_b32_e64 v30, 0, v48, s14
	s_mov_b32 s14, 0x55555555
	s_delay_alu instid0(VALU_DEP_2) | instskip(SKIP_1) | instid1(VALU_DEP_1)
	v_cndmask_b32_e64 v31, 0, v49, s15
	s_mov_b32 s15, 0x3fe55555
	v_add_f64 v[48:49], v[30:31], 1.0
	s_delay_alu instid0(VALU_DEP_1) | instskip(SKIP_2) | instid1(VALU_DEP_3)
	v_frexp_mant_f64_e32 v[131:132], v[48:49]
	v_frexp_exp_i32_f64_e32 v144, v[48:49]
	v_add_f64 v[133:134], v[48:49], -1.0
	v_cmp_gt_f64_e64 s14, s[14:15], v[131:132]
	s_delay_alu instid0(VALU_DEP_2) | instskip(SKIP_1) | instid1(VALU_DEP_3)
	v_add_f64 v[131:132], v[133:134], -v[48:49]
	v_add_f64 v[133:134], v[30:31], -v[133:134]
	v_subrev_co_ci_u32_e64 v176, s14, 0, v144, s14
	s_delay_alu instid0(VALU_DEP_3) | instskip(SKIP_1) | instid1(VALU_DEP_2)
	v_add_f64 v[131:132], v[131:132], 1.0
	s_mov_b32 s14, 0x55555780
	v_sub_nc_u32_e32 v146, 0, v176
	s_delay_alu instid0(VALU_DEP_1) | instskip(NEXT) | instid1(VALU_DEP_3)
	v_ldexp_f64 v[48:49], v[48:49], v146
	v_add_f64 v[131:132], v[133:134], v[131:132]
	s_delay_alu instid0(VALU_DEP_2) | instskip(SKIP_1) | instid1(VALU_DEP_3)
	v_add_f64 v[144:145], v[48:49], 1.0
	v_add_f64 v[150:151], v[48:49], -1.0
	v_ldexp_f64 v[131:132], v[131:132], v146
	s_delay_alu instid0(VALU_DEP_3) | instskip(NEXT) | instid1(VALU_DEP_3)
	v_add_f64 v[133:134], v[144:145], -1.0
	v_add_f64 v[160:161], v[150:151], 1.0
	s_delay_alu instid0(VALU_DEP_2) | instskip(NEXT) | instid1(VALU_DEP_2)
	v_add_f64 v[133:134], v[48:49], -v[133:134]
	v_add_f64 v[48:49], v[48:49], -v[160:161]
	s_delay_alu instid0(VALU_DEP_2) | instskip(NEXT) | instid1(VALU_DEP_2)
	v_add_f64 v[133:134], v[131:132], v[133:134]
	v_add_f64 v[48:49], v[131:132], v[48:49]
	s_delay_alu instid0(VALU_DEP_2) | instskip(NEXT) | instid1(VALU_DEP_2)
	v_add_f64 v[146:147], v[144:145], v[133:134]
	v_add_f64 v[160:161], v[150:151], v[48:49]
	s_delay_alu instid0(VALU_DEP_2) | instskip(SKIP_1) | instid1(VALU_DEP_2)
	v_rcp_f64_e32 v[148:149], v[146:147]
	v_add_f64 v[144:145], v[146:147], -v[144:145]
	v_add_f64 v[150:151], v[160:161], -v[150:151]
	s_delay_alu instid0(VALU_DEP_2) | instskip(SKIP_3) | instid1(VALU_DEP_2)
	v_add_f64 v[133:134], v[133:134], -v[144:145]
	s_waitcnt_depctr 0xfff
	v_fma_f64 v[162:163], -v[146:147], v[148:149], 1.0
	v_add_f64 v[48:49], v[48:49], -v[150:151]
	v_fma_f64 v[148:149], v[162:163], v[148:149], v[148:149]
	s_delay_alu instid0(VALU_DEP_1) | instskip(NEXT) | instid1(VALU_DEP_1)
	v_fma_f64 v[131:132], -v[146:147], v[148:149], 1.0
	v_fma_f64 v[131:132], v[131:132], v[148:149], v[148:149]
	s_delay_alu instid0(VALU_DEP_1) | instskip(NEXT) | instid1(VALU_DEP_1)
	v_mul_f64 v[148:149], v[160:161], v[131:132]
	v_mul_f64 v[162:163], v[146:147], v[148:149]
	s_delay_alu instid0(VALU_DEP_1) | instskip(NEXT) | instid1(VALU_DEP_1)
	v_fma_f64 v[144:145], v[148:149], v[146:147], -v[162:163]
	v_fma_f64 v[144:145], v[148:149], v[133:134], v[144:145]
	s_delay_alu instid0(VALU_DEP_1) | instskip(NEXT) | instid1(VALU_DEP_1)
	v_add_f64 v[164:165], v[162:163], v[144:145]
	v_add_f64 v[166:167], v[160:161], -v[164:165]
	v_add_f64 v[150:151], v[164:165], -v[162:163]
	s_delay_alu instid0(VALU_DEP_2) | instskip(NEXT) | instid1(VALU_DEP_2)
	v_add_f64 v[160:161], v[160:161], -v[166:167]
	v_add_f64 v[144:145], v[150:151], -v[144:145]
	s_delay_alu instid0(VALU_DEP_2) | instskip(NEXT) | instid1(VALU_DEP_1)
	v_add_f64 v[160:161], v[160:161], -v[164:165]
	v_add_f64 v[48:49], v[48:49], v[160:161]
	s_delay_alu instid0(VALU_DEP_1) | instskip(NEXT) | instid1(VALU_DEP_1)
	v_add_f64 v[48:49], v[144:145], v[48:49]
	v_add_f64 v[144:145], v[166:167], v[48:49]
	s_delay_alu instid0(VALU_DEP_1) | instskip(SKIP_1) | instid1(VALU_DEP_2)
	v_mul_f64 v[150:151], v[131:132], v[144:145]
	v_add_f64 v[164:165], v[166:167], -v[144:145]
	v_mul_f64 v[160:161], v[146:147], v[150:151]
	s_delay_alu instid0(VALU_DEP_2) | instskip(NEXT) | instid1(VALU_DEP_2)
	v_add_f64 v[48:49], v[48:49], v[164:165]
	v_fma_f64 v[146:147], v[150:151], v[146:147], -v[160:161]
	s_delay_alu instid0(VALU_DEP_1) | instskip(NEXT) | instid1(VALU_DEP_1)
	v_fma_f64 v[133:134], v[150:151], v[133:134], v[146:147]
	v_add_f64 v[146:147], v[160:161], v[133:134]
	s_delay_alu instid0(VALU_DEP_1) | instskip(SKIP_1) | instid1(VALU_DEP_2)
	v_add_f64 v[162:163], v[144:145], -v[146:147]
	v_add_f64 v[160:161], v[146:147], -v[160:161]
	;; [unrolled: 1-line block ×3, first 2 shown]
	s_delay_alu instid0(VALU_DEP_2) | instskip(NEXT) | instid1(VALU_DEP_2)
	v_add_f64 v[133:134], v[160:161], -v[133:134]
	v_add_f64 v[144:145], v[144:145], -v[146:147]
	s_delay_alu instid0(VALU_DEP_1) | instskip(SKIP_1) | instid1(VALU_DEP_2)
	v_add_f64 v[48:49], v[48:49], v[144:145]
	v_add_f64 v[144:145], v[148:149], v[150:151]
	;; [unrolled: 1-line block ×3, first 2 shown]
	s_delay_alu instid0(VALU_DEP_2) | instskip(NEXT) | instid1(VALU_DEP_2)
	v_add_f64 v[133:134], v[144:145], -v[148:149]
	v_add_f64 v[48:49], v[162:163], v[48:49]
	s_delay_alu instid0(VALU_DEP_2) | instskip(NEXT) | instid1(VALU_DEP_2)
	v_add_f64 v[133:134], v[150:151], -v[133:134]
	v_mul_f64 v[48:49], v[131:132], v[48:49]
	s_delay_alu instid0(VALU_DEP_1) | instskip(NEXT) | instid1(VALU_DEP_1)
	v_add_f64 v[48:49], v[133:134], v[48:49]
	v_add_f64 v[131:132], v[144:145], v[48:49]
	s_delay_alu instid0(VALU_DEP_1) | instskip(NEXT) | instid1(VALU_DEP_1)
	v_mul_f64 v[133:134], v[131:132], v[131:132]
	v_fma_f64 v[146:147], v[133:134], s[24:25], s[22:23]
	s_mov_b32 s22, 0xd7f4df2e
	s_mov_b32 s23, 0x3fc7474d
	v_mul_f64 v[148:149], v[131:132], v[133:134]
	s_delay_alu instid0(VALU_DEP_2)
	v_fma_f64 v[146:147], v[133:134], v[146:147], s[22:23]
	s_mov_b32 s22, 0x16291751
	s_mov_b32 s23, 0x3fcc71c0
	s_delay_alu instid0(VALU_DEP_1) | instid1(SALU_CYCLE_1)
	v_fma_f64 v[146:147], v[133:134], v[146:147], s[22:23]
	s_mov_b32 s22, 0x9b27acf1
	s_mov_b32 s23, 0x3fd24924
	s_delay_alu instid0(VALU_DEP_1) | instid1(SALU_CYCLE_1)
	;; [unrolled: 4-line block ×3, first 2 shown]
	v_fma_f64 v[146:147], v[133:134], v[146:147], s[22:23]
	s_delay_alu instid0(VALU_DEP_1) | instskip(SKIP_3) | instid1(VALU_DEP_4)
	v_fma_f64 v[133:134], v[133:134], v[146:147], s[14:15]
	v_ldexp_f64 v[146:147], v[131:132], 1
	v_add_f64 v[131:132], v[131:132], -v[144:145]
	v_cmp_eq_f64_e64 s14, 0x7ff00000, v[30:31]
	v_mul_f64 v[133:134], v[148:149], v[133:134]
	v_cvt_f64_i32_e32 v[148:149], v176
	s_delay_alu instid0(VALU_DEP_4) | instskip(NEXT) | instid1(VALU_DEP_3)
	v_add_f64 v[48:49], v[48:49], -v[131:132]
	v_add_f64 v[144:145], v[146:147], v[133:134]
	s_delay_alu instid0(VALU_DEP_3) | instskip(NEXT) | instid1(VALU_DEP_3)
	v_mul_f64 v[150:151], v[148:149], s[18:19]
	v_ldexp_f64 v[48:49], v[48:49], 1
	s_delay_alu instid0(VALU_DEP_3) | instskip(NEXT) | instid1(VALU_DEP_3)
	v_add_f64 v[131:132], v[144:145], -v[146:147]
	v_fma_f64 v[146:147], v[148:149], s[18:19], -v[150:151]
	s_delay_alu instid0(VALU_DEP_2) | instskip(NEXT) | instid1(VALU_DEP_2)
	v_add_f64 v[131:132], v[133:134], -v[131:132]
	v_fma_f64 v[133:134], v[148:149], s[20:21], v[146:147]
	s_delay_alu instid0(VALU_DEP_2) | instskip(NEXT) | instid1(VALU_DEP_2)
	v_add_f64 v[48:49], v[48:49], v[131:132]
	v_add_f64 v[131:132], v[150:151], v[133:134]
	s_delay_alu instid0(VALU_DEP_2) | instskip(NEXT) | instid1(VALU_DEP_2)
	v_add_f64 v[146:147], v[144:145], v[48:49]
	v_add_f64 v[150:151], v[131:132], -v[150:151]
	s_delay_alu instid0(VALU_DEP_2) | instskip(SKIP_1) | instid1(VALU_DEP_3)
	v_add_f64 v[148:149], v[131:132], v[146:147]
	v_add_f64 v[144:145], v[146:147], -v[144:145]
	v_add_f64 v[133:134], v[133:134], -v[150:151]
	s_delay_alu instid0(VALU_DEP_3) | instskip(NEXT) | instid1(VALU_DEP_3)
	v_add_f64 v[160:161], v[148:149], -v[131:132]
	v_add_f64 v[48:49], v[48:49], -v[144:145]
	s_delay_alu instid0(VALU_DEP_2) | instskip(SKIP_1) | instid1(VALU_DEP_3)
	v_add_f64 v[162:163], v[148:149], -v[160:161]
	v_add_f64 v[144:145], v[146:147], -v[160:161]
	v_add_f64 v[146:147], v[133:134], v[48:49]
	s_delay_alu instid0(VALU_DEP_3) | instskip(NEXT) | instid1(VALU_DEP_1)
	v_add_f64 v[131:132], v[131:132], -v[162:163]
	v_add_f64 v[131:132], v[144:145], v[131:132]
	s_delay_alu instid0(VALU_DEP_3) | instskip(NEXT) | instid1(VALU_DEP_2)
	v_add_f64 v[144:145], v[146:147], -v[133:134]
	v_add_f64 v[131:132], v[146:147], v[131:132]
	s_delay_alu instid0(VALU_DEP_2) | instskip(SKIP_1) | instid1(VALU_DEP_3)
	v_add_f64 v[146:147], v[146:147], -v[144:145]
	v_add_f64 v[48:49], v[48:49], -v[144:145]
	v_add_f64 v[150:151], v[148:149], v[131:132]
	s_delay_alu instid0(VALU_DEP_3) | instskip(NEXT) | instid1(VALU_DEP_2)
	v_add_f64 v[133:134], v[133:134], -v[146:147]
	v_add_f64 v[144:145], v[150:151], -v[148:149]
	s_delay_alu instid0(VALU_DEP_2) | instskip(NEXT) | instid1(VALU_DEP_2)
	v_add_f64 v[48:49], v[48:49], v[133:134]
	v_add_f64 v[131:132], v[131:132], -v[144:145]
	s_delay_alu instid0(VALU_DEP_1) | instskip(NEXT) | instid1(VALU_DEP_1)
	v_add_f64 v[48:49], v[48:49], v[131:132]
	v_add_f64 v[48:49], v[150:151], v[48:49]
	s_delay_alu instid0(VALU_DEP_1) | instskip(NEXT) | instid1(VALU_DEP_2)
	v_cndmask_b32_e64 v48, v48, v30, s14
	v_cndmask_b32_e64 v49, v49, v31, s14
	v_cmp_ngt_f64_e64 s14, -1.0, v[30:31]
	s_delay_alu instid0(VALU_DEP_1) | instskip(SKIP_1) | instid1(VALU_DEP_1)
	v_cndmask_b32_e64 v49, 0x7ff80000, v49, s14
	v_cmp_nge_f64_e64 s14, -1.0, v[30:31]
	v_cndmask_b32_e64 v48, 0, v48, s14
	v_cmp_neq_f64_e64 s14, -1.0, v[30:31]
	s_delay_alu instid0(VALU_DEP_1) | instskip(NEXT) | instid1(VALU_DEP_1)
	v_cndmask_b32_e64 v49, 0xfff00000, v49, s14
	v_add_f64 v[48:49], v[28:29], v[48:49]
.LBB36_290:
	s_or_b32 exec_lo, exec_lo, s17
	v_max_f64 v[28:29], v[64:65], v[64:65]
	s_delay_alu instid0(VALU_DEP_2) | instskip(SKIP_2) | instid1(VALU_DEP_3)
	v_max_f64 v[30:31], v[48:49], v[48:49]
	v_cmp_u_f64_e64 s15, v[48:49], v[48:49]
	v_cmp_u_f64_e64 s14, v[64:65], v[64:65]
	v_min_f64 v[131:132], v[30:31], v[28:29]
	v_max_f64 v[30:31], v[30:31], v[28:29]
	s_delay_alu instid0(VALU_DEP_2) | instskip(NEXT) | instid1(VALU_DEP_3)
	v_cndmask_b32_e64 v131, v131, v48, s15
	v_cndmask_b32_e64 v132, v132, v49, s15
	s_delay_alu instid0(VALU_DEP_3) | instskip(NEXT) | instid1(VALU_DEP_4)
	v_cndmask_b32_e64 v31, v31, v49, s15
	v_cndmask_b32_e64 v30, v30, v48, s15
	s_delay_alu instid0(VALU_DEP_4) | instskip(NEXT) | instid1(VALU_DEP_4)
	v_cndmask_b32_e64 v131, v131, v64, s14
	v_cndmask_b32_e64 v132, v132, v65, s14
	s_delay_alu instid0(VALU_DEP_4) | instskip(NEXT) | instid1(VALU_DEP_4)
	v_cndmask_b32_e64 v31, v31, v65, s14
	v_cndmask_b32_e64 v30, v30, v64, s14
	s_delay_alu instid0(VALU_DEP_3) | instskip(NEXT) | instid1(VALU_DEP_2)
	v_cmp_class_f64_e64 s17, v[131:132], 0x1f8
	v_cmp_neq_f64_e64 s15, v[131:132], v[30:31]
	s_delay_alu instid0(VALU_DEP_1) | instskip(NEXT) | instid1(SALU_CYCLE_1)
	s_or_b32 s15, s15, s17
	s_and_saveexec_b32 s24, s15
	s_cbranch_execz .LBB36_292
; %bb.291:
	v_add_f64 v[48:49], v[131:132], -v[30:31]
	s_mov_b32 s18, 0x652b82fe
	s_mov_b32 s19, 0x3ff71547
	;; [unrolled: 1-line block ×10, first 2 shown]
	s_delay_alu instid0(VALU_DEP_1) | instskip(SKIP_4) | instid1(VALU_DEP_3)
	v_mul_f64 v[131:132], v[48:49], s[18:19]
	s_mov_b32 s19, 0xbfe62e42
	s_mov_b32 s18, 0xfefa39ef
	v_cmp_nlt_f64_e64 s15, 0x40900000, v[48:49]
	v_cmp_ngt_f64_e64 s17, 0xc090cc00, v[48:49]
	v_rndne_f64_e32 v[131:132], v[131:132]
	s_delay_alu instid0(VALU_DEP_1) | instskip(SKIP_2) | instid1(VALU_DEP_2)
	v_fma_f64 v[133:134], v[131:132], s[18:19], v[48:49]
	v_cvt_i32_f64_e32 v146, v[131:132]
	s_mov_b32 s19, 0x3fe62e42
	v_fma_f64 v[133:134], v[131:132], s[20:21], v[133:134]
	s_mov_b32 s21, 0x3c7abc9e
	s_delay_alu instid0(VALU_DEP_1) | instskip(SKIP_4) | instid1(VALU_DEP_1)
	v_fma_f64 v[144:145], v[133:134], s[26:27], s[22:23]
	s_mov_b32 s22, 0x623fde64
	s_mov_b32 s23, 0x3ec71dee
	;; [unrolled: 1-line block ×4, first 2 shown]
	v_fma_f64 v[144:145], v[133:134], v[144:145], s[22:23]
	s_mov_b32 s22, 0x7c89e6b0
	s_mov_b32 s23, 0x3efa0199
	s_delay_alu instid0(VALU_DEP_1) | instid1(SALU_CYCLE_1)
	v_fma_f64 v[144:145], v[133:134], v[144:145], s[22:23]
	s_mov_b32 s22, 0x14761f6e
	s_mov_b32 s23, 0x3f2a01a0
	s_delay_alu instid0(VALU_DEP_1) | instid1(SALU_CYCLE_1)
	;; [unrolled: 4-line block ×7, first 2 shown]
	v_fma_f64 v[144:145], v[133:134], v[144:145], s[22:23]
	s_mov_b32 s23, 0x3fe55555
	s_mov_b32 s22, 0x55555555
	s_delay_alu instid0(VALU_DEP_1) | instskip(NEXT) | instid1(VALU_DEP_1)
	v_fma_f64 v[144:145], v[133:134], v[144:145], 1.0
	v_fma_f64 v[131:132], v[133:134], v[144:145], 1.0
	s_delay_alu instid0(VALU_DEP_1) | instskip(NEXT) | instid1(VALU_DEP_1)
	v_ldexp_f64 v[131:132], v[131:132], v146
	v_cndmask_b32_e64 v132, 0x7ff00000, v132, s15
	s_and_b32 s15, s17, s15
	s_delay_alu instid0(VALU_DEP_2) | instid1(SALU_CYCLE_1)
	v_cndmask_b32_e64 v48, 0, v131, s15
	s_delay_alu instid0(VALU_DEP_2) | instskip(NEXT) | instid1(VALU_DEP_1)
	v_cndmask_b32_e64 v49, 0, v132, s17
	v_add_f64 v[131:132], v[48:49], 1.0
	s_delay_alu instid0(VALU_DEP_1) | instskip(SKIP_2) | instid1(VALU_DEP_3)
	v_frexp_mant_f64_e32 v[133:134], v[131:132]
	v_frexp_exp_i32_f64_e32 v146, v[131:132]
	v_add_f64 v[144:145], v[131:132], -1.0
	v_cmp_gt_f64_e64 s15, s[22:23], v[133:134]
	s_mov_b32 s22, 0x55555780
	s_delay_alu instid0(VALU_DEP_2) | instskip(SKIP_1) | instid1(VALU_DEP_3)
	v_add_f64 v[133:134], v[144:145], -v[131:132]
	v_add_f64 v[144:145], v[48:49], -v[144:145]
	v_subrev_co_ci_u32_e64 v212, s15, 0, v146, s15
	s_delay_alu instid0(VALU_DEP_3) | instskip(SKIP_1) | instid1(VALU_DEP_3)
	v_add_f64 v[133:134], v[133:134], 1.0
	v_cmp_eq_f64_e64 s15, 0x7ff00000, v[48:49]
	v_sub_nc_u32_e32 v148, 0, v212
	s_delay_alu instid0(VALU_DEP_1) | instskip(NEXT) | instid1(VALU_DEP_4)
	v_ldexp_f64 v[131:132], v[131:132], v148
	v_add_f64 v[133:134], v[144:145], v[133:134]
	s_delay_alu instid0(VALU_DEP_2) | instskip(SKIP_1) | instid1(VALU_DEP_3)
	v_add_f64 v[146:147], v[131:132], 1.0
	v_add_f64 v[160:161], v[131:132], -1.0
	v_ldexp_f64 v[133:134], v[133:134], v148
	s_delay_alu instid0(VALU_DEP_3) | instskip(NEXT) | instid1(VALU_DEP_3)
	v_add_f64 v[144:145], v[146:147], -1.0
	v_add_f64 v[162:163], v[160:161], 1.0
	s_delay_alu instid0(VALU_DEP_2) | instskip(NEXT) | instid1(VALU_DEP_2)
	v_add_f64 v[144:145], v[131:132], -v[144:145]
	v_add_f64 v[131:132], v[131:132], -v[162:163]
	s_delay_alu instid0(VALU_DEP_2) | instskip(NEXT) | instid1(VALU_DEP_2)
	v_add_f64 v[144:145], v[133:134], v[144:145]
	v_add_f64 v[131:132], v[133:134], v[131:132]
	s_delay_alu instid0(VALU_DEP_2) | instskip(NEXT) | instid1(VALU_DEP_2)
	v_add_f64 v[148:149], v[146:147], v[144:145]
	v_add_f64 v[162:163], v[160:161], v[131:132]
	s_delay_alu instid0(VALU_DEP_2) | instskip(SKIP_1) | instid1(VALU_DEP_2)
	v_rcp_f64_e32 v[150:151], v[148:149]
	v_add_f64 v[146:147], v[148:149], -v[146:147]
	v_add_f64 v[160:161], v[162:163], -v[160:161]
	s_delay_alu instid0(VALU_DEP_2) | instskip(SKIP_3) | instid1(VALU_DEP_2)
	v_add_f64 v[144:145], v[144:145], -v[146:147]
	s_waitcnt_depctr 0xfff
	v_fma_f64 v[164:165], -v[148:149], v[150:151], 1.0
	v_add_f64 v[131:132], v[131:132], -v[160:161]
	v_fma_f64 v[150:151], v[164:165], v[150:151], v[150:151]
	s_delay_alu instid0(VALU_DEP_1) | instskip(NEXT) | instid1(VALU_DEP_1)
	v_fma_f64 v[133:134], -v[148:149], v[150:151], 1.0
	v_fma_f64 v[133:134], v[133:134], v[150:151], v[150:151]
	s_delay_alu instid0(VALU_DEP_1) | instskip(NEXT) | instid1(VALU_DEP_1)
	v_mul_f64 v[150:151], v[162:163], v[133:134]
	v_mul_f64 v[164:165], v[148:149], v[150:151]
	s_delay_alu instid0(VALU_DEP_1) | instskip(NEXT) | instid1(VALU_DEP_1)
	v_fma_f64 v[146:147], v[150:151], v[148:149], -v[164:165]
	v_fma_f64 v[146:147], v[150:151], v[144:145], v[146:147]
	s_delay_alu instid0(VALU_DEP_1) | instskip(NEXT) | instid1(VALU_DEP_1)
	v_add_f64 v[166:167], v[164:165], v[146:147]
	v_add_f64 v[176:177], v[162:163], -v[166:167]
	v_add_f64 v[160:161], v[166:167], -v[164:165]
	s_delay_alu instid0(VALU_DEP_2) | instskip(NEXT) | instid1(VALU_DEP_2)
	v_add_f64 v[162:163], v[162:163], -v[176:177]
	v_add_f64 v[146:147], v[160:161], -v[146:147]
	s_delay_alu instid0(VALU_DEP_2) | instskip(NEXT) | instid1(VALU_DEP_1)
	v_add_f64 v[162:163], v[162:163], -v[166:167]
	v_add_f64 v[131:132], v[131:132], v[162:163]
	s_delay_alu instid0(VALU_DEP_1) | instskip(NEXT) | instid1(VALU_DEP_1)
	v_add_f64 v[131:132], v[146:147], v[131:132]
	v_add_f64 v[146:147], v[176:177], v[131:132]
	s_delay_alu instid0(VALU_DEP_1) | instskip(SKIP_1) | instid1(VALU_DEP_2)
	v_mul_f64 v[160:161], v[133:134], v[146:147]
	v_add_f64 v[166:167], v[176:177], -v[146:147]
	v_mul_f64 v[162:163], v[148:149], v[160:161]
	s_delay_alu instid0(VALU_DEP_2) | instskip(NEXT) | instid1(VALU_DEP_2)
	v_add_f64 v[131:132], v[131:132], v[166:167]
	v_fma_f64 v[148:149], v[160:161], v[148:149], -v[162:163]
	s_delay_alu instid0(VALU_DEP_1) | instskip(NEXT) | instid1(VALU_DEP_1)
	v_fma_f64 v[144:145], v[160:161], v[144:145], v[148:149]
	v_add_f64 v[148:149], v[162:163], v[144:145]
	s_delay_alu instid0(VALU_DEP_1) | instskip(SKIP_1) | instid1(VALU_DEP_2)
	v_add_f64 v[164:165], v[146:147], -v[148:149]
	v_add_f64 v[162:163], v[148:149], -v[162:163]
	;; [unrolled: 1-line block ×3, first 2 shown]
	s_delay_alu instid0(VALU_DEP_2) | instskip(NEXT) | instid1(VALU_DEP_2)
	v_add_f64 v[144:145], v[162:163], -v[144:145]
	v_add_f64 v[146:147], v[146:147], -v[148:149]
	s_delay_alu instid0(VALU_DEP_1) | instskip(SKIP_1) | instid1(VALU_DEP_2)
	v_add_f64 v[131:132], v[131:132], v[146:147]
	v_add_f64 v[146:147], v[150:151], v[160:161]
	;; [unrolled: 1-line block ×3, first 2 shown]
	s_delay_alu instid0(VALU_DEP_2) | instskip(NEXT) | instid1(VALU_DEP_2)
	v_add_f64 v[144:145], v[146:147], -v[150:151]
	v_add_f64 v[131:132], v[164:165], v[131:132]
	s_delay_alu instid0(VALU_DEP_2) | instskip(NEXT) | instid1(VALU_DEP_2)
	v_add_f64 v[144:145], v[160:161], -v[144:145]
	v_mul_f64 v[131:132], v[133:134], v[131:132]
	s_delay_alu instid0(VALU_DEP_1) | instskip(NEXT) | instid1(VALU_DEP_1)
	v_add_f64 v[131:132], v[144:145], v[131:132]
	v_add_f64 v[133:134], v[146:147], v[131:132]
	s_delay_alu instid0(VALU_DEP_1) | instskip(NEXT) | instid1(VALU_DEP_1)
	v_mul_f64 v[144:145], v[133:134], v[133:134]
	v_fma_f64 v[148:149], v[144:145], s[28:29], s[26:27]
	s_mov_b32 s26, 0xd7f4df2e
	s_mov_b32 s27, 0x3fc7474d
	v_mul_f64 v[150:151], v[133:134], v[144:145]
	s_delay_alu instid0(VALU_DEP_2)
	v_fma_f64 v[148:149], v[144:145], v[148:149], s[26:27]
	s_mov_b32 s26, 0x16291751
	s_mov_b32 s27, 0x3fcc71c0
	s_delay_alu instid0(VALU_DEP_1) | instid1(SALU_CYCLE_1)
	v_fma_f64 v[148:149], v[144:145], v[148:149], s[26:27]
	s_mov_b32 s26, 0x9b27acf1
	s_mov_b32 s27, 0x3fd24924
	s_delay_alu instid0(VALU_DEP_1) | instid1(SALU_CYCLE_1)
	;; [unrolled: 4-line block ×3, first 2 shown]
	v_fma_f64 v[148:149], v[144:145], v[148:149], s[26:27]
	s_delay_alu instid0(VALU_DEP_1) | instskip(SKIP_2) | instid1(VALU_DEP_3)
	v_fma_f64 v[144:145], v[144:145], v[148:149], s[22:23]
	v_ldexp_f64 v[148:149], v[133:134], 1
	v_add_f64 v[133:134], v[133:134], -v[146:147]
	v_mul_f64 v[144:145], v[150:151], v[144:145]
	v_cvt_f64_i32_e32 v[150:151], v212
	s_delay_alu instid0(VALU_DEP_3) | instskip(NEXT) | instid1(VALU_DEP_3)
	v_add_f64 v[131:132], v[131:132], -v[133:134]
	v_add_f64 v[146:147], v[148:149], v[144:145]
	s_delay_alu instid0(VALU_DEP_3) | instskip(NEXT) | instid1(VALU_DEP_3)
	v_mul_f64 v[160:161], v[150:151], s[18:19]
	v_ldexp_f64 v[131:132], v[131:132], 1
	s_delay_alu instid0(VALU_DEP_3) | instskip(NEXT) | instid1(VALU_DEP_3)
	v_add_f64 v[133:134], v[146:147], -v[148:149]
	v_fma_f64 v[148:149], v[150:151], s[18:19], -v[160:161]
	s_delay_alu instid0(VALU_DEP_2) | instskip(NEXT) | instid1(VALU_DEP_2)
	v_add_f64 v[133:134], v[144:145], -v[133:134]
	v_fma_f64 v[144:145], v[150:151], s[20:21], v[148:149]
	s_delay_alu instid0(VALU_DEP_2) | instskip(NEXT) | instid1(VALU_DEP_2)
	v_add_f64 v[131:132], v[131:132], v[133:134]
	v_add_f64 v[133:134], v[160:161], v[144:145]
	s_delay_alu instid0(VALU_DEP_2) | instskip(NEXT) | instid1(VALU_DEP_2)
	v_add_f64 v[148:149], v[146:147], v[131:132]
	v_add_f64 v[160:161], v[133:134], -v[160:161]
	s_delay_alu instid0(VALU_DEP_2) | instskip(SKIP_1) | instid1(VALU_DEP_3)
	v_add_f64 v[150:151], v[133:134], v[148:149]
	v_add_f64 v[146:147], v[148:149], -v[146:147]
	v_add_f64 v[144:145], v[144:145], -v[160:161]
	s_delay_alu instid0(VALU_DEP_3) | instskip(NEXT) | instid1(VALU_DEP_3)
	v_add_f64 v[162:163], v[150:151], -v[133:134]
	v_add_f64 v[131:132], v[131:132], -v[146:147]
	s_delay_alu instid0(VALU_DEP_2) | instskip(SKIP_1) | instid1(VALU_DEP_3)
	v_add_f64 v[164:165], v[150:151], -v[162:163]
	v_add_f64 v[146:147], v[148:149], -v[162:163]
	v_add_f64 v[148:149], v[144:145], v[131:132]
	s_delay_alu instid0(VALU_DEP_3) | instskip(NEXT) | instid1(VALU_DEP_1)
	v_add_f64 v[133:134], v[133:134], -v[164:165]
	v_add_f64 v[133:134], v[146:147], v[133:134]
	s_delay_alu instid0(VALU_DEP_3) | instskip(NEXT) | instid1(VALU_DEP_2)
	v_add_f64 v[146:147], v[148:149], -v[144:145]
	v_add_f64 v[133:134], v[148:149], v[133:134]
	s_delay_alu instid0(VALU_DEP_2) | instskip(SKIP_1) | instid1(VALU_DEP_3)
	v_add_f64 v[148:149], v[148:149], -v[146:147]
	v_add_f64 v[131:132], v[131:132], -v[146:147]
	v_add_f64 v[160:161], v[150:151], v[133:134]
	s_delay_alu instid0(VALU_DEP_3) | instskip(NEXT) | instid1(VALU_DEP_2)
	v_add_f64 v[144:145], v[144:145], -v[148:149]
	v_add_f64 v[146:147], v[160:161], -v[150:151]
	s_delay_alu instid0(VALU_DEP_2) | instskip(NEXT) | instid1(VALU_DEP_2)
	v_add_f64 v[131:132], v[131:132], v[144:145]
	v_add_f64 v[133:134], v[133:134], -v[146:147]
	s_delay_alu instid0(VALU_DEP_1) | instskip(NEXT) | instid1(VALU_DEP_1)
	v_add_f64 v[131:132], v[131:132], v[133:134]
	v_add_f64 v[131:132], v[160:161], v[131:132]
	s_delay_alu instid0(VALU_DEP_1) | instskip(NEXT) | instid1(VALU_DEP_2)
	v_cndmask_b32_e64 v131, v131, v48, s15
	v_cndmask_b32_e64 v132, v132, v49, s15
	v_cmp_ngt_f64_e64 s15, -1.0, v[48:49]
	s_delay_alu instid0(VALU_DEP_1) | instskip(SKIP_1) | instid1(VALU_DEP_1)
	v_cndmask_b32_e64 v132, 0x7ff80000, v132, s15
	v_cmp_nge_f64_e64 s15, -1.0, v[48:49]
	v_cndmask_b32_e64 v131, 0, v131, s15
	v_cmp_neq_f64_e64 s15, -1.0, v[48:49]
	s_delay_alu instid0(VALU_DEP_1) | instskip(NEXT) | instid1(VALU_DEP_1)
	v_cndmask_b32_e64 v132, 0xfff00000, v132, s15
	v_add_f64 v[48:49], v[30:31], v[131:132]
.LBB36_292:
	s_or_b32 exec_lo, exec_lo, s24
	v_max_f64 v[30:31], v[66:67], v[66:67]
	s_delay_alu instid0(VALU_DEP_2) | instskip(SKIP_2) | instid1(VALU_DEP_3)
	v_max_f64 v[131:132], v[48:49], v[48:49]
	v_cmp_u_f64_e64 s17, v[48:49], v[48:49]
	v_cmp_u_f64_e64 s15, v[66:67], v[66:67]
	v_min_f64 v[133:134], v[131:132], v[30:31]
	v_max_f64 v[131:132], v[131:132], v[30:31]
	s_delay_alu instid0(VALU_DEP_2) | instskip(NEXT) | instid1(VALU_DEP_3)
	v_cndmask_b32_e64 v133, v133, v48, s17
	v_cndmask_b32_e64 v134, v134, v49, s17
	s_delay_alu instid0(VALU_DEP_3) | instskip(NEXT) | instid1(VALU_DEP_4)
	v_cndmask_b32_e64 v132, v132, v49, s17
	v_cndmask_b32_e64 v131, v131, v48, s17
	s_delay_alu instid0(VALU_DEP_4) | instskip(NEXT) | instid1(VALU_DEP_4)
	v_cndmask_b32_e64 v133, v133, v66, s15
	v_cndmask_b32_e64 v134, v134, v67, s15
	s_delay_alu instid0(VALU_DEP_4) | instskip(NEXT) | instid1(VALU_DEP_4)
	v_cndmask_b32_e64 v132, v132, v67, s15
	v_cndmask_b32_e64 v131, v131, v66, s15
	s_delay_alu instid0(VALU_DEP_3) | instskip(NEXT) | instid1(VALU_DEP_2)
	v_cmp_class_f64_e64 s18, v[133:134], 0x1f8
	v_cmp_neq_f64_e64 s17, v[133:134], v[131:132]
	s_delay_alu instid0(VALU_DEP_1) | instskip(NEXT) | instid1(SALU_CYCLE_1)
	s_or_b32 s17, s17, s18
	s_and_saveexec_b32 s24, s17
	s_cbranch_execz .LBB36_294
; %bb.293:
	v_add_f64 v[48:49], v[133:134], -v[131:132]
	s_mov_b32 s18, 0x652b82fe
	s_mov_b32 s19, 0x3ff71547
	;; [unrolled: 1-line block ×10, first 2 shown]
	s_delay_alu instid0(VALU_DEP_1) | instskip(SKIP_3) | instid1(VALU_DEP_2)
	v_mul_f64 v[133:134], v[48:49], s[18:19]
	s_mov_b32 s18, 0xfca7ab0c
	s_mov_b32 s19, 0x3e928af3
	v_cmp_nlt_f64_e64 s17, 0x40900000, v[48:49]
	v_rndne_f64_e32 v[133:134], v[133:134]
	s_delay_alu instid0(VALU_DEP_1) | instskip(SKIP_2) | instid1(VALU_DEP_2)
	v_fma_f64 v[144:145], v[133:134], s[20:21], v[48:49]
	v_cvt_i32_f64_e32 v148, v[133:134]
	s_mov_b32 s21, 0x3fe62e42
	v_fma_f64 v[144:145], v[133:134], s[22:23], v[144:145]
	s_mov_b32 s23, 0x3c7abc9e
	s_delay_alu instid0(VALU_DEP_1) | instskip(SKIP_4) | instid1(VALU_DEP_1)
	v_fma_f64 v[146:147], v[144:145], s[26:27], s[18:19]
	s_mov_b32 s18, 0x623fde64
	s_mov_b32 s19, 0x3ec71dee
	;; [unrolled: 1-line block ×4, first 2 shown]
	v_fma_f64 v[146:147], v[144:145], v[146:147], s[18:19]
	s_mov_b32 s18, 0x7c89e6b0
	s_mov_b32 s19, 0x3efa0199
	s_delay_alu instid0(VALU_DEP_1) | instid1(SALU_CYCLE_1)
	v_fma_f64 v[146:147], v[144:145], v[146:147], s[18:19]
	s_mov_b32 s18, 0x14761f6e
	s_mov_b32 s19, 0x3f2a01a0
	s_delay_alu instid0(VALU_DEP_1) | instid1(SALU_CYCLE_1)
	;; [unrolled: 4-line block ×7, first 2 shown]
	v_fma_f64 v[146:147], v[144:145], v[146:147], s[18:19]
	v_cmp_ngt_f64_e64 s18, 0xc090cc00, v[48:49]
	s_mov_b32 s19, 0x3fe55555
	s_delay_alu instid0(VALU_DEP_2) | instskip(NEXT) | instid1(VALU_DEP_1)
	v_fma_f64 v[146:147], v[144:145], v[146:147], 1.0
	v_fma_f64 v[133:134], v[144:145], v[146:147], 1.0
	s_delay_alu instid0(VALU_DEP_1) | instskip(NEXT) | instid1(VALU_DEP_1)
	v_ldexp_f64 v[133:134], v[133:134], v148
	v_cndmask_b32_e64 v134, 0x7ff00000, v134, s17
	s_and_b32 s17, s18, s17
	s_delay_alu instid0(VALU_DEP_2) | instid1(SALU_CYCLE_1)
	v_cndmask_b32_e64 v48, 0, v133, s17
	s_delay_alu instid0(VALU_DEP_2) | instskip(SKIP_1) | instid1(VALU_DEP_1)
	v_cndmask_b32_e64 v49, 0, v134, s18
	s_mov_b32 s18, 0x55555555
	v_add_f64 v[133:134], v[48:49], 1.0
	s_delay_alu instid0(VALU_DEP_1) | instskip(SKIP_2) | instid1(VALU_DEP_3)
	v_frexp_mant_f64_e32 v[144:145], v[133:134]
	v_frexp_exp_i32_f64_e32 v148, v[133:134]
	v_add_f64 v[146:147], v[133:134], -1.0
	v_cmp_gt_f64_e64 s17, s[18:19], v[144:145]
	s_mov_b32 s18, 0x55555780
	s_delay_alu instid0(VALU_DEP_2) | instskip(SKIP_1) | instid1(VALU_DEP_3)
	v_add_f64 v[144:145], v[146:147], -v[133:134]
	v_add_f64 v[146:147], v[48:49], -v[146:147]
	v_subrev_co_ci_u32_e64 v214, s17, 0, v148, s17
	s_delay_alu instid0(VALU_DEP_3) | instskip(SKIP_1) | instid1(VALU_DEP_3)
	v_add_f64 v[144:145], v[144:145], 1.0
	v_cmp_eq_f64_e64 s17, 0x7ff00000, v[48:49]
	v_sub_nc_u32_e32 v150, 0, v214
	s_delay_alu instid0(VALU_DEP_1) | instskip(NEXT) | instid1(VALU_DEP_4)
	v_ldexp_f64 v[133:134], v[133:134], v150
	v_add_f64 v[144:145], v[146:147], v[144:145]
	s_delay_alu instid0(VALU_DEP_2) | instskip(SKIP_1) | instid1(VALU_DEP_3)
	v_add_f64 v[148:149], v[133:134], 1.0
	v_add_f64 v[162:163], v[133:134], -1.0
	v_ldexp_f64 v[144:145], v[144:145], v150
	s_delay_alu instid0(VALU_DEP_3) | instskip(NEXT) | instid1(VALU_DEP_3)
	v_add_f64 v[146:147], v[148:149], -1.0
	v_add_f64 v[164:165], v[162:163], 1.0
	s_delay_alu instid0(VALU_DEP_2) | instskip(NEXT) | instid1(VALU_DEP_2)
	v_add_f64 v[146:147], v[133:134], -v[146:147]
	v_add_f64 v[133:134], v[133:134], -v[164:165]
	s_delay_alu instid0(VALU_DEP_2) | instskip(NEXT) | instid1(VALU_DEP_2)
	v_add_f64 v[146:147], v[144:145], v[146:147]
	v_add_f64 v[133:134], v[144:145], v[133:134]
	s_delay_alu instid0(VALU_DEP_2) | instskip(NEXT) | instid1(VALU_DEP_2)
	v_add_f64 v[150:151], v[148:149], v[146:147]
	v_add_f64 v[164:165], v[162:163], v[133:134]
	s_delay_alu instid0(VALU_DEP_2) | instskip(SKIP_1) | instid1(VALU_DEP_2)
	v_rcp_f64_e32 v[160:161], v[150:151]
	v_add_f64 v[148:149], v[150:151], -v[148:149]
	v_add_f64 v[162:163], v[164:165], -v[162:163]
	s_delay_alu instid0(VALU_DEP_2) | instskip(SKIP_3) | instid1(VALU_DEP_2)
	v_add_f64 v[146:147], v[146:147], -v[148:149]
	s_waitcnt_depctr 0xfff
	v_fma_f64 v[166:167], -v[150:151], v[160:161], 1.0
	v_add_f64 v[133:134], v[133:134], -v[162:163]
	v_fma_f64 v[160:161], v[166:167], v[160:161], v[160:161]
	s_delay_alu instid0(VALU_DEP_1) | instskip(NEXT) | instid1(VALU_DEP_1)
	v_fma_f64 v[144:145], -v[150:151], v[160:161], 1.0
	v_fma_f64 v[144:145], v[144:145], v[160:161], v[160:161]
	s_delay_alu instid0(VALU_DEP_1) | instskip(NEXT) | instid1(VALU_DEP_1)
	v_mul_f64 v[160:161], v[164:165], v[144:145]
	v_mul_f64 v[166:167], v[150:151], v[160:161]
	s_delay_alu instid0(VALU_DEP_1) | instskip(NEXT) | instid1(VALU_DEP_1)
	v_fma_f64 v[148:149], v[160:161], v[150:151], -v[166:167]
	v_fma_f64 v[148:149], v[160:161], v[146:147], v[148:149]
	s_delay_alu instid0(VALU_DEP_1) | instskip(NEXT) | instid1(VALU_DEP_1)
	v_add_f64 v[176:177], v[166:167], v[148:149]
	v_add_f64 v[212:213], v[164:165], -v[176:177]
	v_add_f64 v[162:163], v[176:177], -v[166:167]
	s_delay_alu instid0(VALU_DEP_2) | instskip(NEXT) | instid1(VALU_DEP_2)
	v_add_f64 v[164:165], v[164:165], -v[212:213]
	v_add_f64 v[148:149], v[162:163], -v[148:149]
	s_delay_alu instid0(VALU_DEP_2) | instskip(NEXT) | instid1(VALU_DEP_1)
	v_add_f64 v[164:165], v[164:165], -v[176:177]
	v_add_f64 v[133:134], v[133:134], v[164:165]
	s_delay_alu instid0(VALU_DEP_1) | instskip(NEXT) | instid1(VALU_DEP_1)
	v_add_f64 v[133:134], v[148:149], v[133:134]
	v_add_f64 v[148:149], v[212:213], v[133:134]
	s_delay_alu instid0(VALU_DEP_1) | instskip(SKIP_1) | instid1(VALU_DEP_2)
	v_mul_f64 v[162:163], v[144:145], v[148:149]
	v_add_f64 v[176:177], v[212:213], -v[148:149]
	v_mul_f64 v[164:165], v[150:151], v[162:163]
	s_delay_alu instid0(VALU_DEP_2) | instskip(NEXT) | instid1(VALU_DEP_2)
	v_add_f64 v[133:134], v[133:134], v[176:177]
	v_fma_f64 v[150:151], v[162:163], v[150:151], -v[164:165]
	s_delay_alu instid0(VALU_DEP_1) | instskip(NEXT) | instid1(VALU_DEP_1)
	v_fma_f64 v[146:147], v[162:163], v[146:147], v[150:151]
	v_add_f64 v[150:151], v[164:165], v[146:147]
	s_delay_alu instid0(VALU_DEP_1) | instskip(SKIP_1) | instid1(VALU_DEP_2)
	v_add_f64 v[166:167], v[148:149], -v[150:151]
	v_add_f64 v[164:165], v[150:151], -v[164:165]
	;; [unrolled: 1-line block ×3, first 2 shown]
	s_delay_alu instid0(VALU_DEP_2) | instskip(NEXT) | instid1(VALU_DEP_2)
	v_add_f64 v[146:147], v[164:165], -v[146:147]
	v_add_f64 v[148:149], v[148:149], -v[150:151]
	s_delay_alu instid0(VALU_DEP_1) | instskip(SKIP_1) | instid1(VALU_DEP_2)
	v_add_f64 v[133:134], v[133:134], v[148:149]
	v_add_f64 v[148:149], v[160:161], v[162:163]
	v_add_f64 v[133:134], v[146:147], v[133:134]
	s_delay_alu instid0(VALU_DEP_2) | instskip(NEXT) | instid1(VALU_DEP_2)
	v_add_f64 v[146:147], v[148:149], -v[160:161]
	v_add_f64 v[133:134], v[166:167], v[133:134]
	s_delay_alu instid0(VALU_DEP_2) | instskip(NEXT) | instid1(VALU_DEP_2)
	v_add_f64 v[146:147], v[162:163], -v[146:147]
	v_mul_f64 v[133:134], v[144:145], v[133:134]
	s_delay_alu instid0(VALU_DEP_1) | instskip(NEXT) | instid1(VALU_DEP_1)
	v_add_f64 v[133:134], v[146:147], v[133:134]
	v_add_f64 v[144:145], v[148:149], v[133:134]
	s_delay_alu instid0(VALU_DEP_1) | instskip(NEXT) | instid1(VALU_DEP_1)
	v_mul_f64 v[146:147], v[144:145], v[144:145]
	v_fma_f64 v[150:151], v[146:147], s[28:29], s[26:27]
	s_mov_b32 s26, 0xd7f4df2e
	s_mov_b32 s27, 0x3fc7474d
	v_mul_f64 v[160:161], v[144:145], v[146:147]
	s_delay_alu instid0(VALU_DEP_2)
	v_fma_f64 v[150:151], v[146:147], v[150:151], s[26:27]
	s_mov_b32 s26, 0x16291751
	s_mov_b32 s27, 0x3fcc71c0
	s_delay_alu instid0(VALU_DEP_1) | instid1(SALU_CYCLE_1)
	v_fma_f64 v[150:151], v[146:147], v[150:151], s[26:27]
	s_mov_b32 s26, 0x9b27acf1
	s_mov_b32 s27, 0x3fd24924
	s_delay_alu instid0(VALU_DEP_1) | instid1(SALU_CYCLE_1)
	;; [unrolled: 4-line block ×3, first 2 shown]
	v_fma_f64 v[150:151], v[146:147], v[150:151], s[26:27]
	s_delay_alu instid0(VALU_DEP_1) | instskip(SKIP_2) | instid1(VALU_DEP_3)
	v_fma_f64 v[146:147], v[146:147], v[150:151], s[18:19]
	v_ldexp_f64 v[150:151], v[144:145], 1
	v_add_f64 v[144:145], v[144:145], -v[148:149]
	v_mul_f64 v[146:147], v[160:161], v[146:147]
	v_cvt_f64_i32_e32 v[160:161], v214
	s_delay_alu instid0(VALU_DEP_3) | instskip(NEXT) | instid1(VALU_DEP_3)
	v_add_f64 v[133:134], v[133:134], -v[144:145]
	v_add_f64 v[148:149], v[150:151], v[146:147]
	s_delay_alu instid0(VALU_DEP_3) | instskip(NEXT) | instid1(VALU_DEP_3)
	v_mul_f64 v[162:163], v[160:161], s[20:21]
	v_ldexp_f64 v[133:134], v[133:134], 1
	s_delay_alu instid0(VALU_DEP_3) | instskip(NEXT) | instid1(VALU_DEP_3)
	v_add_f64 v[144:145], v[148:149], -v[150:151]
	v_fma_f64 v[150:151], v[160:161], s[20:21], -v[162:163]
	s_delay_alu instid0(VALU_DEP_2) | instskip(NEXT) | instid1(VALU_DEP_2)
	v_add_f64 v[144:145], v[146:147], -v[144:145]
	v_fma_f64 v[146:147], v[160:161], s[22:23], v[150:151]
	s_delay_alu instid0(VALU_DEP_2) | instskip(NEXT) | instid1(VALU_DEP_2)
	v_add_f64 v[133:134], v[133:134], v[144:145]
	v_add_f64 v[144:145], v[162:163], v[146:147]
	s_delay_alu instid0(VALU_DEP_2) | instskip(NEXT) | instid1(VALU_DEP_2)
	v_add_f64 v[150:151], v[148:149], v[133:134]
	v_add_f64 v[162:163], v[144:145], -v[162:163]
	s_delay_alu instid0(VALU_DEP_2) | instskip(SKIP_1) | instid1(VALU_DEP_3)
	v_add_f64 v[160:161], v[144:145], v[150:151]
	v_add_f64 v[148:149], v[150:151], -v[148:149]
	v_add_f64 v[146:147], v[146:147], -v[162:163]
	s_delay_alu instid0(VALU_DEP_3) | instskip(NEXT) | instid1(VALU_DEP_3)
	v_add_f64 v[164:165], v[160:161], -v[144:145]
	v_add_f64 v[133:134], v[133:134], -v[148:149]
	s_delay_alu instid0(VALU_DEP_2) | instskip(SKIP_1) | instid1(VALU_DEP_3)
	v_add_f64 v[166:167], v[160:161], -v[164:165]
	v_add_f64 v[148:149], v[150:151], -v[164:165]
	v_add_f64 v[150:151], v[146:147], v[133:134]
	s_delay_alu instid0(VALU_DEP_3) | instskip(NEXT) | instid1(VALU_DEP_1)
	v_add_f64 v[144:145], v[144:145], -v[166:167]
	v_add_f64 v[144:145], v[148:149], v[144:145]
	s_delay_alu instid0(VALU_DEP_3) | instskip(NEXT) | instid1(VALU_DEP_2)
	v_add_f64 v[148:149], v[150:151], -v[146:147]
	v_add_f64 v[144:145], v[150:151], v[144:145]
	s_delay_alu instid0(VALU_DEP_2) | instskip(SKIP_1) | instid1(VALU_DEP_3)
	v_add_f64 v[150:151], v[150:151], -v[148:149]
	v_add_f64 v[133:134], v[133:134], -v[148:149]
	v_add_f64 v[162:163], v[160:161], v[144:145]
	s_delay_alu instid0(VALU_DEP_3) | instskip(NEXT) | instid1(VALU_DEP_2)
	v_add_f64 v[146:147], v[146:147], -v[150:151]
	v_add_f64 v[148:149], v[162:163], -v[160:161]
	s_delay_alu instid0(VALU_DEP_2) | instskip(NEXT) | instid1(VALU_DEP_2)
	v_add_f64 v[133:134], v[133:134], v[146:147]
	v_add_f64 v[144:145], v[144:145], -v[148:149]
	s_delay_alu instid0(VALU_DEP_1) | instskip(NEXT) | instid1(VALU_DEP_1)
	v_add_f64 v[133:134], v[133:134], v[144:145]
	v_add_f64 v[133:134], v[162:163], v[133:134]
	s_delay_alu instid0(VALU_DEP_1) | instskip(NEXT) | instid1(VALU_DEP_2)
	v_cndmask_b32_e64 v133, v133, v48, s17
	v_cndmask_b32_e64 v134, v134, v49, s17
	v_cmp_ngt_f64_e64 s17, -1.0, v[48:49]
	s_delay_alu instid0(VALU_DEP_1) | instskip(SKIP_1) | instid1(VALU_DEP_1)
	v_cndmask_b32_e64 v134, 0x7ff80000, v134, s17
	v_cmp_nge_f64_e64 s17, -1.0, v[48:49]
	v_cndmask_b32_e64 v133, 0, v133, s17
	v_cmp_neq_f64_e64 s17, -1.0, v[48:49]
	s_delay_alu instid0(VALU_DEP_1) | instskip(NEXT) | instid1(VALU_DEP_1)
	v_cndmask_b32_e64 v134, 0xfff00000, v134, s17
	v_add_f64 v[48:49], v[131:132], v[133:134]
.LBB36_294:
	s_or_b32 exec_lo, exec_lo, s24
	v_mbcnt_lo_u32_b32 v146, -1, 0
	s_delay_alu instid0(VALU_DEP_2) | instskip(NEXT) | instid1(VALU_DEP_3)
	v_mov_b32_dpp v131, v48 row_shr:1 row_mask:0xf bank_mask:0xf
	v_mov_b32_dpp v132, v49 row_shr:1 row_mask:0xf bank_mask:0xf
	v_mov_b32_e32 v134, v49
	s_mov_b32 s24, exec_lo
	v_dual_mov_b32 v133, v48 :: v_dual_and_b32 v144, 15, v146
	s_delay_alu instid0(VALU_DEP_1)
	v_cmpx_ne_u32_e32 0, v144
	s_cbranch_execz .LBB36_298
; %bb.295:
	v_max_f64 v[133:134], v[131:132], v[131:132]
	v_max_f64 v[147:148], v[48:49], v[48:49]
	v_cmp_u_f64_e64 s17, v[131:132], v[131:132]
	v_cmp_u_f64_e64 s18, v[48:49], v[48:49]
	s_delay_alu instid0(VALU_DEP_3) | instskip(SKIP_1) | instid1(VALU_DEP_2)
	v_min_f64 v[149:150], v[133:134], v[147:148]
	v_max_f64 v[133:134], v[133:134], v[147:148]
	v_cndmask_b32_e64 v145, v149, v131, s17
	s_delay_alu instid0(VALU_DEP_3) | instskip(NEXT) | instid1(VALU_DEP_3)
	v_cndmask_b32_e64 v147, v150, v132, s17
	v_cndmask_b32_e64 v148, v134, v132, s17
	s_delay_alu instid0(VALU_DEP_4) | instskip(NEXT) | instid1(VALU_DEP_4)
	v_cndmask_b32_e64 v149, v133, v131, s17
	v_cndmask_b32_e64 v133, v145, v48, s18
	s_delay_alu instid0(VALU_DEP_4) | instskip(NEXT) | instid1(VALU_DEP_4)
	v_cndmask_b32_e64 v134, v147, v49, s18
	v_cndmask_b32_e64 v49, v148, v49, s18
	s_delay_alu instid0(VALU_DEP_4) | instskip(NEXT) | instid1(VALU_DEP_3)
	v_cndmask_b32_e64 v48, v149, v48, s18
	v_cmp_class_f64_e64 s18, v[133:134], 0x1f8
	s_delay_alu instid0(VALU_DEP_2) | instskip(NEXT) | instid1(VALU_DEP_1)
	v_cmp_neq_f64_e64 s17, v[133:134], v[48:49]
	s_or_b32 s17, s17, s18
	s_delay_alu instid0(SALU_CYCLE_1)
	s_and_saveexec_b32 s25, s17
	s_cbranch_execz .LBB36_297
; %bb.296:
	v_add_f64 v[131:132], v[133:134], -v[48:49]
	s_mov_b32 s18, 0x652b82fe
	s_mov_b32 s19, 0x3ff71547
	;; [unrolled: 1-line block ×10, first 2 shown]
	s_delay_alu instid0(VALU_DEP_1) | instskip(SKIP_3) | instid1(VALU_DEP_2)
	v_mul_f64 v[133:134], v[131:132], s[18:19]
	s_mov_b32 s18, 0xfca7ab0c
	s_mov_b32 s19, 0x3e928af3
	v_cmp_nlt_f64_e64 s17, 0x40900000, v[131:132]
	v_rndne_f64_e32 v[133:134], v[133:134]
	s_delay_alu instid0(VALU_DEP_1) | instskip(SKIP_2) | instid1(VALU_DEP_2)
	v_fma_f64 v[147:148], v[133:134], s[20:21], v[131:132]
	v_cvt_i32_f64_e32 v145, v[133:134]
	s_mov_b32 s21, 0x3fe62e42
	v_fma_f64 v[147:148], v[133:134], s[22:23], v[147:148]
	s_mov_b32 s23, 0x3c7abc9e
	s_delay_alu instid0(VALU_DEP_1) | instskip(SKIP_4) | instid1(VALU_DEP_1)
	v_fma_f64 v[149:150], v[147:148], s[26:27], s[18:19]
	s_mov_b32 s18, 0x623fde64
	s_mov_b32 s19, 0x3ec71dee
	;; [unrolled: 1-line block ×4, first 2 shown]
	v_fma_f64 v[149:150], v[147:148], v[149:150], s[18:19]
	s_mov_b32 s18, 0x7c89e6b0
	s_mov_b32 s19, 0x3efa0199
	s_delay_alu instid0(VALU_DEP_1) | instid1(SALU_CYCLE_1)
	v_fma_f64 v[149:150], v[147:148], v[149:150], s[18:19]
	s_mov_b32 s18, 0x14761f6e
	s_mov_b32 s19, 0x3f2a01a0
	s_delay_alu instid0(VALU_DEP_1) | instid1(SALU_CYCLE_1)
	;; [unrolled: 4-line block ×7, first 2 shown]
	v_fma_f64 v[149:150], v[147:148], v[149:150], s[18:19]
	v_cmp_ngt_f64_e64 s18, 0xc090cc00, v[131:132]
	s_mov_b32 s19, 0x3fe55555
	s_delay_alu instid0(VALU_DEP_2) | instskip(NEXT) | instid1(VALU_DEP_1)
	v_fma_f64 v[149:150], v[147:148], v[149:150], 1.0
	v_fma_f64 v[133:134], v[147:148], v[149:150], 1.0
	s_delay_alu instid0(VALU_DEP_1) | instskip(NEXT) | instid1(VALU_DEP_1)
	v_ldexp_f64 v[133:134], v[133:134], v145
	v_cndmask_b32_e64 v134, 0x7ff00000, v134, s17
	s_and_b32 s17, s18, s17
	s_delay_alu instid0(VALU_DEP_2) | instid1(SALU_CYCLE_1)
	v_cndmask_b32_e64 v131, 0, v133, s17
	s_delay_alu instid0(VALU_DEP_2) | instskip(SKIP_1) | instid1(VALU_DEP_1)
	v_cndmask_b32_e64 v132, 0, v134, s18
	s_mov_b32 s18, 0x55555555
	v_add_f64 v[133:134], v[131:132], 1.0
	s_delay_alu instid0(VALU_DEP_1) | instskip(SKIP_2) | instid1(VALU_DEP_3)
	v_frexp_mant_f64_e32 v[147:148], v[133:134]
	v_frexp_exp_i32_f64_e32 v145, v[133:134]
	v_add_f64 v[149:150], v[133:134], -1.0
	v_cmp_gt_f64_e64 s17, s[18:19], v[147:148]
	s_mov_b32 s18, 0x55555780
	s_delay_alu instid0(VALU_DEP_2) | instskip(SKIP_1) | instid1(VALU_DEP_3)
	v_add_f64 v[147:148], v[149:150], -v[133:134]
	v_add_f64 v[149:150], v[131:132], -v[149:150]
	v_subrev_co_ci_u32_e64 v145, s17, 0, v145, s17
	s_delay_alu instid0(VALU_DEP_3) | instskip(SKIP_1) | instid1(VALU_DEP_3)
	v_add_f64 v[147:148], v[147:148], 1.0
	v_cmp_eq_f64_e64 s17, 0x7ff00000, v[131:132]
	v_sub_nc_u32_e32 v151, 0, v145
	s_delay_alu instid0(VALU_DEP_1) | instskip(NEXT) | instid1(VALU_DEP_4)
	v_ldexp_f64 v[133:134], v[133:134], v151
	v_add_f64 v[147:148], v[149:150], v[147:148]
	s_delay_alu instid0(VALU_DEP_2) | instskip(SKIP_1) | instid1(VALU_DEP_3)
	v_add_f64 v[160:161], v[133:134], 1.0
	v_add_f64 v[166:167], v[133:134], -1.0
	v_ldexp_f64 v[147:148], v[147:148], v151
	s_delay_alu instid0(VALU_DEP_3) | instskip(NEXT) | instid1(VALU_DEP_3)
	v_add_f64 v[149:150], v[160:161], -1.0
	v_add_f64 v[176:177], v[166:167], 1.0
	s_delay_alu instid0(VALU_DEP_2) | instskip(NEXT) | instid1(VALU_DEP_2)
	v_add_f64 v[149:150], v[133:134], -v[149:150]
	v_add_f64 v[133:134], v[133:134], -v[176:177]
	s_delay_alu instid0(VALU_DEP_2) | instskip(NEXT) | instid1(VALU_DEP_2)
	v_add_f64 v[149:150], v[147:148], v[149:150]
	v_add_f64 v[133:134], v[147:148], v[133:134]
	s_delay_alu instid0(VALU_DEP_2) | instskip(NEXT) | instid1(VALU_DEP_2)
	v_add_f64 v[162:163], v[160:161], v[149:150]
	v_add_f64 v[176:177], v[166:167], v[133:134]
	s_delay_alu instid0(VALU_DEP_2) | instskip(SKIP_1) | instid1(VALU_DEP_2)
	v_rcp_f64_e32 v[164:165], v[162:163]
	v_add_f64 v[160:161], v[162:163], -v[160:161]
	v_add_f64 v[166:167], v[176:177], -v[166:167]
	s_delay_alu instid0(VALU_DEP_2) | instskip(SKIP_3) | instid1(VALU_DEP_2)
	v_add_f64 v[149:150], v[149:150], -v[160:161]
	s_waitcnt_depctr 0xfff
	v_fma_f64 v[212:213], -v[162:163], v[164:165], 1.0
	v_add_f64 v[133:134], v[133:134], -v[166:167]
	v_fma_f64 v[164:165], v[212:213], v[164:165], v[164:165]
	s_delay_alu instid0(VALU_DEP_1) | instskip(NEXT) | instid1(VALU_DEP_1)
	v_fma_f64 v[147:148], -v[162:163], v[164:165], 1.0
	v_fma_f64 v[147:148], v[147:148], v[164:165], v[164:165]
	s_delay_alu instid0(VALU_DEP_1) | instskip(NEXT) | instid1(VALU_DEP_1)
	v_mul_f64 v[164:165], v[176:177], v[147:148]
	v_mul_f64 v[212:213], v[162:163], v[164:165]
	s_delay_alu instid0(VALU_DEP_1) | instskip(NEXT) | instid1(VALU_DEP_1)
	v_fma_f64 v[160:161], v[164:165], v[162:163], -v[212:213]
	v_fma_f64 v[160:161], v[164:165], v[149:150], v[160:161]
	s_delay_alu instid0(VALU_DEP_1) | instskip(NEXT) | instid1(VALU_DEP_1)
	v_add_f64 v[214:215], v[212:213], v[160:161]
	v_add_f64 v[224:225], v[176:177], -v[214:215]
	v_add_f64 v[166:167], v[214:215], -v[212:213]
	s_delay_alu instid0(VALU_DEP_2) | instskip(NEXT) | instid1(VALU_DEP_2)
	v_add_f64 v[176:177], v[176:177], -v[224:225]
	v_add_f64 v[160:161], v[166:167], -v[160:161]
	s_delay_alu instid0(VALU_DEP_2) | instskip(NEXT) | instid1(VALU_DEP_1)
	v_add_f64 v[176:177], v[176:177], -v[214:215]
	v_add_f64 v[133:134], v[133:134], v[176:177]
	s_delay_alu instid0(VALU_DEP_1) | instskip(NEXT) | instid1(VALU_DEP_1)
	v_add_f64 v[133:134], v[160:161], v[133:134]
	v_add_f64 v[160:161], v[224:225], v[133:134]
	s_delay_alu instid0(VALU_DEP_1) | instskip(SKIP_1) | instid1(VALU_DEP_2)
	v_mul_f64 v[166:167], v[147:148], v[160:161]
	v_add_f64 v[214:215], v[224:225], -v[160:161]
	v_mul_f64 v[176:177], v[162:163], v[166:167]
	s_delay_alu instid0(VALU_DEP_2) | instskip(NEXT) | instid1(VALU_DEP_2)
	v_add_f64 v[133:134], v[133:134], v[214:215]
	v_fma_f64 v[162:163], v[166:167], v[162:163], -v[176:177]
	s_delay_alu instid0(VALU_DEP_1) | instskip(NEXT) | instid1(VALU_DEP_1)
	v_fma_f64 v[149:150], v[166:167], v[149:150], v[162:163]
	v_add_f64 v[162:163], v[176:177], v[149:150]
	s_delay_alu instid0(VALU_DEP_1) | instskip(SKIP_1) | instid1(VALU_DEP_2)
	v_add_f64 v[212:213], v[160:161], -v[162:163]
	v_add_f64 v[176:177], v[162:163], -v[176:177]
	;; [unrolled: 1-line block ×3, first 2 shown]
	s_delay_alu instid0(VALU_DEP_2) | instskip(NEXT) | instid1(VALU_DEP_2)
	v_add_f64 v[149:150], v[176:177], -v[149:150]
	v_add_f64 v[160:161], v[160:161], -v[162:163]
	s_delay_alu instid0(VALU_DEP_1) | instskip(SKIP_1) | instid1(VALU_DEP_2)
	v_add_f64 v[133:134], v[133:134], v[160:161]
	v_add_f64 v[160:161], v[164:165], v[166:167]
	;; [unrolled: 1-line block ×3, first 2 shown]
	s_delay_alu instid0(VALU_DEP_2) | instskip(NEXT) | instid1(VALU_DEP_2)
	v_add_f64 v[149:150], v[160:161], -v[164:165]
	v_add_f64 v[133:134], v[212:213], v[133:134]
	s_delay_alu instid0(VALU_DEP_2) | instskip(NEXT) | instid1(VALU_DEP_2)
	v_add_f64 v[149:150], v[166:167], -v[149:150]
	v_mul_f64 v[133:134], v[147:148], v[133:134]
	s_delay_alu instid0(VALU_DEP_1) | instskip(NEXT) | instid1(VALU_DEP_1)
	v_add_f64 v[133:134], v[149:150], v[133:134]
	v_add_f64 v[147:148], v[160:161], v[133:134]
	s_delay_alu instid0(VALU_DEP_1) | instskip(NEXT) | instid1(VALU_DEP_1)
	v_mul_f64 v[149:150], v[147:148], v[147:148]
	v_fma_f64 v[162:163], v[149:150], s[28:29], s[26:27]
	s_mov_b32 s26, 0xd7f4df2e
	s_mov_b32 s27, 0x3fc7474d
	v_mul_f64 v[164:165], v[147:148], v[149:150]
	s_delay_alu instid0(VALU_DEP_2)
	v_fma_f64 v[162:163], v[149:150], v[162:163], s[26:27]
	s_mov_b32 s26, 0x16291751
	s_mov_b32 s27, 0x3fcc71c0
	s_delay_alu instid0(VALU_DEP_1) | instid1(SALU_CYCLE_1)
	v_fma_f64 v[162:163], v[149:150], v[162:163], s[26:27]
	s_mov_b32 s26, 0x9b27acf1
	s_mov_b32 s27, 0x3fd24924
	s_delay_alu instid0(VALU_DEP_1) | instid1(SALU_CYCLE_1)
	;; [unrolled: 4-line block ×3, first 2 shown]
	v_fma_f64 v[162:163], v[149:150], v[162:163], s[26:27]
	s_delay_alu instid0(VALU_DEP_1) | instskip(SKIP_2) | instid1(VALU_DEP_3)
	v_fma_f64 v[149:150], v[149:150], v[162:163], s[18:19]
	v_ldexp_f64 v[162:163], v[147:148], 1
	v_add_f64 v[147:148], v[147:148], -v[160:161]
	v_mul_f64 v[149:150], v[164:165], v[149:150]
	v_cvt_f64_i32_e32 v[164:165], v145
	s_delay_alu instid0(VALU_DEP_3) | instskip(NEXT) | instid1(VALU_DEP_3)
	v_add_f64 v[133:134], v[133:134], -v[147:148]
	v_add_f64 v[160:161], v[162:163], v[149:150]
	s_delay_alu instid0(VALU_DEP_3) | instskip(NEXT) | instid1(VALU_DEP_3)
	v_mul_f64 v[166:167], v[164:165], s[20:21]
	v_ldexp_f64 v[133:134], v[133:134], 1
	s_delay_alu instid0(VALU_DEP_3) | instskip(NEXT) | instid1(VALU_DEP_3)
	v_add_f64 v[147:148], v[160:161], -v[162:163]
	v_fma_f64 v[162:163], v[164:165], s[20:21], -v[166:167]
	s_delay_alu instid0(VALU_DEP_2) | instskip(NEXT) | instid1(VALU_DEP_2)
	v_add_f64 v[147:148], v[149:150], -v[147:148]
	v_fma_f64 v[149:150], v[164:165], s[22:23], v[162:163]
	s_delay_alu instid0(VALU_DEP_2) | instskip(NEXT) | instid1(VALU_DEP_2)
	v_add_f64 v[133:134], v[133:134], v[147:148]
	v_add_f64 v[147:148], v[166:167], v[149:150]
	s_delay_alu instid0(VALU_DEP_2) | instskip(NEXT) | instid1(VALU_DEP_2)
	v_add_f64 v[162:163], v[160:161], v[133:134]
	v_add_f64 v[166:167], v[147:148], -v[166:167]
	s_delay_alu instid0(VALU_DEP_2) | instskip(SKIP_1) | instid1(VALU_DEP_3)
	v_add_f64 v[164:165], v[147:148], v[162:163]
	v_add_f64 v[160:161], v[162:163], -v[160:161]
	v_add_f64 v[149:150], v[149:150], -v[166:167]
	s_delay_alu instid0(VALU_DEP_3) | instskip(NEXT) | instid1(VALU_DEP_3)
	v_add_f64 v[176:177], v[164:165], -v[147:148]
	v_add_f64 v[133:134], v[133:134], -v[160:161]
	s_delay_alu instid0(VALU_DEP_2) | instskip(SKIP_1) | instid1(VALU_DEP_3)
	v_add_f64 v[212:213], v[164:165], -v[176:177]
	v_add_f64 v[160:161], v[162:163], -v[176:177]
	v_add_f64 v[162:163], v[149:150], v[133:134]
	s_delay_alu instid0(VALU_DEP_3) | instskip(NEXT) | instid1(VALU_DEP_1)
	v_add_f64 v[147:148], v[147:148], -v[212:213]
	v_add_f64 v[147:148], v[160:161], v[147:148]
	s_delay_alu instid0(VALU_DEP_3) | instskip(NEXT) | instid1(VALU_DEP_2)
	v_add_f64 v[160:161], v[162:163], -v[149:150]
	v_add_f64 v[147:148], v[162:163], v[147:148]
	s_delay_alu instid0(VALU_DEP_2) | instskip(SKIP_1) | instid1(VALU_DEP_3)
	v_add_f64 v[162:163], v[162:163], -v[160:161]
	v_add_f64 v[133:134], v[133:134], -v[160:161]
	v_add_f64 v[166:167], v[164:165], v[147:148]
	s_delay_alu instid0(VALU_DEP_3) | instskip(NEXT) | instid1(VALU_DEP_2)
	v_add_f64 v[149:150], v[149:150], -v[162:163]
	v_add_f64 v[160:161], v[166:167], -v[164:165]
	s_delay_alu instid0(VALU_DEP_2) | instskip(NEXT) | instid1(VALU_DEP_2)
	v_add_f64 v[133:134], v[133:134], v[149:150]
	v_add_f64 v[147:148], v[147:148], -v[160:161]
	s_delay_alu instid0(VALU_DEP_1) | instskip(NEXT) | instid1(VALU_DEP_1)
	v_add_f64 v[133:134], v[133:134], v[147:148]
	v_add_f64 v[133:134], v[166:167], v[133:134]
	s_delay_alu instid0(VALU_DEP_1) | instskip(NEXT) | instid1(VALU_DEP_2)
	v_cndmask_b32_e64 v133, v133, v131, s17
	v_cndmask_b32_e64 v134, v134, v132, s17
	v_cmp_ngt_f64_e64 s17, -1.0, v[131:132]
	s_delay_alu instid0(VALU_DEP_1) | instskip(SKIP_1) | instid1(VALU_DEP_1)
	v_cndmask_b32_e64 v134, 0x7ff80000, v134, s17
	v_cmp_nge_f64_e64 s17, -1.0, v[131:132]
	v_cndmask_b32_e64 v133, 0, v133, s17
	v_cmp_neq_f64_e64 s17, -1.0, v[131:132]
	s_delay_alu instid0(VALU_DEP_1) | instskip(NEXT) | instid1(VALU_DEP_1)
	v_cndmask_b32_e64 v134, 0xfff00000, v134, s17
	v_add_f64 v[131:132], v[48:49], v[133:134]
.LBB36_297:
	s_or_b32 exec_lo, exec_lo, s25
	s_delay_alu instid0(VALU_DEP_1)
	v_dual_mov_b32 v133, v131 :: v_dual_mov_b32 v134, v132
	v_dual_mov_b32 v48, v131 :: v_dual_mov_b32 v49, v132
.LBB36_298:
	s_or_b32 exec_lo, exec_lo, s24
	s_delay_alu instid0(VALU_DEP_2) | instskip(NEXT) | instid1(VALU_DEP_3)
	v_mov_b32_dpp v131, v133 row_shr:2 row_mask:0xf bank_mask:0xf
	v_mov_b32_dpp v132, v134 row_shr:2 row_mask:0xf bank_mask:0xf
	s_mov_b32 s24, exec_lo
	v_cmpx_lt_u32_e32 1, v144
	s_cbranch_execz .LBB36_302
; %bb.299:
	s_delay_alu instid0(VALU_DEP_2) | instskip(SKIP_3) | instid1(VALU_DEP_3)
	v_max_f64 v[133:134], v[131:132], v[131:132]
	v_max_f64 v[147:148], v[48:49], v[48:49]
	v_cmp_u_f64_e64 s17, v[131:132], v[131:132]
	v_cmp_u_f64_e64 s18, v[48:49], v[48:49]
	v_min_f64 v[149:150], v[133:134], v[147:148]
	v_max_f64 v[133:134], v[133:134], v[147:148]
	s_delay_alu instid0(VALU_DEP_2) | instskip(NEXT) | instid1(VALU_DEP_3)
	v_cndmask_b32_e64 v145, v149, v131, s17
	v_cndmask_b32_e64 v147, v150, v132, s17
	s_delay_alu instid0(VALU_DEP_3) | instskip(NEXT) | instid1(VALU_DEP_4)
	v_cndmask_b32_e64 v148, v134, v132, s17
	v_cndmask_b32_e64 v149, v133, v131, s17
	s_delay_alu instid0(VALU_DEP_4) | instskip(NEXT) | instid1(VALU_DEP_4)
	v_cndmask_b32_e64 v133, v145, v48, s18
	v_cndmask_b32_e64 v134, v147, v49, s18
	s_delay_alu instid0(VALU_DEP_4) | instskip(NEXT) | instid1(VALU_DEP_4)
	v_cndmask_b32_e64 v49, v148, v49, s18
	v_cndmask_b32_e64 v48, v149, v48, s18
	s_delay_alu instid0(VALU_DEP_3) | instskip(NEXT) | instid1(VALU_DEP_2)
	v_cmp_class_f64_e64 s18, v[133:134], 0x1f8
	v_cmp_neq_f64_e64 s17, v[133:134], v[48:49]
	s_delay_alu instid0(VALU_DEP_1) | instskip(NEXT) | instid1(SALU_CYCLE_1)
	s_or_b32 s17, s17, s18
	s_and_saveexec_b32 s25, s17
	s_cbranch_execz .LBB36_301
; %bb.300:
	v_add_f64 v[131:132], v[133:134], -v[48:49]
	s_mov_b32 s18, 0x652b82fe
	s_mov_b32 s19, 0x3ff71547
	;; [unrolled: 1-line block ×10, first 2 shown]
	s_delay_alu instid0(VALU_DEP_1) | instskip(SKIP_3) | instid1(VALU_DEP_2)
	v_mul_f64 v[133:134], v[131:132], s[18:19]
	s_mov_b32 s18, 0xfca7ab0c
	s_mov_b32 s19, 0x3e928af3
	v_cmp_nlt_f64_e64 s17, 0x40900000, v[131:132]
	v_rndne_f64_e32 v[133:134], v[133:134]
	s_delay_alu instid0(VALU_DEP_1) | instskip(SKIP_2) | instid1(VALU_DEP_2)
	v_fma_f64 v[147:148], v[133:134], s[20:21], v[131:132]
	v_cvt_i32_f64_e32 v145, v[133:134]
	s_mov_b32 s21, 0x3fe62e42
	v_fma_f64 v[147:148], v[133:134], s[22:23], v[147:148]
	s_mov_b32 s23, 0x3c7abc9e
	s_delay_alu instid0(VALU_DEP_1) | instskip(SKIP_4) | instid1(VALU_DEP_1)
	v_fma_f64 v[149:150], v[147:148], s[26:27], s[18:19]
	s_mov_b32 s18, 0x623fde64
	s_mov_b32 s19, 0x3ec71dee
	;; [unrolled: 1-line block ×4, first 2 shown]
	v_fma_f64 v[149:150], v[147:148], v[149:150], s[18:19]
	s_mov_b32 s18, 0x7c89e6b0
	s_mov_b32 s19, 0x3efa0199
	s_delay_alu instid0(VALU_DEP_1) | instid1(SALU_CYCLE_1)
	v_fma_f64 v[149:150], v[147:148], v[149:150], s[18:19]
	s_mov_b32 s18, 0x14761f6e
	s_mov_b32 s19, 0x3f2a01a0
	s_delay_alu instid0(VALU_DEP_1) | instid1(SALU_CYCLE_1)
	;; [unrolled: 4-line block ×7, first 2 shown]
	v_fma_f64 v[149:150], v[147:148], v[149:150], s[18:19]
	v_cmp_ngt_f64_e64 s18, 0xc090cc00, v[131:132]
	s_mov_b32 s19, 0x3fe55555
	s_delay_alu instid0(VALU_DEP_2) | instskip(NEXT) | instid1(VALU_DEP_1)
	v_fma_f64 v[149:150], v[147:148], v[149:150], 1.0
	v_fma_f64 v[133:134], v[147:148], v[149:150], 1.0
	s_delay_alu instid0(VALU_DEP_1) | instskip(NEXT) | instid1(VALU_DEP_1)
	v_ldexp_f64 v[133:134], v[133:134], v145
	v_cndmask_b32_e64 v134, 0x7ff00000, v134, s17
	s_and_b32 s17, s18, s17
	s_delay_alu instid0(VALU_DEP_2) | instid1(SALU_CYCLE_1)
	v_cndmask_b32_e64 v131, 0, v133, s17
	s_delay_alu instid0(VALU_DEP_2) | instskip(SKIP_1) | instid1(VALU_DEP_1)
	v_cndmask_b32_e64 v132, 0, v134, s18
	s_mov_b32 s18, 0x55555555
	v_add_f64 v[133:134], v[131:132], 1.0
	s_delay_alu instid0(VALU_DEP_1) | instskip(SKIP_2) | instid1(VALU_DEP_3)
	v_frexp_mant_f64_e32 v[147:148], v[133:134]
	v_frexp_exp_i32_f64_e32 v145, v[133:134]
	v_add_f64 v[149:150], v[133:134], -1.0
	v_cmp_gt_f64_e64 s17, s[18:19], v[147:148]
	s_mov_b32 s18, 0x55555780
	s_delay_alu instid0(VALU_DEP_2) | instskip(SKIP_1) | instid1(VALU_DEP_3)
	v_add_f64 v[147:148], v[149:150], -v[133:134]
	v_add_f64 v[149:150], v[131:132], -v[149:150]
	v_subrev_co_ci_u32_e64 v145, s17, 0, v145, s17
	s_delay_alu instid0(VALU_DEP_3) | instskip(SKIP_1) | instid1(VALU_DEP_3)
	v_add_f64 v[147:148], v[147:148], 1.0
	v_cmp_eq_f64_e64 s17, 0x7ff00000, v[131:132]
	v_sub_nc_u32_e32 v151, 0, v145
	s_delay_alu instid0(VALU_DEP_1) | instskip(NEXT) | instid1(VALU_DEP_4)
	v_ldexp_f64 v[133:134], v[133:134], v151
	v_add_f64 v[147:148], v[149:150], v[147:148]
	s_delay_alu instid0(VALU_DEP_2) | instskip(SKIP_1) | instid1(VALU_DEP_3)
	v_add_f64 v[160:161], v[133:134], 1.0
	v_add_f64 v[166:167], v[133:134], -1.0
	v_ldexp_f64 v[147:148], v[147:148], v151
	s_delay_alu instid0(VALU_DEP_3) | instskip(NEXT) | instid1(VALU_DEP_3)
	v_add_f64 v[149:150], v[160:161], -1.0
	v_add_f64 v[176:177], v[166:167], 1.0
	s_delay_alu instid0(VALU_DEP_2) | instskip(NEXT) | instid1(VALU_DEP_2)
	v_add_f64 v[149:150], v[133:134], -v[149:150]
	v_add_f64 v[133:134], v[133:134], -v[176:177]
	s_delay_alu instid0(VALU_DEP_2) | instskip(NEXT) | instid1(VALU_DEP_2)
	v_add_f64 v[149:150], v[147:148], v[149:150]
	v_add_f64 v[133:134], v[147:148], v[133:134]
	s_delay_alu instid0(VALU_DEP_2) | instskip(NEXT) | instid1(VALU_DEP_2)
	v_add_f64 v[162:163], v[160:161], v[149:150]
	v_add_f64 v[176:177], v[166:167], v[133:134]
	s_delay_alu instid0(VALU_DEP_2) | instskip(SKIP_1) | instid1(VALU_DEP_2)
	v_rcp_f64_e32 v[164:165], v[162:163]
	v_add_f64 v[160:161], v[162:163], -v[160:161]
	v_add_f64 v[166:167], v[176:177], -v[166:167]
	s_delay_alu instid0(VALU_DEP_2) | instskip(SKIP_3) | instid1(VALU_DEP_2)
	v_add_f64 v[149:150], v[149:150], -v[160:161]
	s_waitcnt_depctr 0xfff
	v_fma_f64 v[212:213], -v[162:163], v[164:165], 1.0
	v_add_f64 v[133:134], v[133:134], -v[166:167]
	v_fma_f64 v[164:165], v[212:213], v[164:165], v[164:165]
	s_delay_alu instid0(VALU_DEP_1) | instskip(NEXT) | instid1(VALU_DEP_1)
	v_fma_f64 v[147:148], -v[162:163], v[164:165], 1.0
	v_fma_f64 v[147:148], v[147:148], v[164:165], v[164:165]
	s_delay_alu instid0(VALU_DEP_1) | instskip(NEXT) | instid1(VALU_DEP_1)
	v_mul_f64 v[164:165], v[176:177], v[147:148]
	v_mul_f64 v[212:213], v[162:163], v[164:165]
	s_delay_alu instid0(VALU_DEP_1) | instskip(NEXT) | instid1(VALU_DEP_1)
	v_fma_f64 v[160:161], v[164:165], v[162:163], -v[212:213]
	v_fma_f64 v[160:161], v[164:165], v[149:150], v[160:161]
	s_delay_alu instid0(VALU_DEP_1) | instskip(NEXT) | instid1(VALU_DEP_1)
	v_add_f64 v[214:215], v[212:213], v[160:161]
	v_add_f64 v[224:225], v[176:177], -v[214:215]
	v_add_f64 v[166:167], v[214:215], -v[212:213]
	s_delay_alu instid0(VALU_DEP_2) | instskip(NEXT) | instid1(VALU_DEP_2)
	v_add_f64 v[176:177], v[176:177], -v[224:225]
	v_add_f64 v[160:161], v[166:167], -v[160:161]
	s_delay_alu instid0(VALU_DEP_2) | instskip(NEXT) | instid1(VALU_DEP_1)
	v_add_f64 v[176:177], v[176:177], -v[214:215]
	v_add_f64 v[133:134], v[133:134], v[176:177]
	s_delay_alu instid0(VALU_DEP_1) | instskip(NEXT) | instid1(VALU_DEP_1)
	v_add_f64 v[133:134], v[160:161], v[133:134]
	v_add_f64 v[160:161], v[224:225], v[133:134]
	s_delay_alu instid0(VALU_DEP_1) | instskip(SKIP_1) | instid1(VALU_DEP_2)
	v_mul_f64 v[166:167], v[147:148], v[160:161]
	v_add_f64 v[214:215], v[224:225], -v[160:161]
	v_mul_f64 v[176:177], v[162:163], v[166:167]
	s_delay_alu instid0(VALU_DEP_2) | instskip(NEXT) | instid1(VALU_DEP_2)
	v_add_f64 v[133:134], v[133:134], v[214:215]
	v_fma_f64 v[162:163], v[166:167], v[162:163], -v[176:177]
	s_delay_alu instid0(VALU_DEP_1) | instskip(NEXT) | instid1(VALU_DEP_1)
	v_fma_f64 v[149:150], v[166:167], v[149:150], v[162:163]
	v_add_f64 v[162:163], v[176:177], v[149:150]
	s_delay_alu instid0(VALU_DEP_1) | instskip(SKIP_1) | instid1(VALU_DEP_2)
	v_add_f64 v[212:213], v[160:161], -v[162:163]
	v_add_f64 v[176:177], v[162:163], -v[176:177]
	;; [unrolled: 1-line block ×3, first 2 shown]
	s_delay_alu instid0(VALU_DEP_2) | instskip(NEXT) | instid1(VALU_DEP_2)
	v_add_f64 v[149:150], v[176:177], -v[149:150]
	v_add_f64 v[160:161], v[160:161], -v[162:163]
	s_delay_alu instid0(VALU_DEP_1) | instskip(SKIP_1) | instid1(VALU_DEP_2)
	v_add_f64 v[133:134], v[133:134], v[160:161]
	v_add_f64 v[160:161], v[164:165], v[166:167]
	;; [unrolled: 1-line block ×3, first 2 shown]
	s_delay_alu instid0(VALU_DEP_2) | instskip(NEXT) | instid1(VALU_DEP_2)
	v_add_f64 v[149:150], v[160:161], -v[164:165]
	v_add_f64 v[133:134], v[212:213], v[133:134]
	s_delay_alu instid0(VALU_DEP_2) | instskip(NEXT) | instid1(VALU_DEP_2)
	v_add_f64 v[149:150], v[166:167], -v[149:150]
	v_mul_f64 v[133:134], v[147:148], v[133:134]
	s_delay_alu instid0(VALU_DEP_1) | instskip(NEXT) | instid1(VALU_DEP_1)
	v_add_f64 v[133:134], v[149:150], v[133:134]
	v_add_f64 v[147:148], v[160:161], v[133:134]
	s_delay_alu instid0(VALU_DEP_1) | instskip(NEXT) | instid1(VALU_DEP_1)
	v_mul_f64 v[149:150], v[147:148], v[147:148]
	v_fma_f64 v[162:163], v[149:150], s[28:29], s[26:27]
	s_mov_b32 s26, 0xd7f4df2e
	s_mov_b32 s27, 0x3fc7474d
	v_mul_f64 v[164:165], v[147:148], v[149:150]
	s_delay_alu instid0(VALU_DEP_2)
	v_fma_f64 v[162:163], v[149:150], v[162:163], s[26:27]
	s_mov_b32 s26, 0x16291751
	s_mov_b32 s27, 0x3fcc71c0
	s_delay_alu instid0(VALU_DEP_1) | instid1(SALU_CYCLE_1)
	v_fma_f64 v[162:163], v[149:150], v[162:163], s[26:27]
	s_mov_b32 s26, 0x9b27acf1
	s_mov_b32 s27, 0x3fd24924
	s_delay_alu instid0(VALU_DEP_1) | instid1(SALU_CYCLE_1)
	;; [unrolled: 4-line block ×3, first 2 shown]
	v_fma_f64 v[162:163], v[149:150], v[162:163], s[26:27]
	s_delay_alu instid0(VALU_DEP_1) | instskip(SKIP_2) | instid1(VALU_DEP_3)
	v_fma_f64 v[149:150], v[149:150], v[162:163], s[18:19]
	v_ldexp_f64 v[162:163], v[147:148], 1
	v_add_f64 v[147:148], v[147:148], -v[160:161]
	v_mul_f64 v[149:150], v[164:165], v[149:150]
	v_cvt_f64_i32_e32 v[164:165], v145
	s_delay_alu instid0(VALU_DEP_3) | instskip(NEXT) | instid1(VALU_DEP_3)
	v_add_f64 v[133:134], v[133:134], -v[147:148]
	v_add_f64 v[160:161], v[162:163], v[149:150]
	s_delay_alu instid0(VALU_DEP_3) | instskip(NEXT) | instid1(VALU_DEP_3)
	v_mul_f64 v[166:167], v[164:165], s[20:21]
	v_ldexp_f64 v[133:134], v[133:134], 1
	s_delay_alu instid0(VALU_DEP_3) | instskip(NEXT) | instid1(VALU_DEP_3)
	v_add_f64 v[147:148], v[160:161], -v[162:163]
	v_fma_f64 v[162:163], v[164:165], s[20:21], -v[166:167]
	s_delay_alu instid0(VALU_DEP_2) | instskip(NEXT) | instid1(VALU_DEP_2)
	v_add_f64 v[147:148], v[149:150], -v[147:148]
	v_fma_f64 v[149:150], v[164:165], s[22:23], v[162:163]
	s_delay_alu instid0(VALU_DEP_2) | instskip(NEXT) | instid1(VALU_DEP_2)
	v_add_f64 v[133:134], v[133:134], v[147:148]
	v_add_f64 v[147:148], v[166:167], v[149:150]
	s_delay_alu instid0(VALU_DEP_2) | instskip(NEXT) | instid1(VALU_DEP_2)
	v_add_f64 v[162:163], v[160:161], v[133:134]
	v_add_f64 v[166:167], v[147:148], -v[166:167]
	s_delay_alu instid0(VALU_DEP_2) | instskip(SKIP_1) | instid1(VALU_DEP_3)
	v_add_f64 v[164:165], v[147:148], v[162:163]
	v_add_f64 v[160:161], v[162:163], -v[160:161]
	v_add_f64 v[149:150], v[149:150], -v[166:167]
	s_delay_alu instid0(VALU_DEP_3) | instskip(NEXT) | instid1(VALU_DEP_3)
	v_add_f64 v[176:177], v[164:165], -v[147:148]
	v_add_f64 v[133:134], v[133:134], -v[160:161]
	s_delay_alu instid0(VALU_DEP_2) | instskip(SKIP_1) | instid1(VALU_DEP_3)
	v_add_f64 v[212:213], v[164:165], -v[176:177]
	v_add_f64 v[160:161], v[162:163], -v[176:177]
	v_add_f64 v[162:163], v[149:150], v[133:134]
	s_delay_alu instid0(VALU_DEP_3) | instskip(NEXT) | instid1(VALU_DEP_1)
	v_add_f64 v[147:148], v[147:148], -v[212:213]
	v_add_f64 v[147:148], v[160:161], v[147:148]
	s_delay_alu instid0(VALU_DEP_3) | instskip(NEXT) | instid1(VALU_DEP_2)
	v_add_f64 v[160:161], v[162:163], -v[149:150]
	v_add_f64 v[147:148], v[162:163], v[147:148]
	s_delay_alu instid0(VALU_DEP_2) | instskip(SKIP_1) | instid1(VALU_DEP_3)
	v_add_f64 v[162:163], v[162:163], -v[160:161]
	v_add_f64 v[133:134], v[133:134], -v[160:161]
	v_add_f64 v[166:167], v[164:165], v[147:148]
	s_delay_alu instid0(VALU_DEP_3) | instskip(NEXT) | instid1(VALU_DEP_2)
	v_add_f64 v[149:150], v[149:150], -v[162:163]
	v_add_f64 v[160:161], v[166:167], -v[164:165]
	s_delay_alu instid0(VALU_DEP_2) | instskip(NEXT) | instid1(VALU_DEP_2)
	v_add_f64 v[133:134], v[133:134], v[149:150]
	v_add_f64 v[147:148], v[147:148], -v[160:161]
	s_delay_alu instid0(VALU_DEP_1) | instskip(NEXT) | instid1(VALU_DEP_1)
	v_add_f64 v[133:134], v[133:134], v[147:148]
	v_add_f64 v[133:134], v[166:167], v[133:134]
	s_delay_alu instid0(VALU_DEP_1) | instskip(NEXT) | instid1(VALU_DEP_2)
	v_cndmask_b32_e64 v133, v133, v131, s17
	v_cndmask_b32_e64 v134, v134, v132, s17
	v_cmp_ngt_f64_e64 s17, -1.0, v[131:132]
	s_delay_alu instid0(VALU_DEP_1) | instskip(SKIP_1) | instid1(VALU_DEP_1)
	v_cndmask_b32_e64 v134, 0x7ff80000, v134, s17
	v_cmp_nge_f64_e64 s17, -1.0, v[131:132]
	v_cndmask_b32_e64 v133, 0, v133, s17
	v_cmp_neq_f64_e64 s17, -1.0, v[131:132]
	s_delay_alu instid0(VALU_DEP_1) | instskip(NEXT) | instid1(VALU_DEP_1)
	v_cndmask_b32_e64 v134, 0xfff00000, v134, s17
	v_add_f64 v[131:132], v[48:49], v[133:134]
.LBB36_301:
	s_or_b32 exec_lo, exec_lo, s25
	s_delay_alu instid0(VALU_DEP_1)
	v_dual_mov_b32 v48, v131 :: v_dual_mov_b32 v49, v132
	v_dual_mov_b32 v133, v131 :: v_dual_mov_b32 v134, v132
.LBB36_302:
	s_or_b32 exec_lo, exec_lo, s24
	s_delay_alu instid0(VALU_DEP_1) | instskip(NEXT) | instid1(VALU_DEP_2)
	v_mov_b32_dpp v131, v133 row_shr:4 row_mask:0xf bank_mask:0xf
	v_mov_b32_dpp v132, v134 row_shr:4 row_mask:0xf bank_mask:0xf
	s_mov_b32 s24, exec_lo
	v_cmpx_lt_u32_e32 3, v144
	s_cbranch_execz .LBB36_306
; %bb.303:
	s_delay_alu instid0(VALU_DEP_2) | instskip(SKIP_3) | instid1(VALU_DEP_3)
	v_max_f64 v[133:134], v[131:132], v[131:132]
	v_max_f64 v[147:148], v[48:49], v[48:49]
	v_cmp_u_f64_e64 s17, v[131:132], v[131:132]
	v_cmp_u_f64_e64 s18, v[48:49], v[48:49]
	v_min_f64 v[149:150], v[133:134], v[147:148]
	v_max_f64 v[133:134], v[133:134], v[147:148]
	s_delay_alu instid0(VALU_DEP_2) | instskip(NEXT) | instid1(VALU_DEP_3)
	v_cndmask_b32_e64 v145, v149, v131, s17
	v_cndmask_b32_e64 v147, v150, v132, s17
	s_delay_alu instid0(VALU_DEP_3) | instskip(NEXT) | instid1(VALU_DEP_4)
	v_cndmask_b32_e64 v148, v134, v132, s17
	v_cndmask_b32_e64 v149, v133, v131, s17
	s_delay_alu instid0(VALU_DEP_4) | instskip(NEXT) | instid1(VALU_DEP_4)
	v_cndmask_b32_e64 v133, v145, v48, s18
	v_cndmask_b32_e64 v134, v147, v49, s18
	s_delay_alu instid0(VALU_DEP_4) | instskip(NEXT) | instid1(VALU_DEP_4)
	v_cndmask_b32_e64 v49, v148, v49, s18
	v_cndmask_b32_e64 v48, v149, v48, s18
	s_delay_alu instid0(VALU_DEP_3) | instskip(NEXT) | instid1(VALU_DEP_2)
	v_cmp_class_f64_e64 s18, v[133:134], 0x1f8
	v_cmp_neq_f64_e64 s17, v[133:134], v[48:49]
	s_delay_alu instid0(VALU_DEP_1) | instskip(NEXT) | instid1(SALU_CYCLE_1)
	s_or_b32 s17, s17, s18
	s_and_saveexec_b32 s25, s17
	s_cbranch_execz .LBB36_305
; %bb.304:
	v_add_f64 v[131:132], v[133:134], -v[48:49]
	s_mov_b32 s18, 0x652b82fe
	s_mov_b32 s19, 0x3ff71547
	;; [unrolled: 1-line block ×10, first 2 shown]
	s_delay_alu instid0(VALU_DEP_1) | instskip(SKIP_3) | instid1(VALU_DEP_2)
	v_mul_f64 v[133:134], v[131:132], s[18:19]
	s_mov_b32 s18, 0xfca7ab0c
	s_mov_b32 s19, 0x3e928af3
	v_cmp_nlt_f64_e64 s17, 0x40900000, v[131:132]
	v_rndne_f64_e32 v[133:134], v[133:134]
	s_delay_alu instid0(VALU_DEP_1) | instskip(SKIP_2) | instid1(VALU_DEP_2)
	v_fma_f64 v[147:148], v[133:134], s[20:21], v[131:132]
	v_cvt_i32_f64_e32 v145, v[133:134]
	s_mov_b32 s21, 0x3fe62e42
	v_fma_f64 v[147:148], v[133:134], s[22:23], v[147:148]
	s_mov_b32 s23, 0x3c7abc9e
	s_delay_alu instid0(VALU_DEP_1) | instskip(SKIP_4) | instid1(VALU_DEP_1)
	v_fma_f64 v[149:150], v[147:148], s[26:27], s[18:19]
	s_mov_b32 s18, 0x623fde64
	s_mov_b32 s19, 0x3ec71dee
	;; [unrolled: 1-line block ×4, first 2 shown]
	v_fma_f64 v[149:150], v[147:148], v[149:150], s[18:19]
	s_mov_b32 s18, 0x7c89e6b0
	s_mov_b32 s19, 0x3efa0199
	s_delay_alu instid0(VALU_DEP_1) | instid1(SALU_CYCLE_1)
	v_fma_f64 v[149:150], v[147:148], v[149:150], s[18:19]
	s_mov_b32 s18, 0x14761f6e
	s_mov_b32 s19, 0x3f2a01a0
	s_delay_alu instid0(VALU_DEP_1) | instid1(SALU_CYCLE_1)
	;; [unrolled: 4-line block ×7, first 2 shown]
	v_fma_f64 v[149:150], v[147:148], v[149:150], s[18:19]
	v_cmp_ngt_f64_e64 s18, 0xc090cc00, v[131:132]
	s_mov_b32 s19, 0x3fe55555
	s_delay_alu instid0(VALU_DEP_2) | instskip(NEXT) | instid1(VALU_DEP_1)
	v_fma_f64 v[149:150], v[147:148], v[149:150], 1.0
	v_fma_f64 v[133:134], v[147:148], v[149:150], 1.0
	s_delay_alu instid0(VALU_DEP_1) | instskip(NEXT) | instid1(VALU_DEP_1)
	v_ldexp_f64 v[133:134], v[133:134], v145
	v_cndmask_b32_e64 v134, 0x7ff00000, v134, s17
	s_and_b32 s17, s18, s17
	s_delay_alu instid0(VALU_DEP_2) | instid1(SALU_CYCLE_1)
	v_cndmask_b32_e64 v131, 0, v133, s17
	s_delay_alu instid0(VALU_DEP_2) | instskip(SKIP_1) | instid1(VALU_DEP_1)
	v_cndmask_b32_e64 v132, 0, v134, s18
	s_mov_b32 s18, 0x55555555
	v_add_f64 v[133:134], v[131:132], 1.0
	s_delay_alu instid0(VALU_DEP_1) | instskip(SKIP_2) | instid1(VALU_DEP_3)
	v_frexp_mant_f64_e32 v[147:148], v[133:134]
	v_frexp_exp_i32_f64_e32 v145, v[133:134]
	v_add_f64 v[149:150], v[133:134], -1.0
	v_cmp_gt_f64_e64 s17, s[18:19], v[147:148]
	s_mov_b32 s18, 0x55555780
	s_delay_alu instid0(VALU_DEP_2) | instskip(SKIP_1) | instid1(VALU_DEP_3)
	v_add_f64 v[147:148], v[149:150], -v[133:134]
	v_add_f64 v[149:150], v[131:132], -v[149:150]
	v_subrev_co_ci_u32_e64 v145, s17, 0, v145, s17
	s_delay_alu instid0(VALU_DEP_3) | instskip(SKIP_1) | instid1(VALU_DEP_3)
	v_add_f64 v[147:148], v[147:148], 1.0
	v_cmp_eq_f64_e64 s17, 0x7ff00000, v[131:132]
	v_sub_nc_u32_e32 v151, 0, v145
	s_delay_alu instid0(VALU_DEP_1) | instskip(NEXT) | instid1(VALU_DEP_4)
	v_ldexp_f64 v[133:134], v[133:134], v151
	v_add_f64 v[147:148], v[149:150], v[147:148]
	s_delay_alu instid0(VALU_DEP_2) | instskip(SKIP_1) | instid1(VALU_DEP_3)
	v_add_f64 v[160:161], v[133:134], 1.0
	v_add_f64 v[166:167], v[133:134], -1.0
	v_ldexp_f64 v[147:148], v[147:148], v151
	s_delay_alu instid0(VALU_DEP_3) | instskip(NEXT) | instid1(VALU_DEP_3)
	v_add_f64 v[149:150], v[160:161], -1.0
	v_add_f64 v[176:177], v[166:167], 1.0
	s_delay_alu instid0(VALU_DEP_2) | instskip(NEXT) | instid1(VALU_DEP_2)
	v_add_f64 v[149:150], v[133:134], -v[149:150]
	v_add_f64 v[133:134], v[133:134], -v[176:177]
	s_delay_alu instid0(VALU_DEP_2) | instskip(NEXT) | instid1(VALU_DEP_2)
	v_add_f64 v[149:150], v[147:148], v[149:150]
	v_add_f64 v[133:134], v[147:148], v[133:134]
	s_delay_alu instid0(VALU_DEP_2) | instskip(NEXT) | instid1(VALU_DEP_2)
	v_add_f64 v[162:163], v[160:161], v[149:150]
	v_add_f64 v[176:177], v[166:167], v[133:134]
	s_delay_alu instid0(VALU_DEP_2) | instskip(SKIP_1) | instid1(VALU_DEP_2)
	v_rcp_f64_e32 v[164:165], v[162:163]
	v_add_f64 v[160:161], v[162:163], -v[160:161]
	v_add_f64 v[166:167], v[176:177], -v[166:167]
	s_delay_alu instid0(VALU_DEP_2) | instskip(SKIP_3) | instid1(VALU_DEP_2)
	v_add_f64 v[149:150], v[149:150], -v[160:161]
	s_waitcnt_depctr 0xfff
	v_fma_f64 v[212:213], -v[162:163], v[164:165], 1.0
	v_add_f64 v[133:134], v[133:134], -v[166:167]
	v_fma_f64 v[164:165], v[212:213], v[164:165], v[164:165]
	s_delay_alu instid0(VALU_DEP_1) | instskip(NEXT) | instid1(VALU_DEP_1)
	v_fma_f64 v[147:148], -v[162:163], v[164:165], 1.0
	v_fma_f64 v[147:148], v[147:148], v[164:165], v[164:165]
	s_delay_alu instid0(VALU_DEP_1) | instskip(NEXT) | instid1(VALU_DEP_1)
	v_mul_f64 v[164:165], v[176:177], v[147:148]
	v_mul_f64 v[212:213], v[162:163], v[164:165]
	s_delay_alu instid0(VALU_DEP_1) | instskip(NEXT) | instid1(VALU_DEP_1)
	v_fma_f64 v[160:161], v[164:165], v[162:163], -v[212:213]
	v_fma_f64 v[160:161], v[164:165], v[149:150], v[160:161]
	s_delay_alu instid0(VALU_DEP_1) | instskip(NEXT) | instid1(VALU_DEP_1)
	v_add_f64 v[214:215], v[212:213], v[160:161]
	v_add_f64 v[224:225], v[176:177], -v[214:215]
	v_add_f64 v[166:167], v[214:215], -v[212:213]
	s_delay_alu instid0(VALU_DEP_2) | instskip(NEXT) | instid1(VALU_DEP_2)
	v_add_f64 v[176:177], v[176:177], -v[224:225]
	v_add_f64 v[160:161], v[166:167], -v[160:161]
	s_delay_alu instid0(VALU_DEP_2) | instskip(NEXT) | instid1(VALU_DEP_1)
	v_add_f64 v[176:177], v[176:177], -v[214:215]
	v_add_f64 v[133:134], v[133:134], v[176:177]
	s_delay_alu instid0(VALU_DEP_1) | instskip(NEXT) | instid1(VALU_DEP_1)
	v_add_f64 v[133:134], v[160:161], v[133:134]
	v_add_f64 v[160:161], v[224:225], v[133:134]
	s_delay_alu instid0(VALU_DEP_1) | instskip(SKIP_1) | instid1(VALU_DEP_2)
	v_mul_f64 v[166:167], v[147:148], v[160:161]
	v_add_f64 v[214:215], v[224:225], -v[160:161]
	v_mul_f64 v[176:177], v[162:163], v[166:167]
	s_delay_alu instid0(VALU_DEP_2) | instskip(NEXT) | instid1(VALU_DEP_2)
	v_add_f64 v[133:134], v[133:134], v[214:215]
	v_fma_f64 v[162:163], v[166:167], v[162:163], -v[176:177]
	s_delay_alu instid0(VALU_DEP_1) | instskip(NEXT) | instid1(VALU_DEP_1)
	v_fma_f64 v[149:150], v[166:167], v[149:150], v[162:163]
	v_add_f64 v[162:163], v[176:177], v[149:150]
	s_delay_alu instid0(VALU_DEP_1) | instskip(SKIP_1) | instid1(VALU_DEP_2)
	v_add_f64 v[212:213], v[160:161], -v[162:163]
	v_add_f64 v[176:177], v[162:163], -v[176:177]
	;; [unrolled: 1-line block ×3, first 2 shown]
	s_delay_alu instid0(VALU_DEP_2) | instskip(NEXT) | instid1(VALU_DEP_2)
	v_add_f64 v[149:150], v[176:177], -v[149:150]
	v_add_f64 v[160:161], v[160:161], -v[162:163]
	s_delay_alu instid0(VALU_DEP_1) | instskip(SKIP_1) | instid1(VALU_DEP_2)
	v_add_f64 v[133:134], v[133:134], v[160:161]
	v_add_f64 v[160:161], v[164:165], v[166:167]
	;; [unrolled: 1-line block ×3, first 2 shown]
	s_delay_alu instid0(VALU_DEP_2) | instskip(NEXT) | instid1(VALU_DEP_2)
	v_add_f64 v[149:150], v[160:161], -v[164:165]
	v_add_f64 v[133:134], v[212:213], v[133:134]
	s_delay_alu instid0(VALU_DEP_2) | instskip(NEXT) | instid1(VALU_DEP_2)
	v_add_f64 v[149:150], v[166:167], -v[149:150]
	v_mul_f64 v[133:134], v[147:148], v[133:134]
	s_delay_alu instid0(VALU_DEP_1) | instskip(NEXT) | instid1(VALU_DEP_1)
	v_add_f64 v[133:134], v[149:150], v[133:134]
	v_add_f64 v[147:148], v[160:161], v[133:134]
	s_delay_alu instid0(VALU_DEP_1) | instskip(NEXT) | instid1(VALU_DEP_1)
	v_mul_f64 v[149:150], v[147:148], v[147:148]
	v_fma_f64 v[162:163], v[149:150], s[28:29], s[26:27]
	s_mov_b32 s26, 0xd7f4df2e
	s_mov_b32 s27, 0x3fc7474d
	v_mul_f64 v[164:165], v[147:148], v[149:150]
	s_delay_alu instid0(VALU_DEP_2)
	v_fma_f64 v[162:163], v[149:150], v[162:163], s[26:27]
	s_mov_b32 s26, 0x16291751
	s_mov_b32 s27, 0x3fcc71c0
	s_delay_alu instid0(VALU_DEP_1) | instid1(SALU_CYCLE_1)
	v_fma_f64 v[162:163], v[149:150], v[162:163], s[26:27]
	s_mov_b32 s26, 0x9b27acf1
	s_mov_b32 s27, 0x3fd24924
	s_delay_alu instid0(VALU_DEP_1) | instid1(SALU_CYCLE_1)
	;; [unrolled: 4-line block ×3, first 2 shown]
	v_fma_f64 v[162:163], v[149:150], v[162:163], s[26:27]
	s_delay_alu instid0(VALU_DEP_1) | instskip(SKIP_2) | instid1(VALU_DEP_3)
	v_fma_f64 v[149:150], v[149:150], v[162:163], s[18:19]
	v_ldexp_f64 v[162:163], v[147:148], 1
	v_add_f64 v[147:148], v[147:148], -v[160:161]
	v_mul_f64 v[149:150], v[164:165], v[149:150]
	v_cvt_f64_i32_e32 v[164:165], v145
	s_delay_alu instid0(VALU_DEP_3) | instskip(NEXT) | instid1(VALU_DEP_3)
	v_add_f64 v[133:134], v[133:134], -v[147:148]
	v_add_f64 v[160:161], v[162:163], v[149:150]
	s_delay_alu instid0(VALU_DEP_3) | instskip(NEXT) | instid1(VALU_DEP_3)
	v_mul_f64 v[166:167], v[164:165], s[20:21]
	v_ldexp_f64 v[133:134], v[133:134], 1
	s_delay_alu instid0(VALU_DEP_3) | instskip(NEXT) | instid1(VALU_DEP_3)
	v_add_f64 v[147:148], v[160:161], -v[162:163]
	v_fma_f64 v[162:163], v[164:165], s[20:21], -v[166:167]
	s_delay_alu instid0(VALU_DEP_2) | instskip(NEXT) | instid1(VALU_DEP_2)
	v_add_f64 v[147:148], v[149:150], -v[147:148]
	v_fma_f64 v[149:150], v[164:165], s[22:23], v[162:163]
	s_delay_alu instid0(VALU_DEP_2) | instskip(NEXT) | instid1(VALU_DEP_2)
	v_add_f64 v[133:134], v[133:134], v[147:148]
	v_add_f64 v[147:148], v[166:167], v[149:150]
	s_delay_alu instid0(VALU_DEP_2) | instskip(NEXT) | instid1(VALU_DEP_2)
	v_add_f64 v[162:163], v[160:161], v[133:134]
	v_add_f64 v[166:167], v[147:148], -v[166:167]
	s_delay_alu instid0(VALU_DEP_2) | instskip(SKIP_1) | instid1(VALU_DEP_3)
	v_add_f64 v[164:165], v[147:148], v[162:163]
	v_add_f64 v[160:161], v[162:163], -v[160:161]
	v_add_f64 v[149:150], v[149:150], -v[166:167]
	s_delay_alu instid0(VALU_DEP_3) | instskip(NEXT) | instid1(VALU_DEP_3)
	v_add_f64 v[176:177], v[164:165], -v[147:148]
	v_add_f64 v[133:134], v[133:134], -v[160:161]
	s_delay_alu instid0(VALU_DEP_2) | instskip(SKIP_1) | instid1(VALU_DEP_3)
	v_add_f64 v[212:213], v[164:165], -v[176:177]
	v_add_f64 v[160:161], v[162:163], -v[176:177]
	v_add_f64 v[162:163], v[149:150], v[133:134]
	s_delay_alu instid0(VALU_DEP_3) | instskip(NEXT) | instid1(VALU_DEP_1)
	v_add_f64 v[147:148], v[147:148], -v[212:213]
	v_add_f64 v[147:148], v[160:161], v[147:148]
	s_delay_alu instid0(VALU_DEP_3) | instskip(NEXT) | instid1(VALU_DEP_2)
	v_add_f64 v[160:161], v[162:163], -v[149:150]
	v_add_f64 v[147:148], v[162:163], v[147:148]
	s_delay_alu instid0(VALU_DEP_2) | instskip(SKIP_1) | instid1(VALU_DEP_3)
	v_add_f64 v[162:163], v[162:163], -v[160:161]
	v_add_f64 v[133:134], v[133:134], -v[160:161]
	v_add_f64 v[166:167], v[164:165], v[147:148]
	s_delay_alu instid0(VALU_DEP_3) | instskip(NEXT) | instid1(VALU_DEP_2)
	v_add_f64 v[149:150], v[149:150], -v[162:163]
	v_add_f64 v[160:161], v[166:167], -v[164:165]
	s_delay_alu instid0(VALU_DEP_2) | instskip(NEXT) | instid1(VALU_DEP_2)
	v_add_f64 v[133:134], v[133:134], v[149:150]
	v_add_f64 v[147:148], v[147:148], -v[160:161]
	s_delay_alu instid0(VALU_DEP_1) | instskip(NEXT) | instid1(VALU_DEP_1)
	v_add_f64 v[133:134], v[133:134], v[147:148]
	v_add_f64 v[133:134], v[166:167], v[133:134]
	s_delay_alu instid0(VALU_DEP_1) | instskip(NEXT) | instid1(VALU_DEP_2)
	v_cndmask_b32_e64 v133, v133, v131, s17
	v_cndmask_b32_e64 v134, v134, v132, s17
	v_cmp_ngt_f64_e64 s17, -1.0, v[131:132]
	s_delay_alu instid0(VALU_DEP_1) | instskip(SKIP_1) | instid1(VALU_DEP_1)
	v_cndmask_b32_e64 v134, 0x7ff80000, v134, s17
	v_cmp_nge_f64_e64 s17, -1.0, v[131:132]
	v_cndmask_b32_e64 v133, 0, v133, s17
	v_cmp_neq_f64_e64 s17, -1.0, v[131:132]
	s_delay_alu instid0(VALU_DEP_1) | instskip(NEXT) | instid1(VALU_DEP_1)
	v_cndmask_b32_e64 v134, 0xfff00000, v134, s17
	v_add_f64 v[131:132], v[48:49], v[133:134]
.LBB36_305:
	s_or_b32 exec_lo, exec_lo, s25
	s_delay_alu instid0(VALU_DEP_1)
	v_dual_mov_b32 v48, v131 :: v_dual_mov_b32 v49, v132
	v_dual_mov_b32 v133, v131 :: v_dual_mov_b32 v134, v132
.LBB36_306:
	s_or_b32 exec_lo, exec_lo, s24
	s_delay_alu instid0(VALU_DEP_1) | instskip(NEXT) | instid1(VALU_DEP_2)
	v_mov_b32_dpp v131, v133 row_shr:8 row_mask:0xf bank_mask:0xf
	v_mov_b32_dpp v132, v134 row_shr:8 row_mask:0xf bank_mask:0xf
	s_mov_b32 s24, exec_lo
	v_cmpx_lt_u32_e32 7, v144
	s_cbranch_execz .LBB36_310
; %bb.307:
	s_delay_alu instid0(VALU_DEP_2) | instskip(SKIP_3) | instid1(VALU_DEP_3)
	v_max_f64 v[133:134], v[131:132], v[131:132]
	v_max_f64 v[144:145], v[48:49], v[48:49]
	v_cmp_u_f64_e64 s17, v[131:132], v[131:132]
	v_cmp_u_f64_e64 s18, v[48:49], v[48:49]
	v_min_f64 v[147:148], v[133:134], v[144:145]
	v_max_f64 v[133:134], v[133:134], v[144:145]
	s_delay_alu instid0(VALU_DEP_2) | instskip(NEXT) | instid1(VALU_DEP_3)
	v_cndmask_b32_e64 v144, v147, v131, s17
	v_cndmask_b32_e64 v145, v148, v132, s17
	s_delay_alu instid0(VALU_DEP_3) | instskip(NEXT) | instid1(VALU_DEP_4)
	v_cndmask_b32_e64 v147, v134, v132, s17
	v_cndmask_b32_e64 v148, v133, v131, s17
	s_delay_alu instid0(VALU_DEP_4) | instskip(NEXT) | instid1(VALU_DEP_4)
	v_cndmask_b32_e64 v133, v144, v48, s18
	v_cndmask_b32_e64 v134, v145, v49, s18
	s_delay_alu instid0(VALU_DEP_4) | instskip(NEXT) | instid1(VALU_DEP_4)
	v_cndmask_b32_e64 v49, v147, v49, s18
	v_cndmask_b32_e64 v48, v148, v48, s18
	s_delay_alu instid0(VALU_DEP_3) | instskip(NEXT) | instid1(VALU_DEP_2)
	v_cmp_class_f64_e64 s18, v[133:134], 0x1f8
	v_cmp_neq_f64_e64 s17, v[133:134], v[48:49]
	s_delay_alu instid0(VALU_DEP_1) | instskip(NEXT) | instid1(SALU_CYCLE_1)
	s_or_b32 s17, s17, s18
	s_and_saveexec_b32 s25, s17
	s_cbranch_execz .LBB36_309
; %bb.308:
	v_add_f64 v[131:132], v[133:134], -v[48:49]
	s_mov_b32 s18, 0x652b82fe
	s_mov_b32 s19, 0x3ff71547
	;; [unrolled: 1-line block ×10, first 2 shown]
	s_delay_alu instid0(VALU_DEP_1) | instskip(SKIP_3) | instid1(VALU_DEP_2)
	v_mul_f64 v[133:134], v[131:132], s[18:19]
	s_mov_b32 s18, 0xfca7ab0c
	s_mov_b32 s19, 0x3e928af3
	v_cmp_nlt_f64_e64 s17, 0x40900000, v[131:132]
	v_rndne_f64_e32 v[133:134], v[133:134]
	s_delay_alu instid0(VALU_DEP_1) | instskip(SKIP_2) | instid1(VALU_DEP_2)
	v_fma_f64 v[144:145], v[133:134], s[20:21], v[131:132]
	v_cvt_i32_f64_e32 v149, v[133:134]
	s_mov_b32 s21, 0x3fe62e42
	v_fma_f64 v[144:145], v[133:134], s[22:23], v[144:145]
	s_mov_b32 s23, 0x3c7abc9e
	s_delay_alu instid0(VALU_DEP_1) | instskip(SKIP_4) | instid1(VALU_DEP_1)
	v_fma_f64 v[147:148], v[144:145], s[26:27], s[18:19]
	s_mov_b32 s18, 0x623fde64
	s_mov_b32 s19, 0x3ec71dee
	;; [unrolled: 1-line block ×4, first 2 shown]
	v_fma_f64 v[147:148], v[144:145], v[147:148], s[18:19]
	s_mov_b32 s18, 0x7c89e6b0
	s_mov_b32 s19, 0x3efa0199
	s_delay_alu instid0(VALU_DEP_1) | instid1(SALU_CYCLE_1)
	v_fma_f64 v[147:148], v[144:145], v[147:148], s[18:19]
	s_mov_b32 s18, 0x14761f6e
	s_mov_b32 s19, 0x3f2a01a0
	s_delay_alu instid0(VALU_DEP_1) | instid1(SALU_CYCLE_1)
	;; [unrolled: 4-line block ×7, first 2 shown]
	v_fma_f64 v[147:148], v[144:145], v[147:148], s[18:19]
	v_cmp_ngt_f64_e64 s18, 0xc090cc00, v[131:132]
	s_mov_b32 s19, 0x3fe55555
	s_delay_alu instid0(VALU_DEP_2) | instskip(NEXT) | instid1(VALU_DEP_1)
	v_fma_f64 v[147:148], v[144:145], v[147:148], 1.0
	v_fma_f64 v[133:134], v[144:145], v[147:148], 1.0
	s_delay_alu instid0(VALU_DEP_1) | instskip(NEXT) | instid1(VALU_DEP_1)
	v_ldexp_f64 v[133:134], v[133:134], v149
	v_cndmask_b32_e64 v134, 0x7ff00000, v134, s17
	s_and_b32 s17, s18, s17
	s_delay_alu instid0(VALU_DEP_2) | instid1(SALU_CYCLE_1)
	v_cndmask_b32_e64 v131, 0, v133, s17
	s_delay_alu instid0(VALU_DEP_2) | instskip(SKIP_1) | instid1(VALU_DEP_1)
	v_cndmask_b32_e64 v132, 0, v134, s18
	s_mov_b32 s18, 0x55555555
	v_add_f64 v[133:134], v[131:132], 1.0
	s_delay_alu instid0(VALU_DEP_1) | instskip(SKIP_2) | instid1(VALU_DEP_3)
	v_frexp_mant_f64_e32 v[144:145], v[133:134]
	v_frexp_exp_i32_f64_e32 v149, v[133:134]
	v_add_f64 v[147:148], v[133:134], -1.0
	v_cmp_gt_f64_e64 s17, s[18:19], v[144:145]
	s_mov_b32 s18, 0x55555780
	s_delay_alu instid0(VALU_DEP_2) | instskip(SKIP_1) | instid1(VALU_DEP_3)
	v_add_f64 v[144:145], v[147:148], -v[133:134]
	v_add_f64 v[147:148], v[131:132], -v[147:148]
	v_subrev_co_ci_u32_e64 v151, s17, 0, v149, s17
	s_delay_alu instid0(VALU_DEP_3) | instskip(SKIP_1) | instid1(VALU_DEP_3)
	v_add_f64 v[144:145], v[144:145], 1.0
	v_cmp_eq_f64_e64 s17, 0x7ff00000, v[131:132]
	v_sub_nc_u32_e32 v160, 0, v151
	s_delay_alu instid0(VALU_DEP_1) | instskip(NEXT) | instid1(VALU_DEP_4)
	v_ldexp_f64 v[133:134], v[133:134], v160
	v_add_f64 v[144:145], v[147:148], v[144:145]
	s_delay_alu instid0(VALU_DEP_2) | instskip(SKIP_1) | instid1(VALU_DEP_3)
	v_add_f64 v[149:150], v[133:134], 1.0
	v_add_f64 v[164:165], v[133:134], -1.0
	v_ldexp_f64 v[144:145], v[144:145], v160
	s_delay_alu instid0(VALU_DEP_3) | instskip(NEXT) | instid1(VALU_DEP_3)
	v_add_f64 v[147:148], v[149:150], -1.0
	v_add_f64 v[166:167], v[164:165], 1.0
	s_delay_alu instid0(VALU_DEP_2) | instskip(NEXT) | instid1(VALU_DEP_2)
	v_add_f64 v[147:148], v[133:134], -v[147:148]
	v_add_f64 v[133:134], v[133:134], -v[166:167]
	s_delay_alu instid0(VALU_DEP_2) | instskip(NEXT) | instid1(VALU_DEP_2)
	v_add_f64 v[147:148], v[144:145], v[147:148]
	v_add_f64 v[133:134], v[144:145], v[133:134]
	s_delay_alu instid0(VALU_DEP_2) | instskip(NEXT) | instid1(VALU_DEP_2)
	v_add_f64 v[160:161], v[149:150], v[147:148]
	v_add_f64 v[166:167], v[164:165], v[133:134]
	s_delay_alu instid0(VALU_DEP_2) | instskip(SKIP_1) | instid1(VALU_DEP_2)
	v_rcp_f64_e32 v[162:163], v[160:161]
	v_add_f64 v[149:150], v[160:161], -v[149:150]
	v_add_f64 v[164:165], v[166:167], -v[164:165]
	s_delay_alu instid0(VALU_DEP_2) | instskip(SKIP_3) | instid1(VALU_DEP_2)
	v_add_f64 v[147:148], v[147:148], -v[149:150]
	s_waitcnt_depctr 0xfff
	v_fma_f64 v[176:177], -v[160:161], v[162:163], 1.0
	v_add_f64 v[133:134], v[133:134], -v[164:165]
	v_fma_f64 v[162:163], v[176:177], v[162:163], v[162:163]
	s_delay_alu instid0(VALU_DEP_1) | instskip(NEXT) | instid1(VALU_DEP_1)
	v_fma_f64 v[144:145], -v[160:161], v[162:163], 1.0
	v_fma_f64 v[144:145], v[144:145], v[162:163], v[162:163]
	s_delay_alu instid0(VALU_DEP_1) | instskip(NEXT) | instid1(VALU_DEP_1)
	v_mul_f64 v[162:163], v[166:167], v[144:145]
	v_mul_f64 v[176:177], v[160:161], v[162:163]
	s_delay_alu instid0(VALU_DEP_1) | instskip(NEXT) | instid1(VALU_DEP_1)
	v_fma_f64 v[149:150], v[162:163], v[160:161], -v[176:177]
	v_fma_f64 v[149:150], v[162:163], v[147:148], v[149:150]
	s_delay_alu instid0(VALU_DEP_1) | instskip(NEXT) | instid1(VALU_DEP_1)
	v_add_f64 v[212:213], v[176:177], v[149:150]
	v_add_f64 v[214:215], v[166:167], -v[212:213]
	v_add_f64 v[164:165], v[212:213], -v[176:177]
	s_delay_alu instid0(VALU_DEP_2) | instskip(NEXT) | instid1(VALU_DEP_2)
	v_add_f64 v[166:167], v[166:167], -v[214:215]
	v_add_f64 v[149:150], v[164:165], -v[149:150]
	s_delay_alu instid0(VALU_DEP_2) | instskip(NEXT) | instid1(VALU_DEP_1)
	v_add_f64 v[166:167], v[166:167], -v[212:213]
	v_add_f64 v[133:134], v[133:134], v[166:167]
	s_delay_alu instid0(VALU_DEP_1) | instskip(NEXT) | instid1(VALU_DEP_1)
	v_add_f64 v[133:134], v[149:150], v[133:134]
	v_add_f64 v[149:150], v[214:215], v[133:134]
	s_delay_alu instid0(VALU_DEP_1) | instskip(SKIP_1) | instid1(VALU_DEP_2)
	v_mul_f64 v[164:165], v[144:145], v[149:150]
	v_add_f64 v[212:213], v[214:215], -v[149:150]
	v_mul_f64 v[166:167], v[160:161], v[164:165]
	s_delay_alu instid0(VALU_DEP_2) | instskip(NEXT) | instid1(VALU_DEP_2)
	v_add_f64 v[133:134], v[133:134], v[212:213]
	v_fma_f64 v[160:161], v[164:165], v[160:161], -v[166:167]
	s_delay_alu instid0(VALU_DEP_1) | instskip(NEXT) | instid1(VALU_DEP_1)
	v_fma_f64 v[147:148], v[164:165], v[147:148], v[160:161]
	v_add_f64 v[160:161], v[166:167], v[147:148]
	s_delay_alu instid0(VALU_DEP_1) | instskip(SKIP_1) | instid1(VALU_DEP_2)
	v_add_f64 v[176:177], v[149:150], -v[160:161]
	v_add_f64 v[166:167], v[160:161], -v[166:167]
	;; [unrolled: 1-line block ×3, first 2 shown]
	s_delay_alu instid0(VALU_DEP_2) | instskip(NEXT) | instid1(VALU_DEP_2)
	v_add_f64 v[147:148], v[166:167], -v[147:148]
	v_add_f64 v[149:150], v[149:150], -v[160:161]
	s_delay_alu instid0(VALU_DEP_1) | instskip(SKIP_1) | instid1(VALU_DEP_2)
	v_add_f64 v[133:134], v[133:134], v[149:150]
	v_add_f64 v[149:150], v[162:163], v[164:165]
	;; [unrolled: 1-line block ×3, first 2 shown]
	s_delay_alu instid0(VALU_DEP_2) | instskip(NEXT) | instid1(VALU_DEP_2)
	v_add_f64 v[147:148], v[149:150], -v[162:163]
	v_add_f64 v[133:134], v[176:177], v[133:134]
	s_delay_alu instid0(VALU_DEP_2) | instskip(NEXT) | instid1(VALU_DEP_2)
	v_add_f64 v[147:148], v[164:165], -v[147:148]
	v_mul_f64 v[133:134], v[144:145], v[133:134]
	s_delay_alu instid0(VALU_DEP_1) | instskip(NEXT) | instid1(VALU_DEP_1)
	v_add_f64 v[133:134], v[147:148], v[133:134]
	v_add_f64 v[144:145], v[149:150], v[133:134]
	s_delay_alu instid0(VALU_DEP_1) | instskip(NEXT) | instid1(VALU_DEP_1)
	v_mul_f64 v[147:148], v[144:145], v[144:145]
	v_fma_f64 v[160:161], v[147:148], s[28:29], s[26:27]
	s_mov_b32 s26, 0xd7f4df2e
	s_mov_b32 s27, 0x3fc7474d
	v_mul_f64 v[162:163], v[144:145], v[147:148]
	s_delay_alu instid0(VALU_DEP_2)
	v_fma_f64 v[160:161], v[147:148], v[160:161], s[26:27]
	s_mov_b32 s26, 0x16291751
	s_mov_b32 s27, 0x3fcc71c0
	s_delay_alu instid0(VALU_DEP_1) | instid1(SALU_CYCLE_1)
	v_fma_f64 v[160:161], v[147:148], v[160:161], s[26:27]
	s_mov_b32 s26, 0x9b27acf1
	s_mov_b32 s27, 0x3fd24924
	s_delay_alu instid0(VALU_DEP_1) | instid1(SALU_CYCLE_1)
	;; [unrolled: 4-line block ×3, first 2 shown]
	v_fma_f64 v[160:161], v[147:148], v[160:161], s[26:27]
	s_delay_alu instid0(VALU_DEP_1) | instskip(SKIP_2) | instid1(VALU_DEP_3)
	v_fma_f64 v[147:148], v[147:148], v[160:161], s[18:19]
	v_ldexp_f64 v[160:161], v[144:145], 1
	v_add_f64 v[144:145], v[144:145], -v[149:150]
	v_mul_f64 v[147:148], v[162:163], v[147:148]
	v_cvt_f64_i32_e32 v[162:163], v151
	s_delay_alu instid0(VALU_DEP_3) | instskip(NEXT) | instid1(VALU_DEP_3)
	v_add_f64 v[133:134], v[133:134], -v[144:145]
	v_add_f64 v[149:150], v[160:161], v[147:148]
	s_delay_alu instid0(VALU_DEP_3) | instskip(NEXT) | instid1(VALU_DEP_3)
	v_mul_f64 v[164:165], v[162:163], s[20:21]
	v_ldexp_f64 v[133:134], v[133:134], 1
	s_delay_alu instid0(VALU_DEP_3) | instskip(NEXT) | instid1(VALU_DEP_3)
	v_add_f64 v[144:145], v[149:150], -v[160:161]
	v_fma_f64 v[160:161], v[162:163], s[20:21], -v[164:165]
	s_delay_alu instid0(VALU_DEP_2) | instskip(NEXT) | instid1(VALU_DEP_2)
	v_add_f64 v[144:145], v[147:148], -v[144:145]
	v_fma_f64 v[147:148], v[162:163], s[22:23], v[160:161]
	s_delay_alu instid0(VALU_DEP_2) | instskip(NEXT) | instid1(VALU_DEP_2)
	v_add_f64 v[133:134], v[133:134], v[144:145]
	v_add_f64 v[144:145], v[164:165], v[147:148]
	s_delay_alu instid0(VALU_DEP_2) | instskip(NEXT) | instid1(VALU_DEP_2)
	v_add_f64 v[160:161], v[149:150], v[133:134]
	v_add_f64 v[164:165], v[144:145], -v[164:165]
	s_delay_alu instid0(VALU_DEP_2) | instskip(SKIP_1) | instid1(VALU_DEP_3)
	v_add_f64 v[162:163], v[144:145], v[160:161]
	v_add_f64 v[149:150], v[160:161], -v[149:150]
	v_add_f64 v[147:148], v[147:148], -v[164:165]
	s_delay_alu instid0(VALU_DEP_3) | instskip(NEXT) | instid1(VALU_DEP_3)
	v_add_f64 v[166:167], v[162:163], -v[144:145]
	v_add_f64 v[133:134], v[133:134], -v[149:150]
	s_delay_alu instid0(VALU_DEP_2) | instskip(SKIP_1) | instid1(VALU_DEP_3)
	v_add_f64 v[176:177], v[162:163], -v[166:167]
	v_add_f64 v[149:150], v[160:161], -v[166:167]
	v_add_f64 v[160:161], v[147:148], v[133:134]
	s_delay_alu instid0(VALU_DEP_3) | instskip(NEXT) | instid1(VALU_DEP_1)
	v_add_f64 v[144:145], v[144:145], -v[176:177]
	v_add_f64 v[144:145], v[149:150], v[144:145]
	s_delay_alu instid0(VALU_DEP_3) | instskip(NEXT) | instid1(VALU_DEP_2)
	v_add_f64 v[149:150], v[160:161], -v[147:148]
	v_add_f64 v[144:145], v[160:161], v[144:145]
	s_delay_alu instid0(VALU_DEP_2) | instskip(SKIP_1) | instid1(VALU_DEP_3)
	v_add_f64 v[160:161], v[160:161], -v[149:150]
	v_add_f64 v[133:134], v[133:134], -v[149:150]
	v_add_f64 v[164:165], v[162:163], v[144:145]
	s_delay_alu instid0(VALU_DEP_3) | instskip(NEXT) | instid1(VALU_DEP_2)
	v_add_f64 v[147:148], v[147:148], -v[160:161]
	v_add_f64 v[149:150], v[164:165], -v[162:163]
	s_delay_alu instid0(VALU_DEP_2) | instskip(NEXT) | instid1(VALU_DEP_2)
	v_add_f64 v[133:134], v[133:134], v[147:148]
	v_add_f64 v[144:145], v[144:145], -v[149:150]
	s_delay_alu instid0(VALU_DEP_1) | instskip(NEXT) | instid1(VALU_DEP_1)
	v_add_f64 v[133:134], v[133:134], v[144:145]
	v_add_f64 v[133:134], v[164:165], v[133:134]
	s_delay_alu instid0(VALU_DEP_1) | instskip(NEXT) | instid1(VALU_DEP_2)
	v_cndmask_b32_e64 v133, v133, v131, s17
	v_cndmask_b32_e64 v134, v134, v132, s17
	v_cmp_ngt_f64_e64 s17, -1.0, v[131:132]
	s_delay_alu instid0(VALU_DEP_1) | instskip(SKIP_1) | instid1(VALU_DEP_1)
	v_cndmask_b32_e64 v134, 0x7ff80000, v134, s17
	v_cmp_nge_f64_e64 s17, -1.0, v[131:132]
	v_cndmask_b32_e64 v133, 0, v133, s17
	v_cmp_neq_f64_e64 s17, -1.0, v[131:132]
	s_delay_alu instid0(VALU_DEP_1) | instskip(NEXT) | instid1(VALU_DEP_1)
	v_cndmask_b32_e64 v134, 0xfff00000, v134, s17
	v_add_f64 v[131:132], v[48:49], v[133:134]
.LBB36_309:
	s_or_b32 exec_lo, exec_lo, s25
	s_delay_alu instid0(VALU_DEP_1)
	v_dual_mov_b32 v133, v131 :: v_dual_mov_b32 v134, v132
	v_dual_mov_b32 v48, v131 :: v_dual_mov_b32 v49, v132
.LBB36_310:
	s_or_b32 exec_lo, exec_lo, s24
	ds_swizzle_b32 v131, v133 offset:swizzle(BROADCAST,32,15)
	ds_swizzle_b32 v132, v134 offset:swizzle(BROADCAST,32,15)
	v_and_b32_e32 v133, 16, v146
	s_mov_b32 s24, exec_lo
	s_delay_alu instid0(VALU_DEP_1)
	v_cmpx_ne_u32_e32 0, v133
	s_cbranch_execz .LBB36_314
; %bb.311:
	s_waitcnt lgkmcnt(0)
	v_max_f64 v[133:134], v[131:132], v[131:132]
	v_max_f64 v[144:145], v[48:49], v[48:49]
	v_cmp_u_f64_e64 s17, v[131:132], v[131:132]
	v_cmp_u_f64_e64 s18, v[48:49], v[48:49]
	s_delay_alu instid0(VALU_DEP_3) | instskip(SKIP_1) | instid1(VALU_DEP_2)
	v_min_f64 v[147:148], v[133:134], v[144:145]
	v_max_f64 v[133:134], v[133:134], v[144:145]
	v_cndmask_b32_e64 v144, v147, v131, s17
	s_delay_alu instid0(VALU_DEP_3) | instskip(NEXT) | instid1(VALU_DEP_3)
	v_cndmask_b32_e64 v145, v148, v132, s17
	v_cndmask_b32_e64 v147, v134, v132, s17
	s_delay_alu instid0(VALU_DEP_4) | instskip(NEXT) | instid1(VALU_DEP_4)
	v_cndmask_b32_e64 v148, v133, v131, s17
	v_cndmask_b32_e64 v133, v144, v48, s18
	s_delay_alu instid0(VALU_DEP_4) | instskip(NEXT) | instid1(VALU_DEP_4)
	v_cndmask_b32_e64 v134, v145, v49, s18
	v_cndmask_b32_e64 v49, v147, v49, s18
	s_delay_alu instid0(VALU_DEP_4) | instskip(NEXT) | instid1(VALU_DEP_3)
	v_cndmask_b32_e64 v48, v148, v48, s18
	v_cmp_class_f64_e64 s18, v[133:134], 0x1f8
	s_delay_alu instid0(VALU_DEP_2) | instskip(NEXT) | instid1(VALU_DEP_1)
	v_cmp_neq_f64_e64 s17, v[133:134], v[48:49]
	s_or_b32 s17, s17, s18
	s_delay_alu instid0(SALU_CYCLE_1)
	s_and_saveexec_b32 s25, s17
	s_cbranch_execz .LBB36_313
; %bb.312:
	v_add_f64 v[131:132], v[133:134], -v[48:49]
	s_mov_b32 s18, 0x652b82fe
	s_mov_b32 s19, 0x3ff71547
	;; [unrolled: 1-line block ×10, first 2 shown]
	s_delay_alu instid0(VALU_DEP_1) | instskip(SKIP_3) | instid1(VALU_DEP_2)
	v_mul_f64 v[133:134], v[131:132], s[18:19]
	s_mov_b32 s18, 0xfca7ab0c
	s_mov_b32 s19, 0x3e928af3
	v_cmp_nlt_f64_e64 s17, 0x40900000, v[131:132]
	v_rndne_f64_e32 v[133:134], v[133:134]
	s_delay_alu instid0(VALU_DEP_1) | instskip(SKIP_2) | instid1(VALU_DEP_2)
	v_fma_f64 v[144:145], v[133:134], s[20:21], v[131:132]
	v_cvt_i32_f64_e32 v149, v[133:134]
	s_mov_b32 s21, 0x3fe62e42
	v_fma_f64 v[144:145], v[133:134], s[22:23], v[144:145]
	s_mov_b32 s23, 0x3c7abc9e
	s_delay_alu instid0(VALU_DEP_1) | instskip(SKIP_4) | instid1(VALU_DEP_1)
	v_fma_f64 v[147:148], v[144:145], s[26:27], s[18:19]
	s_mov_b32 s18, 0x623fde64
	s_mov_b32 s19, 0x3ec71dee
	;; [unrolled: 1-line block ×4, first 2 shown]
	v_fma_f64 v[147:148], v[144:145], v[147:148], s[18:19]
	s_mov_b32 s18, 0x7c89e6b0
	s_mov_b32 s19, 0x3efa0199
	s_delay_alu instid0(VALU_DEP_1) | instid1(SALU_CYCLE_1)
	v_fma_f64 v[147:148], v[144:145], v[147:148], s[18:19]
	s_mov_b32 s18, 0x14761f6e
	s_mov_b32 s19, 0x3f2a01a0
	s_delay_alu instid0(VALU_DEP_1) | instid1(SALU_CYCLE_1)
	;; [unrolled: 4-line block ×7, first 2 shown]
	v_fma_f64 v[147:148], v[144:145], v[147:148], s[18:19]
	v_cmp_ngt_f64_e64 s18, 0xc090cc00, v[131:132]
	s_mov_b32 s19, 0x3fe55555
	s_delay_alu instid0(VALU_DEP_2) | instskip(NEXT) | instid1(VALU_DEP_1)
	v_fma_f64 v[147:148], v[144:145], v[147:148], 1.0
	v_fma_f64 v[133:134], v[144:145], v[147:148], 1.0
	s_delay_alu instid0(VALU_DEP_1) | instskip(NEXT) | instid1(VALU_DEP_1)
	v_ldexp_f64 v[133:134], v[133:134], v149
	v_cndmask_b32_e64 v134, 0x7ff00000, v134, s17
	s_and_b32 s17, s18, s17
	s_delay_alu instid0(VALU_DEP_2) | instid1(SALU_CYCLE_1)
	v_cndmask_b32_e64 v131, 0, v133, s17
	s_delay_alu instid0(VALU_DEP_2) | instskip(SKIP_1) | instid1(VALU_DEP_1)
	v_cndmask_b32_e64 v132, 0, v134, s18
	s_mov_b32 s18, 0x55555555
	v_add_f64 v[133:134], v[131:132], 1.0
	s_delay_alu instid0(VALU_DEP_1) | instskip(SKIP_2) | instid1(VALU_DEP_3)
	v_frexp_mant_f64_e32 v[144:145], v[133:134]
	v_frexp_exp_i32_f64_e32 v149, v[133:134]
	v_add_f64 v[147:148], v[133:134], -1.0
	v_cmp_gt_f64_e64 s17, s[18:19], v[144:145]
	s_mov_b32 s18, 0x55555780
	s_delay_alu instid0(VALU_DEP_2) | instskip(SKIP_1) | instid1(VALU_DEP_3)
	v_add_f64 v[144:145], v[147:148], -v[133:134]
	v_add_f64 v[147:148], v[131:132], -v[147:148]
	v_subrev_co_ci_u32_e64 v151, s17, 0, v149, s17
	s_delay_alu instid0(VALU_DEP_3) | instskip(SKIP_1) | instid1(VALU_DEP_3)
	v_add_f64 v[144:145], v[144:145], 1.0
	v_cmp_eq_f64_e64 s17, 0x7ff00000, v[131:132]
	v_sub_nc_u32_e32 v160, 0, v151
	s_delay_alu instid0(VALU_DEP_1) | instskip(NEXT) | instid1(VALU_DEP_4)
	v_ldexp_f64 v[133:134], v[133:134], v160
	v_add_f64 v[144:145], v[147:148], v[144:145]
	s_delay_alu instid0(VALU_DEP_2) | instskip(SKIP_1) | instid1(VALU_DEP_3)
	v_add_f64 v[149:150], v[133:134], 1.0
	v_add_f64 v[164:165], v[133:134], -1.0
	v_ldexp_f64 v[144:145], v[144:145], v160
	s_delay_alu instid0(VALU_DEP_3) | instskip(NEXT) | instid1(VALU_DEP_3)
	v_add_f64 v[147:148], v[149:150], -1.0
	v_add_f64 v[166:167], v[164:165], 1.0
	s_delay_alu instid0(VALU_DEP_2) | instskip(NEXT) | instid1(VALU_DEP_2)
	v_add_f64 v[147:148], v[133:134], -v[147:148]
	v_add_f64 v[133:134], v[133:134], -v[166:167]
	s_delay_alu instid0(VALU_DEP_2) | instskip(NEXT) | instid1(VALU_DEP_2)
	v_add_f64 v[147:148], v[144:145], v[147:148]
	v_add_f64 v[133:134], v[144:145], v[133:134]
	s_delay_alu instid0(VALU_DEP_2) | instskip(NEXT) | instid1(VALU_DEP_2)
	v_add_f64 v[160:161], v[149:150], v[147:148]
	v_add_f64 v[166:167], v[164:165], v[133:134]
	s_delay_alu instid0(VALU_DEP_2) | instskip(SKIP_1) | instid1(VALU_DEP_2)
	v_rcp_f64_e32 v[162:163], v[160:161]
	v_add_f64 v[149:150], v[160:161], -v[149:150]
	v_add_f64 v[164:165], v[166:167], -v[164:165]
	s_delay_alu instid0(VALU_DEP_2) | instskip(SKIP_3) | instid1(VALU_DEP_2)
	v_add_f64 v[147:148], v[147:148], -v[149:150]
	s_waitcnt_depctr 0xfff
	v_fma_f64 v[176:177], -v[160:161], v[162:163], 1.0
	v_add_f64 v[133:134], v[133:134], -v[164:165]
	v_fma_f64 v[162:163], v[176:177], v[162:163], v[162:163]
	s_delay_alu instid0(VALU_DEP_1) | instskip(NEXT) | instid1(VALU_DEP_1)
	v_fma_f64 v[144:145], -v[160:161], v[162:163], 1.0
	v_fma_f64 v[144:145], v[144:145], v[162:163], v[162:163]
	s_delay_alu instid0(VALU_DEP_1) | instskip(NEXT) | instid1(VALU_DEP_1)
	v_mul_f64 v[162:163], v[166:167], v[144:145]
	v_mul_f64 v[176:177], v[160:161], v[162:163]
	s_delay_alu instid0(VALU_DEP_1) | instskip(NEXT) | instid1(VALU_DEP_1)
	v_fma_f64 v[149:150], v[162:163], v[160:161], -v[176:177]
	v_fma_f64 v[149:150], v[162:163], v[147:148], v[149:150]
	s_delay_alu instid0(VALU_DEP_1) | instskip(NEXT) | instid1(VALU_DEP_1)
	v_add_f64 v[212:213], v[176:177], v[149:150]
	v_add_f64 v[214:215], v[166:167], -v[212:213]
	v_add_f64 v[164:165], v[212:213], -v[176:177]
	s_delay_alu instid0(VALU_DEP_2) | instskip(NEXT) | instid1(VALU_DEP_2)
	v_add_f64 v[166:167], v[166:167], -v[214:215]
	v_add_f64 v[149:150], v[164:165], -v[149:150]
	s_delay_alu instid0(VALU_DEP_2) | instskip(NEXT) | instid1(VALU_DEP_1)
	v_add_f64 v[166:167], v[166:167], -v[212:213]
	v_add_f64 v[133:134], v[133:134], v[166:167]
	s_delay_alu instid0(VALU_DEP_1) | instskip(NEXT) | instid1(VALU_DEP_1)
	v_add_f64 v[133:134], v[149:150], v[133:134]
	v_add_f64 v[149:150], v[214:215], v[133:134]
	s_delay_alu instid0(VALU_DEP_1) | instskip(SKIP_1) | instid1(VALU_DEP_2)
	v_mul_f64 v[164:165], v[144:145], v[149:150]
	v_add_f64 v[212:213], v[214:215], -v[149:150]
	v_mul_f64 v[166:167], v[160:161], v[164:165]
	s_delay_alu instid0(VALU_DEP_2) | instskip(NEXT) | instid1(VALU_DEP_2)
	v_add_f64 v[133:134], v[133:134], v[212:213]
	v_fma_f64 v[160:161], v[164:165], v[160:161], -v[166:167]
	s_delay_alu instid0(VALU_DEP_1) | instskip(NEXT) | instid1(VALU_DEP_1)
	v_fma_f64 v[147:148], v[164:165], v[147:148], v[160:161]
	v_add_f64 v[160:161], v[166:167], v[147:148]
	s_delay_alu instid0(VALU_DEP_1) | instskip(SKIP_1) | instid1(VALU_DEP_2)
	v_add_f64 v[176:177], v[149:150], -v[160:161]
	v_add_f64 v[166:167], v[160:161], -v[166:167]
	;; [unrolled: 1-line block ×3, first 2 shown]
	s_delay_alu instid0(VALU_DEP_2) | instskip(NEXT) | instid1(VALU_DEP_2)
	v_add_f64 v[147:148], v[166:167], -v[147:148]
	v_add_f64 v[149:150], v[149:150], -v[160:161]
	s_delay_alu instid0(VALU_DEP_1) | instskip(SKIP_1) | instid1(VALU_DEP_2)
	v_add_f64 v[133:134], v[133:134], v[149:150]
	v_add_f64 v[149:150], v[162:163], v[164:165]
	;; [unrolled: 1-line block ×3, first 2 shown]
	s_delay_alu instid0(VALU_DEP_2) | instskip(NEXT) | instid1(VALU_DEP_2)
	v_add_f64 v[147:148], v[149:150], -v[162:163]
	v_add_f64 v[133:134], v[176:177], v[133:134]
	s_delay_alu instid0(VALU_DEP_2) | instskip(NEXT) | instid1(VALU_DEP_2)
	v_add_f64 v[147:148], v[164:165], -v[147:148]
	v_mul_f64 v[133:134], v[144:145], v[133:134]
	s_delay_alu instid0(VALU_DEP_1) | instskip(NEXT) | instid1(VALU_DEP_1)
	v_add_f64 v[133:134], v[147:148], v[133:134]
	v_add_f64 v[144:145], v[149:150], v[133:134]
	s_delay_alu instid0(VALU_DEP_1) | instskip(NEXT) | instid1(VALU_DEP_1)
	v_mul_f64 v[147:148], v[144:145], v[144:145]
	v_fma_f64 v[160:161], v[147:148], s[28:29], s[26:27]
	s_mov_b32 s26, 0xd7f4df2e
	s_mov_b32 s27, 0x3fc7474d
	v_mul_f64 v[162:163], v[144:145], v[147:148]
	s_delay_alu instid0(VALU_DEP_2)
	v_fma_f64 v[160:161], v[147:148], v[160:161], s[26:27]
	s_mov_b32 s26, 0x16291751
	s_mov_b32 s27, 0x3fcc71c0
	s_delay_alu instid0(VALU_DEP_1) | instid1(SALU_CYCLE_1)
	v_fma_f64 v[160:161], v[147:148], v[160:161], s[26:27]
	s_mov_b32 s26, 0x9b27acf1
	s_mov_b32 s27, 0x3fd24924
	s_delay_alu instid0(VALU_DEP_1) | instid1(SALU_CYCLE_1)
	;; [unrolled: 4-line block ×3, first 2 shown]
	v_fma_f64 v[160:161], v[147:148], v[160:161], s[26:27]
	s_delay_alu instid0(VALU_DEP_1) | instskip(SKIP_2) | instid1(VALU_DEP_3)
	v_fma_f64 v[147:148], v[147:148], v[160:161], s[18:19]
	v_ldexp_f64 v[160:161], v[144:145], 1
	v_add_f64 v[144:145], v[144:145], -v[149:150]
	v_mul_f64 v[147:148], v[162:163], v[147:148]
	v_cvt_f64_i32_e32 v[162:163], v151
	s_delay_alu instid0(VALU_DEP_3) | instskip(NEXT) | instid1(VALU_DEP_3)
	v_add_f64 v[133:134], v[133:134], -v[144:145]
	v_add_f64 v[149:150], v[160:161], v[147:148]
	s_delay_alu instid0(VALU_DEP_3) | instskip(NEXT) | instid1(VALU_DEP_3)
	v_mul_f64 v[164:165], v[162:163], s[20:21]
	v_ldexp_f64 v[133:134], v[133:134], 1
	s_delay_alu instid0(VALU_DEP_3) | instskip(NEXT) | instid1(VALU_DEP_3)
	v_add_f64 v[144:145], v[149:150], -v[160:161]
	v_fma_f64 v[160:161], v[162:163], s[20:21], -v[164:165]
	s_delay_alu instid0(VALU_DEP_2) | instskip(NEXT) | instid1(VALU_DEP_2)
	v_add_f64 v[144:145], v[147:148], -v[144:145]
	v_fma_f64 v[147:148], v[162:163], s[22:23], v[160:161]
	s_delay_alu instid0(VALU_DEP_2) | instskip(NEXT) | instid1(VALU_DEP_2)
	v_add_f64 v[133:134], v[133:134], v[144:145]
	v_add_f64 v[144:145], v[164:165], v[147:148]
	s_delay_alu instid0(VALU_DEP_2) | instskip(NEXT) | instid1(VALU_DEP_2)
	v_add_f64 v[160:161], v[149:150], v[133:134]
	v_add_f64 v[164:165], v[144:145], -v[164:165]
	s_delay_alu instid0(VALU_DEP_2) | instskip(SKIP_1) | instid1(VALU_DEP_3)
	v_add_f64 v[162:163], v[144:145], v[160:161]
	v_add_f64 v[149:150], v[160:161], -v[149:150]
	v_add_f64 v[147:148], v[147:148], -v[164:165]
	s_delay_alu instid0(VALU_DEP_3) | instskip(NEXT) | instid1(VALU_DEP_3)
	v_add_f64 v[166:167], v[162:163], -v[144:145]
	v_add_f64 v[133:134], v[133:134], -v[149:150]
	s_delay_alu instid0(VALU_DEP_2) | instskip(SKIP_1) | instid1(VALU_DEP_3)
	v_add_f64 v[176:177], v[162:163], -v[166:167]
	v_add_f64 v[149:150], v[160:161], -v[166:167]
	v_add_f64 v[160:161], v[147:148], v[133:134]
	s_delay_alu instid0(VALU_DEP_3) | instskip(NEXT) | instid1(VALU_DEP_1)
	v_add_f64 v[144:145], v[144:145], -v[176:177]
	v_add_f64 v[144:145], v[149:150], v[144:145]
	s_delay_alu instid0(VALU_DEP_3) | instskip(NEXT) | instid1(VALU_DEP_2)
	v_add_f64 v[149:150], v[160:161], -v[147:148]
	v_add_f64 v[144:145], v[160:161], v[144:145]
	s_delay_alu instid0(VALU_DEP_2) | instskip(SKIP_1) | instid1(VALU_DEP_3)
	v_add_f64 v[160:161], v[160:161], -v[149:150]
	v_add_f64 v[133:134], v[133:134], -v[149:150]
	v_add_f64 v[164:165], v[162:163], v[144:145]
	s_delay_alu instid0(VALU_DEP_3) | instskip(NEXT) | instid1(VALU_DEP_2)
	v_add_f64 v[147:148], v[147:148], -v[160:161]
	v_add_f64 v[149:150], v[164:165], -v[162:163]
	s_delay_alu instid0(VALU_DEP_2) | instskip(NEXT) | instid1(VALU_DEP_2)
	v_add_f64 v[133:134], v[133:134], v[147:148]
	v_add_f64 v[144:145], v[144:145], -v[149:150]
	s_delay_alu instid0(VALU_DEP_1) | instskip(NEXT) | instid1(VALU_DEP_1)
	v_add_f64 v[133:134], v[133:134], v[144:145]
	v_add_f64 v[133:134], v[164:165], v[133:134]
	s_delay_alu instid0(VALU_DEP_1) | instskip(NEXT) | instid1(VALU_DEP_2)
	v_cndmask_b32_e64 v133, v133, v131, s17
	v_cndmask_b32_e64 v134, v134, v132, s17
	v_cmp_ngt_f64_e64 s17, -1.0, v[131:132]
	s_delay_alu instid0(VALU_DEP_1) | instskip(SKIP_1) | instid1(VALU_DEP_1)
	v_cndmask_b32_e64 v134, 0x7ff80000, v134, s17
	v_cmp_nge_f64_e64 s17, -1.0, v[131:132]
	v_cndmask_b32_e64 v133, 0, v133, s17
	v_cmp_neq_f64_e64 s17, -1.0, v[131:132]
	s_delay_alu instid0(VALU_DEP_1) | instskip(NEXT) | instid1(VALU_DEP_1)
	v_cndmask_b32_e64 v134, 0xfff00000, v134, s17
	v_add_f64 v[131:132], v[48:49], v[133:134]
.LBB36_313:
	s_or_b32 exec_lo, exec_lo, s25
	s_delay_alu instid0(VALU_DEP_1)
	v_dual_mov_b32 v48, v131 :: v_dual_mov_b32 v49, v132
.LBB36_314:
	s_or_b32 exec_lo, exec_lo, s24
	s_waitcnt lgkmcnt(1)
	v_and_b32_e32 v131, 0x3e0, v128
	v_lshrrev_b32_e32 v147, 5, v128
	s_mov_b32 s18, exec_lo
	s_delay_alu instid0(VALU_DEP_2) | instskip(NEXT) | instid1(VALU_DEP_1)
	v_min_u32_e32 v131, 0xe0, v131
	v_or_b32_e32 v131, 31, v131
	s_delay_alu instid0(VALU_DEP_1)
	v_cmpx_eq_u32_e64 v131, v128
	s_cbranch_execz .LBB36_316
; %bb.315:
	v_lshlrev_b32_e32 v131, 3, v147
	ds_store_b64 v131, v[48:49]
.LBB36_316:
	s_or_b32 exec_lo, exec_lo, s18
	s_delay_alu instid0(SALU_CYCLE_1)
	s_mov_b32 s24, exec_lo
	s_waitcnt lgkmcnt(0)
	s_barrier
	buffer_gl0_inv
	v_cmpx_gt_u32_e32 8, v128
	s_cbranch_execz .LBB36_330
; %bb.317:
	ds_load_b64 v[131:132], v198
	v_and_b32_e32 v148, 7, v146
	s_mov_b32 s25, exec_lo
	s_waitcnt lgkmcnt(0)
	v_mov_b32_e32 v145, v132
	v_mov_b32_dpp v133, v131 row_shr:1 row_mask:0xf bank_mask:0xf
	v_mov_b32_dpp v134, v132 row_shr:1 row_mask:0xf bank_mask:0xf
	v_mov_b32_e32 v144, v131
	v_cmpx_ne_u32_e32 0, v148
	s_cbranch_execz .LBB36_321
; %bb.318:
	s_delay_alu instid0(VALU_DEP_3) | instskip(SKIP_3) | instid1(VALU_DEP_3)
	v_max_f64 v[144:145], v[133:134], v[133:134]
	v_max_f64 v[149:150], v[131:132], v[131:132]
	v_cmp_u_f64_e64 s17, v[133:134], v[133:134]
	v_cmp_u_f64_e64 s18, v[131:132], v[131:132]
	v_min_f64 v[160:161], v[144:145], v[149:150]
	v_max_f64 v[144:145], v[144:145], v[149:150]
	s_delay_alu instid0(VALU_DEP_2) | instskip(NEXT) | instid1(VALU_DEP_3)
	v_cndmask_b32_e64 v149, v160, v133, s17
	v_cndmask_b32_e64 v150, v161, v134, s17
	s_delay_alu instid0(VALU_DEP_3) | instskip(NEXT) | instid1(VALU_DEP_4)
	v_cndmask_b32_e64 v151, v145, v134, s17
	v_cndmask_b32_e64 v160, v144, v133, s17
	s_delay_alu instid0(VALU_DEP_4) | instskip(NEXT) | instid1(VALU_DEP_4)
	v_cndmask_b32_e64 v144, v149, v131, s18
	v_cndmask_b32_e64 v145, v150, v132, s18
	s_delay_alu instid0(VALU_DEP_4) | instskip(NEXT) | instid1(VALU_DEP_4)
	v_cndmask_b32_e64 v132, v151, v132, s18
	v_cndmask_b32_e64 v131, v160, v131, s18
	s_delay_alu instid0(VALU_DEP_3) | instskip(NEXT) | instid1(VALU_DEP_2)
	v_cmp_class_f64_e64 s18, v[144:145], 0x1f8
	v_cmp_neq_f64_e64 s17, v[144:145], v[131:132]
	s_delay_alu instid0(VALU_DEP_1) | instskip(NEXT) | instid1(SALU_CYCLE_1)
	s_or_b32 s17, s17, s18
	s_and_saveexec_b32 s26, s17
	s_cbranch_execz .LBB36_320
; %bb.319:
	v_add_f64 v[133:134], v[144:145], -v[131:132]
	s_mov_b32 s18, 0x652b82fe
	s_mov_b32 s19, 0x3ff71547
	;; [unrolled: 1-line block ×10, first 2 shown]
	s_delay_alu instid0(VALU_DEP_1) | instskip(SKIP_3) | instid1(VALU_DEP_2)
	v_mul_f64 v[144:145], v[133:134], s[18:19]
	s_mov_b32 s18, 0xfca7ab0c
	s_mov_b32 s19, 0x3e928af3
	v_cmp_nlt_f64_e64 s17, 0x40900000, v[133:134]
	v_rndne_f64_e32 v[144:145], v[144:145]
	s_delay_alu instid0(VALU_DEP_1) | instskip(SKIP_2) | instid1(VALU_DEP_2)
	v_fma_f64 v[149:150], v[144:145], s[20:21], v[133:134]
	v_cvt_i32_f64_e32 v151, v[144:145]
	s_mov_b32 s21, 0x3fe62e42
	v_fma_f64 v[149:150], v[144:145], s[22:23], v[149:150]
	s_mov_b32 s23, 0x3c7abc9e
	s_delay_alu instid0(VALU_DEP_1) | instskip(SKIP_4) | instid1(VALU_DEP_1)
	v_fma_f64 v[160:161], v[149:150], s[28:29], s[18:19]
	s_mov_b32 s18, 0x623fde64
	s_mov_b32 s19, 0x3ec71dee
	;; [unrolled: 1-line block ×4, first 2 shown]
	v_fma_f64 v[160:161], v[149:150], v[160:161], s[18:19]
	s_mov_b32 s18, 0x7c89e6b0
	s_mov_b32 s19, 0x3efa0199
	s_delay_alu instid0(VALU_DEP_1) | instid1(SALU_CYCLE_1)
	v_fma_f64 v[160:161], v[149:150], v[160:161], s[18:19]
	s_mov_b32 s18, 0x14761f6e
	s_mov_b32 s19, 0x3f2a01a0
	s_delay_alu instid0(VALU_DEP_1) | instid1(SALU_CYCLE_1)
	;; [unrolled: 4-line block ×7, first 2 shown]
	v_fma_f64 v[160:161], v[149:150], v[160:161], s[18:19]
	v_cmp_ngt_f64_e64 s18, 0xc090cc00, v[133:134]
	s_mov_b32 s19, 0x3fe55555
	s_delay_alu instid0(VALU_DEP_2) | instskip(NEXT) | instid1(VALU_DEP_1)
	v_fma_f64 v[160:161], v[149:150], v[160:161], 1.0
	v_fma_f64 v[144:145], v[149:150], v[160:161], 1.0
	s_delay_alu instid0(VALU_DEP_1) | instskip(NEXT) | instid1(VALU_DEP_1)
	v_ldexp_f64 v[144:145], v[144:145], v151
	v_cndmask_b32_e64 v145, 0x7ff00000, v145, s17
	s_and_b32 s17, s18, s17
	s_delay_alu instid0(VALU_DEP_2) | instid1(SALU_CYCLE_1)
	v_cndmask_b32_e64 v133, 0, v144, s17
	s_delay_alu instid0(VALU_DEP_2) | instskip(SKIP_1) | instid1(VALU_DEP_1)
	v_cndmask_b32_e64 v134, 0, v145, s18
	s_mov_b32 s18, 0x55555555
	v_add_f64 v[144:145], v[133:134], 1.0
	s_delay_alu instid0(VALU_DEP_1) | instskip(SKIP_2) | instid1(VALU_DEP_3)
	v_frexp_mant_f64_e32 v[149:150], v[144:145]
	v_frexp_exp_i32_f64_e32 v151, v[144:145]
	v_add_f64 v[160:161], v[144:145], -1.0
	v_cmp_gt_f64_e64 s17, s[18:19], v[149:150]
	s_mov_b32 s18, 0x55555780
	s_delay_alu instid0(VALU_DEP_2) | instskip(SKIP_1) | instid1(VALU_DEP_3)
	v_add_f64 v[149:150], v[160:161], -v[144:145]
	v_add_f64 v[160:161], v[133:134], -v[160:161]
	v_subrev_co_ci_u32_e64 v151, s17, 0, v151, s17
	s_delay_alu instid0(VALU_DEP_3) | instskip(SKIP_1) | instid1(VALU_DEP_3)
	v_add_f64 v[149:150], v[149:150], 1.0
	v_cmp_eq_f64_e64 s17, 0x7ff00000, v[133:134]
	v_sub_nc_u32_e32 v164, 0, v151
	s_delay_alu instid0(VALU_DEP_1) | instskip(NEXT) | instid1(VALU_DEP_4)
	v_ldexp_f64 v[144:145], v[144:145], v164
	v_add_f64 v[149:150], v[160:161], v[149:150]
	s_delay_alu instid0(VALU_DEP_2) | instskip(SKIP_1) | instid1(VALU_DEP_3)
	v_add_f64 v[162:163], v[144:145], 1.0
	v_add_f64 v[176:177], v[144:145], -1.0
	v_ldexp_f64 v[149:150], v[149:150], v164
	s_delay_alu instid0(VALU_DEP_3) | instskip(NEXT) | instid1(VALU_DEP_3)
	v_add_f64 v[160:161], v[162:163], -1.0
	v_add_f64 v[212:213], v[176:177], 1.0
	s_delay_alu instid0(VALU_DEP_2) | instskip(NEXT) | instid1(VALU_DEP_2)
	v_add_f64 v[160:161], v[144:145], -v[160:161]
	v_add_f64 v[144:145], v[144:145], -v[212:213]
	s_delay_alu instid0(VALU_DEP_2) | instskip(NEXT) | instid1(VALU_DEP_2)
	v_add_f64 v[160:161], v[149:150], v[160:161]
	v_add_f64 v[144:145], v[149:150], v[144:145]
	s_delay_alu instid0(VALU_DEP_2) | instskip(NEXT) | instid1(VALU_DEP_2)
	v_add_f64 v[164:165], v[162:163], v[160:161]
	v_add_f64 v[212:213], v[176:177], v[144:145]
	s_delay_alu instid0(VALU_DEP_2) | instskip(SKIP_1) | instid1(VALU_DEP_2)
	v_rcp_f64_e32 v[166:167], v[164:165]
	v_add_f64 v[162:163], v[164:165], -v[162:163]
	v_add_f64 v[176:177], v[212:213], -v[176:177]
	s_delay_alu instid0(VALU_DEP_2) | instskip(SKIP_3) | instid1(VALU_DEP_2)
	v_add_f64 v[160:161], v[160:161], -v[162:163]
	s_waitcnt_depctr 0xfff
	v_fma_f64 v[214:215], -v[164:165], v[166:167], 1.0
	v_add_f64 v[144:145], v[144:145], -v[176:177]
	v_fma_f64 v[166:167], v[214:215], v[166:167], v[166:167]
	s_delay_alu instid0(VALU_DEP_1) | instskip(NEXT) | instid1(VALU_DEP_1)
	v_fma_f64 v[149:150], -v[164:165], v[166:167], 1.0
	v_fma_f64 v[149:150], v[149:150], v[166:167], v[166:167]
	s_delay_alu instid0(VALU_DEP_1) | instskip(NEXT) | instid1(VALU_DEP_1)
	v_mul_f64 v[166:167], v[212:213], v[149:150]
	v_mul_f64 v[214:215], v[164:165], v[166:167]
	s_delay_alu instid0(VALU_DEP_1) | instskip(NEXT) | instid1(VALU_DEP_1)
	v_fma_f64 v[162:163], v[166:167], v[164:165], -v[214:215]
	v_fma_f64 v[162:163], v[166:167], v[160:161], v[162:163]
	s_delay_alu instid0(VALU_DEP_1) | instskip(NEXT) | instid1(VALU_DEP_1)
	v_add_f64 v[224:225], v[214:215], v[162:163]
	v_add_f64 v[226:227], v[212:213], -v[224:225]
	v_add_f64 v[176:177], v[224:225], -v[214:215]
	s_delay_alu instid0(VALU_DEP_2) | instskip(NEXT) | instid1(VALU_DEP_2)
	v_add_f64 v[212:213], v[212:213], -v[226:227]
	v_add_f64 v[162:163], v[176:177], -v[162:163]
	s_delay_alu instid0(VALU_DEP_2) | instskip(NEXT) | instid1(VALU_DEP_1)
	v_add_f64 v[212:213], v[212:213], -v[224:225]
	v_add_f64 v[144:145], v[144:145], v[212:213]
	s_delay_alu instid0(VALU_DEP_1) | instskip(NEXT) | instid1(VALU_DEP_1)
	v_add_f64 v[144:145], v[162:163], v[144:145]
	v_add_f64 v[162:163], v[226:227], v[144:145]
	s_delay_alu instid0(VALU_DEP_1) | instskip(SKIP_1) | instid1(VALU_DEP_2)
	v_mul_f64 v[176:177], v[149:150], v[162:163]
	v_add_f64 v[224:225], v[226:227], -v[162:163]
	v_mul_f64 v[212:213], v[164:165], v[176:177]
	s_delay_alu instid0(VALU_DEP_2) | instskip(NEXT) | instid1(VALU_DEP_2)
	v_add_f64 v[144:145], v[144:145], v[224:225]
	v_fma_f64 v[164:165], v[176:177], v[164:165], -v[212:213]
	s_delay_alu instid0(VALU_DEP_1) | instskip(NEXT) | instid1(VALU_DEP_1)
	v_fma_f64 v[160:161], v[176:177], v[160:161], v[164:165]
	v_add_f64 v[164:165], v[212:213], v[160:161]
	s_delay_alu instid0(VALU_DEP_1) | instskip(SKIP_1) | instid1(VALU_DEP_2)
	v_add_f64 v[214:215], v[162:163], -v[164:165]
	v_add_f64 v[212:213], v[164:165], -v[212:213]
	;; [unrolled: 1-line block ×3, first 2 shown]
	s_delay_alu instid0(VALU_DEP_2) | instskip(NEXT) | instid1(VALU_DEP_2)
	v_add_f64 v[160:161], v[212:213], -v[160:161]
	v_add_f64 v[162:163], v[162:163], -v[164:165]
	s_delay_alu instid0(VALU_DEP_1) | instskip(SKIP_1) | instid1(VALU_DEP_2)
	v_add_f64 v[144:145], v[144:145], v[162:163]
	v_add_f64 v[162:163], v[166:167], v[176:177]
	v_add_f64 v[144:145], v[160:161], v[144:145]
	s_delay_alu instid0(VALU_DEP_2) | instskip(NEXT) | instid1(VALU_DEP_2)
	v_add_f64 v[160:161], v[162:163], -v[166:167]
	v_add_f64 v[144:145], v[214:215], v[144:145]
	s_delay_alu instid0(VALU_DEP_2) | instskip(NEXT) | instid1(VALU_DEP_2)
	v_add_f64 v[160:161], v[176:177], -v[160:161]
	v_mul_f64 v[144:145], v[149:150], v[144:145]
	s_delay_alu instid0(VALU_DEP_1) | instskip(NEXT) | instid1(VALU_DEP_1)
	v_add_f64 v[144:145], v[160:161], v[144:145]
	v_add_f64 v[149:150], v[162:163], v[144:145]
	s_delay_alu instid0(VALU_DEP_1) | instskip(NEXT) | instid1(VALU_DEP_1)
	v_mul_f64 v[160:161], v[149:150], v[149:150]
	v_fma_f64 v[164:165], v[160:161], s[30:31], s[28:29]
	s_mov_b32 s28, 0xd7f4df2e
	s_mov_b32 s29, 0x3fc7474d
	v_mul_f64 v[166:167], v[149:150], v[160:161]
	s_delay_alu instid0(VALU_DEP_2)
	v_fma_f64 v[164:165], v[160:161], v[164:165], s[28:29]
	s_mov_b32 s28, 0x16291751
	s_mov_b32 s29, 0x3fcc71c0
	s_delay_alu instid0(VALU_DEP_1) | instid1(SALU_CYCLE_1)
	v_fma_f64 v[164:165], v[160:161], v[164:165], s[28:29]
	s_mov_b32 s28, 0x9b27acf1
	s_mov_b32 s29, 0x3fd24924
	s_delay_alu instid0(VALU_DEP_1) | instid1(SALU_CYCLE_1)
	;; [unrolled: 4-line block ×3, first 2 shown]
	v_fma_f64 v[164:165], v[160:161], v[164:165], s[28:29]
	s_delay_alu instid0(VALU_DEP_1) | instskip(SKIP_2) | instid1(VALU_DEP_3)
	v_fma_f64 v[160:161], v[160:161], v[164:165], s[18:19]
	v_ldexp_f64 v[164:165], v[149:150], 1
	v_add_f64 v[149:150], v[149:150], -v[162:163]
	v_mul_f64 v[160:161], v[166:167], v[160:161]
	v_cvt_f64_i32_e32 v[166:167], v151
	s_delay_alu instid0(VALU_DEP_3) | instskip(NEXT) | instid1(VALU_DEP_3)
	v_add_f64 v[144:145], v[144:145], -v[149:150]
	v_add_f64 v[162:163], v[164:165], v[160:161]
	s_delay_alu instid0(VALU_DEP_3) | instskip(NEXT) | instid1(VALU_DEP_3)
	v_mul_f64 v[176:177], v[166:167], s[20:21]
	v_ldexp_f64 v[144:145], v[144:145], 1
	s_delay_alu instid0(VALU_DEP_3) | instskip(NEXT) | instid1(VALU_DEP_3)
	v_add_f64 v[149:150], v[162:163], -v[164:165]
	v_fma_f64 v[164:165], v[166:167], s[20:21], -v[176:177]
	s_delay_alu instid0(VALU_DEP_2) | instskip(NEXT) | instid1(VALU_DEP_2)
	v_add_f64 v[149:150], v[160:161], -v[149:150]
	v_fma_f64 v[160:161], v[166:167], s[22:23], v[164:165]
	s_delay_alu instid0(VALU_DEP_2) | instskip(NEXT) | instid1(VALU_DEP_2)
	v_add_f64 v[144:145], v[144:145], v[149:150]
	v_add_f64 v[149:150], v[176:177], v[160:161]
	s_delay_alu instid0(VALU_DEP_2) | instskip(NEXT) | instid1(VALU_DEP_2)
	v_add_f64 v[164:165], v[162:163], v[144:145]
	v_add_f64 v[176:177], v[149:150], -v[176:177]
	s_delay_alu instid0(VALU_DEP_2) | instskip(SKIP_1) | instid1(VALU_DEP_3)
	v_add_f64 v[166:167], v[149:150], v[164:165]
	v_add_f64 v[162:163], v[164:165], -v[162:163]
	v_add_f64 v[160:161], v[160:161], -v[176:177]
	s_delay_alu instid0(VALU_DEP_3) | instskip(NEXT) | instid1(VALU_DEP_3)
	v_add_f64 v[212:213], v[166:167], -v[149:150]
	v_add_f64 v[144:145], v[144:145], -v[162:163]
	s_delay_alu instid0(VALU_DEP_2) | instskip(SKIP_1) | instid1(VALU_DEP_3)
	v_add_f64 v[214:215], v[166:167], -v[212:213]
	v_add_f64 v[162:163], v[164:165], -v[212:213]
	v_add_f64 v[164:165], v[160:161], v[144:145]
	s_delay_alu instid0(VALU_DEP_3) | instskip(NEXT) | instid1(VALU_DEP_1)
	v_add_f64 v[149:150], v[149:150], -v[214:215]
	v_add_f64 v[149:150], v[162:163], v[149:150]
	s_delay_alu instid0(VALU_DEP_3) | instskip(NEXT) | instid1(VALU_DEP_2)
	v_add_f64 v[162:163], v[164:165], -v[160:161]
	v_add_f64 v[149:150], v[164:165], v[149:150]
	s_delay_alu instid0(VALU_DEP_2) | instskip(SKIP_1) | instid1(VALU_DEP_3)
	v_add_f64 v[164:165], v[164:165], -v[162:163]
	v_add_f64 v[144:145], v[144:145], -v[162:163]
	v_add_f64 v[176:177], v[166:167], v[149:150]
	s_delay_alu instid0(VALU_DEP_3) | instskip(NEXT) | instid1(VALU_DEP_2)
	v_add_f64 v[160:161], v[160:161], -v[164:165]
	v_add_f64 v[162:163], v[176:177], -v[166:167]
	s_delay_alu instid0(VALU_DEP_2) | instskip(NEXT) | instid1(VALU_DEP_2)
	v_add_f64 v[144:145], v[144:145], v[160:161]
	v_add_f64 v[149:150], v[149:150], -v[162:163]
	s_delay_alu instid0(VALU_DEP_1) | instskip(NEXT) | instid1(VALU_DEP_1)
	v_add_f64 v[144:145], v[144:145], v[149:150]
	v_add_f64 v[144:145], v[176:177], v[144:145]
	s_delay_alu instid0(VALU_DEP_1) | instskip(NEXT) | instid1(VALU_DEP_2)
	v_cndmask_b32_e64 v144, v144, v133, s17
	v_cndmask_b32_e64 v145, v145, v134, s17
	v_cmp_ngt_f64_e64 s17, -1.0, v[133:134]
	s_delay_alu instid0(VALU_DEP_1) | instskip(SKIP_1) | instid1(VALU_DEP_1)
	v_cndmask_b32_e64 v145, 0x7ff80000, v145, s17
	v_cmp_nge_f64_e64 s17, -1.0, v[133:134]
	v_cndmask_b32_e64 v144, 0, v144, s17
	v_cmp_neq_f64_e64 s17, -1.0, v[133:134]
	s_delay_alu instid0(VALU_DEP_1) | instskip(NEXT) | instid1(VALU_DEP_1)
	v_cndmask_b32_e64 v145, 0xfff00000, v145, s17
	v_add_f64 v[133:134], v[131:132], v[144:145]
.LBB36_320:
	s_or_b32 exec_lo, exec_lo, s26
	s_delay_alu instid0(VALU_DEP_1)
	v_dual_mov_b32 v144, v133 :: v_dual_mov_b32 v145, v134
	v_dual_mov_b32 v131, v133 :: v_dual_mov_b32 v132, v134
.LBB36_321:
	s_or_b32 exec_lo, exec_lo, s25
	s_delay_alu instid0(VALU_DEP_2) | instskip(NEXT) | instid1(VALU_DEP_3)
	v_mov_b32_dpp v133, v144 row_shr:2 row_mask:0xf bank_mask:0xf
	v_mov_b32_dpp v134, v145 row_shr:2 row_mask:0xf bank_mask:0xf
	s_mov_b32 s25, exec_lo
	v_cmpx_lt_u32_e32 1, v148
	s_cbranch_execz .LBB36_325
; %bb.322:
	s_delay_alu instid0(VALU_DEP_2) | instskip(SKIP_3) | instid1(VALU_DEP_3)
	v_max_f64 v[144:145], v[133:134], v[133:134]
	v_max_f64 v[149:150], v[131:132], v[131:132]
	v_cmp_u_f64_e64 s17, v[133:134], v[133:134]
	v_cmp_u_f64_e64 s18, v[131:132], v[131:132]
	v_min_f64 v[160:161], v[144:145], v[149:150]
	v_max_f64 v[144:145], v[144:145], v[149:150]
	s_delay_alu instid0(VALU_DEP_2) | instskip(NEXT) | instid1(VALU_DEP_3)
	v_cndmask_b32_e64 v149, v160, v133, s17
	v_cndmask_b32_e64 v150, v161, v134, s17
	s_delay_alu instid0(VALU_DEP_3) | instskip(NEXT) | instid1(VALU_DEP_4)
	v_cndmask_b32_e64 v151, v145, v134, s17
	v_cndmask_b32_e64 v160, v144, v133, s17
	s_delay_alu instid0(VALU_DEP_4) | instskip(NEXT) | instid1(VALU_DEP_4)
	v_cndmask_b32_e64 v144, v149, v131, s18
	v_cndmask_b32_e64 v145, v150, v132, s18
	s_delay_alu instid0(VALU_DEP_4) | instskip(NEXT) | instid1(VALU_DEP_4)
	v_cndmask_b32_e64 v132, v151, v132, s18
	v_cndmask_b32_e64 v131, v160, v131, s18
	s_delay_alu instid0(VALU_DEP_3) | instskip(NEXT) | instid1(VALU_DEP_2)
	v_cmp_class_f64_e64 s18, v[144:145], 0x1f8
	v_cmp_neq_f64_e64 s17, v[144:145], v[131:132]
	s_delay_alu instid0(VALU_DEP_1) | instskip(NEXT) | instid1(SALU_CYCLE_1)
	s_or_b32 s17, s17, s18
	s_and_saveexec_b32 s26, s17
	s_cbranch_execz .LBB36_324
; %bb.323:
	v_add_f64 v[133:134], v[144:145], -v[131:132]
	s_mov_b32 s18, 0x652b82fe
	s_mov_b32 s19, 0x3ff71547
	;; [unrolled: 1-line block ×10, first 2 shown]
	s_delay_alu instid0(VALU_DEP_1) | instskip(SKIP_3) | instid1(VALU_DEP_2)
	v_mul_f64 v[144:145], v[133:134], s[18:19]
	s_mov_b32 s18, 0xfca7ab0c
	s_mov_b32 s19, 0x3e928af3
	v_cmp_nlt_f64_e64 s17, 0x40900000, v[133:134]
	v_rndne_f64_e32 v[144:145], v[144:145]
	s_delay_alu instid0(VALU_DEP_1) | instskip(SKIP_2) | instid1(VALU_DEP_2)
	v_fma_f64 v[149:150], v[144:145], s[20:21], v[133:134]
	v_cvt_i32_f64_e32 v151, v[144:145]
	s_mov_b32 s21, 0x3fe62e42
	v_fma_f64 v[149:150], v[144:145], s[22:23], v[149:150]
	s_mov_b32 s23, 0x3c7abc9e
	s_delay_alu instid0(VALU_DEP_1) | instskip(SKIP_4) | instid1(VALU_DEP_1)
	v_fma_f64 v[160:161], v[149:150], s[28:29], s[18:19]
	s_mov_b32 s18, 0x623fde64
	s_mov_b32 s19, 0x3ec71dee
	;; [unrolled: 1-line block ×4, first 2 shown]
	v_fma_f64 v[160:161], v[149:150], v[160:161], s[18:19]
	s_mov_b32 s18, 0x7c89e6b0
	s_mov_b32 s19, 0x3efa0199
	s_delay_alu instid0(VALU_DEP_1) | instid1(SALU_CYCLE_1)
	v_fma_f64 v[160:161], v[149:150], v[160:161], s[18:19]
	s_mov_b32 s18, 0x14761f6e
	s_mov_b32 s19, 0x3f2a01a0
	s_delay_alu instid0(VALU_DEP_1) | instid1(SALU_CYCLE_1)
	v_fma_f64 v[160:161], v[149:150], v[160:161], s[18:19]
	s_mov_b32 s18, 0x1852b7b0
	s_mov_b32 s19, 0x3f56c16c
	s_delay_alu instid0(VALU_DEP_1) | instid1(SALU_CYCLE_1)
	v_fma_f64 v[160:161], v[149:150], v[160:161], s[18:19]
	s_mov_b32 s18, 0x11122322
	s_mov_b32 s19, 0x3f811111
	s_delay_alu instid0(VALU_DEP_1) | instid1(SALU_CYCLE_1)
	v_fma_f64 v[160:161], v[149:150], v[160:161], s[18:19]
	s_mov_b32 s18, 0x555502a1
	s_mov_b32 s19, 0x3fa55555
	s_delay_alu instid0(VALU_DEP_1) | instid1(SALU_CYCLE_1)
	v_fma_f64 v[160:161], v[149:150], v[160:161], s[18:19]
	s_mov_b32 s18, 0x55555511
	s_mov_b32 s19, 0x3fc55555
	s_delay_alu instid0(VALU_DEP_1) | instid1(SALU_CYCLE_1)
	v_fma_f64 v[160:161], v[149:150], v[160:161], s[18:19]
	s_mov_b32 s18, 11
	s_mov_b32 s19, 0x3fe00000
	s_delay_alu instid0(VALU_DEP_1) | instid1(SALU_CYCLE_1)
	v_fma_f64 v[160:161], v[149:150], v[160:161], s[18:19]
	v_cmp_ngt_f64_e64 s18, 0xc090cc00, v[133:134]
	s_mov_b32 s19, 0x3fe55555
	s_delay_alu instid0(VALU_DEP_2) | instskip(NEXT) | instid1(VALU_DEP_1)
	v_fma_f64 v[160:161], v[149:150], v[160:161], 1.0
	v_fma_f64 v[144:145], v[149:150], v[160:161], 1.0
	s_delay_alu instid0(VALU_DEP_1) | instskip(NEXT) | instid1(VALU_DEP_1)
	v_ldexp_f64 v[144:145], v[144:145], v151
	v_cndmask_b32_e64 v145, 0x7ff00000, v145, s17
	s_and_b32 s17, s18, s17
	s_delay_alu instid0(VALU_DEP_2) | instid1(SALU_CYCLE_1)
	v_cndmask_b32_e64 v133, 0, v144, s17
	s_delay_alu instid0(VALU_DEP_2) | instskip(SKIP_1) | instid1(VALU_DEP_1)
	v_cndmask_b32_e64 v134, 0, v145, s18
	s_mov_b32 s18, 0x55555555
	v_add_f64 v[144:145], v[133:134], 1.0
	s_delay_alu instid0(VALU_DEP_1) | instskip(SKIP_2) | instid1(VALU_DEP_3)
	v_frexp_mant_f64_e32 v[149:150], v[144:145]
	v_frexp_exp_i32_f64_e32 v151, v[144:145]
	v_add_f64 v[160:161], v[144:145], -1.0
	v_cmp_gt_f64_e64 s17, s[18:19], v[149:150]
	s_mov_b32 s18, 0x55555780
	s_delay_alu instid0(VALU_DEP_2) | instskip(SKIP_1) | instid1(VALU_DEP_3)
	v_add_f64 v[149:150], v[160:161], -v[144:145]
	v_add_f64 v[160:161], v[133:134], -v[160:161]
	v_subrev_co_ci_u32_e64 v151, s17, 0, v151, s17
	s_delay_alu instid0(VALU_DEP_3) | instskip(SKIP_1) | instid1(VALU_DEP_3)
	v_add_f64 v[149:150], v[149:150], 1.0
	v_cmp_eq_f64_e64 s17, 0x7ff00000, v[133:134]
	v_sub_nc_u32_e32 v164, 0, v151
	s_delay_alu instid0(VALU_DEP_1) | instskip(NEXT) | instid1(VALU_DEP_4)
	v_ldexp_f64 v[144:145], v[144:145], v164
	v_add_f64 v[149:150], v[160:161], v[149:150]
	s_delay_alu instid0(VALU_DEP_2) | instskip(SKIP_1) | instid1(VALU_DEP_3)
	v_add_f64 v[162:163], v[144:145], 1.0
	v_add_f64 v[176:177], v[144:145], -1.0
	v_ldexp_f64 v[149:150], v[149:150], v164
	s_delay_alu instid0(VALU_DEP_3) | instskip(NEXT) | instid1(VALU_DEP_3)
	v_add_f64 v[160:161], v[162:163], -1.0
	v_add_f64 v[212:213], v[176:177], 1.0
	s_delay_alu instid0(VALU_DEP_2) | instskip(NEXT) | instid1(VALU_DEP_2)
	v_add_f64 v[160:161], v[144:145], -v[160:161]
	v_add_f64 v[144:145], v[144:145], -v[212:213]
	s_delay_alu instid0(VALU_DEP_2) | instskip(NEXT) | instid1(VALU_DEP_2)
	v_add_f64 v[160:161], v[149:150], v[160:161]
	v_add_f64 v[144:145], v[149:150], v[144:145]
	s_delay_alu instid0(VALU_DEP_2) | instskip(NEXT) | instid1(VALU_DEP_2)
	v_add_f64 v[164:165], v[162:163], v[160:161]
	v_add_f64 v[212:213], v[176:177], v[144:145]
	s_delay_alu instid0(VALU_DEP_2) | instskip(SKIP_1) | instid1(VALU_DEP_2)
	v_rcp_f64_e32 v[166:167], v[164:165]
	v_add_f64 v[162:163], v[164:165], -v[162:163]
	v_add_f64 v[176:177], v[212:213], -v[176:177]
	s_delay_alu instid0(VALU_DEP_2) | instskip(SKIP_3) | instid1(VALU_DEP_2)
	v_add_f64 v[160:161], v[160:161], -v[162:163]
	s_waitcnt_depctr 0xfff
	v_fma_f64 v[214:215], -v[164:165], v[166:167], 1.0
	v_add_f64 v[144:145], v[144:145], -v[176:177]
	v_fma_f64 v[166:167], v[214:215], v[166:167], v[166:167]
	s_delay_alu instid0(VALU_DEP_1) | instskip(NEXT) | instid1(VALU_DEP_1)
	v_fma_f64 v[149:150], -v[164:165], v[166:167], 1.0
	v_fma_f64 v[149:150], v[149:150], v[166:167], v[166:167]
	s_delay_alu instid0(VALU_DEP_1) | instskip(NEXT) | instid1(VALU_DEP_1)
	v_mul_f64 v[166:167], v[212:213], v[149:150]
	v_mul_f64 v[214:215], v[164:165], v[166:167]
	s_delay_alu instid0(VALU_DEP_1) | instskip(NEXT) | instid1(VALU_DEP_1)
	v_fma_f64 v[162:163], v[166:167], v[164:165], -v[214:215]
	v_fma_f64 v[162:163], v[166:167], v[160:161], v[162:163]
	s_delay_alu instid0(VALU_DEP_1) | instskip(NEXT) | instid1(VALU_DEP_1)
	v_add_f64 v[224:225], v[214:215], v[162:163]
	v_add_f64 v[226:227], v[212:213], -v[224:225]
	v_add_f64 v[176:177], v[224:225], -v[214:215]
	s_delay_alu instid0(VALU_DEP_2) | instskip(NEXT) | instid1(VALU_DEP_2)
	v_add_f64 v[212:213], v[212:213], -v[226:227]
	v_add_f64 v[162:163], v[176:177], -v[162:163]
	s_delay_alu instid0(VALU_DEP_2) | instskip(NEXT) | instid1(VALU_DEP_1)
	v_add_f64 v[212:213], v[212:213], -v[224:225]
	v_add_f64 v[144:145], v[144:145], v[212:213]
	s_delay_alu instid0(VALU_DEP_1) | instskip(NEXT) | instid1(VALU_DEP_1)
	v_add_f64 v[144:145], v[162:163], v[144:145]
	v_add_f64 v[162:163], v[226:227], v[144:145]
	s_delay_alu instid0(VALU_DEP_1) | instskip(SKIP_1) | instid1(VALU_DEP_2)
	v_mul_f64 v[176:177], v[149:150], v[162:163]
	v_add_f64 v[224:225], v[226:227], -v[162:163]
	v_mul_f64 v[212:213], v[164:165], v[176:177]
	s_delay_alu instid0(VALU_DEP_2) | instskip(NEXT) | instid1(VALU_DEP_2)
	v_add_f64 v[144:145], v[144:145], v[224:225]
	v_fma_f64 v[164:165], v[176:177], v[164:165], -v[212:213]
	s_delay_alu instid0(VALU_DEP_1) | instskip(NEXT) | instid1(VALU_DEP_1)
	v_fma_f64 v[160:161], v[176:177], v[160:161], v[164:165]
	v_add_f64 v[164:165], v[212:213], v[160:161]
	s_delay_alu instid0(VALU_DEP_1) | instskip(SKIP_1) | instid1(VALU_DEP_2)
	v_add_f64 v[214:215], v[162:163], -v[164:165]
	v_add_f64 v[212:213], v[164:165], -v[212:213]
	;; [unrolled: 1-line block ×3, first 2 shown]
	s_delay_alu instid0(VALU_DEP_2) | instskip(NEXT) | instid1(VALU_DEP_2)
	v_add_f64 v[160:161], v[212:213], -v[160:161]
	v_add_f64 v[162:163], v[162:163], -v[164:165]
	s_delay_alu instid0(VALU_DEP_1) | instskip(SKIP_1) | instid1(VALU_DEP_2)
	v_add_f64 v[144:145], v[144:145], v[162:163]
	v_add_f64 v[162:163], v[166:167], v[176:177]
	;; [unrolled: 1-line block ×3, first 2 shown]
	s_delay_alu instid0(VALU_DEP_2) | instskip(NEXT) | instid1(VALU_DEP_2)
	v_add_f64 v[160:161], v[162:163], -v[166:167]
	v_add_f64 v[144:145], v[214:215], v[144:145]
	s_delay_alu instid0(VALU_DEP_2) | instskip(NEXT) | instid1(VALU_DEP_2)
	v_add_f64 v[160:161], v[176:177], -v[160:161]
	v_mul_f64 v[144:145], v[149:150], v[144:145]
	s_delay_alu instid0(VALU_DEP_1) | instskip(NEXT) | instid1(VALU_DEP_1)
	v_add_f64 v[144:145], v[160:161], v[144:145]
	v_add_f64 v[149:150], v[162:163], v[144:145]
	s_delay_alu instid0(VALU_DEP_1) | instskip(NEXT) | instid1(VALU_DEP_1)
	v_mul_f64 v[160:161], v[149:150], v[149:150]
	v_fma_f64 v[164:165], v[160:161], s[30:31], s[28:29]
	s_mov_b32 s28, 0xd7f4df2e
	s_mov_b32 s29, 0x3fc7474d
	v_mul_f64 v[166:167], v[149:150], v[160:161]
	s_delay_alu instid0(VALU_DEP_2)
	v_fma_f64 v[164:165], v[160:161], v[164:165], s[28:29]
	s_mov_b32 s28, 0x16291751
	s_mov_b32 s29, 0x3fcc71c0
	s_delay_alu instid0(VALU_DEP_1) | instid1(SALU_CYCLE_1)
	v_fma_f64 v[164:165], v[160:161], v[164:165], s[28:29]
	s_mov_b32 s28, 0x9b27acf1
	s_mov_b32 s29, 0x3fd24924
	s_delay_alu instid0(VALU_DEP_1) | instid1(SALU_CYCLE_1)
	;; [unrolled: 4-line block ×3, first 2 shown]
	v_fma_f64 v[164:165], v[160:161], v[164:165], s[28:29]
	s_delay_alu instid0(VALU_DEP_1) | instskip(SKIP_2) | instid1(VALU_DEP_3)
	v_fma_f64 v[160:161], v[160:161], v[164:165], s[18:19]
	v_ldexp_f64 v[164:165], v[149:150], 1
	v_add_f64 v[149:150], v[149:150], -v[162:163]
	v_mul_f64 v[160:161], v[166:167], v[160:161]
	v_cvt_f64_i32_e32 v[166:167], v151
	s_delay_alu instid0(VALU_DEP_3) | instskip(NEXT) | instid1(VALU_DEP_3)
	v_add_f64 v[144:145], v[144:145], -v[149:150]
	v_add_f64 v[162:163], v[164:165], v[160:161]
	s_delay_alu instid0(VALU_DEP_3) | instskip(NEXT) | instid1(VALU_DEP_3)
	v_mul_f64 v[176:177], v[166:167], s[20:21]
	v_ldexp_f64 v[144:145], v[144:145], 1
	s_delay_alu instid0(VALU_DEP_3) | instskip(NEXT) | instid1(VALU_DEP_3)
	v_add_f64 v[149:150], v[162:163], -v[164:165]
	v_fma_f64 v[164:165], v[166:167], s[20:21], -v[176:177]
	s_delay_alu instid0(VALU_DEP_2) | instskip(NEXT) | instid1(VALU_DEP_2)
	v_add_f64 v[149:150], v[160:161], -v[149:150]
	v_fma_f64 v[160:161], v[166:167], s[22:23], v[164:165]
	s_delay_alu instid0(VALU_DEP_2) | instskip(NEXT) | instid1(VALU_DEP_2)
	v_add_f64 v[144:145], v[144:145], v[149:150]
	v_add_f64 v[149:150], v[176:177], v[160:161]
	s_delay_alu instid0(VALU_DEP_2) | instskip(NEXT) | instid1(VALU_DEP_2)
	v_add_f64 v[164:165], v[162:163], v[144:145]
	v_add_f64 v[176:177], v[149:150], -v[176:177]
	s_delay_alu instid0(VALU_DEP_2) | instskip(SKIP_1) | instid1(VALU_DEP_3)
	v_add_f64 v[166:167], v[149:150], v[164:165]
	v_add_f64 v[162:163], v[164:165], -v[162:163]
	v_add_f64 v[160:161], v[160:161], -v[176:177]
	s_delay_alu instid0(VALU_DEP_3) | instskip(NEXT) | instid1(VALU_DEP_3)
	v_add_f64 v[212:213], v[166:167], -v[149:150]
	v_add_f64 v[144:145], v[144:145], -v[162:163]
	s_delay_alu instid0(VALU_DEP_2) | instskip(SKIP_1) | instid1(VALU_DEP_3)
	v_add_f64 v[214:215], v[166:167], -v[212:213]
	v_add_f64 v[162:163], v[164:165], -v[212:213]
	v_add_f64 v[164:165], v[160:161], v[144:145]
	s_delay_alu instid0(VALU_DEP_3) | instskip(NEXT) | instid1(VALU_DEP_1)
	v_add_f64 v[149:150], v[149:150], -v[214:215]
	v_add_f64 v[149:150], v[162:163], v[149:150]
	s_delay_alu instid0(VALU_DEP_3) | instskip(NEXT) | instid1(VALU_DEP_2)
	v_add_f64 v[162:163], v[164:165], -v[160:161]
	v_add_f64 v[149:150], v[164:165], v[149:150]
	s_delay_alu instid0(VALU_DEP_2) | instskip(SKIP_1) | instid1(VALU_DEP_3)
	v_add_f64 v[164:165], v[164:165], -v[162:163]
	v_add_f64 v[144:145], v[144:145], -v[162:163]
	v_add_f64 v[176:177], v[166:167], v[149:150]
	s_delay_alu instid0(VALU_DEP_3) | instskip(NEXT) | instid1(VALU_DEP_2)
	v_add_f64 v[160:161], v[160:161], -v[164:165]
	v_add_f64 v[162:163], v[176:177], -v[166:167]
	s_delay_alu instid0(VALU_DEP_2) | instskip(NEXT) | instid1(VALU_DEP_2)
	v_add_f64 v[144:145], v[144:145], v[160:161]
	v_add_f64 v[149:150], v[149:150], -v[162:163]
	s_delay_alu instid0(VALU_DEP_1) | instskip(NEXT) | instid1(VALU_DEP_1)
	v_add_f64 v[144:145], v[144:145], v[149:150]
	v_add_f64 v[144:145], v[176:177], v[144:145]
	s_delay_alu instid0(VALU_DEP_1) | instskip(NEXT) | instid1(VALU_DEP_2)
	v_cndmask_b32_e64 v144, v144, v133, s17
	v_cndmask_b32_e64 v145, v145, v134, s17
	v_cmp_ngt_f64_e64 s17, -1.0, v[133:134]
	s_delay_alu instid0(VALU_DEP_1) | instskip(SKIP_1) | instid1(VALU_DEP_1)
	v_cndmask_b32_e64 v145, 0x7ff80000, v145, s17
	v_cmp_nge_f64_e64 s17, -1.0, v[133:134]
	v_cndmask_b32_e64 v144, 0, v144, s17
	v_cmp_neq_f64_e64 s17, -1.0, v[133:134]
	s_delay_alu instid0(VALU_DEP_1) | instskip(NEXT) | instid1(VALU_DEP_1)
	v_cndmask_b32_e64 v145, 0xfff00000, v145, s17
	v_add_f64 v[133:134], v[131:132], v[144:145]
.LBB36_324:
	s_or_b32 exec_lo, exec_lo, s26
	s_delay_alu instid0(VALU_DEP_1)
	v_dual_mov_b32 v144, v133 :: v_dual_mov_b32 v145, v134
	v_dual_mov_b32 v131, v133 :: v_dual_mov_b32 v132, v134
.LBB36_325:
	s_or_b32 exec_lo, exec_lo, s25
	s_delay_alu instid0(VALU_DEP_2) | instskip(NEXT) | instid1(VALU_DEP_3)
	v_mov_b32_dpp v133, v144 row_shr:4 row_mask:0xf bank_mask:0xf
	v_mov_b32_dpp v134, v145 row_shr:4 row_mask:0xf bank_mask:0xf
	s_mov_b32 s25, exec_lo
	v_cmpx_lt_u32_e32 3, v148
	s_cbranch_execz .LBB36_329
; %bb.326:
	s_delay_alu instid0(VALU_DEP_2) | instskip(SKIP_3) | instid1(VALU_DEP_3)
	v_max_f64 v[144:145], v[133:134], v[133:134]
	v_max_f64 v[148:149], v[131:132], v[131:132]
	v_cmp_u_f64_e64 s17, v[133:134], v[133:134]
	v_cmp_u_f64_e64 s18, v[131:132], v[131:132]
	v_min_f64 v[150:151], v[144:145], v[148:149]
	v_max_f64 v[144:145], v[144:145], v[148:149]
	s_delay_alu instid0(VALU_DEP_2) | instskip(NEXT) | instid1(VALU_DEP_3)
	v_cndmask_b32_e64 v148, v150, v133, s17
	v_cndmask_b32_e64 v149, v151, v134, s17
	s_delay_alu instid0(VALU_DEP_3) | instskip(NEXT) | instid1(VALU_DEP_4)
	v_cndmask_b32_e64 v150, v145, v134, s17
	v_cndmask_b32_e64 v151, v144, v133, s17
	s_delay_alu instid0(VALU_DEP_4) | instskip(NEXT) | instid1(VALU_DEP_4)
	v_cndmask_b32_e64 v144, v148, v131, s18
	v_cndmask_b32_e64 v145, v149, v132, s18
	s_delay_alu instid0(VALU_DEP_4) | instskip(NEXT) | instid1(VALU_DEP_4)
	v_cndmask_b32_e64 v132, v150, v132, s18
	v_cndmask_b32_e64 v131, v151, v131, s18
	s_delay_alu instid0(VALU_DEP_3) | instskip(NEXT) | instid1(VALU_DEP_2)
	v_cmp_class_f64_e64 s18, v[144:145], 0x1f8
	v_cmp_neq_f64_e64 s17, v[144:145], v[131:132]
	s_delay_alu instid0(VALU_DEP_1) | instskip(NEXT) | instid1(SALU_CYCLE_1)
	s_or_b32 s17, s17, s18
	s_and_saveexec_b32 s26, s17
	s_cbranch_execz .LBB36_328
; %bb.327:
	v_add_f64 v[133:134], v[144:145], -v[131:132]
	s_mov_b32 s18, 0x652b82fe
	s_mov_b32 s19, 0x3ff71547
	;; [unrolled: 1-line block ×10, first 2 shown]
	s_delay_alu instid0(VALU_DEP_1) | instskip(SKIP_3) | instid1(VALU_DEP_2)
	v_mul_f64 v[144:145], v[133:134], s[18:19]
	s_mov_b32 s18, 0xfca7ab0c
	s_mov_b32 s19, 0x3e928af3
	v_cmp_nlt_f64_e64 s17, 0x40900000, v[133:134]
	v_rndne_f64_e32 v[144:145], v[144:145]
	s_delay_alu instid0(VALU_DEP_1) | instskip(SKIP_2) | instid1(VALU_DEP_2)
	v_fma_f64 v[148:149], v[144:145], s[20:21], v[133:134]
	v_cvt_i32_f64_e32 v160, v[144:145]
	s_mov_b32 s21, 0x3fe62e42
	v_fma_f64 v[148:149], v[144:145], s[22:23], v[148:149]
	s_mov_b32 s23, 0x3c7abc9e
	s_delay_alu instid0(VALU_DEP_1) | instskip(SKIP_4) | instid1(VALU_DEP_1)
	v_fma_f64 v[150:151], v[148:149], s[28:29], s[18:19]
	s_mov_b32 s18, 0x623fde64
	s_mov_b32 s19, 0x3ec71dee
	;; [unrolled: 1-line block ×4, first 2 shown]
	v_fma_f64 v[150:151], v[148:149], v[150:151], s[18:19]
	s_mov_b32 s18, 0x7c89e6b0
	s_mov_b32 s19, 0x3efa0199
	s_delay_alu instid0(VALU_DEP_1) | instid1(SALU_CYCLE_1)
	v_fma_f64 v[150:151], v[148:149], v[150:151], s[18:19]
	s_mov_b32 s18, 0x14761f6e
	s_mov_b32 s19, 0x3f2a01a0
	s_delay_alu instid0(VALU_DEP_1) | instid1(SALU_CYCLE_1)
	v_fma_f64 v[150:151], v[148:149], v[150:151], s[18:19]
	s_mov_b32 s18, 0x1852b7b0
	s_mov_b32 s19, 0x3f56c16c
	s_delay_alu instid0(VALU_DEP_1) | instid1(SALU_CYCLE_1)
	v_fma_f64 v[150:151], v[148:149], v[150:151], s[18:19]
	s_mov_b32 s18, 0x11122322
	s_mov_b32 s19, 0x3f811111
	s_delay_alu instid0(VALU_DEP_1) | instid1(SALU_CYCLE_1)
	v_fma_f64 v[150:151], v[148:149], v[150:151], s[18:19]
	s_mov_b32 s18, 0x555502a1
	s_mov_b32 s19, 0x3fa55555
	s_delay_alu instid0(VALU_DEP_1) | instid1(SALU_CYCLE_1)
	v_fma_f64 v[150:151], v[148:149], v[150:151], s[18:19]
	s_mov_b32 s18, 0x55555511
	s_mov_b32 s19, 0x3fc55555
	s_delay_alu instid0(VALU_DEP_1) | instid1(SALU_CYCLE_1)
	v_fma_f64 v[150:151], v[148:149], v[150:151], s[18:19]
	s_mov_b32 s18, 11
	s_mov_b32 s19, 0x3fe00000
	s_delay_alu instid0(VALU_DEP_1) | instid1(SALU_CYCLE_1)
	v_fma_f64 v[150:151], v[148:149], v[150:151], s[18:19]
	v_cmp_ngt_f64_e64 s18, 0xc090cc00, v[133:134]
	s_mov_b32 s19, 0x3fe55555
	s_delay_alu instid0(VALU_DEP_2) | instskip(NEXT) | instid1(VALU_DEP_1)
	v_fma_f64 v[150:151], v[148:149], v[150:151], 1.0
	v_fma_f64 v[144:145], v[148:149], v[150:151], 1.0
	s_delay_alu instid0(VALU_DEP_1) | instskip(NEXT) | instid1(VALU_DEP_1)
	v_ldexp_f64 v[144:145], v[144:145], v160
	v_cndmask_b32_e64 v145, 0x7ff00000, v145, s17
	s_and_b32 s17, s18, s17
	s_delay_alu instid0(VALU_DEP_2) | instid1(SALU_CYCLE_1)
	v_cndmask_b32_e64 v133, 0, v144, s17
	s_delay_alu instid0(VALU_DEP_2) | instskip(SKIP_1) | instid1(VALU_DEP_1)
	v_cndmask_b32_e64 v134, 0, v145, s18
	s_mov_b32 s18, 0x55555555
	v_add_f64 v[144:145], v[133:134], 1.0
	s_delay_alu instid0(VALU_DEP_1) | instskip(SKIP_2) | instid1(VALU_DEP_3)
	v_frexp_mant_f64_e32 v[148:149], v[144:145]
	v_frexp_exp_i32_f64_e32 v160, v[144:145]
	v_add_f64 v[150:151], v[144:145], -1.0
	v_cmp_gt_f64_e64 s17, s[18:19], v[148:149]
	s_mov_b32 s18, 0x55555780
	s_delay_alu instid0(VALU_DEP_2) | instskip(SKIP_1) | instid1(VALU_DEP_3)
	v_add_f64 v[148:149], v[150:151], -v[144:145]
	v_add_f64 v[150:151], v[133:134], -v[150:151]
	v_subrev_co_ci_u32_e64 v226, s17, 0, v160, s17
	s_delay_alu instid0(VALU_DEP_3) | instskip(SKIP_1) | instid1(VALU_DEP_3)
	v_add_f64 v[148:149], v[148:149], 1.0
	v_cmp_eq_f64_e64 s17, 0x7ff00000, v[133:134]
	v_sub_nc_u32_e32 v162, 0, v226
	s_delay_alu instid0(VALU_DEP_1) | instskip(NEXT) | instid1(VALU_DEP_4)
	v_ldexp_f64 v[144:145], v[144:145], v162
	v_add_f64 v[148:149], v[150:151], v[148:149]
	s_delay_alu instid0(VALU_DEP_2) | instskip(SKIP_1) | instid1(VALU_DEP_3)
	v_add_f64 v[160:161], v[144:145], 1.0
	v_add_f64 v[166:167], v[144:145], -1.0
	v_ldexp_f64 v[148:149], v[148:149], v162
	s_delay_alu instid0(VALU_DEP_3) | instskip(NEXT) | instid1(VALU_DEP_3)
	v_add_f64 v[150:151], v[160:161], -1.0
	v_add_f64 v[176:177], v[166:167], 1.0
	s_delay_alu instid0(VALU_DEP_2) | instskip(NEXT) | instid1(VALU_DEP_2)
	v_add_f64 v[150:151], v[144:145], -v[150:151]
	v_add_f64 v[144:145], v[144:145], -v[176:177]
	s_delay_alu instid0(VALU_DEP_2) | instskip(NEXT) | instid1(VALU_DEP_2)
	v_add_f64 v[150:151], v[148:149], v[150:151]
	v_add_f64 v[144:145], v[148:149], v[144:145]
	s_delay_alu instid0(VALU_DEP_2) | instskip(NEXT) | instid1(VALU_DEP_2)
	v_add_f64 v[162:163], v[160:161], v[150:151]
	v_add_f64 v[176:177], v[166:167], v[144:145]
	s_delay_alu instid0(VALU_DEP_2) | instskip(SKIP_1) | instid1(VALU_DEP_2)
	v_rcp_f64_e32 v[164:165], v[162:163]
	v_add_f64 v[160:161], v[162:163], -v[160:161]
	v_add_f64 v[166:167], v[176:177], -v[166:167]
	s_delay_alu instid0(VALU_DEP_2) | instskip(SKIP_3) | instid1(VALU_DEP_2)
	v_add_f64 v[150:151], v[150:151], -v[160:161]
	s_waitcnt_depctr 0xfff
	v_fma_f64 v[212:213], -v[162:163], v[164:165], 1.0
	v_add_f64 v[144:145], v[144:145], -v[166:167]
	v_fma_f64 v[164:165], v[212:213], v[164:165], v[164:165]
	s_delay_alu instid0(VALU_DEP_1) | instskip(NEXT) | instid1(VALU_DEP_1)
	v_fma_f64 v[148:149], -v[162:163], v[164:165], 1.0
	v_fma_f64 v[148:149], v[148:149], v[164:165], v[164:165]
	s_delay_alu instid0(VALU_DEP_1) | instskip(NEXT) | instid1(VALU_DEP_1)
	v_mul_f64 v[164:165], v[176:177], v[148:149]
	v_mul_f64 v[212:213], v[162:163], v[164:165]
	s_delay_alu instid0(VALU_DEP_1) | instskip(NEXT) | instid1(VALU_DEP_1)
	v_fma_f64 v[160:161], v[164:165], v[162:163], -v[212:213]
	v_fma_f64 v[160:161], v[164:165], v[150:151], v[160:161]
	s_delay_alu instid0(VALU_DEP_1) | instskip(NEXT) | instid1(VALU_DEP_1)
	v_add_f64 v[214:215], v[212:213], v[160:161]
	v_add_f64 v[224:225], v[176:177], -v[214:215]
	v_add_f64 v[166:167], v[214:215], -v[212:213]
	s_delay_alu instid0(VALU_DEP_2) | instskip(NEXT) | instid1(VALU_DEP_2)
	v_add_f64 v[176:177], v[176:177], -v[224:225]
	v_add_f64 v[160:161], v[166:167], -v[160:161]
	s_delay_alu instid0(VALU_DEP_2) | instskip(NEXT) | instid1(VALU_DEP_1)
	v_add_f64 v[176:177], v[176:177], -v[214:215]
	v_add_f64 v[144:145], v[144:145], v[176:177]
	s_delay_alu instid0(VALU_DEP_1) | instskip(NEXT) | instid1(VALU_DEP_1)
	v_add_f64 v[144:145], v[160:161], v[144:145]
	v_add_f64 v[160:161], v[224:225], v[144:145]
	s_delay_alu instid0(VALU_DEP_1) | instskip(SKIP_1) | instid1(VALU_DEP_2)
	v_mul_f64 v[166:167], v[148:149], v[160:161]
	v_add_f64 v[214:215], v[224:225], -v[160:161]
	v_mul_f64 v[176:177], v[162:163], v[166:167]
	s_delay_alu instid0(VALU_DEP_2) | instskip(NEXT) | instid1(VALU_DEP_2)
	v_add_f64 v[144:145], v[144:145], v[214:215]
	v_fma_f64 v[162:163], v[166:167], v[162:163], -v[176:177]
	s_delay_alu instid0(VALU_DEP_1) | instskip(NEXT) | instid1(VALU_DEP_1)
	v_fma_f64 v[150:151], v[166:167], v[150:151], v[162:163]
	v_add_f64 v[162:163], v[176:177], v[150:151]
	s_delay_alu instid0(VALU_DEP_1) | instskip(SKIP_1) | instid1(VALU_DEP_2)
	v_add_f64 v[212:213], v[160:161], -v[162:163]
	v_add_f64 v[176:177], v[162:163], -v[176:177]
	;; [unrolled: 1-line block ×3, first 2 shown]
	s_delay_alu instid0(VALU_DEP_2) | instskip(NEXT) | instid1(VALU_DEP_2)
	v_add_f64 v[150:151], v[176:177], -v[150:151]
	v_add_f64 v[160:161], v[160:161], -v[162:163]
	s_delay_alu instid0(VALU_DEP_1) | instskip(SKIP_1) | instid1(VALU_DEP_2)
	v_add_f64 v[144:145], v[144:145], v[160:161]
	v_add_f64 v[160:161], v[164:165], v[166:167]
	;; [unrolled: 1-line block ×3, first 2 shown]
	s_delay_alu instid0(VALU_DEP_2) | instskip(NEXT) | instid1(VALU_DEP_2)
	v_add_f64 v[150:151], v[160:161], -v[164:165]
	v_add_f64 v[144:145], v[212:213], v[144:145]
	s_delay_alu instid0(VALU_DEP_2) | instskip(NEXT) | instid1(VALU_DEP_2)
	v_add_f64 v[150:151], v[166:167], -v[150:151]
	v_mul_f64 v[144:145], v[148:149], v[144:145]
	s_delay_alu instid0(VALU_DEP_1) | instskip(NEXT) | instid1(VALU_DEP_1)
	v_add_f64 v[144:145], v[150:151], v[144:145]
	v_add_f64 v[148:149], v[160:161], v[144:145]
	s_delay_alu instid0(VALU_DEP_1) | instskip(NEXT) | instid1(VALU_DEP_1)
	v_mul_f64 v[150:151], v[148:149], v[148:149]
	v_fma_f64 v[162:163], v[150:151], s[30:31], s[28:29]
	s_mov_b32 s28, 0xd7f4df2e
	s_mov_b32 s29, 0x3fc7474d
	v_mul_f64 v[164:165], v[148:149], v[150:151]
	s_delay_alu instid0(VALU_DEP_2)
	v_fma_f64 v[162:163], v[150:151], v[162:163], s[28:29]
	s_mov_b32 s28, 0x16291751
	s_mov_b32 s29, 0x3fcc71c0
	s_delay_alu instid0(VALU_DEP_1) | instid1(SALU_CYCLE_1)
	v_fma_f64 v[162:163], v[150:151], v[162:163], s[28:29]
	s_mov_b32 s28, 0x9b27acf1
	s_mov_b32 s29, 0x3fd24924
	s_delay_alu instid0(VALU_DEP_1) | instid1(SALU_CYCLE_1)
	;; [unrolled: 4-line block ×3, first 2 shown]
	v_fma_f64 v[162:163], v[150:151], v[162:163], s[28:29]
	s_delay_alu instid0(VALU_DEP_1) | instskip(SKIP_2) | instid1(VALU_DEP_3)
	v_fma_f64 v[150:151], v[150:151], v[162:163], s[18:19]
	v_ldexp_f64 v[162:163], v[148:149], 1
	v_add_f64 v[148:149], v[148:149], -v[160:161]
	v_mul_f64 v[150:151], v[164:165], v[150:151]
	v_cvt_f64_i32_e32 v[164:165], v226
	s_delay_alu instid0(VALU_DEP_3) | instskip(NEXT) | instid1(VALU_DEP_3)
	v_add_f64 v[144:145], v[144:145], -v[148:149]
	v_add_f64 v[160:161], v[162:163], v[150:151]
	s_delay_alu instid0(VALU_DEP_3) | instskip(NEXT) | instid1(VALU_DEP_3)
	v_mul_f64 v[166:167], v[164:165], s[20:21]
	v_ldexp_f64 v[144:145], v[144:145], 1
	s_delay_alu instid0(VALU_DEP_3) | instskip(NEXT) | instid1(VALU_DEP_3)
	v_add_f64 v[148:149], v[160:161], -v[162:163]
	v_fma_f64 v[162:163], v[164:165], s[20:21], -v[166:167]
	s_delay_alu instid0(VALU_DEP_2) | instskip(NEXT) | instid1(VALU_DEP_2)
	v_add_f64 v[148:149], v[150:151], -v[148:149]
	v_fma_f64 v[150:151], v[164:165], s[22:23], v[162:163]
	s_delay_alu instid0(VALU_DEP_2) | instskip(NEXT) | instid1(VALU_DEP_2)
	v_add_f64 v[144:145], v[144:145], v[148:149]
	v_add_f64 v[148:149], v[166:167], v[150:151]
	s_delay_alu instid0(VALU_DEP_2) | instskip(NEXT) | instid1(VALU_DEP_2)
	v_add_f64 v[162:163], v[160:161], v[144:145]
	v_add_f64 v[166:167], v[148:149], -v[166:167]
	s_delay_alu instid0(VALU_DEP_2) | instskip(SKIP_1) | instid1(VALU_DEP_3)
	v_add_f64 v[164:165], v[148:149], v[162:163]
	v_add_f64 v[160:161], v[162:163], -v[160:161]
	v_add_f64 v[150:151], v[150:151], -v[166:167]
	s_delay_alu instid0(VALU_DEP_3) | instskip(NEXT) | instid1(VALU_DEP_3)
	v_add_f64 v[176:177], v[164:165], -v[148:149]
	v_add_f64 v[144:145], v[144:145], -v[160:161]
	s_delay_alu instid0(VALU_DEP_2) | instskip(SKIP_1) | instid1(VALU_DEP_3)
	v_add_f64 v[212:213], v[164:165], -v[176:177]
	v_add_f64 v[160:161], v[162:163], -v[176:177]
	v_add_f64 v[162:163], v[150:151], v[144:145]
	s_delay_alu instid0(VALU_DEP_3) | instskip(NEXT) | instid1(VALU_DEP_1)
	v_add_f64 v[148:149], v[148:149], -v[212:213]
	v_add_f64 v[148:149], v[160:161], v[148:149]
	s_delay_alu instid0(VALU_DEP_3) | instskip(NEXT) | instid1(VALU_DEP_2)
	v_add_f64 v[160:161], v[162:163], -v[150:151]
	v_add_f64 v[148:149], v[162:163], v[148:149]
	s_delay_alu instid0(VALU_DEP_2) | instskip(SKIP_1) | instid1(VALU_DEP_3)
	v_add_f64 v[162:163], v[162:163], -v[160:161]
	v_add_f64 v[144:145], v[144:145], -v[160:161]
	v_add_f64 v[166:167], v[164:165], v[148:149]
	s_delay_alu instid0(VALU_DEP_3) | instskip(NEXT) | instid1(VALU_DEP_2)
	v_add_f64 v[150:151], v[150:151], -v[162:163]
	v_add_f64 v[160:161], v[166:167], -v[164:165]
	s_delay_alu instid0(VALU_DEP_2) | instskip(NEXT) | instid1(VALU_DEP_2)
	v_add_f64 v[144:145], v[144:145], v[150:151]
	v_add_f64 v[148:149], v[148:149], -v[160:161]
	s_delay_alu instid0(VALU_DEP_1) | instskip(NEXT) | instid1(VALU_DEP_1)
	v_add_f64 v[144:145], v[144:145], v[148:149]
	v_add_f64 v[144:145], v[166:167], v[144:145]
	s_delay_alu instid0(VALU_DEP_1) | instskip(NEXT) | instid1(VALU_DEP_2)
	v_cndmask_b32_e64 v144, v144, v133, s17
	v_cndmask_b32_e64 v145, v145, v134, s17
	v_cmp_ngt_f64_e64 s17, -1.0, v[133:134]
	s_delay_alu instid0(VALU_DEP_1) | instskip(SKIP_1) | instid1(VALU_DEP_1)
	v_cndmask_b32_e64 v145, 0x7ff80000, v145, s17
	v_cmp_nge_f64_e64 s17, -1.0, v[133:134]
	v_cndmask_b32_e64 v144, 0, v144, s17
	v_cmp_neq_f64_e64 s17, -1.0, v[133:134]
	s_delay_alu instid0(VALU_DEP_1) | instskip(NEXT) | instid1(VALU_DEP_1)
	v_cndmask_b32_e64 v145, 0xfff00000, v145, s17
	v_add_f64 v[133:134], v[131:132], v[144:145]
.LBB36_328:
	s_or_b32 exec_lo, exec_lo, s26
	s_delay_alu instid0(VALU_DEP_1)
	v_dual_mov_b32 v131, v133 :: v_dual_mov_b32 v132, v134
.LBB36_329:
	s_or_b32 exec_lo, exec_lo, s25
	ds_store_b64 v198, v[131:132]
.LBB36_330:
	s_or_b32 exec_lo, exec_lo, s24
	s_delay_alu instid0(SALU_CYCLE_1)
	s_mov_b32 s24, exec_lo
	s_waitcnt lgkmcnt(0)
	s_barrier
	buffer_gl0_inv
                                        ; implicit-def: $vgpr131_vgpr132
	v_cmpx_lt_u32_e32 31, v128
	s_cbranch_execz .LBB36_334
; %bb.331:
	v_lshl_add_u32 v131, v147, 3, -8
	v_max_f64 v[133:134], v[48:49], v[48:49]
	v_cmp_u_f64_e64 s18, v[48:49], v[48:49]
	ds_load_b64 v[131:132], v131
	s_waitcnt lgkmcnt(0)
	v_max_f64 v[144:145], v[131:132], v[131:132]
	v_cmp_u_f64_e64 s17, v[131:132], v[131:132]
	s_delay_alu instid0(VALU_DEP_2) | instskip(SKIP_1) | instid1(VALU_DEP_2)
	v_min_f64 v[147:148], v[144:145], v[133:134]
	v_max_f64 v[133:134], v[144:145], v[133:134]
	v_cndmask_b32_e64 v144, v147, v131, s17
	s_delay_alu instid0(VALU_DEP_3) | instskip(NEXT) | instid1(VALU_DEP_3)
	v_cndmask_b32_e64 v145, v148, v132, s17
	v_cndmask_b32_e64 v134, v134, v132, s17
	s_delay_alu instid0(VALU_DEP_4) | instskip(NEXT) | instid1(VALU_DEP_4)
	v_cndmask_b32_e64 v133, v133, v131, s17
	v_cndmask_b32_e64 v144, v144, v48, s18
	s_delay_alu instid0(VALU_DEP_4) | instskip(NEXT) | instid1(VALU_DEP_4)
	v_cndmask_b32_e64 v145, v145, v49, s18
	v_cndmask_b32_e64 v134, v134, v49, s18
	s_delay_alu instid0(VALU_DEP_4) | instskip(SKIP_1) | instid1(VALU_DEP_4)
	v_cndmask_b32_e64 v133, v133, v48, s18
	v_dual_mov_b32 v48, v131 :: v_dual_mov_b32 v49, v132
	v_cmp_class_f64_e64 s18, v[144:145], 0x1f8
	s_delay_alu instid0(VALU_DEP_3) | instskip(NEXT) | instid1(VALU_DEP_1)
	v_cmp_neq_f64_e64 s17, v[144:145], v[133:134]
	s_or_b32 s17, s17, s18
	s_delay_alu instid0(SALU_CYCLE_1)
	s_and_saveexec_b32 s25, s17
	s_cbranch_execz .LBB36_333
; %bb.332:
	v_add_f64 v[48:49], v[144:145], -v[133:134]
	s_mov_b32 s18, 0x652b82fe
	s_mov_b32 s19, 0x3ff71547
	;; [unrolled: 1-line block ×10, first 2 shown]
	s_delay_alu instid0(VALU_DEP_1) | instskip(SKIP_3) | instid1(VALU_DEP_2)
	v_mul_f64 v[144:145], v[48:49], s[18:19]
	s_mov_b32 s18, 0xfca7ab0c
	s_mov_b32 s19, 0x3e928af3
	v_cmp_nlt_f64_e64 s17, 0x40900000, v[48:49]
	v_rndne_f64_e32 v[144:145], v[144:145]
	s_delay_alu instid0(VALU_DEP_1) | instskip(SKIP_2) | instid1(VALU_DEP_2)
	v_fma_f64 v[147:148], v[144:145], s[20:21], v[48:49]
	v_cvt_i32_f64_e32 v151, v[144:145]
	s_mov_b32 s21, 0x3fe62e42
	v_fma_f64 v[147:148], v[144:145], s[22:23], v[147:148]
	s_mov_b32 s23, 0x3c7abc9e
	s_delay_alu instid0(VALU_DEP_1) | instskip(SKIP_4) | instid1(VALU_DEP_1)
	v_fma_f64 v[149:150], v[147:148], s[26:27], s[18:19]
	s_mov_b32 s18, 0x623fde64
	s_mov_b32 s19, 0x3ec71dee
	;; [unrolled: 1-line block ×4, first 2 shown]
	v_fma_f64 v[149:150], v[147:148], v[149:150], s[18:19]
	s_mov_b32 s18, 0x7c89e6b0
	s_mov_b32 s19, 0x3efa0199
	s_delay_alu instid0(VALU_DEP_1) | instid1(SALU_CYCLE_1)
	v_fma_f64 v[149:150], v[147:148], v[149:150], s[18:19]
	s_mov_b32 s18, 0x14761f6e
	s_mov_b32 s19, 0x3f2a01a0
	s_delay_alu instid0(VALU_DEP_1) | instid1(SALU_CYCLE_1)
	;; [unrolled: 4-line block ×7, first 2 shown]
	v_fma_f64 v[149:150], v[147:148], v[149:150], s[18:19]
	v_cmp_ngt_f64_e64 s18, 0xc090cc00, v[48:49]
	s_mov_b32 s19, 0x3fe55555
	s_delay_alu instid0(VALU_DEP_2) | instskip(NEXT) | instid1(VALU_DEP_1)
	v_fma_f64 v[149:150], v[147:148], v[149:150], 1.0
	v_fma_f64 v[144:145], v[147:148], v[149:150], 1.0
	s_delay_alu instid0(VALU_DEP_1) | instskip(NEXT) | instid1(VALU_DEP_1)
	v_ldexp_f64 v[144:145], v[144:145], v151
	v_cndmask_b32_e64 v145, 0x7ff00000, v145, s17
	s_and_b32 s17, s18, s17
	s_delay_alu instid0(VALU_DEP_2) | instid1(SALU_CYCLE_1)
	v_cndmask_b32_e64 v48, 0, v144, s17
	s_delay_alu instid0(VALU_DEP_2) | instskip(SKIP_1) | instid1(VALU_DEP_1)
	v_cndmask_b32_e64 v49, 0, v145, s18
	s_mov_b32 s18, 0x55555555
	v_add_f64 v[144:145], v[48:49], 1.0
	s_delay_alu instid0(VALU_DEP_1) | instskip(SKIP_2) | instid1(VALU_DEP_3)
	v_frexp_mant_f64_e32 v[147:148], v[144:145]
	v_frexp_exp_i32_f64_e32 v151, v[144:145]
	v_add_f64 v[149:150], v[144:145], -1.0
	v_cmp_gt_f64_e64 s17, s[18:19], v[147:148]
	s_mov_b32 s18, 0x55555780
	s_delay_alu instid0(VALU_DEP_2) | instskip(SKIP_1) | instid1(VALU_DEP_3)
	v_add_f64 v[147:148], v[149:150], -v[144:145]
	v_add_f64 v[149:150], v[48:49], -v[149:150]
	v_subrev_co_ci_u32_e64 v151, s17, 0, v151, s17
	s_delay_alu instid0(VALU_DEP_3) | instskip(SKIP_1) | instid1(VALU_DEP_3)
	v_add_f64 v[147:148], v[147:148], 1.0
	v_cmp_eq_f64_e64 s17, 0x7ff00000, v[48:49]
	v_sub_nc_u32_e32 v162, 0, v151
	s_delay_alu instid0(VALU_DEP_1) | instskip(NEXT) | instid1(VALU_DEP_4)
	v_ldexp_f64 v[144:145], v[144:145], v162
	v_add_f64 v[147:148], v[149:150], v[147:148]
	s_delay_alu instid0(VALU_DEP_2) | instskip(SKIP_1) | instid1(VALU_DEP_3)
	v_add_f64 v[160:161], v[144:145], 1.0
	v_add_f64 v[166:167], v[144:145], -1.0
	v_ldexp_f64 v[147:148], v[147:148], v162
	s_delay_alu instid0(VALU_DEP_3) | instskip(NEXT) | instid1(VALU_DEP_3)
	v_add_f64 v[149:150], v[160:161], -1.0
	v_add_f64 v[176:177], v[166:167], 1.0
	s_delay_alu instid0(VALU_DEP_2) | instskip(NEXT) | instid1(VALU_DEP_2)
	v_add_f64 v[149:150], v[144:145], -v[149:150]
	v_add_f64 v[144:145], v[144:145], -v[176:177]
	s_delay_alu instid0(VALU_DEP_2) | instskip(NEXT) | instid1(VALU_DEP_2)
	v_add_f64 v[149:150], v[147:148], v[149:150]
	v_add_f64 v[144:145], v[147:148], v[144:145]
	s_delay_alu instid0(VALU_DEP_2) | instskip(NEXT) | instid1(VALU_DEP_2)
	v_add_f64 v[162:163], v[160:161], v[149:150]
	v_add_f64 v[176:177], v[166:167], v[144:145]
	s_delay_alu instid0(VALU_DEP_2) | instskip(SKIP_1) | instid1(VALU_DEP_2)
	v_rcp_f64_e32 v[164:165], v[162:163]
	v_add_f64 v[160:161], v[162:163], -v[160:161]
	v_add_f64 v[166:167], v[176:177], -v[166:167]
	s_delay_alu instid0(VALU_DEP_2) | instskip(SKIP_3) | instid1(VALU_DEP_2)
	v_add_f64 v[149:150], v[149:150], -v[160:161]
	s_waitcnt_depctr 0xfff
	v_fma_f64 v[212:213], -v[162:163], v[164:165], 1.0
	v_add_f64 v[144:145], v[144:145], -v[166:167]
	v_fma_f64 v[164:165], v[212:213], v[164:165], v[164:165]
	s_delay_alu instid0(VALU_DEP_1) | instskip(NEXT) | instid1(VALU_DEP_1)
	v_fma_f64 v[147:148], -v[162:163], v[164:165], 1.0
	v_fma_f64 v[147:148], v[147:148], v[164:165], v[164:165]
	s_delay_alu instid0(VALU_DEP_1) | instskip(NEXT) | instid1(VALU_DEP_1)
	v_mul_f64 v[164:165], v[176:177], v[147:148]
	v_mul_f64 v[212:213], v[162:163], v[164:165]
	s_delay_alu instid0(VALU_DEP_1) | instskip(NEXT) | instid1(VALU_DEP_1)
	v_fma_f64 v[160:161], v[164:165], v[162:163], -v[212:213]
	v_fma_f64 v[160:161], v[164:165], v[149:150], v[160:161]
	s_delay_alu instid0(VALU_DEP_1) | instskip(NEXT) | instid1(VALU_DEP_1)
	v_add_f64 v[214:215], v[212:213], v[160:161]
	v_add_f64 v[224:225], v[176:177], -v[214:215]
	v_add_f64 v[166:167], v[214:215], -v[212:213]
	s_delay_alu instid0(VALU_DEP_2) | instskip(NEXT) | instid1(VALU_DEP_2)
	v_add_f64 v[176:177], v[176:177], -v[224:225]
	v_add_f64 v[160:161], v[166:167], -v[160:161]
	s_delay_alu instid0(VALU_DEP_2) | instskip(NEXT) | instid1(VALU_DEP_1)
	v_add_f64 v[176:177], v[176:177], -v[214:215]
	v_add_f64 v[144:145], v[144:145], v[176:177]
	s_delay_alu instid0(VALU_DEP_1) | instskip(NEXT) | instid1(VALU_DEP_1)
	v_add_f64 v[144:145], v[160:161], v[144:145]
	v_add_f64 v[160:161], v[224:225], v[144:145]
	s_delay_alu instid0(VALU_DEP_1) | instskip(SKIP_1) | instid1(VALU_DEP_2)
	v_mul_f64 v[166:167], v[147:148], v[160:161]
	v_add_f64 v[214:215], v[224:225], -v[160:161]
	v_mul_f64 v[176:177], v[162:163], v[166:167]
	s_delay_alu instid0(VALU_DEP_2) | instskip(NEXT) | instid1(VALU_DEP_2)
	v_add_f64 v[144:145], v[144:145], v[214:215]
	v_fma_f64 v[162:163], v[166:167], v[162:163], -v[176:177]
	s_delay_alu instid0(VALU_DEP_1) | instskip(NEXT) | instid1(VALU_DEP_1)
	v_fma_f64 v[149:150], v[166:167], v[149:150], v[162:163]
	v_add_f64 v[162:163], v[176:177], v[149:150]
	s_delay_alu instid0(VALU_DEP_1) | instskip(SKIP_1) | instid1(VALU_DEP_2)
	v_add_f64 v[212:213], v[160:161], -v[162:163]
	v_add_f64 v[176:177], v[162:163], -v[176:177]
	;; [unrolled: 1-line block ×3, first 2 shown]
	s_delay_alu instid0(VALU_DEP_2) | instskip(NEXT) | instid1(VALU_DEP_2)
	v_add_f64 v[149:150], v[176:177], -v[149:150]
	v_add_f64 v[160:161], v[160:161], -v[162:163]
	s_delay_alu instid0(VALU_DEP_1) | instskip(SKIP_1) | instid1(VALU_DEP_2)
	v_add_f64 v[144:145], v[144:145], v[160:161]
	v_add_f64 v[160:161], v[164:165], v[166:167]
	;; [unrolled: 1-line block ×3, first 2 shown]
	s_delay_alu instid0(VALU_DEP_2) | instskip(NEXT) | instid1(VALU_DEP_2)
	v_add_f64 v[149:150], v[160:161], -v[164:165]
	v_add_f64 v[144:145], v[212:213], v[144:145]
	s_delay_alu instid0(VALU_DEP_2) | instskip(NEXT) | instid1(VALU_DEP_2)
	v_add_f64 v[149:150], v[166:167], -v[149:150]
	v_mul_f64 v[144:145], v[147:148], v[144:145]
	s_delay_alu instid0(VALU_DEP_1) | instskip(NEXT) | instid1(VALU_DEP_1)
	v_add_f64 v[144:145], v[149:150], v[144:145]
	v_add_f64 v[147:148], v[160:161], v[144:145]
	s_delay_alu instid0(VALU_DEP_1) | instskip(NEXT) | instid1(VALU_DEP_1)
	v_mul_f64 v[149:150], v[147:148], v[147:148]
	v_fma_f64 v[162:163], v[149:150], s[28:29], s[26:27]
	s_mov_b32 s26, 0xd7f4df2e
	s_mov_b32 s27, 0x3fc7474d
	v_mul_f64 v[164:165], v[147:148], v[149:150]
	s_delay_alu instid0(VALU_DEP_2)
	v_fma_f64 v[162:163], v[149:150], v[162:163], s[26:27]
	s_mov_b32 s26, 0x16291751
	s_mov_b32 s27, 0x3fcc71c0
	s_delay_alu instid0(VALU_DEP_1) | instid1(SALU_CYCLE_1)
	v_fma_f64 v[162:163], v[149:150], v[162:163], s[26:27]
	s_mov_b32 s26, 0x9b27acf1
	s_mov_b32 s27, 0x3fd24924
	s_delay_alu instid0(VALU_DEP_1) | instid1(SALU_CYCLE_1)
	;; [unrolled: 4-line block ×3, first 2 shown]
	v_fma_f64 v[162:163], v[149:150], v[162:163], s[26:27]
	s_delay_alu instid0(VALU_DEP_1) | instskip(SKIP_2) | instid1(VALU_DEP_3)
	v_fma_f64 v[149:150], v[149:150], v[162:163], s[18:19]
	v_ldexp_f64 v[162:163], v[147:148], 1
	v_add_f64 v[147:148], v[147:148], -v[160:161]
	v_mul_f64 v[149:150], v[164:165], v[149:150]
	v_cvt_f64_i32_e32 v[164:165], v151
	s_delay_alu instid0(VALU_DEP_3) | instskip(NEXT) | instid1(VALU_DEP_3)
	v_add_f64 v[144:145], v[144:145], -v[147:148]
	v_add_f64 v[160:161], v[162:163], v[149:150]
	s_delay_alu instid0(VALU_DEP_3) | instskip(NEXT) | instid1(VALU_DEP_3)
	v_mul_f64 v[166:167], v[164:165], s[20:21]
	v_ldexp_f64 v[144:145], v[144:145], 1
	s_delay_alu instid0(VALU_DEP_3) | instskip(NEXT) | instid1(VALU_DEP_3)
	v_add_f64 v[147:148], v[160:161], -v[162:163]
	v_fma_f64 v[162:163], v[164:165], s[20:21], -v[166:167]
	s_delay_alu instid0(VALU_DEP_2) | instskip(NEXT) | instid1(VALU_DEP_2)
	v_add_f64 v[147:148], v[149:150], -v[147:148]
	v_fma_f64 v[149:150], v[164:165], s[22:23], v[162:163]
	s_delay_alu instid0(VALU_DEP_2) | instskip(NEXT) | instid1(VALU_DEP_2)
	v_add_f64 v[144:145], v[144:145], v[147:148]
	v_add_f64 v[147:148], v[166:167], v[149:150]
	s_delay_alu instid0(VALU_DEP_2) | instskip(NEXT) | instid1(VALU_DEP_2)
	v_add_f64 v[162:163], v[160:161], v[144:145]
	v_add_f64 v[166:167], v[147:148], -v[166:167]
	s_delay_alu instid0(VALU_DEP_2) | instskip(SKIP_1) | instid1(VALU_DEP_3)
	v_add_f64 v[164:165], v[147:148], v[162:163]
	v_add_f64 v[160:161], v[162:163], -v[160:161]
	v_add_f64 v[149:150], v[149:150], -v[166:167]
	s_delay_alu instid0(VALU_DEP_3) | instskip(NEXT) | instid1(VALU_DEP_3)
	v_add_f64 v[176:177], v[164:165], -v[147:148]
	v_add_f64 v[144:145], v[144:145], -v[160:161]
	s_delay_alu instid0(VALU_DEP_2) | instskip(SKIP_1) | instid1(VALU_DEP_3)
	v_add_f64 v[212:213], v[164:165], -v[176:177]
	v_add_f64 v[160:161], v[162:163], -v[176:177]
	v_add_f64 v[162:163], v[149:150], v[144:145]
	s_delay_alu instid0(VALU_DEP_3) | instskip(NEXT) | instid1(VALU_DEP_1)
	v_add_f64 v[147:148], v[147:148], -v[212:213]
	v_add_f64 v[147:148], v[160:161], v[147:148]
	s_delay_alu instid0(VALU_DEP_3) | instskip(NEXT) | instid1(VALU_DEP_2)
	v_add_f64 v[160:161], v[162:163], -v[149:150]
	v_add_f64 v[147:148], v[162:163], v[147:148]
	s_delay_alu instid0(VALU_DEP_2) | instskip(SKIP_1) | instid1(VALU_DEP_3)
	v_add_f64 v[162:163], v[162:163], -v[160:161]
	v_add_f64 v[144:145], v[144:145], -v[160:161]
	v_add_f64 v[166:167], v[164:165], v[147:148]
	s_delay_alu instid0(VALU_DEP_3) | instskip(NEXT) | instid1(VALU_DEP_2)
	v_add_f64 v[149:150], v[149:150], -v[162:163]
	v_add_f64 v[160:161], v[166:167], -v[164:165]
	s_delay_alu instid0(VALU_DEP_2) | instskip(NEXT) | instid1(VALU_DEP_2)
	v_add_f64 v[144:145], v[144:145], v[149:150]
	v_add_f64 v[147:148], v[147:148], -v[160:161]
	s_delay_alu instid0(VALU_DEP_1) | instskip(NEXT) | instid1(VALU_DEP_1)
	v_add_f64 v[144:145], v[144:145], v[147:148]
	v_add_f64 v[144:145], v[166:167], v[144:145]
	s_delay_alu instid0(VALU_DEP_1) | instskip(NEXT) | instid1(VALU_DEP_2)
	v_cndmask_b32_e64 v144, v144, v48, s17
	v_cndmask_b32_e64 v145, v145, v49, s17
	v_cmp_ngt_f64_e64 s17, -1.0, v[48:49]
	s_delay_alu instid0(VALU_DEP_1) | instskip(SKIP_1) | instid1(VALU_DEP_1)
	v_cndmask_b32_e64 v145, 0x7ff80000, v145, s17
	v_cmp_nge_f64_e64 s17, -1.0, v[48:49]
	v_cndmask_b32_e64 v144, 0, v144, s17
	v_cmp_neq_f64_e64 s17, -1.0, v[48:49]
	s_delay_alu instid0(VALU_DEP_1) | instskip(NEXT) | instid1(VALU_DEP_1)
	v_cndmask_b32_e64 v145, 0xfff00000, v145, s17
	v_add_f64 v[48:49], v[133:134], v[144:145]
.LBB36_333:
	s_or_b32 exec_lo, exec_lo, s25
.LBB36_334:
	s_delay_alu instid0(SALU_CYCLE_1) | instskip(SKIP_1) | instid1(VALU_DEP_1)
	s_or_b32 exec_lo, exec_lo, s24
	v_add_nc_u32_e32 v133, -1, v146
	v_cmp_gt_i32_e64 s17, 0, v133
	s_delay_alu instid0(VALU_DEP_1) | instskip(NEXT) | instid1(VALU_DEP_1)
	v_cndmask_b32_e64 v133, v133, v146, s17
	v_lshlrev_b32_e32 v133, 2, v133
	ds_bpermute_b32 v48, v133, v48
	ds_bpermute_b32 v49, v133, v49
	s_and_saveexec_b32 s22, s1
	s_cbranch_execz .LBB36_338
; %bb.335:
	v_cmp_eq_u32_e64 s1, 0, v146
	s_waitcnt lgkmcnt(0)
	s_delay_alu instid0(VALU_DEP_1) | instskip(SKIP_1) | instid1(VALU_DEP_1)
	v_cndmask_b32_e64 v49, v49, v132, s1
	v_cndmask_b32_e64 v48, v48, v131, s1
	v_max_f64 v[34:35], v[48:49], v[48:49]
	v_cmp_u_f64_e64 s1, v[48:49], v[48:49]
	s_delay_alu instid0(VALU_DEP_2) | instskip(SKIP_1) | instid1(VALU_DEP_2)
	v_min_f64 v[36:37], v[34:35], v[32:33]
	v_max_f64 v[32:33], v[34:35], v[32:33]
	v_cndmask_b32_e64 v34, v36, v48, s1
	s_delay_alu instid0(VALU_DEP_3) | instskip(NEXT) | instid1(VALU_DEP_3)
	v_cndmask_b32_e64 v35, v37, v49, s1
	v_cndmask_b32_e64 v36, v33, v49, s1
	s_delay_alu instid0(VALU_DEP_4) | instskip(NEXT) | instid1(VALU_DEP_4)
	v_cndmask_b32_e64 v37, v32, v48, s1
	v_cndmask_b32_e64 v32, v34, v0, s16
	s_delay_alu instid0(VALU_DEP_4) | instskip(NEXT) | instid1(VALU_DEP_4)
	v_cndmask_b32_e64 v33, v35, v1, s16
	v_cndmask_b32_e64 v1, v36, v1, s16
	s_delay_alu instid0(VALU_DEP_4) | instskip(NEXT) | instid1(VALU_DEP_3)
	v_cndmask_b32_e64 v0, v37, v0, s16
	v_cmp_class_f64_e64 s16, v[32:33], 0x1f8
	s_delay_alu instid0(VALU_DEP_2) | instskip(NEXT) | instid1(VALU_DEP_1)
	v_cmp_neq_f64_e64 s1, v[32:33], v[0:1]
	s_or_b32 s1, s1, s16
	s_delay_alu instid0(SALU_CYCLE_1)
	s_and_saveexec_b32 s23, s1
	s_cbranch_execz .LBB36_337
; %bb.336:
	v_add_f64 v[32:33], v[32:33], -v[0:1]
	s_mov_b32 s16, 0x652b82fe
	s_mov_b32 s17, 0x3ff71547
	;; [unrolled: 1-line block ×10, first 2 shown]
	s_delay_alu instid0(VALU_DEP_1) | instskip(SKIP_3) | instid1(VALU_DEP_2)
	v_mul_f64 v[34:35], v[32:33], s[16:17]
	s_mov_b32 s16, 0xfca7ab0c
	s_mov_b32 s17, 0x3e928af3
	v_cmp_nlt_f64_e64 s1, 0x40900000, v[32:33]
	v_rndne_f64_e32 v[34:35], v[34:35]
	s_delay_alu instid0(VALU_DEP_1) | instskip(SKIP_2) | instid1(VALU_DEP_2)
	v_fma_f64 v[36:37], v[34:35], s[18:19], v[32:33]
	v_cvt_i32_f64_e32 v131, v[34:35]
	s_mov_b32 s19, 0x3fe62e42
	v_fma_f64 v[36:37], v[34:35], s[20:21], v[36:37]
	s_mov_b32 s21, 0x3c7abc9e
	s_delay_alu instid0(VALU_DEP_1) | instskip(SKIP_4) | instid1(VALU_DEP_1)
	v_fma_f64 v[48:49], v[36:37], s[24:25], s[16:17]
	s_mov_b32 s16, 0x623fde64
	s_mov_b32 s17, 0x3ec71dee
	;; [unrolled: 1-line block ×4, first 2 shown]
	v_fma_f64 v[48:49], v[36:37], v[48:49], s[16:17]
	s_mov_b32 s16, 0x7c89e6b0
	s_mov_b32 s17, 0x3efa0199
	s_delay_alu instid0(VALU_DEP_1) | instid1(SALU_CYCLE_1)
	v_fma_f64 v[48:49], v[36:37], v[48:49], s[16:17]
	s_mov_b32 s16, 0x14761f6e
	s_mov_b32 s17, 0x3f2a01a0
	s_delay_alu instid0(VALU_DEP_1) | instid1(SALU_CYCLE_1)
	;; [unrolled: 4-line block ×7, first 2 shown]
	v_fma_f64 v[48:49], v[36:37], v[48:49], s[16:17]
	v_cmp_ngt_f64_e64 s16, 0xc090cc00, v[32:33]
	s_mov_b32 s17, 0x3fe55555
	s_delay_alu instid0(VALU_DEP_2) | instskip(NEXT) | instid1(VALU_DEP_1)
	v_fma_f64 v[48:49], v[36:37], v[48:49], 1.0
	v_fma_f64 v[34:35], v[36:37], v[48:49], 1.0
	s_delay_alu instid0(VALU_DEP_1) | instskip(NEXT) | instid1(VALU_DEP_1)
	v_ldexp_f64 v[34:35], v[34:35], v131
	v_cndmask_b32_e64 v35, 0x7ff00000, v35, s1
	s_and_b32 s1, s16, s1
	s_delay_alu instid0(VALU_DEP_2) | instid1(SALU_CYCLE_1)
	v_cndmask_b32_e64 v32, 0, v34, s1
	s_delay_alu instid0(VALU_DEP_2) | instskip(SKIP_1) | instid1(VALU_DEP_1)
	v_cndmask_b32_e64 v33, 0, v35, s16
	s_mov_b32 s16, 0x55555555
	v_add_f64 v[34:35], v[32:33], 1.0
	s_delay_alu instid0(VALU_DEP_1) | instskip(SKIP_2) | instid1(VALU_DEP_3)
	v_frexp_mant_f64_e32 v[36:37], v[34:35]
	v_frexp_exp_i32_f64_e32 v131, v[34:35]
	v_add_f64 v[48:49], v[34:35], -1.0
	v_cmp_gt_f64_e64 s1, s[16:17], v[36:37]
	s_mov_b32 s16, 0x55555780
	s_delay_alu instid0(VALU_DEP_2) | instskip(SKIP_1) | instid1(VALU_DEP_3)
	v_add_f64 v[36:37], v[48:49], -v[34:35]
	v_add_f64 v[48:49], v[32:33], -v[48:49]
	v_subrev_co_ci_u32_e64 v164, s1, 0, v131, s1
	s_delay_alu instid0(VALU_DEP_3) | instskip(SKIP_1) | instid1(VALU_DEP_3)
	v_add_f64 v[36:37], v[36:37], 1.0
	v_cmp_eq_f64_e64 s1, 0x7ff00000, v[32:33]
	v_sub_nc_u32_e32 v133, 0, v164
	s_delay_alu instid0(VALU_DEP_1) | instskip(NEXT) | instid1(VALU_DEP_4)
	v_ldexp_f64 v[34:35], v[34:35], v133
	v_add_f64 v[36:37], v[48:49], v[36:37]
	s_delay_alu instid0(VALU_DEP_2) | instskip(SKIP_1) | instid1(VALU_DEP_3)
	v_add_f64 v[131:132], v[34:35], 1.0
	v_add_f64 v[146:147], v[34:35], -1.0
	v_ldexp_f64 v[36:37], v[36:37], v133
	s_delay_alu instid0(VALU_DEP_3) | instskip(NEXT) | instid1(VALU_DEP_3)
	v_add_f64 v[48:49], v[131:132], -1.0
	v_add_f64 v[148:149], v[146:147], 1.0
	s_delay_alu instid0(VALU_DEP_2) | instskip(NEXT) | instid1(VALU_DEP_2)
	v_add_f64 v[48:49], v[34:35], -v[48:49]
	v_add_f64 v[34:35], v[34:35], -v[148:149]
	s_delay_alu instid0(VALU_DEP_2) | instskip(NEXT) | instid1(VALU_DEP_2)
	v_add_f64 v[48:49], v[36:37], v[48:49]
	v_add_f64 v[34:35], v[36:37], v[34:35]
	s_delay_alu instid0(VALU_DEP_2) | instskip(NEXT) | instid1(VALU_DEP_2)
	v_add_f64 v[133:134], v[131:132], v[48:49]
	v_add_f64 v[148:149], v[146:147], v[34:35]
	s_delay_alu instid0(VALU_DEP_2) | instskip(SKIP_1) | instid1(VALU_DEP_2)
	v_rcp_f64_e32 v[144:145], v[133:134]
	v_add_f64 v[131:132], v[133:134], -v[131:132]
	v_add_f64 v[146:147], v[148:149], -v[146:147]
	s_delay_alu instid0(VALU_DEP_2) | instskip(SKIP_3) | instid1(VALU_DEP_2)
	v_add_f64 v[48:49], v[48:49], -v[131:132]
	s_waitcnt_depctr 0xfff
	v_fma_f64 v[150:151], -v[133:134], v[144:145], 1.0
	v_add_f64 v[34:35], v[34:35], -v[146:147]
	v_fma_f64 v[144:145], v[150:151], v[144:145], v[144:145]
	s_delay_alu instid0(VALU_DEP_1) | instskip(NEXT) | instid1(VALU_DEP_1)
	v_fma_f64 v[36:37], -v[133:134], v[144:145], 1.0
	v_fma_f64 v[36:37], v[36:37], v[144:145], v[144:145]
	s_delay_alu instid0(VALU_DEP_1) | instskip(NEXT) | instid1(VALU_DEP_1)
	v_mul_f64 v[144:145], v[148:149], v[36:37]
	v_mul_f64 v[150:151], v[133:134], v[144:145]
	s_delay_alu instid0(VALU_DEP_1) | instskip(NEXT) | instid1(VALU_DEP_1)
	v_fma_f64 v[131:132], v[144:145], v[133:134], -v[150:151]
	v_fma_f64 v[131:132], v[144:145], v[48:49], v[131:132]
	s_delay_alu instid0(VALU_DEP_1) | instskip(NEXT) | instid1(VALU_DEP_1)
	v_add_f64 v[160:161], v[150:151], v[131:132]
	v_add_f64 v[162:163], v[148:149], -v[160:161]
	v_add_f64 v[146:147], v[160:161], -v[150:151]
	s_delay_alu instid0(VALU_DEP_2) | instskip(NEXT) | instid1(VALU_DEP_2)
	v_add_f64 v[148:149], v[148:149], -v[162:163]
	v_add_f64 v[131:132], v[146:147], -v[131:132]
	s_delay_alu instid0(VALU_DEP_2) | instskip(NEXT) | instid1(VALU_DEP_1)
	v_add_f64 v[148:149], v[148:149], -v[160:161]
	v_add_f64 v[34:35], v[34:35], v[148:149]
	s_delay_alu instid0(VALU_DEP_1) | instskip(NEXT) | instid1(VALU_DEP_1)
	v_add_f64 v[34:35], v[131:132], v[34:35]
	v_add_f64 v[131:132], v[162:163], v[34:35]
	s_delay_alu instid0(VALU_DEP_1) | instskip(SKIP_1) | instid1(VALU_DEP_2)
	v_mul_f64 v[146:147], v[36:37], v[131:132]
	v_add_f64 v[160:161], v[162:163], -v[131:132]
	v_mul_f64 v[148:149], v[133:134], v[146:147]
	s_delay_alu instid0(VALU_DEP_2) | instskip(NEXT) | instid1(VALU_DEP_2)
	v_add_f64 v[34:35], v[34:35], v[160:161]
	v_fma_f64 v[133:134], v[146:147], v[133:134], -v[148:149]
	s_delay_alu instid0(VALU_DEP_1) | instskip(NEXT) | instid1(VALU_DEP_1)
	v_fma_f64 v[48:49], v[146:147], v[48:49], v[133:134]
	v_add_f64 v[133:134], v[148:149], v[48:49]
	s_delay_alu instid0(VALU_DEP_1) | instskip(SKIP_1) | instid1(VALU_DEP_2)
	v_add_f64 v[150:151], v[131:132], -v[133:134]
	v_add_f64 v[148:149], v[133:134], -v[148:149]
	;; [unrolled: 1-line block ×3, first 2 shown]
	s_delay_alu instid0(VALU_DEP_2) | instskip(NEXT) | instid1(VALU_DEP_2)
	v_add_f64 v[48:49], v[148:149], -v[48:49]
	v_add_f64 v[131:132], v[131:132], -v[133:134]
	s_delay_alu instid0(VALU_DEP_1) | instskip(SKIP_1) | instid1(VALU_DEP_2)
	v_add_f64 v[34:35], v[34:35], v[131:132]
	v_add_f64 v[131:132], v[144:145], v[146:147]
	;; [unrolled: 1-line block ×3, first 2 shown]
	s_delay_alu instid0(VALU_DEP_2) | instskip(NEXT) | instid1(VALU_DEP_2)
	v_add_f64 v[48:49], v[131:132], -v[144:145]
	v_add_f64 v[34:35], v[150:151], v[34:35]
	s_delay_alu instid0(VALU_DEP_2) | instskip(NEXT) | instid1(VALU_DEP_2)
	v_add_f64 v[48:49], v[146:147], -v[48:49]
	v_mul_f64 v[34:35], v[36:37], v[34:35]
	s_delay_alu instid0(VALU_DEP_1) | instskip(NEXT) | instid1(VALU_DEP_1)
	v_add_f64 v[34:35], v[48:49], v[34:35]
	v_add_f64 v[36:37], v[131:132], v[34:35]
	s_delay_alu instid0(VALU_DEP_1) | instskip(NEXT) | instid1(VALU_DEP_1)
	v_mul_f64 v[48:49], v[36:37], v[36:37]
	v_fma_f64 v[133:134], v[48:49], s[26:27], s[24:25]
	s_mov_b32 s24, 0xd7f4df2e
	s_mov_b32 s25, 0x3fc7474d
	v_mul_f64 v[144:145], v[36:37], v[48:49]
	s_delay_alu instid0(VALU_DEP_2)
	v_fma_f64 v[133:134], v[48:49], v[133:134], s[24:25]
	s_mov_b32 s24, 0x16291751
	s_mov_b32 s25, 0x3fcc71c0
	s_delay_alu instid0(VALU_DEP_1) | instid1(SALU_CYCLE_1)
	v_fma_f64 v[133:134], v[48:49], v[133:134], s[24:25]
	s_mov_b32 s24, 0x9b27acf1
	s_mov_b32 s25, 0x3fd24924
	s_delay_alu instid0(VALU_DEP_1) | instid1(SALU_CYCLE_1)
	;; [unrolled: 4-line block ×3, first 2 shown]
	v_fma_f64 v[133:134], v[48:49], v[133:134], s[24:25]
	s_delay_alu instid0(VALU_DEP_1) | instskip(SKIP_2) | instid1(VALU_DEP_3)
	v_fma_f64 v[48:49], v[48:49], v[133:134], s[16:17]
	v_ldexp_f64 v[133:134], v[36:37], 1
	v_add_f64 v[36:37], v[36:37], -v[131:132]
	v_mul_f64 v[48:49], v[144:145], v[48:49]
	v_cvt_f64_i32_e32 v[144:145], v164
	s_delay_alu instid0(VALU_DEP_3) | instskip(NEXT) | instid1(VALU_DEP_3)
	v_add_f64 v[34:35], v[34:35], -v[36:37]
	v_add_f64 v[131:132], v[133:134], v[48:49]
	s_delay_alu instid0(VALU_DEP_3) | instskip(NEXT) | instid1(VALU_DEP_3)
	v_mul_f64 v[146:147], v[144:145], s[18:19]
	v_ldexp_f64 v[34:35], v[34:35], 1
	s_delay_alu instid0(VALU_DEP_3) | instskip(NEXT) | instid1(VALU_DEP_3)
	v_add_f64 v[36:37], v[131:132], -v[133:134]
	v_fma_f64 v[133:134], v[144:145], s[18:19], -v[146:147]
	s_delay_alu instid0(VALU_DEP_2) | instskip(NEXT) | instid1(VALU_DEP_2)
	v_add_f64 v[36:37], v[48:49], -v[36:37]
	v_fma_f64 v[48:49], v[144:145], s[20:21], v[133:134]
	s_delay_alu instid0(VALU_DEP_2) | instskip(NEXT) | instid1(VALU_DEP_2)
	v_add_f64 v[34:35], v[34:35], v[36:37]
	v_add_f64 v[36:37], v[146:147], v[48:49]
	s_delay_alu instid0(VALU_DEP_2) | instskip(NEXT) | instid1(VALU_DEP_2)
	v_add_f64 v[133:134], v[131:132], v[34:35]
	v_add_f64 v[146:147], v[36:37], -v[146:147]
	s_delay_alu instid0(VALU_DEP_2) | instskip(SKIP_1) | instid1(VALU_DEP_3)
	v_add_f64 v[144:145], v[36:37], v[133:134]
	v_add_f64 v[131:132], v[133:134], -v[131:132]
	v_add_f64 v[48:49], v[48:49], -v[146:147]
	s_delay_alu instid0(VALU_DEP_3) | instskip(NEXT) | instid1(VALU_DEP_3)
	v_add_f64 v[148:149], v[144:145], -v[36:37]
	v_add_f64 v[34:35], v[34:35], -v[131:132]
	s_delay_alu instid0(VALU_DEP_2) | instskip(SKIP_1) | instid1(VALU_DEP_3)
	v_add_f64 v[150:151], v[144:145], -v[148:149]
	v_add_f64 v[131:132], v[133:134], -v[148:149]
	v_add_f64 v[133:134], v[48:49], v[34:35]
	s_delay_alu instid0(VALU_DEP_3) | instskip(NEXT) | instid1(VALU_DEP_1)
	v_add_f64 v[36:37], v[36:37], -v[150:151]
	v_add_f64 v[36:37], v[131:132], v[36:37]
	s_delay_alu instid0(VALU_DEP_3) | instskip(NEXT) | instid1(VALU_DEP_2)
	v_add_f64 v[131:132], v[133:134], -v[48:49]
	v_add_f64 v[36:37], v[133:134], v[36:37]
	s_delay_alu instid0(VALU_DEP_2) | instskip(SKIP_1) | instid1(VALU_DEP_3)
	v_add_f64 v[133:134], v[133:134], -v[131:132]
	v_add_f64 v[34:35], v[34:35], -v[131:132]
	v_add_f64 v[146:147], v[144:145], v[36:37]
	s_delay_alu instid0(VALU_DEP_3) | instskip(NEXT) | instid1(VALU_DEP_2)
	v_add_f64 v[48:49], v[48:49], -v[133:134]
	v_add_f64 v[131:132], v[146:147], -v[144:145]
	s_delay_alu instid0(VALU_DEP_2) | instskip(NEXT) | instid1(VALU_DEP_2)
	v_add_f64 v[34:35], v[34:35], v[48:49]
	v_add_f64 v[36:37], v[36:37], -v[131:132]
	s_delay_alu instid0(VALU_DEP_1) | instskip(NEXT) | instid1(VALU_DEP_1)
	v_add_f64 v[34:35], v[34:35], v[36:37]
	v_add_f64 v[34:35], v[146:147], v[34:35]
	s_delay_alu instid0(VALU_DEP_1) | instskip(NEXT) | instid1(VALU_DEP_2)
	v_cndmask_b32_e64 v34, v34, v32, s1
	v_cndmask_b32_e64 v35, v35, v33, s1
	v_cmp_ngt_f64_e64 s1, -1.0, v[32:33]
	s_delay_alu instid0(VALU_DEP_1) | instskip(SKIP_1) | instid1(VALU_DEP_1)
	v_cndmask_b32_e64 v35, 0x7ff80000, v35, s1
	v_cmp_nge_f64_e64 s1, -1.0, v[32:33]
	v_cndmask_b32_e64 v34, 0, v34, s1
	v_cmp_neq_f64_e64 s1, -1.0, v[32:33]
	s_delay_alu instid0(VALU_DEP_1) | instskip(NEXT) | instid1(VALU_DEP_1)
	v_cndmask_b32_e64 v35, 0xfff00000, v35, s1
	v_add_f64 v[48:49], v[0:1], v[34:35]
.LBB36_337:
	s_or_b32 exec_lo, exec_lo, s23
	s_delay_alu instid0(VALU_DEP_1) | instskip(SKIP_1) | instid1(VALU_DEP_1)
	v_max_f64 v[0:1], v[48:49], v[48:49]
	;;#ASMSTART
	;;#ASMEND
	v_min_f64 v[34:35], v[0:1], v[54:55]
	v_max_f64 v[36:37], v[0:1], v[54:55]
	v_dual_mov_b32 v0, v48 :: v_dual_mov_b32 v1, v49
.LBB36_338:
	s_or_b32 exec_lo, exec_lo, s22
	s_delay_alu instid0(VALU_DEP_1) | instskip(NEXT) | instid1(VALU_DEP_1)
	v_cmp_u_f64_e64 s1, v[0:1], v[0:1]
	v_cndmask_b32_e64 v32, v34, v0, s1
	v_cndmask_b32_e64 v33, v35, v1, s1
	;; [unrolled: 1-line block ×4, first 2 shown]
	s_delay_alu instid0(VALU_DEP_3) | instskip(NEXT) | instid1(VALU_DEP_2)
	v_dual_cndmask_b32 v34, v32, v2 :: v_dual_cndmask_b32 v35, v33, v3
	v_dual_cndmask_b32 v33, v37, v3 :: v_dual_cndmask_b32 v32, v36, v2
	v_dual_mov_b32 v3, v1 :: v_dual_mov_b32 v2, v0
	s_delay_alu instid0(VALU_DEP_3) | instskip(NEXT) | instid1(VALU_DEP_3)
	v_cmp_class_f64_e64 s1, v[34:35], 0x1f8
	v_cmp_neq_f64_e32 vcc_lo, v[34:35], v[32:33]
	s_delay_alu instid0(VALU_DEP_2) | instskip(NEXT) | instid1(SALU_CYCLE_1)
	s_or_b32 s1, vcc_lo, s1
	s_and_saveexec_b32 s22, s1
	s_cbranch_execz .LBB36_340
; %bb.339:
	v_add_f64 v[2:3], v[34:35], -v[32:33]
	s_mov_b32 s16, 0x652b82fe
	s_mov_b32 s17, 0x3ff71547
	;; [unrolled: 1-line block ×10, first 2 shown]
	s_delay_alu instid0(VALU_DEP_1) | instskip(SKIP_4) | instid1(VALU_DEP_3)
	v_mul_f64 v[34:35], v[2:3], s[16:17]
	s_mov_b32 s17, 0xbfe62e42
	s_mov_b32 s16, 0xfefa39ef
	v_cmp_nlt_f64_e32 vcc_lo, 0x40900000, v[2:3]
	v_cmp_ngt_f64_e64 s1, 0xc090cc00, v[2:3]
	v_rndne_f64_e32 v[34:35], v[34:35]
	s_delay_alu instid0(VALU_DEP_1) | instskip(SKIP_2) | instid1(VALU_DEP_2)
	v_fma_f64 v[36:37], v[34:35], s[16:17], v[2:3]
	v_cvt_i32_f64_e32 v54, v[34:35]
	s_mov_b32 s17, 0x3fe62e42
	v_fma_f64 v[36:37], v[34:35], s[18:19], v[36:37]
	s_mov_b32 s19, 0x3c7abc9e
	s_waitcnt lgkmcnt(0)
	s_delay_alu instid0(VALU_DEP_1) | instskip(SKIP_4) | instid1(VALU_DEP_1)
	v_fma_f64 v[48:49], v[36:37], s[24:25], s[20:21]
	s_mov_b32 s20, 0x623fde64
	s_mov_b32 s21, 0x3ec71dee
	;; [unrolled: 1-line block ×4, first 2 shown]
	v_fma_f64 v[48:49], v[36:37], v[48:49], s[20:21]
	s_mov_b32 s20, 0x7c89e6b0
	s_mov_b32 s21, 0x3efa0199
	s_delay_alu instid0(VALU_DEP_1) | instid1(SALU_CYCLE_1)
	v_fma_f64 v[48:49], v[36:37], v[48:49], s[20:21]
	s_mov_b32 s20, 0x14761f6e
	s_mov_b32 s21, 0x3f2a01a0
	s_delay_alu instid0(VALU_DEP_1) | instid1(SALU_CYCLE_1)
	;; [unrolled: 4-line block ×7, first 2 shown]
	v_fma_f64 v[48:49], v[36:37], v[48:49], s[20:21]
	s_mov_b32 s21, 0x3fe55555
	s_mov_b32 s20, 0x55555555
	s_delay_alu instid0(VALU_DEP_1) | instskip(NEXT) | instid1(VALU_DEP_1)
	v_fma_f64 v[48:49], v[36:37], v[48:49], 1.0
	v_fma_f64 v[34:35], v[36:37], v[48:49], 1.0
	s_delay_alu instid0(VALU_DEP_1) | instskip(NEXT) | instid1(VALU_DEP_1)
	v_ldexp_f64 v[34:35], v[34:35], v54
	v_cndmask_b32_e32 v35, 0x7ff00000, v35, vcc_lo
	s_and_b32 vcc_lo, s1, vcc_lo
	s_delay_alu instid0(VALU_DEP_1) | instskip(NEXT) | instid1(VALU_DEP_3)
	v_cndmask_b32_e64 v3, 0, v35, s1
	v_cndmask_b32_e32 v2, 0, v34, vcc_lo
	s_delay_alu instid0(VALU_DEP_1) | instskip(NEXT) | instid1(VALU_DEP_1)
	v_add_f64 v[34:35], v[2:3], 1.0
	v_frexp_mant_f64_e32 v[36:37], v[34:35]
	v_frexp_exp_i32_f64_e32 v54, v[34:35]
	v_add_f64 v[48:49], v[34:35], -1.0
	s_delay_alu instid0(VALU_DEP_3) | instskip(SKIP_1) | instid1(VALU_DEP_2)
	v_cmp_gt_f64_e32 vcc_lo, s[20:21], v[36:37]
	s_mov_b32 s20, 0x55555780
	v_add_f64 v[36:37], v[48:49], -v[34:35]
	v_add_f64 v[48:49], v[2:3], -v[48:49]
	v_subrev_co_ci_u32_e32 v162, vcc_lo, 0, v54, vcc_lo
	s_delay_alu instid0(VALU_DEP_3) | instskip(SKIP_1) | instid1(VALU_DEP_3)
	v_add_f64 v[36:37], v[36:37], 1.0
	v_cmp_eq_f64_e32 vcc_lo, 0x7ff00000, v[2:3]
	v_sub_nc_u32_e32 v131, 0, v162
	s_delay_alu instid0(VALU_DEP_1) | instskip(NEXT) | instid1(VALU_DEP_4)
	v_ldexp_f64 v[34:35], v[34:35], v131
	v_add_f64 v[36:37], v[48:49], v[36:37]
	s_delay_alu instid0(VALU_DEP_2) | instskip(SKIP_1) | instid1(VALU_DEP_3)
	v_add_f64 v[54:55], v[34:35], 1.0
	v_add_f64 v[144:145], v[34:35], -1.0
	v_ldexp_f64 v[36:37], v[36:37], v131
	s_delay_alu instid0(VALU_DEP_3) | instskip(NEXT) | instid1(VALU_DEP_3)
	v_add_f64 v[48:49], v[54:55], -1.0
	v_add_f64 v[146:147], v[144:145], 1.0
	s_delay_alu instid0(VALU_DEP_2) | instskip(NEXT) | instid1(VALU_DEP_2)
	v_add_f64 v[48:49], v[34:35], -v[48:49]
	v_add_f64 v[34:35], v[34:35], -v[146:147]
	s_delay_alu instid0(VALU_DEP_2) | instskip(NEXT) | instid1(VALU_DEP_2)
	v_add_f64 v[48:49], v[36:37], v[48:49]
	v_add_f64 v[34:35], v[36:37], v[34:35]
	s_delay_alu instid0(VALU_DEP_2) | instskip(NEXT) | instid1(VALU_DEP_2)
	v_add_f64 v[131:132], v[54:55], v[48:49]
	v_add_f64 v[146:147], v[144:145], v[34:35]
	s_delay_alu instid0(VALU_DEP_2) | instskip(SKIP_1) | instid1(VALU_DEP_2)
	v_rcp_f64_e32 v[133:134], v[131:132]
	v_add_f64 v[54:55], v[131:132], -v[54:55]
	v_add_f64 v[144:145], v[146:147], -v[144:145]
	s_delay_alu instid0(VALU_DEP_2) | instskip(SKIP_3) | instid1(VALU_DEP_2)
	v_add_f64 v[48:49], v[48:49], -v[54:55]
	s_waitcnt_depctr 0xfff
	v_fma_f64 v[148:149], -v[131:132], v[133:134], 1.0
	v_add_f64 v[34:35], v[34:35], -v[144:145]
	v_fma_f64 v[133:134], v[148:149], v[133:134], v[133:134]
	s_delay_alu instid0(VALU_DEP_1) | instskip(NEXT) | instid1(VALU_DEP_1)
	v_fma_f64 v[36:37], -v[131:132], v[133:134], 1.0
	v_fma_f64 v[36:37], v[36:37], v[133:134], v[133:134]
	s_delay_alu instid0(VALU_DEP_1) | instskip(NEXT) | instid1(VALU_DEP_1)
	v_mul_f64 v[133:134], v[146:147], v[36:37]
	v_mul_f64 v[148:149], v[131:132], v[133:134]
	s_delay_alu instid0(VALU_DEP_1) | instskip(NEXT) | instid1(VALU_DEP_1)
	v_fma_f64 v[54:55], v[133:134], v[131:132], -v[148:149]
	v_fma_f64 v[54:55], v[133:134], v[48:49], v[54:55]
	s_delay_alu instid0(VALU_DEP_1) | instskip(NEXT) | instid1(VALU_DEP_1)
	v_add_f64 v[150:151], v[148:149], v[54:55]
	v_add_f64 v[160:161], v[146:147], -v[150:151]
	v_add_f64 v[144:145], v[150:151], -v[148:149]
	s_delay_alu instid0(VALU_DEP_2) | instskip(NEXT) | instid1(VALU_DEP_2)
	v_add_f64 v[146:147], v[146:147], -v[160:161]
	v_add_f64 v[54:55], v[144:145], -v[54:55]
	s_delay_alu instid0(VALU_DEP_2) | instskip(NEXT) | instid1(VALU_DEP_1)
	v_add_f64 v[146:147], v[146:147], -v[150:151]
	v_add_f64 v[34:35], v[34:35], v[146:147]
	s_delay_alu instid0(VALU_DEP_1) | instskip(NEXT) | instid1(VALU_DEP_1)
	v_add_f64 v[34:35], v[54:55], v[34:35]
	v_add_f64 v[54:55], v[160:161], v[34:35]
	s_delay_alu instid0(VALU_DEP_1) | instskip(SKIP_1) | instid1(VALU_DEP_2)
	v_mul_f64 v[144:145], v[36:37], v[54:55]
	v_add_f64 v[150:151], v[160:161], -v[54:55]
	v_mul_f64 v[146:147], v[131:132], v[144:145]
	s_delay_alu instid0(VALU_DEP_2) | instskip(NEXT) | instid1(VALU_DEP_2)
	v_add_f64 v[34:35], v[34:35], v[150:151]
	v_fma_f64 v[131:132], v[144:145], v[131:132], -v[146:147]
	s_delay_alu instid0(VALU_DEP_1) | instskip(NEXT) | instid1(VALU_DEP_1)
	v_fma_f64 v[48:49], v[144:145], v[48:49], v[131:132]
	v_add_f64 v[131:132], v[146:147], v[48:49]
	s_delay_alu instid0(VALU_DEP_1) | instskip(SKIP_1) | instid1(VALU_DEP_2)
	v_add_f64 v[148:149], v[54:55], -v[131:132]
	v_add_f64 v[146:147], v[131:132], -v[146:147]
	;; [unrolled: 1-line block ×3, first 2 shown]
	s_delay_alu instid0(VALU_DEP_2) | instskip(NEXT) | instid1(VALU_DEP_2)
	v_add_f64 v[48:49], v[146:147], -v[48:49]
	v_add_f64 v[54:55], v[54:55], -v[131:132]
	s_delay_alu instid0(VALU_DEP_1) | instskip(SKIP_1) | instid1(VALU_DEP_2)
	v_add_f64 v[34:35], v[34:35], v[54:55]
	v_add_f64 v[54:55], v[133:134], v[144:145]
	v_add_f64 v[34:35], v[48:49], v[34:35]
	s_delay_alu instid0(VALU_DEP_2) | instskip(NEXT) | instid1(VALU_DEP_2)
	v_add_f64 v[48:49], v[54:55], -v[133:134]
	v_add_f64 v[34:35], v[148:149], v[34:35]
	s_delay_alu instid0(VALU_DEP_2) | instskip(NEXT) | instid1(VALU_DEP_2)
	v_add_f64 v[48:49], v[144:145], -v[48:49]
	v_mul_f64 v[34:35], v[36:37], v[34:35]
	s_delay_alu instid0(VALU_DEP_1) | instskip(NEXT) | instid1(VALU_DEP_1)
	v_add_f64 v[34:35], v[48:49], v[34:35]
	v_add_f64 v[36:37], v[54:55], v[34:35]
	s_delay_alu instid0(VALU_DEP_1) | instskip(NEXT) | instid1(VALU_DEP_1)
	v_mul_f64 v[48:49], v[36:37], v[36:37]
	v_fma_f64 v[131:132], v[48:49], s[26:27], s[24:25]
	s_mov_b32 s24, 0xd7f4df2e
	s_mov_b32 s25, 0x3fc7474d
	v_mul_f64 v[133:134], v[36:37], v[48:49]
	s_delay_alu instid0(VALU_DEP_2)
	v_fma_f64 v[131:132], v[48:49], v[131:132], s[24:25]
	s_mov_b32 s24, 0x16291751
	s_mov_b32 s25, 0x3fcc71c0
	s_delay_alu instid0(VALU_DEP_1) | instid1(SALU_CYCLE_1)
	v_fma_f64 v[131:132], v[48:49], v[131:132], s[24:25]
	s_mov_b32 s24, 0x9b27acf1
	s_mov_b32 s25, 0x3fd24924
	s_delay_alu instid0(VALU_DEP_1) | instid1(SALU_CYCLE_1)
	;; [unrolled: 4-line block ×3, first 2 shown]
	v_fma_f64 v[131:132], v[48:49], v[131:132], s[24:25]
	s_delay_alu instid0(VALU_DEP_1) | instskip(SKIP_2) | instid1(VALU_DEP_3)
	v_fma_f64 v[48:49], v[48:49], v[131:132], s[20:21]
	v_ldexp_f64 v[131:132], v[36:37], 1
	v_add_f64 v[36:37], v[36:37], -v[54:55]
	v_mul_f64 v[48:49], v[133:134], v[48:49]
	v_cvt_f64_i32_e32 v[133:134], v162
	s_delay_alu instid0(VALU_DEP_3) | instskip(NEXT) | instid1(VALU_DEP_3)
	v_add_f64 v[34:35], v[34:35], -v[36:37]
	v_add_f64 v[54:55], v[131:132], v[48:49]
	s_delay_alu instid0(VALU_DEP_3) | instskip(NEXT) | instid1(VALU_DEP_3)
	v_mul_f64 v[144:145], v[133:134], s[16:17]
	v_ldexp_f64 v[34:35], v[34:35], 1
	s_delay_alu instid0(VALU_DEP_3) | instskip(NEXT) | instid1(VALU_DEP_3)
	v_add_f64 v[36:37], v[54:55], -v[131:132]
	v_fma_f64 v[131:132], v[133:134], s[16:17], -v[144:145]
	s_delay_alu instid0(VALU_DEP_2) | instskip(NEXT) | instid1(VALU_DEP_2)
	v_add_f64 v[36:37], v[48:49], -v[36:37]
	v_fma_f64 v[48:49], v[133:134], s[18:19], v[131:132]
	s_delay_alu instid0(VALU_DEP_2) | instskip(NEXT) | instid1(VALU_DEP_2)
	v_add_f64 v[34:35], v[34:35], v[36:37]
	v_add_f64 v[36:37], v[144:145], v[48:49]
	s_delay_alu instid0(VALU_DEP_2) | instskip(NEXT) | instid1(VALU_DEP_2)
	v_add_f64 v[131:132], v[54:55], v[34:35]
	v_add_f64 v[144:145], v[36:37], -v[144:145]
	s_delay_alu instid0(VALU_DEP_2) | instskip(SKIP_1) | instid1(VALU_DEP_3)
	v_add_f64 v[133:134], v[36:37], v[131:132]
	v_add_f64 v[54:55], v[131:132], -v[54:55]
	v_add_f64 v[48:49], v[48:49], -v[144:145]
	s_delay_alu instid0(VALU_DEP_3) | instskip(NEXT) | instid1(VALU_DEP_3)
	v_add_f64 v[146:147], v[133:134], -v[36:37]
	v_add_f64 v[34:35], v[34:35], -v[54:55]
	s_delay_alu instid0(VALU_DEP_2) | instskip(SKIP_1) | instid1(VALU_DEP_3)
	v_add_f64 v[148:149], v[133:134], -v[146:147]
	v_add_f64 v[54:55], v[131:132], -v[146:147]
	v_add_f64 v[131:132], v[48:49], v[34:35]
	s_delay_alu instid0(VALU_DEP_3) | instskip(NEXT) | instid1(VALU_DEP_1)
	v_add_f64 v[36:37], v[36:37], -v[148:149]
	v_add_f64 v[36:37], v[54:55], v[36:37]
	s_delay_alu instid0(VALU_DEP_3) | instskip(NEXT) | instid1(VALU_DEP_2)
	v_add_f64 v[54:55], v[131:132], -v[48:49]
	v_add_f64 v[36:37], v[131:132], v[36:37]
	s_delay_alu instid0(VALU_DEP_2) | instskip(SKIP_1) | instid1(VALU_DEP_3)
	v_add_f64 v[131:132], v[131:132], -v[54:55]
	v_add_f64 v[34:35], v[34:35], -v[54:55]
	v_add_f64 v[144:145], v[133:134], v[36:37]
	s_delay_alu instid0(VALU_DEP_3) | instskip(NEXT) | instid1(VALU_DEP_2)
	v_add_f64 v[48:49], v[48:49], -v[131:132]
	v_add_f64 v[54:55], v[144:145], -v[133:134]
	s_delay_alu instid0(VALU_DEP_2) | instskip(NEXT) | instid1(VALU_DEP_2)
	v_add_f64 v[34:35], v[34:35], v[48:49]
	v_add_f64 v[36:37], v[36:37], -v[54:55]
	s_delay_alu instid0(VALU_DEP_1) | instskip(NEXT) | instid1(VALU_DEP_1)
	v_add_f64 v[34:35], v[34:35], v[36:37]
	v_add_f64 v[34:35], v[144:145], v[34:35]
	s_delay_alu instid0(VALU_DEP_1) | instskip(SKIP_1) | instid1(VALU_DEP_2)
	v_dual_cndmask_b32 v35, v35, v3 :: v_dual_cndmask_b32 v34, v34, v2
	v_cmp_ngt_f64_e32 vcc_lo, -1.0, v[2:3]
	v_cndmask_b32_e32 v35, 0x7ff80000, v35, vcc_lo
	v_cmp_nge_f64_e32 vcc_lo, -1.0, v[2:3]
	s_delay_alu instid0(VALU_DEP_4) | instskip(SKIP_1) | instid1(VALU_DEP_4)
	v_cndmask_b32_e32 v34, 0, v34, vcc_lo
	v_cmp_neq_f64_e32 vcc_lo, -1.0, v[2:3]
	v_cndmask_b32_e32 v35, 0xfff00000, v35, vcc_lo
	s_delay_alu instid0(VALU_DEP_1)
	v_add_f64 v[2:3], v[32:33], v[34:35]
.LBB36_340:
	s_or_b32 exec_lo, exec_lo, s22
	s_delay_alu instid0(VALU_DEP_1) | instskip(SKIP_1) | instid1(VALU_DEP_2)
	v_max_f64 v[32:33], v[2:3], v[2:3]
	v_cmp_u_f64_e32 vcc_lo, v[2:3], v[2:3]
	v_min_f64 v[34:35], v[32:33], v[4:5]
	v_max_f64 v[4:5], v[32:33], v[4:5]
	s_delay_alu instid0(VALU_DEP_2) | instskip(NEXT) | instid1(VALU_DEP_2)
	v_dual_cndmask_b32 v32, v34, v2 :: v_dual_cndmask_b32 v33, v35, v3
	v_dual_cndmask_b32 v5, v5, v3 :: v_dual_cndmask_b32 v4, v4, v2
	s_delay_alu instid0(VALU_DEP_2) | instskip(NEXT) | instid1(VALU_DEP_3)
	v_cndmask_b32_e64 v34, v32, v112, s2
	v_cndmask_b32_e64 v35, v33, v113, s2
	s_delay_alu instid0(VALU_DEP_3) | instskip(NEXT) | instid1(VALU_DEP_4)
	v_cndmask_b32_e64 v33, v5, v113, s2
	v_cndmask_b32_e64 v32, v4, v112, s2
	v_dual_mov_b32 v5, v3 :: v_dual_mov_b32 v4, v2
	s_delay_alu instid0(VALU_DEP_4) | instskip(NEXT) | instid1(VALU_DEP_3)
	v_cmp_class_f64_e64 s1, v[34:35], 0x1f8
	v_cmp_neq_f64_e32 vcc_lo, v[34:35], v[32:33]
	s_delay_alu instid0(VALU_DEP_2) | instskip(NEXT) | instid1(SALU_CYCLE_1)
	s_or_b32 s1, vcc_lo, s1
	s_and_saveexec_b32 s2, s1
	s_cbranch_execz .LBB36_342
; %bb.341:
	v_add_f64 v[4:5], v[34:35], -v[32:33]
	s_mov_b32 s16, 0x652b82fe
	s_mov_b32 s17, 0x3ff71547
	;; [unrolled: 1-line block ×10, first 2 shown]
	s_delay_alu instid0(VALU_DEP_1) | instskip(SKIP_4) | instid1(VALU_DEP_3)
	v_mul_f64 v[34:35], v[4:5], s[16:17]
	s_mov_b32 s17, 0xbfe62e42
	s_mov_b32 s16, 0xfefa39ef
	v_cmp_nlt_f64_e32 vcc_lo, 0x40900000, v[4:5]
	v_cmp_ngt_f64_e64 s1, 0xc090cc00, v[4:5]
	v_rndne_f64_e32 v[34:35], v[34:35]
	s_delay_alu instid0(VALU_DEP_1) | instskip(SKIP_2) | instid1(VALU_DEP_2)
	v_fma_f64 v[36:37], v[34:35], s[16:17], v[4:5]
	v_cvt_i32_f64_e32 v54, v[34:35]
	s_mov_b32 s17, 0x3fe62e42
	v_fma_f64 v[36:37], v[34:35], s[18:19], v[36:37]
	s_mov_b32 s19, 0x3c7abc9e
	s_waitcnt lgkmcnt(0)
	s_delay_alu instid0(VALU_DEP_1) | instskip(SKIP_4) | instid1(VALU_DEP_1)
	v_fma_f64 v[48:49], v[36:37], s[22:23], s[20:21]
	s_mov_b32 s20, 0x623fde64
	s_mov_b32 s21, 0x3ec71dee
	;; [unrolled: 1-line block ×4, first 2 shown]
	v_fma_f64 v[48:49], v[36:37], v[48:49], s[20:21]
	s_mov_b32 s20, 0x7c89e6b0
	s_mov_b32 s21, 0x3efa0199
	s_delay_alu instid0(VALU_DEP_1) | instid1(SALU_CYCLE_1)
	v_fma_f64 v[48:49], v[36:37], v[48:49], s[20:21]
	s_mov_b32 s20, 0x14761f6e
	s_mov_b32 s21, 0x3f2a01a0
	s_delay_alu instid0(VALU_DEP_1) | instid1(SALU_CYCLE_1)
	;; [unrolled: 4-line block ×7, first 2 shown]
	v_fma_f64 v[48:49], v[36:37], v[48:49], s[20:21]
	s_mov_b32 s21, 0x3fe55555
	s_mov_b32 s20, 0x55555555
	s_delay_alu instid0(VALU_DEP_1) | instskip(NEXT) | instid1(VALU_DEP_1)
	v_fma_f64 v[48:49], v[36:37], v[48:49], 1.0
	v_fma_f64 v[34:35], v[36:37], v[48:49], 1.0
	s_delay_alu instid0(VALU_DEP_1) | instskip(NEXT) | instid1(VALU_DEP_1)
	v_ldexp_f64 v[34:35], v[34:35], v54
	v_cndmask_b32_e32 v35, 0x7ff00000, v35, vcc_lo
	s_and_b32 vcc_lo, s1, vcc_lo
	s_delay_alu instid0(VALU_DEP_1) | instskip(NEXT) | instid1(VALU_DEP_3)
	v_cndmask_b32_e64 v5, 0, v35, s1
	v_cndmask_b32_e32 v4, 0, v34, vcc_lo
	s_delay_alu instid0(VALU_DEP_1) | instskip(NEXT) | instid1(VALU_DEP_1)
	v_add_f64 v[34:35], v[4:5], 1.0
	v_frexp_mant_f64_e32 v[36:37], v[34:35]
	v_frexp_exp_i32_f64_e32 v54, v[34:35]
	v_add_f64 v[48:49], v[34:35], -1.0
	s_delay_alu instid0(VALU_DEP_3) | instskip(SKIP_1) | instid1(VALU_DEP_2)
	v_cmp_gt_f64_e32 vcc_lo, s[20:21], v[36:37]
	s_mov_b32 s20, 0x55555780
	v_add_f64 v[36:37], v[48:49], -v[34:35]
	v_add_f64 v[48:49], v[4:5], -v[48:49]
	v_subrev_co_ci_u32_e32 v160, vcc_lo, 0, v54, vcc_lo
	s_delay_alu instid0(VALU_DEP_3) | instskip(SKIP_1) | instid1(VALU_DEP_3)
	v_add_f64 v[36:37], v[36:37], 1.0
	v_cmp_eq_f64_e32 vcc_lo, 0x7ff00000, v[4:5]
	v_sub_nc_u32_e32 v112, 0, v160
	s_delay_alu instid0(VALU_DEP_1) | instskip(NEXT) | instid1(VALU_DEP_4)
	v_ldexp_f64 v[34:35], v[34:35], v112
	v_add_f64 v[36:37], v[48:49], v[36:37]
	s_delay_alu instid0(VALU_DEP_2) | instskip(SKIP_1) | instid1(VALU_DEP_3)
	v_add_f64 v[54:55], v[34:35], 1.0
	v_add_f64 v[133:134], v[34:35], -1.0
	v_ldexp_f64 v[36:37], v[36:37], v112
	s_delay_alu instid0(VALU_DEP_3) | instskip(NEXT) | instid1(VALU_DEP_3)
	v_add_f64 v[48:49], v[54:55], -1.0
	v_add_f64 v[144:145], v[133:134], 1.0
	s_delay_alu instid0(VALU_DEP_2) | instskip(NEXT) | instid1(VALU_DEP_2)
	v_add_f64 v[48:49], v[34:35], -v[48:49]
	v_add_f64 v[34:35], v[34:35], -v[144:145]
	s_delay_alu instid0(VALU_DEP_2) | instskip(NEXT) | instid1(VALU_DEP_2)
	v_add_f64 v[48:49], v[36:37], v[48:49]
	v_add_f64 v[34:35], v[36:37], v[34:35]
	s_delay_alu instid0(VALU_DEP_2) | instskip(NEXT) | instid1(VALU_DEP_2)
	v_add_f64 v[112:113], v[54:55], v[48:49]
	v_add_f64 v[144:145], v[133:134], v[34:35]
	s_delay_alu instid0(VALU_DEP_2) | instskip(SKIP_1) | instid1(VALU_DEP_2)
	v_rcp_f64_e32 v[131:132], v[112:113]
	v_add_f64 v[54:55], v[112:113], -v[54:55]
	v_add_f64 v[133:134], v[144:145], -v[133:134]
	s_delay_alu instid0(VALU_DEP_2) | instskip(SKIP_3) | instid1(VALU_DEP_2)
	v_add_f64 v[48:49], v[48:49], -v[54:55]
	s_waitcnt_depctr 0xfff
	v_fma_f64 v[146:147], -v[112:113], v[131:132], 1.0
	v_add_f64 v[34:35], v[34:35], -v[133:134]
	v_fma_f64 v[131:132], v[146:147], v[131:132], v[131:132]
	s_delay_alu instid0(VALU_DEP_1) | instskip(NEXT) | instid1(VALU_DEP_1)
	v_fma_f64 v[36:37], -v[112:113], v[131:132], 1.0
	v_fma_f64 v[36:37], v[36:37], v[131:132], v[131:132]
	s_delay_alu instid0(VALU_DEP_1) | instskip(NEXT) | instid1(VALU_DEP_1)
	v_mul_f64 v[131:132], v[144:145], v[36:37]
	v_mul_f64 v[146:147], v[112:113], v[131:132]
	s_delay_alu instid0(VALU_DEP_1) | instskip(NEXT) | instid1(VALU_DEP_1)
	v_fma_f64 v[54:55], v[131:132], v[112:113], -v[146:147]
	v_fma_f64 v[54:55], v[131:132], v[48:49], v[54:55]
	s_delay_alu instid0(VALU_DEP_1) | instskip(NEXT) | instid1(VALU_DEP_1)
	v_add_f64 v[148:149], v[146:147], v[54:55]
	v_add_f64 v[150:151], v[144:145], -v[148:149]
	v_add_f64 v[133:134], v[148:149], -v[146:147]
	s_delay_alu instid0(VALU_DEP_2) | instskip(NEXT) | instid1(VALU_DEP_2)
	v_add_f64 v[144:145], v[144:145], -v[150:151]
	v_add_f64 v[54:55], v[133:134], -v[54:55]
	s_delay_alu instid0(VALU_DEP_2) | instskip(NEXT) | instid1(VALU_DEP_1)
	v_add_f64 v[144:145], v[144:145], -v[148:149]
	v_add_f64 v[34:35], v[34:35], v[144:145]
	s_delay_alu instid0(VALU_DEP_1) | instskip(NEXT) | instid1(VALU_DEP_1)
	v_add_f64 v[34:35], v[54:55], v[34:35]
	v_add_f64 v[54:55], v[150:151], v[34:35]
	s_delay_alu instid0(VALU_DEP_1) | instskip(SKIP_1) | instid1(VALU_DEP_2)
	v_mul_f64 v[133:134], v[36:37], v[54:55]
	v_add_f64 v[148:149], v[150:151], -v[54:55]
	v_mul_f64 v[144:145], v[112:113], v[133:134]
	s_delay_alu instid0(VALU_DEP_2) | instskip(NEXT) | instid1(VALU_DEP_2)
	v_add_f64 v[34:35], v[34:35], v[148:149]
	v_fma_f64 v[112:113], v[133:134], v[112:113], -v[144:145]
	s_delay_alu instid0(VALU_DEP_1) | instskip(NEXT) | instid1(VALU_DEP_1)
	v_fma_f64 v[48:49], v[133:134], v[48:49], v[112:113]
	v_add_f64 v[112:113], v[144:145], v[48:49]
	s_delay_alu instid0(VALU_DEP_1) | instskip(SKIP_1) | instid1(VALU_DEP_2)
	v_add_f64 v[146:147], v[54:55], -v[112:113]
	v_add_f64 v[144:145], v[112:113], -v[144:145]
	;; [unrolled: 1-line block ×3, first 2 shown]
	s_delay_alu instid0(VALU_DEP_2) | instskip(NEXT) | instid1(VALU_DEP_2)
	v_add_f64 v[48:49], v[144:145], -v[48:49]
	v_add_f64 v[54:55], v[54:55], -v[112:113]
	s_delay_alu instid0(VALU_DEP_1) | instskip(SKIP_1) | instid1(VALU_DEP_2)
	v_add_f64 v[34:35], v[34:35], v[54:55]
	v_add_f64 v[54:55], v[131:132], v[133:134]
	;; [unrolled: 1-line block ×3, first 2 shown]
	s_delay_alu instid0(VALU_DEP_2) | instskip(NEXT) | instid1(VALU_DEP_2)
	v_add_f64 v[48:49], v[54:55], -v[131:132]
	v_add_f64 v[34:35], v[146:147], v[34:35]
	s_delay_alu instid0(VALU_DEP_2) | instskip(NEXT) | instid1(VALU_DEP_2)
	v_add_f64 v[48:49], v[133:134], -v[48:49]
	v_mul_f64 v[34:35], v[36:37], v[34:35]
	s_delay_alu instid0(VALU_DEP_1) | instskip(NEXT) | instid1(VALU_DEP_1)
	v_add_f64 v[34:35], v[48:49], v[34:35]
	v_add_f64 v[36:37], v[54:55], v[34:35]
	s_delay_alu instid0(VALU_DEP_1) | instskip(NEXT) | instid1(VALU_DEP_1)
	v_mul_f64 v[48:49], v[36:37], v[36:37]
	v_fma_f64 v[112:113], v[48:49], s[24:25], s[22:23]
	s_mov_b32 s22, 0xd7f4df2e
	s_mov_b32 s23, 0x3fc7474d
	v_mul_f64 v[131:132], v[36:37], v[48:49]
	s_delay_alu instid0(VALU_DEP_2)
	v_fma_f64 v[112:113], v[48:49], v[112:113], s[22:23]
	s_mov_b32 s22, 0x16291751
	s_mov_b32 s23, 0x3fcc71c0
	s_delay_alu instid0(VALU_DEP_1) | instid1(SALU_CYCLE_1)
	v_fma_f64 v[112:113], v[48:49], v[112:113], s[22:23]
	s_mov_b32 s22, 0x9b27acf1
	s_mov_b32 s23, 0x3fd24924
	s_delay_alu instid0(VALU_DEP_1) | instid1(SALU_CYCLE_1)
	;; [unrolled: 4-line block ×3, first 2 shown]
	v_fma_f64 v[112:113], v[48:49], v[112:113], s[22:23]
	s_delay_alu instid0(VALU_DEP_1) | instskip(SKIP_2) | instid1(VALU_DEP_3)
	v_fma_f64 v[48:49], v[48:49], v[112:113], s[20:21]
	v_ldexp_f64 v[112:113], v[36:37], 1
	v_add_f64 v[36:37], v[36:37], -v[54:55]
	v_mul_f64 v[48:49], v[131:132], v[48:49]
	v_cvt_f64_i32_e32 v[131:132], v160
	s_delay_alu instid0(VALU_DEP_3) | instskip(NEXT) | instid1(VALU_DEP_3)
	v_add_f64 v[34:35], v[34:35], -v[36:37]
	v_add_f64 v[54:55], v[112:113], v[48:49]
	s_delay_alu instid0(VALU_DEP_3) | instskip(NEXT) | instid1(VALU_DEP_3)
	v_mul_f64 v[133:134], v[131:132], s[16:17]
	v_ldexp_f64 v[34:35], v[34:35], 1
	s_delay_alu instid0(VALU_DEP_3) | instskip(NEXT) | instid1(VALU_DEP_3)
	v_add_f64 v[36:37], v[54:55], -v[112:113]
	v_fma_f64 v[112:113], v[131:132], s[16:17], -v[133:134]
	s_delay_alu instid0(VALU_DEP_2) | instskip(NEXT) | instid1(VALU_DEP_2)
	v_add_f64 v[36:37], v[48:49], -v[36:37]
	v_fma_f64 v[48:49], v[131:132], s[18:19], v[112:113]
	s_delay_alu instid0(VALU_DEP_2) | instskip(NEXT) | instid1(VALU_DEP_2)
	v_add_f64 v[34:35], v[34:35], v[36:37]
	v_add_f64 v[36:37], v[133:134], v[48:49]
	s_delay_alu instid0(VALU_DEP_2) | instskip(NEXT) | instid1(VALU_DEP_2)
	v_add_f64 v[112:113], v[54:55], v[34:35]
	v_add_f64 v[133:134], v[36:37], -v[133:134]
	s_delay_alu instid0(VALU_DEP_2) | instskip(SKIP_1) | instid1(VALU_DEP_3)
	v_add_f64 v[131:132], v[36:37], v[112:113]
	v_add_f64 v[54:55], v[112:113], -v[54:55]
	v_add_f64 v[48:49], v[48:49], -v[133:134]
	s_delay_alu instid0(VALU_DEP_3) | instskip(NEXT) | instid1(VALU_DEP_3)
	v_add_f64 v[144:145], v[131:132], -v[36:37]
	v_add_f64 v[34:35], v[34:35], -v[54:55]
	s_delay_alu instid0(VALU_DEP_2) | instskip(SKIP_1) | instid1(VALU_DEP_3)
	v_add_f64 v[146:147], v[131:132], -v[144:145]
	v_add_f64 v[54:55], v[112:113], -v[144:145]
	v_add_f64 v[112:113], v[48:49], v[34:35]
	s_delay_alu instid0(VALU_DEP_3) | instskip(NEXT) | instid1(VALU_DEP_1)
	v_add_f64 v[36:37], v[36:37], -v[146:147]
	v_add_f64 v[36:37], v[54:55], v[36:37]
	s_delay_alu instid0(VALU_DEP_3) | instskip(NEXT) | instid1(VALU_DEP_2)
	v_add_f64 v[54:55], v[112:113], -v[48:49]
	v_add_f64 v[36:37], v[112:113], v[36:37]
	s_delay_alu instid0(VALU_DEP_2) | instskip(SKIP_1) | instid1(VALU_DEP_3)
	v_add_f64 v[112:113], v[112:113], -v[54:55]
	v_add_f64 v[34:35], v[34:35], -v[54:55]
	v_add_f64 v[133:134], v[131:132], v[36:37]
	s_delay_alu instid0(VALU_DEP_3) | instskip(NEXT) | instid1(VALU_DEP_2)
	v_add_f64 v[48:49], v[48:49], -v[112:113]
	v_add_f64 v[54:55], v[133:134], -v[131:132]
	s_delay_alu instid0(VALU_DEP_2) | instskip(NEXT) | instid1(VALU_DEP_2)
	v_add_f64 v[34:35], v[34:35], v[48:49]
	v_add_f64 v[36:37], v[36:37], -v[54:55]
	s_delay_alu instid0(VALU_DEP_1) | instskip(NEXT) | instid1(VALU_DEP_1)
	v_add_f64 v[34:35], v[34:35], v[36:37]
	v_add_f64 v[34:35], v[133:134], v[34:35]
	s_delay_alu instid0(VALU_DEP_1) | instskip(SKIP_1) | instid1(VALU_DEP_2)
	v_dual_cndmask_b32 v35, v35, v5 :: v_dual_cndmask_b32 v34, v34, v4
	v_cmp_ngt_f64_e32 vcc_lo, -1.0, v[4:5]
	v_cndmask_b32_e32 v35, 0x7ff80000, v35, vcc_lo
	v_cmp_nge_f64_e32 vcc_lo, -1.0, v[4:5]
	s_delay_alu instid0(VALU_DEP_4) | instskip(SKIP_1) | instid1(VALU_DEP_4)
	v_cndmask_b32_e32 v34, 0, v34, vcc_lo
	v_cmp_neq_f64_e32 vcc_lo, -1.0, v[4:5]
	v_cndmask_b32_e32 v35, 0xfff00000, v35, vcc_lo
	s_delay_alu instid0(VALU_DEP_1)
	v_add_f64 v[4:5], v[32:33], v[34:35]
.LBB36_342:
	s_or_b32 exec_lo, exec_lo, s2
	s_delay_alu instid0(VALU_DEP_1) | instskip(SKIP_1) | instid1(VALU_DEP_2)
	v_max_f64 v[32:33], v[4:5], v[4:5]
	v_cmp_u_f64_e32 vcc_lo, v[4:5], v[4:5]
	v_min_f64 v[34:35], v[32:33], v[6:7]
	v_max_f64 v[6:7], v[32:33], v[6:7]
	s_delay_alu instid0(VALU_DEP_2) | instskip(NEXT) | instid1(VALU_DEP_2)
	v_dual_cndmask_b32 v32, v34, v4 :: v_dual_cndmask_b32 v33, v35, v5
	v_dual_cndmask_b32 v7, v7, v5 :: v_dual_cndmask_b32 v6, v6, v4
	s_delay_alu instid0(VALU_DEP_2) | instskip(NEXT) | instid1(VALU_DEP_3)
	v_cndmask_b32_e64 v34, v32, v114, s3
	v_cndmask_b32_e64 v35, v33, v115, s3
	s_delay_alu instid0(VALU_DEP_3) | instskip(NEXT) | instid1(VALU_DEP_4)
	v_cndmask_b32_e64 v33, v7, v115, s3
	v_cndmask_b32_e64 v32, v6, v114, s3
	v_dual_mov_b32 v7, v5 :: v_dual_mov_b32 v6, v4
	s_delay_alu instid0(VALU_DEP_4) | instskip(NEXT) | instid1(VALU_DEP_3)
	v_cmp_class_f64_e64 s1, v[34:35], 0x1f8
	v_cmp_neq_f64_e32 vcc_lo, v[34:35], v[32:33]
	s_delay_alu instid0(VALU_DEP_2) | instskip(NEXT) | instid1(SALU_CYCLE_1)
	s_or_b32 s1, vcc_lo, s1
	s_and_saveexec_b32 s20, s1
	s_cbranch_execz .LBB36_344
; %bb.343:
	v_add_f64 v[6:7], v[34:35], -v[32:33]
	s_mov_b32 s2, 0x652b82fe
	s_mov_b32 s3, 0x3ff71547
	;; [unrolled: 1-line block ×10, first 2 shown]
	s_delay_alu instid0(VALU_DEP_1) | instskip(SKIP_4) | instid1(VALU_DEP_3)
	v_mul_f64 v[34:35], v[6:7], s[2:3]
	s_mov_b32 s3, 0xbfe62e42
	s_mov_b32 s2, 0xfefa39ef
	v_cmp_nlt_f64_e32 vcc_lo, 0x40900000, v[6:7]
	v_cmp_ngt_f64_e64 s1, 0xc090cc00, v[6:7]
	v_rndne_f64_e32 v[34:35], v[34:35]
	s_delay_alu instid0(VALU_DEP_1) | instskip(SKIP_2) | instid1(VALU_DEP_2)
	v_fma_f64 v[36:37], v[34:35], s[2:3], v[6:7]
	v_cvt_i32_f64_e32 v54, v[34:35]
	s_mov_b32 s3, 0x3fe62e42
	v_fma_f64 v[36:37], v[34:35], s[16:17], v[36:37]
	s_mov_b32 s17, 0x3c7abc9e
	s_waitcnt lgkmcnt(0)
	s_delay_alu instid0(VALU_DEP_1) | instskip(SKIP_4) | instid1(VALU_DEP_1)
	v_fma_f64 v[48:49], v[36:37], s[22:23], s[18:19]
	s_mov_b32 s18, 0x623fde64
	s_mov_b32 s19, 0x3ec71dee
	;; [unrolled: 1-line block ×4, first 2 shown]
	v_fma_f64 v[48:49], v[36:37], v[48:49], s[18:19]
	s_mov_b32 s18, 0x7c89e6b0
	s_mov_b32 s19, 0x3efa0199
	s_delay_alu instid0(VALU_DEP_1) | instid1(SALU_CYCLE_1)
	v_fma_f64 v[48:49], v[36:37], v[48:49], s[18:19]
	s_mov_b32 s18, 0x14761f6e
	s_mov_b32 s19, 0x3f2a01a0
	s_delay_alu instid0(VALU_DEP_1) | instid1(SALU_CYCLE_1)
	;; [unrolled: 4-line block ×7, first 2 shown]
	v_fma_f64 v[48:49], v[36:37], v[48:49], s[18:19]
	s_mov_b32 s19, 0x3fe55555
	s_mov_b32 s18, 0x55555555
	s_delay_alu instid0(VALU_DEP_1) | instskip(NEXT) | instid1(VALU_DEP_1)
	v_fma_f64 v[48:49], v[36:37], v[48:49], 1.0
	v_fma_f64 v[34:35], v[36:37], v[48:49], 1.0
	s_delay_alu instid0(VALU_DEP_1) | instskip(NEXT) | instid1(VALU_DEP_1)
	v_ldexp_f64 v[34:35], v[34:35], v54
	v_cndmask_b32_e32 v35, 0x7ff00000, v35, vcc_lo
	s_and_b32 vcc_lo, s1, vcc_lo
	s_delay_alu instid0(VALU_DEP_1) | instskip(NEXT) | instid1(VALU_DEP_3)
	v_cndmask_b32_e64 v7, 0, v35, s1
	v_cndmask_b32_e32 v6, 0, v34, vcc_lo
	s_delay_alu instid0(VALU_DEP_1) | instskip(NEXT) | instid1(VALU_DEP_1)
	v_add_f64 v[34:35], v[6:7], 1.0
	v_frexp_mant_f64_e32 v[36:37], v[34:35]
	v_frexp_exp_i32_f64_e32 v54, v[34:35]
	v_add_f64 v[48:49], v[34:35], -1.0
	s_delay_alu instid0(VALU_DEP_3) | instskip(SKIP_1) | instid1(VALU_DEP_2)
	v_cmp_gt_f64_e32 vcc_lo, s[18:19], v[36:37]
	s_mov_b32 s18, 0x55555780
	v_add_f64 v[36:37], v[48:49], -v[34:35]
	v_add_f64 v[48:49], v[6:7], -v[48:49]
	v_subrev_co_ci_u32_e32 v150, vcc_lo, 0, v54, vcc_lo
	s_delay_alu instid0(VALU_DEP_3) | instskip(SKIP_1) | instid1(VALU_DEP_3)
	v_add_f64 v[36:37], v[36:37], 1.0
	v_cmp_eq_f64_e32 vcc_lo, 0x7ff00000, v[6:7]
	v_sub_nc_u32_e32 v112, 0, v150
	s_delay_alu instid0(VALU_DEP_1) | instskip(NEXT) | instid1(VALU_DEP_4)
	v_ldexp_f64 v[34:35], v[34:35], v112
	v_add_f64 v[36:37], v[48:49], v[36:37]
	s_delay_alu instid0(VALU_DEP_2) | instskip(SKIP_1) | instid1(VALU_DEP_3)
	v_add_f64 v[54:55], v[34:35], 1.0
	v_add_f64 v[131:132], v[34:35], -1.0
	v_ldexp_f64 v[36:37], v[36:37], v112
	s_delay_alu instid0(VALU_DEP_3) | instskip(NEXT) | instid1(VALU_DEP_3)
	v_add_f64 v[48:49], v[54:55], -1.0
	v_add_f64 v[133:134], v[131:132], 1.0
	s_delay_alu instid0(VALU_DEP_2) | instskip(NEXT) | instid1(VALU_DEP_2)
	v_add_f64 v[48:49], v[34:35], -v[48:49]
	v_add_f64 v[34:35], v[34:35], -v[133:134]
	s_delay_alu instid0(VALU_DEP_2) | instskip(NEXT) | instid1(VALU_DEP_2)
	v_add_f64 v[48:49], v[36:37], v[48:49]
	v_add_f64 v[34:35], v[36:37], v[34:35]
	s_delay_alu instid0(VALU_DEP_2) | instskip(NEXT) | instid1(VALU_DEP_2)
	v_add_f64 v[112:113], v[54:55], v[48:49]
	v_add_f64 v[133:134], v[131:132], v[34:35]
	s_delay_alu instid0(VALU_DEP_2) | instskip(SKIP_1) | instid1(VALU_DEP_2)
	v_rcp_f64_e32 v[114:115], v[112:113]
	v_add_f64 v[54:55], v[112:113], -v[54:55]
	v_add_f64 v[131:132], v[133:134], -v[131:132]
	s_delay_alu instid0(VALU_DEP_2) | instskip(SKIP_3) | instid1(VALU_DEP_2)
	v_add_f64 v[48:49], v[48:49], -v[54:55]
	s_waitcnt_depctr 0xfff
	v_fma_f64 v[144:145], -v[112:113], v[114:115], 1.0
	v_add_f64 v[34:35], v[34:35], -v[131:132]
	v_fma_f64 v[114:115], v[144:145], v[114:115], v[114:115]
	s_delay_alu instid0(VALU_DEP_1) | instskip(NEXT) | instid1(VALU_DEP_1)
	v_fma_f64 v[36:37], -v[112:113], v[114:115], 1.0
	v_fma_f64 v[36:37], v[36:37], v[114:115], v[114:115]
	s_delay_alu instid0(VALU_DEP_1) | instskip(NEXT) | instid1(VALU_DEP_1)
	v_mul_f64 v[114:115], v[133:134], v[36:37]
	v_mul_f64 v[144:145], v[112:113], v[114:115]
	s_delay_alu instid0(VALU_DEP_1) | instskip(NEXT) | instid1(VALU_DEP_1)
	v_fma_f64 v[54:55], v[114:115], v[112:113], -v[144:145]
	v_fma_f64 v[54:55], v[114:115], v[48:49], v[54:55]
	s_delay_alu instid0(VALU_DEP_1) | instskip(NEXT) | instid1(VALU_DEP_1)
	v_add_f64 v[146:147], v[144:145], v[54:55]
	v_add_f64 v[148:149], v[133:134], -v[146:147]
	v_add_f64 v[131:132], v[146:147], -v[144:145]
	s_delay_alu instid0(VALU_DEP_2) | instskip(NEXT) | instid1(VALU_DEP_2)
	v_add_f64 v[133:134], v[133:134], -v[148:149]
	v_add_f64 v[54:55], v[131:132], -v[54:55]
	s_delay_alu instid0(VALU_DEP_2) | instskip(NEXT) | instid1(VALU_DEP_1)
	v_add_f64 v[133:134], v[133:134], -v[146:147]
	v_add_f64 v[34:35], v[34:35], v[133:134]
	s_delay_alu instid0(VALU_DEP_1) | instskip(NEXT) | instid1(VALU_DEP_1)
	v_add_f64 v[34:35], v[54:55], v[34:35]
	v_add_f64 v[54:55], v[148:149], v[34:35]
	s_delay_alu instid0(VALU_DEP_1) | instskip(SKIP_1) | instid1(VALU_DEP_2)
	v_mul_f64 v[131:132], v[36:37], v[54:55]
	v_add_f64 v[146:147], v[148:149], -v[54:55]
	v_mul_f64 v[133:134], v[112:113], v[131:132]
	s_delay_alu instid0(VALU_DEP_2) | instskip(NEXT) | instid1(VALU_DEP_2)
	v_add_f64 v[34:35], v[34:35], v[146:147]
	v_fma_f64 v[112:113], v[131:132], v[112:113], -v[133:134]
	s_delay_alu instid0(VALU_DEP_1) | instskip(NEXT) | instid1(VALU_DEP_1)
	v_fma_f64 v[48:49], v[131:132], v[48:49], v[112:113]
	v_add_f64 v[112:113], v[133:134], v[48:49]
	s_delay_alu instid0(VALU_DEP_1) | instskip(SKIP_1) | instid1(VALU_DEP_2)
	v_add_f64 v[144:145], v[54:55], -v[112:113]
	v_add_f64 v[133:134], v[112:113], -v[133:134]
	;; [unrolled: 1-line block ×3, first 2 shown]
	s_delay_alu instid0(VALU_DEP_2) | instskip(NEXT) | instid1(VALU_DEP_2)
	v_add_f64 v[48:49], v[133:134], -v[48:49]
	v_add_f64 v[54:55], v[54:55], -v[112:113]
	s_delay_alu instid0(VALU_DEP_1) | instskip(SKIP_1) | instid1(VALU_DEP_2)
	v_add_f64 v[34:35], v[34:35], v[54:55]
	v_add_f64 v[54:55], v[114:115], v[131:132]
	;; [unrolled: 1-line block ×3, first 2 shown]
	s_delay_alu instid0(VALU_DEP_2) | instskip(NEXT) | instid1(VALU_DEP_2)
	v_add_f64 v[48:49], v[54:55], -v[114:115]
	v_add_f64 v[34:35], v[144:145], v[34:35]
	s_delay_alu instid0(VALU_DEP_2) | instskip(NEXT) | instid1(VALU_DEP_2)
	v_add_f64 v[48:49], v[131:132], -v[48:49]
	v_mul_f64 v[34:35], v[36:37], v[34:35]
	s_delay_alu instid0(VALU_DEP_1) | instskip(NEXT) | instid1(VALU_DEP_1)
	v_add_f64 v[34:35], v[48:49], v[34:35]
	v_add_f64 v[36:37], v[54:55], v[34:35]
	s_delay_alu instid0(VALU_DEP_1) | instskip(NEXT) | instid1(VALU_DEP_1)
	v_mul_f64 v[48:49], v[36:37], v[36:37]
	v_fma_f64 v[112:113], v[48:49], s[24:25], s[22:23]
	s_mov_b32 s22, 0xd7f4df2e
	s_mov_b32 s23, 0x3fc7474d
	v_mul_f64 v[114:115], v[36:37], v[48:49]
	s_delay_alu instid0(VALU_DEP_2)
	v_fma_f64 v[112:113], v[48:49], v[112:113], s[22:23]
	s_mov_b32 s22, 0x16291751
	s_mov_b32 s23, 0x3fcc71c0
	s_delay_alu instid0(VALU_DEP_1) | instid1(SALU_CYCLE_1)
	v_fma_f64 v[112:113], v[48:49], v[112:113], s[22:23]
	s_mov_b32 s22, 0x9b27acf1
	s_mov_b32 s23, 0x3fd24924
	s_delay_alu instid0(VALU_DEP_1) | instid1(SALU_CYCLE_1)
	;; [unrolled: 4-line block ×3, first 2 shown]
	v_fma_f64 v[112:113], v[48:49], v[112:113], s[22:23]
	s_delay_alu instid0(VALU_DEP_1) | instskip(SKIP_2) | instid1(VALU_DEP_3)
	v_fma_f64 v[48:49], v[48:49], v[112:113], s[18:19]
	v_ldexp_f64 v[112:113], v[36:37], 1
	v_add_f64 v[36:37], v[36:37], -v[54:55]
	v_mul_f64 v[48:49], v[114:115], v[48:49]
	v_cvt_f64_i32_e32 v[114:115], v150
	s_delay_alu instid0(VALU_DEP_3) | instskip(NEXT) | instid1(VALU_DEP_3)
	v_add_f64 v[34:35], v[34:35], -v[36:37]
	v_add_f64 v[54:55], v[112:113], v[48:49]
	s_delay_alu instid0(VALU_DEP_3) | instskip(NEXT) | instid1(VALU_DEP_3)
	v_mul_f64 v[131:132], v[114:115], s[2:3]
	v_ldexp_f64 v[34:35], v[34:35], 1
	s_delay_alu instid0(VALU_DEP_3) | instskip(NEXT) | instid1(VALU_DEP_3)
	v_add_f64 v[36:37], v[54:55], -v[112:113]
	v_fma_f64 v[112:113], v[114:115], s[2:3], -v[131:132]
	s_delay_alu instid0(VALU_DEP_2) | instskip(NEXT) | instid1(VALU_DEP_2)
	v_add_f64 v[36:37], v[48:49], -v[36:37]
	v_fma_f64 v[48:49], v[114:115], s[16:17], v[112:113]
	s_delay_alu instid0(VALU_DEP_2) | instskip(NEXT) | instid1(VALU_DEP_2)
	v_add_f64 v[34:35], v[34:35], v[36:37]
	v_add_f64 v[36:37], v[131:132], v[48:49]
	s_delay_alu instid0(VALU_DEP_2) | instskip(NEXT) | instid1(VALU_DEP_2)
	v_add_f64 v[112:113], v[54:55], v[34:35]
	v_add_f64 v[131:132], v[36:37], -v[131:132]
	s_delay_alu instid0(VALU_DEP_2) | instskip(SKIP_1) | instid1(VALU_DEP_3)
	v_add_f64 v[114:115], v[36:37], v[112:113]
	v_add_f64 v[54:55], v[112:113], -v[54:55]
	v_add_f64 v[48:49], v[48:49], -v[131:132]
	s_delay_alu instid0(VALU_DEP_3) | instskip(NEXT) | instid1(VALU_DEP_3)
	v_add_f64 v[133:134], v[114:115], -v[36:37]
	v_add_f64 v[34:35], v[34:35], -v[54:55]
	s_delay_alu instid0(VALU_DEP_2) | instskip(SKIP_1) | instid1(VALU_DEP_3)
	v_add_f64 v[144:145], v[114:115], -v[133:134]
	v_add_f64 v[54:55], v[112:113], -v[133:134]
	v_add_f64 v[112:113], v[48:49], v[34:35]
	s_delay_alu instid0(VALU_DEP_3) | instskip(NEXT) | instid1(VALU_DEP_1)
	v_add_f64 v[36:37], v[36:37], -v[144:145]
	v_add_f64 v[36:37], v[54:55], v[36:37]
	s_delay_alu instid0(VALU_DEP_3) | instskip(NEXT) | instid1(VALU_DEP_2)
	v_add_f64 v[54:55], v[112:113], -v[48:49]
	v_add_f64 v[36:37], v[112:113], v[36:37]
	s_delay_alu instid0(VALU_DEP_2) | instskip(SKIP_1) | instid1(VALU_DEP_3)
	v_add_f64 v[112:113], v[112:113], -v[54:55]
	v_add_f64 v[34:35], v[34:35], -v[54:55]
	v_add_f64 v[131:132], v[114:115], v[36:37]
	s_delay_alu instid0(VALU_DEP_3) | instskip(NEXT) | instid1(VALU_DEP_2)
	v_add_f64 v[48:49], v[48:49], -v[112:113]
	v_add_f64 v[54:55], v[131:132], -v[114:115]
	s_delay_alu instid0(VALU_DEP_2) | instskip(NEXT) | instid1(VALU_DEP_2)
	v_add_f64 v[34:35], v[34:35], v[48:49]
	v_add_f64 v[36:37], v[36:37], -v[54:55]
	s_delay_alu instid0(VALU_DEP_1) | instskip(NEXT) | instid1(VALU_DEP_1)
	v_add_f64 v[34:35], v[34:35], v[36:37]
	v_add_f64 v[34:35], v[131:132], v[34:35]
	s_delay_alu instid0(VALU_DEP_1) | instskip(SKIP_1) | instid1(VALU_DEP_2)
	v_dual_cndmask_b32 v35, v35, v7 :: v_dual_cndmask_b32 v34, v34, v6
	v_cmp_ngt_f64_e32 vcc_lo, -1.0, v[6:7]
	v_cndmask_b32_e32 v35, 0x7ff80000, v35, vcc_lo
	v_cmp_nge_f64_e32 vcc_lo, -1.0, v[6:7]
	s_delay_alu instid0(VALU_DEP_4) | instskip(SKIP_1) | instid1(VALU_DEP_4)
	v_cndmask_b32_e32 v34, 0, v34, vcc_lo
	v_cmp_neq_f64_e32 vcc_lo, -1.0, v[6:7]
	v_cndmask_b32_e32 v35, 0xfff00000, v35, vcc_lo
	s_delay_alu instid0(VALU_DEP_1)
	v_add_f64 v[6:7], v[32:33], v[34:35]
.LBB36_344:
	s_or_b32 exec_lo, exec_lo, s20
	s_delay_alu instid0(VALU_DEP_1) | instskip(SKIP_1) | instid1(VALU_DEP_2)
	v_max_f64 v[32:33], v[6:7], v[6:7]
	v_cmp_u_f64_e32 vcc_lo, v[6:7], v[6:7]
	v_min_f64 v[34:35], v[32:33], v[8:9]
	v_max_f64 v[8:9], v[32:33], v[8:9]
	s_delay_alu instid0(VALU_DEP_2) | instskip(NEXT) | instid1(VALU_DEP_2)
	v_dual_cndmask_b32 v32, v34, v6 :: v_dual_cndmask_b32 v33, v35, v7
	v_dual_cndmask_b32 v9, v9, v7 :: v_dual_cndmask_b32 v8, v8, v6
	s_delay_alu instid0(VALU_DEP_2) | instskip(NEXT) | instid1(VALU_DEP_3)
	v_cndmask_b32_e64 v34, v32, v100, s4
	v_cndmask_b32_e64 v35, v33, v101, s4
	s_delay_alu instid0(VALU_DEP_3) | instskip(NEXT) | instid1(VALU_DEP_4)
	v_cndmask_b32_e64 v33, v9, v101, s4
	v_cndmask_b32_e64 v32, v8, v100, s4
	v_dual_mov_b32 v9, v7 :: v_dual_mov_b32 v8, v6
	s_delay_alu instid0(VALU_DEP_4) | instskip(NEXT) | instid1(VALU_DEP_3)
	v_cmp_class_f64_e64 s1, v[34:35], 0x1f8
	v_cmp_neq_f64_e32 vcc_lo, v[34:35], v[32:33]
	s_delay_alu instid0(VALU_DEP_2) | instskip(NEXT) | instid1(SALU_CYCLE_1)
	s_or_b32 s1, vcc_lo, s1
	s_and_saveexec_b32 s4, s1
	s_cbranch_execz .LBB36_346
; %bb.345:
	v_add_f64 v[8:9], v[34:35], -v[32:33]
	s_mov_b32 s2, 0x652b82fe
	s_mov_b32 s3, 0x3ff71547
	;; [unrolled: 1-line block ×10, first 2 shown]
	s_delay_alu instid0(VALU_DEP_1) | instskip(SKIP_4) | instid1(VALU_DEP_3)
	v_mul_f64 v[34:35], v[8:9], s[2:3]
	s_mov_b32 s3, 0xbfe62e42
	s_mov_b32 s2, 0xfefa39ef
	v_cmp_nlt_f64_e32 vcc_lo, 0x40900000, v[8:9]
	v_cmp_ngt_f64_e64 s1, 0xc090cc00, v[8:9]
	v_rndne_f64_e32 v[34:35], v[34:35]
	s_delay_alu instid0(VALU_DEP_1) | instskip(SKIP_2) | instid1(VALU_DEP_2)
	v_fma_f64 v[36:37], v[34:35], s[2:3], v[8:9]
	v_cvt_i32_f64_e32 v54, v[34:35]
	s_mov_b32 s3, 0x3fe62e42
	v_fma_f64 v[36:37], v[34:35], s[16:17], v[36:37]
	s_mov_b32 s17, 0x3c7abc9e
	s_waitcnt lgkmcnt(0)
	s_delay_alu instid0(VALU_DEP_1) | instskip(SKIP_4) | instid1(VALU_DEP_1)
	v_fma_f64 v[48:49], v[36:37], s[20:21], s[18:19]
	s_mov_b32 s18, 0x623fde64
	s_mov_b32 s19, 0x3ec71dee
	;; [unrolled: 1-line block ×4, first 2 shown]
	v_fma_f64 v[48:49], v[36:37], v[48:49], s[18:19]
	s_mov_b32 s18, 0x7c89e6b0
	s_mov_b32 s19, 0x3efa0199
	s_delay_alu instid0(VALU_DEP_1) | instid1(SALU_CYCLE_1)
	v_fma_f64 v[48:49], v[36:37], v[48:49], s[18:19]
	s_mov_b32 s18, 0x14761f6e
	s_mov_b32 s19, 0x3f2a01a0
	s_delay_alu instid0(VALU_DEP_1) | instid1(SALU_CYCLE_1)
	;; [unrolled: 4-line block ×7, first 2 shown]
	v_fma_f64 v[48:49], v[36:37], v[48:49], s[18:19]
	s_mov_b32 s19, 0x3fe55555
	s_mov_b32 s18, 0x55555555
	s_delay_alu instid0(VALU_DEP_1) | instskip(NEXT) | instid1(VALU_DEP_1)
	v_fma_f64 v[48:49], v[36:37], v[48:49], 1.0
	v_fma_f64 v[34:35], v[36:37], v[48:49], 1.0
	s_delay_alu instid0(VALU_DEP_1) | instskip(NEXT) | instid1(VALU_DEP_1)
	v_ldexp_f64 v[34:35], v[34:35], v54
	v_cndmask_b32_e32 v35, 0x7ff00000, v35, vcc_lo
	s_and_b32 vcc_lo, s1, vcc_lo
	s_delay_alu instid0(VALU_DEP_1) | instskip(NEXT) | instid1(VALU_DEP_3)
	v_cndmask_b32_e64 v9, 0, v35, s1
	v_cndmask_b32_e32 v8, 0, v34, vcc_lo
	s_delay_alu instid0(VALU_DEP_1) | instskip(NEXT) | instid1(VALU_DEP_1)
	v_add_f64 v[34:35], v[8:9], 1.0
	v_frexp_mant_f64_e32 v[36:37], v[34:35]
	v_frexp_exp_i32_f64_e32 v54, v[34:35]
	v_add_f64 v[48:49], v[34:35], -1.0
	s_delay_alu instid0(VALU_DEP_3) | instskip(SKIP_1) | instid1(VALU_DEP_2)
	v_cmp_gt_f64_e32 vcc_lo, s[18:19], v[36:37]
	s_mov_b32 s18, 0x55555780
	v_add_f64 v[36:37], v[48:49], -v[34:35]
	v_add_f64 v[48:49], v[8:9], -v[48:49]
	v_subrev_co_ci_u32_e32 v148, vcc_lo, 0, v54, vcc_lo
	s_delay_alu instid0(VALU_DEP_3) | instskip(SKIP_1) | instid1(VALU_DEP_3)
	v_add_f64 v[36:37], v[36:37], 1.0
	v_cmp_eq_f64_e32 vcc_lo, 0x7ff00000, v[8:9]
	v_sub_nc_u32_e32 v100, 0, v148
	s_delay_alu instid0(VALU_DEP_1) | instskip(NEXT) | instid1(VALU_DEP_4)
	v_ldexp_f64 v[34:35], v[34:35], v100
	v_add_f64 v[36:37], v[48:49], v[36:37]
	s_delay_alu instid0(VALU_DEP_2) | instskip(SKIP_1) | instid1(VALU_DEP_3)
	v_add_f64 v[54:55], v[34:35], 1.0
	v_add_f64 v[114:115], v[34:35], -1.0
	v_ldexp_f64 v[36:37], v[36:37], v100
	s_delay_alu instid0(VALU_DEP_3) | instskip(NEXT) | instid1(VALU_DEP_3)
	v_add_f64 v[48:49], v[54:55], -1.0
	v_add_f64 v[131:132], v[114:115], 1.0
	s_delay_alu instid0(VALU_DEP_2) | instskip(NEXT) | instid1(VALU_DEP_2)
	v_add_f64 v[48:49], v[34:35], -v[48:49]
	v_add_f64 v[34:35], v[34:35], -v[131:132]
	s_delay_alu instid0(VALU_DEP_2) | instskip(NEXT) | instid1(VALU_DEP_2)
	v_add_f64 v[48:49], v[36:37], v[48:49]
	v_add_f64 v[34:35], v[36:37], v[34:35]
	s_delay_alu instid0(VALU_DEP_2) | instskip(NEXT) | instid1(VALU_DEP_2)
	v_add_f64 v[100:101], v[54:55], v[48:49]
	v_add_f64 v[131:132], v[114:115], v[34:35]
	s_delay_alu instid0(VALU_DEP_2) | instskip(SKIP_1) | instid1(VALU_DEP_2)
	v_rcp_f64_e32 v[112:113], v[100:101]
	v_add_f64 v[54:55], v[100:101], -v[54:55]
	v_add_f64 v[114:115], v[131:132], -v[114:115]
	s_delay_alu instid0(VALU_DEP_2) | instskip(SKIP_3) | instid1(VALU_DEP_2)
	v_add_f64 v[48:49], v[48:49], -v[54:55]
	s_waitcnt_depctr 0xfff
	v_fma_f64 v[133:134], -v[100:101], v[112:113], 1.0
	v_add_f64 v[34:35], v[34:35], -v[114:115]
	v_fma_f64 v[112:113], v[133:134], v[112:113], v[112:113]
	s_delay_alu instid0(VALU_DEP_1) | instskip(NEXT) | instid1(VALU_DEP_1)
	v_fma_f64 v[36:37], -v[100:101], v[112:113], 1.0
	v_fma_f64 v[36:37], v[36:37], v[112:113], v[112:113]
	s_delay_alu instid0(VALU_DEP_1) | instskip(NEXT) | instid1(VALU_DEP_1)
	v_mul_f64 v[112:113], v[131:132], v[36:37]
	v_mul_f64 v[133:134], v[100:101], v[112:113]
	s_delay_alu instid0(VALU_DEP_1) | instskip(NEXT) | instid1(VALU_DEP_1)
	v_fma_f64 v[54:55], v[112:113], v[100:101], -v[133:134]
	v_fma_f64 v[54:55], v[112:113], v[48:49], v[54:55]
	s_delay_alu instid0(VALU_DEP_1) | instskip(NEXT) | instid1(VALU_DEP_1)
	v_add_f64 v[144:145], v[133:134], v[54:55]
	v_add_f64 v[146:147], v[131:132], -v[144:145]
	v_add_f64 v[114:115], v[144:145], -v[133:134]
	s_delay_alu instid0(VALU_DEP_2) | instskip(NEXT) | instid1(VALU_DEP_2)
	v_add_f64 v[131:132], v[131:132], -v[146:147]
	v_add_f64 v[54:55], v[114:115], -v[54:55]
	s_delay_alu instid0(VALU_DEP_2) | instskip(NEXT) | instid1(VALU_DEP_1)
	v_add_f64 v[131:132], v[131:132], -v[144:145]
	v_add_f64 v[34:35], v[34:35], v[131:132]
	s_delay_alu instid0(VALU_DEP_1) | instskip(NEXT) | instid1(VALU_DEP_1)
	v_add_f64 v[34:35], v[54:55], v[34:35]
	v_add_f64 v[54:55], v[146:147], v[34:35]
	s_delay_alu instid0(VALU_DEP_1) | instskip(SKIP_1) | instid1(VALU_DEP_2)
	v_mul_f64 v[114:115], v[36:37], v[54:55]
	v_add_f64 v[144:145], v[146:147], -v[54:55]
	v_mul_f64 v[131:132], v[100:101], v[114:115]
	s_delay_alu instid0(VALU_DEP_2) | instskip(NEXT) | instid1(VALU_DEP_2)
	v_add_f64 v[34:35], v[34:35], v[144:145]
	v_fma_f64 v[100:101], v[114:115], v[100:101], -v[131:132]
	s_delay_alu instid0(VALU_DEP_1) | instskip(NEXT) | instid1(VALU_DEP_1)
	v_fma_f64 v[48:49], v[114:115], v[48:49], v[100:101]
	v_add_f64 v[100:101], v[131:132], v[48:49]
	s_delay_alu instid0(VALU_DEP_1) | instskip(SKIP_1) | instid1(VALU_DEP_2)
	v_add_f64 v[133:134], v[54:55], -v[100:101]
	v_add_f64 v[131:132], v[100:101], -v[131:132]
	;; [unrolled: 1-line block ×3, first 2 shown]
	s_delay_alu instid0(VALU_DEP_2) | instskip(NEXT) | instid1(VALU_DEP_2)
	v_add_f64 v[48:49], v[131:132], -v[48:49]
	v_add_f64 v[54:55], v[54:55], -v[100:101]
	s_delay_alu instid0(VALU_DEP_1) | instskip(SKIP_1) | instid1(VALU_DEP_2)
	v_add_f64 v[34:35], v[34:35], v[54:55]
	v_add_f64 v[54:55], v[112:113], v[114:115]
	;; [unrolled: 1-line block ×3, first 2 shown]
	s_delay_alu instid0(VALU_DEP_2) | instskip(NEXT) | instid1(VALU_DEP_2)
	v_add_f64 v[48:49], v[54:55], -v[112:113]
	v_add_f64 v[34:35], v[133:134], v[34:35]
	s_delay_alu instid0(VALU_DEP_2) | instskip(NEXT) | instid1(VALU_DEP_2)
	v_add_f64 v[48:49], v[114:115], -v[48:49]
	v_mul_f64 v[34:35], v[36:37], v[34:35]
	s_delay_alu instid0(VALU_DEP_1) | instskip(NEXT) | instid1(VALU_DEP_1)
	v_add_f64 v[34:35], v[48:49], v[34:35]
	v_add_f64 v[36:37], v[54:55], v[34:35]
	s_delay_alu instid0(VALU_DEP_1) | instskip(NEXT) | instid1(VALU_DEP_1)
	v_mul_f64 v[48:49], v[36:37], v[36:37]
	v_fma_f64 v[100:101], v[48:49], s[22:23], s[20:21]
	s_mov_b32 s20, 0xd7f4df2e
	s_mov_b32 s21, 0x3fc7474d
	v_mul_f64 v[112:113], v[36:37], v[48:49]
	s_delay_alu instid0(VALU_DEP_2)
	v_fma_f64 v[100:101], v[48:49], v[100:101], s[20:21]
	s_mov_b32 s20, 0x16291751
	s_mov_b32 s21, 0x3fcc71c0
	s_delay_alu instid0(VALU_DEP_1) | instid1(SALU_CYCLE_1)
	v_fma_f64 v[100:101], v[48:49], v[100:101], s[20:21]
	s_mov_b32 s20, 0x9b27acf1
	s_mov_b32 s21, 0x3fd24924
	s_delay_alu instid0(VALU_DEP_1) | instid1(SALU_CYCLE_1)
	;; [unrolled: 4-line block ×3, first 2 shown]
	v_fma_f64 v[100:101], v[48:49], v[100:101], s[20:21]
	s_delay_alu instid0(VALU_DEP_1) | instskip(SKIP_2) | instid1(VALU_DEP_3)
	v_fma_f64 v[48:49], v[48:49], v[100:101], s[18:19]
	v_ldexp_f64 v[100:101], v[36:37], 1
	v_add_f64 v[36:37], v[36:37], -v[54:55]
	v_mul_f64 v[48:49], v[112:113], v[48:49]
	v_cvt_f64_i32_e32 v[112:113], v148
	s_delay_alu instid0(VALU_DEP_3) | instskip(NEXT) | instid1(VALU_DEP_3)
	v_add_f64 v[34:35], v[34:35], -v[36:37]
	v_add_f64 v[54:55], v[100:101], v[48:49]
	s_delay_alu instid0(VALU_DEP_3) | instskip(NEXT) | instid1(VALU_DEP_3)
	v_mul_f64 v[114:115], v[112:113], s[2:3]
	v_ldexp_f64 v[34:35], v[34:35], 1
	s_delay_alu instid0(VALU_DEP_3) | instskip(NEXT) | instid1(VALU_DEP_3)
	v_add_f64 v[36:37], v[54:55], -v[100:101]
	v_fma_f64 v[100:101], v[112:113], s[2:3], -v[114:115]
	s_delay_alu instid0(VALU_DEP_2) | instskip(NEXT) | instid1(VALU_DEP_2)
	v_add_f64 v[36:37], v[48:49], -v[36:37]
	v_fma_f64 v[48:49], v[112:113], s[16:17], v[100:101]
	s_delay_alu instid0(VALU_DEP_2) | instskip(NEXT) | instid1(VALU_DEP_2)
	v_add_f64 v[34:35], v[34:35], v[36:37]
	v_add_f64 v[36:37], v[114:115], v[48:49]
	s_delay_alu instid0(VALU_DEP_2) | instskip(NEXT) | instid1(VALU_DEP_2)
	v_add_f64 v[100:101], v[54:55], v[34:35]
	v_add_f64 v[114:115], v[36:37], -v[114:115]
	s_delay_alu instid0(VALU_DEP_2) | instskip(SKIP_1) | instid1(VALU_DEP_3)
	v_add_f64 v[112:113], v[36:37], v[100:101]
	v_add_f64 v[54:55], v[100:101], -v[54:55]
	v_add_f64 v[48:49], v[48:49], -v[114:115]
	s_delay_alu instid0(VALU_DEP_3) | instskip(NEXT) | instid1(VALU_DEP_3)
	v_add_f64 v[131:132], v[112:113], -v[36:37]
	v_add_f64 v[34:35], v[34:35], -v[54:55]
	s_delay_alu instid0(VALU_DEP_2) | instskip(SKIP_1) | instid1(VALU_DEP_3)
	v_add_f64 v[133:134], v[112:113], -v[131:132]
	v_add_f64 v[54:55], v[100:101], -v[131:132]
	v_add_f64 v[100:101], v[48:49], v[34:35]
	s_delay_alu instid0(VALU_DEP_3) | instskip(NEXT) | instid1(VALU_DEP_1)
	v_add_f64 v[36:37], v[36:37], -v[133:134]
	v_add_f64 v[36:37], v[54:55], v[36:37]
	s_delay_alu instid0(VALU_DEP_3) | instskip(NEXT) | instid1(VALU_DEP_2)
	v_add_f64 v[54:55], v[100:101], -v[48:49]
	v_add_f64 v[36:37], v[100:101], v[36:37]
	s_delay_alu instid0(VALU_DEP_2) | instskip(SKIP_1) | instid1(VALU_DEP_3)
	v_add_f64 v[100:101], v[100:101], -v[54:55]
	v_add_f64 v[34:35], v[34:35], -v[54:55]
	v_add_f64 v[114:115], v[112:113], v[36:37]
	s_delay_alu instid0(VALU_DEP_3) | instskip(NEXT) | instid1(VALU_DEP_2)
	v_add_f64 v[48:49], v[48:49], -v[100:101]
	v_add_f64 v[54:55], v[114:115], -v[112:113]
	s_delay_alu instid0(VALU_DEP_2) | instskip(NEXT) | instid1(VALU_DEP_2)
	v_add_f64 v[34:35], v[34:35], v[48:49]
	v_add_f64 v[36:37], v[36:37], -v[54:55]
	s_delay_alu instid0(VALU_DEP_1) | instskip(NEXT) | instid1(VALU_DEP_1)
	v_add_f64 v[34:35], v[34:35], v[36:37]
	v_add_f64 v[34:35], v[114:115], v[34:35]
	s_delay_alu instid0(VALU_DEP_1) | instskip(SKIP_1) | instid1(VALU_DEP_2)
	v_dual_cndmask_b32 v35, v35, v9 :: v_dual_cndmask_b32 v34, v34, v8
	v_cmp_ngt_f64_e32 vcc_lo, -1.0, v[8:9]
	v_cndmask_b32_e32 v35, 0x7ff80000, v35, vcc_lo
	v_cmp_nge_f64_e32 vcc_lo, -1.0, v[8:9]
	s_delay_alu instid0(VALU_DEP_4) | instskip(SKIP_1) | instid1(VALU_DEP_4)
	v_cndmask_b32_e32 v34, 0, v34, vcc_lo
	v_cmp_neq_f64_e32 vcc_lo, -1.0, v[8:9]
	v_cndmask_b32_e32 v35, 0xfff00000, v35, vcc_lo
	s_delay_alu instid0(VALU_DEP_1)
	v_add_f64 v[8:9], v[32:33], v[34:35]
.LBB36_346:
	s_or_b32 exec_lo, exec_lo, s4
	s_delay_alu instid0(VALU_DEP_1) | instskip(SKIP_1) | instid1(VALU_DEP_2)
	v_max_f64 v[32:33], v[8:9], v[8:9]
	v_cmp_u_f64_e32 vcc_lo, v[8:9], v[8:9]
	v_min_f64 v[34:35], v[32:33], v[10:11]
	v_max_f64 v[10:11], v[32:33], v[10:11]
	s_delay_alu instid0(VALU_DEP_2) | instskip(NEXT) | instid1(VALU_DEP_2)
	v_dual_cndmask_b32 v32, v34, v8 :: v_dual_cndmask_b32 v33, v35, v9
	v_dual_cndmask_b32 v11, v11, v9 :: v_dual_cndmask_b32 v10, v10, v8
	s_delay_alu instid0(VALU_DEP_2) | instskip(NEXT) | instid1(VALU_DEP_3)
	v_cndmask_b32_e64 v34, v32, v102, s5
	v_cndmask_b32_e64 v35, v33, v103, s5
	s_delay_alu instid0(VALU_DEP_3) | instskip(NEXT) | instid1(VALU_DEP_4)
	v_cndmask_b32_e64 v33, v11, v103, s5
	v_cndmask_b32_e64 v32, v10, v102, s5
	v_dual_mov_b32 v11, v9 :: v_dual_mov_b32 v10, v8
	s_delay_alu instid0(VALU_DEP_4) | instskip(NEXT) | instid1(VALU_DEP_3)
	v_cmp_class_f64_e64 s1, v[34:35], 0x1f8
	v_cmp_neq_f64_e32 vcc_lo, v[34:35], v[32:33]
	s_delay_alu instid0(VALU_DEP_2) | instskip(NEXT) | instid1(SALU_CYCLE_1)
	s_or_b32 s1, vcc_lo, s1
	s_and_saveexec_b32 s18, s1
	s_cbranch_execz .LBB36_348
; %bb.347:
	v_add_f64 v[10:11], v[34:35], -v[32:33]
	s_mov_b32 s2, 0x652b82fe
	s_mov_b32 s3, 0x3ff71547
	;; [unrolled: 1-line block ×10, first 2 shown]
	s_delay_alu instid0(VALU_DEP_1) | instskip(SKIP_4) | instid1(VALU_DEP_3)
	v_mul_f64 v[34:35], v[10:11], s[2:3]
	s_mov_b32 s3, 0xbfe62e42
	s_mov_b32 s2, 0xfefa39ef
	v_cmp_nlt_f64_e32 vcc_lo, 0x40900000, v[10:11]
	v_cmp_ngt_f64_e64 s1, 0xc090cc00, v[10:11]
	v_rndne_f64_e32 v[34:35], v[34:35]
	s_delay_alu instid0(VALU_DEP_1) | instskip(SKIP_2) | instid1(VALU_DEP_2)
	v_fma_f64 v[36:37], v[34:35], s[2:3], v[10:11]
	v_cvt_i32_f64_e32 v54, v[34:35]
	s_mov_b32 s3, 0x3fe62e42
	v_fma_f64 v[36:37], v[34:35], s[4:5], v[36:37]
	s_mov_b32 s5, 0x3c7abc9e
	s_waitcnt lgkmcnt(0)
	s_delay_alu instid0(VALU_DEP_1) | instskip(SKIP_4) | instid1(VALU_DEP_1)
	v_fma_f64 v[48:49], v[36:37], s[20:21], s[16:17]
	s_mov_b32 s16, 0x623fde64
	s_mov_b32 s17, 0x3ec71dee
	s_mov_b32 s20, 0x6b47b09a
	s_mov_b32 s21, 0x3fc38538
	v_fma_f64 v[48:49], v[36:37], v[48:49], s[16:17]
	s_mov_b32 s16, 0x7c89e6b0
	s_mov_b32 s17, 0x3efa0199
	s_delay_alu instid0(VALU_DEP_1) | instid1(SALU_CYCLE_1)
	v_fma_f64 v[48:49], v[36:37], v[48:49], s[16:17]
	s_mov_b32 s16, 0x14761f6e
	s_mov_b32 s17, 0x3f2a01a0
	s_delay_alu instid0(VALU_DEP_1) | instid1(SALU_CYCLE_1)
	;; [unrolled: 4-line block ×7, first 2 shown]
	v_fma_f64 v[48:49], v[36:37], v[48:49], s[16:17]
	s_mov_b32 s17, 0x3fe55555
	s_mov_b32 s16, 0x55555555
	s_delay_alu instid0(VALU_DEP_1) | instskip(NEXT) | instid1(VALU_DEP_1)
	v_fma_f64 v[48:49], v[36:37], v[48:49], 1.0
	v_fma_f64 v[34:35], v[36:37], v[48:49], 1.0
	s_delay_alu instid0(VALU_DEP_1) | instskip(NEXT) | instid1(VALU_DEP_1)
	v_ldexp_f64 v[34:35], v[34:35], v54
	v_cndmask_b32_e32 v35, 0x7ff00000, v35, vcc_lo
	s_and_b32 vcc_lo, s1, vcc_lo
	s_delay_alu instid0(VALU_DEP_1) | instskip(NEXT) | instid1(VALU_DEP_3)
	v_cndmask_b32_e64 v11, 0, v35, s1
	v_cndmask_b32_e32 v10, 0, v34, vcc_lo
	s_delay_alu instid0(VALU_DEP_1) | instskip(NEXT) | instid1(VALU_DEP_1)
	v_add_f64 v[34:35], v[10:11], 1.0
	v_frexp_mant_f64_e32 v[36:37], v[34:35]
	v_frexp_exp_i32_f64_e32 v54, v[34:35]
	v_add_f64 v[48:49], v[34:35], -1.0
	s_delay_alu instid0(VALU_DEP_3) | instskip(SKIP_1) | instid1(VALU_DEP_2)
	v_cmp_gt_f64_e32 vcc_lo, s[16:17], v[36:37]
	s_mov_b32 s16, 0x55555780
	v_add_f64 v[36:37], v[48:49], -v[34:35]
	v_add_f64 v[48:49], v[10:11], -v[48:49]
	v_subrev_co_ci_u32_e32 v146, vcc_lo, 0, v54, vcc_lo
	s_delay_alu instid0(VALU_DEP_3) | instskip(SKIP_1) | instid1(VALU_DEP_3)
	v_add_f64 v[36:37], v[36:37], 1.0
	v_cmp_eq_f64_e32 vcc_lo, 0x7ff00000, v[10:11]
	v_sub_nc_u32_e32 v100, 0, v146
	s_delay_alu instid0(VALU_DEP_1) | instskip(NEXT) | instid1(VALU_DEP_4)
	v_ldexp_f64 v[34:35], v[34:35], v100
	v_add_f64 v[36:37], v[48:49], v[36:37]
	s_delay_alu instid0(VALU_DEP_2) | instskip(SKIP_1) | instid1(VALU_DEP_3)
	v_add_f64 v[54:55], v[34:35], 1.0
	v_add_f64 v[112:113], v[34:35], -1.0
	v_ldexp_f64 v[36:37], v[36:37], v100
	s_delay_alu instid0(VALU_DEP_3) | instskip(NEXT) | instid1(VALU_DEP_3)
	v_add_f64 v[48:49], v[54:55], -1.0
	v_add_f64 v[114:115], v[112:113], 1.0
	s_delay_alu instid0(VALU_DEP_2) | instskip(NEXT) | instid1(VALU_DEP_2)
	v_add_f64 v[48:49], v[34:35], -v[48:49]
	v_add_f64 v[34:35], v[34:35], -v[114:115]
	s_delay_alu instid0(VALU_DEP_2) | instskip(NEXT) | instid1(VALU_DEP_2)
	v_add_f64 v[48:49], v[36:37], v[48:49]
	v_add_f64 v[34:35], v[36:37], v[34:35]
	s_delay_alu instid0(VALU_DEP_2) | instskip(NEXT) | instid1(VALU_DEP_2)
	v_add_f64 v[100:101], v[54:55], v[48:49]
	v_add_f64 v[114:115], v[112:113], v[34:35]
	s_delay_alu instid0(VALU_DEP_2) | instskip(SKIP_1) | instid1(VALU_DEP_2)
	v_rcp_f64_e32 v[102:103], v[100:101]
	v_add_f64 v[54:55], v[100:101], -v[54:55]
	v_add_f64 v[112:113], v[114:115], -v[112:113]
	s_delay_alu instid0(VALU_DEP_2) | instskip(SKIP_3) | instid1(VALU_DEP_2)
	v_add_f64 v[48:49], v[48:49], -v[54:55]
	s_waitcnt_depctr 0xfff
	v_fma_f64 v[131:132], -v[100:101], v[102:103], 1.0
	v_add_f64 v[34:35], v[34:35], -v[112:113]
	v_fma_f64 v[102:103], v[131:132], v[102:103], v[102:103]
	s_delay_alu instid0(VALU_DEP_1) | instskip(NEXT) | instid1(VALU_DEP_1)
	v_fma_f64 v[36:37], -v[100:101], v[102:103], 1.0
	v_fma_f64 v[36:37], v[36:37], v[102:103], v[102:103]
	s_delay_alu instid0(VALU_DEP_1) | instskip(NEXT) | instid1(VALU_DEP_1)
	v_mul_f64 v[102:103], v[114:115], v[36:37]
	v_mul_f64 v[131:132], v[100:101], v[102:103]
	s_delay_alu instid0(VALU_DEP_1) | instskip(NEXT) | instid1(VALU_DEP_1)
	v_fma_f64 v[54:55], v[102:103], v[100:101], -v[131:132]
	v_fma_f64 v[54:55], v[102:103], v[48:49], v[54:55]
	s_delay_alu instid0(VALU_DEP_1) | instskip(NEXT) | instid1(VALU_DEP_1)
	v_add_f64 v[133:134], v[131:132], v[54:55]
	v_add_f64 v[144:145], v[114:115], -v[133:134]
	v_add_f64 v[112:113], v[133:134], -v[131:132]
	s_delay_alu instid0(VALU_DEP_2) | instskip(NEXT) | instid1(VALU_DEP_2)
	v_add_f64 v[114:115], v[114:115], -v[144:145]
	v_add_f64 v[54:55], v[112:113], -v[54:55]
	s_delay_alu instid0(VALU_DEP_2) | instskip(NEXT) | instid1(VALU_DEP_1)
	v_add_f64 v[114:115], v[114:115], -v[133:134]
	v_add_f64 v[34:35], v[34:35], v[114:115]
	s_delay_alu instid0(VALU_DEP_1) | instskip(NEXT) | instid1(VALU_DEP_1)
	v_add_f64 v[34:35], v[54:55], v[34:35]
	v_add_f64 v[54:55], v[144:145], v[34:35]
	s_delay_alu instid0(VALU_DEP_1) | instskip(SKIP_1) | instid1(VALU_DEP_2)
	v_mul_f64 v[112:113], v[36:37], v[54:55]
	v_add_f64 v[133:134], v[144:145], -v[54:55]
	v_mul_f64 v[114:115], v[100:101], v[112:113]
	s_delay_alu instid0(VALU_DEP_2) | instskip(NEXT) | instid1(VALU_DEP_2)
	v_add_f64 v[34:35], v[34:35], v[133:134]
	v_fma_f64 v[100:101], v[112:113], v[100:101], -v[114:115]
	s_delay_alu instid0(VALU_DEP_1) | instskip(NEXT) | instid1(VALU_DEP_1)
	v_fma_f64 v[48:49], v[112:113], v[48:49], v[100:101]
	v_add_f64 v[100:101], v[114:115], v[48:49]
	s_delay_alu instid0(VALU_DEP_1) | instskip(SKIP_1) | instid1(VALU_DEP_2)
	v_add_f64 v[131:132], v[54:55], -v[100:101]
	v_add_f64 v[114:115], v[100:101], -v[114:115]
	;; [unrolled: 1-line block ×3, first 2 shown]
	s_delay_alu instid0(VALU_DEP_2) | instskip(NEXT) | instid1(VALU_DEP_2)
	v_add_f64 v[48:49], v[114:115], -v[48:49]
	v_add_f64 v[54:55], v[54:55], -v[100:101]
	s_delay_alu instid0(VALU_DEP_1) | instskip(SKIP_1) | instid1(VALU_DEP_2)
	v_add_f64 v[34:35], v[34:35], v[54:55]
	v_add_f64 v[54:55], v[102:103], v[112:113]
	;; [unrolled: 1-line block ×3, first 2 shown]
	s_delay_alu instid0(VALU_DEP_2) | instskip(NEXT) | instid1(VALU_DEP_2)
	v_add_f64 v[48:49], v[54:55], -v[102:103]
	v_add_f64 v[34:35], v[131:132], v[34:35]
	s_delay_alu instid0(VALU_DEP_2) | instskip(NEXT) | instid1(VALU_DEP_2)
	v_add_f64 v[48:49], v[112:113], -v[48:49]
	v_mul_f64 v[34:35], v[36:37], v[34:35]
	s_delay_alu instid0(VALU_DEP_1) | instskip(NEXT) | instid1(VALU_DEP_1)
	v_add_f64 v[34:35], v[48:49], v[34:35]
	v_add_f64 v[36:37], v[54:55], v[34:35]
	s_delay_alu instid0(VALU_DEP_1) | instskip(NEXT) | instid1(VALU_DEP_1)
	v_mul_f64 v[48:49], v[36:37], v[36:37]
	v_fma_f64 v[100:101], v[48:49], s[22:23], s[20:21]
	s_mov_b32 s20, 0xd7f4df2e
	s_mov_b32 s21, 0x3fc7474d
	v_mul_f64 v[102:103], v[36:37], v[48:49]
	s_delay_alu instid0(VALU_DEP_2)
	v_fma_f64 v[100:101], v[48:49], v[100:101], s[20:21]
	s_mov_b32 s20, 0x16291751
	s_mov_b32 s21, 0x3fcc71c0
	s_delay_alu instid0(VALU_DEP_1) | instid1(SALU_CYCLE_1)
	v_fma_f64 v[100:101], v[48:49], v[100:101], s[20:21]
	s_mov_b32 s20, 0x9b27acf1
	s_mov_b32 s21, 0x3fd24924
	s_delay_alu instid0(VALU_DEP_1) | instid1(SALU_CYCLE_1)
	;; [unrolled: 4-line block ×3, first 2 shown]
	v_fma_f64 v[100:101], v[48:49], v[100:101], s[20:21]
	s_delay_alu instid0(VALU_DEP_1) | instskip(SKIP_2) | instid1(VALU_DEP_3)
	v_fma_f64 v[48:49], v[48:49], v[100:101], s[16:17]
	v_ldexp_f64 v[100:101], v[36:37], 1
	v_add_f64 v[36:37], v[36:37], -v[54:55]
	v_mul_f64 v[48:49], v[102:103], v[48:49]
	v_cvt_f64_i32_e32 v[102:103], v146
	s_delay_alu instid0(VALU_DEP_3) | instskip(NEXT) | instid1(VALU_DEP_3)
	v_add_f64 v[34:35], v[34:35], -v[36:37]
	v_add_f64 v[54:55], v[100:101], v[48:49]
	s_delay_alu instid0(VALU_DEP_3) | instskip(NEXT) | instid1(VALU_DEP_3)
	v_mul_f64 v[112:113], v[102:103], s[2:3]
	v_ldexp_f64 v[34:35], v[34:35], 1
	s_delay_alu instid0(VALU_DEP_3) | instskip(NEXT) | instid1(VALU_DEP_3)
	v_add_f64 v[36:37], v[54:55], -v[100:101]
	v_fma_f64 v[100:101], v[102:103], s[2:3], -v[112:113]
	s_delay_alu instid0(VALU_DEP_2) | instskip(NEXT) | instid1(VALU_DEP_2)
	v_add_f64 v[36:37], v[48:49], -v[36:37]
	v_fma_f64 v[48:49], v[102:103], s[4:5], v[100:101]
	s_delay_alu instid0(VALU_DEP_2) | instskip(NEXT) | instid1(VALU_DEP_2)
	v_add_f64 v[34:35], v[34:35], v[36:37]
	v_add_f64 v[36:37], v[112:113], v[48:49]
	s_delay_alu instid0(VALU_DEP_2) | instskip(NEXT) | instid1(VALU_DEP_2)
	v_add_f64 v[100:101], v[54:55], v[34:35]
	v_add_f64 v[112:113], v[36:37], -v[112:113]
	s_delay_alu instid0(VALU_DEP_2) | instskip(SKIP_1) | instid1(VALU_DEP_3)
	v_add_f64 v[102:103], v[36:37], v[100:101]
	v_add_f64 v[54:55], v[100:101], -v[54:55]
	v_add_f64 v[48:49], v[48:49], -v[112:113]
	s_delay_alu instid0(VALU_DEP_3) | instskip(NEXT) | instid1(VALU_DEP_3)
	v_add_f64 v[114:115], v[102:103], -v[36:37]
	v_add_f64 v[34:35], v[34:35], -v[54:55]
	s_delay_alu instid0(VALU_DEP_2) | instskip(SKIP_1) | instid1(VALU_DEP_3)
	v_add_f64 v[131:132], v[102:103], -v[114:115]
	v_add_f64 v[54:55], v[100:101], -v[114:115]
	v_add_f64 v[100:101], v[48:49], v[34:35]
	s_delay_alu instid0(VALU_DEP_3) | instskip(NEXT) | instid1(VALU_DEP_1)
	v_add_f64 v[36:37], v[36:37], -v[131:132]
	v_add_f64 v[36:37], v[54:55], v[36:37]
	s_delay_alu instid0(VALU_DEP_3) | instskip(NEXT) | instid1(VALU_DEP_2)
	v_add_f64 v[54:55], v[100:101], -v[48:49]
	v_add_f64 v[36:37], v[100:101], v[36:37]
	s_delay_alu instid0(VALU_DEP_2) | instskip(SKIP_1) | instid1(VALU_DEP_3)
	v_add_f64 v[100:101], v[100:101], -v[54:55]
	v_add_f64 v[34:35], v[34:35], -v[54:55]
	v_add_f64 v[112:113], v[102:103], v[36:37]
	s_delay_alu instid0(VALU_DEP_3) | instskip(NEXT) | instid1(VALU_DEP_2)
	v_add_f64 v[48:49], v[48:49], -v[100:101]
	v_add_f64 v[54:55], v[112:113], -v[102:103]
	s_delay_alu instid0(VALU_DEP_2) | instskip(NEXT) | instid1(VALU_DEP_2)
	v_add_f64 v[34:35], v[34:35], v[48:49]
	v_add_f64 v[36:37], v[36:37], -v[54:55]
	s_delay_alu instid0(VALU_DEP_1) | instskip(NEXT) | instid1(VALU_DEP_1)
	v_add_f64 v[34:35], v[34:35], v[36:37]
	v_add_f64 v[34:35], v[112:113], v[34:35]
	s_delay_alu instid0(VALU_DEP_1) | instskip(SKIP_1) | instid1(VALU_DEP_2)
	v_dual_cndmask_b32 v35, v35, v11 :: v_dual_cndmask_b32 v34, v34, v10
	v_cmp_ngt_f64_e32 vcc_lo, -1.0, v[10:11]
	v_cndmask_b32_e32 v35, 0x7ff80000, v35, vcc_lo
	v_cmp_nge_f64_e32 vcc_lo, -1.0, v[10:11]
	s_delay_alu instid0(VALU_DEP_4) | instskip(SKIP_1) | instid1(VALU_DEP_4)
	v_cndmask_b32_e32 v34, 0, v34, vcc_lo
	v_cmp_neq_f64_e32 vcc_lo, -1.0, v[10:11]
	v_cndmask_b32_e32 v35, 0xfff00000, v35, vcc_lo
	s_delay_alu instid0(VALU_DEP_1)
	v_add_f64 v[10:11], v[32:33], v[34:35]
.LBB36_348:
	s_or_b32 exec_lo, exec_lo, s18
	s_delay_alu instid0(VALU_DEP_1) | instskip(SKIP_1) | instid1(VALU_DEP_2)
	v_max_f64 v[32:33], v[10:11], v[10:11]
	v_cmp_u_f64_e32 vcc_lo, v[10:11], v[10:11]
	v_min_f64 v[34:35], v[32:33], v[12:13]
	v_max_f64 v[12:13], v[32:33], v[12:13]
	s_delay_alu instid0(VALU_DEP_2) | instskip(NEXT) | instid1(VALU_DEP_2)
	v_dual_cndmask_b32 v32, v34, v10 :: v_dual_cndmask_b32 v33, v35, v11
	v_dual_cndmask_b32 v13, v13, v11 :: v_dual_cndmask_b32 v12, v12, v10
	s_delay_alu instid0(VALU_DEP_2) | instskip(NEXT) | instid1(VALU_DEP_3)
	v_cndmask_b32_e64 v34, v32, v96, s6
	v_cndmask_b32_e64 v35, v33, v97, s6
	s_delay_alu instid0(VALU_DEP_3) | instskip(NEXT) | instid1(VALU_DEP_4)
	v_cndmask_b32_e64 v33, v13, v97, s6
	v_cndmask_b32_e64 v32, v12, v96, s6
	v_dual_mov_b32 v13, v11 :: v_dual_mov_b32 v12, v10
	s_delay_alu instid0(VALU_DEP_4) | instskip(NEXT) | instid1(VALU_DEP_3)
	v_cmp_class_f64_e64 s1, v[34:35], 0x1f8
	v_cmp_neq_f64_e32 vcc_lo, v[34:35], v[32:33]
	s_delay_alu instid0(VALU_DEP_2) | instskip(NEXT) | instid1(SALU_CYCLE_1)
	s_or_b32 s1, vcc_lo, s1
	s_and_saveexec_b32 s6, s1
	s_cbranch_execz .LBB36_350
; %bb.349:
	v_add_f64 v[12:13], v[34:35], -v[32:33]
	s_mov_b32 s2, 0x652b82fe
	s_mov_b32 s3, 0x3ff71547
	;; [unrolled: 1-line block ×10, first 2 shown]
	s_delay_alu instid0(VALU_DEP_1) | instskip(SKIP_4) | instid1(VALU_DEP_3)
	v_mul_f64 v[34:35], v[12:13], s[2:3]
	s_mov_b32 s3, 0xbfe62e42
	s_mov_b32 s2, 0xfefa39ef
	v_cmp_nlt_f64_e32 vcc_lo, 0x40900000, v[12:13]
	v_cmp_ngt_f64_e64 s1, 0xc090cc00, v[12:13]
	v_rndne_f64_e32 v[34:35], v[34:35]
	s_delay_alu instid0(VALU_DEP_1) | instskip(SKIP_2) | instid1(VALU_DEP_2)
	v_fma_f64 v[36:37], v[34:35], s[2:3], v[12:13]
	v_cvt_i32_f64_e32 v54, v[34:35]
	s_mov_b32 s3, 0x3fe62e42
	v_fma_f64 v[36:37], v[34:35], s[4:5], v[36:37]
	s_mov_b32 s5, 0x3c7abc9e
	s_waitcnt lgkmcnt(0)
	s_delay_alu instid0(VALU_DEP_1) | instskip(SKIP_4) | instid1(VALU_DEP_1)
	v_fma_f64 v[48:49], v[36:37], s[18:19], s[16:17]
	s_mov_b32 s16, 0x623fde64
	s_mov_b32 s17, 0x3ec71dee
	;; [unrolled: 1-line block ×4, first 2 shown]
	v_fma_f64 v[48:49], v[36:37], v[48:49], s[16:17]
	s_mov_b32 s16, 0x7c89e6b0
	s_mov_b32 s17, 0x3efa0199
	s_delay_alu instid0(VALU_DEP_1) | instid1(SALU_CYCLE_1)
	v_fma_f64 v[48:49], v[36:37], v[48:49], s[16:17]
	s_mov_b32 s16, 0x14761f6e
	s_mov_b32 s17, 0x3f2a01a0
	s_delay_alu instid0(VALU_DEP_1) | instid1(SALU_CYCLE_1)
	;; [unrolled: 4-line block ×7, first 2 shown]
	v_fma_f64 v[48:49], v[36:37], v[48:49], s[16:17]
	s_mov_b32 s17, 0x3fe55555
	s_mov_b32 s16, 0x55555555
	s_delay_alu instid0(VALU_DEP_1) | instskip(NEXT) | instid1(VALU_DEP_1)
	v_fma_f64 v[48:49], v[36:37], v[48:49], 1.0
	v_fma_f64 v[34:35], v[36:37], v[48:49], 1.0
	s_delay_alu instid0(VALU_DEP_1) | instskip(NEXT) | instid1(VALU_DEP_1)
	v_ldexp_f64 v[34:35], v[34:35], v54
	v_cndmask_b32_e32 v35, 0x7ff00000, v35, vcc_lo
	s_and_b32 vcc_lo, s1, vcc_lo
	s_delay_alu instid0(VALU_DEP_1) | instskip(NEXT) | instid1(VALU_DEP_3)
	v_cndmask_b32_e64 v13, 0, v35, s1
	v_cndmask_b32_e32 v12, 0, v34, vcc_lo
	s_delay_alu instid0(VALU_DEP_1) | instskip(NEXT) | instid1(VALU_DEP_1)
	v_add_f64 v[34:35], v[12:13], 1.0
	v_frexp_mant_f64_e32 v[36:37], v[34:35]
	v_frexp_exp_i32_f64_e32 v54, v[34:35]
	v_add_f64 v[48:49], v[34:35], -1.0
	s_delay_alu instid0(VALU_DEP_3) | instskip(SKIP_1) | instid1(VALU_DEP_2)
	v_cmp_gt_f64_e32 vcc_lo, s[16:17], v[36:37]
	s_mov_b32 s16, 0x55555780
	v_add_f64 v[36:37], v[48:49], -v[34:35]
	v_add_f64 v[48:49], v[12:13], -v[48:49]
	v_subrev_co_ci_u32_e32 v144, vcc_lo, 0, v54, vcc_lo
	s_delay_alu instid0(VALU_DEP_3) | instskip(SKIP_1) | instid1(VALU_DEP_3)
	v_add_f64 v[36:37], v[36:37], 1.0
	v_cmp_eq_f64_e32 vcc_lo, 0x7ff00000, v[12:13]
	v_sub_nc_u32_e32 v96, 0, v144
	s_delay_alu instid0(VALU_DEP_1) | instskip(NEXT) | instid1(VALU_DEP_4)
	v_ldexp_f64 v[34:35], v[34:35], v96
	v_add_f64 v[36:37], v[48:49], v[36:37]
	s_delay_alu instid0(VALU_DEP_2) | instskip(SKIP_1) | instid1(VALU_DEP_3)
	v_add_f64 v[54:55], v[34:35], 1.0
	v_add_f64 v[102:103], v[34:35], -1.0
	v_ldexp_f64 v[36:37], v[36:37], v96
	s_delay_alu instid0(VALU_DEP_3) | instskip(NEXT) | instid1(VALU_DEP_3)
	v_add_f64 v[48:49], v[54:55], -1.0
	v_add_f64 v[112:113], v[102:103], 1.0
	s_delay_alu instid0(VALU_DEP_2) | instskip(NEXT) | instid1(VALU_DEP_2)
	v_add_f64 v[48:49], v[34:35], -v[48:49]
	v_add_f64 v[34:35], v[34:35], -v[112:113]
	s_delay_alu instid0(VALU_DEP_2) | instskip(NEXT) | instid1(VALU_DEP_2)
	v_add_f64 v[48:49], v[36:37], v[48:49]
	v_add_f64 v[34:35], v[36:37], v[34:35]
	s_delay_alu instid0(VALU_DEP_2) | instskip(NEXT) | instid1(VALU_DEP_2)
	v_add_f64 v[96:97], v[54:55], v[48:49]
	v_add_f64 v[112:113], v[102:103], v[34:35]
	s_delay_alu instid0(VALU_DEP_2) | instskip(SKIP_1) | instid1(VALU_DEP_2)
	v_rcp_f64_e32 v[100:101], v[96:97]
	v_add_f64 v[54:55], v[96:97], -v[54:55]
	v_add_f64 v[102:103], v[112:113], -v[102:103]
	s_delay_alu instid0(VALU_DEP_2) | instskip(SKIP_3) | instid1(VALU_DEP_2)
	v_add_f64 v[48:49], v[48:49], -v[54:55]
	s_waitcnt_depctr 0xfff
	v_fma_f64 v[114:115], -v[96:97], v[100:101], 1.0
	v_add_f64 v[34:35], v[34:35], -v[102:103]
	v_fma_f64 v[100:101], v[114:115], v[100:101], v[100:101]
	s_delay_alu instid0(VALU_DEP_1) | instskip(NEXT) | instid1(VALU_DEP_1)
	v_fma_f64 v[36:37], -v[96:97], v[100:101], 1.0
	v_fma_f64 v[36:37], v[36:37], v[100:101], v[100:101]
	s_delay_alu instid0(VALU_DEP_1) | instskip(NEXT) | instid1(VALU_DEP_1)
	v_mul_f64 v[100:101], v[112:113], v[36:37]
	v_mul_f64 v[114:115], v[96:97], v[100:101]
	s_delay_alu instid0(VALU_DEP_1) | instskip(NEXT) | instid1(VALU_DEP_1)
	v_fma_f64 v[54:55], v[100:101], v[96:97], -v[114:115]
	v_fma_f64 v[54:55], v[100:101], v[48:49], v[54:55]
	s_delay_alu instid0(VALU_DEP_1) | instskip(NEXT) | instid1(VALU_DEP_1)
	v_add_f64 v[131:132], v[114:115], v[54:55]
	v_add_f64 v[133:134], v[112:113], -v[131:132]
	v_add_f64 v[102:103], v[131:132], -v[114:115]
	s_delay_alu instid0(VALU_DEP_2) | instskip(NEXT) | instid1(VALU_DEP_2)
	v_add_f64 v[112:113], v[112:113], -v[133:134]
	v_add_f64 v[54:55], v[102:103], -v[54:55]
	s_delay_alu instid0(VALU_DEP_2) | instskip(NEXT) | instid1(VALU_DEP_1)
	v_add_f64 v[112:113], v[112:113], -v[131:132]
	v_add_f64 v[34:35], v[34:35], v[112:113]
	s_delay_alu instid0(VALU_DEP_1) | instskip(NEXT) | instid1(VALU_DEP_1)
	v_add_f64 v[34:35], v[54:55], v[34:35]
	v_add_f64 v[54:55], v[133:134], v[34:35]
	s_delay_alu instid0(VALU_DEP_1) | instskip(SKIP_1) | instid1(VALU_DEP_2)
	v_mul_f64 v[102:103], v[36:37], v[54:55]
	v_add_f64 v[131:132], v[133:134], -v[54:55]
	v_mul_f64 v[112:113], v[96:97], v[102:103]
	s_delay_alu instid0(VALU_DEP_2) | instskip(NEXT) | instid1(VALU_DEP_2)
	v_add_f64 v[34:35], v[34:35], v[131:132]
	v_fma_f64 v[96:97], v[102:103], v[96:97], -v[112:113]
	s_delay_alu instid0(VALU_DEP_1) | instskip(NEXT) | instid1(VALU_DEP_1)
	v_fma_f64 v[48:49], v[102:103], v[48:49], v[96:97]
	v_add_f64 v[96:97], v[112:113], v[48:49]
	s_delay_alu instid0(VALU_DEP_1) | instskip(SKIP_1) | instid1(VALU_DEP_2)
	v_add_f64 v[114:115], v[54:55], -v[96:97]
	v_add_f64 v[112:113], v[96:97], -v[112:113]
	;; [unrolled: 1-line block ×3, first 2 shown]
	s_delay_alu instid0(VALU_DEP_2) | instskip(NEXT) | instid1(VALU_DEP_2)
	v_add_f64 v[48:49], v[112:113], -v[48:49]
	v_add_f64 v[54:55], v[54:55], -v[96:97]
	s_delay_alu instid0(VALU_DEP_1) | instskip(SKIP_1) | instid1(VALU_DEP_2)
	v_add_f64 v[34:35], v[34:35], v[54:55]
	v_add_f64 v[54:55], v[100:101], v[102:103]
	;; [unrolled: 1-line block ×3, first 2 shown]
	s_delay_alu instid0(VALU_DEP_2) | instskip(NEXT) | instid1(VALU_DEP_2)
	v_add_f64 v[48:49], v[54:55], -v[100:101]
	v_add_f64 v[34:35], v[114:115], v[34:35]
	s_delay_alu instid0(VALU_DEP_2) | instskip(NEXT) | instid1(VALU_DEP_2)
	v_add_f64 v[48:49], v[102:103], -v[48:49]
	v_mul_f64 v[34:35], v[36:37], v[34:35]
	s_delay_alu instid0(VALU_DEP_1) | instskip(NEXT) | instid1(VALU_DEP_1)
	v_add_f64 v[34:35], v[48:49], v[34:35]
	v_add_f64 v[36:37], v[54:55], v[34:35]
	s_delay_alu instid0(VALU_DEP_1) | instskip(NEXT) | instid1(VALU_DEP_1)
	v_mul_f64 v[48:49], v[36:37], v[36:37]
	v_fma_f64 v[96:97], v[48:49], s[20:21], s[18:19]
	s_mov_b32 s18, 0xd7f4df2e
	s_mov_b32 s19, 0x3fc7474d
	v_mul_f64 v[100:101], v[36:37], v[48:49]
	s_delay_alu instid0(VALU_DEP_2)
	v_fma_f64 v[96:97], v[48:49], v[96:97], s[18:19]
	s_mov_b32 s18, 0x16291751
	s_mov_b32 s19, 0x3fcc71c0
	s_delay_alu instid0(VALU_DEP_1) | instid1(SALU_CYCLE_1)
	v_fma_f64 v[96:97], v[48:49], v[96:97], s[18:19]
	s_mov_b32 s18, 0x9b27acf1
	s_mov_b32 s19, 0x3fd24924
	s_delay_alu instid0(VALU_DEP_1) | instid1(SALU_CYCLE_1)
	;; [unrolled: 4-line block ×3, first 2 shown]
	v_fma_f64 v[96:97], v[48:49], v[96:97], s[18:19]
	s_delay_alu instid0(VALU_DEP_1) | instskip(SKIP_2) | instid1(VALU_DEP_3)
	v_fma_f64 v[48:49], v[48:49], v[96:97], s[16:17]
	v_ldexp_f64 v[96:97], v[36:37], 1
	v_add_f64 v[36:37], v[36:37], -v[54:55]
	v_mul_f64 v[48:49], v[100:101], v[48:49]
	v_cvt_f64_i32_e32 v[100:101], v144
	s_delay_alu instid0(VALU_DEP_3) | instskip(NEXT) | instid1(VALU_DEP_3)
	v_add_f64 v[34:35], v[34:35], -v[36:37]
	v_add_f64 v[54:55], v[96:97], v[48:49]
	s_delay_alu instid0(VALU_DEP_3) | instskip(NEXT) | instid1(VALU_DEP_3)
	v_mul_f64 v[102:103], v[100:101], s[2:3]
	v_ldexp_f64 v[34:35], v[34:35], 1
	s_delay_alu instid0(VALU_DEP_3) | instskip(NEXT) | instid1(VALU_DEP_3)
	v_add_f64 v[36:37], v[54:55], -v[96:97]
	v_fma_f64 v[96:97], v[100:101], s[2:3], -v[102:103]
	s_delay_alu instid0(VALU_DEP_2) | instskip(NEXT) | instid1(VALU_DEP_2)
	v_add_f64 v[36:37], v[48:49], -v[36:37]
	v_fma_f64 v[48:49], v[100:101], s[4:5], v[96:97]
	s_delay_alu instid0(VALU_DEP_2) | instskip(NEXT) | instid1(VALU_DEP_2)
	v_add_f64 v[34:35], v[34:35], v[36:37]
	v_add_f64 v[36:37], v[102:103], v[48:49]
	s_delay_alu instid0(VALU_DEP_2) | instskip(NEXT) | instid1(VALU_DEP_2)
	v_add_f64 v[96:97], v[54:55], v[34:35]
	v_add_f64 v[102:103], v[36:37], -v[102:103]
	s_delay_alu instid0(VALU_DEP_2) | instskip(SKIP_1) | instid1(VALU_DEP_3)
	v_add_f64 v[100:101], v[36:37], v[96:97]
	v_add_f64 v[54:55], v[96:97], -v[54:55]
	v_add_f64 v[48:49], v[48:49], -v[102:103]
	s_delay_alu instid0(VALU_DEP_3) | instskip(NEXT) | instid1(VALU_DEP_3)
	v_add_f64 v[112:113], v[100:101], -v[36:37]
	v_add_f64 v[34:35], v[34:35], -v[54:55]
	s_delay_alu instid0(VALU_DEP_2) | instskip(SKIP_1) | instid1(VALU_DEP_3)
	v_add_f64 v[114:115], v[100:101], -v[112:113]
	v_add_f64 v[54:55], v[96:97], -v[112:113]
	v_add_f64 v[96:97], v[48:49], v[34:35]
	s_delay_alu instid0(VALU_DEP_3) | instskip(NEXT) | instid1(VALU_DEP_1)
	v_add_f64 v[36:37], v[36:37], -v[114:115]
	v_add_f64 v[36:37], v[54:55], v[36:37]
	s_delay_alu instid0(VALU_DEP_3) | instskip(NEXT) | instid1(VALU_DEP_2)
	v_add_f64 v[54:55], v[96:97], -v[48:49]
	v_add_f64 v[36:37], v[96:97], v[36:37]
	s_delay_alu instid0(VALU_DEP_2) | instskip(SKIP_1) | instid1(VALU_DEP_3)
	v_add_f64 v[96:97], v[96:97], -v[54:55]
	v_add_f64 v[34:35], v[34:35], -v[54:55]
	v_add_f64 v[102:103], v[100:101], v[36:37]
	s_delay_alu instid0(VALU_DEP_3) | instskip(NEXT) | instid1(VALU_DEP_2)
	v_add_f64 v[48:49], v[48:49], -v[96:97]
	v_add_f64 v[54:55], v[102:103], -v[100:101]
	s_delay_alu instid0(VALU_DEP_2) | instskip(NEXT) | instid1(VALU_DEP_2)
	v_add_f64 v[34:35], v[34:35], v[48:49]
	v_add_f64 v[36:37], v[36:37], -v[54:55]
	s_delay_alu instid0(VALU_DEP_1) | instskip(NEXT) | instid1(VALU_DEP_1)
	v_add_f64 v[34:35], v[34:35], v[36:37]
	v_add_f64 v[34:35], v[102:103], v[34:35]
	s_delay_alu instid0(VALU_DEP_1) | instskip(SKIP_1) | instid1(VALU_DEP_2)
	v_dual_cndmask_b32 v35, v35, v13 :: v_dual_cndmask_b32 v34, v34, v12
	v_cmp_ngt_f64_e32 vcc_lo, -1.0, v[12:13]
	v_cndmask_b32_e32 v35, 0x7ff80000, v35, vcc_lo
	v_cmp_nge_f64_e32 vcc_lo, -1.0, v[12:13]
	s_delay_alu instid0(VALU_DEP_4) | instskip(SKIP_1) | instid1(VALU_DEP_4)
	v_cndmask_b32_e32 v34, 0, v34, vcc_lo
	v_cmp_neq_f64_e32 vcc_lo, -1.0, v[12:13]
	v_cndmask_b32_e32 v35, 0xfff00000, v35, vcc_lo
	s_delay_alu instid0(VALU_DEP_1)
	v_add_f64 v[12:13], v[32:33], v[34:35]
.LBB36_350:
	s_or_b32 exec_lo, exec_lo, s6
	s_delay_alu instid0(VALU_DEP_1) | instskip(SKIP_1) | instid1(VALU_DEP_2)
	v_max_f64 v[32:33], v[12:13], v[12:13]
	v_cmp_u_f64_e32 vcc_lo, v[12:13], v[12:13]
	v_min_f64 v[34:35], v[32:33], v[14:15]
	v_max_f64 v[14:15], v[32:33], v[14:15]
	s_delay_alu instid0(VALU_DEP_2) | instskip(NEXT) | instid1(VALU_DEP_2)
	v_dual_cndmask_b32 v32, v34, v12 :: v_dual_cndmask_b32 v33, v35, v13
	v_dual_cndmask_b32 v15, v15, v13 :: v_dual_cndmask_b32 v14, v14, v12
	s_delay_alu instid0(VALU_DEP_2) | instskip(NEXT) | instid1(VALU_DEP_3)
	v_cndmask_b32_e64 v34, v32, v98, s7
	v_cndmask_b32_e64 v35, v33, v99, s7
	s_delay_alu instid0(VALU_DEP_3) | instskip(NEXT) | instid1(VALU_DEP_4)
	v_cndmask_b32_e64 v33, v15, v99, s7
	v_cndmask_b32_e64 v32, v14, v98, s7
	v_dual_mov_b32 v15, v13 :: v_dual_mov_b32 v14, v12
	s_delay_alu instid0(VALU_DEP_4) | instskip(NEXT) | instid1(VALU_DEP_3)
	v_cmp_class_f64_e64 s1, v[34:35], 0x1f8
	v_cmp_neq_f64_e32 vcc_lo, v[34:35], v[32:33]
	s_delay_alu instid0(VALU_DEP_2) | instskip(NEXT) | instid1(SALU_CYCLE_1)
	s_or_b32 s1, vcc_lo, s1
	s_and_saveexec_b32 s16, s1
	s_cbranch_execz .LBB36_352
; %bb.351:
	v_add_f64 v[14:15], v[34:35], -v[32:33]
	s_mov_b32 s2, 0x652b82fe
	s_mov_b32 s3, 0x3ff71547
	s_mov_b32 s5, 0xbc7abc9e
	s_mov_b32 s4, 0x3b39803f
	s_mov_b32 s6, 0xfca7ab0c
	s_mov_b32 s18, 0x6a5dcb37
	s_mov_b32 s7, 0x3e928af3
	s_mov_b32 s19, 0x3e5ade15
	s_mov_b32 s20, 0xbf559e2b
	s_mov_b32 s21, 0x3fc3ab76
	s_delay_alu instid0(VALU_DEP_1) | instskip(SKIP_4) | instid1(VALU_DEP_3)
	v_mul_f64 v[34:35], v[14:15], s[2:3]
	s_mov_b32 s3, 0xbfe62e42
	s_mov_b32 s2, 0xfefa39ef
	v_cmp_nlt_f64_e32 vcc_lo, 0x40900000, v[14:15]
	v_cmp_ngt_f64_e64 s1, 0xc090cc00, v[14:15]
	v_rndne_f64_e32 v[34:35], v[34:35]
	s_delay_alu instid0(VALU_DEP_1) | instskip(SKIP_2) | instid1(VALU_DEP_2)
	v_fma_f64 v[36:37], v[34:35], s[2:3], v[14:15]
	v_cvt_i32_f64_e32 v54, v[34:35]
	s_mov_b32 s3, 0x3fe62e42
	v_fma_f64 v[36:37], v[34:35], s[4:5], v[36:37]
	s_mov_b32 s5, 0x3c7abc9e
	s_waitcnt lgkmcnt(0)
	s_delay_alu instid0(VALU_DEP_1) | instskip(SKIP_4) | instid1(VALU_DEP_1)
	v_fma_f64 v[48:49], v[36:37], s[18:19], s[6:7]
	s_mov_b32 s6, 0x623fde64
	s_mov_b32 s7, 0x3ec71dee
	;; [unrolled: 1-line block ×4, first 2 shown]
	v_fma_f64 v[48:49], v[36:37], v[48:49], s[6:7]
	s_mov_b32 s6, 0x7c89e6b0
	s_mov_b32 s7, 0x3efa0199
	s_delay_alu instid0(VALU_DEP_1) | instid1(SALU_CYCLE_1)
	v_fma_f64 v[48:49], v[36:37], v[48:49], s[6:7]
	s_mov_b32 s6, 0x14761f6e
	s_mov_b32 s7, 0x3f2a01a0
	s_delay_alu instid0(VALU_DEP_1) | instid1(SALU_CYCLE_1)
	;; [unrolled: 4-line block ×7, first 2 shown]
	v_fma_f64 v[48:49], v[36:37], v[48:49], s[6:7]
	s_mov_b32 s7, 0x3fe55555
	s_mov_b32 s6, 0x55555555
	s_delay_alu instid0(VALU_DEP_1) | instskip(NEXT) | instid1(VALU_DEP_1)
	v_fma_f64 v[48:49], v[36:37], v[48:49], 1.0
	v_fma_f64 v[34:35], v[36:37], v[48:49], 1.0
	s_delay_alu instid0(VALU_DEP_1) | instskip(NEXT) | instid1(VALU_DEP_1)
	v_ldexp_f64 v[34:35], v[34:35], v54
	v_cndmask_b32_e32 v35, 0x7ff00000, v35, vcc_lo
	s_and_b32 vcc_lo, s1, vcc_lo
	s_delay_alu instid0(VALU_DEP_1) | instskip(NEXT) | instid1(VALU_DEP_3)
	v_cndmask_b32_e64 v15, 0, v35, s1
	v_cndmask_b32_e32 v14, 0, v34, vcc_lo
	s_delay_alu instid0(VALU_DEP_1) | instskip(NEXT) | instid1(VALU_DEP_1)
	v_add_f64 v[34:35], v[14:15], 1.0
	v_frexp_mant_f64_e32 v[36:37], v[34:35]
	v_frexp_exp_i32_f64_e32 v54, v[34:35]
	v_add_f64 v[48:49], v[34:35], -1.0
	s_delay_alu instid0(VALU_DEP_3) | instskip(SKIP_1) | instid1(VALU_DEP_2)
	v_cmp_gt_f64_e32 vcc_lo, s[6:7], v[36:37]
	s_mov_b32 s6, 0x55555780
	v_add_f64 v[36:37], v[48:49], -v[34:35]
	v_add_f64 v[48:49], v[14:15], -v[48:49]
	v_subrev_co_ci_u32_e32 v133, vcc_lo, 0, v54, vcc_lo
	s_delay_alu instid0(VALU_DEP_3) | instskip(SKIP_1) | instid1(VALU_DEP_3)
	v_add_f64 v[36:37], v[36:37], 1.0
	v_cmp_eq_f64_e32 vcc_lo, 0x7ff00000, v[14:15]
	v_sub_nc_u32_e32 v96, 0, v133
	s_delay_alu instid0(VALU_DEP_1) | instskip(NEXT) | instid1(VALU_DEP_4)
	v_ldexp_f64 v[34:35], v[34:35], v96
	v_add_f64 v[36:37], v[48:49], v[36:37]
	s_delay_alu instid0(VALU_DEP_2) | instskip(SKIP_1) | instid1(VALU_DEP_3)
	v_add_f64 v[54:55], v[34:35], 1.0
	v_add_f64 v[100:101], v[34:35], -1.0
	v_ldexp_f64 v[36:37], v[36:37], v96
	s_delay_alu instid0(VALU_DEP_3) | instskip(NEXT) | instid1(VALU_DEP_3)
	v_add_f64 v[48:49], v[54:55], -1.0
	v_add_f64 v[102:103], v[100:101], 1.0
	s_delay_alu instid0(VALU_DEP_2) | instskip(NEXT) | instid1(VALU_DEP_2)
	v_add_f64 v[48:49], v[34:35], -v[48:49]
	v_add_f64 v[34:35], v[34:35], -v[102:103]
	s_delay_alu instid0(VALU_DEP_2) | instskip(NEXT) | instid1(VALU_DEP_2)
	v_add_f64 v[48:49], v[36:37], v[48:49]
	v_add_f64 v[34:35], v[36:37], v[34:35]
	s_delay_alu instid0(VALU_DEP_2) | instskip(NEXT) | instid1(VALU_DEP_2)
	v_add_f64 v[96:97], v[54:55], v[48:49]
	v_add_f64 v[102:103], v[100:101], v[34:35]
	s_delay_alu instid0(VALU_DEP_2) | instskip(SKIP_1) | instid1(VALU_DEP_2)
	v_rcp_f64_e32 v[98:99], v[96:97]
	v_add_f64 v[54:55], v[96:97], -v[54:55]
	v_add_f64 v[100:101], v[102:103], -v[100:101]
	s_delay_alu instid0(VALU_DEP_2) | instskip(SKIP_3) | instid1(VALU_DEP_2)
	v_add_f64 v[48:49], v[48:49], -v[54:55]
	s_waitcnt_depctr 0xfff
	v_fma_f64 v[112:113], -v[96:97], v[98:99], 1.0
	v_add_f64 v[34:35], v[34:35], -v[100:101]
	v_fma_f64 v[98:99], v[112:113], v[98:99], v[98:99]
	s_delay_alu instid0(VALU_DEP_1) | instskip(NEXT) | instid1(VALU_DEP_1)
	v_fma_f64 v[36:37], -v[96:97], v[98:99], 1.0
	v_fma_f64 v[36:37], v[36:37], v[98:99], v[98:99]
	s_delay_alu instid0(VALU_DEP_1) | instskip(NEXT) | instid1(VALU_DEP_1)
	v_mul_f64 v[98:99], v[102:103], v[36:37]
	v_mul_f64 v[112:113], v[96:97], v[98:99]
	s_delay_alu instid0(VALU_DEP_1) | instskip(NEXT) | instid1(VALU_DEP_1)
	v_fma_f64 v[54:55], v[98:99], v[96:97], -v[112:113]
	v_fma_f64 v[54:55], v[98:99], v[48:49], v[54:55]
	s_delay_alu instid0(VALU_DEP_1) | instskip(NEXT) | instid1(VALU_DEP_1)
	v_add_f64 v[114:115], v[112:113], v[54:55]
	v_add_f64 v[131:132], v[102:103], -v[114:115]
	v_add_f64 v[100:101], v[114:115], -v[112:113]
	s_delay_alu instid0(VALU_DEP_2) | instskip(NEXT) | instid1(VALU_DEP_2)
	v_add_f64 v[102:103], v[102:103], -v[131:132]
	v_add_f64 v[54:55], v[100:101], -v[54:55]
	s_delay_alu instid0(VALU_DEP_2) | instskip(NEXT) | instid1(VALU_DEP_1)
	v_add_f64 v[102:103], v[102:103], -v[114:115]
	v_add_f64 v[34:35], v[34:35], v[102:103]
	s_delay_alu instid0(VALU_DEP_1) | instskip(NEXT) | instid1(VALU_DEP_1)
	v_add_f64 v[34:35], v[54:55], v[34:35]
	v_add_f64 v[54:55], v[131:132], v[34:35]
	s_delay_alu instid0(VALU_DEP_1) | instskip(SKIP_1) | instid1(VALU_DEP_2)
	v_mul_f64 v[100:101], v[36:37], v[54:55]
	v_add_f64 v[114:115], v[131:132], -v[54:55]
	v_mul_f64 v[102:103], v[96:97], v[100:101]
	s_delay_alu instid0(VALU_DEP_2) | instskip(NEXT) | instid1(VALU_DEP_2)
	v_add_f64 v[34:35], v[34:35], v[114:115]
	v_fma_f64 v[96:97], v[100:101], v[96:97], -v[102:103]
	s_delay_alu instid0(VALU_DEP_1) | instskip(NEXT) | instid1(VALU_DEP_1)
	v_fma_f64 v[48:49], v[100:101], v[48:49], v[96:97]
	v_add_f64 v[96:97], v[102:103], v[48:49]
	s_delay_alu instid0(VALU_DEP_1) | instskip(SKIP_1) | instid1(VALU_DEP_2)
	v_add_f64 v[112:113], v[54:55], -v[96:97]
	v_add_f64 v[102:103], v[96:97], -v[102:103]
	;; [unrolled: 1-line block ×3, first 2 shown]
	s_delay_alu instid0(VALU_DEP_2) | instskip(NEXT) | instid1(VALU_DEP_2)
	v_add_f64 v[48:49], v[102:103], -v[48:49]
	v_add_f64 v[54:55], v[54:55], -v[96:97]
	s_delay_alu instid0(VALU_DEP_1) | instskip(SKIP_1) | instid1(VALU_DEP_2)
	v_add_f64 v[34:35], v[34:35], v[54:55]
	v_add_f64 v[54:55], v[98:99], v[100:101]
	;; [unrolled: 1-line block ×3, first 2 shown]
	s_delay_alu instid0(VALU_DEP_2) | instskip(NEXT) | instid1(VALU_DEP_2)
	v_add_f64 v[48:49], v[54:55], -v[98:99]
	v_add_f64 v[34:35], v[112:113], v[34:35]
	s_delay_alu instid0(VALU_DEP_2) | instskip(NEXT) | instid1(VALU_DEP_2)
	v_add_f64 v[48:49], v[100:101], -v[48:49]
	v_mul_f64 v[34:35], v[36:37], v[34:35]
	s_delay_alu instid0(VALU_DEP_1) | instskip(NEXT) | instid1(VALU_DEP_1)
	v_add_f64 v[34:35], v[48:49], v[34:35]
	v_add_f64 v[36:37], v[54:55], v[34:35]
	s_delay_alu instid0(VALU_DEP_1) | instskip(NEXT) | instid1(VALU_DEP_1)
	v_mul_f64 v[48:49], v[36:37], v[36:37]
	v_fma_f64 v[96:97], v[48:49], s[20:21], s[18:19]
	s_mov_b32 s18, 0xd7f4df2e
	s_mov_b32 s19, 0x3fc7474d
	v_mul_f64 v[98:99], v[36:37], v[48:49]
	s_delay_alu instid0(VALU_DEP_2)
	v_fma_f64 v[96:97], v[48:49], v[96:97], s[18:19]
	s_mov_b32 s18, 0x16291751
	s_mov_b32 s19, 0x3fcc71c0
	s_delay_alu instid0(VALU_DEP_1) | instid1(SALU_CYCLE_1)
	v_fma_f64 v[96:97], v[48:49], v[96:97], s[18:19]
	s_mov_b32 s18, 0x9b27acf1
	s_mov_b32 s19, 0x3fd24924
	s_delay_alu instid0(VALU_DEP_1) | instid1(SALU_CYCLE_1)
	;; [unrolled: 4-line block ×3, first 2 shown]
	v_fma_f64 v[96:97], v[48:49], v[96:97], s[18:19]
	s_delay_alu instid0(VALU_DEP_1) | instskip(SKIP_2) | instid1(VALU_DEP_3)
	v_fma_f64 v[48:49], v[48:49], v[96:97], s[6:7]
	v_ldexp_f64 v[96:97], v[36:37], 1
	v_add_f64 v[36:37], v[36:37], -v[54:55]
	v_mul_f64 v[48:49], v[98:99], v[48:49]
	v_cvt_f64_i32_e32 v[98:99], v133
	s_delay_alu instid0(VALU_DEP_3) | instskip(NEXT) | instid1(VALU_DEP_3)
	v_add_f64 v[34:35], v[34:35], -v[36:37]
	v_add_f64 v[54:55], v[96:97], v[48:49]
	s_delay_alu instid0(VALU_DEP_3) | instskip(NEXT) | instid1(VALU_DEP_3)
	v_mul_f64 v[100:101], v[98:99], s[2:3]
	v_ldexp_f64 v[34:35], v[34:35], 1
	s_delay_alu instid0(VALU_DEP_3) | instskip(NEXT) | instid1(VALU_DEP_3)
	v_add_f64 v[36:37], v[54:55], -v[96:97]
	v_fma_f64 v[96:97], v[98:99], s[2:3], -v[100:101]
	s_delay_alu instid0(VALU_DEP_2) | instskip(NEXT) | instid1(VALU_DEP_2)
	v_add_f64 v[36:37], v[48:49], -v[36:37]
	v_fma_f64 v[48:49], v[98:99], s[4:5], v[96:97]
	s_delay_alu instid0(VALU_DEP_2) | instskip(NEXT) | instid1(VALU_DEP_2)
	v_add_f64 v[34:35], v[34:35], v[36:37]
	v_add_f64 v[36:37], v[100:101], v[48:49]
	s_delay_alu instid0(VALU_DEP_2) | instskip(NEXT) | instid1(VALU_DEP_2)
	v_add_f64 v[96:97], v[54:55], v[34:35]
	v_add_f64 v[100:101], v[36:37], -v[100:101]
	s_delay_alu instid0(VALU_DEP_2) | instskip(SKIP_1) | instid1(VALU_DEP_3)
	v_add_f64 v[98:99], v[36:37], v[96:97]
	v_add_f64 v[54:55], v[96:97], -v[54:55]
	v_add_f64 v[48:49], v[48:49], -v[100:101]
	s_delay_alu instid0(VALU_DEP_3) | instskip(NEXT) | instid1(VALU_DEP_3)
	v_add_f64 v[102:103], v[98:99], -v[36:37]
	v_add_f64 v[34:35], v[34:35], -v[54:55]
	s_delay_alu instid0(VALU_DEP_2) | instskip(SKIP_1) | instid1(VALU_DEP_3)
	v_add_f64 v[112:113], v[98:99], -v[102:103]
	v_add_f64 v[54:55], v[96:97], -v[102:103]
	v_add_f64 v[96:97], v[48:49], v[34:35]
	s_delay_alu instid0(VALU_DEP_3) | instskip(NEXT) | instid1(VALU_DEP_1)
	v_add_f64 v[36:37], v[36:37], -v[112:113]
	v_add_f64 v[36:37], v[54:55], v[36:37]
	s_delay_alu instid0(VALU_DEP_3) | instskip(NEXT) | instid1(VALU_DEP_2)
	v_add_f64 v[54:55], v[96:97], -v[48:49]
	v_add_f64 v[36:37], v[96:97], v[36:37]
	s_delay_alu instid0(VALU_DEP_2) | instskip(SKIP_1) | instid1(VALU_DEP_3)
	v_add_f64 v[96:97], v[96:97], -v[54:55]
	v_add_f64 v[34:35], v[34:35], -v[54:55]
	v_add_f64 v[100:101], v[98:99], v[36:37]
	s_delay_alu instid0(VALU_DEP_3) | instskip(NEXT) | instid1(VALU_DEP_2)
	v_add_f64 v[48:49], v[48:49], -v[96:97]
	v_add_f64 v[54:55], v[100:101], -v[98:99]
	s_delay_alu instid0(VALU_DEP_2) | instskip(NEXT) | instid1(VALU_DEP_2)
	v_add_f64 v[34:35], v[34:35], v[48:49]
	v_add_f64 v[36:37], v[36:37], -v[54:55]
	s_delay_alu instid0(VALU_DEP_1) | instskip(NEXT) | instid1(VALU_DEP_1)
	v_add_f64 v[34:35], v[34:35], v[36:37]
	v_add_f64 v[34:35], v[100:101], v[34:35]
	s_delay_alu instid0(VALU_DEP_1) | instskip(SKIP_1) | instid1(VALU_DEP_2)
	v_dual_cndmask_b32 v35, v35, v15 :: v_dual_cndmask_b32 v34, v34, v14
	v_cmp_ngt_f64_e32 vcc_lo, -1.0, v[14:15]
	v_cndmask_b32_e32 v35, 0x7ff80000, v35, vcc_lo
	v_cmp_nge_f64_e32 vcc_lo, -1.0, v[14:15]
	s_delay_alu instid0(VALU_DEP_4) | instskip(SKIP_1) | instid1(VALU_DEP_4)
	v_cndmask_b32_e32 v34, 0, v34, vcc_lo
	v_cmp_neq_f64_e32 vcc_lo, -1.0, v[14:15]
	v_cndmask_b32_e32 v35, 0xfff00000, v35, vcc_lo
	s_delay_alu instid0(VALU_DEP_1)
	v_add_f64 v[14:15], v[32:33], v[34:35]
.LBB36_352:
	s_or_b32 exec_lo, exec_lo, s16
	s_delay_alu instid0(VALU_DEP_1) | instskip(SKIP_1) | instid1(VALU_DEP_2)
	v_max_f64 v[32:33], v[14:15], v[14:15]
	v_cmp_u_f64_e32 vcc_lo, v[14:15], v[14:15]
	v_min_f64 v[34:35], v[32:33], v[16:17]
	v_max_f64 v[16:17], v[32:33], v[16:17]
	s_delay_alu instid0(VALU_DEP_2) | instskip(NEXT) | instid1(VALU_DEP_2)
	v_dual_cndmask_b32 v32, v34, v14 :: v_dual_cndmask_b32 v33, v35, v15
	v_dual_cndmask_b32 v17, v17, v15 :: v_dual_cndmask_b32 v16, v16, v14
	s_delay_alu instid0(VALU_DEP_2) | instskip(NEXT) | instid1(VALU_DEP_3)
	v_cndmask_b32_e64 v34, v32, v84, s8
	v_cndmask_b32_e64 v35, v33, v85, s8
	s_delay_alu instid0(VALU_DEP_3) | instskip(NEXT) | instid1(VALU_DEP_4)
	v_cndmask_b32_e64 v33, v17, v85, s8
	v_cndmask_b32_e64 v32, v16, v84, s8
	v_dual_mov_b32 v17, v15 :: v_dual_mov_b32 v16, v14
	s_delay_alu instid0(VALU_DEP_4) | instskip(NEXT) | instid1(VALU_DEP_3)
	v_cmp_class_f64_e64 s1, v[34:35], 0x1f8
	v_cmp_neq_f64_e32 vcc_lo, v[34:35], v[32:33]
	s_delay_alu instid0(VALU_DEP_2) | instskip(NEXT) | instid1(SALU_CYCLE_1)
	s_or_b32 s1, vcc_lo, s1
	s_and_saveexec_b32 s8, s1
	s_cbranch_execz .LBB36_354
; %bb.353:
	v_add_f64 v[16:17], v[34:35], -v[32:33]
	s_mov_b32 s2, 0x652b82fe
	s_mov_b32 s3, 0x3ff71547
	;; [unrolled: 1-line block ×10, first 2 shown]
	s_delay_alu instid0(VALU_DEP_1) | instskip(SKIP_4) | instid1(VALU_DEP_3)
	v_mul_f64 v[34:35], v[16:17], s[2:3]
	s_mov_b32 s3, 0xbfe62e42
	s_mov_b32 s2, 0xfefa39ef
	v_cmp_nlt_f64_e32 vcc_lo, 0x40900000, v[16:17]
	v_cmp_ngt_f64_e64 s1, 0xc090cc00, v[16:17]
	v_rndne_f64_e32 v[34:35], v[34:35]
	s_delay_alu instid0(VALU_DEP_1) | instskip(SKIP_2) | instid1(VALU_DEP_2)
	v_fma_f64 v[36:37], v[34:35], s[2:3], v[16:17]
	v_cvt_i32_f64_e32 v54, v[34:35]
	s_mov_b32 s3, 0x3fe62e42
	v_fma_f64 v[36:37], v[34:35], s[4:5], v[36:37]
	s_mov_b32 s5, 0x3c7abc9e
	s_waitcnt lgkmcnt(0)
	s_delay_alu instid0(VALU_DEP_1) | instskip(SKIP_4) | instid1(VALU_DEP_1)
	v_fma_f64 v[48:49], v[36:37], s[16:17], s[6:7]
	s_mov_b32 s6, 0x623fde64
	s_mov_b32 s7, 0x3ec71dee
	;; [unrolled: 1-line block ×4, first 2 shown]
	v_fma_f64 v[48:49], v[36:37], v[48:49], s[6:7]
	s_mov_b32 s6, 0x7c89e6b0
	s_mov_b32 s7, 0x3efa0199
	s_delay_alu instid0(VALU_DEP_1) | instid1(SALU_CYCLE_1)
	v_fma_f64 v[48:49], v[36:37], v[48:49], s[6:7]
	s_mov_b32 s6, 0x14761f6e
	s_mov_b32 s7, 0x3f2a01a0
	s_delay_alu instid0(VALU_DEP_1) | instid1(SALU_CYCLE_1)
	;; [unrolled: 4-line block ×7, first 2 shown]
	v_fma_f64 v[48:49], v[36:37], v[48:49], s[6:7]
	s_mov_b32 s7, 0x3fe55555
	s_mov_b32 s6, 0x55555555
	s_delay_alu instid0(VALU_DEP_1) | instskip(NEXT) | instid1(VALU_DEP_1)
	v_fma_f64 v[48:49], v[36:37], v[48:49], 1.0
	v_fma_f64 v[34:35], v[36:37], v[48:49], 1.0
	s_delay_alu instid0(VALU_DEP_1) | instskip(NEXT) | instid1(VALU_DEP_1)
	v_ldexp_f64 v[34:35], v[34:35], v54
	v_cndmask_b32_e32 v35, 0x7ff00000, v35, vcc_lo
	s_and_b32 vcc_lo, s1, vcc_lo
	s_delay_alu instid0(VALU_DEP_1) | instskip(NEXT) | instid1(VALU_DEP_3)
	v_cndmask_b32_e64 v17, 0, v35, s1
	v_cndmask_b32_e32 v16, 0, v34, vcc_lo
	s_delay_alu instid0(VALU_DEP_1) | instskip(NEXT) | instid1(VALU_DEP_1)
	v_add_f64 v[34:35], v[16:17], 1.0
	v_frexp_mant_f64_e32 v[36:37], v[34:35]
	v_frexp_exp_i32_f64_e32 v54, v[34:35]
	v_add_f64 v[48:49], v[34:35], -1.0
	s_delay_alu instid0(VALU_DEP_3) | instskip(SKIP_1) | instid1(VALU_DEP_2)
	v_cmp_gt_f64_e32 vcc_lo, s[6:7], v[36:37]
	s_mov_b32 s6, 0x55555780
	v_add_f64 v[36:37], v[48:49], -v[34:35]
	v_add_f64 v[48:49], v[16:17], -v[48:49]
	v_subrev_co_ci_u32_e32 v131, vcc_lo, 0, v54, vcc_lo
	s_delay_alu instid0(VALU_DEP_3) | instskip(SKIP_1) | instid1(VALU_DEP_3)
	v_add_f64 v[36:37], v[36:37], 1.0
	v_cmp_eq_f64_e32 vcc_lo, 0x7ff00000, v[16:17]
	v_sub_nc_u32_e32 v84, 0, v131
	s_delay_alu instid0(VALU_DEP_1) | instskip(NEXT) | instid1(VALU_DEP_4)
	v_ldexp_f64 v[34:35], v[34:35], v84
	v_add_f64 v[36:37], v[48:49], v[36:37]
	s_delay_alu instid0(VALU_DEP_2) | instskip(SKIP_1) | instid1(VALU_DEP_3)
	v_add_f64 v[54:55], v[34:35], 1.0
	v_add_f64 v[98:99], v[34:35], -1.0
	v_ldexp_f64 v[36:37], v[36:37], v84
	s_delay_alu instid0(VALU_DEP_3) | instskip(NEXT) | instid1(VALU_DEP_3)
	v_add_f64 v[48:49], v[54:55], -1.0
	v_add_f64 v[100:101], v[98:99], 1.0
	s_delay_alu instid0(VALU_DEP_2) | instskip(NEXT) | instid1(VALU_DEP_2)
	v_add_f64 v[48:49], v[34:35], -v[48:49]
	v_add_f64 v[34:35], v[34:35], -v[100:101]
	s_delay_alu instid0(VALU_DEP_2) | instskip(NEXT) | instid1(VALU_DEP_2)
	v_add_f64 v[48:49], v[36:37], v[48:49]
	v_add_f64 v[34:35], v[36:37], v[34:35]
	s_delay_alu instid0(VALU_DEP_2) | instskip(NEXT) | instid1(VALU_DEP_2)
	v_add_f64 v[84:85], v[54:55], v[48:49]
	v_add_f64 v[100:101], v[98:99], v[34:35]
	s_delay_alu instid0(VALU_DEP_2) | instskip(SKIP_1) | instid1(VALU_DEP_2)
	v_rcp_f64_e32 v[96:97], v[84:85]
	v_add_f64 v[54:55], v[84:85], -v[54:55]
	v_add_f64 v[98:99], v[100:101], -v[98:99]
	s_delay_alu instid0(VALU_DEP_2) | instskip(SKIP_3) | instid1(VALU_DEP_2)
	v_add_f64 v[48:49], v[48:49], -v[54:55]
	s_waitcnt_depctr 0xfff
	v_fma_f64 v[102:103], -v[84:85], v[96:97], 1.0
	v_add_f64 v[34:35], v[34:35], -v[98:99]
	v_fma_f64 v[96:97], v[102:103], v[96:97], v[96:97]
	s_delay_alu instid0(VALU_DEP_1) | instskip(NEXT) | instid1(VALU_DEP_1)
	v_fma_f64 v[36:37], -v[84:85], v[96:97], 1.0
	v_fma_f64 v[36:37], v[36:37], v[96:97], v[96:97]
	s_delay_alu instid0(VALU_DEP_1) | instskip(NEXT) | instid1(VALU_DEP_1)
	v_mul_f64 v[96:97], v[100:101], v[36:37]
	v_mul_f64 v[102:103], v[84:85], v[96:97]
	s_delay_alu instid0(VALU_DEP_1) | instskip(NEXT) | instid1(VALU_DEP_1)
	v_fma_f64 v[54:55], v[96:97], v[84:85], -v[102:103]
	v_fma_f64 v[54:55], v[96:97], v[48:49], v[54:55]
	s_delay_alu instid0(VALU_DEP_1) | instskip(NEXT) | instid1(VALU_DEP_1)
	v_add_f64 v[112:113], v[102:103], v[54:55]
	v_add_f64 v[114:115], v[100:101], -v[112:113]
	v_add_f64 v[98:99], v[112:113], -v[102:103]
	s_delay_alu instid0(VALU_DEP_2) | instskip(NEXT) | instid1(VALU_DEP_2)
	v_add_f64 v[100:101], v[100:101], -v[114:115]
	v_add_f64 v[54:55], v[98:99], -v[54:55]
	s_delay_alu instid0(VALU_DEP_2) | instskip(NEXT) | instid1(VALU_DEP_1)
	v_add_f64 v[100:101], v[100:101], -v[112:113]
	v_add_f64 v[34:35], v[34:35], v[100:101]
	s_delay_alu instid0(VALU_DEP_1) | instskip(NEXT) | instid1(VALU_DEP_1)
	v_add_f64 v[34:35], v[54:55], v[34:35]
	v_add_f64 v[54:55], v[114:115], v[34:35]
	s_delay_alu instid0(VALU_DEP_1) | instskip(SKIP_1) | instid1(VALU_DEP_2)
	v_mul_f64 v[98:99], v[36:37], v[54:55]
	v_add_f64 v[112:113], v[114:115], -v[54:55]
	v_mul_f64 v[100:101], v[84:85], v[98:99]
	s_delay_alu instid0(VALU_DEP_2) | instskip(NEXT) | instid1(VALU_DEP_2)
	v_add_f64 v[34:35], v[34:35], v[112:113]
	v_fma_f64 v[84:85], v[98:99], v[84:85], -v[100:101]
	s_delay_alu instid0(VALU_DEP_1) | instskip(NEXT) | instid1(VALU_DEP_1)
	v_fma_f64 v[48:49], v[98:99], v[48:49], v[84:85]
	v_add_f64 v[84:85], v[100:101], v[48:49]
	s_delay_alu instid0(VALU_DEP_1) | instskip(SKIP_1) | instid1(VALU_DEP_2)
	v_add_f64 v[102:103], v[54:55], -v[84:85]
	v_add_f64 v[100:101], v[84:85], -v[100:101]
	;; [unrolled: 1-line block ×3, first 2 shown]
	s_delay_alu instid0(VALU_DEP_2) | instskip(NEXT) | instid1(VALU_DEP_2)
	v_add_f64 v[48:49], v[100:101], -v[48:49]
	v_add_f64 v[54:55], v[54:55], -v[84:85]
	s_delay_alu instid0(VALU_DEP_1) | instskip(SKIP_1) | instid1(VALU_DEP_2)
	v_add_f64 v[34:35], v[34:35], v[54:55]
	v_add_f64 v[54:55], v[96:97], v[98:99]
	;; [unrolled: 1-line block ×3, first 2 shown]
	s_delay_alu instid0(VALU_DEP_2) | instskip(NEXT) | instid1(VALU_DEP_2)
	v_add_f64 v[48:49], v[54:55], -v[96:97]
	v_add_f64 v[34:35], v[102:103], v[34:35]
	s_delay_alu instid0(VALU_DEP_2) | instskip(NEXT) | instid1(VALU_DEP_2)
	v_add_f64 v[48:49], v[98:99], -v[48:49]
	v_mul_f64 v[34:35], v[36:37], v[34:35]
	s_delay_alu instid0(VALU_DEP_1) | instskip(NEXT) | instid1(VALU_DEP_1)
	v_add_f64 v[34:35], v[48:49], v[34:35]
	v_add_f64 v[36:37], v[54:55], v[34:35]
	s_delay_alu instid0(VALU_DEP_1) | instskip(NEXT) | instid1(VALU_DEP_1)
	v_mul_f64 v[48:49], v[36:37], v[36:37]
	v_fma_f64 v[84:85], v[48:49], s[18:19], s[16:17]
	s_mov_b32 s16, 0xd7f4df2e
	s_mov_b32 s17, 0x3fc7474d
	v_mul_f64 v[96:97], v[36:37], v[48:49]
	s_delay_alu instid0(VALU_DEP_2)
	v_fma_f64 v[84:85], v[48:49], v[84:85], s[16:17]
	s_mov_b32 s16, 0x16291751
	s_mov_b32 s17, 0x3fcc71c0
	s_delay_alu instid0(VALU_DEP_1) | instid1(SALU_CYCLE_1)
	v_fma_f64 v[84:85], v[48:49], v[84:85], s[16:17]
	s_mov_b32 s16, 0x9b27acf1
	s_mov_b32 s17, 0x3fd24924
	s_delay_alu instid0(VALU_DEP_1) | instid1(SALU_CYCLE_1)
	;; [unrolled: 4-line block ×3, first 2 shown]
	v_fma_f64 v[84:85], v[48:49], v[84:85], s[16:17]
	s_delay_alu instid0(VALU_DEP_1) | instskip(SKIP_2) | instid1(VALU_DEP_3)
	v_fma_f64 v[48:49], v[48:49], v[84:85], s[6:7]
	v_ldexp_f64 v[84:85], v[36:37], 1
	v_add_f64 v[36:37], v[36:37], -v[54:55]
	v_mul_f64 v[48:49], v[96:97], v[48:49]
	v_cvt_f64_i32_e32 v[96:97], v131
	s_delay_alu instid0(VALU_DEP_3) | instskip(NEXT) | instid1(VALU_DEP_3)
	v_add_f64 v[34:35], v[34:35], -v[36:37]
	v_add_f64 v[54:55], v[84:85], v[48:49]
	s_delay_alu instid0(VALU_DEP_3) | instskip(NEXT) | instid1(VALU_DEP_3)
	v_mul_f64 v[98:99], v[96:97], s[2:3]
	v_ldexp_f64 v[34:35], v[34:35], 1
	s_delay_alu instid0(VALU_DEP_3) | instskip(NEXT) | instid1(VALU_DEP_3)
	v_add_f64 v[36:37], v[54:55], -v[84:85]
	v_fma_f64 v[84:85], v[96:97], s[2:3], -v[98:99]
	s_delay_alu instid0(VALU_DEP_2) | instskip(NEXT) | instid1(VALU_DEP_2)
	v_add_f64 v[36:37], v[48:49], -v[36:37]
	v_fma_f64 v[48:49], v[96:97], s[4:5], v[84:85]
	s_delay_alu instid0(VALU_DEP_2) | instskip(NEXT) | instid1(VALU_DEP_2)
	v_add_f64 v[34:35], v[34:35], v[36:37]
	v_add_f64 v[36:37], v[98:99], v[48:49]
	s_delay_alu instid0(VALU_DEP_2) | instskip(NEXT) | instid1(VALU_DEP_2)
	v_add_f64 v[84:85], v[54:55], v[34:35]
	v_add_f64 v[98:99], v[36:37], -v[98:99]
	s_delay_alu instid0(VALU_DEP_2) | instskip(SKIP_1) | instid1(VALU_DEP_3)
	v_add_f64 v[96:97], v[36:37], v[84:85]
	v_add_f64 v[54:55], v[84:85], -v[54:55]
	v_add_f64 v[48:49], v[48:49], -v[98:99]
	s_delay_alu instid0(VALU_DEP_3) | instskip(NEXT) | instid1(VALU_DEP_3)
	v_add_f64 v[100:101], v[96:97], -v[36:37]
	v_add_f64 v[34:35], v[34:35], -v[54:55]
	s_delay_alu instid0(VALU_DEP_2) | instskip(SKIP_1) | instid1(VALU_DEP_3)
	v_add_f64 v[102:103], v[96:97], -v[100:101]
	v_add_f64 v[54:55], v[84:85], -v[100:101]
	v_add_f64 v[84:85], v[48:49], v[34:35]
	s_delay_alu instid0(VALU_DEP_3) | instskip(NEXT) | instid1(VALU_DEP_1)
	v_add_f64 v[36:37], v[36:37], -v[102:103]
	v_add_f64 v[36:37], v[54:55], v[36:37]
	s_delay_alu instid0(VALU_DEP_3) | instskip(NEXT) | instid1(VALU_DEP_2)
	v_add_f64 v[54:55], v[84:85], -v[48:49]
	v_add_f64 v[36:37], v[84:85], v[36:37]
	s_delay_alu instid0(VALU_DEP_2) | instskip(SKIP_1) | instid1(VALU_DEP_3)
	v_add_f64 v[84:85], v[84:85], -v[54:55]
	v_add_f64 v[34:35], v[34:35], -v[54:55]
	v_add_f64 v[98:99], v[96:97], v[36:37]
	s_delay_alu instid0(VALU_DEP_3) | instskip(NEXT) | instid1(VALU_DEP_2)
	v_add_f64 v[48:49], v[48:49], -v[84:85]
	v_add_f64 v[54:55], v[98:99], -v[96:97]
	s_delay_alu instid0(VALU_DEP_2) | instskip(NEXT) | instid1(VALU_DEP_2)
	v_add_f64 v[34:35], v[34:35], v[48:49]
	v_add_f64 v[36:37], v[36:37], -v[54:55]
	s_delay_alu instid0(VALU_DEP_1) | instskip(NEXT) | instid1(VALU_DEP_1)
	v_add_f64 v[34:35], v[34:35], v[36:37]
	v_add_f64 v[34:35], v[98:99], v[34:35]
	s_delay_alu instid0(VALU_DEP_1) | instskip(SKIP_1) | instid1(VALU_DEP_2)
	v_dual_cndmask_b32 v35, v35, v17 :: v_dual_cndmask_b32 v34, v34, v16
	v_cmp_ngt_f64_e32 vcc_lo, -1.0, v[16:17]
	v_cndmask_b32_e32 v35, 0x7ff80000, v35, vcc_lo
	v_cmp_nge_f64_e32 vcc_lo, -1.0, v[16:17]
	s_delay_alu instid0(VALU_DEP_4) | instskip(SKIP_1) | instid1(VALU_DEP_4)
	v_cndmask_b32_e32 v34, 0, v34, vcc_lo
	v_cmp_neq_f64_e32 vcc_lo, -1.0, v[16:17]
	v_cndmask_b32_e32 v35, 0xfff00000, v35, vcc_lo
	s_delay_alu instid0(VALU_DEP_1)
	v_add_f64 v[16:17], v[32:33], v[34:35]
.LBB36_354:
	s_or_b32 exec_lo, exec_lo, s8
	s_delay_alu instid0(VALU_DEP_1) | instskip(SKIP_1) | instid1(VALU_DEP_2)
	v_max_f64 v[32:33], v[16:17], v[16:17]
	v_cmp_u_f64_e32 vcc_lo, v[16:17], v[16:17]
	v_min_f64 v[34:35], v[32:33], v[18:19]
	v_max_f64 v[18:19], v[32:33], v[18:19]
	s_delay_alu instid0(VALU_DEP_2) | instskip(NEXT) | instid1(VALU_DEP_2)
	v_dual_cndmask_b32 v32, v34, v16 :: v_dual_cndmask_b32 v33, v35, v17
	v_dual_cndmask_b32 v19, v19, v17 :: v_dual_cndmask_b32 v18, v18, v16
	s_delay_alu instid0(VALU_DEP_2) | instskip(NEXT) | instid1(VALU_DEP_3)
	v_cndmask_b32_e64 v34, v32, v86, s9
	v_cndmask_b32_e64 v35, v33, v87, s9
	s_delay_alu instid0(VALU_DEP_3) | instskip(NEXT) | instid1(VALU_DEP_4)
	v_cndmask_b32_e64 v33, v19, v87, s9
	v_cndmask_b32_e64 v32, v18, v86, s9
	v_dual_mov_b32 v19, v17 :: v_dual_mov_b32 v18, v16
	s_delay_alu instid0(VALU_DEP_4) | instskip(NEXT) | instid1(VALU_DEP_3)
	v_cmp_class_f64_e64 s1, v[34:35], 0x1f8
	v_cmp_neq_f64_e32 vcc_lo, v[34:35], v[32:33]
	s_delay_alu instid0(VALU_DEP_2) | instskip(NEXT) | instid1(SALU_CYCLE_1)
	s_or_b32 s1, vcc_lo, s1
	s_and_saveexec_b32 s8, s1
	s_cbranch_execz .LBB36_356
; %bb.355:
	v_add_f64 v[18:19], v[34:35], -v[32:33]
	s_mov_b32 s2, 0x652b82fe
	s_mov_b32 s3, 0x3ff71547
	;; [unrolled: 1-line block ×10, first 2 shown]
	s_delay_alu instid0(VALU_DEP_1) | instskip(SKIP_4) | instid1(VALU_DEP_3)
	v_mul_f64 v[34:35], v[18:19], s[2:3]
	s_mov_b32 s3, 0xbfe62e42
	s_mov_b32 s2, 0xfefa39ef
	v_cmp_nlt_f64_e32 vcc_lo, 0x40900000, v[18:19]
	v_cmp_ngt_f64_e64 s1, 0xc090cc00, v[18:19]
	v_rndne_f64_e32 v[34:35], v[34:35]
	s_delay_alu instid0(VALU_DEP_1) | instskip(SKIP_2) | instid1(VALU_DEP_2)
	v_fma_f64 v[36:37], v[34:35], s[2:3], v[18:19]
	v_cvt_i32_f64_e32 v54, v[34:35]
	s_mov_b32 s3, 0x3fe62e42
	v_fma_f64 v[36:37], v[34:35], s[4:5], v[36:37]
	s_mov_b32 s5, 0x3c7abc9e
	s_waitcnt lgkmcnt(0)
	s_delay_alu instid0(VALU_DEP_1) | instskip(SKIP_4) | instid1(VALU_DEP_1)
	v_fma_f64 v[48:49], v[36:37], s[16:17], s[6:7]
	s_mov_b32 s6, 0x623fde64
	s_mov_b32 s7, 0x3ec71dee
	;; [unrolled: 1-line block ×4, first 2 shown]
	v_fma_f64 v[48:49], v[36:37], v[48:49], s[6:7]
	s_mov_b32 s6, 0x7c89e6b0
	s_mov_b32 s7, 0x3efa0199
	s_delay_alu instid0(VALU_DEP_1) | instid1(SALU_CYCLE_1)
	v_fma_f64 v[48:49], v[36:37], v[48:49], s[6:7]
	s_mov_b32 s6, 0x14761f6e
	s_mov_b32 s7, 0x3f2a01a0
	s_delay_alu instid0(VALU_DEP_1) | instid1(SALU_CYCLE_1)
	;; [unrolled: 4-line block ×7, first 2 shown]
	v_fma_f64 v[48:49], v[36:37], v[48:49], s[6:7]
	s_mov_b32 s7, 0x3fe55555
	s_mov_b32 s6, 0x55555555
	s_delay_alu instid0(VALU_DEP_1) | instskip(NEXT) | instid1(VALU_DEP_1)
	v_fma_f64 v[48:49], v[36:37], v[48:49], 1.0
	v_fma_f64 v[34:35], v[36:37], v[48:49], 1.0
	s_delay_alu instid0(VALU_DEP_1) | instskip(NEXT) | instid1(VALU_DEP_1)
	v_ldexp_f64 v[34:35], v[34:35], v54
	v_cndmask_b32_e32 v35, 0x7ff00000, v35, vcc_lo
	s_and_b32 vcc_lo, s1, vcc_lo
	s_delay_alu instid0(VALU_DEP_1) | instskip(NEXT) | instid1(VALU_DEP_3)
	v_cndmask_b32_e64 v19, 0, v35, s1
	v_cndmask_b32_e32 v18, 0, v34, vcc_lo
	s_delay_alu instid0(VALU_DEP_1) | instskip(NEXT) | instid1(VALU_DEP_1)
	v_add_f64 v[34:35], v[18:19], 1.0
	v_frexp_mant_f64_e32 v[36:37], v[34:35]
	v_frexp_exp_i32_f64_e32 v54, v[34:35]
	v_add_f64 v[48:49], v[34:35], -1.0
	s_delay_alu instid0(VALU_DEP_3) | instskip(SKIP_1) | instid1(VALU_DEP_2)
	v_cmp_gt_f64_e32 vcc_lo, s[6:7], v[36:37]
	s_mov_b32 s6, 0x55555780
	v_add_f64 v[36:37], v[48:49], -v[34:35]
	v_add_f64 v[48:49], v[18:19], -v[48:49]
	v_subrev_co_ci_u32_e32 v114, vcc_lo, 0, v54, vcc_lo
	s_delay_alu instid0(VALU_DEP_3) | instskip(SKIP_1) | instid1(VALU_DEP_3)
	v_add_f64 v[36:37], v[36:37], 1.0
	v_cmp_eq_f64_e32 vcc_lo, 0x7ff00000, v[18:19]
	v_sub_nc_u32_e32 v84, 0, v114
	s_delay_alu instid0(VALU_DEP_1) | instskip(NEXT) | instid1(VALU_DEP_4)
	v_ldexp_f64 v[34:35], v[34:35], v84
	v_add_f64 v[36:37], v[48:49], v[36:37]
	s_delay_alu instid0(VALU_DEP_2) | instskip(SKIP_1) | instid1(VALU_DEP_3)
	v_add_f64 v[54:55], v[34:35], 1.0
	v_add_f64 v[96:97], v[34:35], -1.0
	v_ldexp_f64 v[36:37], v[36:37], v84
	s_delay_alu instid0(VALU_DEP_3) | instskip(NEXT) | instid1(VALU_DEP_3)
	v_add_f64 v[48:49], v[54:55], -1.0
	v_add_f64 v[98:99], v[96:97], 1.0
	s_delay_alu instid0(VALU_DEP_2) | instskip(NEXT) | instid1(VALU_DEP_2)
	v_add_f64 v[48:49], v[34:35], -v[48:49]
	v_add_f64 v[34:35], v[34:35], -v[98:99]
	s_delay_alu instid0(VALU_DEP_2) | instskip(NEXT) | instid1(VALU_DEP_2)
	v_add_f64 v[48:49], v[36:37], v[48:49]
	v_add_f64 v[34:35], v[36:37], v[34:35]
	s_delay_alu instid0(VALU_DEP_2) | instskip(NEXT) | instid1(VALU_DEP_2)
	v_add_f64 v[84:85], v[54:55], v[48:49]
	v_add_f64 v[98:99], v[96:97], v[34:35]
	s_delay_alu instid0(VALU_DEP_2) | instskip(SKIP_1) | instid1(VALU_DEP_2)
	v_rcp_f64_e32 v[86:87], v[84:85]
	v_add_f64 v[54:55], v[84:85], -v[54:55]
	v_add_f64 v[96:97], v[98:99], -v[96:97]
	s_delay_alu instid0(VALU_DEP_2) | instskip(SKIP_3) | instid1(VALU_DEP_2)
	v_add_f64 v[48:49], v[48:49], -v[54:55]
	s_waitcnt_depctr 0xfff
	v_fma_f64 v[100:101], -v[84:85], v[86:87], 1.0
	v_add_f64 v[34:35], v[34:35], -v[96:97]
	v_fma_f64 v[86:87], v[100:101], v[86:87], v[86:87]
	s_delay_alu instid0(VALU_DEP_1) | instskip(NEXT) | instid1(VALU_DEP_1)
	v_fma_f64 v[36:37], -v[84:85], v[86:87], 1.0
	v_fma_f64 v[36:37], v[36:37], v[86:87], v[86:87]
	s_delay_alu instid0(VALU_DEP_1) | instskip(NEXT) | instid1(VALU_DEP_1)
	v_mul_f64 v[86:87], v[98:99], v[36:37]
	v_mul_f64 v[100:101], v[84:85], v[86:87]
	s_delay_alu instid0(VALU_DEP_1) | instskip(NEXT) | instid1(VALU_DEP_1)
	v_fma_f64 v[54:55], v[86:87], v[84:85], -v[100:101]
	v_fma_f64 v[54:55], v[86:87], v[48:49], v[54:55]
	s_delay_alu instid0(VALU_DEP_1) | instskip(NEXT) | instid1(VALU_DEP_1)
	v_add_f64 v[102:103], v[100:101], v[54:55]
	v_add_f64 v[112:113], v[98:99], -v[102:103]
	v_add_f64 v[96:97], v[102:103], -v[100:101]
	s_delay_alu instid0(VALU_DEP_2) | instskip(NEXT) | instid1(VALU_DEP_2)
	v_add_f64 v[98:99], v[98:99], -v[112:113]
	v_add_f64 v[54:55], v[96:97], -v[54:55]
	s_delay_alu instid0(VALU_DEP_2) | instskip(NEXT) | instid1(VALU_DEP_1)
	v_add_f64 v[98:99], v[98:99], -v[102:103]
	v_add_f64 v[34:35], v[34:35], v[98:99]
	s_delay_alu instid0(VALU_DEP_1) | instskip(NEXT) | instid1(VALU_DEP_1)
	v_add_f64 v[34:35], v[54:55], v[34:35]
	v_add_f64 v[54:55], v[112:113], v[34:35]
	s_delay_alu instid0(VALU_DEP_1) | instskip(SKIP_1) | instid1(VALU_DEP_2)
	v_mul_f64 v[96:97], v[36:37], v[54:55]
	v_add_f64 v[102:103], v[112:113], -v[54:55]
	v_mul_f64 v[98:99], v[84:85], v[96:97]
	s_delay_alu instid0(VALU_DEP_2) | instskip(NEXT) | instid1(VALU_DEP_2)
	v_add_f64 v[34:35], v[34:35], v[102:103]
	v_fma_f64 v[84:85], v[96:97], v[84:85], -v[98:99]
	s_delay_alu instid0(VALU_DEP_1) | instskip(NEXT) | instid1(VALU_DEP_1)
	v_fma_f64 v[48:49], v[96:97], v[48:49], v[84:85]
	v_add_f64 v[84:85], v[98:99], v[48:49]
	s_delay_alu instid0(VALU_DEP_1) | instskip(SKIP_1) | instid1(VALU_DEP_2)
	v_add_f64 v[100:101], v[54:55], -v[84:85]
	v_add_f64 v[98:99], v[84:85], -v[98:99]
	;; [unrolled: 1-line block ×3, first 2 shown]
	s_delay_alu instid0(VALU_DEP_2) | instskip(NEXT) | instid1(VALU_DEP_2)
	v_add_f64 v[48:49], v[98:99], -v[48:49]
	v_add_f64 v[54:55], v[54:55], -v[84:85]
	s_delay_alu instid0(VALU_DEP_1) | instskip(SKIP_1) | instid1(VALU_DEP_2)
	v_add_f64 v[34:35], v[34:35], v[54:55]
	v_add_f64 v[54:55], v[86:87], v[96:97]
	;; [unrolled: 1-line block ×3, first 2 shown]
	s_delay_alu instid0(VALU_DEP_2) | instskip(NEXT) | instid1(VALU_DEP_2)
	v_add_f64 v[48:49], v[54:55], -v[86:87]
	v_add_f64 v[34:35], v[100:101], v[34:35]
	s_delay_alu instid0(VALU_DEP_2) | instskip(NEXT) | instid1(VALU_DEP_2)
	v_add_f64 v[48:49], v[96:97], -v[48:49]
	v_mul_f64 v[34:35], v[36:37], v[34:35]
	s_delay_alu instid0(VALU_DEP_1) | instskip(NEXT) | instid1(VALU_DEP_1)
	v_add_f64 v[34:35], v[48:49], v[34:35]
	v_add_f64 v[36:37], v[54:55], v[34:35]
	s_delay_alu instid0(VALU_DEP_1) | instskip(NEXT) | instid1(VALU_DEP_1)
	v_mul_f64 v[48:49], v[36:37], v[36:37]
	v_fma_f64 v[84:85], v[48:49], s[18:19], s[16:17]
	s_mov_b32 s16, 0xd7f4df2e
	s_mov_b32 s17, 0x3fc7474d
	v_mul_f64 v[86:87], v[36:37], v[48:49]
	s_delay_alu instid0(VALU_DEP_2)
	v_fma_f64 v[84:85], v[48:49], v[84:85], s[16:17]
	s_mov_b32 s16, 0x16291751
	s_mov_b32 s17, 0x3fcc71c0
	s_delay_alu instid0(VALU_DEP_1) | instid1(SALU_CYCLE_1)
	v_fma_f64 v[84:85], v[48:49], v[84:85], s[16:17]
	s_mov_b32 s16, 0x9b27acf1
	s_mov_b32 s17, 0x3fd24924
	s_delay_alu instid0(VALU_DEP_1) | instid1(SALU_CYCLE_1)
	;; [unrolled: 4-line block ×3, first 2 shown]
	v_fma_f64 v[84:85], v[48:49], v[84:85], s[16:17]
	s_delay_alu instid0(VALU_DEP_1) | instskip(SKIP_2) | instid1(VALU_DEP_3)
	v_fma_f64 v[48:49], v[48:49], v[84:85], s[6:7]
	v_ldexp_f64 v[84:85], v[36:37], 1
	v_add_f64 v[36:37], v[36:37], -v[54:55]
	v_mul_f64 v[48:49], v[86:87], v[48:49]
	v_cvt_f64_i32_e32 v[86:87], v114
	s_delay_alu instid0(VALU_DEP_3) | instskip(NEXT) | instid1(VALU_DEP_3)
	v_add_f64 v[34:35], v[34:35], -v[36:37]
	v_add_f64 v[54:55], v[84:85], v[48:49]
	s_delay_alu instid0(VALU_DEP_3) | instskip(NEXT) | instid1(VALU_DEP_3)
	v_mul_f64 v[96:97], v[86:87], s[2:3]
	v_ldexp_f64 v[34:35], v[34:35], 1
	s_delay_alu instid0(VALU_DEP_3) | instskip(NEXT) | instid1(VALU_DEP_3)
	v_add_f64 v[36:37], v[54:55], -v[84:85]
	v_fma_f64 v[84:85], v[86:87], s[2:3], -v[96:97]
	s_delay_alu instid0(VALU_DEP_2) | instskip(NEXT) | instid1(VALU_DEP_2)
	v_add_f64 v[36:37], v[48:49], -v[36:37]
	v_fma_f64 v[48:49], v[86:87], s[4:5], v[84:85]
	s_delay_alu instid0(VALU_DEP_2) | instskip(NEXT) | instid1(VALU_DEP_2)
	v_add_f64 v[34:35], v[34:35], v[36:37]
	v_add_f64 v[36:37], v[96:97], v[48:49]
	s_delay_alu instid0(VALU_DEP_2) | instskip(NEXT) | instid1(VALU_DEP_2)
	v_add_f64 v[84:85], v[54:55], v[34:35]
	v_add_f64 v[96:97], v[36:37], -v[96:97]
	s_delay_alu instid0(VALU_DEP_2) | instskip(SKIP_1) | instid1(VALU_DEP_3)
	v_add_f64 v[86:87], v[36:37], v[84:85]
	v_add_f64 v[54:55], v[84:85], -v[54:55]
	v_add_f64 v[48:49], v[48:49], -v[96:97]
	s_delay_alu instid0(VALU_DEP_3) | instskip(NEXT) | instid1(VALU_DEP_3)
	v_add_f64 v[98:99], v[86:87], -v[36:37]
	v_add_f64 v[34:35], v[34:35], -v[54:55]
	s_delay_alu instid0(VALU_DEP_2) | instskip(SKIP_1) | instid1(VALU_DEP_3)
	v_add_f64 v[100:101], v[86:87], -v[98:99]
	v_add_f64 v[54:55], v[84:85], -v[98:99]
	v_add_f64 v[84:85], v[48:49], v[34:35]
	s_delay_alu instid0(VALU_DEP_3) | instskip(NEXT) | instid1(VALU_DEP_1)
	v_add_f64 v[36:37], v[36:37], -v[100:101]
	v_add_f64 v[36:37], v[54:55], v[36:37]
	s_delay_alu instid0(VALU_DEP_3) | instskip(NEXT) | instid1(VALU_DEP_2)
	v_add_f64 v[54:55], v[84:85], -v[48:49]
	v_add_f64 v[36:37], v[84:85], v[36:37]
	s_delay_alu instid0(VALU_DEP_2) | instskip(SKIP_1) | instid1(VALU_DEP_3)
	v_add_f64 v[84:85], v[84:85], -v[54:55]
	v_add_f64 v[34:35], v[34:35], -v[54:55]
	v_add_f64 v[96:97], v[86:87], v[36:37]
	s_delay_alu instid0(VALU_DEP_3) | instskip(NEXT) | instid1(VALU_DEP_2)
	v_add_f64 v[48:49], v[48:49], -v[84:85]
	v_add_f64 v[54:55], v[96:97], -v[86:87]
	s_delay_alu instid0(VALU_DEP_2) | instskip(NEXT) | instid1(VALU_DEP_2)
	v_add_f64 v[34:35], v[34:35], v[48:49]
	v_add_f64 v[36:37], v[36:37], -v[54:55]
	s_delay_alu instid0(VALU_DEP_1) | instskip(NEXT) | instid1(VALU_DEP_1)
	v_add_f64 v[34:35], v[34:35], v[36:37]
	v_add_f64 v[34:35], v[96:97], v[34:35]
	s_delay_alu instid0(VALU_DEP_1) | instskip(SKIP_1) | instid1(VALU_DEP_2)
	v_dual_cndmask_b32 v35, v35, v19 :: v_dual_cndmask_b32 v34, v34, v18
	v_cmp_ngt_f64_e32 vcc_lo, -1.0, v[18:19]
	v_cndmask_b32_e32 v35, 0x7ff80000, v35, vcc_lo
	v_cmp_nge_f64_e32 vcc_lo, -1.0, v[18:19]
	s_delay_alu instid0(VALU_DEP_4) | instskip(SKIP_1) | instid1(VALU_DEP_4)
	v_cndmask_b32_e32 v34, 0, v34, vcc_lo
	v_cmp_neq_f64_e32 vcc_lo, -1.0, v[18:19]
	v_cndmask_b32_e32 v35, 0xfff00000, v35, vcc_lo
	s_delay_alu instid0(VALU_DEP_1)
	v_add_f64 v[18:19], v[32:33], v[34:35]
.LBB36_356:
	s_or_b32 exec_lo, exec_lo, s8
	s_delay_alu instid0(VALU_DEP_1) | instskip(SKIP_1) | instid1(VALU_DEP_2)
	v_max_f64 v[32:33], v[18:19], v[18:19]
	v_cmp_u_f64_e32 vcc_lo, v[18:19], v[18:19]
	v_min_f64 v[34:35], v[32:33], v[20:21]
	v_max_f64 v[20:21], v[32:33], v[20:21]
	s_delay_alu instid0(VALU_DEP_2) | instskip(NEXT) | instid1(VALU_DEP_2)
	v_dual_cndmask_b32 v32, v34, v18 :: v_dual_cndmask_b32 v33, v35, v19
	v_dual_cndmask_b32 v21, v21, v19 :: v_dual_cndmask_b32 v20, v20, v18
	s_delay_alu instid0(VALU_DEP_2) | instskip(NEXT) | instid1(VALU_DEP_3)
	v_cndmask_b32_e64 v34, v32, v80, s10
	v_cndmask_b32_e64 v35, v33, v81, s10
	s_delay_alu instid0(VALU_DEP_3) | instskip(NEXT) | instid1(VALU_DEP_4)
	v_cndmask_b32_e64 v33, v21, v81, s10
	v_cndmask_b32_e64 v32, v20, v80, s10
	v_dual_mov_b32 v21, v19 :: v_dual_mov_b32 v20, v18
	s_delay_alu instid0(VALU_DEP_4) | instskip(NEXT) | instid1(VALU_DEP_3)
	v_cmp_class_f64_e64 s1, v[34:35], 0x1f8
	v_cmp_neq_f64_e32 vcc_lo, v[34:35], v[32:33]
	s_delay_alu instid0(VALU_DEP_2) | instskip(NEXT) | instid1(SALU_CYCLE_1)
	s_or_b32 s1, vcc_lo, s1
	s_and_saveexec_b32 s8, s1
	s_cbranch_execz .LBB36_358
; %bb.357:
	v_add_f64 v[20:21], v[34:35], -v[32:33]
	s_mov_b32 s2, 0x652b82fe
	s_mov_b32 s3, 0x3ff71547
	;; [unrolled: 1-line block ×10, first 2 shown]
	s_delay_alu instid0(VALU_DEP_1) | instskip(SKIP_4) | instid1(VALU_DEP_3)
	v_mul_f64 v[34:35], v[20:21], s[2:3]
	s_mov_b32 s3, 0xbfe62e42
	s_mov_b32 s2, 0xfefa39ef
	v_cmp_nlt_f64_e32 vcc_lo, 0x40900000, v[20:21]
	v_cmp_ngt_f64_e64 s1, 0xc090cc00, v[20:21]
	v_rndne_f64_e32 v[34:35], v[34:35]
	s_delay_alu instid0(VALU_DEP_1) | instskip(SKIP_2) | instid1(VALU_DEP_2)
	v_fma_f64 v[36:37], v[34:35], s[2:3], v[20:21]
	v_cvt_i32_f64_e32 v54, v[34:35]
	s_mov_b32 s3, 0x3fe62e42
	v_fma_f64 v[36:37], v[34:35], s[4:5], v[36:37]
	s_mov_b32 s5, 0x3c7abc9e
	s_waitcnt lgkmcnt(0)
	s_delay_alu instid0(VALU_DEP_1) | instskip(SKIP_4) | instid1(VALU_DEP_1)
	v_fma_f64 v[48:49], v[36:37], s[16:17], s[6:7]
	s_mov_b32 s6, 0x623fde64
	s_mov_b32 s7, 0x3ec71dee
	;; [unrolled: 1-line block ×4, first 2 shown]
	v_fma_f64 v[48:49], v[36:37], v[48:49], s[6:7]
	s_mov_b32 s6, 0x7c89e6b0
	s_mov_b32 s7, 0x3efa0199
	s_delay_alu instid0(VALU_DEP_1) | instid1(SALU_CYCLE_1)
	v_fma_f64 v[48:49], v[36:37], v[48:49], s[6:7]
	s_mov_b32 s6, 0x14761f6e
	s_mov_b32 s7, 0x3f2a01a0
	s_delay_alu instid0(VALU_DEP_1) | instid1(SALU_CYCLE_1)
	;; [unrolled: 4-line block ×7, first 2 shown]
	v_fma_f64 v[48:49], v[36:37], v[48:49], s[6:7]
	s_mov_b32 s7, 0x3fe55555
	s_mov_b32 s6, 0x55555555
	s_delay_alu instid0(VALU_DEP_1) | instskip(NEXT) | instid1(VALU_DEP_1)
	v_fma_f64 v[48:49], v[36:37], v[48:49], 1.0
	v_fma_f64 v[34:35], v[36:37], v[48:49], 1.0
	s_delay_alu instid0(VALU_DEP_1) | instskip(NEXT) | instid1(VALU_DEP_1)
	v_ldexp_f64 v[34:35], v[34:35], v54
	v_cndmask_b32_e32 v35, 0x7ff00000, v35, vcc_lo
	s_and_b32 vcc_lo, s1, vcc_lo
	s_delay_alu instid0(VALU_DEP_1) | instskip(NEXT) | instid1(VALU_DEP_3)
	v_cndmask_b32_e64 v21, 0, v35, s1
	v_cndmask_b32_e32 v20, 0, v34, vcc_lo
	s_delay_alu instid0(VALU_DEP_1) | instskip(NEXT) | instid1(VALU_DEP_1)
	v_add_f64 v[34:35], v[20:21], 1.0
	v_frexp_mant_f64_e32 v[36:37], v[34:35]
	v_frexp_exp_i32_f64_e32 v54, v[34:35]
	v_add_f64 v[48:49], v[34:35], -1.0
	s_delay_alu instid0(VALU_DEP_3) | instskip(SKIP_1) | instid1(VALU_DEP_2)
	v_cmp_gt_f64_e32 vcc_lo, s[6:7], v[36:37]
	s_mov_b32 s6, 0x55555780
	v_add_f64 v[36:37], v[48:49], -v[34:35]
	v_add_f64 v[48:49], v[20:21], -v[48:49]
	v_subrev_co_ci_u32_e32 v112, vcc_lo, 0, v54, vcc_lo
	s_delay_alu instid0(VALU_DEP_3) | instskip(SKIP_1) | instid1(VALU_DEP_3)
	v_add_f64 v[36:37], v[36:37], 1.0
	v_cmp_eq_f64_e32 vcc_lo, 0x7ff00000, v[20:21]
	v_sub_nc_u32_e32 v80, 0, v112
	s_delay_alu instid0(VALU_DEP_1) | instskip(NEXT) | instid1(VALU_DEP_4)
	v_ldexp_f64 v[34:35], v[34:35], v80
	v_add_f64 v[36:37], v[48:49], v[36:37]
	s_delay_alu instid0(VALU_DEP_2) | instskip(SKIP_1) | instid1(VALU_DEP_3)
	v_add_f64 v[54:55], v[34:35], 1.0
	v_add_f64 v[86:87], v[34:35], -1.0
	v_ldexp_f64 v[36:37], v[36:37], v80
	s_delay_alu instid0(VALU_DEP_3) | instskip(NEXT) | instid1(VALU_DEP_3)
	v_add_f64 v[48:49], v[54:55], -1.0
	v_add_f64 v[96:97], v[86:87], 1.0
	s_delay_alu instid0(VALU_DEP_2) | instskip(NEXT) | instid1(VALU_DEP_2)
	v_add_f64 v[48:49], v[34:35], -v[48:49]
	v_add_f64 v[34:35], v[34:35], -v[96:97]
	s_delay_alu instid0(VALU_DEP_2) | instskip(NEXT) | instid1(VALU_DEP_2)
	v_add_f64 v[48:49], v[36:37], v[48:49]
	v_add_f64 v[34:35], v[36:37], v[34:35]
	s_delay_alu instid0(VALU_DEP_2) | instskip(NEXT) | instid1(VALU_DEP_2)
	v_add_f64 v[80:81], v[54:55], v[48:49]
	v_add_f64 v[96:97], v[86:87], v[34:35]
	s_delay_alu instid0(VALU_DEP_2) | instskip(SKIP_1) | instid1(VALU_DEP_2)
	v_rcp_f64_e32 v[84:85], v[80:81]
	v_add_f64 v[54:55], v[80:81], -v[54:55]
	v_add_f64 v[86:87], v[96:97], -v[86:87]
	s_delay_alu instid0(VALU_DEP_2) | instskip(SKIP_3) | instid1(VALU_DEP_2)
	v_add_f64 v[48:49], v[48:49], -v[54:55]
	s_waitcnt_depctr 0xfff
	v_fma_f64 v[98:99], -v[80:81], v[84:85], 1.0
	v_add_f64 v[34:35], v[34:35], -v[86:87]
	v_fma_f64 v[84:85], v[98:99], v[84:85], v[84:85]
	s_delay_alu instid0(VALU_DEP_1) | instskip(NEXT) | instid1(VALU_DEP_1)
	v_fma_f64 v[36:37], -v[80:81], v[84:85], 1.0
	v_fma_f64 v[36:37], v[36:37], v[84:85], v[84:85]
	s_delay_alu instid0(VALU_DEP_1) | instskip(NEXT) | instid1(VALU_DEP_1)
	v_mul_f64 v[84:85], v[96:97], v[36:37]
	v_mul_f64 v[98:99], v[80:81], v[84:85]
	s_delay_alu instid0(VALU_DEP_1) | instskip(NEXT) | instid1(VALU_DEP_1)
	v_fma_f64 v[54:55], v[84:85], v[80:81], -v[98:99]
	v_fma_f64 v[54:55], v[84:85], v[48:49], v[54:55]
	s_delay_alu instid0(VALU_DEP_1) | instskip(NEXT) | instid1(VALU_DEP_1)
	v_add_f64 v[100:101], v[98:99], v[54:55]
	v_add_f64 v[102:103], v[96:97], -v[100:101]
	v_add_f64 v[86:87], v[100:101], -v[98:99]
	s_delay_alu instid0(VALU_DEP_2) | instskip(NEXT) | instid1(VALU_DEP_2)
	v_add_f64 v[96:97], v[96:97], -v[102:103]
	v_add_f64 v[54:55], v[86:87], -v[54:55]
	s_delay_alu instid0(VALU_DEP_2) | instskip(NEXT) | instid1(VALU_DEP_1)
	v_add_f64 v[96:97], v[96:97], -v[100:101]
	v_add_f64 v[34:35], v[34:35], v[96:97]
	s_delay_alu instid0(VALU_DEP_1) | instskip(NEXT) | instid1(VALU_DEP_1)
	v_add_f64 v[34:35], v[54:55], v[34:35]
	v_add_f64 v[54:55], v[102:103], v[34:35]
	s_delay_alu instid0(VALU_DEP_1) | instskip(SKIP_1) | instid1(VALU_DEP_2)
	v_mul_f64 v[86:87], v[36:37], v[54:55]
	v_add_f64 v[100:101], v[102:103], -v[54:55]
	v_mul_f64 v[96:97], v[80:81], v[86:87]
	s_delay_alu instid0(VALU_DEP_2) | instskip(NEXT) | instid1(VALU_DEP_2)
	v_add_f64 v[34:35], v[34:35], v[100:101]
	v_fma_f64 v[80:81], v[86:87], v[80:81], -v[96:97]
	s_delay_alu instid0(VALU_DEP_1) | instskip(NEXT) | instid1(VALU_DEP_1)
	v_fma_f64 v[48:49], v[86:87], v[48:49], v[80:81]
	v_add_f64 v[80:81], v[96:97], v[48:49]
	s_delay_alu instid0(VALU_DEP_1) | instskip(SKIP_1) | instid1(VALU_DEP_2)
	v_add_f64 v[98:99], v[54:55], -v[80:81]
	v_add_f64 v[96:97], v[80:81], -v[96:97]
	v_add_f64 v[54:55], v[54:55], -v[98:99]
	s_delay_alu instid0(VALU_DEP_2) | instskip(NEXT) | instid1(VALU_DEP_2)
	v_add_f64 v[48:49], v[96:97], -v[48:49]
	v_add_f64 v[54:55], v[54:55], -v[80:81]
	s_delay_alu instid0(VALU_DEP_1) | instskip(SKIP_1) | instid1(VALU_DEP_2)
	v_add_f64 v[34:35], v[34:35], v[54:55]
	v_add_f64 v[54:55], v[84:85], v[86:87]
	;; [unrolled: 1-line block ×3, first 2 shown]
	s_delay_alu instid0(VALU_DEP_2) | instskip(NEXT) | instid1(VALU_DEP_2)
	v_add_f64 v[48:49], v[54:55], -v[84:85]
	v_add_f64 v[34:35], v[98:99], v[34:35]
	s_delay_alu instid0(VALU_DEP_2) | instskip(NEXT) | instid1(VALU_DEP_2)
	v_add_f64 v[48:49], v[86:87], -v[48:49]
	v_mul_f64 v[34:35], v[36:37], v[34:35]
	s_delay_alu instid0(VALU_DEP_1) | instskip(NEXT) | instid1(VALU_DEP_1)
	v_add_f64 v[34:35], v[48:49], v[34:35]
	v_add_f64 v[36:37], v[54:55], v[34:35]
	s_delay_alu instid0(VALU_DEP_1) | instskip(NEXT) | instid1(VALU_DEP_1)
	v_mul_f64 v[48:49], v[36:37], v[36:37]
	v_fma_f64 v[80:81], v[48:49], s[18:19], s[16:17]
	s_mov_b32 s16, 0xd7f4df2e
	s_mov_b32 s17, 0x3fc7474d
	v_mul_f64 v[84:85], v[36:37], v[48:49]
	s_delay_alu instid0(VALU_DEP_2)
	v_fma_f64 v[80:81], v[48:49], v[80:81], s[16:17]
	s_mov_b32 s16, 0x16291751
	s_mov_b32 s17, 0x3fcc71c0
	s_delay_alu instid0(VALU_DEP_1) | instid1(SALU_CYCLE_1)
	v_fma_f64 v[80:81], v[48:49], v[80:81], s[16:17]
	s_mov_b32 s16, 0x9b27acf1
	s_mov_b32 s17, 0x3fd24924
	s_delay_alu instid0(VALU_DEP_1) | instid1(SALU_CYCLE_1)
	;; [unrolled: 4-line block ×3, first 2 shown]
	v_fma_f64 v[80:81], v[48:49], v[80:81], s[16:17]
	s_delay_alu instid0(VALU_DEP_1) | instskip(SKIP_2) | instid1(VALU_DEP_3)
	v_fma_f64 v[48:49], v[48:49], v[80:81], s[6:7]
	v_ldexp_f64 v[80:81], v[36:37], 1
	v_add_f64 v[36:37], v[36:37], -v[54:55]
	v_mul_f64 v[48:49], v[84:85], v[48:49]
	v_cvt_f64_i32_e32 v[84:85], v112
	s_delay_alu instid0(VALU_DEP_3) | instskip(NEXT) | instid1(VALU_DEP_3)
	v_add_f64 v[34:35], v[34:35], -v[36:37]
	v_add_f64 v[54:55], v[80:81], v[48:49]
	s_delay_alu instid0(VALU_DEP_3) | instskip(NEXT) | instid1(VALU_DEP_3)
	v_mul_f64 v[86:87], v[84:85], s[2:3]
	v_ldexp_f64 v[34:35], v[34:35], 1
	s_delay_alu instid0(VALU_DEP_3) | instskip(NEXT) | instid1(VALU_DEP_3)
	v_add_f64 v[36:37], v[54:55], -v[80:81]
	v_fma_f64 v[80:81], v[84:85], s[2:3], -v[86:87]
	s_delay_alu instid0(VALU_DEP_2) | instskip(NEXT) | instid1(VALU_DEP_2)
	v_add_f64 v[36:37], v[48:49], -v[36:37]
	v_fma_f64 v[48:49], v[84:85], s[4:5], v[80:81]
	s_delay_alu instid0(VALU_DEP_2) | instskip(NEXT) | instid1(VALU_DEP_2)
	v_add_f64 v[34:35], v[34:35], v[36:37]
	v_add_f64 v[36:37], v[86:87], v[48:49]
	s_delay_alu instid0(VALU_DEP_2) | instskip(NEXT) | instid1(VALU_DEP_2)
	v_add_f64 v[80:81], v[54:55], v[34:35]
	v_add_f64 v[86:87], v[36:37], -v[86:87]
	s_delay_alu instid0(VALU_DEP_2) | instskip(SKIP_1) | instid1(VALU_DEP_3)
	v_add_f64 v[84:85], v[36:37], v[80:81]
	v_add_f64 v[54:55], v[80:81], -v[54:55]
	v_add_f64 v[48:49], v[48:49], -v[86:87]
	s_delay_alu instid0(VALU_DEP_3) | instskip(NEXT) | instid1(VALU_DEP_3)
	v_add_f64 v[96:97], v[84:85], -v[36:37]
	v_add_f64 v[34:35], v[34:35], -v[54:55]
	s_delay_alu instid0(VALU_DEP_2) | instskip(SKIP_1) | instid1(VALU_DEP_3)
	v_add_f64 v[98:99], v[84:85], -v[96:97]
	v_add_f64 v[54:55], v[80:81], -v[96:97]
	v_add_f64 v[80:81], v[48:49], v[34:35]
	s_delay_alu instid0(VALU_DEP_3) | instskip(NEXT) | instid1(VALU_DEP_1)
	v_add_f64 v[36:37], v[36:37], -v[98:99]
	v_add_f64 v[36:37], v[54:55], v[36:37]
	s_delay_alu instid0(VALU_DEP_3) | instskip(NEXT) | instid1(VALU_DEP_2)
	v_add_f64 v[54:55], v[80:81], -v[48:49]
	v_add_f64 v[36:37], v[80:81], v[36:37]
	s_delay_alu instid0(VALU_DEP_2) | instskip(SKIP_1) | instid1(VALU_DEP_3)
	v_add_f64 v[80:81], v[80:81], -v[54:55]
	v_add_f64 v[34:35], v[34:35], -v[54:55]
	v_add_f64 v[86:87], v[84:85], v[36:37]
	s_delay_alu instid0(VALU_DEP_3) | instskip(NEXT) | instid1(VALU_DEP_2)
	v_add_f64 v[48:49], v[48:49], -v[80:81]
	v_add_f64 v[54:55], v[86:87], -v[84:85]
	s_delay_alu instid0(VALU_DEP_2) | instskip(NEXT) | instid1(VALU_DEP_2)
	v_add_f64 v[34:35], v[34:35], v[48:49]
	v_add_f64 v[36:37], v[36:37], -v[54:55]
	s_delay_alu instid0(VALU_DEP_1) | instskip(NEXT) | instid1(VALU_DEP_1)
	v_add_f64 v[34:35], v[34:35], v[36:37]
	v_add_f64 v[34:35], v[86:87], v[34:35]
	s_delay_alu instid0(VALU_DEP_1) | instskip(SKIP_1) | instid1(VALU_DEP_2)
	v_dual_cndmask_b32 v35, v35, v21 :: v_dual_cndmask_b32 v34, v34, v20
	v_cmp_ngt_f64_e32 vcc_lo, -1.0, v[20:21]
	v_cndmask_b32_e32 v35, 0x7ff80000, v35, vcc_lo
	v_cmp_nge_f64_e32 vcc_lo, -1.0, v[20:21]
	s_delay_alu instid0(VALU_DEP_4) | instskip(SKIP_1) | instid1(VALU_DEP_4)
	v_cndmask_b32_e32 v34, 0, v34, vcc_lo
	v_cmp_neq_f64_e32 vcc_lo, -1.0, v[20:21]
	v_cndmask_b32_e32 v35, 0xfff00000, v35, vcc_lo
	s_delay_alu instid0(VALU_DEP_1)
	v_add_f64 v[20:21], v[32:33], v[34:35]
.LBB36_358:
	s_or_b32 exec_lo, exec_lo, s8
	s_delay_alu instid0(VALU_DEP_1) | instskip(SKIP_1) | instid1(VALU_DEP_2)
	v_max_f64 v[32:33], v[20:21], v[20:21]
	v_cmp_u_f64_e32 vcc_lo, v[20:21], v[20:21]
	v_min_f64 v[34:35], v[32:33], v[22:23]
	v_max_f64 v[22:23], v[32:33], v[22:23]
	s_delay_alu instid0(VALU_DEP_2) | instskip(NEXT) | instid1(VALU_DEP_2)
	v_dual_cndmask_b32 v32, v34, v20 :: v_dual_cndmask_b32 v33, v35, v21
	v_dual_cndmask_b32 v23, v23, v21 :: v_dual_cndmask_b32 v22, v22, v20
	s_delay_alu instid0(VALU_DEP_2) | instskip(NEXT) | instid1(VALU_DEP_3)
	v_cndmask_b32_e64 v34, v32, v82, s11
	v_cndmask_b32_e64 v35, v33, v83, s11
	s_delay_alu instid0(VALU_DEP_3) | instskip(NEXT) | instid1(VALU_DEP_4)
	v_cndmask_b32_e64 v33, v23, v83, s11
	v_cndmask_b32_e64 v32, v22, v82, s11
	v_dual_mov_b32 v23, v21 :: v_dual_mov_b32 v22, v20
	s_delay_alu instid0(VALU_DEP_4) | instskip(NEXT) | instid1(VALU_DEP_3)
	v_cmp_class_f64_e64 s1, v[34:35], 0x1f8
	v_cmp_neq_f64_e32 vcc_lo, v[34:35], v[32:33]
	s_delay_alu instid0(VALU_DEP_2) | instskip(NEXT) | instid1(SALU_CYCLE_1)
	s_or_b32 s1, vcc_lo, s1
	s_and_saveexec_b32 s8, s1
	s_cbranch_execz .LBB36_360
; %bb.359:
	v_add_f64 v[22:23], v[34:35], -v[32:33]
	s_mov_b32 s2, 0x652b82fe
	s_mov_b32 s3, 0x3ff71547
	;; [unrolled: 1-line block ×10, first 2 shown]
	s_delay_alu instid0(VALU_DEP_1) | instskip(SKIP_4) | instid1(VALU_DEP_3)
	v_mul_f64 v[34:35], v[22:23], s[2:3]
	s_mov_b32 s3, 0xbfe62e42
	s_mov_b32 s2, 0xfefa39ef
	v_cmp_nlt_f64_e32 vcc_lo, 0x40900000, v[22:23]
	v_cmp_ngt_f64_e64 s1, 0xc090cc00, v[22:23]
	v_rndne_f64_e32 v[34:35], v[34:35]
	s_delay_alu instid0(VALU_DEP_1) | instskip(SKIP_2) | instid1(VALU_DEP_2)
	v_fma_f64 v[36:37], v[34:35], s[2:3], v[22:23]
	v_cvt_i32_f64_e32 v54, v[34:35]
	s_mov_b32 s3, 0x3fe62e42
	v_fma_f64 v[36:37], v[34:35], s[4:5], v[36:37]
	s_mov_b32 s5, 0x3c7abc9e
	s_waitcnt lgkmcnt(0)
	s_delay_alu instid0(VALU_DEP_1) | instskip(SKIP_4) | instid1(VALU_DEP_1)
	v_fma_f64 v[48:49], v[36:37], s[10:11], s[6:7]
	s_mov_b32 s6, 0x623fde64
	s_mov_b32 s7, 0x3ec71dee
	;; [unrolled: 1-line block ×4, first 2 shown]
	v_fma_f64 v[48:49], v[36:37], v[48:49], s[6:7]
	s_mov_b32 s6, 0x7c89e6b0
	s_mov_b32 s7, 0x3efa0199
	s_delay_alu instid0(VALU_DEP_1) | instid1(SALU_CYCLE_1)
	v_fma_f64 v[48:49], v[36:37], v[48:49], s[6:7]
	s_mov_b32 s6, 0x14761f6e
	s_mov_b32 s7, 0x3f2a01a0
	s_delay_alu instid0(VALU_DEP_1) | instid1(SALU_CYCLE_1)
	;; [unrolled: 4-line block ×7, first 2 shown]
	v_fma_f64 v[48:49], v[36:37], v[48:49], s[6:7]
	s_mov_b32 s7, 0x3fe55555
	s_mov_b32 s6, 0x55555555
	s_delay_alu instid0(VALU_DEP_1) | instskip(NEXT) | instid1(VALU_DEP_1)
	v_fma_f64 v[48:49], v[36:37], v[48:49], 1.0
	v_fma_f64 v[34:35], v[36:37], v[48:49], 1.0
	s_delay_alu instid0(VALU_DEP_1) | instskip(NEXT) | instid1(VALU_DEP_1)
	v_ldexp_f64 v[34:35], v[34:35], v54
	v_cndmask_b32_e32 v35, 0x7ff00000, v35, vcc_lo
	s_and_b32 vcc_lo, s1, vcc_lo
	s_delay_alu instid0(VALU_DEP_1) | instskip(NEXT) | instid1(VALU_DEP_3)
	v_cndmask_b32_e64 v23, 0, v35, s1
	v_cndmask_b32_e32 v22, 0, v34, vcc_lo
	s_delay_alu instid0(VALU_DEP_1) | instskip(NEXT) | instid1(VALU_DEP_1)
	v_add_f64 v[34:35], v[22:23], 1.0
	v_frexp_mant_f64_e32 v[36:37], v[34:35]
	v_frexp_exp_i32_f64_e32 v54, v[34:35]
	v_add_f64 v[48:49], v[34:35], -1.0
	s_delay_alu instid0(VALU_DEP_3) | instskip(SKIP_1) | instid1(VALU_DEP_2)
	v_cmp_gt_f64_e32 vcc_lo, s[6:7], v[36:37]
	s_mov_b32 s6, 0x55555780
	v_add_f64 v[36:37], v[48:49], -v[34:35]
	v_add_f64 v[48:49], v[22:23], -v[48:49]
	v_subrev_co_ci_u32_e32 v102, vcc_lo, 0, v54, vcc_lo
	s_delay_alu instid0(VALU_DEP_3) | instskip(SKIP_1) | instid1(VALU_DEP_3)
	v_add_f64 v[36:37], v[36:37], 1.0
	v_cmp_eq_f64_e32 vcc_lo, 0x7ff00000, v[22:23]
	v_sub_nc_u32_e32 v80, 0, v102
	s_delay_alu instid0(VALU_DEP_1) | instskip(NEXT) | instid1(VALU_DEP_4)
	v_ldexp_f64 v[34:35], v[34:35], v80
	v_add_f64 v[36:37], v[48:49], v[36:37]
	s_delay_alu instid0(VALU_DEP_2) | instskip(SKIP_1) | instid1(VALU_DEP_3)
	v_add_f64 v[54:55], v[34:35], 1.0
	v_add_f64 v[84:85], v[34:35], -1.0
	v_ldexp_f64 v[36:37], v[36:37], v80
	s_delay_alu instid0(VALU_DEP_3) | instskip(NEXT) | instid1(VALU_DEP_3)
	v_add_f64 v[48:49], v[54:55], -1.0
	v_add_f64 v[86:87], v[84:85], 1.0
	s_delay_alu instid0(VALU_DEP_2) | instskip(NEXT) | instid1(VALU_DEP_2)
	v_add_f64 v[48:49], v[34:35], -v[48:49]
	v_add_f64 v[34:35], v[34:35], -v[86:87]
	s_delay_alu instid0(VALU_DEP_2) | instskip(NEXT) | instid1(VALU_DEP_2)
	v_add_f64 v[48:49], v[36:37], v[48:49]
	v_add_f64 v[34:35], v[36:37], v[34:35]
	s_delay_alu instid0(VALU_DEP_2) | instskip(NEXT) | instid1(VALU_DEP_2)
	v_add_f64 v[80:81], v[54:55], v[48:49]
	v_add_f64 v[86:87], v[84:85], v[34:35]
	s_delay_alu instid0(VALU_DEP_2) | instskip(SKIP_1) | instid1(VALU_DEP_2)
	v_rcp_f64_e32 v[82:83], v[80:81]
	v_add_f64 v[54:55], v[80:81], -v[54:55]
	v_add_f64 v[84:85], v[86:87], -v[84:85]
	s_delay_alu instid0(VALU_DEP_2) | instskip(SKIP_3) | instid1(VALU_DEP_2)
	v_add_f64 v[48:49], v[48:49], -v[54:55]
	s_waitcnt_depctr 0xfff
	v_fma_f64 v[96:97], -v[80:81], v[82:83], 1.0
	v_add_f64 v[34:35], v[34:35], -v[84:85]
	v_fma_f64 v[82:83], v[96:97], v[82:83], v[82:83]
	s_delay_alu instid0(VALU_DEP_1) | instskip(NEXT) | instid1(VALU_DEP_1)
	v_fma_f64 v[36:37], -v[80:81], v[82:83], 1.0
	v_fma_f64 v[36:37], v[36:37], v[82:83], v[82:83]
	s_delay_alu instid0(VALU_DEP_1) | instskip(NEXT) | instid1(VALU_DEP_1)
	v_mul_f64 v[82:83], v[86:87], v[36:37]
	v_mul_f64 v[96:97], v[80:81], v[82:83]
	s_delay_alu instid0(VALU_DEP_1) | instskip(NEXT) | instid1(VALU_DEP_1)
	v_fma_f64 v[54:55], v[82:83], v[80:81], -v[96:97]
	v_fma_f64 v[54:55], v[82:83], v[48:49], v[54:55]
	s_delay_alu instid0(VALU_DEP_1) | instskip(NEXT) | instid1(VALU_DEP_1)
	v_add_f64 v[98:99], v[96:97], v[54:55]
	v_add_f64 v[100:101], v[86:87], -v[98:99]
	v_add_f64 v[84:85], v[98:99], -v[96:97]
	s_delay_alu instid0(VALU_DEP_2) | instskip(NEXT) | instid1(VALU_DEP_2)
	v_add_f64 v[86:87], v[86:87], -v[100:101]
	v_add_f64 v[54:55], v[84:85], -v[54:55]
	s_delay_alu instid0(VALU_DEP_2) | instskip(NEXT) | instid1(VALU_DEP_1)
	v_add_f64 v[86:87], v[86:87], -v[98:99]
	v_add_f64 v[34:35], v[34:35], v[86:87]
	s_delay_alu instid0(VALU_DEP_1) | instskip(NEXT) | instid1(VALU_DEP_1)
	v_add_f64 v[34:35], v[54:55], v[34:35]
	v_add_f64 v[54:55], v[100:101], v[34:35]
	s_delay_alu instid0(VALU_DEP_1) | instskip(SKIP_1) | instid1(VALU_DEP_2)
	v_mul_f64 v[84:85], v[36:37], v[54:55]
	v_add_f64 v[98:99], v[100:101], -v[54:55]
	v_mul_f64 v[86:87], v[80:81], v[84:85]
	s_delay_alu instid0(VALU_DEP_2) | instskip(NEXT) | instid1(VALU_DEP_2)
	v_add_f64 v[34:35], v[34:35], v[98:99]
	v_fma_f64 v[80:81], v[84:85], v[80:81], -v[86:87]
	s_delay_alu instid0(VALU_DEP_1) | instskip(NEXT) | instid1(VALU_DEP_1)
	v_fma_f64 v[48:49], v[84:85], v[48:49], v[80:81]
	v_add_f64 v[80:81], v[86:87], v[48:49]
	s_delay_alu instid0(VALU_DEP_1) | instskip(SKIP_1) | instid1(VALU_DEP_2)
	v_add_f64 v[96:97], v[54:55], -v[80:81]
	v_add_f64 v[86:87], v[80:81], -v[86:87]
	;; [unrolled: 1-line block ×3, first 2 shown]
	s_delay_alu instid0(VALU_DEP_2) | instskip(NEXT) | instid1(VALU_DEP_2)
	v_add_f64 v[48:49], v[86:87], -v[48:49]
	v_add_f64 v[54:55], v[54:55], -v[80:81]
	s_delay_alu instid0(VALU_DEP_1) | instskip(SKIP_1) | instid1(VALU_DEP_2)
	v_add_f64 v[34:35], v[34:35], v[54:55]
	v_add_f64 v[54:55], v[82:83], v[84:85]
	;; [unrolled: 1-line block ×3, first 2 shown]
	s_delay_alu instid0(VALU_DEP_2) | instskip(NEXT) | instid1(VALU_DEP_2)
	v_add_f64 v[48:49], v[54:55], -v[82:83]
	v_add_f64 v[34:35], v[96:97], v[34:35]
	s_delay_alu instid0(VALU_DEP_2) | instskip(NEXT) | instid1(VALU_DEP_2)
	v_add_f64 v[48:49], v[84:85], -v[48:49]
	v_mul_f64 v[34:35], v[36:37], v[34:35]
	s_delay_alu instid0(VALU_DEP_1) | instskip(NEXT) | instid1(VALU_DEP_1)
	v_add_f64 v[34:35], v[48:49], v[34:35]
	v_add_f64 v[36:37], v[54:55], v[34:35]
	s_delay_alu instid0(VALU_DEP_1) | instskip(NEXT) | instid1(VALU_DEP_1)
	v_mul_f64 v[48:49], v[36:37], v[36:37]
	v_fma_f64 v[80:81], v[48:49], s[16:17], s[10:11]
	s_mov_b32 s10, 0xd7f4df2e
	s_mov_b32 s11, 0x3fc7474d
	v_mul_f64 v[82:83], v[36:37], v[48:49]
	s_delay_alu instid0(VALU_DEP_2)
	v_fma_f64 v[80:81], v[48:49], v[80:81], s[10:11]
	s_mov_b32 s10, 0x16291751
	s_mov_b32 s11, 0x3fcc71c0
	s_delay_alu instid0(VALU_DEP_1) | instid1(SALU_CYCLE_1)
	v_fma_f64 v[80:81], v[48:49], v[80:81], s[10:11]
	s_mov_b32 s10, 0x9b27acf1
	s_mov_b32 s11, 0x3fd24924
	s_delay_alu instid0(VALU_DEP_1) | instid1(SALU_CYCLE_1)
	;; [unrolled: 4-line block ×3, first 2 shown]
	v_fma_f64 v[80:81], v[48:49], v[80:81], s[10:11]
	s_delay_alu instid0(VALU_DEP_1) | instskip(SKIP_2) | instid1(VALU_DEP_3)
	v_fma_f64 v[48:49], v[48:49], v[80:81], s[6:7]
	v_ldexp_f64 v[80:81], v[36:37], 1
	v_add_f64 v[36:37], v[36:37], -v[54:55]
	v_mul_f64 v[48:49], v[82:83], v[48:49]
	v_cvt_f64_i32_e32 v[82:83], v102
	s_delay_alu instid0(VALU_DEP_3) | instskip(NEXT) | instid1(VALU_DEP_3)
	v_add_f64 v[34:35], v[34:35], -v[36:37]
	v_add_f64 v[54:55], v[80:81], v[48:49]
	s_delay_alu instid0(VALU_DEP_3) | instskip(NEXT) | instid1(VALU_DEP_3)
	v_mul_f64 v[84:85], v[82:83], s[2:3]
	v_ldexp_f64 v[34:35], v[34:35], 1
	s_delay_alu instid0(VALU_DEP_3) | instskip(NEXT) | instid1(VALU_DEP_3)
	v_add_f64 v[36:37], v[54:55], -v[80:81]
	v_fma_f64 v[80:81], v[82:83], s[2:3], -v[84:85]
	s_delay_alu instid0(VALU_DEP_2) | instskip(NEXT) | instid1(VALU_DEP_2)
	v_add_f64 v[36:37], v[48:49], -v[36:37]
	v_fma_f64 v[48:49], v[82:83], s[4:5], v[80:81]
	s_delay_alu instid0(VALU_DEP_2) | instskip(NEXT) | instid1(VALU_DEP_2)
	v_add_f64 v[34:35], v[34:35], v[36:37]
	v_add_f64 v[36:37], v[84:85], v[48:49]
	s_delay_alu instid0(VALU_DEP_2) | instskip(NEXT) | instid1(VALU_DEP_2)
	v_add_f64 v[80:81], v[54:55], v[34:35]
	v_add_f64 v[84:85], v[36:37], -v[84:85]
	s_delay_alu instid0(VALU_DEP_2) | instskip(SKIP_1) | instid1(VALU_DEP_3)
	v_add_f64 v[82:83], v[36:37], v[80:81]
	v_add_f64 v[54:55], v[80:81], -v[54:55]
	v_add_f64 v[48:49], v[48:49], -v[84:85]
	s_delay_alu instid0(VALU_DEP_3) | instskip(NEXT) | instid1(VALU_DEP_3)
	v_add_f64 v[86:87], v[82:83], -v[36:37]
	v_add_f64 v[34:35], v[34:35], -v[54:55]
	s_delay_alu instid0(VALU_DEP_2) | instskip(SKIP_1) | instid1(VALU_DEP_3)
	v_add_f64 v[96:97], v[82:83], -v[86:87]
	v_add_f64 v[54:55], v[80:81], -v[86:87]
	v_add_f64 v[80:81], v[48:49], v[34:35]
	s_delay_alu instid0(VALU_DEP_3) | instskip(NEXT) | instid1(VALU_DEP_1)
	v_add_f64 v[36:37], v[36:37], -v[96:97]
	v_add_f64 v[36:37], v[54:55], v[36:37]
	s_delay_alu instid0(VALU_DEP_3) | instskip(NEXT) | instid1(VALU_DEP_2)
	v_add_f64 v[54:55], v[80:81], -v[48:49]
	v_add_f64 v[36:37], v[80:81], v[36:37]
	s_delay_alu instid0(VALU_DEP_2) | instskip(SKIP_1) | instid1(VALU_DEP_3)
	v_add_f64 v[80:81], v[80:81], -v[54:55]
	v_add_f64 v[34:35], v[34:35], -v[54:55]
	v_add_f64 v[84:85], v[82:83], v[36:37]
	s_delay_alu instid0(VALU_DEP_3) | instskip(NEXT) | instid1(VALU_DEP_2)
	v_add_f64 v[48:49], v[48:49], -v[80:81]
	v_add_f64 v[54:55], v[84:85], -v[82:83]
	s_delay_alu instid0(VALU_DEP_2) | instskip(NEXT) | instid1(VALU_DEP_2)
	v_add_f64 v[34:35], v[34:35], v[48:49]
	v_add_f64 v[36:37], v[36:37], -v[54:55]
	s_delay_alu instid0(VALU_DEP_1) | instskip(NEXT) | instid1(VALU_DEP_1)
	v_add_f64 v[34:35], v[34:35], v[36:37]
	v_add_f64 v[34:35], v[84:85], v[34:35]
	s_delay_alu instid0(VALU_DEP_1) | instskip(SKIP_1) | instid1(VALU_DEP_2)
	v_dual_cndmask_b32 v35, v35, v23 :: v_dual_cndmask_b32 v34, v34, v22
	v_cmp_ngt_f64_e32 vcc_lo, -1.0, v[22:23]
	v_cndmask_b32_e32 v35, 0x7ff80000, v35, vcc_lo
	v_cmp_nge_f64_e32 vcc_lo, -1.0, v[22:23]
	s_delay_alu instid0(VALU_DEP_4) | instskip(SKIP_1) | instid1(VALU_DEP_4)
	v_cndmask_b32_e32 v34, 0, v34, vcc_lo
	v_cmp_neq_f64_e32 vcc_lo, -1.0, v[22:23]
	v_cndmask_b32_e32 v35, 0xfff00000, v35, vcc_lo
	s_delay_alu instid0(VALU_DEP_1)
	v_add_f64 v[22:23], v[32:33], v[34:35]
.LBB36_360:
	s_or_b32 exec_lo, exec_lo, s8
	s_delay_alu instid0(VALU_DEP_1) | instskip(SKIP_1) | instid1(VALU_DEP_2)
	v_max_f64 v[32:33], v[22:23], v[22:23]
	v_cmp_u_f64_e32 vcc_lo, v[22:23], v[22:23]
	v_min_f64 v[34:35], v[32:33], v[24:25]
	v_max_f64 v[24:25], v[32:33], v[24:25]
	s_delay_alu instid0(VALU_DEP_2) | instskip(NEXT) | instid1(VALU_DEP_2)
	v_dual_cndmask_b32 v32, v34, v22 :: v_dual_cndmask_b32 v33, v35, v23
	v_dual_cndmask_b32 v25, v25, v23 :: v_dual_cndmask_b32 v24, v24, v22
	s_delay_alu instid0(VALU_DEP_2) | instskip(NEXT) | instid1(VALU_DEP_3)
	v_cndmask_b32_e64 v34, v32, v68, s12
	v_cndmask_b32_e64 v35, v33, v69, s12
	s_delay_alu instid0(VALU_DEP_3) | instskip(NEXT) | instid1(VALU_DEP_4)
	v_cndmask_b32_e64 v33, v25, v69, s12
	v_cndmask_b32_e64 v32, v24, v68, s12
	v_dual_mov_b32 v25, v23 :: v_dual_mov_b32 v24, v22
	s_delay_alu instid0(VALU_DEP_4) | instskip(NEXT) | instid1(VALU_DEP_3)
	v_cmp_class_f64_e64 s1, v[34:35], 0x1f8
	v_cmp_neq_f64_e32 vcc_lo, v[34:35], v[32:33]
	s_delay_alu instid0(VALU_DEP_2) | instskip(NEXT) | instid1(SALU_CYCLE_1)
	s_or_b32 s1, vcc_lo, s1
	s_and_saveexec_b32 s8, s1
	s_cbranch_execz .LBB36_362
; %bb.361:
	v_add_f64 v[24:25], v[34:35], -v[32:33]
	s_mov_b32 s2, 0x652b82fe
	s_mov_b32 s3, 0x3ff71547
	;; [unrolled: 1-line block ×10, first 2 shown]
	s_delay_alu instid0(VALU_DEP_1) | instskip(SKIP_4) | instid1(VALU_DEP_3)
	v_mul_f64 v[34:35], v[24:25], s[2:3]
	s_mov_b32 s3, 0xbfe62e42
	s_mov_b32 s2, 0xfefa39ef
	v_cmp_nlt_f64_e32 vcc_lo, 0x40900000, v[24:25]
	v_cmp_ngt_f64_e64 s1, 0xc090cc00, v[24:25]
	v_rndne_f64_e32 v[34:35], v[34:35]
	s_delay_alu instid0(VALU_DEP_1) | instskip(SKIP_2) | instid1(VALU_DEP_2)
	v_fma_f64 v[36:37], v[34:35], s[2:3], v[24:25]
	v_cvt_i32_f64_e32 v54, v[34:35]
	s_mov_b32 s3, 0x3fe62e42
	v_fma_f64 v[36:37], v[34:35], s[4:5], v[36:37]
	s_mov_b32 s5, 0x3c7abc9e
	s_waitcnt lgkmcnt(0)
	s_delay_alu instid0(VALU_DEP_1) | instskip(SKIP_4) | instid1(VALU_DEP_1)
	v_fma_f64 v[48:49], v[36:37], s[10:11], s[6:7]
	s_mov_b32 s6, 0x623fde64
	s_mov_b32 s7, 0x3ec71dee
	;; [unrolled: 1-line block ×4, first 2 shown]
	v_fma_f64 v[48:49], v[36:37], v[48:49], s[6:7]
	s_mov_b32 s6, 0x7c89e6b0
	s_mov_b32 s7, 0x3efa0199
	s_delay_alu instid0(VALU_DEP_1) | instid1(SALU_CYCLE_1)
	v_fma_f64 v[48:49], v[36:37], v[48:49], s[6:7]
	s_mov_b32 s6, 0x14761f6e
	s_mov_b32 s7, 0x3f2a01a0
	s_delay_alu instid0(VALU_DEP_1) | instid1(SALU_CYCLE_1)
	;; [unrolled: 4-line block ×7, first 2 shown]
	v_fma_f64 v[48:49], v[36:37], v[48:49], s[6:7]
	s_mov_b32 s7, 0x3fe55555
	s_mov_b32 s6, 0x55555555
	s_delay_alu instid0(VALU_DEP_1) | instskip(NEXT) | instid1(VALU_DEP_1)
	v_fma_f64 v[48:49], v[36:37], v[48:49], 1.0
	v_fma_f64 v[34:35], v[36:37], v[48:49], 1.0
	s_delay_alu instid0(VALU_DEP_1) | instskip(NEXT) | instid1(VALU_DEP_1)
	v_ldexp_f64 v[34:35], v[34:35], v54
	v_cndmask_b32_e32 v35, 0x7ff00000, v35, vcc_lo
	s_and_b32 vcc_lo, s1, vcc_lo
	s_delay_alu instid0(VALU_DEP_1) | instskip(NEXT) | instid1(VALU_DEP_3)
	v_cndmask_b32_e64 v25, 0, v35, s1
	v_cndmask_b32_e32 v24, 0, v34, vcc_lo
	s_delay_alu instid0(VALU_DEP_1) | instskip(NEXT) | instid1(VALU_DEP_1)
	v_add_f64 v[34:35], v[24:25], 1.0
	v_frexp_mant_f64_e32 v[36:37], v[34:35]
	v_frexp_exp_i32_f64_e32 v54, v[34:35]
	v_add_f64 v[48:49], v[34:35], -1.0
	s_delay_alu instid0(VALU_DEP_3) | instskip(SKIP_1) | instid1(VALU_DEP_2)
	v_cmp_gt_f64_e32 vcc_lo, s[6:7], v[36:37]
	s_mov_b32 s6, 0x55555780
	v_add_f64 v[36:37], v[48:49], -v[34:35]
	v_add_f64 v[48:49], v[24:25], -v[48:49]
	v_subrev_co_ci_u32_e32 v100, vcc_lo, 0, v54, vcc_lo
	s_delay_alu instid0(VALU_DEP_3) | instskip(SKIP_1) | instid1(VALU_DEP_3)
	v_add_f64 v[36:37], v[36:37], 1.0
	v_cmp_eq_f64_e32 vcc_lo, 0x7ff00000, v[24:25]
	v_sub_nc_u32_e32 v68, 0, v100
	s_delay_alu instid0(VALU_DEP_1) | instskip(NEXT) | instid1(VALU_DEP_4)
	v_ldexp_f64 v[34:35], v[34:35], v68
	v_add_f64 v[36:37], v[48:49], v[36:37]
	s_delay_alu instid0(VALU_DEP_2) | instskip(SKIP_1) | instid1(VALU_DEP_3)
	v_add_f64 v[54:55], v[34:35], 1.0
	v_add_f64 v[82:83], v[34:35], -1.0
	v_ldexp_f64 v[36:37], v[36:37], v68
	s_delay_alu instid0(VALU_DEP_3) | instskip(NEXT) | instid1(VALU_DEP_3)
	v_add_f64 v[48:49], v[54:55], -1.0
	v_add_f64 v[84:85], v[82:83], 1.0
	s_delay_alu instid0(VALU_DEP_2) | instskip(NEXT) | instid1(VALU_DEP_2)
	v_add_f64 v[48:49], v[34:35], -v[48:49]
	v_add_f64 v[34:35], v[34:35], -v[84:85]
	s_delay_alu instid0(VALU_DEP_2) | instskip(NEXT) | instid1(VALU_DEP_2)
	v_add_f64 v[48:49], v[36:37], v[48:49]
	v_add_f64 v[34:35], v[36:37], v[34:35]
	s_delay_alu instid0(VALU_DEP_2) | instskip(NEXT) | instid1(VALU_DEP_2)
	v_add_f64 v[68:69], v[54:55], v[48:49]
	v_add_f64 v[84:85], v[82:83], v[34:35]
	s_delay_alu instid0(VALU_DEP_2) | instskip(SKIP_1) | instid1(VALU_DEP_2)
	v_rcp_f64_e32 v[80:81], v[68:69]
	v_add_f64 v[54:55], v[68:69], -v[54:55]
	v_add_f64 v[82:83], v[84:85], -v[82:83]
	s_delay_alu instid0(VALU_DEP_2) | instskip(SKIP_3) | instid1(VALU_DEP_2)
	v_add_f64 v[48:49], v[48:49], -v[54:55]
	s_waitcnt_depctr 0xfff
	v_fma_f64 v[86:87], -v[68:69], v[80:81], 1.0
	v_add_f64 v[34:35], v[34:35], -v[82:83]
	v_fma_f64 v[80:81], v[86:87], v[80:81], v[80:81]
	s_delay_alu instid0(VALU_DEP_1) | instskip(NEXT) | instid1(VALU_DEP_1)
	v_fma_f64 v[36:37], -v[68:69], v[80:81], 1.0
	v_fma_f64 v[36:37], v[36:37], v[80:81], v[80:81]
	s_delay_alu instid0(VALU_DEP_1) | instskip(NEXT) | instid1(VALU_DEP_1)
	v_mul_f64 v[80:81], v[84:85], v[36:37]
	v_mul_f64 v[86:87], v[68:69], v[80:81]
	s_delay_alu instid0(VALU_DEP_1) | instskip(NEXT) | instid1(VALU_DEP_1)
	v_fma_f64 v[54:55], v[80:81], v[68:69], -v[86:87]
	v_fma_f64 v[54:55], v[80:81], v[48:49], v[54:55]
	s_delay_alu instid0(VALU_DEP_1) | instskip(NEXT) | instid1(VALU_DEP_1)
	v_add_f64 v[96:97], v[86:87], v[54:55]
	v_add_f64 v[98:99], v[84:85], -v[96:97]
	v_add_f64 v[82:83], v[96:97], -v[86:87]
	s_delay_alu instid0(VALU_DEP_2) | instskip(NEXT) | instid1(VALU_DEP_2)
	v_add_f64 v[84:85], v[84:85], -v[98:99]
	v_add_f64 v[54:55], v[82:83], -v[54:55]
	s_delay_alu instid0(VALU_DEP_2) | instskip(NEXT) | instid1(VALU_DEP_1)
	v_add_f64 v[84:85], v[84:85], -v[96:97]
	v_add_f64 v[34:35], v[34:35], v[84:85]
	s_delay_alu instid0(VALU_DEP_1) | instskip(NEXT) | instid1(VALU_DEP_1)
	v_add_f64 v[34:35], v[54:55], v[34:35]
	v_add_f64 v[54:55], v[98:99], v[34:35]
	s_delay_alu instid0(VALU_DEP_1) | instskip(SKIP_1) | instid1(VALU_DEP_2)
	v_mul_f64 v[82:83], v[36:37], v[54:55]
	v_add_f64 v[96:97], v[98:99], -v[54:55]
	v_mul_f64 v[84:85], v[68:69], v[82:83]
	s_delay_alu instid0(VALU_DEP_2) | instskip(NEXT) | instid1(VALU_DEP_2)
	v_add_f64 v[34:35], v[34:35], v[96:97]
	v_fma_f64 v[68:69], v[82:83], v[68:69], -v[84:85]
	s_delay_alu instid0(VALU_DEP_1) | instskip(NEXT) | instid1(VALU_DEP_1)
	v_fma_f64 v[48:49], v[82:83], v[48:49], v[68:69]
	v_add_f64 v[68:69], v[84:85], v[48:49]
	s_delay_alu instid0(VALU_DEP_1) | instskip(SKIP_1) | instid1(VALU_DEP_2)
	v_add_f64 v[86:87], v[54:55], -v[68:69]
	v_add_f64 v[84:85], v[68:69], -v[84:85]
	;; [unrolled: 1-line block ×3, first 2 shown]
	s_delay_alu instid0(VALU_DEP_2) | instskip(NEXT) | instid1(VALU_DEP_2)
	v_add_f64 v[48:49], v[84:85], -v[48:49]
	v_add_f64 v[54:55], v[54:55], -v[68:69]
	s_delay_alu instid0(VALU_DEP_1) | instskip(SKIP_1) | instid1(VALU_DEP_2)
	v_add_f64 v[34:35], v[34:35], v[54:55]
	v_add_f64 v[54:55], v[80:81], v[82:83]
	;; [unrolled: 1-line block ×3, first 2 shown]
	s_delay_alu instid0(VALU_DEP_2) | instskip(NEXT) | instid1(VALU_DEP_2)
	v_add_f64 v[48:49], v[54:55], -v[80:81]
	v_add_f64 v[34:35], v[86:87], v[34:35]
	s_delay_alu instid0(VALU_DEP_2) | instskip(NEXT) | instid1(VALU_DEP_2)
	v_add_f64 v[48:49], v[82:83], -v[48:49]
	v_mul_f64 v[34:35], v[36:37], v[34:35]
	s_delay_alu instid0(VALU_DEP_1) | instskip(NEXT) | instid1(VALU_DEP_1)
	v_add_f64 v[34:35], v[48:49], v[34:35]
	v_add_f64 v[36:37], v[54:55], v[34:35]
	s_delay_alu instid0(VALU_DEP_1) | instskip(NEXT) | instid1(VALU_DEP_1)
	v_mul_f64 v[48:49], v[36:37], v[36:37]
	v_fma_f64 v[68:69], v[48:49], s[16:17], s[10:11]
	s_mov_b32 s10, 0xd7f4df2e
	s_mov_b32 s11, 0x3fc7474d
	v_mul_f64 v[80:81], v[36:37], v[48:49]
	s_delay_alu instid0(VALU_DEP_2)
	v_fma_f64 v[68:69], v[48:49], v[68:69], s[10:11]
	s_mov_b32 s10, 0x16291751
	s_mov_b32 s11, 0x3fcc71c0
	s_delay_alu instid0(VALU_DEP_1) | instid1(SALU_CYCLE_1)
	v_fma_f64 v[68:69], v[48:49], v[68:69], s[10:11]
	s_mov_b32 s10, 0x9b27acf1
	s_mov_b32 s11, 0x3fd24924
	s_delay_alu instid0(VALU_DEP_1) | instid1(SALU_CYCLE_1)
	;; [unrolled: 4-line block ×3, first 2 shown]
	v_fma_f64 v[68:69], v[48:49], v[68:69], s[10:11]
	s_delay_alu instid0(VALU_DEP_1) | instskip(SKIP_2) | instid1(VALU_DEP_3)
	v_fma_f64 v[48:49], v[48:49], v[68:69], s[6:7]
	v_ldexp_f64 v[68:69], v[36:37], 1
	v_add_f64 v[36:37], v[36:37], -v[54:55]
	v_mul_f64 v[48:49], v[80:81], v[48:49]
	v_cvt_f64_i32_e32 v[80:81], v100
	s_delay_alu instid0(VALU_DEP_3) | instskip(NEXT) | instid1(VALU_DEP_3)
	v_add_f64 v[34:35], v[34:35], -v[36:37]
	v_add_f64 v[54:55], v[68:69], v[48:49]
	s_delay_alu instid0(VALU_DEP_3) | instskip(NEXT) | instid1(VALU_DEP_3)
	v_mul_f64 v[82:83], v[80:81], s[2:3]
	v_ldexp_f64 v[34:35], v[34:35], 1
	s_delay_alu instid0(VALU_DEP_3) | instskip(NEXT) | instid1(VALU_DEP_3)
	v_add_f64 v[36:37], v[54:55], -v[68:69]
	v_fma_f64 v[68:69], v[80:81], s[2:3], -v[82:83]
	s_delay_alu instid0(VALU_DEP_2) | instskip(NEXT) | instid1(VALU_DEP_2)
	v_add_f64 v[36:37], v[48:49], -v[36:37]
	v_fma_f64 v[48:49], v[80:81], s[4:5], v[68:69]
	s_delay_alu instid0(VALU_DEP_2) | instskip(NEXT) | instid1(VALU_DEP_2)
	v_add_f64 v[34:35], v[34:35], v[36:37]
	v_add_f64 v[36:37], v[82:83], v[48:49]
	s_delay_alu instid0(VALU_DEP_2) | instskip(NEXT) | instid1(VALU_DEP_2)
	v_add_f64 v[68:69], v[54:55], v[34:35]
	v_add_f64 v[82:83], v[36:37], -v[82:83]
	s_delay_alu instid0(VALU_DEP_2) | instskip(SKIP_1) | instid1(VALU_DEP_3)
	v_add_f64 v[80:81], v[36:37], v[68:69]
	v_add_f64 v[54:55], v[68:69], -v[54:55]
	v_add_f64 v[48:49], v[48:49], -v[82:83]
	s_delay_alu instid0(VALU_DEP_3) | instskip(NEXT) | instid1(VALU_DEP_3)
	v_add_f64 v[84:85], v[80:81], -v[36:37]
	v_add_f64 v[34:35], v[34:35], -v[54:55]
	s_delay_alu instid0(VALU_DEP_2) | instskip(SKIP_1) | instid1(VALU_DEP_3)
	v_add_f64 v[86:87], v[80:81], -v[84:85]
	v_add_f64 v[54:55], v[68:69], -v[84:85]
	v_add_f64 v[68:69], v[48:49], v[34:35]
	s_delay_alu instid0(VALU_DEP_3) | instskip(NEXT) | instid1(VALU_DEP_1)
	v_add_f64 v[36:37], v[36:37], -v[86:87]
	v_add_f64 v[36:37], v[54:55], v[36:37]
	s_delay_alu instid0(VALU_DEP_3) | instskip(NEXT) | instid1(VALU_DEP_2)
	v_add_f64 v[54:55], v[68:69], -v[48:49]
	v_add_f64 v[36:37], v[68:69], v[36:37]
	s_delay_alu instid0(VALU_DEP_2) | instskip(SKIP_1) | instid1(VALU_DEP_3)
	v_add_f64 v[68:69], v[68:69], -v[54:55]
	v_add_f64 v[34:35], v[34:35], -v[54:55]
	v_add_f64 v[82:83], v[80:81], v[36:37]
	s_delay_alu instid0(VALU_DEP_3) | instskip(NEXT) | instid1(VALU_DEP_2)
	v_add_f64 v[48:49], v[48:49], -v[68:69]
	v_add_f64 v[54:55], v[82:83], -v[80:81]
	s_delay_alu instid0(VALU_DEP_2) | instskip(NEXT) | instid1(VALU_DEP_2)
	v_add_f64 v[34:35], v[34:35], v[48:49]
	v_add_f64 v[36:37], v[36:37], -v[54:55]
	s_delay_alu instid0(VALU_DEP_1) | instskip(NEXT) | instid1(VALU_DEP_1)
	v_add_f64 v[34:35], v[34:35], v[36:37]
	v_add_f64 v[34:35], v[82:83], v[34:35]
	s_delay_alu instid0(VALU_DEP_1) | instskip(SKIP_1) | instid1(VALU_DEP_2)
	v_dual_cndmask_b32 v35, v35, v25 :: v_dual_cndmask_b32 v34, v34, v24
	v_cmp_ngt_f64_e32 vcc_lo, -1.0, v[24:25]
	v_cndmask_b32_e32 v35, 0x7ff80000, v35, vcc_lo
	v_cmp_nge_f64_e32 vcc_lo, -1.0, v[24:25]
	s_delay_alu instid0(VALU_DEP_4) | instskip(SKIP_1) | instid1(VALU_DEP_4)
	v_cndmask_b32_e32 v34, 0, v34, vcc_lo
	v_cmp_neq_f64_e32 vcc_lo, -1.0, v[24:25]
	v_cndmask_b32_e32 v35, 0xfff00000, v35, vcc_lo
	s_delay_alu instid0(VALU_DEP_1)
	v_add_f64 v[24:25], v[32:33], v[34:35]
.LBB36_362:
	s_or_b32 exec_lo, exec_lo, s8
	s_delay_alu instid0(VALU_DEP_1) | instskip(SKIP_1) | instid1(VALU_DEP_2)
	v_max_f64 v[32:33], v[24:25], v[24:25]
	v_cmp_u_f64_e32 vcc_lo, v[24:25], v[24:25]
	v_min_f64 v[34:35], v[32:33], v[26:27]
	v_max_f64 v[26:27], v[32:33], v[26:27]
	s_delay_alu instid0(VALU_DEP_2) | instskip(NEXT) | instid1(VALU_DEP_2)
	v_dual_cndmask_b32 v32, v34, v24 :: v_dual_cndmask_b32 v33, v35, v25
	v_dual_cndmask_b32 v27, v27, v25 :: v_dual_cndmask_b32 v26, v26, v24
	s_delay_alu instid0(VALU_DEP_2) | instskip(NEXT) | instid1(VALU_DEP_3)
	v_cndmask_b32_e64 v34, v32, v70, s13
	v_cndmask_b32_e64 v35, v33, v71, s13
	s_delay_alu instid0(VALU_DEP_3) | instskip(NEXT) | instid1(VALU_DEP_4)
	v_cndmask_b32_e64 v33, v27, v71, s13
	v_cndmask_b32_e64 v32, v26, v70, s13
	v_dual_mov_b32 v27, v25 :: v_dual_mov_b32 v26, v24
	s_delay_alu instid0(VALU_DEP_4) | instskip(NEXT) | instid1(VALU_DEP_3)
	v_cmp_class_f64_e64 s1, v[34:35], 0x1f8
	v_cmp_neq_f64_e32 vcc_lo, v[34:35], v[32:33]
	s_delay_alu instid0(VALU_DEP_2) | instskip(NEXT) | instid1(SALU_CYCLE_1)
	s_or_b32 s1, vcc_lo, s1
	s_and_saveexec_b32 s8, s1
	s_cbranch_execz .LBB36_364
; %bb.363:
	v_add_f64 v[26:27], v[34:35], -v[32:33]
	s_mov_b32 s2, 0x652b82fe
	s_mov_b32 s3, 0x3ff71547
	;; [unrolled: 1-line block ×10, first 2 shown]
	s_delay_alu instid0(VALU_DEP_1) | instskip(SKIP_4) | instid1(VALU_DEP_3)
	v_mul_f64 v[34:35], v[26:27], s[2:3]
	s_mov_b32 s3, 0xbfe62e42
	s_mov_b32 s2, 0xfefa39ef
	v_cmp_nlt_f64_e32 vcc_lo, 0x40900000, v[26:27]
	v_cmp_ngt_f64_e64 s1, 0xc090cc00, v[26:27]
	v_rndne_f64_e32 v[34:35], v[34:35]
	s_delay_alu instid0(VALU_DEP_1) | instskip(SKIP_2) | instid1(VALU_DEP_2)
	v_fma_f64 v[36:37], v[34:35], s[2:3], v[26:27]
	v_cvt_i32_f64_e32 v54, v[34:35]
	s_mov_b32 s3, 0x3fe62e42
	v_fma_f64 v[36:37], v[34:35], s[4:5], v[36:37]
	s_mov_b32 s5, 0x3c7abc9e
	s_waitcnt lgkmcnt(0)
	s_delay_alu instid0(VALU_DEP_1) | instskip(SKIP_4) | instid1(VALU_DEP_1)
	v_fma_f64 v[48:49], v[36:37], s[10:11], s[6:7]
	s_mov_b32 s6, 0x623fde64
	s_mov_b32 s7, 0x3ec71dee
	;; [unrolled: 1-line block ×4, first 2 shown]
	v_fma_f64 v[48:49], v[36:37], v[48:49], s[6:7]
	s_mov_b32 s6, 0x7c89e6b0
	s_mov_b32 s7, 0x3efa0199
	s_delay_alu instid0(VALU_DEP_1) | instid1(SALU_CYCLE_1)
	v_fma_f64 v[48:49], v[36:37], v[48:49], s[6:7]
	s_mov_b32 s6, 0x14761f6e
	s_mov_b32 s7, 0x3f2a01a0
	s_delay_alu instid0(VALU_DEP_1) | instid1(SALU_CYCLE_1)
	;; [unrolled: 4-line block ×7, first 2 shown]
	v_fma_f64 v[48:49], v[36:37], v[48:49], s[6:7]
	s_mov_b32 s7, 0x3fe55555
	s_mov_b32 s6, 0x55555555
	s_delay_alu instid0(VALU_DEP_1) | instskip(NEXT) | instid1(VALU_DEP_1)
	v_fma_f64 v[48:49], v[36:37], v[48:49], 1.0
	v_fma_f64 v[34:35], v[36:37], v[48:49], 1.0
	s_delay_alu instid0(VALU_DEP_1) | instskip(NEXT) | instid1(VALU_DEP_1)
	v_ldexp_f64 v[34:35], v[34:35], v54
	v_cndmask_b32_e32 v35, 0x7ff00000, v35, vcc_lo
	s_and_b32 vcc_lo, s1, vcc_lo
	s_delay_alu instid0(VALU_DEP_1) | instskip(NEXT) | instid1(VALU_DEP_3)
	v_cndmask_b32_e64 v27, 0, v35, s1
	v_cndmask_b32_e32 v26, 0, v34, vcc_lo
	s_delay_alu instid0(VALU_DEP_1) | instskip(NEXT) | instid1(VALU_DEP_1)
	v_add_f64 v[34:35], v[26:27], 1.0
	v_frexp_mant_f64_e32 v[36:37], v[34:35]
	v_frexp_exp_i32_f64_e32 v54, v[34:35]
	v_add_f64 v[48:49], v[34:35], -1.0
	s_delay_alu instid0(VALU_DEP_3) | instskip(SKIP_1) | instid1(VALU_DEP_2)
	v_cmp_gt_f64_e32 vcc_lo, s[6:7], v[36:37]
	s_mov_b32 s6, 0x55555780
	v_add_f64 v[36:37], v[48:49], -v[34:35]
	v_add_f64 v[48:49], v[26:27], -v[48:49]
	v_subrev_co_ci_u32_e32 v98, vcc_lo, 0, v54, vcc_lo
	s_delay_alu instid0(VALU_DEP_3) | instskip(SKIP_1) | instid1(VALU_DEP_3)
	v_add_f64 v[36:37], v[36:37], 1.0
	v_cmp_eq_f64_e32 vcc_lo, 0x7ff00000, v[26:27]
	v_sub_nc_u32_e32 v68, 0, v98
	s_delay_alu instid0(VALU_DEP_1) | instskip(NEXT) | instid1(VALU_DEP_4)
	v_ldexp_f64 v[34:35], v[34:35], v68
	v_add_f64 v[36:37], v[48:49], v[36:37]
	s_delay_alu instid0(VALU_DEP_2) | instskip(SKIP_1) | instid1(VALU_DEP_3)
	v_add_f64 v[54:55], v[34:35], 1.0
	v_add_f64 v[80:81], v[34:35], -1.0
	v_ldexp_f64 v[36:37], v[36:37], v68
	s_delay_alu instid0(VALU_DEP_3) | instskip(NEXT) | instid1(VALU_DEP_3)
	v_add_f64 v[48:49], v[54:55], -1.0
	v_add_f64 v[82:83], v[80:81], 1.0
	s_delay_alu instid0(VALU_DEP_2) | instskip(NEXT) | instid1(VALU_DEP_2)
	v_add_f64 v[48:49], v[34:35], -v[48:49]
	v_add_f64 v[34:35], v[34:35], -v[82:83]
	s_delay_alu instid0(VALU_DEP_2) | instskip(NEXT) | instid1(VALU_DEP_2)
	v_add_f64 v[48:49], v[36:37], v[48:49]
	v_add_f64 v[34:35], v[36:37], v[34:35]
	s_delay_alu instid0(VALU_DEP_2) | instskip(NEXT) | instid1(VALU_DEP_2)
	v_add_f64 v[68:69], v[54:55], v[48:49]
	v_add_f64 v[82:83], v[80:81], v[34:35]
	s_delay_alu instid0(VALU_DEP_2) | instskip(SKIP_1) | instid1(VALU_DEP_2)
	v_rcp_f64_e32 v[70:71], v[68:69]
	v_add_f64 v[54:55], v[68:69], -v[54:55]
	v_add_f64 v[80:81], v[82:83], -v[80:81]
	s_delay_alu instid0(VALU_DEP_2) | instskip(SKIP_3) | instid1(VALU_DEP_2)
	v_add_f64 v[48:49], v[48:49], -v[54:55]
	s_waitcnt_depctr 0xfff
	v_fma_f64 v[84:85], -v[68:69], v[70:71], 1.0
	v_add_f64 v[34:35], v[34:35], -v[80:81]
	v_fma_f64 v[70:71], v[84:85], v[70:71], v[70:71]
	s_delay_alu instid0(VALU_DEP_1) | instskip(NEXT) | instid1(VALU_DEP_1)
	v_fma_f64 v[36:37], -v[68:69], v[70:71], 1.0
	v_fma_f64 v[36:37], v[36:37], v[70:71], v[70:71]
	s_delay_alu instid0(VALU_DEP_1) | instskip(NEXT) | instid1(VALU_DEP_1)
	v_mul_f64 v[70:71], v[82:83], v[36:37]
	v_mul_f64 v[84:85], v[68:69], v[70:71]
	s_delay_alu instid0(VALU_DEP_1) | instskip(NEXT) | instid1(VALU_DEP_1)
	v_fma_f64 v[54:55], v[70:71], v[68:69], -v[84:85]
	v_fma_f64 v[54:55], v[70:71], v[48:49], v[54:55]
	s_delay_alu instid0(VALU_DEP_1) | instskip(NEXT) | instid1(VALU_DEP_1)
	v_add_f64 v[86:87], v[84:85], v[54:55]
	v_add_f64 v[96:97], v[82:83], -v[86:87]
	v_add_f64 v[80:81], v[86:87], -v[84:85]
	s_delay_alu instid0(VALU_DEP_2) | instskip(NEXT) | instid1(VALU_DEP_2)
	v_add_f64 v[82:83], v[82:83], -v[96:97]
	v_add_f64 v[54:55], v[80:81], -v[54:55]
	s_delay_alu instid0(VALU_DEP_2) | instskip(NEXT) | instid1(VALU_DEP_1)
	v_add_f64 v[82:83], v[82:83], -v[86:87]
	v_add_f64 v[34:35], v[34:35], v[82:83]
	s_delay_alu instid0(VALU_DEP_1) | instskip(NEXT) | instid1(VALU_DEP_1)
	v_add_f64 v[34:35], v[54:55], v[34:35]
	v_add_f64 v[54:55], v[96:97], v[34:35]
	s_delay_alu instid0(VALU_DEP_1) | instskip(SKIP_1) | instid1(VALU_DEP_2)
	v_mul_f64 v[80:81], v[36:37], v[54:55]
	v_add_f64 v[86:87], v[96:97], -v[54:55]
	v_mul_f64 v[82:83], v[68:69], v[80:81]
	s_delay_alu instid0(VALU_DEP_2) | instskip(NEXT) | instid1(VALU_DEP_2)
	v_add_f64 v[34:35], v[34:35], v[86:87]
	v_fma_f64 v[68:69], v[80:81], v[68:69], -v[82:83]
	s_delay_alu instid0(VALU_DEP_1) | instskip(NEXT) | instid1(VALU_DEP_1)
	v_fma_f64 v[48:49], v[80:81], v[48:49], v[68:69]
	v_add_f64 v[68:69], v[82:83], v[48:49]
	s_delay_alu instid0(VALU_DEP_1) | instskip(SKIP_1) | instid1(VALU_DEP_2)
	v_add_f64 v[84:85], v[54:55], -v[68:69]
	v_add_f64 v[82:83], v[68:69], -v[82:83]
	;; [unrolled: 1-line block ×3, first 2 shown]
	s_delay_alu instid0(VALU_DEP_2) | instskip(NEXT) | instid1(VALU_DEP_2)
	v_add_f64 v[48:49], v[82:83], -v[48:49]
	v_add_f64 v[54:55], v[54:55], -v[68:69]
	s_delay_alu instid0(VALU_DEP_1) | instskip(SKIP_1) | instid1(VALU_DEP_2)
	v_add_f64 v[34:35], v[34:35], v[54:55]
	v_add_f64 v[54:55], v[70:71], v[80:81]
	;; [unrolled: 1-line block ×3, first 2 shown]
	s_delay_alu instid0(VALU_DEP_2) | instskip(NEXT) | instid1(VALU_DEP_2)
	v_add_f64 v[48:49], v[54:55], -v[70:71]
	v_add_f64 v[34:35], v[84:85], v[34:35]
	s_delay_alu instid0(VALU_DEP_2) | instskip(NEXT) | instid1(VALU_DEP_2)
	v_add_f64 v[48:49], v[80:81], -v[48:49]
	v_mul_f64 v[34:35], v[36:37], v[34:35]
	s_delay_alu instid0(VALU_DEP_1) | instskip(NEXT) | instid1(VALU_DEP_1)
	v_add_f64 v[34:35], v[48:49], v[34:35]
	v_add_f64 v[36:37], v[54:55], v[34:35]
	s_delay_alu instid0(VALU_DEP_1) | instskip(NEXT) | instid1(VALU_DEP_1)
	v_mul_f64 v[48:49], v[36:37], v[36:37]
	v_fma_f64 v[68:69], v[48:49], s[12:13], s[10:11]
	s_mov_b32 s10, 0xd7f4df2e
	s_mov_b32 s11, 0x3fc7474d
	v_mul_f64 v[70:71], v[36:37], v[48:49]
	s_delay_alu instid0(VALU_DEP_2)
	v_fma_f64 v[68:69], v[48:49], v[68:69], s[10:11]
	s_mov_b32 s10, 0x16291751
	s_mov_b32 s11, 0x3fcc71c0
	s_delay_alu instid0(VALU_DEP_1) | instid1(SALU_CYCLE_1)
	v_fma_f64 v[68:69], v[48:49], v[68:69], s[10:11]
	s_mov_b32 s10, 0x9b27acf1
	s_mov_b32 s11, 0x3fd24924
	s_delay_alu instid0(VALU_DEP_1) | instid1(SALU_CYCLE_1)
	;; [unrolled: 4-line block ×3, first 2 shown]
	v_fma_f64 v[68:69], v[48:49], v[68:69], s[10:11]
	s_delay_alu instid0(VALU_DEP_1) | instskip(SKIP_2) | instid1(VALU_DEP_3)
	v_fma_f64 v[48:49], v[48:49], v[68:69], s[6:7]
	v_ldexp_f64 v[68:69], v[36:37], 1
	v_add_f64 v[36:37], v[36:37], -v[54:55]
	v_mul_f64 v[48:49], v[70:71], v[48:49]
	v_cvt_f64_i32_e32 v[70:71], v98
	s_delay_alu instid0(VALU_DEP_3) | instskip(NEXT) | instid1(VALU_DEP_3)
	v_add_f64 v[34:35], v[34:35], -v[36:37]
	v_add_f64 v[54:55], v[68:69], v[48:49]
	s_delay_alu instid0(VALU_DEP_3) | instskip(NEXT) | instid1(VALU_DEP_3)
	v_mul_f64 v[80:81], v[70:71], s[2:3]
	v_ldexp_f64 v[34:35], v[34:35], 1
	s_delay_alu instid0(VALU_DEP_3) | instskip(NEXT) | instid1(VALU_DEP_3)
	v_add_f64 v[36:37], v[54:55], -v[68:69]
	v_fma_f64 v[68:69], v[70:71], s[2:3], -v[80:81]
	s_delay_alu instid0(VALU_DEP_2) | instskip(NEXT) | instid1(VALU_DEP_2)
	v_add_f64 v[36:37], v[48:49], -v[36:37]
	v_fma_f64 v[48:49], v[70:71], s[4:5], v[68:69]
	s_delay_alu instid0(VALU_DEP_2) | instskip(NEXT) | instid1(VALU_DEP_2)
	v_add_f64 v[34:35], v[34:35], v[36:37]
	v_add_f64 v[36:37], v[80:81], v[48:49]
	s_delay_alu instid0(VALU_DEP_2) | instskip(NEXT) | instid1(VALU_DEP_2)
	v_add_f64 v[68:69], v[54:55], v[34:35]
	v_add_f64 v[80:81], v[36:37], -v[80:81]
	s_delay_alu instid0(VALU_DEP_2) | instskip(SKIP_1) | instid1(VALU_DEP_3)
	v_add_f64 v[70:71], v[36:37], v[68:69]
	v_add_f64 v[54:55], v[68:69], -v[54:55]
	v_add_f64 v[48:49], v[48:49], -v[80:81]
	s_delay_alu instid0(VALU_DEP_3) | instskip(NEXT) | instid1(VALU_DEP_3)
	v_add_f64 v[82:83], v[70:71], -v[36:37]
	v_add_f64 v[34:35], v[34:35], -v[54:55]
	s_delay_alu instid0(VALU_DEP_2) | instskip(SKIP_1) | instid1(VALU_DEP_3)
	v_add_f64 v[84:85], v[70:71], -v[82:83]
	v_add_f64 v[54:55], v[68:69], -v[82:83]
	v_add_f64 v[68:69], v[48:49], v[34:35]
	s_delay_alu instid0(VALU_DEP_3) | instskip(NEXT) | instid1(VALU_DEP_1)
	v_add_f64 v[36:37], v[36:37], -v[84:85]
	v_add_f64 v[36:37], v[54:55], v[36:37]
	s_delay_alu instid0(VALU_DEP_3) | instskip(NEXT) | instid1(VALU_DEP_2)
	v_add_f64 v[54:55], v[68:69], -v[48:49]
	v_add_f64 v[36:37], v[68:69], v[36:37]
	s_delay_alu instid0(VALU_DEP_2) | instskip(SKIP_1) | instid1(VALU_DEP_3)
	v_add_f64 v[68:69], v[68:69], -v[54:55]
	v_add_f64 v[34:35], v[34:35], -v[54:55]
	v_add_f64 v[80:81], v[70:71], v[36:37]
	s_delay_alu instid0(VALU_DEP_3) | instskip(NEXT) | instid1(VALU_DEP_2)
	v_add_f64 v[48:49], v[48:49], -v[68:69]
	v_add_f64 v[54:55], v[80:81], -v[70:71]
	s_delay_alu instid0(VALU_DEP_2) | instskip(NEXT) | instid1(VALU_DEP_2)
	v_add_f64 v[34:35], v[34:35], v[48:49]
	v_add_f64 v[36:37], v[36:37], -v[54:55]
	s_delay_alu instid0(VALU_DEP_1) | instskip(NEXT) | instid1(VALU_DEP_1)
	v_add_f64 v[34:35], v[34:35], v[36:37]
	v_add_f64 v[34:35], v[80:81], v[34:35]
	s_delay_alu instid0(VALU_DEP_1) | instskip(SKIP_1) | instid1(VALU_DEP_2)
	v_dual_cndmask_b32 v35, v35, v27 :: v_dual_cndmask_b32 v34, v34, v26
	v_cmp_ngt_f64_e32 vcc_lo, -1.0, v[26:27]
	v_cndmask_b32_e32 v35, 0x7ff80000, v35, vcc_lo
	v_cmp_nge_f64_e32 vcc_lo, -1.0, v[26:27]
	s_delay_alu instid0(VALU_DEP_4) | instskip(SKIP_1) | instid1(VALU_DEP_4)
	v_cndmask_b32_e32 v34, 0, v34, vcc_lo
	v_cmp_neq_f64_e32 vcc_lo, -1.0, v[26:27]
	v_cndmask_b32_e32 v35, 0xfff00000, v35, vcc_lo
	s_delay_alu instid0(VALU_DEP_1)
	v_add_f64 v[26:27], v[32:33], v[34:35]
.LBB36_364:
	s_or_b32 exec_lo, exec_lo, s8
	s_delay_alu instid0(VALU_DEP_1) | instskip(SKIP_1) | instid1(VALU_DEP_2)
	v_max_f64 v[32:33], v[26:27], v[26:27]
	v_cmp_u_f64_e32 vcc_lo, v[26:27], v[26:27]
	v_min_f64 v[34:35], v[32:33], v[28:29]
	v_max_f64 v[28:29], v[32:33], v[28:29]
	s_delay_alu instid0(VALU_DEP_2) | instskip(NEXT) | instid1(VALU_DEP_2)
	v_dual_cndmask_b32 v32, v34, v26 :: v_dual_cndmask_b32 v33, v35, v27
	v_dual_cndmask_b32 v29, v29, v27 :: v_dual_cndmask_b32 v28, v28, v26
	s_delay_alu instid0(VALU_DEP_2) | instskip(NEXT) | instid1(VALU_DEP_3)
	v_cndmask_b32_e64 v34, v32, v64, s14
	v_cndmask_b32_e64 v35, v33, v65, s14
	s_delay_alu instid0(VALU_DEP_3) | instskip(NEXT) | instid1(VALU_DEP_4)
	v_cndmask_b32_e64 v33, v29, v65, s14
	v_cndmask_b32_e64 v32, v28, v64, s14
	v_dual_mov_b32 v29, v27 :: v_dual_mov_b32 v28, v26
	s_delay_alu instid0(VALU_DEP_4) | instskip(NEXT) | instid1(VALU_DEP_3)
	v_cmp_class_f64_e64 s1, v[34:35], 0x1f8
	v_cmp_neq_f64_e32 vcc_lo, v[34:35], v[32:33]
	s_delay_alu instid0(VALU_DEP_2) | instskip(NEXT) | instid1(SALU_CYCLE_1)
	s_or_b32 s1, vcc_lo, s1
	s_and_saveexec_b32 s8, s1
	s_cbranch_execz .LBB36_366
; %bb.365:
	v_add_f64 v[28:29], v[34:35], -v[32:33]
	s_mov_b32 s2, 0x652b82fe
	s_mov_b32 s3, 0x3ff71547
	;; [unrolled: 1-line block ×10, first 2 shown]
	s_delay_alu instid0(VALU_DEP_1) | instskip(SKIP_4) | instid1(VALU_DEP_3)
	v_mul_f64 v[34:35], v[28:29], s[2:3]
	s_mov_b32 s3, 0xbfe62e42
	s_mov_b32 s2, 0xfefa39ef
	v_cmp_nlt_f64_e32 vcc_lo, 0x40900000, v[28:29]
	v_cmp_ngt_f64_e64 s1, 0xc090cc00, v[28:29]
	v_rndne_f64_e32 v[34:35], v[34:35]
	s_delay_alu instid0(VALU_DEP_1) | instskip(SKIP_2) | instid1(VALU_DEP_2)
	v_fma_f64 v[36:37], v[34:35], s[2:3], v[28:29]
	v_cvt_i32_f64_e32 v54, v[34:35]
	s_mov_b32 s3, 0x3fe62e42
	v_fma_f64 v[36:37], v[34:35], s[4:5], v[36:37]
	s_mov_b32 s5, 0x3c7abc9e
	s_waitcnt lgkmcnt(0)
	s_delay_alu instid0(VALU_DEP_1) | instskip(SKIP_4) | instid1(VALU_DEP_1)
	v_fma_f64 v[48:49], v[36:37], s[10:11], s[6:7]
	s_mov_b32 s6, 0x623fde64
	s_mov_b32 s7, 0x3ec71dee
	;; [unrolled: 1-line block ×4, first 2 shown]
	v_fma_f64 v[48:49], v[36:37], v[48:49], s[6:7]
	s_mov_b32 s6, 0x7c89e6b0
	s_mov_b32 s7, 0x3efa0199
	s_delay_alu instid0(VALU_DEP_1) | instid1(SALU_CYCLE_1)
	v_fma_f64 v[48:49], v[36:37], v[48:49], s[6:7]
	s_mov_b32 s6, 0x14761f6e
	s_mov_b32 s7, 0x3f2a01a0
	s_delay_alu instid0(VALU_DEP_1) | instid1(SALU_CYCLE_1)
	;; [unrolled: 4-line block ×7, first 2 shown]
	v_fma_f64 v[48:49], v[36:37], v[48:49], s[6:7]
	s_mov_b32 s7, 0x3fe55555
	s_mov_b32 s6, 0x55555555
	s_delay_alu instid0(VALU_DEP_1) | instskip(NEXT) | instid1(VALU_DEP_1)
	v_fma_f64 v[48:49], v[36:37], v[48:49], 1.0
	v_fma_f64 v[34:35], v[36:37], v[48:49], 1.0
	s_delay_alu instid0(VALU_DEP_1) | instskip(NEXT) | instid1(VALU_DEP_1)
	v_ldexp_f64 v[34:35], v[34:35], v54
	v_cndmask_b32_e32 v35, 0x7ff00000, v35, vcc_lo
	s_and_b32 vcc_lo, s1, vcc_lo
	s_delay_alu instid0(VALU_DEP_1) | instskip(NEXT) | instid1(VALU_DEP_3)
	v_cndmask_b32_e64 v29, 0, v35, s1
	v_cndmask_b32_e32 v28, 0, v34, vcc_lo
	s_delay_alu instid0(VALU_DEP_1) | instskip(NEXT) | instid1(VALU_DEP_1)
	v_add_f64 v[34:35], v[28:29], 1.0
	v_frexp_mant_f64_e32 v[36:37], v[34:35]
	v_frexp_exp_i32_f64_e32 v54, v[34:35]
	v_add_f64 v[48:49], v[34:35], -1.0
	s_delay_alu instid0(VALU_DEP_3) | instskip(SKIP_1) | instid1(VALU_DEP_2)
	v_cmp_gt_f64_e32 vcc_lo, s[6:7], v[36:37]
	s_mov_b32 s6, 0x55555780
	v_add_f64 v[36:37], v[48:49], -v[34:35]
	v_add_f64 v[48:49], v[28:29], -v[48:49]
	v_subrev_co_ci_u32_e32 v96, vcc_lo, 0, v54, vcc_lo
	s_delay_alu instid0(VALU_DEP_3) | instskip(SKIP_1) | instid1(VALU_DEP_3)
	v_add_f64 v[36:37], v[36:37], 1.0
	v_cmp_eq_f64_e32 vcc_lo, 0x7ff00000, v[28:29]
	v_sub_nc_u32_e32 v64, 0, v96
	s_delay_alu instid0(VALU_DEP_1) | instskip(NEXT) | instid1(VALU_DEP_4)
	v_ldexp_f64 v[34:35], v[34:35], v64
	v_add_f64 v[36:37], v[48:49], v[36:37]
	s_delay_alu instid0(VALU_DEP_2) | instskip(SKIP_1) | instid1(VALU_DEP_3)
	v_add_f64 v[54:55], v[34:35], 1.0
	v_add_f64 v[70:71], v[34:35], -1.0
	v_ldexp_f64 v[36:37], v[36:37], v64
	s_delay_alu instid0(VALU_DEP_3) | instskip(NEXT) | instid1(VALU_DEP_3)
	v_add_f64 v[48:49], v[54:55], -1.0
	v_add_f64 v[80:81], v[70:71], 1.0
	s_delay_alu instid0(VALU_DEP_2) | instskip(NEXT) | instid1(VALU_DEP_2)
	v_add_f64 v[48:49], v[34:35], -v[48:49]
	v_add_f64 v[34:35], v[34:35], -v[80:81]
	s_delay_alu instid0(VALU_DEP_2) | instskip(NEXT) | instid1(VALU_DEP_2)
	v_add_f64 v[48:49], v[36:37], v[48:49]
	v_add_f64 v[34:35], v[36:37], v[34:35]
	s_delay_alu instid0(VALU_DEP_2) | instskip(NEXT) | instid1(VALU_DEP_2)
	v_add_f64 v[64:65], v[54:55], v[48:49]
	v_add_f64 v[80:81], v[70:71], v[34:35]
	s_delay_alu instid0(VALU_DEP_2) | instskip(SKIP_1) | instid1(VALU_DEP_2)
	v_rcp_f64_e32 v[68:69], v[64:65]
	v_add_f64 v[54:55], v[64:65], -v[54:55]
	v_add_f64 v[70:71], v[80:81], -v[70:71]
	s_delay_alu instid0(VALU_DEP_2) | instskip(SKIP_3) | instid1(VALU_DEP_2)
	v_add_f64 v[48:49], v[48:49], -v[54:55]
	s_waitcnt_depctr 0xfff
	v_fma_f64 v[82:83], -v[64:65], v[68:69], 1.0
	v_add_f64 v[34:35], v[34:35], -v[70:71]
	v_fma_f64 v[68:69], v[82:83], v[68:69], v[68:69]
	s_delay_alu instid0(VALU_DEP_1) | instskip(NEXT) | instid1(VALU_DEP_1)
	v_fma_f64 v[36:37], -v[64:65], v[68:69], 1.0
	v_fma_f64 v[36:37], v[36:37], v[68:69], v[68:69]
	s_delay_alu instid0(VALU_DEP_1) | instskip(NEXT) | instid1(VALU_DEP_1)
	v_mul_f64 v[68:69], v[80:81], v[36:37]
	v_mul_f64 v[82:83], v[64:65], v[68:69]
	s_delay_alu instid0(VALU_DEP_1) | instskip(NEXT) | instid1(VALU_DEP_1)
	v_fma_f64 v[54:55], v[68:69], v[64:65], -v[82:83]
	v_fma_f64 v[54:55], v[68:69], v[48:49], v[54:55]
	s_delay_alu instid0(VALU_DEP_1) | instskip(NEXT) | instid1(VALU_DEP_1)
	v_add_f64 v[84:85], v[82:83], v[54:55]
	v_add_f64 v[86:87], v[80:81], -v[84:85]
	v_add_f64 v[70:71], v[84:85], -v[82:83]
	s_delay_alu instid0(VALU_DEP_2) | instskip(NEXT) | instid1(VALU_DEP_2)
	v_add_f64 v[80:81], v[80:81], -v[86:87]
	v_add_f64 v[54:55], v[70:71], -v[54:55]
	s_delay_alu instid0(VALU_DEP_2) | instskip(NEXT) | instid1(VALU_DEP_1)
	v_add_f64 v[80:81], v[80:81], -v[84:85]
	v_add_f64 v[34:35], v[34:35], v[80:81]
	s_delay_alu instid0(VALU_DEP_1) | instskip(NEXT) | instid1(VALU_DEP_1)
	v_add_f64 v[34:35], v[54:55], v[34:35]
	v_add_f64 v[54:55], v[86:87], v[34:35]
	s_delay_alu instid0(VALU_DEP_1) | instskip(SKIP_1) | instid1(VALU_DEP_2)
	v_mul_f64 v[70:71], v[36:37], v[54:55]
	v_add_f64 v[84:85], v[86:87], -v[54:55]
	v_mul_f64 v[80:81], v[64:65], v[70:71]
	s_delay_alu instid0(VALU_DEP_2) | instskip(NEXT) | instid1(VALU_DEP_2)
	v_add_f64 v[34:35], v[34:35], v[84:85]
	v_fma_f64 v[64:65], v[70:71], v[64:65], -v[80:81]
	s_delay_alu instid0(VALU_DEP_1) | instskip(NEXT) | instid1(VALU_DEP_1)
	v_fma_f64 v[48:49], v[70:71], v[48:49], v[64:65]
	v_add_f64 v[64:65], v[80:81], v[48:49]
	s_delay_alu instid0(VALU_DEP_1) | instskip(SKIP_1) | instid1(VALU_DEP_2)
	v_add_f64 v[82:83], v[54:55], -v[64:65]
	v_add_f64 v[80:81], v[64:65], -v[80:81]
	;; [unrolled: 1-line block ×3, first 2 shown]
	s_delay_alu instid0(VALU_DEP_2) | instskip(NEXT) | instid1(VALU_DEP_2)
	v_add_f64 v[48:49], v[80:81], -v[48:49]
	v_add_f64 v[54:55], v[54:55], -v[64:65]
	s_delay_alu instid0(VALU_DEP_1) | instskip(SKIP_1) | instid1(VALU_DEP_2)
	v_add_f64 v[34:35], v[34:35], v[54:55]
	v_add_f64 v[54:55], v[68:69], v[70:71]
	;; [unrolled: 1-line block ×3, first 2 shown]
	s_delay_alu instid0(VALU_DEP_2) | instskip(NEXT) | instid1(VALU_DEP_2)
	v_add_f64 v[48:49], v[54:55], -v[68:69]
	v_add_f64 v[34:35], v[82:83], v[34:35]
	s_delay_alu instid0(VALU_DEP_2) | instskip(NEXT) | instid1(VALU_DEP_2)
	v_add_f64 v[48:49], v[70:71], -v[48:49]
	v_mul_f64 v[34:35], v[36:37], v[34:35]
	s_delay_alu instid0(VALU_DEP_1) | instskip(NEXT) | instid1(VALU_DEP_1)
	v_add_f64 v[34:35], v[48:49], v[34:35]
	v_add_f64 v[36:37], v[54:55], v[34:35]
	s_delay_alu instid0(VALU_DEP_1) | instskip(NEXT) | instid1(VALU_DEP_1)
	v_mul_f64 v[48:49], v[36:37], v[36:37]
	v_fma_f64 v[64:65], v[48:49], s[12:13], s[10:11]
	s_mov_b32 s10, 0xd7f4df2e
	s_mov_b32 s11, 0x3fc7474d
	v_mul_f64 v[68:69], v[36:37], v[48:49]
	s_delay_alu instid0(VALU_DEP_2)
	v_fma_f64 v[64:65], v[48:49], v[64:65], s[10:11]
	s_mov_b32 s10, 0x16291751
	s_mov_b32 s11, 0x3fcc71c0
	s_delay_alu instid0(VALU_DEP_1) | instid1(SALU_CYCLE_1)
	v_fma_f64 v[64:65], v[48:49], v[64:65], s[10:11]
	s_mov_b32 s10, 0x9b27acf1
	s_mov_b32 s11, 0x3fd24924
	s_delay_alu instid0(VALU_DEP_1) | instid1(SALU_CYCLE_1)
	;; [unrolled: 4-line block ×3, first 2 shown]
	v_fma_f64 v[64:65], v[48:49], v[64:65], s[10:11]
	s_delay_alu instid0(VALU_DEP_1) | instskip(SKIP_2) | instid1(VALU_DEP_3)
	v_fma_f64 v[48:49], v[48:49], v[64:65], s[6:7]
	v_ldexp_f64 v[64:65], v[36:37], 1
	v_add_f64 v[36:37], v[36:37], -v[54:55]
	v_mul_f64 v[48:49], v[68:69], v[48:49]
	v_cvt_f64_i32_e32 v[68:69], v96
	s_delay_alu instid0(VALU_DEP_3) | instskip(NEXT) | instid1(VALU_DEP_3)
	v_add_f64 v[34:35], v[34:35], -v[36:37]
	v_add_f64 v[54:55], v[64:65], v[48:49]
	s_delay_alu instid0(VALU_DEP_3) | instskip(NEXT) | instid1(VALU_DEP_3)
	v_mul_f64 v[70:71], v[68:69], s[2:3]
	v_ldexp_f64 v[34:35], v[34:35], 1
	s_delay_alu instid0(VALU_DEP_3) | instskip(NEXT) | instid1(VALU_DEP_3)
	v_add_f64 v[36:37], v[54:55], -v[64:65]
	v_fma_f64 v[64:65], v[68:69], s[2:3], -v[70:71]
	s_delay_alu instid0(VALU_DEP_2) | instskip(NEXT) | instid1(VALU_DEP_2)
	v_add_f64 v[36:37], v[48:49], -v[36:37]
	v_fma_f64 v[48:49], v[68:69], s[4:5], v[64:65]
	s_delay_alu instid0(VALU_DEP_2) | instskip(NEXT) | instid1(VALU_DEP_2)
	v_add_f64 v[34:35], v[34:35], v[36:37]
	v_add_f64 v[36:37], v[70:71], v[48:49]
	s_delay_alu instid0(VALU_DEP_2) | instskip(NEXT) | instid1(VALU_DEP_2)
	v_add_f64 v[64:65], v[54:55], v[34:35]
	v_add_f64 v[70:71], v[36:37], -v[70:71]
	s_delay_alu instid0(VALU_DEP_2) | instskip(SKIP_1) | instid1(VALU_DEP_3)
	v_add_f64 v[68:69], v[36:37], v[64:65]
	v_add_f64 v[54:55], v[64:65], -v[54:55]
	v_add_f64 v[48:49], v[48:49], -v[70:71]
	s_delay_alu instid0(VALU_DEP_3) | instskip(NEXT) | instid1(VALU_DEP_3)
	v_add_f64 v[80:81], v[68:69], -v[36:37]
	v_add_f64 v[34:35], v[34:35], -v[54:55]
	s_delay_alu instid0(VALU_DEP_2) | instskip(SKIP_1) | instid1(VALU_DEP_3)
	v_add_f64 v[82:83], v[68:69], -v[80:81]
	v_add_f64 v[54:55], v[64:65], -v[80:81]
	v_add_f64 v[64:65], v[48:49], v[34:35]
	s_delay_alu instid0(VALU_DEP_3) | instskip(NEXT) | instid1(VALU_DEP_1)
	v_add_f64 v[36:37], v[36:37], -v[82:83]
	v_add_f64 v[36:37], v[54:55], v[36:37]
	s_delay_alu instid0(VALU_DEP_3) | instskip(NEXT) | instid1(VALU_DEP_2)
	v_add_f64 v[54:55], v[64:65], -v[48:49]
	v_add_f64 v[36:37], v[64:65], v[36:37]
	s_delay_alu instid0(VALU_DEP_2) | instskip(SKIP_1) | instid1(VALU_DEP_3)
	v_add_f64 v[64:65], v[64:65], -v[54:55]
	v_add_f64 v[34:35], v[34:35], -v[54:55]
	v_add_f64 v[70:71], v[68:69], v[36:37]
	s_delay_alu instid0(VALU_DEP_3) | instskip(NEXT) | instid1(VALU_DEP_2)
	v_add_f64 v[48:49], v[48:49], -v[64:65]
	v_add_f64 v[54:55], v[70:71], -v[68:69]
	s_delay_alu instid0(VALU_DEP_2) | instskip(NEXT) | instid1(VALU_DEP_2)
	v_add_f64 v[34:35], v[34:35], v[48:49]
	v_add_f64 v[36:37], v[36:37], -v[54:55]
	s_delay_alu instid0(VALU_DEP_1) | instskip(NEXT) | instid1(VALU_DEP_1)
	v_add_f64 v[34:35], v[34:35], v[36:37]
	v_add_f64 v[34:35], v[70:71], v[34:35]
	s_delay_alu instid0(VALU_DEP_1) | instskip(SKIP_1) | instid1(VALU_DEP_2)
	v_dual_cndmask_b32 v35, v35, v29 :: v_dual_cndmask_b32 v34, v34, v28
	v_cmp_ngt_f64_e32 vcc_lo, -1.0, v[28:29]
	v_cndmask_b32_e32 v35, 0x7ff80000, v35, vcc_lo
	v_cmp_nge_f64_e32 vcc_lo, -1.0, v[28:29]
	s_delay_alu instid0(VALU_DEP_4) | instskip(SKIP_1) | instid1(VALU_DEP_4)
	v_cndmask_b32_e32 v34, 0, v34, vcc_lo
	v_cmp_neq_f64_e32 vcc_lo, -1.0, v[28:29]
	v_cndmask_b32_e32 v35, 0xfff00000, v35, vcc_lo
	s_delay_alu instid0(VALU_DEP_1)
	v_add_f64 v[28:29], v[32:33], v[34:35]
.LBB36_366:
	s_or_b32 exec_lo, exec_lo, s8
	s_delay_alu instid0(VALU_DEP_1) | instskip(SKIP_1) | instid1(VALU_DEP_2)
	v_max_f64 v[32:33], v[28:29], v[28:29]
	v_cmp_u_f64_e32 vcc_lo, v[28:29], v[28:29]
	v_min_f64 v[34:35], v[32:33], v[30:31]
	v_max_f64 v[30:31], v[32:33], v[30:31]
	s_delay_alu instid0(VALU_DEP_2) | instskip(NEXT) | instid1(VALU_DEP_2)
	v_dual_cndmask_b32 v32, v34, v28 :: v_dual_cndmask_b32 v33, v35, v29
	v_dual_cndmask_b32 v31, v31, v29 :: v_dual_cndmask_b32 v30, v30, v28
	s_delay_alu instid0(VALU_DEP_2) | instskip(NEXT) | instid1(VALU_DEP_3)
	v_cndmask_b32_e64 v34, v32, v66, s15
	v_cndmask_b32_e64 v35, v33, v67, s15
	s_delay_alu instid0(VALU_DEP_3) | instskip(NEXT) | instid1(VALU_DEP_4)
	v_cndmask_b32_e64 v33, v31, v67, s15
	v_cndmask_b32_e64 v32, v30, v66, s15
	v_dual_mov_b32 v31, v29 :: v_dual_mov_b32 v30, v28
	s_delay_alu instid0(VALU_DEP_4) | instskip(NEXT) | instid1(VALU_DEP_3)
	v_cmp_class_f64_e64 s1, v[34:35], 0x1f8
	v_cmp_neq_f64_e32 vcc_lo, v[34:35], v[32:33]
	s_delay_alu instid0(VALU_DEP_2) | instskip(NEXT) | instid1(SALU_CYCLE_1)
	s_or_b32 s1, vcc_lo, s1
	s_and_saveexec_b32 s8, s1
	s_cbranch_execz .LBB36_368
; %bb.367:
	v_add_f64 v[30:31], v[34:35], -v[32:33]
	s_mov_b32 s2, 0x652b82fe
	s_mov_b32 s3, 0x3ff71547
	;; [unrolled: 1-line block ×10, first 2 shown]
	s_delay_alu instid0(VALU_DEP_1) | instskip(SKIP_4) | instid1(VALU_DEP_3)
	v_mul_f64 v[34:35], v[30:31], s[2:3]
	s_mov_b32 s3, 0xbfe62e42
	s_mov_b32 s2, 0xfefa39ef
	v_cmp_nlt_f64_e32 vcc_lo, 0x40900000, v[30:31]
	v_cmp_ngt_f64_e64 s1, 0xc090cc00, v[30:31]
	v_rndne_f64_e32 v[34:35], v[34:35]
	s_delay_alu instid0(VALU_DEP_1) | instskip(SKIP_2) | instid1(VALU_DEP_2)
	v_fma_f64 v[36:37], v[34:35], s[2:3], v[30:31]
	v_cvt_i32_f64_e32 v54, v[34:35]
	s_mov_b32 s3, 0x3fe62e42
	v_fma_f64 v[36:37], v[34:35], s[4:5], v[36:37]
	s_mov_b32 s5, 0x3c7abc9e
	s_waitcnt lgkmcnt(0)
	s_delay_alu instid0(VALU_DEP_1) | instskip(SKIP_4) | instid1(VALU_DEP_1)
	v_fma_f64 v[48:49], v[36:37], s[10:11], s[6:7]
	s_mov_b32 s6, 0x623fde64
	s_mov_b32 s7, 0x3ec71dee
	;; [unrolled: 1-line block ×4, first 2 shown]
	v_fma_f64 v[48:49], v[36:37], v[48:49], s[6:7]
	s_mov_b32 s6, 0x7c89e6b0
	s_mov_b32 s7, 0x3efa0199
	s_delay_alu instid0(VALU_DEP_1) | instid1(SALU_CYCLE_1)
	v_fma_f64 v[48:49], v[36:37], v[48:49], s[6:7]
	s_mov_b32 s6, 0x14761f6e
	s_mov_b32 s7, 0x3f2a01a0
	s_delay_alu instid0(VALU_DEP_1) | instid1(SALU_CYCLE_1)
	;; [unrolled: 4-line block ×7, first 2 shown]
	v_fma_f64 v[48:49], v[36:37], v[48:49], s[6:7]
	s_mov_b32 s7, 0x3fe55555
	s_mov_b32 s6, 0x55555555
	s_delay_alu instid0(VALU_DEP_1) | instskip(NEXT) | instid1(VALU_DEP_1)
	v_fma_f64 v[48:49], v[36:37], v[48:49], 1.0
	v_fma_f64 v[34:35], v[36:37], v[48:49], 1.0
	s_delay_alu instid0(VALU_DEP_1) | instskip(NEXT) | instid1(VALU_DEP_1)
	v_ldexp_f64 v[34:35], v[34:35], v54
	v_cndmask_b32_e32 v35, 0x7ff00000, v35, vcc_lo
	s_and_b32 vcc_lo, s1, vcc_lo
	s_delay_alu instid0(VALU_DEP_1) | instskip(NEXT) | instid1(VALU_DEP_3)
	v_cndmask_b32_e64 v31, 0, v35, s1
	v_cndmask_b32_e32 v30, 0, v34, vcc_lo
	s_delay_alu instid0(VALU_DEP_1) | instskip(NEXT) | instid1(VALU_DEP_1)
	v_add_f64 v[34:35], v[30:31], 1.0
	v_frexp_mant_f64_e32 v[36:37], v[34:35]
	v_frexp_exp_i32_f64_e32 v54, v[34:35]
	v_add_f64 v[48:49], v[34:35], -1.0
	s_delay_alu instid0(VALU_DEP_3) | instskip(SKIP_1) | instid1(VALU_DEP_2)
	v_cmp_gt_f64_e32 vcc_lo, s[6:7], v[36:37]
	s_mov_b32 s6, 0x55555780
	v_add_f64 v[36:37], v[48:49], -v[34:35]
	v_add_f64 v[48:49], v[30:31], -v[48:49]
	v_subrev_co_ci_u32_e32 v86, vcc_lo, 0, v54, vcc_lo
	s_delay_alu instid0(VALU_DEP_3) | instskip(SKIP_1) | instid1(VALU_DEP_3)
	v_add_f64 v[36:37], v[36:37], 1.0
	v_cmp_eq_f64_e32 vcc_lo, 0x7ff00000, v[30:31]
	v_sub_nc_u32_e32 v64, 0, v86
	s_delay_alu instid0(VALU_DEP_1) | instskip(NEXT) | instid1(VALU_DEP_4)
	v_ldexp_f64 v[34:35], v[34:35], v64
	v_add_f64 v[36:37], v[48:49], v[36:37]
	s_delay_alu instid0(VALU_DEP_2) | instskip(SKIP_1) | instid1(VALU_DEP_3)
	v_add_f64 v[54:55], v[34:35], 1.0
	v_add_f64 v[68:69], v[34:35], -1.0
	v_ldexp_f64 v[36:37], v[36:37], v64
	s_delay_alu instid0(VALU_DEP_3) | instskip(NEXT) | instid1(VALU_DEP_3)
	v_add_f64 v[48:49], v[54:55], -1.0
	v_add_f64 v[70:71], v[68:69], 1.0
	s_delay_alu instid0(VALU_DEP_2) | instskip(NEXT) | instid1(VALU_DEP_2)
	v_add_f64 v[48:49], v[34:35], -v[48:49]
	v_add_f64 v[34:35], v[34:35], -v[70:71]
	s_delay_alu instid0(VALU_DEP_2) | instskip(NEXT) | instid1(VALU_DEP_2)
	v_add_f64 v[48:49], v[36:37], v[48:49]
	v_add_f64 v[34:35], v[36:37], v[34:35]
	s_delay_alu instid0(VALU_DEP_2) | instskip(NEXT) | instid1(VALU_DEP_2)
	v_add_f64 v[64:65], v[54:55], v[48:49]
	v_add_f64 v[70:71], v[68:69], v[34:35]
	s_delay_alu instid0(VALU_DEP_2) | instskip(SKIP_1) | instid1(VALU_DEP_2)
	v_rcp_f64_e32 v[66:67], v[64:65]
	v_add_f64 v[54:55], v[64:65], -v[54:55]
	v_add_f64 v[68:69], v[70:71], -v[68:69]
	s_delay_alu instid0(VALU_DEP_2) | instskip(SKIP_3) | instid1(VALU_DEP_2)
	v_add_f64 v[48:49], v[48:49], -v[54:55]
	s_waitcnt_depctr 0xfff
	v_fma_f64 v[80:81], -v[64:65], v[66:67], 1.0
	v_add_f64 v[34:35], v[34:35], -v[68:69]
	v_fma_f64 v[66:67], v[80:81], v[66:67], v[66:67]
	s_delay_alu instid0(VALU_DEP_1) | instskip(NEXT) | instid1(VALU_DEP_1)
	v_fma_f64 v[36:37], -v[64:65], v[66:67], 1.0
	v_fma_f64 v[36:37], v[36:37], v[66:67], v[66:67]
	s_delay_alu instid0(VALU_DEP_1) | instskip(NEXT) | instid1(VALU_DEP_1)
	v_mul_f64 v[66:67], v[70:71], v[36:37]
	v_mul_f64 v[80:81], v[64:65], v[66:67]
	s_delay_alu instid0(VALU_DEP_1) | instskip(NEXT) | instid1(VALU_DEP_1)
	v_fma_f64 v[54:55], v[66:67], v[64:65], -v[80:81]
	v_fma_f64 v[54:55], v[66:67], v[48:49], v[54:55]
	s_delay_alu instid0(VALU_DEP_1) | instskip(NEXT) | instid1(VALU_DEP_1)
	v_add_f64 v[82:83], v[80:81], v[54:55]
	v_add_f64 v[84:85], v[70:71], -v[82:83]
	v_add_f64 v[68:69], v[82:83], -v[80:81]
	s_delay_alu instid0(VALU_DEP_2) | instskip(NEXT) | instid1(VALU_DEP_2)
	v_add_f64 v[70:71], v[70:71], -v[84:85]
	v_add_f64 v[54:55], v[68:69], -v[54:55]
	s_delay_alu instid0(VALU_DEP_2) | instskip(NEXT) | instid1(VALU_DEP_1)
	v_add_f64 v[70:71], v[70:71], -v[82:83]
	v_add_f64 v[34:35], v[34:35], v[70:71]
	s_delay_alu instid0(VALU_DEP_1) | instskip(NEXT) | instid1(VALU_DEP_1)
	v_add_f64 v[34:35], v[54:55], v[34:35]
	v_add_f64 v[54:55], v[84:85], v[34:35]
	s_delay_alu instid0(VALU_DEP_1) | instskip(SKIP_1) | instid1(VALU_DEP_2)
	v_mul_f64 v[68:69], v[36:37], v[54:55]
	v_add_f64 v[82:83], v[84:85], -v[54:55]
	v_mul_f64 v[70:71], v[64:65], v[68:69]
	s_delay_alu instid0(VALU_DEP_2) | instskip(NEXT) | instid1(VALU_DEP_2)
	v_add_f64 v[34:35], v[34:35], v[82:83]
	v_fma_f64 v[64:65], v[68:69], v[64:65], -v[70:71]
	s_delay_alu instid0(VALU_DEP_1) | instskip(NEXT) | instid1(VALU_DEP_1)
	v_fma_f64 v[48:49], v[68:69], v[48:49], v[64:65]
	v_add_f64 v[64:65], v[70:71], v[48:49]
	s_delay_alu instid0(VALU_DEP_1) | instskip(SKIP_1) | instid1(VALU_DEP_2)
	v_add_f64 v[80:81], v[54:55], -v[64:65]
	v_add_f64 v[70:71], v[64:65], -v[70:71]
	v_add_f64 v[54:55], v[54:55], -v[80:81]
	s_delay_alu instid0(VALU_DEP_2) | instskip(NEXT) | instid1(VALU_DEP_2)
	v_add_f64 v[48:49], v[70:71], -v[48:49]
	v_add_f64 v[54:55], v[54:55], -v[64:65]
	s_delay_alu instid0(VALU_DEP_1) | instskip(SKIP_1) | instid1(VALU_DEP_2)
	v_add_f64 v[34:35], v[34:35], v[54:55]
	v_add_f64 v[54:55], v[66:67], v[68:69]
	v_add_f64 v[34:35], v[48:49], v[34:35]
	s_delay_alu instid0(VALU_DEP_2) | instskip(NEXT) | instid1(VALU_DEP_2)
	v_add_f64 v[48:49], v[54:55], -v[66:67]
	v_add_f64 v[34:35], v[80:81], v[34:35]
	s_delay_alu instid0(VALU_DEP_2) | instskip(NEXT) | instid1(VALU_DEP_2)
	v_add_f64 v[48:49], v[68:69], -v[48:49]
	v_mul_f64 v[34:35], v[36:37], v[34:35]
	s_delay_alu instid0(VALU_DEP_1) | instskip(NEXT) | instid1(VALU_DEP_1)
	v_add_f64 v[34:35], v[48:49], v[34:35]
	v_add_f64 v[36:37], v[54:55], v[34:35]
	s_delay_alu instid0(VALU_DEP_1) | instskip(NEXT) | instid1(VALU_DEP_1)
	v_mul_f64 v[48:49], v[36:37], v[36:37]
	v_fma_f64 v[64:65], v[48:49], s[12:13], s[10:11]
	s_mov_b32 s10, 0xd7f4df2e
	s_mov_b32 s11, 0x3fc7474d
	v_mul_f64 v[66:67], v[36:37], v[48:49]
	s_delay_alu instid0(VALU_DEP_2)
	v_fma_f64 v[64:65], v[48:49], v[64:65], s[10:11]
	s_mov_b32 s10, 0x16291751
	s_mov_b32 s11, 0x3fcc71c0
	s_delay_alu instid0(VALU_DEP_1) | instid1(SALU_CYCLE_1)
	v_fma_f64 v[64:65], v[48:49], v[64:65], s[10:11]
	s_mov_b32 s10, 0x9b27acf1
	s_mov_b32 s11, 0x3fd24924
	s_delay_alu instid0(VALU_DEP_1) | instid1(SALU_CYCLE_1)
	;; [unrolled: 4-line block ×3, first 2 shown]
	v_fma_f64 v[64:65], v[48:49], v[64:65], s[10:11]
	s_delay_alu instid0(VALU_DEP_1) | instskip(SKIP_2) | instid1(VALU_DEP_3)
	v_fma_f64 v[48:49], v[48:49], v[64:65], s[6:7]
	v_ldexp_f64 v[64:65], v[36:37], 1
	v_add_f64 v[36:37], v[36:37], -v[54:55]
	v_mul_f64 v[48:49], v[66:67], v[48:49]
	v_cvt_f64_i32_e32 v[66:67], v86
	s_delay_alu instid0(VALU_DEP_3) | instskip(NEXT) | instid1(VALU_DEP_3)
	v_add_f64 v[34:35], v[34:35], -v[36:37]
	v_add_f64 v[54:55], v[64:65], v[48:49]
	s_delay_alu instid0(VALU_DEP_3) | instskip(NEXT) | instid1(VALU_DEP_3)
	v_mul_f64 v[68:69], v[66:67], s[2:3]
	v_ldexp_f64 v[34:35], v[34:35], 1
	s_delay_alu instid0(VALU_DEP_3) | instskip(NEXT) | instid1(VALU_DEP_3)
	v_add_f64 v[36:37], v[54:55], -v[64:65]
	v_fma_f64 v[64:65], v[66:67], s[2:3], -v[68:69]
	s_delay_alu instid0(VALU_DEP_2) | instskip(NEXT) | instid1(VALU_DEP_2)
	v_add_f64 v[36:37], v[48:49], -v[36:37]
	v_fma_f64 v[48:49], v[66:67], s[4:5], v[64:65]
	s_delay_alu instid0(VALU_DEP_2) | instskip(NEXT) | instid1(VALU_DEP_2)
	v_add_f64 v[34:35], v[34:35], v[36:37]
	v_add_f64 v[36:37], v[68:69], v[48:49]
	s_delay_alu instid0(VALU_DEP_2) | instskip(NEXT) | instid1(VALU_DEP_2)
	v_add_f64 v[64:65], v[54:55], v[34:35]
	v_add_f64 v[68:69], v[36:37], -v[68:69]
	s_delay_alu instid0(VALU_DEP_2) | instskip(SKIP_1) | instid1(VALU_DEP_3)
	v_add_f64 v[66:67], v[36:37], v[64:65]
	v_add_f64 v[54:55], v[64:65], -v[54:55]
	v_add_f64 v[48:49], v[48:49], -v[68:69]
	s_delay_alu instid0(VALU_DEP_3) | instskip(NEXT) | instid1(VALU_DEP_3)
	v_add_f64 v[70:71], v[66:67], -v[36:37]
	v_add_f64 v[34:35], v[34:35], -v[54:55]
	s_delay_alu instid0(VALU_DEP_2) | instskip(SKIP_1) | instid1(VALU_DEP_3)
	v_add_f64 v[80:81], v[66:67], -v[70:71]
	v_add_f64 v[54:55], v[64:65], -v[70:71]
	v_add_f64 v[64:65], v[48:49], v[34:35]
	s_delay_alu instid0(VALU_DEP_3) | instskip(NEXT) | instid1(VALU_DEP_1)
	v_add_f64 v[36:37], v[36:37], -v[80:81]
	v_add_f64 v[36:37], v[54:55], v[36:37]
	s_delay_alu instid0(VALU_DEP_3) | instskip(NEXT) | instid1(VALU_DEP_2)
	v_add_f64 v[54:55], v[64:65], -v[48:49]
	v_add_f64 v[36:37], v[64:65], v[36:37]
	s_delay_alu instid0(VALU_DEP_2) | instskip(SKIP_1) | instid1(VALU_DEP_3)
	v_add_f64 v[64:65], v[64:65], -v[54:55]
	v_add_f64 v[34:35], v[34:35], -v[54:55]
	v_add_f64 v[68:69], v[66:67], v[36:37]
	s_delay_alu instid0(VALU_DEP_3) | instskip(NEXT) | instid1(VALU_DEP_2)
	v_add_f64 v[48:49], v[48:49], -v[64:65]
	v_add_f64 v[54:55], v[68:69], -v[66:67]
	s_delay_alu instid0(VALU_DEP_2) | instskip(NEXT) | instid1(VALU_DEP_2)
	v_add_f64 v[34:35], v[34:35], v[48:49]
	v_add_f64 v[36:37], v[36:37], -v[54:55]
	s_delay_alu instid0(VALU_DEP_1) | instskip(NEXT) | instid1(VALU_DEP_1)
	v_add_f64 v[34:35], v[34:35], v[36:37]
	v_add_f64 v[34:35], v[68:69], v[34:35]
	s_delay_alu instid0(VALU_DEP_1) | instskip(SKIP_1) | instid1(VALU_DEP_2)
	v_dual_cndmask_b32 v35, v35, v31 :: v_dual_cndmask_b32 v34, v34, v30
	v_cmp_ngt_f64_e32 vcc_lo, -1.0, v[30:31]
	v_cndmask_b32_e32 v35, 0x7ff80000, v35, vcc_lo
	v_cmp_nge_f64_e32 vcc_lo, -1.0, v[30:31]
	s_delay_alu instid0(VALU_DEP_4) | instskip(SKIP_1) | instid1(VALU_DEP_4)
	v_cndmask_b32_e32 v34, 0, v34, vcc_lo
	v_cmp_neq_f64_e32 vcc_lo, -1.0, v[30:31]
	v_cndmask_b32_e32 v35, 0xfff00000, v35, vcc_lo
	s_delay_alu instid0(VALU_DEP_1)
	v_add_f64 v[30:31], v[32:33], v[34:35]
.LBB36_368:
	s_or_b32 exec_lo, exec_lo, s8
	s_delay_alu instid0(SALU_CYCLE_1)
	s_mov_b32 s1, exec_lo
	v_cmpx_eq_u32_e32 0xff, v128
	s_cbranch_execz .LBB36_378
; %bb.369:
	v_add_co_u32 v32, vcc_lo, 0x200, v116
	v_add_co_ci_u32_e32 v33, vcc_lo, 0, v117, vcc_lo
	s_mov_b64 s[2:3], src_shared_base
	s_mov_b32 s2, exec_lo
	s_delay_alu instid0(VALU_DEP_1)
	v_cmpx_ne_u32_e64 s3, v33
	s_xor_b32 s2, exec_lo, s2
	s_cbranch_execz .LBB36_375
; %bb.370:
	s_mov_b64 s[4:5], src_private_base
	s_mov_b32 s3, exec_lo
	v_cmpx_ne_u32_e64 s5, v33
	s_xor_b32 s3, exec_lo, s3
	s_cbranch_execz .LBB36_372
; %bb.371:
	v_dual_mov_b32 v37, 0 :: v_dual_mov_b32 v36, 2
	v_dual_mov_b32 v34, v30 :: v_dual_mov_b32 v35, v31
	;;#ASMSTART
	global_store_dwordx4 v[32:33], v[34:37] off	
s_waitcnt vmcnt(0)
	;;#ASMEND
                                        ; implicit-def: $vgpr32_vgpr33
.LBB36_372:
	s_and_not1_saveexec_b32 s3, s3
	s_cbranch_execz .LBB36_374
; %bb.373:
	v_dual_mov_b32 v37, 0 :: v_dual_mov_b32 v36, 2
	v_dual_mov_b32 v34, v30 :: v_dual_mov_b32 v35, v31
	;;#ASMSTART
	flat_store_dwordx4 v[32:33], v[34:37] 	
s_waitcnt vmcnt(0)
	;;#ASMEND
.LBB36_374:
	s_or_b32 exec_lo, exec_lo, s3
                                        ; implicit-def: $vgpr32_vgpr33
.LBB36_375:
	s_and_not1_saveexec_b32 s2, s2
	s_cbranch_execz .LBB36_377
; %bb.376:
	v_cmp_ne_u64_e32 vcc_lo, 0, v[32:33]
	v_dual_mov_b32 v34, 2 :: v_dual_mov_b32 v33, v31
	v_dual_mov_b32 v35, 0 :: v_dual_cndmask_b32 v36, -1, v32
	v_mov_b32_e32 v32, v30
	;;#ASMSTART
	ds_write_b128 v36, v[32:35] 	
s_waitcnt lgkmcnt(0)
	;;#ASMEND
.LBB36_377:
	s_or_b32 exec_lo, exec_lo, s2
.LBB36_378:
	s_delay_alu instid0(SALU_CYCLE_1) | instskip(NEXT) | instid1(VALU_DEP_2)
	s_or_b32 exec_lo, exec_lo, s1
	v_mov_b32_e32 v35, v31
	s_delay_alu instid0(VALU_DEP_3)
	v_dual_mov_b32 v34, v30 :: v_dual_mov_b32 v33, v29
	v_dual_mov_b32 v32, v28 :: v_dual_mov_b32 v31, v27
	v_mov_b32_e32 v30, v26
	v_mov_b32_e32 v29, v25
	;; [unrolled: 1-line block ×27, first 2 shown]
.LBB36_379:
	v_add_co_u32 v0, vcc_lo, v52, v129
	v_add_co_ci_u32_e32 v1, vcc_lo, v53, v130, vcc_lo
	s_waitcnt lgkmcnt(0)
	s_delay_alu instid0(VALU_DEP_2) | instskip(NEXT) | instid1(VALU_DEP_2)
	v_add_co_u32 v36, vcc_lo, v0, v118
	v_add_co_ci_u32_e32 v37, vcc_lo, v1, v119, vcc_lo
	v_lshlrev_b32_e32 v1, 7, v128
	v_lshrrev_b32_e32 v0, 5, v128
	s_barrier
	buffer_gl0_inv
	s_and_saveexec_b32 s1, s0
	s_delay_alu instid0(SALU_CYCLE_1)
	s_xor_b32 s0, exec_lo, s1
	s_cbranch_execz .LBB36_381
; %bb.380:
	v_lshl_add_u32 v1, v211, 3, v1
	v_lshrrev_b32_e32 v2, 5, v209
	v_lshrrev_b32_e32 v3, 5, v208
	v_add_lshl_u32 v0, v0, v128, 3
                                        ; implicit-def: $vgpr48_vgpr49_vgpr50_vgpr51
                                        ; implicit-def: $vgpr211
                                        ; implicit-def: $vgpr183
                                        ; implicit-def: $vgpr192
                                        ; implicit-def: $vgpr209
                                        ; implicit-def: $vgpr208
	ds_store_2addr_b64 v1, v[4:5], v[6:7] offset1:1
	ds_store_2addr_b64 v1, v[8:9], v[10:11] offset0:2 offset1:3
	ds_store_2addr_b64 v1, v[12:13], v[14:15] offset0:4 offset1:5
	ds_store_2addr_b64 v1, v[16:17], v[18:19] offset0:6 offset1:7
	ds_store_2addr_b64 v1, v[20:21], v[22:23] offset0:8 offset1:9
	ds_store_2addr_b64 v1, v[24:25], v[26:27] offset0:10 offset1:11
	ds_store_2addr_b64 v1, v[28:29], v[30:31] offset0:12 offset1:13
	ds_store_2addr_b64 v1, v[32:33], v[34:35] offset0:14 offset1:15
	v_lshrrev_b32_e32 v8, 5, v199
	v_lshrrev_b32_e32 v1, 5, v210
	;; [unrolled: 1-line block ×5, first 2 shown]
	v_add_lshl_u32 v8, v8, v128, 3
	v_add_lshl_u32 v4, v1, v128, 3
	;; [unrolled: 1-line block ×7, first 2 shown]
	s_waitcnt lgkmcnt(0)
	s_barrier
	buffer_gl0_inv
	ds_load_b64 v[0:1], v0
	ds_load_b64 v[2:3], v4 offset:2048
	ds_load_b64 v[4:5], v5 offset:4096
	;; [unrolled: 1-line block ×7, first 2 shown]
	v_lshrrev_b32_e32 v24, 5, v180
	v_lshrrev_b32_e32 v16, 5, v194
	;; [unrolled: 1-line block ×8, first 2 shown]
	v_add_lshl_u32 v28, v24, v128, 3
	v_add_co_u32 v24, vcc_lo, v36, v198
	v_add_lshl_u32 v16, v16, v128, 3
	v_add_lshl_u32 v20, v17, v128, 3
	v_add_lshl_u32 v29, v25, v128, 3
	v_add_co_ci_u32_e32 v25, vcc_lo, 0, v37, vcc_lo
	v_add_lshl_u32 v21, v18, v128, 3
	v_add_lshl_u32 v30, v26, v128, 3
	;; [unrolled: 1-line block ×4, first 2 shown]
	v_add_co_u32 v34, vcc_lo, 0x1000, v24
	ds_load_b64 v[16:17], v16 offset:16384
	ds_load_b64 v[18:19], v20 offset:18432
	;; [unrolled: 1-line block ×8, first 2 shown]
	v_add_co_ci_u32_e32 v35, vcc_lo, 0, v25, vcc_lo
	v_add_co_u32 v36, vcc_lo, 0x2000, v24
	v_add_co_ci_u32_e32 v37, vcc_lo, 0, v25, vcc_lo
	v_add_co_u32 v38, vcc_lo, 0x3000, v24
	v_add_co_ci_u32_e32 v39, vcc_lo, 0, v25, vcc_lo
	s_waitcnt lgkmcnt(15)
	flat_store_b64 v[24:25], v[0:1]
	s_waitcnt lgkmcnt(15)
	flat_store_b64 v[24:25], v[2:3] offset:2048
	s_waitcnt lgkmcnt(15)
	flat_store_b64 v[34:35], v[4:5]
	s_waitcnt lgkmcnt(15)
	flat_store_b64 v[34:35], v[6:7] offset:2048
	s_waitcnt lgkmcnt(15)
	flat_store_b64 v[36:37], v[8:9]
	s_waitcnt lgkmcnt(15)
	flat_store_b64 v[36:37], v[10:11] offset:2048
	s_waitcnt lgkmcnt(15)
	flat_store_b64 v[38:39], v[12:13]
	s_waitcnt lgkmcnt(15)
	flat_store_b64 v[38:39], v[14:15] offset:2048
	v_add_co_u32 v0, vcc_lo, 0x4000, v24
	v_add_co_ci_u32_e32 v1, vcc_lo, 0, v25, vcc_lo
	v_add_co_u32 v2, vcc_lo, 0x5000, v24
	v_add_co_ci_u32_e32 v3, vcc_lo, 0, v25, vcc_lo
	;; [unrolled: 2-line block ×4, first 2 shown]
                                        ; implicit-def: $vgpr36_vgpr37_vgpr38_vgpr39
	s_waitcnt lgkmcnt(15)
	flat_store_b64 v[0:1], v[16:17]
	s_waitcnt lgkmcnt(15)
	flat_store_b64 v[0:1], v[18:19] offset:2048
	s_waitcnt lgkmcnt(15)
	flat_store_b64 v[2:3], v[20:21]
	s_waitcnt lgkmcnt(15)
	flat_store_b64 v[2:3], v[22:23] offset:2048
	s_waitcnt lgkmcnt(15)
	flat_store_b64 v[4:5], v[26:27]
	s_waitcnt lgkmcnt(15)
	flat_store_b64 v[4:5], v[28:29] offset:2048
	s_waitcnt lgkmcnt(15)
	flat_store_b64 v[6:7], v[30:31]
	s_waitcnt lgkmcnt(15)
	flat_store_b64 v[6:7], v[32:33] offset:2048
                                        ; implicit-def: $vgpr128
                                        ; implicit-def: $vgpr4_vgpr5_vgpr6_vgpr7_vgpr8_vgpr9_vgpr10_vgpr11_vgpr12_vgpr13_vgpr14_vgpr15_vgpr16_vgpr17_vgpr18_vgpr19_vgpr20_vgpr21_vgpr22_vgpr23_vgpr24_vgpr25_vgpr26_vgpr27_vgpr28_vgpr29_vgpr30_vgpr31_vgpr32_vgpr33_vgpr34_vgpr35
                                        ; implicit-def: $vgpr36
                                        ; implicit-def: $vgpr37
                                        ; implicit-def: $vgpr1
                                        ; implicit-def: $vgpr0
                                        ; implicit-def: $vgpr198
                                        ; implicit-def: $vgpr210
                                        ; implicit-def: $vgpr199
                                        ; implicit-def: $vgpr197
                                        ; implicit-def: $vgpr196
                                        ; implicit-def: $vgpr195
                                        ; implicit-def: $vgpr194
                                        ; implicit-def: $vgpr193
                                        ; implicit-def: $vgpr182
                                        ; implicit-def: $vgpr181
                                        ; implicit-def: $vgpr180
                                        ; implicit-def: $vgpr179
                                        ; implicit-def: $vgpr178
                                        ; implicit-def: $vgpr135
.LBB36_381:
	s_and_not1_saveexec_b32 s0, s0
	s_cbranch_execz .LBB36_459
; %bb.382:
	v_lshl_add_u32 v1, v211, 3, v1
	v_lshrrev_b32_e32 v2, 5, v209
	v_lshrrev_b32_e32 v3, 5, v208
	v_add_lshl_u32 v0, v0, v128, 3
	v_mov_b32_e32 v129, 0
	ds_store_2addr_b64 v1, v[4:5], v[6:7] offset1:1
	ds_store_2addr_b64 v1, v[8:9], v[10:11] offset0:2 offset1:3
	ds_store_2addr_b64 v1, v[12:13], v[14:15] offset0:4 offset1:5
	;; [unrolled: 1-line block ×7, first 2 shown]
	v_lshrrev_b32_e32 v17, 5, v193
	v_lshrrev_b32_e32 v18, 5, v182
	;; [unrolled: 1-line block ×8, first 2 shown]
	v_add_lshl_u32 v19, v17, v128, 3
	v_lshrrev_b32_e32 v17, 5, v181
	v_add_lshl_u32 v20, v18, v128, 3
	v_lshrrev_b32_e32 v18, 5, v180
	v_lshrrev_b32_e32 v21, 5, v179
	;; [unrolled: 1-line block ×4, first 2 shown]
	v_add_lshl_u32 v8, v8, v128, 3
	v_add_lshl_u32 v16, v16, v128, 3
	;; [unrolled: 1-line block ×13, first 2 shown]
	s_waitcnt lgkmcnt(0)
	s_waitcnt_vscnt null, 0x0
	s_barrier
	buffer_gl0_inv
	ds_load_b64 v[2:3], v0
	ds_load_b64 v[0:1], v1 offset:2048
	ds_load_b64 v[4:5], v4 offset:4096
	;; [unrolled: 1-line block ×15, first 2 shown]
	v_add_co_u32 v32, vcc_lo, v36, v198
	v_add_co_ci_u32_e32 v33, vcc_lo, 0, v37, vcc_lo
	s_mov_b32 s1, exec_lo
	v_cmpx_lt_u32_e64 v128, v183
	s_cbranch_execnz .LBB36_460
; %bb.383:
	s_or_b32 exec_lo, exec_lo, s1
	s_delay_alu instid0(SALU_CYCLE_1)
	s_mov_b32 s1, exec_lo
	v_cmpx_lt_u32_e64 v210, v183
	s_cbranch_execnz .LBB36_461
.LBB36_384:
	s_or_b32 exec_lo, exec_lo, s1
	s_delay_alu instid0(SALU_CYCLE_1)
	s_mov_b32 s1, exec_lo
	v_cmpx_lt_u32_e64 v209, v183
	s_cbranch_execnz .LBB36_462
.LBB36_385:
	s_or_b32 exec_lo, exec_lo, s1
	s_delay_alu instid0(SALU_CYCLE_1)
	s_mov_b32 s1, exec_lo
	v_cmpx_lt_u32_e64 v208, v183
	s_cbranch_execnz .LBB36_463
.LBB36_386:
	s_or_b32 exec_lo, exec_lo, s1
	s_delay_alu instid0(SALU_CYCLE_1)
	s_mov_b32 s1, exec_lo
	v_cmpx_lt_u32_e64 v199, v183
	s_cbranch_execnz .LBB36_464
.LBB36_387:
	s_or_b32 exec_lo, exec_lo, s1
	s_delay_alu instid0(SALU_CYCLE_1)
	s_mov_b32 s1, exec_lo
	v_cmpx_lt_u32_e64 v197, v183
	s_cbranch_execnz .LBB36_465
.LBB36_388:
	s_or_b32 exec_lo, exec_lo, s1
	s_delay_alu instid0(SALU_CYCLE_1)
	s_mov_b32 s1, exec_lo
	v_cmpx_lt_u32_e64 v196, v183
	s_cbranch_execnz .LBB36_466
.LBB36_389:
	s_or_b32 exec_lo, exec_lo, s1
	s_delay_alu instid0(SALU_CYCLE_1)
	s_mov_b32 s1, exec_lo
	v_cmpx_lt_u32_e64 v195, v183
	s_cbranch_execnz .LBB36_467
.LBB36_390:
	s_or_b32 exec_lo, exec_lo, s1
	s_delay_alu instid0(SALU_CYCLE_1)
	s_mov_b32 s1, exec_lo
	v_cmpx_lt_u32_e64 v194, v183
	s_cbranch_execnz .LBB36_468
.LBB36_391:
	s_or_b32 exec_lo, exec_lo, s1
	s_delay_alu instid0(SALU_CYCLE_1)
	s_mov_b32 s1, exec_lo
	v_cmpx_lt_u32_e64 v193, v183
	s_cbranch_execnz .LBB36_469
.LBB36_392:
	s_or_b32 exec_lo, exec_lo, s1
	s_delay_alu instid0(SALU_CYCLE_1)
	s_mov_b32 s1, exec_lo
	v_cmpx_lt_u32_e64 v182, v183
	s_cbranch_execnz .LBB36_470
.LBB36_393:
	s_or_b32 exec_lo, exec_lo, s1
	s_delay_alu instid0(SALU_CYCLE_1)
	s_mov_b32 s1, exec_lo
	v_cmpx_lt_u32_e64 v181, v183
	s_cbranch_execnz .LBB36_471
.LBB36_394:
	s_or_b32 exec_lo, exec_lo, s1
	s_delay_alu instid0(SALU_CYCLE_1)
	s_mov_b32 s1, exec_lo
	v_cmpx_lt_u32_e64 v180, v183
	s_cbranch_execnz .LBB36_472
.LBB36_395:
	s_or_b32 exec_lo, exec_lo, s1
	s_delay_alu instid0(SALU_CYCLE_1)
	s_mov_b32 s1, exec_lo
	v_cmpx_lt_u32_e64 v179, v183
	s_cbranch_execnz .LBB36_473
.LBB36_396:
	s_or_b32 exec_lo, exec_lo, s1
	s_delay_alu instid0(SALU_CYCLE_1)
	s_mov_b32 s1, exec_lo
	v_cmpx_lt_u32_e64 v178, v183
	s_cbranch_execnz .LBB36_474
.LBB36_397:
	s_or_b32 exec_lo, exec_lo, s1
	s_delay_alu instid0(SALU_CYCLE_1)
	s_mov_b32 s1, exec_lo
	v_cmpx_lt_u32_e64 v135, v183
	s_cbranch_execz .LBB36_399
.LBB36_398:
	v_add_co_u32 v32, vcc_lo, 0x7000, v32
	v_add_co_ci_u32_e32 v33, vcc_lo, 0, v33, vcc_lo
	s_waitcnt lgkmcnt(0)
	flat_store_b64 v[32:33], v[30:31] offset:2048
.LBB36_399:
	s_or_b32 exec_lo, exec_lo, s1
	s_delay_alu instid0(SALU_CYCLE_1)
	s_mov_b32 s1, exec_lo
	v_cmpx_lt_u64_e32 1, v[50:51]
	s_cbranch_execz .LBB36_458
; %bb.400:
	v_add_co_u32 v32, vcc_lo, v183, -1
	v_add_co_ci_u32_e32 v33, vcc_lo, -1, v192, vcc_lo
	s_delay_alu instid0(VALU_DEP_1) | instskip(NEXT) | instid1(VALU_DEP_1)
	v_lshrrev_b64 v[33:34], 4, v[32:33]
	v_cmp_eq_u64_e32 vcc_lo, v[33:34], v[128:129]
	s_and_b32 exec_lo, exec_lo, vcc_lo
	s_cbranch_execz .LBB36_458
; %bb.401:
	v_dual_mov_b32 v33, 0 :: v_dual_and_b32 v32, 15, v32
	s_mov_b32 s2, exec_lo
	s_delay_alu instid0(VALU_DEP_1)
	v_cmpx_lt_i64_e32 7, v[32:33]
	s_xor_b32 s2, exec_lo, s2
	s_cbranch_execz .LBB36_431
; %bb.402:
	s_mov_b32 s3, exec_lo
	v_cmpx_lt_i64_e32 11, v[32:33]
	s_xor_b32 s3, exec_lo, s3
	s_cbranch_execz .LBB36_416
; %bb.403:
	s_mov_b32 s4, exec_lo
	;; [unrolled: 5-line block ×3, first 2 shown]
	v_cmpx_lt_i64_e32 14, v[32:33]
	s_xor_b32 s5, exec_lo, s5
	s_cbranch_execz .LBB36_406
; %bb.405:
	s_waitcnt lgkmcnt(0)
	flat_store_b64 v[38:39], v[30:31]
                                        ; implicit-def: $vgpr38_vgpr39
                                        ; implicit-def: $vgpr28_vgpr29
.LBB36_406:
	s_and_not1_saveexec_b32 s5, s5
	s_cbranch_execz .LBB36_408
; %bb.407:
	s_waitcnt lgkmcnt(1)
	flat_store_b64 v[38:39], v[28:29]
.LBB36_408:
	s_or_b32 exec_lo, exec_lo, s5
                                        ; implicit-def: $vgpr38_vgpr39
                                        ; implicit-def: $vgpr22_vgpr23
                                        ; implicit-def: $vgpr32_vgpr33
                                        ; implicit-def: $vgpr26_vgpr27
.LBB36_409:
	s_and_not1_saveexec_b32 s4, s4
	s_cbranch_execz .LBB36_415
; %bb.410:
	s_mov_b32 s5, exec_lo
	v_cmpx_lt_i64_e32 12, v[32:33]
	s_xor_b32 s5, exec_lo, s5
	s_cbranch_execz .LBB36_412
; %bb.411:
	s_waitcnt lgkmcnt(2)
	flat_store_b64 v[38:39], v[26:27]
                                        ; implicit-def: $vgpr38_vgpr39
                                        ; implicit-def: $vgpr22_vgpr23
.LBB36_412:
	s_and_not1_saveexec_b32 s5, s5
	s_cbranch_execz .LBB36_414
; %bb.413:
	s_waitcnt lgkmcnt(3)
	flat_store_b64 v[38:39], v[22:23]
.LBB36_414:
	s_or_b32 exec_lo, exec_lo, s5
.LBB36_415:
	s_delay_alu instid0(SALU_CYCLE_1)
	s_or_b32 exec_lo, exec_lo, s4
                                        ; implicit-def: $vgpr32_vgpr33
                                        ; implicit-def: $vgpr38_vgpr39
                                        ; implicit-def: $vgpr16_vgpr17
                                        ; implicit-def: $vgpr20_vgpr21
                                        ; implicit-def: $vgpr18_vgpr19
                                        ; implicit-def: $vgpr24_vgpr25
.LBB36_416:
	s_and_not1_saveexec_b32 s3, s3
	s_cbranch_execz .LBB36_430
; %bb.417:
	s_mov_b32 s4, exec_lo
	v_cmpx_lt_i64_e32 9, v[32:33]
	s_xor_b32 s4, exec_lo, s4
	s_cbranch_execz .LBB36_423
; %bb.418:
	s_mov_b32 s5, exec_lo
	v_cmpx_lt_i64_e32 10, v[32:33]
	s_xor_b32 s5, exec_lo, s5
	s_cbranch_execz .LBB36_420
; %bb.419:
	s_waitcnt lgkmcnt(4)
	flat_store_b64 v[38:39], v[24:25]
                                        ; implicit-def: $vgpr38_vgpr39
                                        ; implicit-def: $vgpr20_vgpr21
.LBB36_420:
	s_and_not1_saveexec_b32 s5, s5
	s_cbranch_execz .LBB36_422
; %bb.421:
	s_waitcnt lgkmcnt(5)
	flat_store_b64 v[38:39], v[20:21]
.LBB36_422:
	s_or_b32 exec_lo, exec_lo, s5
                                        ; implicit-def: $vgpr38_vgpr39
                                        ; implicit-def: $vgpr16_vgpr17
                                        ; implicit-def: $vgpr32_vgpr33
                                        ; implicit-def: $vgpr18_vgpr19
.LBB36_423:
	s_and_not1_saveexec_b32 s4, s4
	s_cbranch_execz .LBB36_429
; %bb.424:
	s_mov_b32 s5, exec_lo
	v_cmpx_lt_i64_e32 8, v[32:33]
	s_xor_b32 s5, exec_lo, s5
	s_cbranch_execz .LBB36_426
; %bb.425:
	s_waitcnt lgkmcnt(6)
	flat_store_b64 v[38:39], v[18:19]
                                        ; implicit-def: $vgpr38_vgpr39
                                        ; implicit-def: $vgpr16_vgpr17
.LBB36_426:
	s_and_not1_saveexec_b32 s5, s5
	s_cbranch_execz .LBB36_428
; %bb.427:
	s_waitcnt lgkmcnt(7)
	flat_store_b64 v[38:39], v[16:17]
.LBB36_428:
	s_or_b32 exec_lo, exec_lo, s5
.LBB36_429:
	s_delay_alu instid0(SALU_CYCLE_1)
	s_or_b32 exec_lo, exec_lo, s4
.LBB36_430:
	s_delay_alu instid0(SALU_CYCLE_1)
	s_or_b32 exec_lo, exec_lo, s3
                                        ; implicit-def: $vgpr2_vgpr3
                                        ; implicit-def: $vgpr0_vgpr1
                                        ; implicit-def: $vgpr4_vgpr5
                                        ; implicit-def: $vgpr6_vgpr7
                                        ; implicit-def: $vgpr8_vgpr9
                                        ; implicit-def: $vgpr10_vgpr11
                                        ; implicit-def: $vgpr12_vgpr13
                                        ; implicit-def: $vgpr14_vgpr15
                                        ; implicit-def: $vgpr38_vgpr39
                                        ; implicit-def: $vgpr32_vgpr33
.LBB36_431:
	s_and_not1_saveexec_b32 s2, s2
	s_cbranch_execz .LBB36_458
; %bb.432:
	s_mov_b32 s2, exec_lo
	v_cmpx_lt_i64_e32 3, v[32:33]
	s_xor_b32 s2, exec_lo, s2
	s_cbranch_execz .LBB36_446
; %bb.433:
	s_mov_b32 s3, exec_lo
	v_cmpx_lt_i64_e32 5, v[32:33]
	s_xor_b32 s3, exec_lo, s3
	s_cbranch_execz .LBB36_439
; %bb.434:
	s_mov_b32 s4, exec_lo
	v_cmpx_lt_i64_e32 6, v[32:33]
	s_xor_b32 s4, exec_lo, s4
	s_cbranch_execz .LBB36_436
; %bb.435:
	s_waitcnt lgkmcnt(8)
	flat_store_b64 v[38:39], v[14:15]
                                        ; implicit-def: $vgpr38_vgpr39
                                        ; implicit-def: $vgpr12_vgpr13
.LBB36_436:
	s_and_not1_saveexec_b32 s4, s4
	s_cbranch_execz .LBB36_438
; %bb.437:
	s_waitcnt lgkmcnt(9)
	flat_store_b64 v[38:39], v[12:13]
.LBB36_438:
	s_or_b32 exec_lo, exec_lo, s4
                                        ; implicit-def: $vgpr38_vgpr39
                                        ; implicit-def: $vgpr8_vgpr9
                                        ; implicit-def: $vgpr32_vgpr33
                                        ; implicit-def: $vgpr10_vgpr11
.LBB36_439:
	s_and_not1_saveexec_b32 s3, s3
	s_cbranch_execz .LBB36_445
; %bb.440:
	s_mov_b32 s4, exec_lo
	v_cmpx_lt_i64_e32 4, v[32:33]
	s_xor_b32 s4, exec_lo, s4
	s_cbranch_execz .LBB36_442
; %bb.441:
	s_waitcnt lgkmcnt(10)
	flat_store_b64 v[38:39], v[10:11]
                                        ; implicit-def: $vgpr38_vgpr39
                                        ; implicit-def: $vgpr8_vgpr9
.LBB36_442:
	s_and_not1_saveexec_b32 s4, s4
	s_cbranch_execz .LBB36_444
; %bb.443:
	s_waitcnt lgkmcnt(11)
	flat_store_b64 v[38:39], v[8:9]
.LBB36_444:
	s_or_b32 exec_lo, exec_lo, s4
.LBB36_445:
	s_delay_alu instid0(SALU_CYCLE_1)
	s_or_b32 exec_lo, exec_lo, s3
                                        ; implicit-def: $vgpr32_vgpr33
                                        ; implicit-def: $vgpr38_vgpr39
                                        ; implicit-def: $vgpr0_vgpr1
                                        ; implicit-def: $vgpr4_vgpr5
                                        ; implicit-def: $vgpr2_vgpr3
                                        ; implicit-def: $vgpr6_vgpr7
.LBB36_446:
	s_and_not1_saveexec_b32 s2, s2
	s_cbranch_execz .LBB36_458
; %bb.447:
	s_mov_b32 s2, exec_lo
	v_cmpx_lt_i64_e32 1, v[32:33]
	s_xor_b32 s2, exec_lo, s2
	s_cbranch_execz .LBB36_453
; %bb.448:
	s_mov_b32 s3, exec_lo
	v_cmpx_lt_i64_e32 2, v[32:33]
	s_xor_b32 s3, exec_lo, s3
	s_cbranch_execz .LBB36_450
; %bb.449:
	s_waitcnt lgkmcnt(12)
	flat_store_b64 v[38:39], v[6:7]
                                        ; implicit-def: $vgpr38_vgpr39
                                        ; implicit-def: $vgpr4_vgpr5
.LBB36_450:
	s_and_not1_saveexec_b32 s3, s3
	s_cbranch_execz .LBB36_452
; %bb.451:
	s_waitcnt lgkmcnt(13)
	flat_store_b64 v[38:39], v[4:5]
.LBB36_452:
	s_or_b32 exec_lo, exec_lo, s3
                                        ; implicit-def: $vgpr38_vgpr39
                                        ; implicit-def: $vgpr0_vgpr1
                                        ; implicit-def: $vgpr32_vgpr33
                                        ; implicit-def: $vgpr2_vgpr3
.LBB36_453:
	s_and_not1_saveexec_b32 s2, s2
	s_cbranch_execz .LBB36_458
; %bb.454:
	s_mov_b32 s2, exec_lo
	v_cmpx_ne_u64_e32 1, v[32:33]
	s_xor_b32 s2, exec_lo, s2
	s_cbranch_execz .LBB36_456
; %bb.455:
	s_waitcnt lgkmcnt(15)
	flat_store_b64 v[38:39], v[2:3]
                                        ; implicit-def: $vgpr38_vgpr39
                                        ; implicit-def: $vgpr0_vgpr1
.LBB36_456:
	s_and_not1_saveexec_b32 s2, s2
	s_cbranch_execz .LBB36_458
; %bb.457:
	s_waitcnt lgkmcnt(14)
	flat_store_b64 v[38:39], v[0:1]
.LBB36_458:
	s_or_b32 exec_lo, exec_lo, s1
.LBB36_459:
	s_delay_alu instid0(SALU_CYCLE_1)
	s_or_b32 exec_lo, exec_lo, s0
	v_readlane_b32 s30, v46, 0
	v_readlane_b32 s31, v46, 1
	s_or_saveexec_b32 s0, -1
	scratch_load_b32 v46, off, s32          ; 4-byte Folded Reload
	s_mov_b32 exec_lo, s0
	s_waitcnt vmcnt(0) lgkmcnt(0)
	s_setpc_b64 s[30:31]
.LBB36_460:
	s_waitcnt lgkmcnt(15)
	flat_store_b64 v[32:33], v[2:3]
	s_or_b32 exec_lo, exec_lo, s1
	s_delay_alu instid0(SALU_CYCLE_1)
	s_mov_b32 s1, exec_lo
	v_cmpx_lt_u32_e64 v210, v183
	s_cbranch_execz .LBB36_384
.LBB36_461:
	s_waitcnt lgkmcnt(14)
	flat_store_b64 v[32:33], v[0:1] offset:2048
	s_or_b32 exec_lo, exec_lo, s1
	s_delay_alu instid0(SALU_CYCLE_1)
	s_mov_b32 s1, exec_lo
	v_cmpx_lt_u32_e64 v209, v183
	s_cbranch_execz .LBB36_385
.LBB36_462:
	v_add_co_u32 v34, vcc_lo, 0x1000, v32
	v_add_co_ci_u32_e32 v35, vcc_lo, 0, v33, vcc_lo
	s_waitcnt lgkmcnt(13)
	flat_store_b64 v[34:35], v[4:5]
	s_or_b32 exec_lo, exec_lo, s1
	s_delay_alu instid0(SALU_CYCLE_1)
	s_mov_b32 s1, exec_lo
	v_cmpx_lt_u32_e64 v208, v183
	s_cbranch_execz .LBB36_386
.LBB36_463:
	v_add_co_u32 v34, vcc_lo, 0x1000, v32
	v_add_co_ci_u32_e32 v35, vcc_lo, 0, v33, vcc_lo
	s_waitcnt lgkmcnt(12)
	flat_store_b64 v[34:35], v[6:7] offset:2048
	s_or_b32 exec_lo, exec_lo, s1
	s_delay_alu instid0(SALU_CYCLE_1)
	s_mov_b32 s1, exec_lo
	v_cmpx_lt_u32_e64 v199, v183
	s_cbranch_execz .LBB36_387
.LBB36_464:
	v_add_co_u32 v34, vcc_lo, 0x2000, v32
	v_add_co_ci_u32_e32 v35, vcc_lo, 0, v33, vcc_lo
	s_waitcnt lgkmcnt(11)
	flat_store_b64 v[34:35], v[8:9]
	s_or_b32 exec_lo, exec_lo, s1
	s_delay_alu instid0(SALU_CYCLE_1)
	s_mov_b32 s1, exec_lo
	v_cmpx_lt_u32_e64 v197, v183
	s_cbranch_execz .LBB36_388
.LBB36_465:
	v_add_co_u32 v34, vcc_lo, 0x2000, v32
	v_add_co_ci_u32_e32 v35, vcc_lo, 0, v33, vcc_lo
	s_waitcnt lgkmcnt(10)
	flat_store_b64 v[34:35], v[10:11] offset:2048
	s_or_b32 exec_lo, exec_lo, s1
	s_delay_alu instid0(SALU_CYCLE_1)
	s_mov_b32 s1, exec_lo
	v_cmpx_lt_u32_e64 v196, v183
	s_cbranch_execz .LBB36_389
.LBB36_466:
	v_add_co_u32 v34, vcc_lo, 0x3000, v32
	v_add_co_ci_u32_e32 v35, vcc_lo, 0, v33, vcc_lo
	s_waitcnt lgkmcnt(9)
	flat_store_b64 v[34:35], v[12:13]
	s_or_b32 exec_lo, exec_lo, s1
	s_delay_alu instid0(SALU_CYCLE_1)
	s_mov_b32 s1, exec_lo
	v_cmpx_lt_u32_e64 v195, v183
	s_cbranch_execz .LBB36_390
.LBB36_467:
	v_add_co_u32 v34, vcc_lo, 0x3000, v32
	v_add_co_ci_u32_e32 v35, vcc_lo, 0, v33, vcc_lo
	s_waitcnt lgkmcnt(8)
	flat_store_b64 v[34:35], v[14:15] offset:2048
	s_or_b32 exec_lo, exec_lo, s1
	s_delay_alu instid0(SALU_CYCLE_1)
	s_mov_b32 s1, exec_lo
	v_cmpx_lt_u32_e64 v194, v183
	s_cbranch_execz .LBB36_391
.LBB36_468:
	v_add_co_u32 v34, vcc_lo, 0x4000, v32
	v_add_co_ci_u32_e32 v35, vcc_lo, 0, v33, vcc_lo
	s_waitcnt lgkmcnt(7)
	flat_store_b64 v[34:35], v[16:17]
	s_or_b32 exec_lo, exec_lo, s1
	s_delay_alu instid0(SALU_CYCLE_1)
	s_mov_b32 s1, exec_lo
	v_cmpx_lt_u32_e64 v193, v183
	s_cbranch_execz .LBB36_392
.LBB36_469:
	v_add_co_u32 v34, vcc_lo, 0x4000, v32
	v_add_co_ci_u32_e32 v35, vcc_lo, 0, v33, vcc_lo
	s_waitcnt lgkmcnt(6)
	flat_store_b64 v[34:35], v[18:19] offset:2048
	s_or_b32 exec_lo, exec_lo, s1
	s_delay_alu instid0(SALU_CYCLE_1)
	s_mov_b32 s1, exec_lo
	v_cmpx_lt_u32_e64 v182, v183
	s_cbranch_execz .LBB36_393
.LBB36_470:
	v_add_co_u32 v34, vcc_lo, 0x5000, v32
	v_add_co_ci_u32_e32 v35, vcc_lo, 0, v33, vcc_lo
	s_waitcnt lgkmcnt(5)
	flat_store_b64 v[34:35], v[20:21]
	s_or_b32 exec_lo, exec_lo, s1
	s_delay_alu instid0(SALU_CYCLE_1)
	s_mov_b32 s1, exec_lo
	v_cmpx_lt_u32_e64 v181, v183
	s_cbranch_execz .LBB36_394
.LBB36_471:
	v_add_co_u32 v34, vcc_lo, 0x5000, v32
	v_add_co_ci_u32_e32 v35, vcc_lo, 0, v33, vcc_lo
	s_waitcnt lgkmcnt(4)
	flat_store_b64 v[34:35], v[24:25] offset:2048
	s_or_b32 exec_lo, exec_lo, s1
	s_delay_alu instid0(SALU_CYCLE_1)
	s_mov_b32 s1, exec_lo
	v_cmpx_lt_u32_e64 v180, v183
	s_cbranch_execz .LBB36_395
.LBB36_472:
	v_add_co_u32 v34, vcc_lo, 0x6000, v32
	v_add_co_ci_u32_e32 v35, vcc_lo, 0, v33, vcc_lo
	s_waitcnt lgkmcnt(3)
	flat_store_b64 v[34:35], v[22:23]
	s_or_b32 exec_lo, exec_lo, s1
	s_delay_alu instid0(SALU_CYCLE_1)
	s_mov_b32 s1, exec_lo
	v_cmpx_lt_u32_e64 v179, v183
	s_cbranch_execz .LBB36_396
.LBB36_473:
	v_add_co_u32 v34, vcc_lo, 0x6000, v32
	v_add_co_ci_u32_e32 v35, vcc_lo, 0, v33, vcc_lo
	s_waitcnt lgkmcnt(2)
	flat_store_b64 v[34:35], v[26:27] offset:2048
	s_or_b32 exec_lo, exec_lo, s1
	s_delay_alu instid0(SALU_CYCLE_1)
	s_mov_b32 s1, exec_lo
	v_cmpx_lt_u32_e64 v178, v183
	s_cbranch_execz .LBB36_397
.LBB36_474:
	v_add_co_u32 v34, vcc_lo, 0x7000, v32
	v_add_co_ci_u32_e32 v35, vcc_lo, 0, v33, vcc_lo
	s_waitcnt lgkmcnt(1)
	flat_store_b64 v[34:35], v[28:29]
	s_or_b32 exec_lo, exec_lo, s1
	s_delay_alu instid0(SALU_CYCLE_1)
	s_mov_b32 s1, exec_lo
	v_cmpx_lt_u32_e64 v135, v183
	s_cbranch_execnz .LBB36_398
	s_branch .LBB36_399
.Lfunc_end36:
	.size	_ZZZN7rocprim17ROCPRIM_400000_NS6detail9scan_implILNS1_25lookback_scan_determinismE0ELb0ELb0ENS0_14default_configEPKdPddZZZN2at6native31launch_logcumsumexp_cuda_kernelERKNS8_10TensorBaseESC_lENKUlvE_clEvENKUlvE_clEvEUlddE_dEEDaPvRmT3_T4_T5_mT6_P12ihipStream_tbENKUlT_T0_E_clISt17integral_constantIbLb1EEST_EEDaSO_SP_ENKUlSO_E_clINS1_13target_configIS4_NS1_20scan_config_selectorIdEENS1_11comp_targetILNS1_3genE9ELNS1_11target_archE1100ELNS1_3gpuE3ELNS1_3repE0EEELNS0_4arch9wavefront6targetE0EEEEEDaSO_, .Lfunc_end36-_ZZZN7rocprim17ROCPRIM_400000_NS6detail9scan_implILNS1_25lookback_scan_determinismE0ELb0ELb0ENS0_14default_configEPKdPddZZZN2at6native31launch_logcumsumexp_cuda_kernelERKNS8_10TensorBaseESC_lENKUlvE_clEvENKUlvE_clEvEUlddE_dEEDaPvRmT3_T4_T5_mT6_P12ihipStream_tbENKUlT_T0_E_clISt17integral_constantIbLb1EEST_EEDaSO_SP_ENKUlSO_E_clINS1_13target_configIS4_NS1_20scan_config_selectorIdEENS1_11comp_targetILNS1_3genE9ELNS1_11target_archE1100ELNS1_3gpuE3ELNS1_3repE0EEELNS0_4arch9wavefront6targetE0EEEEEDaSO_
                                        ; -- End function
	.section	.AMDGPU.csdata,"",@progbits
; Function info:
; codeLenInByte = 185788
; NumSgprs: 78
; NumVgprs: 248
; ScratchSize: 8
; MemoryBound: 0
	.section	.text._ZN7rocprim17ROCPRIM_400000_NS6detail17trampoline_kernelINS0_14default_configENS1_20scan_config_selectorIdEEZZNS1_9scan_implILNS1_25lookback_scan_determinismE0ELb0ELb0ES3_PKdPddZZZN2at6native31launch_logcumsumexp_cuda_kernelERKNSB_10TensorBaseESF_lENKUlvE_clEvENKUlvE_clEvEUlddE_dEEDaPvRmT3_T4_T5_mT6_P12ihipStream_tbENKUlT_T0_E_clISt17integral_constantIbLb1EESW_EEDaSR_SS_EUlSR_E_NS1_11comp_targetILNS1_3genE9ELNS1_11target_archE1100ELNS1_3gpuE3ELNS1_3repE0EEENS1_30default_config_static_selectorELNS0_4arch9wavefront6targetE0EEEvT1_,"axG",@progbits,_ZN7rocprim17ROCPRIM_400000_NS6detail17trampoline_kernelINS0_14default_configENS1_20scan_config_selectorIdEEZZNS1_9scan_implILNS1_25lookback_scan_determinismE0ELb0ELb0ES3_PKdPddZZZN2at6native31launch_logcumsumexp_cuda_kernelERKNSB_10TensorBaseESF_lENKUlvE_clEvENKUlvE_clEvEUlddE_dEEDaPvRmT3_T4_T5_mT6_P12ihipStream_tbENKUlT_T0_E_clISt17integral_constantIbLb1EESW_EEDaSR_SS_EUlSR_E_NS1_11comp_targetILNS1_3genE9ELNS1_11target_archE1100ELNS1_3gpuE3ELNS1_3repE0EEENS1_30default_config_static_selectorELNS0_4arch9wavefront6targetE0EEEvT1_,comdat
	.globl	_ZN7rocprim17ROCPRIM_400000_NS6detail17trampoline_kernelINS0_14default_configENS1_20scan_config_selectorIdEEZZNS1_9scan_implILNS1_25lookback_scan_determinismE0ELb0ELb0ES3_PKdPddZZZN2at6native31launch_logcumsumexp_cuda_kernelERKNSB_10TensorBaseESF_lENKUlvE_clEvENKUlvE_clEvEUlddE_dEEDaPvRmT3_T4_T5_mT6_P12ihipStream_tbENKUlT_T0_E_clISt17integral_constantIbLb1EESW_EEDaSR_SS_EUlSR_E_NS1_11comp_targetILNS1_3genE9ELNS1_11target_archE1100ELNS1_3gpuE3ELNS1_3repE0EEENS1_30default_config_static_selectorELNS0_4arch9wavefront6targetE0EEEvT1_ ; -- Begin function _ZN7rocprim17ROCPRIM_400000_NS6detail17trampoline_kernelINS0_14default_configENS1_20scan_config_selectorIdEEZZNS1_9scan_implILNS1_25lookback_scan_determinismE0ELb0ELb0ES3_PKdPddZZZN2at6native31launch_logcumsumexp_cuda_kernelERKNSB_10TensorBaseESF_lENKUlvE_clEvENKUlvE_clEvEUlddE_dEEDaPvRmT3_T4_T5_mT6_P12ihipStream_tbENKUlT_T0_E_clISt17integral_constantIbLb1EESW_EEDaSR_SS_EUlSR_E_NS1_11comp_targetILNS1_3genE9ELNS1_11target_archE1100ELNS1_3gpuE3ELNS1_3repE0EEENS1_30default_config_static_selectorELNS0_4arch9wavefront6targetE0EEEvT1_
	.p2align	8
	.type	_ZN7rocprim17ROCPRIM_400000_NS6detail17trampoline_kernelINS0_14default_configENS1_20scan_config_selectorIdEEZZNS1_9scan_implILNS1_25lookback_scan_determinismE0ELb0ELb0ES3_PKdPddZZZN2at6native31launch_logcumsumexp_cuda_kernelERKNSB_10TensorBaseESF_lENKUlvE_clEvENKUlvE_clEvEUlddE_dEEDaPvRmT3_T4_T5_mT6_P12ihipStream_tbENKUlT_T0_E_clISt17integral_constantIbLb1EESW_EEDaSR_SS_EUlSR_E_NS1_11comp_targetILNS1_3genE9ELNS1_11target_archE1100ELNS1_3gpuE3ELNS1_3repE0EEENS1_30default_config_static_selectorELNS0_4arch9wavefront6targetE0EEEvT1_,@function
_ZN7rocprim17ROCPRIM_400000_NS6detail17trampoline_kernelINS0_14default_configENS1_20scan_config_selectorIdEEZZNS1_9scan_implILNS1_25lookback_scan_determinismE0ELb0ELb0ES3_PKdPddZZZN2at6native31launch_logcumsumexp_cuda_kernelERKNSB_10TensorBaseESF_lENKUlvE_clEvENKUlvE_clEvEUlddE_dEEDaPvRmT3_T4_T5_mT6_P12ihipStream_tbENKUlT_T0_E_clISt17integral_constantIbLb1EESW_EEDaSR_SS_EUlSR_E_NS1_11comp_targetILNS1_3genE9ELNS1_11target_archE1100ELNS1_3gpuE3ELNS1_3repE0EEENS1_30default_config_static_selectorELNS0_4arch9wavefront6targetE0EEEvT1_: ; @_ZN7rocprim17ROCPRIM_400000_NS6detail17trampoline_kernelINS0_14default_configENS1_20scan_config_selectorIdEEZZNS1_9scan_implILNS1_25lookback_scan_determinismE0ELb0ELb0ES3_PKdPddZZZN2at6native31launch_logcumsumexp_cuda_kernelERKNSB_10TensorBaseESF_lENKUlvE_clEvENKUlvE_clEvEUlddE_dEEDaPvRmT3_T4_T5_mT6_P12ihipStream_tbENKUlT_T0_E_clISt17integral_constantIbLb1EESW_EEDaSR_SS_EUlSR_E_NS1_11comp_targetILNS1_3genE9ELNS1_11target_archE1100ELNS1_3gpuE3ELNS1_3repE0EEENS1_30default_config_static_selectorELNS0_4arch9wavefront6targetE0EEEvT1_
; %bb.0:
	s_clause 0x3
	s_load_b256 s[12:19], s[0:1], 0x0
	s_load_b256 s[20:27], s[0:1], 0x20
	;; [unrolled: 1-line block ×3, first 2 shown]
	s_load_b64 s[2:3], s[0:1], 0x60
	v_mov_b32_e32 v31, v0
	s_mov_b64 s[4:5], src_private_base
	s_add_u32 s8, s0, 0x68
	s_addc_u32 s9, s1, 0
	s_movk_i32 s32, 0x70
	s_getpc_b64 s[0:1]
	s_add_u32 s0, s0, _ZZZN7rocprim17ROCPRIM_400000_NS6detail9scan_implILNS1_25lookback_scan_determinismE0ELb0ELb0ENS0_14default_configEPKdPddZZZN2at6native31launch_logcumsumexp_cuda_kernelERKNS8_10TensorBaseESC_lENKUlvE_clEvENKUlvE_clEvEUlddE_dEEDaPvRmT3_T4_T5_mT6_P12ihipStream_tbENKUlT_T0_E_clISt17integral_constantIbLb1EEST_EEDaSO_SP_ENKUlSO_E_clINS1_13target_configIS4_NS1_20scan_config_selectorIdEENS1_11comp_targetILNS1_3genE9ELNS1_11target_archE1100ELNS1_3gpuE3ELNS1_3repE0EEELNS0_4arch9wavefront6targetE0EEEEEDaSO_@rel32@lo+4
	s_addc_u32 s1, s1, _ZZZN7rocprim17ROCPRIM_400000_NS6detail9scan_implILNS1_25lookback_scan_determinismE0ELb0ELb0ENS0_14default_configEPKdPddZZZN2at6native31launch_logcumsumexp_cuda_kernelERKNS8_10TensorBaseESC_lENKUlvE_clEvENKUlvE_clEvEUlddE_dEEDaPvRmT3_T4_T5_mT6_P12ihipStream_tbENKUlT_T0_E_clISt17integral_constantIbLb1EEST_EEDaSO_SP_ENKUlSO_E_clINS1_13target_configIS4_NS1_20scan_config_selectorIdEENS1_11comp_targetILNS1_3genE9ELNS1_11target_archE1100ELNS1_3gpuE3ELNS1_3repE0EEELNS0_4arch9wavefront6targetE0EEEEEDaSO_@rel32@hi+12
	s_waitcnt lgkmcnt(0)
	v_dual_mov_b32 v0, s12 :: v_dual_mov_b32 v1, s13
	v_dual_mov_b32 v2, s14 :: v_dual_mov_b32 v3, s15
	;; [unrolled: 1-line block ×13, first 2 shown]
	s_clause 0x6
	scratch_store_b128 off, v[0:3], off
	scratch_store_b128 off, v[4:7], off offset:16
	scratch_store_b128 off, v[8:11], off offset:32
	;; [unrolled: 1-line block ×5, first 2 shown]
	scratch_store_b64 off, v[24:25], off offset:96
	v_dual_mov_b32 v0, 0 :: v_dual_mov_b32 v1, s5
	s_swappc_b64 s[30:31], s[0:1]
	s_endpgm
	.section	.rodata,"a",@progbits
	.p2align	6, 0x0
	.amdhsa_kernel _ZN7rocprim17ROCPRIM_400000_NS6detail17trampoline_kernelINS0_14default_configENS1_20scan_config_selectorIdEEZZNS1_9scan_implILNS1_25lookback_scan_determinismE0ELb0ELb0ES3_PKdPddZZZN2at6native31launch_logcumsumexp_cuda_kernelERKNSB_10TensorBaseESF_lENKUlvE_clEvENKUlvE_clEvEUlddE_dEEDaPvRmT3_T4_T5_mT6_P12ihipStream_tbENKUlT_T0_E_clISt17integral_constantIbLb1EESW_EEDaSR_SS_EUlSR_E_NS1_11comp_targetILNS1_3genE9ELNS1_11target_archE1100ELNS1_3gpuE3ELNS1_3repE0EEENS1_30default_config_static_selectorELNS0_4arch9wavefront6targetE0EEEvT1_
		.amdhsa_group_segment_fixed_size 33792
		.amdhsa_private_segment_fixed_size 120
		.amdhsa_kernarg_size 360
		.amdhsa_user_sgpr_count 15
		.amdhsa_user_sgpr_dispatch_ptr 0
		.amdhsa_user_sgpr_queue_ptr 0
		.amdhsa_user_sgpr_kernarg_segment_ptr 1
		.amdhsa_user_sgpr_dispatch_id 0
		.amdhsa_user_sgpr_private_segment_size 0
		.amdhsa_wavefront_size32 1
		.amdhsa_uses_dynamic_stack 0
		.amdhsa_enable_private_segment 1
		.amdhsa_system_sgpr_workgroup_id_x 1
		.amdhsa_system_sgpr_workgroup_id_y 0
		.amdhsa_system_sgpr_workgroup_id_z 0
		.amdhsa_system_sgpr_workgroup_info 0
		.amdhsa_system_vgpr_workitem_id 0
		.amdhsa_next_free_vgpr 248
		.amdhsa_next_free_sgpr 76
		.amdhsa_reserve_vcc 1
		.amdhsa_float_round_mode_32 0
		.amdhsa_float_round_mode_16_64 0
		.amdhsa_float_denorm_mode_32 3
		.amdhsa_float_denorm_mode_16_64 3
		.amdhsa_dx10_clamp 1
		.amdhsa_ieee_mode 1
		.amdhsa_fp16_overflow 0
		.amdhsa_workgroup_processor_mode 1
		.amdhsa_memory_ordered 1
		.amdhsa_forward_progress 0
		.amdhsa_shared_vgpr_count 0
		.amdhsa_exception_fp_ieee_invalid_op 0
		.amdhsa_exception_fp_denorm_src 0
		.amdhsa_exception_fp_ieee_div_zero 0
		.amdhsa_exception_fp_ieee_overflow 0
		.amdhsa_exception_fp_ieee_underflow 0
		.amdhsa_exception_fp_ieee_inexact 0
		.amdhsa_exception_int_div_zero 0
	.end_amdhsa_kernel
	.section	.text._ZN7rocprim17ROCPRIM_400000_NS6detail17trampoline_kernelINS0_14default_configENS1_20scan_config_selectorIdEEZZNS1_9scan_implILNS1_25lookback_scan_determinismE0ELb0ELb0ES3_PKdPddZZZN2at6native31launch_logcumsumexp_cuda_kernelERKNSB_10TensorBaseESF_lENKUlvE_clEvENKUlvE_clEvEUlddE_dEEDaPvRmT3_T4_T5_mT6_P12ihipStream_tbENKUlT_T0_E_clISt17integral_constantIbLb1EESW_EEDaSR_SS_EUlSR_E_NS1_11comp_targetILNS1_3genE9ELNS1_11target_archE1100ELNS1_3gpuE3ELNS1_3repE0EEENS1_30default_config_static_selectorELNS0_4arch9wavefront6targetE0EEEvT1_,"axG",@progbits,_ZN7rocprim17ROCPRIM_400000_NS6detail17trampoline_kernelINS0_14default_configENS1_20scan_config_selectorIdEEZZNS1_9scan_implILNS1_25lookback_scan_determinismE0ELb0ELb0ES3_PKdPddZZZN2at6native31launch_logcumsumexp_cuda_kernelERKNSB_10TensorBaseESF_lENKUlvE_clEvENKUlvE_clEvEUlddE_dEEDaPvRmT3_T4_T5_mT6_P12ihipStream_tbENKUlT_T0_E_clISt17integral_constantIbLb1EESW_EEDaSR_SS_EUlSR_E_NS1_11comp_targetILNS1_3genE9ELNS1_11target_archE1100ELNS1_3gpuE3ELNS1_3repE0EEENS1_30default_config_static_selectorELNS0_4arch9wavefront6targetE0EEEvT1_,comdat
.Lfunc_end37:
	.size	_ZN7rocprim17ROCPRIM_400000_NS6detail17trampoline_kernelINS0_14default_configENS1_20scan_config_selectorIdEEZZNS1_9scan_implILNS1_25lookback_scan_determinismE0ELb0ELb0ES3_PKdPddZZZN2at6native31launch_logcumsumexp_cuda_kernelERKNSB_10TensorBaseESF_lENKUlvE_clEvENKUlvE_clEvEUlddE_dEEDaPvRmT3_T4_T5_mT6_P12ihipStream_tbENKUlT_T0_E_clISt17integral_constantIbLb1EESW_EEDaSR_SS_EUlSR_E_NS1_11comp_targetILNS1_3genE9ELNS1_11target_archE1100ELNS1_3gpuE3ELNS1_3repE0EEENS1_30default_config_static_selectorELNS0_4arch9wavefront6targetE0EEEvT1_, .Lfunc_end37-_ZN7rocprim17ROCPRIM_400000_NS6detail17trampoline_kernelINS0_14default_configENS1_20scan_config_selectorIdEEZZNS1_9scan_implILNS1_25lookback_scan_determinismE0ELb0ELb0ES3_PKdPddZZZN2at6native31launch_logcumsumexp_cuda_kernelERKNSB_10TensorBaseESF_lENKUlvE_clEvENKUlvE_clEvEUlddE_dEEDaPvRmT3_T4_T5_mT6_P12ihipStream_tbENKUlT_T0_E_clISt17integral_constantIbLb1EESW_EEDaSR_SS_EUlSR_E_NS1_11comp_targetILNS1_3genE9ELNS1_11target_archE1100ELNS1_3gpuE3ELNS1_3repE0EEENS1_30default_config_static_selectorELNS0_4arch9wavefront6targetE0EEEvT1_
                                        ; -- End function
	.section	.AMDGPU.csdata,"",@progbits
; Kernel info:
; codeLenInByte = 264
; NumSgprs: 78
; NumVgprs: 248
; ScratchSize: 120
; MemoryBound: 0
; FloatMode: 240
; IeeeMode: 1
; LDSByteSize: 33792 bytes/workgroup (compile time only)
; SGPRBlocks: 9
; VGPRBlocks: 30
; NumSGPRsForWavesPerEU: 78
; NumVGPRsForWavesPerEU: 248
; Occupancy: 5
; WaveLimiterHint : 1
; COMPUTE_PGM_RSRC2:SCRATCH_EN: 1
; COMPUTE_PGM_RSRC2:USER_SGPR: 15
; COMPUTE_PGM_RSRC2:TRAP_HANDLER: 0
; COMPUTE_PGM_RSRC2:TGID_X_EN: 1
; COMPUTE_PGM_RSRC2:TGID_Y_EN: 0
; COMPUTE_PGM_RSRC2:TGID_Z_EN: 0
; COMPUTE_PGM_RSRC2:TIDIG_COMP_CNT: 0
	.section	.text._ZN7rocprim17ROCPRIM_400000_NS6detail17trampoline_kernelINS0_14default_configENS1_20scan_config_selectorIdEEZZNS1_9scan_implILNS1_25lookback_scan_determinismE0ELb0ELb0ES3_PKdPddZZZN2at6native31launch_logcumsumexp_cuda_kernelERKNSB_10TensorBaseESF_lENKUlvE_clEvENKUlvE_clEvEUlddE_dEEDaPvRmT3_T4_T5_mT6_P12ihipStream_tbENKUlT_T0_E_clISt17integral_constantIbLb1EESW_EEDaSR_SS_EUlSR_E_NS1_11comp_targetILNS1_3genE8ELNS1_11target_archE1030ELNS1_3gpuE2ELNS1_3repE0EEENS1_30default_config_static_selectorELNS0_4arch9wavefront6targetE0EEEvT1_,"axG",@progbits,_ZN7rocprim17ROCPRIM_400000_NS6detail17trampoline_kernelINS0_14default_configENS1_20scan_config_selectorIdEEZZNS1_9scan_implILNS1_25lookback_scan_determinismE0ELb0ELb0ES3_PKdPddZZZN2at6native31launch_logcumsumexp_cuda_kernelERKNSB_10TensorBaseESF_lENKUlvE_clEvENKUlvE_clEvEUlddE_dEEDaPvRmT3_T4_T5_mT6_P12ihipStream_tbENKUlT_T0_E_clISt17integral_constantIbLb1EESW_EEDaSR_SS_EUlSR_E_NS1_11comp_targetILNS1_3genE8ELNS1_11target_archE1030ELNS1_3gpuE2ELNS1_3repE0EEENS1_30default_config_static_selectorELNS0_4arch9wavefront6targetE0EEEvT1_,comdat
	.globl	_ZN7rocprim17ROCPRIM_400000_NS6detail17trampoline_kernelINS0_14default_configENS1_20scan_config_selectorIdEEZZNS1_9scan_implILNS1_25lookback_scan_determinismE0ELb0ELb0ES3_PKdPddZZZN2at6native31launch_logcumsumexp_cuda_kernelERKNSB_10TensorBaseESF_lENKUlvE_clEvENKUlvE_clEvEUlddE_dEEDaPvRmT3_T4_T5_mT6_P12ihipStream_tbENKUlT_T0_E_clISt17integral_constantIbLb1EESW_EEDaSR_SS_EUlSR_E_NS1_11comp_targetILNS1_3genE8ELNS1_11target_archE1030ELNS1_3gpuE2ELNS1_3repE0EEENS1_30default_config_static_selectorELNS0_4arch9wavefront6targetE0EEEvT1_ ; -- Begin function _ZN7rocprim17ROCPRIM_400000_NS6detail17trampoline_kernelINS0_14default_configENS1_20scan_config_selectorIdEEZZNS1_9scan_implILNS1_25lookback_scan_determinismE0ELb0ELb0ES3_PKdPddZZZN2at6native31launch_logcumsumexp_cuda_kernelERKNSB_10TensorBaseESF_lENKUlvE_clEvENKUlvE_clEvEUlddE_dEEDaPvRmT3_T4_T5_mT6_P12ihipStream_tbENKUlT_T0_E_clISt17integral_constantIbLb1EESW_EEDaSR_SS_EUlSR_E_NS1_11comp_targetILNS1_3genE8ELNS1_11target_archE1030ELNS1_3gpuE2ELNS1_3repE0EEENS1_30default_config_static_selectorELNS0_4arch9wavefront6targetE0EEEvT1_
	.p2align	8
	.type	_ZN7rocprim17ROCPRIM_400000_NS6detail17trampoline_kernelINS0_14default_configENS1_20scan_config_selectorIdEEZZNS1_9scan_implILNS1_25lookback_scan_determinismE0ELb0ELb0ES3_PKdPddZZZN2at6native31launch_logcumsumexp_cuda_kernelERKNSB_10TensorBaseESF_lENKUlvE_clEvENKUlvE_clEvEUlddE_dEEDaPvRmT3_T4_T5_mT6_P12ihipStream_tbENKUlT_T0_E_clISt17integral_constantIbLb1EESW_EEDaSR_SS_EUlSR_E_NS1_11comp_targetILNS1_3genE8ELNS1_11target_archE1030ELNS1_3gpuE2ELNS1_3repE0EEENS1_30default_config_static_selectorELNS0_4arch9wavefront6targetE0EEEvT1_,@function
_ZN7rocprim17ROCPRIM_400000_NS6detail17trampoline_kernelINS0_14default_configENS1_20scan_config_selectorIdEEZZNS1_9scan_implILNS1_25lookback_scan_determinismE0ELb0ELb0ES3_PKdPddZZZN2at6native31launch_logcumsumexp_cuda_kernelERKNSB_10TensorBaseESF_lENKUlvE_clEvENKUlvE_clEvEUlddE_dEEDaPvRmT3_T4_T5_mT6_P12ihipStream_tbENKUlT_T0_E_clISt17integral_constantIbLb1EESW_EEDaSR_SS_EUlSR_E_NS1_11comp_targetILNS1_3genE8ELNS1_11target_archE1030ELNS1_3gpuE2ELNS1_3repE0EEENS1_30default_config_static_selectorELNS0_4arch9wavefront6targetE0EEEvT1_: ; @_ZN7rocprim17ROCPRIM_400000_NS6detail17trampoline_kernelINS0_14default_configENS1_20scan_config_selectorIdEEZZNS1_9scan_implILNS1_25lookback_scan_determinismE0ELb0ELb0ES3_PKdPddZZZN2at6native31launch_logcumsumexp_cuda_kernelERKNSB_10TensorBaseESF_lENKUlvE_clEvENKUlvE_clEvEUlddE_dEEDaPvRmT3_T4_T5_mT6_P12ihipStream_tbENKUlT_T0_E_clISt17integral_constantIbLb1EESW_EEDaSR_SS_EUlSR_E_NS1_11comp_targetILNS1_3genE8ELNS1_11target_archE1030ELNS1_3gpuE2ELNS1_3repE0EEENS1_30default_config_static_selectorELNS0_4arch9wavefront6targetE0EEEvT1_
; %bb.0:
	.section	.rodata,"a",@progbits
	.p2align	6, 0x0
	.amdhsa_kernel _ZN7rocprim17ROCPRIM_400000_NS6detail17trampoline_kernelINS0_14default_configENS1_20scan_config_selectorIdEEZZNS1_9scan_implILNS1_25lookback_scan_determinismE0ELb0ELb0ES3_PKdPddZZZN2at6native31launch_logcumsumexp_cuda_kernelERKNSB_10TensorBaseESF_lENKUlvE_clEvENKUlvE_clEvEUlddE_dEEDaPvRmT3_T4_T5_mT6_P12ihipStream_tbENKUlT_T0_E_clISt17integral_constantIbLb1EESW_EEDaSR_SS_EUlSR_E_NS1_11comp_targetILNS1_3genE8ELNS1_11target_archE1030ELNS1_3gpuE2ELNS1_3repE0EEENS1_30default_config_static_selectorELNS0_4arch9wavefront6targetE0EEEvT1_
		.amdhsa_group_segment_fixed_size 0
		.amdhsa_private_segment_fixed_size 0
		.amdhsa_kernarg_size 104
		.amdhsa_user_sgpr_count 15
		.amdhsa_user_sgpr_dispatch_ptr 0
		.amdhsa_user_sgpr_queue_ptr 0
		.amdhsa_user_sgpr_kernarg_segment_ptr 1
		.amdhsa_user_sgpr_dispatch_id 0
		.amdhsa_user_sgpr_private_segment_size 0
		.amdhsa_wavefront_size32 1
		.amdhsa_uses_dynamic_stack 0
		.amdhsa_enable_private_segment 0
		.amdhsa_system_sgpr_workgroup_id_x 1
		.amdhsa_system_sgpr_workgroup_id_y 0
		.amdhsa_system_sgpr_workgroup_id_z 0
		.amdhsa_system_sgpr_workgroup_info 0
		.amdhsa_system_vgpr_workitem_id 0
		.amdhsa_next_free_vgpr 1
		.amdhsa_next_free_sgpr 1
		.amdhsa_reserve_vcc 0
		.amdhsa_float_round_mode_32 0
		.amdhsa_float_round_mode_16_64 0
		.amdhsa_float_denorm_mode_32 3
		.amdhsa_float_denorm_mode_16_64 3
		.amdhsa_dx10_clamp 1
		.amdhsa_ieee_mode 1
		.amdhsa_fp16_overflow 0
		.amdhsa_workgroup_processor_mode 1
		.amdhsa_memory_ordered 1
		.amdhsa_forward_progress 0
		.amdhsa_shared_vgpr_count 0
		.amdhsa_exception_fp_ieee_invalid_op 0
		.amdhsa_exception_fp_denorm_src 0
		.amdhsa_exception_fp_ieee_div_zero 0
		.amdhsa_exception_fp_ieee_overflow 0
		.amdhsa_exception_fp_ieee_underflow 0
		.amdhsa_exception_fp_ieee_inexact 0
		.amdhsa_exception_int_div_zero 0
	.end_amdhsa_kernel
	.section	.text._ZN7rocprim17ROCPRIM_400000_NS6detail17trampoline_kernelINS0_14default_configENS1_20scan_config_selectorIdEEZZNS1_9scan_implILNS1_25lookback_scan_determinismE0ELb0ELb0ES3_PKdPddZZZN2at6native31launch_logcumsumexp_cuda_kernelERKNSB_10TensorBaseESF_lENKUlvE_clEvENKUlvE_clEvEUlddE_dEEDaPvRmT3_T4_T5_mT6_P12ihipStream_tbENKUlT_T0_E_clISt17integral_constantIbLb1EESW_EEDaSR_SS_EUlSR_E_NS1_11comp_targetILNS1_3genE8ELNS1_11target_archE1030ELNS1_3gpuE2ELNS1_3repE0EEENS1_30default_config_static_selectorELNS0_4arch9wavefront6targetE0EEEvT1_,"axG",@progbits,_ZN7rocprim17ROCPRIM_400000_NS6detail17trampoline_kernelINS0_14default_configENS1_20scan_config_selectorIdEEZZNS1_9scan_implILNS1_25lookback_scan_determinismE0ELb0ELb0ES3_PKdPddZZZN2at6native31launch_logcumsumexp_cuda_kernelERKNSB_10TensorBaseESF_lENKUlvE_clEvENKUlvE_clEvEUlddE_dEEDaPvRmT3_T4_T5_mT6_P12ihipStream_tbENKUlT_T0_E_clISt17integral_constantIbLb1EESW_EEDaSR_SS_EUlSR_E_NS1_11comp_targetILNS1_3genE8ELNS1_11target_archE1030ELNS1_3gpuE2ELNS1_3repE0EEENS1_30default_config_static_selectorELNS0_4arch9wavefront6targetE0EEEvT1_,comdat
.Lfunc_end38:
	.size	_ZN7rocprim17ROCPRIM_400000_NS6detail17trampoline_kernelINS0_14default_configENS1_20scan_config_selectorIdEEZZNS1_9scan_implILNS1_25lookback_scan_determinismE0ELb0ELb0ES3_PKdPddZZZN2at6native31launch_logcumsumexp_cuda_kernelERKNSB_10TensorBaseESF_lENKUlvE_clEvENKUlvE_clEvEUlddE_dEEDaPvRmT3_T4_T5_mT6_P12ihipStream_tbENKUlT_T0_E_clISt17integral_constantIbLb1EESW_EEDaSR_SS_EUlSR_E_NS1_11comp_targetILNS1_3genE8ELNS1_11target_archE1030ELNS1_3gpuE2ELNS1_3repE0EEENS1_30default_config_static_selectorELNS0_4arch9wavefront6targetE0EEEvT1_, .Lfunc_end38-_ZN7rocprim17ROCPRIM_400000_NS6detail17trampoline_kernelINS0_14default_configENS1_20scan_config_selectorIdEEZZNS1_9scan_implILNS1_25lookback_scan_determinismE0ELb0ELb0ES3_PKdPddZZZN2at6native31launch_logcumsumexp_cuda_kernelERKNSB_10TensorBaseESF_lENKUlvE_clEvENKUlvE_clEvEUlddE_dEEDaPvRmT3_T4_T5_mT6_P12ihipStream_tbENKUlT_T0_E_clISt17integral_constantIbLb1EESW_EEDaSR_SS_EUlSR_E_NS1_11comp_targetILNS1_3genE8ELNS1_11target_archE1030ELNS1_3gpuE2ELNS1_3repE0EEENS1_30default_config_static_selectorELNS0_4arch9wavefront6targetE0EEEvT1_
                                        ; -- End function
	.section	.AMDGPU.csdata,"",@progbits
; Kernel info:
; codeLenInByte = 0
; NumSgprs: 0
; NumVgprs: 0
; ScratchSize: 0
; MemoryBound: 0
; FloatMode: 240
; IeeeMode: 1
; LDSByteSize: 0 bytes/workgroup (compile time only)
; SGPRBlocks: 0
; VGPRBlocks: 0
; NumSGPRsForWavesPerEU: 1
; NumVGPRsForWavesPerEU: 1
; Occupancy: 16
; WaveLimiterHint : 0
; COMPUTE_PGM_RSRC2:SCRATCH_EN: 0
; COMPUTE_PGM_RSRC2:USER_SGPR: 15
; COMPUTE_PGM_RSRC2:TRAP_HANDLER: 0
; COMPUTE_PGM_RSRC2:TGID_X_EN: 1
; COMPUTE_PGM_RSRC2:TGID_Y_EN: 0
; COMPUTE_PGM_RSRC2:TGID_Z_EN: 0
; COMPUTE_PGM_RSRC2:TIDIG_COMP_CNT: 0
	.section	.text._ZN7rocprim17ROCPRIM_400000_NS6detail17trampoline_kernelINS0_14default_configENS1_20scan_config_selectorIdEEZZNS1_9scan_implILNS1_25lookback_scan_determinismE0ELb0ELb0ES3_PKdPddZZZN2at6native31launch_logcumsumexp_cuda_kernelERKNSB_10TensorBaseESF_lENKUlvE_clEvENKUlvE_clEvEUlddE_dEEDaPvRmT3_T4_T5_mT6_P12ihipStream_tbENKUlT_T0_E_clISt17integral_constantIbLb1EESW_EEDaSR_SS_EUlSR_E0_NS1_11comp_targetILNS1_3genE0ELNS1_11target_archE4294967295ELNS1_3gpuE0ELNS1_3repE0EEENS1_30default_config_static_selectorELNS0_4arch9wavefront6targetE0EEEvT1_,"axG",@progbits,_ZN7rocprim17ROCPRIM_400000_NS6detail17trampoline_kernelINS0_14default_configENS1_20scan_config_selectorIdEEZZNS1_9scan_implILNS1_25lookback_scan_determinismE0ELb0ELb0ES3_PKdPddZZZN2at6native31launch_logcumsumexp_cuda_kernelERKNSB_10TensorBaseESF_lENKUlvE_clEvENKUlvE_clEvEUlddE_dEEDaPvRmT3_T4_T5_mT6_P12ihipStream_tbENKUlT_T0_E_clISt17integral_constantIbLb1EESW_EEDaSR_SS_EUlSR_E0_NS1_11comp_targetILNS1_3genE0ELNS1_11target_archE4294967295ELNS1_3gpuE0ELNS1_3repE0EEENS1_30default_config_static_selectorELNS0_4arch9wavefront6targetE0EEEvT1_,comdat
	.globl	_ZN7rocprim17ROCPRIM_400000_NS6detail17trampoline_kernelINS0_14default_configENS1_20scan_config_selectorIdEEZZNS1_9scan_implILNS1_25lookback_scan_determinismE0ELb0ELb0ES3_PKdPddZZZN2at6native31launch_logcumsumexp_cuda_kernelERKNSB_10TensorBaseESF_lENKUlvE_clEvENKUlvE_clEvEUlddE_dEEDaPvRmT3_T4_T5_mT6_P12ihipStream_tbENKUlT_T0_E_clISt17integral_constantIbLb1EESW_EEDaSR_SS_EUlSR_E0_NS1_11comp_targetILNS1_3genE0ELNS1_11target_archE4294967295ELNS1_3gpuE0ELNS1_3repE0EEENS1_30default_config_static_selectorELNS0_4arch9wavefront6targetE0EEEvT1_ ; -- Begin function _ZN7rocprim17ROCPRIM_400000_NS6detail17trampoline_kernelINS0_14default_configENS1_20scan_config_selectorIdEEZZNS1_9scan_implILNS1_25lookback_scan_determinismE0ELb0ELb0ES3_PKdPddZZZN2at6native31launch_logcumsumexp_cuda_kernelERKNSB_10TensorBaseESF_lENKUlvE_clEvENKUlvE_clEvEUlddE_dEEDaPvRmT3_T4_T5_mT6_P12ihipStream_tbENKUlT_T0_E_clISt17integral_constantIbLb1EESW_EEDaSR_SS_EUlSR_E0_NS1_11comp_targetILNS1_3genE0ELNS1_11target_archE4294967295ELNS1_3gpuE0ELNS1_3repE0EEENS1_30default_config_static_selectorELNS0_4arch9wavefront6targetE0EEEvT1_
	.p2align	8
	.type	_ZN7rocprim17ROCPRIM_400000_NS6detail17trampoline_kernelINS0_14default_configENS1_20scan_config_selectorIdEEZZNS1_9scan_implILNS1_25lookback_scan_determinismE0ELb0ELb0ES3_PKdPddZZZN2at6native31launch_logcumsumexp_cuda_kernelERKNSB_10TensorBaseESF_lENKUlvE_clEvENKUlvE_clEvEUlddE_dEEDaPvRmT3_T4_T5_mT6_P12ihipStream_tbENKUlT_T0_E_clISt17integral_constantIbLb1EESW_EEDaSR_SS_EUlSR_E0_NS1_11comp_targetILNS1_3genE0ELNS1_11target_archE4294967295ELNS1_3gpuE0ELNS1_3repE0EEENS1_30default_config_static_selectorELNS0_4arch9wavefront6targetE0EEEvT1_,@function
_ZN7rocprim17ROCPRIM_400000_NS6detail17trampoline_kernelINS0_14default_configENS1_20scan_config_selectorIdEEZZNS1_9scan_implILNS1_25lookback_scan_determinismE0ELb0ELb0ES3_PKdPddZZZN2at6native31launch_logcumsumexp_cuda_kernelERKNSB_10TensorBaseESF_lENKUlvE_clEvENKUlvE_clEvEUlddE_dEEDaPvRmT3_T4_T5_mT6_P12ihipStream_tbENKUlT_T0_E_clISt17integral_constantIbLb1EESW_EEDaSR_SS_EUlSR_E0_NS1_11comp_targetILNS1_3genE0ELNS1_11target_archE4294967295ELNS1_3gpuE0ELNS1_3repE0EEENS1_30default_config_static_selectorELNS0_4arch9wavefront6targetE0EEEvT1_: ; @_ZN7rocprim17ROCPRIM_400000_NS6detail17trampoline_kernelINS0_14default_configENS1_20scan_config_selectorIdEEZZNS1_9scan_implILNS1_25lookback_scan_determinismE0ELb0ELb0ES3_PKdPddZZZN2at6native31launch_logcumsumexp_cuda_kernelERKNSB_10TensorBaseESF_lENKUlvE_clEvENKUlvE_clEvEUlddE_dEEDaPvRmT3_T4_T5_mT6_P12ihipStream_tbENKUlT_T0_E_clISt17integral_constantIbLb1EESW_EEDaSR_SS_EUlSR_E0_NS1_11comp_targetILNS1_3genE0ELNS1_11target_archE4294967295ELNS1_3gpuE0ELNS1_3repE0EEENS1_30default_config_static_selectorELNS0_4arch9wavefront6targetE0EEEvT1_
; %bb.0:
	.section	.rodata,"a",@progbits
	.p2align	6, 0x0
	.amdhsa_kernel _ZN7rocprim17ROCPRIM_400000_NS6detail17trampoline_kernelINS0_14default_configENS1_20scan_config_selectorIdEEZZNS1_9scan_implILNS1_25lookback_scan_determinismE0ELb0ELb0ES3_PKdPddZZZN2at6native31launch_logcumsumexp_cuda_kernelERKNSB_10TensorBaseESF_lENKUlvE_clEvENKUlvE_clEvEUlddE_dEEDaPvRmT3_T4_T5_mT6_P12ihipStream_tbENKUlT_T0_E_clISt17integral_constantIbLb1EESW_EEDaSR_SS_EUlSR_E0_NS1_11comp_targetILNS1_3genE0ELNS1_11target_archE4294967295ELNS1_3gpuE0ELNS1_3repE0EEENS1_30default_config_static_selectorELNS0_4arch9wavefront6targetE0EEEvT1_
		.amdhsa_group_segment_fixed_size 0
		.amdhsa_private_segment_fixed_size 0
		.amdhsa_kernarg_size 40
		.amdhsa_user_sgpr_count 15
		.amdhsa_user_sgpr_dispatch_ptr 0
		.amdhsa_user_sgpr_queue_ptr 0
		.amdhsa_user_sgpr_kernarg_segment_ptr 1
		.amdhsa_user_sgpr_dispatch_id 0
		.amdhsa_user_sgpr_private_segment_size 0
		.amdhsa_wavefront_size32 1
		.amdhsa_uses_dynamic_stack 0
		.amdhsa_enable_private_segment 0
		.amdhsa_system_sgpr_workgroup_id_x 1
		.amdhsa_system_sgpr_workgroup_id_y 0
		.amdhsa_system_sgpr_workgroup_id_z 0
		.amdhsa_system_sgpr_workgroup_info 0
		.amdhsa_system_vgpr_workitem_id 0
		.amdhsa_next_free_vgpr 1
		.amdhsa_next_free_sgpr 1
		.amdhsa_reserve_vcc 0
		.amdhsa_float_round_mode_32 0
		.amdhsa_float_round_mode_16_64 0
		.amdhsa_float_denorm_mode_32 3
		.amdhsa_float_denorm_mode_16_64 3
		.amdhsa_dx10_clamp 1
		.amdhsa_ieee_mode 1
		.amdhsa_fp16_overflow 0
		.amdhsa_workgroup_processor_mode 1
		.amdhsa_memory_ordered 1
		.amdhsa_forward_progress 0
		.amdhsa_shared_vgpr_count 0
		.amdhsa_exception_fp_ieee_invalid_op 0
		.amdhsa_exception_fp_denorm_src 0
		.amdhsa_exception_fp_ieee_div_zero 0
		.amdhsa_exception_fp_ieee_overflow 0
		.amdhsa_exception_fp_ieee_underflow 0
		.amdhsa_exception_fp_ieee_inexact 0
		.amdhsa_exception_int_div_zero 0
	.end_amdhsa_kernel
	.section	.text._ZN7rocprim17ROCPRIM_400000_NS6detail17trampoline_kernelINS0_14default_configENS1_20scan_config_selectorIdEEZZNS1_9scan_implILNS1_25lookback_scan_determinismE0ELb0ELb0ES3_PKdPddZZZN2at6native31launch_logcumsumexp_cuda_kernelERKNSB_10TensorBaseESF_lENKUlvE_clEvENKUlvE_clEvEUlddE_dEEDaPvRmT3_T4_T5_mT6_P12ihipStream_tbENKUlT_T0_E_clISt17integral_constantIbLb1EESW_EEDaSR_SS_EUlSR_E0_NS1_11comp_targetILNS1_3genE0ELNS1_11target_archE4294967295ELNS1_3gpuE0ELNS1_3repE0EEENS1_30default_config_static_selectorELNS0_4arch9wavefront6targetE0EEEvT1_,"axG",@progbits,_ZN7rocprim17ROCPRIM_400000_NS6detail17trampoline_kernelINS0_14default_configENS1_20scan_config_selectorIdEEZZNS1_9scan_implILNS1_25lookback_scan_determinismE0ELb0ELb0ES3_PKdPddZZZN2at6native31launch_logcumsumexp_cuda_kernelERKNSB_10TensorBaseESF_lENKUlvE_clEvENKUlvE_clEvEUlddE_dEEDaPvRmT3_T4_T5_mT6_P12ihipStream_tbENKUlT_T0_E_clISt17integral_constantIbLb1EESW_EEDaSR_SS_EUlSR_E0_NS1_11comp_targetILNS1_3genE0ELNS1_11target_archE4294967295ELNS1_3gpuE0ELNS1_3repE0EEENS1_30default_config_static_selectorELNS0_4arch9wavefront6targetE0EEEvT1_,comdat
.Lfunc_end39:
	.size	_ZN7rocprim17ROCPRIM_400000_NS6detail17trampoline_kernelINS0_14default_configENS1_20scan_config_selectorIdEEZZNS1_9scan_implILNS1_25lookback_scan_determinismE0ELb0ELb0ES3_PKdPddZZZN2at6native31launch_logcumsumexp_cuda_kernelERKNSB_10TensorBaseESF_lENKUlvE_clEvENKUlvE_clEvEUlddE_dEEDaPvRmT3_T4_T5_mT6_P12ihipStream_tbENKUlT_T0_E_clISt17integral_constantIbLb1EESW_EEDaSR_SS_EUlSR_E0_NS1_11comp_targetILNS1_3genE0ELNS1_11target_archE4294967295ELNS1_3gpuE0ELNS1_3repE0EEENS1_30default_config_static_selectorELNS0_4arch9wavefront6targetE0EEEvT1_, .Lfunc_end39-_ZN7rocprim17ROCPRIM_400000_NS6detail17trampoline_kernelINS0_14default_configENS1_20scan_config_selectorIdEEZZNS1_9scan_implILNS1_25lookback_scan_determinismE0ELb0ELb0ES3_PKdPddZZZN2at6native31launch_logcumsumexp_cuda_kernelERKNSB_10TensorBaseESF_lENKUlvE_clEvENKUlvE_clEvEUlddE_dEEDaPvRmT3_T4_T5_mT6_P12ihipStream_tbENKUlT_T0_E_clISt17integral_constantIbLb1EESW_EEDaSR_SS_EUlSR_E0_NS1_11comp_targetILNS1_3genE0ELNS1_11target_archE4294967295ELNS1_3gpuE0ELNS1_3repE0EEENS1_30default_config_static_selectorELNS0_4arch9wavefront6targetE0EEEvT1_
                                        ; -- End function
	.section	.AMDGPU.csdata,"",@progbits
; Kernel info:
; codeLenInByte = 0
; NumSgprs: 0
; NumVgprs: 0
; ScratchSize: 0
; MemoryBound: 0
; FloatMode: 240
; IeeeMode: 1
; LDSByteSize: 0 bytes/workgroup (compile time only)
; SGPRBlocks: 0
; VGPRBlocks: 0
; NumSGPRsForWavesPerEU: 1
; NumVGPRsForWavesPerEU: 1
; Occupancy: 16
; WaveLimiterHint : 0
; COMPUTE_PGM_RSRC2:SCRATCH_EN: 0
; COMPUTE_PGM_RSRC2:USER_SGPR: 15
; COMPUTE_PGM_RSRC2:TRAP_HANDLER: 0
; COMPUTE_PGM_RSRC2:TGID_X_EN: 1
; COMPUTE_PGM_RSRC2:TGID_Y_EN: 0
; COMPUTE_PGM_RSRC2:TGID_Z_EN: 0
; COMPUTE_PGM_RSRC2:TIDIG_COMP_CNT: 0
	.section	.text._ZN7rocprim17ROCPRIM_400000_NS6detail17trampoline_kernelINS0_14default_configENS1_20scan_config_selectorIdEEZZNS1_9scan_implILNS1_25lookback_scan_determinismE0ELb0ELb0ES3_PKdPddZZZN2at6native31launch_logcumsumexp_cuda_kernelERKNSB_10TensorBaseESF_lENKUlvE_clEvENKUlvE_clEvEUlddE_dEEDaPvRmT3_T4_T5_mT6_P12ihipStream_tbENKUlT_T0_E_clISt17integral_constantIbLb1EESW_EEDaSR_SS_EUlSR_E0_NS1_11comp_targetILNS1_3genE5ELNS1_11target_archE942ELNS1_3gpuE9ELNS1_3repE0EEENS1_30default_config_static_selectorELNS0_4arch9wavefront6targetE0EEEvT1_,"axG",@progbits,_ZN7rocprim17ROCPRIM_400000_NS6detail17trampoline_kernelINS0_14default_configENS1_20scan_config_selectorIdEEZZNS1_9scan_implILNS1_25lookback_scan_determinismE0ELb0ELb0ES3_PKdPddZZZN2at6native31launch_logcumsumexp_cuda_kernelERKNSB_10TensorBaseESF_lENKUlvE_clEvENKUlvE_clEvEUlddE_dEEDaPvRmT3_T4_T5_mT6_P12ihipStream_tbENKUlT_T0_E_clISt17integral_constantIbLb1EESW_EEDaSR_SS_EUlSR_E0_NS1_11comp_targetILNS1_3genE5ELNS1_11target_archE942ELNS1_3gpuE9ELNS1_3repE0EEENS1_30default_config_static_selectorELNS0_4arch9wavefront6targetE0EEEvT1_,comdat
	.globl	_ZN7rocprim17ROCPRIM_400000_NS6detail17trampoline_kernelINS0_14default_configENS1_20scan_config_selectorIdEEZZNS1_9scan_implILNS1_25lookback_scan_determinismE0ELb0ELb0ES3_PKdPddZZZN2at6native31launch_logcumsumexp_cuda_kernelERKNSB_10TensorBaseESF_lENKUlvE_clEvENKUlvE_clEvEUlddE_dEEDaPvRmT3_T4_T5_mT6_P12ihipStream_tbENKUlT_T0_E_clISt17integral_constantIbLb1EESW_EEDaSR_SS_EUlSR_E0_NS1_11comp_targetILNS1_3genE5ELNS1_11target_archE942ELNS1_3gpuE9ELNS1_3repE0EEENS1_30default_config_static_selectorELNS0_4arch9wavefront6targetE0EEEvT1_ ; -- Begin function _ZN7rocprim17ROCPRIM_400000_NS6detail17trampoline_kernelINS0_14default_configENS1_20scan_config_selectorIdEEZZNS1_9scan_implILNS1_25lookback_scan_determinismE0ELb0ELb0ES3_PKdPddZZZN2at6native31launch_logcumsumexp_cuda_kernelERKNSB_10TensorBaseESF_lENKUlvE_clEvENKUlvE_clEvEUlddE_dEEDaPvRmT3_T4_T5_mT6_P12ihipStream_tbENKUlT_T0_E_clISt17integral_constantIbLb1EESW_EEDaSR_SS_EUlSR_E0_NS1_11comp_targetILNS1_3genE5ELNS1_11target_archE942ELNS1_3gpuE9ELNS1_3repE0EEENS1_30default_config_static_selectorELNS0_4arch9wavefront6targetE0EEEvT1_
	.p2align	8
	.type	_ZN7rocprim17ROCPRIM_400000_NS6detail17trampoline_kernelINS0_14default_configENS1_20scan_config_selectorIdEEZZNS1_9scan_implILNS1_25lookback_scan_determinismE0ELb0ELb0ES3_PKdPddZZZN2at6native31launch_logcumsumexp_cuda_kernelERKNSB_10TensorBaseESF_lENKUlvE_clEvENKUlvE_clEvEUlddE_dEEDaPvRmT3_T4_T5_mT6_P12ihipStream_tbENKUlT_T0_E_clISt17integral_constantIbLb1EESW_EEDaSR_SS_EUlSR_E0_NS1_11comp_targetILNS1_3genE5ELNS1_11target_archE942ELNS1_3gpuE9ELNS1_3repE0EEENS1_30default_config_static_selectorELNS0_4arch9wavefront6targetE0EEEvT1_,@function
_ZN7rocprim17ROCPRIM_400000_NS6detail17trampoline_kernelINS0_14default_configENS1_20scan_config_selectorIdEEZZNS1_9scan_implILNS1_25lookback_scan_determinismE0ELb0ELb0ES3_PKdPddZZZN2at6native31launch_logcumsumexp_cuda_kernelERKNSB_10TensorBaseESF_lENKUlvE_clEvENKUlvE_clEvEUlddE_dEEDaPvRmT3_T4_T5_mT6_P12ihipStream_tbENKUlT_T0_E_clISt17integral_constantIbLb1EESW_EEDaSR_SS_EUlSR_E0_NS1_11comp_targetILNS1_3genE5ELNS1_11target_archE942ELNS1_3gpuE9ELNS1_3repE0EEENS1_30default_config_static_selectorELNS0_4arch9wavefront6targetE0EEEvT1_: ; @_ZN7rocprim17ROCPRIM_400000_NS6detail17trampoline_kernelINS0_14default_configENS1_20scan_config_selectorIdEEZZNS1_9scan_implILNS1_25lookback_scan_determinismE0ELb0ELb0ES3_PKdPddZZZN2at6native31launch_logcumsumexp_cuda_kernelERKNSB_10TensorBaseESF_lENKUlvE_clEvENKUlvE_clEvEUlddE_dEEDaPvRmT3_T4_T5_mT6_P12ihipStream_tbENKUlT_T0_E_clISt17integral_constantIbLb1EESW_EEDaSR_SS_EUlSR_E0_NS1_11comp_targetILNS1_3genE5ELNS1_11target_archE942ELNS1_3gpuE9ELNS1_3repE0EEENS1_30default_config_static_selectorELNS0_4arch9wavefront6targetE0EEEvT1_
; %bb.0:
	.section	.rodata,"a",@progbits
	.p2align	6, 0x0
	.amdhsa_kernel _ZN7rocprim17ROCPRIM_400000_NS6detail17trampoline_kernelINS0_14default_configENS1_20scan_config_selectorIdEEZZNS1_9scan_implILNS1_25lookback_scan_determinismE0ELb0ELb0ES3_PKdPddZZZN2at6native31launch_logcumsumexp_cuda_kernelERKNSB_10TensorBaseESF_lENKUlvE_clEvENKUlvE_clEvEUlddE_dEEDaPvRmT3_T4_T5_mT6_P12ihipStream_tbENKUlT_T0_E_clISt17integral_constantIbLb1EESW_EEDaSR_SS_EUlSR_E0_NS1_11comp_targetILNS1_3genE5ELNS1_11target_archE942ELNS1_3gpuE9ELNS1_3repE0EEENS1_30default_config_static_selectorELNS0_4arch9wavefront6targetE0EEEvT1_
		.amdhsa_group_segment_fixed_size 0
		.amdhsa_private_segment_fixed_size 0
		.amdhsa_kernarg_size 40
		.amdhsa_user_sgpr_count 15
		.amdhsa_user_sgpr_dispatch_ptr 0
		.amdhsa_user_sgpr_queue_ptr 0
		.amdhsa_user_sgpr_kernarg_segment_ptr 1
		.amdhsa_user_sgpr_dispatch_id 0
		.amdhsa_user_sgpr_private_segment_size 0
		.amdhsa_wavefront_size32 1
		.amdhsa_uses_dynamic_stack 0
		.amdhsa_enable_private_segment 0
		.amdhsa_system_sgpr_workgroup_id_x 1
		.amdhsa_system_sgpr_workgroup_id_y 0
		.amdhsa_system_sgpr_workgroup_id_z 0
		.amdhsa_system_sgpr_workgroup_info 0
		.amdhsa_system_vgpr_workitem_id 0
		.amdhsa_next_free_vgpr 1
		.amdhsa_next_free_sgpr 1
		.amdhsa_reserve_vcc 0
		.amdhsa_float_round_mode_32 0
		.amdhsa_float_round_mode_16_64 0
		.amdhsa_float_denorm_mode_32 3
		.amdhsa_float_denorm_mode_16_64 3
		.amdhsa_dx10_clamp 1
		.amdhsa_ieee_mode 1
		.amdhsa_fp16_overflow 0
		.amdhsa_workgroup_processor_mode 1
		.amdhsa_memory_ordered 1
		.amdhsa_forward_progress 0
		.amdhsa_shared_vgpr_count 0
		.amdhsa_exception_fp_ieee_invalid_op 0
		.amdhsa_exception_fp_denorm_src 0
		.amdhsa_exception_fp_ieee_div_zero 0
		.amdhsa_exception_fp_ieee_overflow 0
		.amdhsa_exception_fp_ieee_underflow 0
		.amdhsa_exception_fp_ieee_inexact 0
		.amdhsa_exception_int_div_zero 0
	.end_amdhsa_kernel
	.section	.text._ZN7rocprim17ROCPRIM_400000_NS6detail17trampoline_kernelINS0_14default_configENS1_20scan_config_selectorIdEEZZNS1_9scan_implILNS1_25lookback_scan_determinismE0ELb0ELb0ES3_PKdPddZZZN2at6native31launch_logcumsumexp_cuda_kernelERKNSB_10TensorBaseESF_lENKUlvE_clEvENKUlvE_clEvEUlddE_dEEDaPvRmT3_T4_T5_mT6_P12ihipStream_tbENKUlT_T0_E_clISt17integral_constantIbLb1EESW_EEDaSR_SS_EUlSR_E0_NS1_11comp_targetILNS1_3genE5ELNS1_11target_archE942ELNS1_3gpuE9ELNS1_3repE0EEENS1_30default_config_static_selectorELNS0_4arch9wavefront6targetE0EEEvT1_,"axG",@progbits,_ZN7rocprim17ROCPRIM_400000_NS6detail17trampoline_kernelINS0_14default_configENS1_20scan_config_selectorIdEEZZNS1_9scan_implILNS1_25lookback_scan_determinismE0ELb0ELb0ES3_PKdPddZZZN2at6native31launch_logcumsumexp_cuda_kernelERKNSB_10TensorBaseESF_lENKUlvE_clEvENKUlvE_clEvEUlddE_dEEDaPvRmT3_T4_T5_mT6_P12ihipStream_tbENKUlT_T0_E_clISt17integral_constantIbLb1EESW_EEDaSR_SS_EUlSR_E0_NS1_11comp_targetILNS1_3genE5ELNS1_11target_archE942ELNS1_3gpuE9ELNS1_3repE0EEENS1_30default_config_static_selectorELNS0_4arch9wavefront6targetE0EEEvT1_,comdat
.Lfunc_end40:
	.size	_ZN7rocprim17ROCPRIM_400000_NS6detail17trampoline_kernelINS0_14default_configENS1_20scan_config_selectorIdEEZZNS1_9scan_implILNS1_25lookback_scan_determinismE0ELb0ELb0ES3_PKdPddZZZN2at6native31launch_logcumsumexp_cuda_kernelERKNSB_10TensorBaseESF_lENKUlvE_clEvENKUlvE_clEvEUlddE_dEEDaPvRmT3_T4_T5_mT6_P12ihipStream_tbENKUlT_T0_E_clISt17integral_constantIbLb1EESW_EEDaSR_SS_EUlSR_E0_NS1_11comp_targetILNS1_3genE5ELNS1_11target_archE942ELNS1_3gpuE9ELNS1_3repE0EEENS1_30default_config_static_selectorELNS0_4arch9wavefront6targetE0EEEvT1_, .Lfunc_end40-_ZN7rocprim17ROCPRIM_400000_NS6detail17trampoline_kernelINS0_14default_configENS1_20scan_config_selectorIdEEZZNS1_9scan_implILNS1_25lookback_scan_determinismE0ELb0ELb0ES3_PKdPddZZZN2at6native31launch_logcumsumexp_cuda_kernelERKNSB_10TensorBaseESF_lENKUlvE_clEvENKUlvE_clEvEUlddE_dEEDaPvRmT3_T4_T5_mT6_P12ihipStream_tbENKUlT_T0_E_clISt17integral_constantIbLb1EESW_EEDaSR_SS_EUlSR_E0_NS1_11comp_targetILNS1_3genE5ELNS1_11target_archE942ELNS1_3gpuE9ELNS1_3repE0EEENS1_30default_config_static_selectorELNS0_4arch9wavefront6targetE0EEEvT1_
                                        ; -- End function
	.section	.AMDGPU.csdata,"",@progbits
; Kernel info:
; codeLenInByte = 0
; NumSgprs: 0
; NumVgprs: 0
; ScratchSize: 0
; MemoryBound: 0
; FloatMode: 240
; IeeeMode: 1
; LDSByteSize: 0 bytes/workgroup (compile time only)
; SGPRBlocks: 0
; VGPRBlocks: 0
; NumSGPRsForWavesPerEU: 1
; NumVGPRsForWavesPerEU: 1
; Occupancy: 16
; WaveLimiterHint : 0
; COMPUTE_PGM_RSRC2:SCRATCH_EN: 0
; COMPUTE_PGM_RSRC2:USER_SGPR: 15
; COMPUTE_PGM_RSRC2:TRAP_HANDLER: 0
; COMPUTE_PGM_RSRC2:TGID_X_EN: 1
; COMPUTE_PGM_RSRC2:TGID_Y_EN: 0
; COMPUTE_PGM_RSRC2:TGID_Z_EN: 0
; COMPUTE_PGM_RSRC2:TIDIG_COMP_CNT: 0
	.section	.text._ZN7rocprim17ROCPRIM_400000_NS6detail17trampoline_kernelINS0_14default_configENS1_20scan_config_selectorIdEEZZNS1_9scan_implILNS1_25lookback_scan_determinismE0ELb0ELb0ES3_PKdPddZZZN2at6native31launch_logcumsumexp_cuda_kernelERKNSB_10TensorBaseESF_lENKUlvE_clEvENKUlvE_clEvEUlddE_dEEDaPvRmT3_T4_T5_mT6_P12ihipStream_tbENKUlT_T0_E_clISt17integral_constantIbLb1EESW_EEDaSR_SS_EUlSR_E0_NS1_11comp_targetILNS1_3genE4ELNS1_11target_archE910ELNS1_3gpuE8ELNS1_3repE0EEENS1_30default_config_static_selectorELNS0_4arch9wavefront6targetE0EEEvT1_,"axG",@progbits,_ZN7rocprim17ROCPRIM_400000_NS6detail17trampoline_kernelINS0_14default_configENS1_20scan_config_selectorIdEEZZNS1_9scan_implILNS1_25lookback_scan_determinismE0ELb0ELb0ES3_PKdPddZZZN2at6native31launch_logcumsumexp_cuda_kernelERKNSB_10TensorBaseESF_lENKUlvE_clEvENKUlvE_clEvEUlddE_dEEDaPvRmT3_T4_T5_mT6_P12ihipStream_tbENKUlT_T0_E_clISt17integral_constantIbLb1EESW_EEDaSR_SS_EUlSR_E0_NS1_11comp_targetILNS1_3genE4ELNS1_11target_archE910ELNS1_3gpuE8ELNS1_3repE0EEENS1_30default_config_static_selectorELNS0_4arch9wavefront6targetE0EEEvT1_,comdat
	.globl	_ZN7rocprim17ROCPRIM_400000_NS6detail17trampoline_kernelINS0_14default_configENS1_20scan_config_selectorIdEEZZNS1_9scan_implILNS1_25lookback_scan_determinismE0ELb0ELb0ES3_PKdPddZZZN2at6native31launch_logcumsumexp_cuda_kernelERKNSB_10TensorBaseESF_lENKUlvE_clEvENKUlvE_clEvEUlddE_dEEDaPvRmT3_T4_T5_mT6_P12ihipStream_tbENKUlT_T0_E_clISt17integral_constantIbLb1EESW_EEDaSR_SS_EUlSR_E0_NS1_11comp_targetILNS1_3genE4ELNS1_11target_archE910ELNS1_3gpuE8ELNS1_3repE0EEENS1_30default_config_static_selectorELNS0_4arch9wavefront6targetE0EEEvT1_ ; -- Begin function _ZN7rocprim17ROCPRIM_400000_NS6detail17trampoline_kernelINS0_14default_configENS1_20scan_config_selectorIdEEZZNS1_9scan_implILNS1_25lookback_scan_determinismE0ELb0ELb0ES3_PKdPddZZZN2at6native31launch_logcumsumexp_cuda_kernelERKNSB_10TensorBaseESF_lENKUlvE_clEvENKUlvE_clEvEUlddE_dEEDaPvRmT3_T4_T5_mT6_P12ihipStream_tbENKUlT_T0_E_clISt17integral_constantIbLb1EESW_EEDaSR_SS_EUlSR_E0_NS1_11comp_targetILNS1_3genE4ELNS1_11target_archE910ELNS1_3gpuE8ELNS1_3repE0EEENS1_30default_config_static_selectorELNS0_4arch9wavefront6targetE0EEEvT1_
	.p2align	8
	.type	_ZN7rocprim17ROCPRIM_400000_NS6detail17trampoline_kernelINS0_14default_configENS1_20scan_config_selectorIdEEZZNS1_9scan_implILNS1_25lookback_scan_determinismE0ELb0ELb0ES3_PKdPddZZZN2at6native31launch_logcumsumexp_cuda_kernelERKNSB_10TensorBaseESF_lENKUlvE_clEvENKUlvE_clEvEUlddE_dEEDaPvRmT3_T4_T5_mT6_P12ihipStream_tbENKUlT_T0_E_clISt17integral_constantIbLb1EESW_EEDaSR_SS_EUlSR_E0_NS1_11comp_targetILNS1_3genE4ELNS1_11target_archE910ELNS1_3gpuE8ELNS1_3repE0EEENS1_30default_config_static_selectorELNS0_4arch9wavefront6targetE0EEEvT1_,@function
_ZN7rocprim17ROCPRIM_400000_NS6detail17trampoline_kernelINS0_14default_configENS1_20scan_config_selectorIdEEZZNS1_9scan_implILNS1_25lookback_scan_determinismE0ELb0ELb0ES3_PKdPddZZZN2at6native31launch_logcumsumexp_cuda_kernelERKNSB_10TensorBaseESF_lENKUlvE_clEvENKUlvE_clEvEUlddE_dEEDaPvRmT3_T4_T5_mT6_P12ihipStream_tbENKUlT_T0_E_clISt17integral_constantIbLb1EESW_EEDaSR_SS_EUlSR_E0_NS1_11comp_targetILNS1_3genE4ELNS1_11target_archE910ELNS1_3gpuE8ELNS1_3repE0EEENS1_30default_config_static_selectorELNS0_4arch9wavefront6targetE0EEEvT1_: ; @_ZN7rocprim17ROCPRIM_400000_NS6detail17trampoline_kernelINS0_14default_configENS1_20scan_config_selectorIdEEZZNS1_9scan_implILNS1_25lookback_scan_determinismE0ELb0ELb0ES3_PKdPddZZZN2at6native31launch_logcumsumexp_cuda_kernelERKNSB_10TensorBaseESF_lENKUlvE_clEvENKUlvE_clEvEUlddE_dEEDaPvRmT3_T4_T5_mT6_P12ihipStream_tbENKUlT_T0_E_clISt17integral_constantIbLb1EESW_EEDaSR_SS_EUlSR_E0_NS1_11comp_targetILNS1_3genE4ELNS1_11target_archE910ELNS1_3gpuE8ELNS1_3repE0EEENS1_30default_config_static_selectorELNS0_4arch9wavefront6targetE0EEEvT1_
; %bb.0:
	.section	.rodata,"a",@progbits
	.p2align	6, 0x0
	.amdhsa_kernel _ZN7rocprim17ROCPRIM_400000_NS6detail17trampoline_kernelINS0_14default_configENS1_20scan_config_selectorIdEEZZNS1_9scan_implILNS1_25lookback_scan_determinismE0ELb0ELb0ES3_PKdPddZZZN2at6native31launch_logcumsumexp_cuda_kernelERKNSB_10TensorBaseESF_lENKUlvE_clEvENKUlvE_clEvEUlddE_dEEDaPvRmT3_T4_T5_mT6_P12ihipStream_tbENKUlT_T0_E_clISt17integral_constantIbLb1EESW_EEDaSR_SS_EUlSR_E0_NS1_11comp_targetILNS1_3genE4ELNS1_11target_archE910ELNS1_3gpuE8ELNS1_3repE0EEENS1_30default_config_static_selectorELNS0_4arch9wavefront6targetE0EEEvT1_
		.amdhsa_group_segment_fixed_size 0
		.amdhsa_private_segment_fixed_size 0
		.amdhsa_kernarg_size 40
		.amdhsa_user_sgpr_count 15
		.amdhsa_user_sgpr_dispatch_ptr 0
		.amdhsa_user_sgpr_queue_ptr 0
		.amdhsa_user_sgpr_kernarg_segment_ptr 1
		.amdhsa_user_sgpr_dispatch_id 0
		.amdhsa_user_sgpr_private_segment_size 0
		.amdhsa_wavefront_size32 1
		.amdhsa_uses_dynamic_stack 0
		.amdhsa_enable_private_segment 0
		.amdhsa_system_sgpr_workgroup_id_x 1
		.amdhsa_system_sgpr_workgroup_id_y 0
		.amdhsa_system_sgpr_workgroup_id_z 0
		.amdhsa_system_sgpr_workgroup_info 0
		.amdhsa_system_vgpr_workitem_id 0
		.amdhsa_next_free_vgpr 1
		.amdhsa_next_free_sgpr 1
		.amdhsa_reserve_vcc 0
		.amdhsa_float_round_mode_32 0
		.amdhsa_float_round_mode_16_64 0
		.amdhsa_float_denorm_mode_32 3
		.amdhsa_float_denorm_mode_16_64 3
		.amdhsa_dx10_clamp 1
		.amdhsa_ieee_mode 1
		.amdhsa_fp16_overflow 0
		.amdhsa_workgroup_processor_mode 1
		.amdhsa_memory_ordered 1
		.amdhsa_forward_progress 0
		.amdhsa_shared_vgpr_count 0
		.amdhsa_exception_fp_ieee_invalid_op 0
		.amdhsa_exception_fp_denorm_src 0
		.amdhsa_exception_fp_ieee_div_zero 0
		.amdhsa_exception_fp_ieee_overflow 0
		.amdhsa_exception_fp_ieee_underflow 0
		.amdhsa_exception_fp_ieee_inexact 0
		.amdhsa_exception_int_div_zero 0
	.end_amdhsa_kernel
	.section	.text._ZN7rocprim17ROCPRIM_400000_NS6detail17trampoline_kernelINS0_14default_configENS1_20scan_config_selectorIdEEZZNS1_9scan_implILNS1_25lookback_scan_determinismE0ELb0ELb0ES3_PKdPddZZZN2at6native31launch_logcumsumexp_cuda_kernelERKNSB_10TensorBaseESF_lENKUlvE_clEvENKUlvE_clEvEUlddE_dEEDaPvRmT3_T4_T5_mT6_P12ihipStream_tbENKUlT_T0_E_clISt17integral_constantIbLb1EESW_EEDaSR_SS_EUlSR_E0_NS1_11comp_targetILNS1_3genE4ELNS1_11target_archE910ELNS1_3gpuE8ELNS1_3repE0EEENS1_30default_config_static_selectorELNS0_4arch9wavefront6targetE0EEEvT1_,"axG",@progbits,_ZN7rocprim17ROCPRIM_400000_NS6detail17trampoline_kernelINS0_14default_configENS1_20scan_config_selectorIdEEZZNS1_9scan_implILNS1_25lookback_scan_determinismE0ELb0ELb0ES3_PKdPddZZZN2at6native31launch_logcumsumexp_cuda_kernelERKNSB_10TensorBaseESF_lENKUlvE_clEvENKUlvE_clEvEUlddE_dEEDaPvRmT3_T4_T5_mT6_P12ihipStream_tbENKUlT_T0_E_clISt17integral_constantIbLb1EESW_EEDaSR_SS_EUlSR_E0_NS1_11comp_targetILNS1_3genE4ELNS1_11target_archE910ELNS1_3gpuE8ELNS1_3repE0EEENS1_30default_config_static_selectorELNS0_4arch9wavefront6targetE0EEEvT1_,comdat
.Lfunc_end41:
	.size	_ZN7rocprim17ROCPRIM_400000_NS6detail17trampoline_kernelINS0_14default_configENS1_20scan_config_selectorIdEEZZNS1_9scan_implILNS1_25lookback_scan_determinismE0ELb0ELb0ES3_PKdPddZZZN2at6native31launch_logcumsumexp_cuda_kernelERKNSB_10TensorBaseESF_lENKUlvE_clEvENKUlvE_clEvEUlddE_dEEDaPvRmT3_T4_T5_mT6_P12ihipStream_tbENKUlT_T0_E_clISt17integral_constantIbLb1EESW_EEDaSR_SS_EUlSR_E0_NS1_11comp_targetILNS1_3genE4ELNS1_11target_archE910ELNS1_3gpuE8ELNS1_3repE0EEENS1_30default_config_static_selectorELNS0_4arch9wavefront6targetE0EEEvT1_, .Lfunc_end41-_ZN7rocprim17ROCPRIM_400000_NS6detail17trampoline_kernelINS0_14default_configENS1_20scan_config_selectorIdEEZZNS1_9scan_implILNS1_25lookback_scan_determinismE0ELb0ELb0ES3_PKdPddZZZN2at6native31launch_logcumsumexp_cuda_kernelERKNSB_10TensorBaseESF_lENKUlvE_clEvENKUlvE_clEvEUlddE_dEEDaPvRmT3_T4_T5_mT6_P12ihipStream_tbENKUlT_T0_E_clISt17integral_constantIbLb1EESW_EEDaSR_SS_EUlSR_E0_NS1_11comp_targetILNS1_3genE4ELNS1_11target_archE910ELNS1_3gpuE8ELNS1_3repE0EEENS1_30default_config_static_selectorELNS0_4arch9wavefront6targetE0EEEvT1_
                                        ; -- End function
	.section	.AMDGPU.csdata,"",@progbits
; Kernel info:
; codeLenInByte = 0
; NumSgprs: 0
; NumVgprs: 0
; ScratchSize: 0
; MemoryBound: 0
; FloatMode: 240
; IeeeMode: 1
; LDSByteSize: 0 bytes/workgroup (compile time only)
; SGPRBlocks: 0
; VGPRBlocks: 0
; NumSGPRsForWavesPerEU: 1
; NumVGPRsForWavesPerEU: 1
; Occupancy: 16
; WaveLimiterHint : 0
; COMPUTE_PGM_RSRC2:SCRATCH_EN: 0
; COMPUTE_PGM_RSRC2:USER_SGPR: 15
; COMPUTE_PGM_RSRC2:TRAP_HANDLER: 0
; COMPUTE_PGM_RSRC2:TGID_X_EN: 1
; COMPUTE_PGM_RSRC2:TGID_Y_EN: 0
; COMPUTE_PGM_RSRC2:TGID_Z_EN: 0
; COMPUTE_PGM_RSRC2:TIDIG_COMP_CNT: 0
	.section	.text._ZN7rocprim17ROCPRIM_400000_NS6detail17trampoline_kernelINS0_14default_configENS1_20scan_config_selectorIdEEZZNS1_9scan_implILNS1_25lookback_scan_determinismE0ELb0ELb0ES3_PKdPddZZZN2at6native31launch_logcumsumexp_cuda_kernelERKNSB_10TensorBaseESF_lENKUlvE_clEvENKUlvE_clEvEUlddE_dEEDaPvRmT3_T4_T5_mT6_P12ihipStream_tbENKUlT_T0_E_clISt17integral_constantIbLb1EESW_EEDaSR_SS_EUlSR_E0_NS1_11comp_targetILNS1_3genE3ELNS1_11target_archE908ELNS1_3gpuE7ELNS1_3repE0EEENS1_30default_config_static_selectorELNS0_4arch9wavefront6targetE0EEEvT1_,"axG",@progbits,_ZN7rocprim17ROCPRIM_400000_NS6detail17trampoline_kernelINS0_14default_configENS1_20scan_config_selectorIdEEZZNS1_9scan_implILNS1_25lookback_scan_determinismE0ELb0ELb0ES3_PKdPddZZZN2at6native31launch_logcumsumexp_cuda_kernelERKNSB_10TensorBaseESF_lENKUlvE_clEvENKUlvE_clEvEUlddE_dEEDaPvRmT3_T4_T5_mT6_P12ihipStream_tbENKUlT_T0_E_clISt17integral_constantIbLb1EESW_EEDaSR_SS_EUlSR_E0_NS1_11comp_targetILNS1_3genE3ELNS1_11target_archE908ELNS1_3gpuE7ELNS1_3repE0EEENS1_30default_config_static_selectorELNS0_4arch9wavefront6targetE0EEEvT1_,comdat
	.globl	_ZN7rocprim17ROCPRIM_400000_NS6detail17trampoline_kernelINS0_14default_configENS1_20scan_config_selectorIdEEZZNS1_9scan_implILNS1_25lookback_scan_determinismE0ELb0ELb0ES3_PKdPddZZZN2at6native31launch_logcumsumexp_cuda_kernelERKNSB_10TensorBaseESF_lENKUlvE_clEvENKUlvE_clEvEUlddE_dEEDaPvRmT3_T4_T5_mT6_P12ihipStream_tbENKUlT_T0_E_clISt17integral_constantIbLb1EESW_EEDaSR_SS_EUlSR_E0_NS1_11comp_targetILNS1_3genE3ELNS1_11target_archE908ELNS1_3gpuE7ELNS1_3repE0EEENS1_30default_config_static_selectorELNS0_4arch9wavefront6targetE0EEEvT1_ ; -- Begin function _ZN7rocprim17ROCPRIM_400000_NS6detail17trampoline_kernelINS0_14default_configENS1_20scan_config_selectorIdEEZZNS1_9scan_implILNS1_25lookback_scan_determinismE0ELb0ELb0ES3_PKdPddZZZN2at6native31launch_logcumsumexp_cuda_kernelERKNSB_10TensorBaseESF_lENKUlvE_clEvENKUlvE_clEvEUlddE_dEEDaPvRmT3_T4_T5_mT6_P12ihipStream_tbENKUlT_T0_E_clISt17integral_constantIbLb1EESW_EEDaSR_SS_EUlSR_E0_NS1_11comp_targetILNS1_3genE3ELNS1_11target_archE908ELNS1_3gpuE7ELNS1_3repE0EEENS1_30default_config_static_selectorELNS0_4arch9wavefront6targetE0EEEvT1_
	.p2align	8
	.type	_ZN7rocprim17ROCPRIM_400000_NS6detail17trampoline_kernelINS0_14default_configENS1_20scan_config_selectorIdEEZZNS1_9scan_implILNS1_25lookback_scan_determinismE0ELb0ELb0ES3_PKdPddZZZN2at6native31launch_logcumsumexp_cuda_kernelERKNSB_10TensorBaseESF_lENKUlvE_clEvENKUlvE_clEvEUlddE_dEEDaPvRmT3_T4_T5_mT6_P12ihipStream_tbENKUlT_T0_E_clISt17integral_constantIbLb1EESW_EEDaSR_SS_EUlSR_E0_NS1_11comp_targetILNS1_3genE3ELNS1_11target_archE908ELNS1_3gpuE7ELNS1_3repE0EEENS1_30default_config_static_selectorELNS0_4arch9wavefront6targetE0EEEvT1_,@function
_ZN7rocprim17ROCPRIM_400000_NS6detail17trampoline_kernelINS0_14default_configENS1_20scan_config_selectorIdEEZZNS1_9scan_implILNS1_25lookback_scan_determinismE0ELb0ELb0ES3_PKdPddZZZN2at6native31launch_logcumsumexp_cuda_kernelERKNSB_10TensorBaseESF_lENKUlvE_clEvENKUlvE_clEvEUlddE_dEEDaPvRmT3_T4_T5_mT6_P12ihipStream_tbENKUlT_T0_E_clISt17integral_constantIbLb1EESW_EEDaSR_SS_EUlSR_E0_NS1_11comp_targetILNS1_3genE3ELNS1_11target_archE908ELNS1_3gpuE7ELNS1_3repE0EEENS1_30default_config_static_selectorELNS0_4arch9wavefront6targetE0EEEvT1_: ; @_ZN7rocprim17ROCPRIM_400000_NS6detail17trampoline_kernelINS0_14default_configENS1_20scan_config_selectorIdEEZZNS1_9scan_implILNS1_25lookback_scan_determinismE0ELb0ELb0ES3_PKdPddZZZN2at6native31launch_logcumsumexp_cuda_kernelERKNSB_10TensorBaseESF_lENKUlvE_clEvENKUlvE_clEvEUlddE_dEEDaPvRmT3_T4_T5_mT6_P12ihipStream_tbENKUlT_T0_E_clISt17integral_constantIbLb1EESW_EEDaSR_SS_EUlSR_E0_NS1_11comp_targetILNS1_3genE3ELNS1_11target_archE908ELNS1_3gpuE7ELNS1_3repE0EEENS1_30default_config_static_selectorELNS0_4arch9wavefront6targetE0EEEvT1_
; %bb.0:
	.section	.rodata,"a",@progbits
	.p2align	6, 0x0
	.amdhsa_kernel _ZN7rocprim17ROCPRIM_400000_NS6detail17trampoline_kernelINS0_14default_configENS1_20scan_config_selectorIdEEZZNS1_9scan_implILNS1_25lookback_scan_determinismE0ELb0ELb0ES3_PKdPddZZZN2at6native31launch_logcumsumexp_cuda_kernelERKNSB_10TensorBaseESF_lENKUlvE_clEvENKUlvE_clEvEUlddE_dEEDaPvRmT3_T4_T5_mT6_P12ihipStream_tbENKUlT_T0_E_clISt17integral_constantIbLb1EESW_EEDaSR_SS_EUlSR_E0_NS1_11comp_targetILNS1_3genE3ELNS1_11target_archE908ELNS1_3gpuE7ELNS1_3repE0EEENS1_30default_config_static_selectorELNS0_4arch9wavefront6targetE0EEEvT1_
		.amdhsa_group_segment_fixed_size 0
		.amdhsa_private_segment_fixed_size 0
		.amdhsa_kernarg_size 40
		.amdhsa_user_sgpr_count 15
		.amdhsa_user_sgpr_dispatch_ptr 0
		.amdhsa_user_sgpr_queue_ptr 0
		.amdhsa_user_sgpr_kernarg_segment_ptr 1
		.amdhsa_user_sgpr_dispatch_id 0
		.amdhsa_user_sgpr_private_segment_size 0
		.amdhsa_wavefront_size32 1
		.amdhsa_uses_dynamic_stack 0
		.amdhsa_enable_private_segment 0
		.amdhsa_system_sgpr_workgroup_id_x 1
		.amdhsa_system_sgpr_workgroup_id_y 0
		.amdhsa_system_sgpr_workgroup_id_z 0
		.amdhsa_system_sgpr_workgroup_info 0
		.amdhsa_system_vgpr_workitem_id 0
		.amdhsa_next_free_vgpr 1
		.amdhsa_next_free_sgpr 1
		.amdhsa_reserve_vcc 0
		.amdhsa_float_round_mode_32 0
		.amdhsa_float_round_mode_16_64 0
		.amdhsa_float_denorm_mode_32 3
		.amdhsa_float_denorm_mode_16_64 3
		.amdhsa_dx10_clamp 1
		.amdhsa_ieee_mode 1
		.amdhsa_fp16_overflow 0
		.amdhsa_workgroup_processor_mode 1
		.amdhsa_memory_ordered 1
		.amdhsa_forward_progress 0
		.amdhsa_shared_vgpr_count 0
		.amdhsa_exception_fp_ieee_invalid_op 0
		.amdhsa_exception_fp_denorm_src 0
		.amdhsa_exception_fp_ieee_div_zero 0
		.amdhsa_exception_fp_ieee_overflow 0
		.amdhsa_exception_fp_ieee_underflow 0
		.amdhsa_exception_fp_ieee_inexact 0
		.amdhsa_exception_int_div_zero 0
	.end_amdhsa_kernel
	.section	.text._ZN7rocprim17ROCPRIM_400000_NS6detail17trampoline_kernelINS0_14default_configENS1_20scan_config_selectorIdEEZZNS1_9scan_implILNS1_25lookback_scan_determinismE0ELb0ELb0ES3_PKdPddZZZN2at6native31launch_logcumsumexp_cuda_kernelERKNSB_10TensorBaseESF_lENKUlvE_clEvENKUlvE_clEvEUlddE_dEEDaPvRmT3_T4_T5_mT6_P12ihipStream_tbENKUlT_T0_E_clISt17integral_constantIbLb1EESW_EEDaSR_SS_EUlSR_E0_NS1_11comp_targetILNS1_3genE3ELNS1_11target_archE908ELNS1_3gpuE7ELNS1_3repE0EEENS1_30default_config_static_selectorELNS0_4arch9wavefront6targetE0EEEvT1_,"axG",@progbits,_ZN7rocprim17ROCPRIM_400000_NS6detail17trampoline_kernelINS0_14default_configENS1_20scan_config_selectorIdEEZZNS1_9scan_implILNS1_25lookback_scan_determinismE0ELb0ELb0ES3_PKdPddZZZN2at6native31launch_logcumsumexp_cuda_kernelERKNSB_10TensorBaseESF_lENKUlvE_clEvENKUlvE_clEvEUlddE_dEEDaPvRmT3_T4_T5_mT6_P12ihipStream_tbENKUlT_T0_E_clISt17integral_constantIbLb1EESW_EEDaSR_SS_EUlSR_E0_NS1_11comp_targetILNS1_3genE3ELNS1_11target_archE908ELNS1_3gpuE7ELNS1_3repE0EEENS1_30default_config_static_selectorELNS0_4arch9wavefront6targetE0EEEvT1_,comdat
.Lfunc_end42:
	.size	_ZN7rocprim17ROCPRIM_400000_NS6detail17trampoline_kernelINS0_14default_configENS1_20scan_config_selectorIdEEZZNS1_9scan_implILNS1_25lookback_scan_determinismE0ELb0ELb0ES3_PKdPddZZZN2at6native31launch_logcumsumexp_cuda_kernelERKNSB_10TensorBaseESF_lENKUlvE_clEvENKUlvE_clEvEUlddE_dEEDaPvRmT3_T4_T5_mT6_P12ihipStream_tbENKUlT_T0_E_clISt17integral_constantIbLb1EESW_EEDaSR_SS_EUlSR_E0_NS1_11comp_targetILNS1_3genE3ELNS1_11target_archE908ELNS1_3gpuE7ELNS1_3repE0EEENS1_30default_config_static_selectorELNS0_4arch9wavefront6targetE0EEEvT1_, .Lfunc_end42-_ZN7rocprim17ROCPRIM_400000_NS6detail17trampoline_kernelINS0_14default_configENS1_20scan_config_selectorIdEEZZNS1_9scan_implILNS1_25lookback_scan_determinismE0ELb0ELb0ES3_PKdPddZZZN2at6native31launch_logcumsumexp_cuda_kernelERKNSB_10TensorBaseESF_lENKUlvE_clEvENKUlvE_clEvEUlddE_dEEDaPvRmT3_T4_T5_mT6_P12ihipStream_tbENKUlT_T0_E_clISt17integral_constantIbLb1EESW_EEDaSR_SS_EUlSR_E0_NS1_11comp_targetILNS1_3genE3ELNS1_11target_archE908ELNS1_3gpuE7ELNS1_3repE0EEENS1_30default_config_static_selectorELNS0_4arch9wavefront6targetE0EEEvT1_
                                        ; -- End function
	.section	.AMDGPU.csdata,"",@progbits
; Kernel info:
; codeLenInByte = 0
; NumSgprs: 0
; NumVgprs: 0
; ScratchSize: 0
; MemoryBound: 0
; FloatMode: 240
; IeeeMode: 1
; LDSByteSize: 0 bytes/workgroup (compile time only)
; SGPRBlocks: 0
; VGPRBlocks: 0
; NumSGPRsForWavesPerEU: 1
; NumVGPRsForWavesPerEU: 1
; Occupancy: 16
; WaveLimiterHint : 0
; COMPUTE_PGM_RSRC2:SCRATCH_EN: 0
; COMPUTE_PGM_RSRC2:USER_SGPR: 15
; COMPUTE_PGM_RSRC2:TRAP_HANDLER: 0
; COMPUTE_PGM_RSRC2:TGID_X_EN: 1
; COMPUTE_PGM_RSRC2:TGID_Y_EN: 0
; COMPUTE_PGM_RSRC2:TGID_Z_EN: 0
; COMPUTE_PGM_RSRC2:TIDIG_COMP_CNT: 0
	.section	.text._ZN7rocprim17ROCPRIM_400000_NS6detail17trampoline_kernelINS0_14default_configENS1_20scan_config_selectorIdEEZZNS1_9scan_implILNS1_25lookback_scan_determinismE0ELb0ELb0ES3_PKdPddZZZN2at6native31launch_logcumsumexp_cuda_kernelERKNSB_10TensorBaseESF_lENKUlvE_clEvENKUlvE_clEvEUlddE_dEEDaPvRmT3_T4_T5_mT6_P12ihipStream_tbENKUlT_T0_E_clISt17integral_constantIbLb1EESW_EEDaSR_SS_EUlSR_E0_NS1_11comp_targetILNS1_3genE2ELNS1_11target_archE906ELNS1_3gpuE6ELNS1_3repE0EEENS1_30default_config_static_selectorELNS0_4arch9wavefront6targetE0EEEvT1_,"axG",@progbits,_ZN7rocprim17ROCPRIM_400000_NS6detail17trampoline_kernelINS0_14default_configENS1_20scan_config_selectorIdEEZZNS1_9scan_implILNS1_25lookback_scan_determinismE0ELb0ELb0ES3_PKdPddZZZN2at6native31launch_logcumsumexp_cuda_kernelERKNSB_10TensorBaseESF_lENKUlvE_clEvENKUlvE_clEvEUlddE_dEEDaPvRmT3_T4_T5_mT6_P12ihipStream_tbENKUlT_T0_E_clISt17integral_constantIbLb1EESW_EEDaSR_SS_EUlSR_E0_NS1_11comp_targetILNS1_3genE2ELNS1_11target_archE906ELNS1_3gpuE6ELNS1_3repE0EEENS1_30default_config_static_selectorELNS0_4arch9wavefront6targetE0EEEvT1_,comdat
	.globl	_ZN7rocprim17ROCPRIM_400000_NS6detail17trampoline_kernelINS0_14default_configENS1_20scan_config_selectorIdEEZZNS1_9scan_implILNS1_25lookback_scan_determinismE0ELb0ELb0ES3_PKdPddZZZN2at6native31launch_logcumsumexp_cuda_kernelERKNSB_10TensorBaseESF_lENKUlvE_clEvENKUlvE_clEvEUlddE_dEEDaPvRmT3_T4_T5_mT6_P12ihipStream_tbENKUlT_T0_E_clISt17integral_constantIbLb1EESW_EEDaSR_SS_EUlSR_E0_NS1_11comp_targetILNS1_3genE2ELNS1_11target_archE906ELNS1_3gpuE6ELNS1_3repE0EEENS1_30default_config_static_selectorELNS0_4arch9wavefront6targetE0EEEvT1_ ; -- Begin function _ZN7rocprim17ROCPRIM_400000_NS6detail17trampoline_kernelINS0_14default_configENS1_20scan_config_selectorIdEEZZNS1_9scan_implILNS1_25lookback_scan_determinismE0ELb0ELb0ES3_PKdPddZZZN2at6native31launch_logcumsumexp_cuda_kernelERKNSB_10TensorBaseESF_lENKUlvE_clEvENKUlvE_clEvEUlddE_dEEDaPvRmT3_T4_T5_mT6_P12ihipStream_tbENKUlT_T0_E_clISt17integral_constantIbLb1EESW_EEDaSR_SS_EUlSR_E0_NS1_11comp_targetILNS1_3genE2ELNS1_11target_archE906ELNS1_3gpuE6ELNS1_3repE0EEENS1_30default_config_static_selectorELNS0_4arch9wavefront6targetE0EEEvT1_
	.p2align	8
	.type	_ZN7rocprim17ROCPRIM_400000_NS6detail17trampoline_kernelINS0_14default_configENS1_20scan_config_selectorIdEEZZNS1_9scan_implILNS1_25lookback_scan_determinismE0ELb0ELb0ES3_PKdPddZZZN2at6native31launch_logcumsumexp_cuda_kernelERKNSB_10TensorBaseESF_lENKUlvE_clEvENKUlvE_clEvEUlddE_dEEDaPvRmT3_T4_T5_mT6_P12ihipStream_tbENKUlT_T0_E_clISt17integral_constantIbLb1EESW_EEDaSR_SS_EUlSR_E0_NS1_11comp_targetILNS1_3genE2ELNS1_11target_archE906ELNS1_3gpuE6ELNS1_3repE0EEENS1_30default_config_static_selectorELNS0_4arch9wavefront6targetE0EEEvT1_,@function
_ZN7rocprim17ROCPRIM_400000_NS6detail17trampoline_kernelINS0_14default_configENS1_20scan_config_selectorIdEEZZNS1_9scan_implILNS1_25lookback_scan_determinismE0ELb0ELb0ES3_PKdPddZZZN2at6native31launch_logcumsumexp_cuda_kernelERKNSB_10TensorBaseESF_lENKUlvE_clEvENKUlvE_clEvEUlddE_dEEDaPvRmT3_T4_T5_mT6_P12ihipStream_tbENKUlT_T0_E_clISt17integral_constantIbLb1EESW_EEDaSR_SS_EUlSR_E0_NS1_11comp_targetILNS1_3genE2ELNS1_11target_archE906ELNS1_3gpuE6ELNS1_3repE0EEENS1_30default_config_static_selectorELNS0_4arch9wavefront6targetE0EEEvT1_: ; @_ZN7rocprim17ROCPRIM_400000_NS6detail17trampoline_kernelINS0_14default_configENS1_20scan_config_selectorIdEEZZNS1_9scan_implILNS1_25lookback_scan_determinismE0ELb0ELb0ES3_PKdPddZZZN2at6native31launch_logcumsumexp_cuda_kernelERKNSB_10TensorBaseESF_lENKUlvE_clEvENKUlvE_clEvEUlddE_dEEDaPvRmT3_T4_T5_mT6_P12ihipStream_tbENKUlT_T0_E_clISt17integral_constantIbLb1EESW_EEDaSR_SS_EUlSR_E0_NS1_11comp_targetILNS1_3genE2ELNS1_11target_archE906ELNS1_3gpuE6ELNS1_3repE0EEENS1_30default_config_static_selectorELNS0_4arch9wavefront6targetE0EEEvT1_
; %bb.0:
	.section	.rodata,"a",@progbits
	.p2align	6, 0x0
	.amdhsa_kernel _ZN7rocprim17ROCPRIM_400000_NS6detail17trampoline_kernelINS0_14default_configENS1_20scan_config_selectorIdEEZZNS1_9scan_implILNS1_25lookback_scan_determinismE0ELb0ELb0ES3_PKdPddZZZN2at6native31launch_logcumsumexp_cuda_kernelERKNSB_10TensorBaseESF_lENKUlvE_clEvENKUlvE_clEvEUlddE_dEEDaPvRmT3_T4_T5_mT6_P12ihipStream_tbENKUlT_T0_E_clISt17integral_constantIbLb1EESW_EEDaSR_SS_EUlSR_E0_NS1_11comp_targetILNS1_3genE2ELNS1_11target_archE906ELNS1_3gpuE6ELNS1_3repE0EEENS1_30default_config_static_selectorELNS0_4arch9wavefront6targetE0EEEvT1_
		.amdhsa_group_segment_fixed_size 0
		.amdhsa_private_segment_fixed_size 0
		.amdhsa_kernarg_size 40
		.amdhsa_user_sgpr_count 15
		.amdhsa_user_sgpr_dispatch_ptr 0
		.amdhsa_user_sgpr_queue_ptr 0
		.amdhsa_user_sgpr_kernarg_segment_ptr 1
		.amdhsa_user_sgpr_dispatch_id 0
		.amdhsa_user_sgpr_private_segment_size 0
		.amdhsa_wavefront_size32 1
		.amdhsa_uses_dynamic_stack 0
		.amdhsa_enable_private_segment 0
		.amdhsa_system_sgpr_workgroup_id_x 1
		.amdhsa_system_sgpr_workgroup_id_y 0
		.amdhsa_system_sgpr_workgroup_id_z 0
		.amdhsa_system_sgpr_workgroup_info 0
		.amdhsa_system_vgpr_workitem_id 0
		.amdhsa_next_free_vgpr 1
		.amdhsa_next_free_sgpr 1
		.amdhsa_reserve_vcc 0
		.amdhsa_float_round_mode_32 0
		.amdhsa_float_round_mode_16_64 0
		.amdhsa_float_denorm_mode_32 3
		.amdhsa_float_denorm_mode_16_64 3
		.amdhsa_dx10_clamp 1
		.amdhsa_ieee_mode 1
		.amdhsa_fp16_overflow 0
		.amdhsa_workgroup_processor_mode 1
		.amdhsa_memory_ordered 1
		.amdhsa_forward_progress 0
		.amdhsa_shared_vgpr_count 0
		.amdhsa_exception_fp_ieee_invalid_op 0
		.amdhsa_exception_fp_denorm_src 0
		.amdhsa_exception_fp_ieee_div_zero 0
		.amdhsa_exception_fp_ieee_overflow 0
		.amdhsa_exception_fp_ieee_underflow 0
		.amdhsa_exception_fp_ieee_inexact 0
		.amdhsa_exception_int_div_zero 0
	.end_amdhsa_kernel
	.section	.text._ZN7rocprim17ROCPRIM_400000_NS6detail17trampoline_kernelINS0_14default_configENS1_20scan_config_selectorIdEEZZNS1_9scan_implILNS1_25lookback_scan_determinismE0ELb0ELb0ES3_PKdPddZZZN2at6native31launch_logcumsumexp_cuda_kernelERKNSB_10TensorBaseESF_lENKUlvE_clEvENKUlvE_clEvEUlddE_dEEDaPvRmT3_T4_T5_mT6_P12ihipStream_tbENKUlT_T0_E_clISt17integral_constantIbLb1EESW_EEDaSR_SS_EUlSR_E0_NS1_11comp_targetILNS1_3genE2ELNS1_11target_archE906ELNS1_3gpuE6ELNS1_3repE0EEENS1_30default_config_static_selectorELNS0_4arch9wavefront6targetE0EEEvT1_,"axG",@progbits,_ZN7rocprim17ROCPRIM_400000_NS6detail17trampoline_kernelINS0_14default_configENS1_20scan_config_selectorIdEEZZNS1_9scan_implILNS1_25lookback_scan_determinismE0ELb0ELb0ES3_PKdPddZZZN2at6native31launch_logcumsumexp_cuda_kernelERKNSB_10TensorBaseESF_lENKUlvE_clEvENKUlvE_clEvEUlddE_dEEDaPvRmT3_T4_T5_mT6_P12ihipStream_tbENKUlT_T0_E_clISt17integral_constantIbLb1EESW_EEDaSR_SS_EUlSR_E0_NS1_11comp_targetILNS1_3genE2ELNS1_11target_archE906ELNS1_3gpuE6ELNS1_3repE0EEENS1_30default_config_static_selectorELNS0_4arch9wavefront6targetE0EEEvT1_,comdat
.Lfunc_end43:
	.size	_ZN7rocprim17ROCPRIM_400000_NS6detail17trampoline_kernelINS0_14default_configENS1_20scan_config_selectorIdEEZZNS1_9scan_implILNS1_25lookback_scan_determinismE0ELb0ELb0ES3_PKdPddZZZN2at6native31launch_logcumsumexp_cuda_kernelERKNSB_10TensorBaseESF_lENKUlvE_clEvENKUlvE_clEvEUlddE_dEEDaPvRmT3_T4_T5_mT6_P12ihipStream_tbENKUlT_T0_E_clISt17integral_constantIbLb1EESW_EEDaSR_SS_EUlSR_E0_NS1_11comp_targetILNS1_3genE2ELNS1_11target_archE906ELNS1_3gpuE6ELNS1_3repE0EEENS1_30default_config_static_selectorELNS0_4arch9wavefront6targetE0EEEvT1_, .Lfunc_end43-_ZN7rocprim17ROCPRIM_400000_NS6detail17trampoline_kernelINS0_14default_configENS1_20scan_config_selectorIdEEZZNS1_9scan_implILNS1_25lookback_scan_determinismE0ELb0ELb0ES3_PKdPddZZZN2at6native31launch_logcumsumexp_cuda_kernelERKNSB_10TensorBaseESF_lENKUlvE_clEvENKUlvE_clEvEUlddE_dEEDaPvRmT3_T4_T5_mT6_P12ihipStream_tbENKUlT_T0_E_clISt17integral_constantIbLb1EESW_EEDaSR_SS_EUlSR_E0_NS1_11comp_targetILNS1_3genE2ELNS1_11target_archE906ELNS1_3gpuE6ELNS1_3repE0EEENS1_30default_config_static_selectorELNS0_4arch9wavefront6targetE0EEEvT1_
                                        ; -- End function
	.section	.AMDGPU.csdata,"",@progbits
; Kernel info:
; codeLenInByte = 0
; NumSgprs: 0
; NumVgprs: 0
; ScratchSize: 0
; MemoryBound: 0
; FloatMode: 240
; IeeeMode: 1
; LDSByteSize: 0 bytes/workgroup (compile time only)
; SGPRBlocks: 0
; VGPRBlocks: 0
; NumSGPRsForWavesPerEU: 1
; NumVGPRsForWavesPerEU: 1
; Occupancy: 16
; WaveLimiterHint : 0
; COMPUTE_PGM_RSRC2:SCRATCH_EN: 0
; COMPUTE_PGM_RSRC2:USER_SGPR: 15
; COMPUTE_PGM_RSRC2:TRAP_HANDLER: 0
; COMPUTE_PGM_RSRC2:TGID_X_EN: 1
; COMPUTE_PGM_RSRC2:TGID_Y_EN: 0
; COMPUTE_PGM_RSRC2:TGID_Z_EN: 0
; COMPUTE_PGM_RSRC2:TIDIG_COMP_CNT: 0
	.section	.text._ZN7rocprim17ROCPRIM_400000_NS6detail17trampoline_kernelINS0_14default_configENS1_20scan_config_selectorIdEEZZNS1_9scan_implILNS1_25lookback_scan_determinismE0ELb0ELb0ES3_PKdPddZZZN2at6native31launch_logcumsumexp_cuda_kernelERKNSB_10TensorBaseESF_lENKUlvE_clEvENKUlvE_clEvEUlddE_dEEDaPvRmT3_T4_T5_mT6_P12ihipStream_tbENKUlT_T0_E_clISt17integral_constantIbLb1EESW_EEDaSR_SS_EUlSR_E0_NS1_11comp_targetILNS1_3genE10ELNS1_11target_archE1201ELNS1_3gpuE5ELNS1_3repE0EEENS1_30default_config_static_selectorELNS0_4arch9wavefront6targetE0EEEvT1_,"axG",@progbits,_ZN7rocprim17ROCPRIM_400000_NS6detail17trampoline_kernelINS0_14default_configENS1_20scan_config_selectorIdEEZZNS1_9scan_implILNS1_25lookback_scan_determinismE0ELb0ELb0ES3_PKdPddZZZN2at6native31launch_logcumsumexp_cuda_kernelERKNSB_10TensorBaseESF_lENKUlvE_clEvENKUlvE_clEvEUlddE_dEEDaPvRmT3_T4_T5_mT6_P12ihipStream_tbENKUlT_T0_E_clISt17integral_constantIbLb1EESW_EEDaSR_SS_EUlSR_E0_NS1_11comp_targetILNS1_3genE10ELNS1_11target_archE1201ELNS1_3gpuE5ELNS1_3repE0EEENS1_30default_config_static_selectorELNS0_4arch9wavefront6targetE0EEEvT1_,comdat
	.globl	_ZN7rocprim17ROCPRIM_400000_NS6detail17trampoline_kernelINS0_14default_configENS1_20scan_config_selectorIdEEZZNS1_9scan_implILNS1_25lookback_scan_determinismE0ELb0ELb0ES3_PKdPddZZZN2at6native31launch_logcumsumexp_cuda_kernelERKNSB_10TensorBaseESF_lENKUlvE_clEvENKUlvE_clEvEUlddE_dEEDaPvRmT3_T4_T5_mT6_P12ihipStream_tbENKUlT_T0_E_clISt17integral_constantIbLb1EESW_EEDaSR_SS_EUlSR_E0_NS1_11comp_targetILNS1_3genE10ELNS1_11target_archE1201ELNS1_3gpuE5ELNS1_3repE0EEENS1_30default_config_static_selectorELNS0_4arch9wavefront6targetE0EEEvT1_ ; -- Begin function _ZN7rocprim17ROCPRIM_400000_NS6detail17trampoline_kernelINS0_14default_configENS1_20scan_config_selectorIdEEZZNS1_9scan_implILNS1_25lookback_scan_determinismE0ELb0ELb0ES3_PKdPddZZZN2at6native31launch_logcumsumexp_cuda_kernelERKNSB_10TensorBaseESF_lENKUlvE_clEvENKUlvE_clEvEUlddE_dEEDaPvRmT3_T4_T5_mT6_P12ihipStream_tbENKUlT_T0_E_clISt17integral_constantIbLb1EESW_EEDaSR_SS_EUlSR_E0_NS1_11comp_targetILNS1_3genE10ELNS1_11target_archE1201ELNS1_3gpuE5ELNS1_3repE0EEENS1_30default_config_static_selectorELNS0_4arch9wavefront6targetE0EEEvT1_
	.p2align	8
	.type	_ZN7rocprim17ROCPRIM_400000_NS6detail17trampoline_kernelINS0_14default_configENS1_20scan_config_selectorIdEEZZNS1_9scan_implILNS1_25lookback_scan_determinismE0ELb0ELb0ES3_PKdPddZZZN2at6native31launch_logcumsumexp_cuda_kernelERKNSB_10TensorBaseESF_lENKUlvE_clEvENKUlvE_clEvEUlddE_dEEDaPvRmT3_T4_T5_mT6_P12ihipStream_tbENKUlT_T0_E_clISt17integral_constantIbLb1EESW_EEDaSR_SS_EUlSR_E0_NS1_11comp_targetILNS1_3genE10ELNS1_11target_archE1201ELNS1_3gpuE5ELNS1_3repE0EEENS1_30default_config_static_selectorELNS0_4arch9wavefront6targetE0EEEvT1_,@function
_ZN7rocprim17ROCPRIM_400000_NS6detail17trampoline_kernelINS0_14default_configENS1_20scan_config_selectorIdEEZZNS1_9scan_implILNS1_25lookback_scan_determinismE0ELb0ELb0ES3_PKdPddZZZN2at6native31launch_logcumsumexp_cuda_kernelERKNSB_10TensorBaseESF_lENKUlvE_clEvENKUlvE_clEvEUlddE_dEEDaPvRmT3_T4_T5_mT6_P12ihipStream_tbENKUlT_T0_E_clISt17integral_constantIbLb1EESW_EEDaSR_SS_EUlSR_E0_NS1_11comp_targetILNS1_3genE10ELNS1_11target_archE1201ELNS1_3gpuE5ELNS1_3repE0EEENS1_30default_config_static_selectorELNS0_4arch9wavefront6targetE0EEEvT1_: ; @_ZN7rocprim17ROCPRIM_400000_NS6detail17trampoline_kernelINS0_14default_configENS1_20scan_config_selectorIdEEZZNS1_9scan_implILNS1_25lookback_scan_determinismE0ELb0ELb0ES3_PKdPddZZZN2at6native31launch_logcumsumexp_cuda_kernelERKNSB_10TensorBaseESF_lENKUlvE_clEvENKUlvE_clEvEUlddE_dEEDaPvRmT3_T4_T5_mT6_P12ihipStream_tbENKUlT_T0_E_clISt17integral_constantIbLb1EESW_EEDaSR_SS_EUlSR_E0_NS1_11comp_targetILNS1_3genE10ELNS1_11target_archE1201ELNS1_3gpuE5ELNS1_3repE0EEENS1_30default_config_static_selectorELNS0_4arch9wavefront6targetE0EEEvT1_
; %bb.0:
	.section	.rodata,"a",@progbits
	.p2align	6, 0x0
	.amdhsa_kernel _ZN7rocprim17ROCPRIM_400000_NS6detail17trampoline_kernelINS0_14default_configENS1_20scan_config_selectorIdEEZZNS1_9scan_implILNS1_25lookback_scan_determinismE0ELb0ELb0ES3_PKdPddZZZN2at6native31launch_logcumsumexp_cuda_kernelERKNSB_10TensorBaseESF_lENKUlvE_clEvENKUlvE_clEvEUlddE_dEEDaPvRmT3_T4_T5_mT6_P12ihipStream_tbENKUlT_T0_E_clISt17integral_constantIbLb1EESW_EEDaSR_SS_EUlSR_E0_NS1_11comp_targetILNS1_3genE10ELNS1_11target_archE1201ELNS1_3gpuE5ELNS1_3repE0EEENS1_30default_config_static_selectorELNS0_4arch9wavefront6targetE0EEEvT1_
		.amdhsa_group_segment_fixed_size 0
		.amdhsa_private_segment_fixed_size 0
		.amdhsa_kernarg_size 40
		.amdhsa_user_sgpr_count 15
		.amdhsa_user_sgpr_dispatch_ptr 0
		.amdhsa_user_sgpr_queue_ptr 0
		.amdhsa_user_sgpr_kernarg_segment_ptr 1
		.amdhsa_user_sgpr_dispatch_id 0
		.amdhsa_user_sgpr_private_segment_size 0
		.amdhsa_wavefront_size32 1
		.amdhsa_uses_dynamic_stack 0
		.amdhsa_enable_private_segment 0
		.amdhsa_system_sgpr_workgroup_id_x 1
		.amdhsa_system_sgpr_workgroup_id_y 0
		.amdhsa_system_sgpr_workgroup_id_z 0
		.amdhsa_system_sgpr_workgroup_info 0
		.amdhsa_system_vgpr_workitem_id 0
		.amdhsa_next_free_vgpr 1
		.amdhsa_next_free_sgpr 1
		.amdhsa_reserve_vcc 0
		.amdhsa_float_round_mode_32 0
		.amdhsa_float_round_mode_16_64 0
		.amdhsa_float_denorm_mode_32 3
		.amdhsa_float_denorm_mode_16_64 3
		.amdhsa_dx10_clamp 1
		.amdhsa_ieee_mode 1
		.amdhsa_fp16_overflow 0
		.amdhsa_workgroup_processor_mode 1
		.amdhsa_memory_ordered 1
		.amdhsa_forward_progress 0
		.amdhsa_shared_vgpr_count 0
		.amdhsa_exception_fp_ieee_invalid_op 0
		.amdhsa_exception_fp_denorm_src 0
		.amdhsa_exception_fp_ieee_div_zero 0
		.amdhsa_exception_fp_ieee_overflow 0
		.amdhsa_exception_fp_ieee_underflow 0
		.amdhsa_exception_fp_ieee_inexact 0
		.amdhsa_exception_int_div_zero 0
	.end_amdhsa_kernel
	.section	.text._ZN7rocprim17ROCPRIM_400000_NS6detail17trampoline_kernelINS0_14default_configENS1_20scan_config_selectorIdEEZZNS1_9scan_implILNS1_25lookback_scan_determinismE0ELb0ELb0ES3_PKdPddZZZN2at6native31launch_logcumsumexp_cuda_kernelERKNSB_10TensorBaseESF_lENKUlvE_clEvENKUlvE_clEvEUlddE_dEEDaPvRmT3_T4_T5_mT6_P12ihipStream_tbENKUlT_T0_E_clISt17integral_constantIbLb1EESW_EEDaSR_SS_EUlSR_E0_NS1_11comp_targetILNS1_3genE10ELNS1_11target_archE1201ELNS1_3gpuE5ELNS1_3repE0EEENS1_30default_config_static_selectorELNS0_4arch9wavefront6targetE0EEEvT1_,"axG",@progbits,_ZN7rocprim17ROCPRIM_400000_NS6detail17trampoline_kernelINS0_14default_configENS1_20scan_config_selectorIdEEZZNS1_9scan_implILNS1_25lookback_scan_determinismE0ELb0ELb0ES3_PKdPddZZZN2at6native31launch_logcumsumexp_cuda_kernelERKNSB_10TensorBaseESF_lENKUlvE_clEvENKUlvE_clEvEUlddE_dEEDaPvRmT3_T4_T5_mT6_P12ihipStream_tbENKUlT_T0_E_clISt17integral_constantIbLb1EESW_EEDaSR_SS_EUlSR_E0_NS1_11comp_targetILNS1_3genE10ELNS1_11target_archE1201ELNS1_3gpuE5ELNS1_3repE0EEENS1_30default_config_static_selectorELNS0_4arch9wavefront6targetE0EEEvT1_,comdat
.Lfunc_end44:
	.size	_ZN7rocprim17ROCPRIM_400000_NS6detail17trampoline_kernelINS0_14default_configENS1_20scan_config_selectorIdEEZZNS1_9scan_implILNS1_25lookback_scan_determinismE0ELb0ELb0ES3_PKdPddZZZN2at6native31launch_logcumsumexp_cuda_kernelERKNSB_10TensorBaseESF_lENKUlvE_clEvENKUlvE_clEvEUlddE_dEEDaPvRmT3_T4_T5_mT6_P12ihipStream_tbENKUlT_T0_E_clISt17integral_constantIbLb1EESW_EEDaSR_SS_EUlSR_E0_NS1_11comp_targetILNS1_3genE10ELNS1_11target_archE1201ELNS1_3gpuE5ELNS1_3repE0EEENS1_30default_config_static_selectorELNS0_4arch9wavefront6targetE0EEEvT1_, .Lfunc_end44-_ZN7rocprim17ROCPRIM_400000_NS6detail17trampoline_kernelINS0_14default_configENS1_20scan_config_selectorIdEEZZNS1_9scan_implILNS1_25lookback_scan_determinismE0ELb0ELb0ES3_PKdPddZZZN2at6native31launch_logcumsumexp_cuda_kernelERKNSB_10TensorBaseESF_lENKUlvE_clEvENKUlvE_clEvEUlddE_dEEDaPvRmT3_T4_T5_mT6_P12ihipStream_tbENKUlT_T0_E_clISt17integral_constantIbLb1EESW_EEDaSR_SS_EUlSR_E0_NS1_11comp_targetILNS1_3genE10ELNS1_11target_archE1201ELNS1_3gpuE5ELNS1_3repE0EEENS1_30default_config_static_selectorELNS0_4arch9wavefront6targetE0EEEvT1_
                                        ; -- End function
	.section	.AMDGPU.csdata,"",@progbits
; Kernel info:
; codeLenInByte = 0
; NumSgprs: 0
; NumVgprs: 0
; ScratchSize: 0
; MemoryBound: 0
; FloatMode: 240
; IeeeMode: 1
; LDSByteSize: 0 bytes/workgroup (compile time only)
; SGPRBlocks: 0
; VGPRBlocks: 0
; NumSGPRsForWavesPerEU: 1
; NumVGPRsForWavesPerEU: 1
; Occupancy: 16
; WaveLimiterHint : 0
; COMPUTE_PGM_RSRC2:SCRATCH_EN: 0
; COMPUTE_PGM_RSRC2:USER_SGPR: 15
; COMPUTE_PGM_RSRC2:TRAP_HANDLER: 0
; COMPUTE_PGM_RSRC2:TGID_X_EN: 1
; COMPUTE_PGM_RSRC2:TGID_Y_EN: 0
; COMPUTE_PGM_RSRC2:TGID_Z_EN: 0
; COMPUTE_PGM_RSRC2:TIDIG_COMP_CNT: 0
	.section	.text._ZN7rocprim17ROCPRIM_400000_NS6detail17trampoline_kernelINS0_14default_configENS1_20scan_config_selectorIdEEZZNS1_9scan_implILNS1_25lookback_scan_determinismE0ELb0ELb0ES3_PKdPddZZZN2at6native31launch_logcumsumexp_cuda_kernelERKNSB_10TensorBaseESF_lENKUlvE_clEvENKUlvE_clEvEUlddE_dEEDaPvRmT3_T4_T5_mT6_P12ihipStream_tbENKUlT_T0_E_clISt17integral_constantIbLb1EESW_EEDaSR_SS_EUlSR_E0_NS1_11comp_targetILNS1_3genE10ELNS1_11target_archE1200ELNS1_3gpuE4ELNS1_3repE0EEENS1_30default_config_static_selectorELNS0_4arch9wavefront6targetE0EEEvT1_,"axG",@progbits,_ZN7rocprim17ROCPRIM_400000_NS6detail17trampoline_kernelINS0_14default_configENS1_20scan_config_selectorIdEEZZNS1_9scan_implILNS1_25lookback_scan_determinismE0ELb0ELb0ES3_PKdPddZZZN2at6native31launch_logcumsumexp_cuda_kernelERKNSB_10TensorBaseESF_lENKUlvE_clEvENKUlvE_clEvEUlddE_dEEDaPvRmT3_T4_T5_mT6_P12ihipStream_tbENKUlT_T0_E_clISt17integral_constantIbLb1EESW_EEDaSR_SS_EUlSR_E0_NS1_11comp_targetILNS1_3genE10ELNS1_11target_archE1200ELNS1_3gpuE4ELNS1_3repE0EEENS1_30default_config_static_selectorELNS0_4arch9wavefront6targetE0EEEvT1_,comdat
	.globl	_ZN7rocprim17ROCPRIM_400000_NS6detail17trampoline_kernelINS0_14default_configENS1_20scan_config_selectorIdEEZZNS1_9scan_implILNS1_25lookback_scan_determinismE0ELb0ELb0ES3_PKdPddZZZN2at6native31launch_logcumsumexp_cuda_kernelERKNSB_10TensorBaseESF_lENKUlvE_clEvENKUlvE_clEvEUlddE_dEEDaPvRmT3_T4_T5_mT6_P12ihipStream_tbENKUlT_T0_E_clISt17integral_constantIbLb1EESW_EEDaSR_SS_EUlSR_E0_NS1_11comp_targetILNS1_3genE10ELNS1_11target_archE1200ELNS1_3gpuE4ELNS1_3repE0EEENS1_30default_config_static_selectorELNS0_4arch9wavefront6targetE0EEEvT1_ ; -- Begin function _ZN7rocprim17ROCPRIM_400000_NS6detail17trampoline_kernelINS0_14default_configENS1_20scan_config_selectorIdEEZZNS1_9scan_implILNS1_25lookback_scan_determinismE0ELb0ELb0ES3_PKdPddZZZN2at6native31launch_logcumsumexp_cuda_kernelERKNSB_10TensorBaseESF_lENKUlvE_clEvENKUlvE_clEvEUlddE_dEEDaPvRmT3_T4_T5_mT6_P12ihipStream_tbENKUlT_T0_E_clISt17integral_constantIbLb1EESW_EEDaSR_SS_EUlSR_E0_NS1_11comp_targetILNS1_3genE10ELNS1_11target_archE1200ELNS1_3gpuE4ELNS1_3repE0EEENS1_30default_config_static_selectorELNS0_4arch9wavefront6targetE0EEEvT1_
	.p2align	8
	.type	_ZN7rocprim17ROCPRIM_400000_NS6detail17trampoline_kernelINS0_14default_configENS1_20scan_config_selectorIdEEZZNS1_9scan_implILNS1_25lookback_scan_determinismE0ELb0ELb0ES3_PKdPddZZZN2at6native31launch_logcumsumexp_cuda_kernelERKNSB_10TensorBaseESF_lENKUlvE_clEvENKUlvE_clEvEUlddE_dEEDaPvRmT3_T4_T5_mT6_P12ihipStream_tbENKUlT_T0_E_clISt17integral_constantIbLb1EESW_EEDaSR_SS_EUlSR_E0_NS1_11comp_targetILNS1_3genE10ELNS1_11target_archE1200ELNS1_3gpuE4ELNS1_3repE0EEENS1_30default_config_static_selectorELNS0_4arch9wavefront6targetE0EEEvT1_,@function
_ZN7rocprim17ROCPRIM_400000_NS6detail17trampoline_kernelINS0_14default_configENS1_20scan_config_selectorIdEEZZNS1_9scan_implILNS1_25lookback_scan_determinismE0ELb0ELb0ES3_PKdPddZZZN2at6native31launch_logcumsumexp_cuda_kernelERKNSB_10TensorBaseESF_lENKUlvE_clEvENKUlvE_clEvEUlddE_dEEDaPvRmT3_T4_T5_mT6_P12ihipStream_tbENKUlT_T0_E_clISt17integral_constantIbLb1EESW_EEDaSR_SS_EUlSR_E0_NS1_11comp_targetILNS1_3genE10ELNS1_11target_archE1200ELNS1_3gpuE4ELNS1_3repE0EEENS1_30default_config_static_selectorELNS0_4arch9wavefront6targetE0EEEvT1_: ; @_ZN7rocprim17ROCPRIM_400000_NS6detail17trampoline_kernelINS0_14default_configENS1_20scan_config_selectorIdEEZZNS1_9scan_implILNS1_25lookback_scan_determinismE0ELb0ELb0ES3_PKdPddZZZN2at6native31launch_logcumsumexp_cuda_kernelERKNSB_10TensorBaseESF_lENKUlvE_clEvENKUlvE_clEvEUlddE_dEEDaPvRmT3_T4_T5_mT6_P12ihipStream_tbENKUlT_T0_E_clISt17integral_constantIbLb1EESW_EEDaSR_SS_EUlSR_E0_NS1_11comp_targetILNS1_3genE10ELNS1_11target_archE1200ELNS1_3gpuE4ELNS1_3repE0EEENS1_30default_config_static_selectorELNS0_4arch9wavefront6targetE0EEEvT1_
; %bb.0:
	.section	.rodata,"a",@progbits
	.p2align	6, 0x0
	.amdhsa_kernel _ZN7rocprim17ROCPRIM_400000_NS6detail17trampoline_kernelINS0_14default_configENS1_20scan_config_selectorIdEEZZNS1_9scan_implILNS1_25lookback_scan_determinismE0ELb0ELb0ES3_PKdPddZZZN2at6native31launch_logcumsumexp_cuda_kernelERKNSB_10TensorBaseESF_lENKUlvE_clEvENKUlvE_clEvEUlddE_dEEDaPvRmT3_T4_T5_mT6_P12ihipStream_tbENKUlT_T0_E_clISt17integral_constantIbLb1EESW_EEDaSR_SS_EUlSR_E0_NS1_11comp_targetILNS1_3genE10ELNS1_11target_archE1200ELNS1_3gpuE4ELNS1_3repE0EEENS1_30default_config_static_selectorELNS0_4arch9wavefront6targetE0EEEvT1_
		.amdhsa_group_segment_fixed_size 0
		.amdhsa_private_segment_fixed_size 0
		.amdhsa_kernarg_size 40
		.amdhsa_user_sgpr_count 15
		.amdhsa_user_sgpr_dispatch_ptr 0
		.amdhsa_user_sgpr_queue_ptr 0
		.amdhsa_user_sgpr_kernarg_segment_ptr 1
		.amdhsa_user_sgpr_dispatch_id 0
		.amdhsa_user_sgpr_private_segment_size 0
		.amdhsa_wavefront_size32 1
		.amdhsa_uses_dynamic_stack 0
		.amdhsa_enable_private_segment 0
		.amdhsa_system_sgpr_workgroup_id_x 1
		.amdhsa_system_sgpr_workgroup_id_y 0
		.amdhsa_system_sgpr_workgroup_id_z 0
		.amdhsa_system_sgpr_workgroup_info 0
		.amdhsa_system_vgpr_workitem_id 0
		.amdhsa_next_free_vgpr 1
		.amdhsa_next_free_sgpr 1
		.amdhsa_reserve_vcc 0
		.amdhsa_float_round_mode_32 0
		.amdhsa_float_round_mode_16_64 0
		.amdhsa_float_denorm_mode_32 3
		.amdhsa_float_denorm_mode_16_64 3
		.amdhsa_dx10_clamp 1
		.amdhsa_ieee_mode 1
		.amdhsa_fp16_overflow 0
		.amdhsa_workgroup_processor_mode 1
		.amdhsa_memory_ordered 1
		.amdhsa_forward_progress 0
		.amdhsa_shared_vgpr_count 0
		.amdhsa_exception_fp_ieee_invalid_op 0
		.amdhsa_exception_fp_denorm_src 0
		.amdhsa_exception_fp_ieee_div_zero 0
		.amdhsa_exception_fp_ieee_overflow 0
		.amdhsa_exception_fp_ieee_underflow 0
		.amdhsa_exception_fp_ieee_inexact 0
		.amdhsa_exception_int_div_zero 0
	.end_amdhsa_kernel
	.section	.text._ZN7rocprim17ROCPRIM_400000_NS6detail17trampoline_kernelINS0_14default_configENS1_20scan_config_selectorIdEEZZNS1_9scan_implILNS1_25lookback_scan_determinismE0ELb0ELb0ES3_PKdPddZZZN2at6native31launch_logcumsumexp_cuda_kernelERKNSB_10TensorBaseESF_lENKUlvE_clEvENKUlvE_clEvEUlddE_dEEDaPvRmT3_T4_T5_mT6_P12ihipStream_tbENKUlT_T0_E_clISt17integral_constantIbLb1EESW_EEDaSR_SS_EUlSR_E0_NS1_11comp_targetILNS1_3genE10ELNS1_11target_archE1200ELNS1_3gpuE4ELNS1_3repE0EEENS1_30default_config_static_selectorELNS0_4arch9wavefront6targetE0EEEvT1_,"axG",@progbits,_ZN7rocprim17ROCPRIM_400000_NS6detail17trampoline_kernelINS0_14default_configENS1_20scan_config_selectorIdEEZZNS1_9scan_implILNS1_25lookback_scan_determinismE0ELb0ELb0ES3_PKdPddZZZN2at6native31launch_logcumsumexp_cuda_kernelERKNSB_10TensorBaseESF_lENKUlvE_clEvENKUlvE_clEvEUlddE_dEEDaPvRmT3_T4_T5_mT6_P12ihipStream_tbENKUlT_T0_E_clISt17integral_constantIbLb1EESW_EEDaSR_SS_EUlSR_E0_NS1_11comp_targetILNS1_3genE10ELNS1_11target_archE1200ELNS1_3gpuE4ELNS1_3repE0EEENS1_30default_config_static_selectorELNS0_4arch9wavefront6targetE0EEEvT1_,comdat
.Lfunc_end45:
	.size	_ZN7rocprim17ROCPRIM_400000_NS6detail17trampoline_kernelINS0_14default_configENS1_20scan_config_selectorIdEEZZNS1_9scan_implILNS1_25lookback_scan_determinismE0ELb0ELb0ES3_PKdPddZZZN2at6native31launch_logcumsumexp_cuda_kernelERKNSB_10TensorBaseESF_lENKUlvE_clEvENKUlvE_clEvEUlddE_dEEDaPvRmT3_T4_T5_mT6_P12ihipStream_tbENKUlT_T0_E_clISt17integral_constantIbLb1EESW_EEDaSR_SS_EUlSR_E0_NS1_11comp_targetILNS1_3genE10ELNS1_11target_archE1200ELNS1_3gpuE4ELNS1_3repE0EEENS1_30default_config_static_selectorELNS0_4arch9wavefront6targetE0EEEvT1_, .Lfunc_end45-_ZN7rocprim17ROCPRIM_400000_NS6detail17trampoline_kernelINS0_14default_configENS1_20scan_config_selectorIdEEZZNS1_9scan_implILNS1_25lookback_scan_determinismE0ELb0ELb0ES3_PKdPddZZZN2at6native31launch_logcumsumexp_cuda_kernelERKNSB_10TensorBaseESF_lENKUlvE_clEvENKUlvE_clEvEUlddE_dEEDaPvRmT3_T4_T5_mT6_P12ihipStream_tbENKUlT_T0_E_clISt17integral_constantIbLb1EESW_EEDaSR_SS_EUlSR_E0_NS1_11comp_targetILNS1_3genE10ELNS1_11target_archE1200ELNS1_3gpuE4ELNS1_3repE0EEENS1_30default_config_static_selectorELNS0_4arch9wavefront6targetE0EEEvT1_
                                        ; -- End function
	.section	.AMDGPU.csdata,"",@progbits
; Kernel info:
; codeLenInByte = 0
; NumSgprs: 0
; NumVgprs: 0
; ScratchSize: 0
; MemoryBound: 0
; FloatMode: 240
; IeeeMode: 1
; LDSByteSize: 0 bytes/workgroup (compile time only)
; SGPRBlocks: 0
; VGPRBlocks: 0
; NumSGPRsForWavesPerEU: 1
; NumVGPRsForWavesPerEU: 1
; Occupancy: 16
; WaveLimiterHint : 0
; COMPUTE_PGM_RSRC2:SCRATCH_EN: 0
; COMPUTE_PGM_RSRC2:USER_SGPR: 15
; COMPUTE_PGM_RSRC2:TRAP_HANDLER: 0
; COMPUTE_PGM_RSRC2:TGID_X_EN: 1
; COMPUTE_PGM_RSRC2:TGID_Y_EN: 0
; COMPUTE_PGM_RSRC2:TGID_Z_EN: 0
; COMPUTE_PGM_RSRC2:TIDIG_COMP_CNT: 0
	.section	.text._ZN7rocprim17ROCPRIM_400000_NS6detail17trampoline_kernelINS0_14default_configENS1_20scan_config_selectorIdEEZZNS1_9scan_implILNS1_25lookback_scan_determinismE0ELb0ELb0ES3_PKdPddZZZN2at6native31launch_logcumsumexp_cuda_kernelERKNSB_10TensorBaseESF_lENKUlvE_clEvENKUlvE_clEvEUlddE_dEEDaPvRmT3_T4_T5_mT6_P12ihipStream_tbENKUlT_T0_E_clISt17integral_constantIbLb1EESW_EEDaSR_SS_EUlSR_E0_NS1_11comp_targetILNS1_3genE9ELNS1_11target_archE1100ELNS1_3gpuE3ELNS1_3repE0EEENS1_30default_config_static_selectorELNS0_4arch9wavefront6targetE0EEEvT1_,"axG",@progbits,_ZN7rocprim17ROCPRIM_400000_NS6detail17trampoline_kernelINS0_14default_configENS1_20scan_config_selectorIdEEZZNS1_9scan_implILNS1_25lookback_scan_determinismE0ELb0ELb0ES3_PKdPddZZZN2at6native31launch_logcumsumexp_cuda_kernelERKNSB_10TensorBaseESF_lENKUlvE_clEvENKUlvE_clEvEUlddE_dEEDaPvRmT3_T4_T5_mT6_P12ihipStream_tbENKUlT_T0_E_clISt17integral_constantIbLb1EESW_EEDaSR_SS_EUlSR_E0_NS1_11comp_targetILNS1_3genE9ELNS1_11target_archE1100ELNS1_3gpuE3ELNS1_3repE0EEENS1_30default_config_static_selectorELNS0_4arch9wavefront6targetE0EEEvT1_,comdat
	.globl	_ZN7rocprim17ROCPRIM_400000_NS6detail17trampoline_kernelINS0_14default_configENS1_20scan_config_selectorIdEEZZNS1_9scan_implILNS1_25lookback_scan_determinismE0ELb0ELb0ES3_PKdPddZZZN2at6native31launch_logcumsumexp_cuda_kernelERKNSB_10TensorBaseESF_lENKUlvE_clEvENKUlvE_clEvEUlddE_dEEDaPvRmT3_T4_T5_mT6_P12ihipStream_tbENKUlT_T0_E_clISt17integral_constantIbLb1EESW_EEDaSR_SS_EUlSR_E0_NS1_11comp_targetILNS1_3genE9ELNS1_11target_archE1100ELNS1_3gpuE3ELNS1_3repE0EEENS1_30default_config_static_selectorELNS0_4arch9wavefront6targetE0EEEvT1_ ; -- Begin function _ZN7rocprim17ROCPRIM_400000_NS6detail17trampoline_kernelINS0_14default_configENS1_20scan_config_selectorIdEEZZNS1_9scan_implILNS1_25lookback_scan_determinismE0ELb0ELb0ES3_PKdPddZZZN2at6native31launch_logcumsumexp_cuda_kernelERKNSB_10TensorBaseESF_lENKUlvE_clEvENKUlvE_clEvEUlddE_dEEDaPvRmT3_T4_T5_mT6_P12ihipStream_tbENKUlT_T0_E_clISt17integral_constantIbLb1EESW_EEDaSR_SS_EUlSR_E0_NS1_11comp_targetILNS1_3genE9ELNS1_11target_archE1100ELNS1_3gpuE3ELNS1_3repE0EEENS1_30default_config_static_selectorELNS0_4arch9wavefront6targetE0EEEvT1_
	.p2align	8
	.type	_ZN7rocprim17ROCPRIM_400000_NS6detail17trampoline_kernelINS0_14default_configENS1_20scan_config_selectorIdEEZZNS1_9scan_implILNS1_25lookback_scan_determinismE0ELb0ELb0ES3_PKdPddZZZN2at6native31launch_logcumsumexp_cuda_kernelERKNSB_10TensorBaseESF_lENKUlvE_clEvENKUlvE_clEvEUlddE_dEEDaPvRmT3_T4_T5_mT6_P12ihipStream_tbENKUlT_T0_E_clISt17integral_constantIbLb1EESW_EEDaSR_SS_EUlSR_E0_NS1_11comp_targetILNS1_3genE9ELNS1_11target_archE1100ELNS1_3gpuE3ELNS1_3repE0EEENS1_30default_config_static_selectorELNS0_4arch9wavefront6targetE0EEEvT1_,@function
_ZN7rocprim17ROCPRIM_400000_NS6detail17trampoline_kernelINS0_14default_configENS1_20scan_config_selectorIdEEZZNS1_9scan_implILNS1_25lookback_scan_determinismE0ELb0ELb0ES3_PKdPddZZZN2at6native31launch_logcumsumexp_cuda_kernelERKNSB_10TensorBaseESF_lENKUlvE_clEvENKUlvE_clEvEUlddE_dEEDaPvRmT3_T4_T5_mT6_P12ihipStream_tbENKUlT_T0_E_clISt17integral_constantIbLb1EESW_EEDaSR_SS_EUlSR_E0_NS1_11comp_targetILNS1_3genE9ELNS1_11target_archE1100ELNS1_3gpuE3ELNS1_3repE0EEENS1_30default_config_static_selectorELNS0_4arch9wavefront6targetE0EEEvT1_: ; @_ZN7rocprim17ROCPRIM_400000_NS6detail17trampoline_kernelINS0_14default_configENS1_20scan_config_selectorIdEEZZNS1_9scan_implILNS1_25lookback_scan_determinismE0ELb0ELb0ES3_PKdPddZZZN2at6native31launch_logcumsumexp_cuda_kernelERKNSB_10TensorBaseESF_lENKUlvE_clEvENKUlvE_clEvEUlddE_dEEDaPvRmT3_T4_T5_mT6_P12ihipStream_tbENKUlT_T0_E_clISt17integral_constantIbLb1EESW_EEDaSR_SS_EUlSR_E0_NS1_11comp_targetILNS1_3genE9ELNS1_11target_archE1100ELNS1_3gpuE3ELNS1_3repE0EEENS1_30default_config_static_selectorELNS0_4arch9wavefront6targetE0EEEvT1_
; %bb.0:
	s_load_b128 s[20:23], s[0:1], 0x0
	v_lshlrev_b32_e32 v77, 3, v0
	s_waitcnt lgkmcnt(0)
	s_load_b64 s[18:19], s[20:21], 0x0
	v_cmp_gt_u32_e32 vcc_lo, s22, v0
	s_waitcnt lgkmcnt(0)
	v_dual_mov_b32 v1, s18 :: v_dual_mov_b32 v2, s19
	s_and_saveexec_b32 s2, vcc_lo
	s_cbranch_execz .LBB46_2
; %bb.1:
	global_load_b64 v[1:2], v77, s[20:21]
.LBB46_2:
	s_or_b32 exec_lo, exec_lo, s2
	v_or_b32_e32 v33, 0x100, v0
	v_dual_mov_b32 v3, s18 :: v_dual_mov_b32 v4, s19
	s_delay_alu instid0(VALU_DEP_2) | instskip(NEXT) | instid1(VALU_DEP_1)
	v_cmp_gt_u32_e64 s2, s22, v33
	s_and_saveexec_b32 s3, s2
	s_cbranch_execz .LBB46_4
; %bb.3:
	global_load_b64 v[3:4], v77, s[20:21] offset:2048
.LBB46_4:
	s_or_b32 exec_lo, exec_lo, s3
	v_or_b32_e32 v34, 0x200, v0
	v_dual_mov_b32 v5, s18 :: v_dual_mov_b32 v6, s19
	s_delay_alu instid0(VALU_DEP_2) | instskip(NEXT) | instid1(VALU_DEP_1)
	v_cmp_gt_u32_e64 s3, s22, v34
	s_and_saveexec_b32 s4, s3
	s_cbranch_execz .LBB46_6
; %bb.5:
	v_lshlrev_b32_e32 v5, 3, v34
	global_load_b64 v[5:6], v5, s[20:21]
.LBB46_6:
	s_or_b32 exec_lo, exec_lo, s4
	v_or_b32_e32 v35, 0x300, v0
	v_dual_mov_b32 v9, s18 :: v_dual_mov_b32 v10, s19
	s_delay_alu instid0(VALU_DEP_2) | instskip(NEXT) | instid1(VALU_DEP_1)
	v_cmp_gt_u32_e64 s4, s22, v35
	s_and_saveexec_b32 s5, s4
	s_cbranch_execz .LBB46_8
; %bb.7:
	v_lshlrev_b32_e32 v7, 3, v35
	global_load_b64 v[9:10], v7, s[20:21]
.LBB46_8:
	;; [unrolled: 11-line block ×14, first 2 shown]
	s_or_b32 exec_lo, exec_lo, s17
	v_lshrrev_b32_e32 v48, 2, v0
	v_lshrrev_b32_e32 v34, 2, v34
	;; [unrolled: 1-line block ×5, first 2 shown]
	v_and_b32_e32 v95, 56, v48
	v_and_b32_e32 v34, 0xf8, v34
	;; [unrolled: 1-line block ×4, first 2 shown]
	s_delay_alu instid0(VALU_DEP_4) | instskip(NEXT) | instid1(VALU_DEP_4)
	v_add_nc_u32_e32 v78, v95, v77
	v_add_nc_u32_e32 v80, v34, v77
	v_and_b32_e32 v34, 0x1f8, v36
	v_lshrrev_b32_e32 v36, 2, v39
	v_add_nc_u32_e32 v79, v33, v77
	v_add_nc_u32_e32 v81, v35, v77
	s_waitcnt vmcnt(0)
	ds_store_b64 v78, v[1:2]
	ds_store_b64 v79, v[3:4] offset:2048
	ds_store_b64 v80, v[5:6] offset:4096
	;; [unrolled: 1-line block ×3, first 2 shown]
	v_and_b32_e32 v1, 0x1f8, v36
	v_lshrrev_b32_e32 v2, 2, v40
	v_lshrrev_b32_e32 v3, 2, v41
	;; [unrolled: 1-line block ×4, first 2 shown]
	v_add_nc_u32_e32 v85, v1, v77
	v_and_b32_e32 v1, 0x3f8, v2
	v_and_b32_e32 v2, 0x3f8, v3
	;; [unrolled: 1-line block ×4, first 2 shown]
	v_lshrrev_b32_e32 v33, 2, v37
	v_add_nc_u32_e32 v86, v1, v77
	v_lshrrev_b32_e32 v1, 2, v44
	v_add_nc_u32_e32 v87, v2, v77
	v_lshrrev_b32_e32 v2, 2, v45
	v_lshrrev_b32_e32 v37, 2, v38
	v_add_nc_u32_e32 v88, v3, v77
	v_lshrrev_b32_e32 v3, 2, v46
	v_add_nc_u32_e32 v89, v4, v77
	v_lshrrev_b32_e32 v4, 2, v47
	v_and_b32_e32 v1, 0x3f8, v1
	v_lshlrev_b32_e32 v5, 4, v0
	v_lshrrev_b32_e32 v6, 1, v0
	v_and_b32_e32 v33, 0x1f8, v33
	v_and_b32_e32 v2, 0x3f8, v2
	;; [unrolled: 1-line block ×5, first 2 shown]
	v_add_nc_u32_e32 v82, v34, v77
	v_add_nc_u32_e32 v90, v1, v77
	v_add_lshl_u32 v94, v6, v5, 3
	v_add_nc_u32_e32 v83, v33, v77
	v_add_nc_u32_e32 v91, v2, v77
	;; [unrolled: 1-line block ×5, first 2 shown]
	ds_store_b64 v82, v[7:8] offset:8192
	ds_store_b64 v83, v[11:12] offset:10240
	;; [unrolled: 1-line block ×12, first 2 shown]
	s_waitcnt lgkmcnt(0)
	s_barrier
	buffer_gl0_inv
	ds_load_2addr_b64 v[1:4], v94 offset1:1
	ds_load_2addr_b64 v[29:32], v94 offset0:2 offset1:3
	s_waitcnt lgkmcnt(1)
	v_max_f64 v[35:36], v[3:4], v[3:4]
	v_max_f64 v[63:64], v[1:2], v[1:2]
	v_cmp_u_f64_e64 s33, v[1:2], v[1:2]
	v_cmp_u_f64_e64 s17, v[3:4], v[3:4]
	v_dual_mov_b32 v70, v2 :: v_dual_mov_b32 v69, v1
	s_delay_alu instid0(VALU_DEP_4) | instskip(SKIP_1) | instid1(VALU_DEP_2)
	v_min_f64 v[65:66], v[63:64], v[35:36]
	v_max_f64 v[67:68], v[63:64], v[35:36]
	v_cndmask_b32_e64 v5, v65, v1, s33
	s_delay_alu instid0(VALU_DEP_3) | instskip(NEXT) | instid1(VALU_DEP_3)
	v_cndmask_b32_e64 v6, v66, v2, s33
	v_cndmask_b32_e64 v7, v68, v2, s33
	s_delay_alu instid0(VALU_DEP_4) | instskip(NEXT) | instid1(VALU_DEP_4)
	v_cndmask_b32_e64 v8, v67, v1, s33
	v_cndmask_b32_e64 v37, v5, v3, s17
	s_delay_alu instid0(VALU_DEP_4) | instskip(NEXT) | instid1(VALU_DEP_4)
	v_cndmask_b32_e64 v38, v6, v4, s17
	v_cndmask_b32_e64 v34, v7, v4, s17
	s_delay_alu instid0(VALU_DEP_4)
	v_cndmask_b32_e64 v33, v8, v3, s17
	ds_load_2addr_b64 v[25:28], v94 offset0:4 offset1:5
	ds_load_2addr_b64 v[21:24], v94 offset0:6 offset1:7
	ds_load_2addr_b64 v[17:20], v94 offset0:8 offset1:9
	ds_load_2addr_b64 v[13:16], v94 offset0:10 offset1:11
	ds_load_2addr_b64 v[9:12], v94 offset0:12 offset1:13
	ds_load_2addr_b64 v[5:8], v94 offset0:14 offset1:15
	s_waitcnt lgkmcnt(0)
	v_cmp_class_f64_e64 s19, v[37:38], 0x1f8
	s_barrier
	v_cmp_neq_f64_e64 s18, v[37:38], v[33:34]
	buffer_gl0_inv
	s_or_b32 s18, s18, s19
	s_delay_alu instid0(SALU_CYCLE_1)
	s_and_saveexec_b32 s24, s18
	s_cbranch_execz .LBB46_34
; %bb.33:
	v_add_f64 v[37:38], v[37:38], -v[33:34]
	s_mov_b32 s18, 0x652b82fe
	s_mov_b32 s19, 0x3ff71547
	;; [unrolled: 1-line block ×10, first 2 shown]
	s_delay_alu instid0(VALU_DEP_1) | instskip(SKIP_2) | instid1(VALU_DEP_1)
	v_mul_f64 v[39:40], v[37:38], s[18:19]
	s_mov_b32 s18, 0xfca7ab0c
	s_mov_b32 s19, 0x3e928af3
	v_rndne_f64_e32 v[39:40], v[39:40]
	s_delay_alu instid0(VALU_DEP_1) | instskip(SKIP_2) | instid1(VALU_DEP_2)
	v_fma_f64 v[41:42], v[39:40], s[20:21], v[37:38]
	v_cvt_i32_f64_e32 v45, v[39:40]
	s_mov_b32 s21, 0x3fe62e42
	v_fma_f64 v[41:42], v[39:40], s[22:23], v[41:42]
	s_mov_b32 s23, 0x3c7abc9e
	s_delay_alu instid0(VALU_DEP_1) | instskip(SKIP_4) | instid1(VALU_DEP_1)
	v_fma_f64 v[43:44], v[41:42], s[26:27], s[18:19]
	s_mov_b32 s18, 0x623fde64
	s_mov_b32 s19, 0x3ec71dee
	;; [unrolled: 1-line block ×4, first 2 shown]
	v_fma_f64 v[43:44], v[41:42], v[43:44], s[18:19]
	s_mov_b32 s18, 0x7c89e6b0
	s_mov_b32 s19, 0x3efa0199
	s_delay_alu instid0(VALU_DEP_1) | instid1(SALU_CYCLE_1)
	v_fma_f64 v[43:44], v[41:42], v[43:44], s[18:19]
	s_mov_b32 s18, 0x14761f6e
	s_mov_b32 s19, 0x3f2a01a0
	s_delay_alu instid0(VALU_DEP_1) | instid1(SALU_CYCLE_1)
	;; [unrolled: 4-line block ×7, first 2 shown]
	v_fma_f64 v[43:44], v[41:42], v[43:44], s[18:19]
	v_cmp_nlt_f64_e64 s18, 0x40900000, v[37:38]
	v_cmp_ngt_f64_e64 s19, 0xc090cc00, v[37:38]
	s_delay_alu instid0(VALU_DEP_3) | instskip(NEXT) | instid1(VALU_DEP_1)
	v_fma_f64 v[43:44], v[41:42], v[43:44], 1.0
	v_fma_f64 v[39:40], v[41:42], v[43:44], 1.0
	s_delay_alu instid0(VALU_DEP_1) | instskip(NEXT) | instid1(VALU_DEP_1)
	v_ldexp_f64 v[39:40], v[39:40], v45
	v_cndmask_b32_e64 v40, 0x7ff00000, v40, s18
	s_and_b32 s18, s19, s18
	s_delay_alu instid0(VALU_DEP_2) | instid1(SALU_CYCLE_1)
	v_cndmask_b32_e64 v37, 0, v39, s18
	s_mov_b32 s18, 0x55555555
	s_delay_alu instid0(VALU_DEP_2) | instskip(SKIP_1) | instid1(VALU_DEP_1)
	v_cndmask_b32_e64 v38, 0, v40, s19
	s_mov_b32 s19, 0x3fe55555
	v_add_f64 v[39:40], v[37:38], 1.0
	s_delay_alu instid0(VALU_DEP_1) | instskip(SKIP_2) | instid1(VALU_DEP_3)
	v_frexp_mant_f64_e32 v[41:42], v[39:40]
	v_frexp_exp_i32_f64_e32 v45, v[39:40]
	v_add_f64 v[43:44], v[39:40], -1.0
	v_cmp_gt_f64_e64 s18, s[18:19], v[41:42]
	s_delay_alu instid0(VALU_DEP_2) | instskip(SKIP_1) | instid1(VALU_DEP_3)
	v_add_f64 v[41:42], v[43:44], -v[39:40]
	v_add_f64 v[43:44], v[37:38], -v[43:44]
	v_subrev_co_ci_u32_e64 v61, s18, 0, v45, s18
	s_delay_alu instid0(VALU_DEP_3) | instskip(SKIP_1) | instid1(VALU_DEP_2)
	v_add_f64 v[41:42], v[41:42], 1.0
	s_mov_b32 s18, 0x55555780
	v_sub_nc_u32_e32 v47, 0, v61
	s_delay_alu instid0(VALU_DEP_1) | instskip(NEXT) | instid1(VALU_DEP_3)
	v_ldexp_f64 v[39:40], v[39:40], v47
	v_add_f64 v[41:42], v[43:44], v[41:42]
	s_delay_alu instid0(VALU_DEP_2) | instskip(SKIP_1) | instid1(VALU_DEP_3)
	v_add_f64 v[45:46], v[39:40], 1.0
	v_add_f64 v[51:52], v[39:40], -1.0
	v_ldexp_f64 v[41:42], v[41:42], v47
	s_delay_alu instid0(VALU_DEP_3) | instskip(NEXT) | instid1(VALU_DEP_3)
	v_add_f64 v[43:44], v[45:46], -1.0
	v_add_f64 v[53:54], v[51:52], 1.0
	s_delay_alu instid0(VALU_DEP_2) | instskip(NEXT) | instid1(VALU_DEP_2)
	v_add_f64 v[43:44], v[39:40], -v[43:44]
	v_add_f64 v[39:40], v[39:40], -v[53:54]
	s_delay_alu instid0(VALU_DEP_2) | instskip(NEXT) | instid1(VALU_DEP_2)
	v_add_f64 v[43:44], v[41:42], v[43:44]
	v_add_f64 v[39:40], v[41:42], v[39:40]
	s_delay_alu instid0(VALU_DEP_2) | instskip(NEXT) | instid1(VALU_DEP_2)
	v_add_f64 v[47:48], v[45:46], v[43:44]
	v_add_f64 v[53:54], v[51:52], v[39:40]
	s_delay_alu instid0(VALU_DEP_2) | instskip(SKIP_1) | instid1(VALU_DEP_2)
	v_rcp_f64_e32 v[49:50], v[47:48]
	v_add_f64 v[45:46], v[47:48], -v[45:46]
	v_add_f64 v[51:52], v[53:54], -v[51:52]
	s_delay_alu instid0(VALU_DEP_2) | instskip(SKIP_3) | instid1(VALU_DEP_2)
	v_add_f64 v[43:44], v[43:44], -v[45:46]
	s_waitcnt_depctr 0xfff
	v_fma_f64 v[55:56], -v[47:48], v[49:50], 1.0
	v_add_f64 v[39:40], v[39:40], -v[51:52]
	v_fma_f64 v[49:50], v[55:56], v[49:50], v[49:50]
	s_delay_alu instid0(VALU_DEP_1) | instskip(NEXT) | instid1(VALU_DEP_1)
	v_fma_f64 v[41:42], -v[47:48], v[49:50], 1.0
	v_fma_f64 v[41:42], v[41:42], v[49:50], v[49:50]
	s_delay_alu instid0(VALU_DEP_1) | instskip(NEXT) | instid1(VALU_DEP_1)
	v_mul_f64 v[49:50], v[53:54], v[41:42]
	v_mul_f64 v[55:56], v[47:48], v[49:50]
	s_delay_alu instid0(VALU_DEP_1) | instskip(NEXT) | instid1(VALU_DEP_1)
	v_fma_f64 v[45:46], v[49:50], v[47:48], -v[55:56]
	v_fma_f64 v[45:46], v[49:50], v[43:44], v[45:46]
	s_delay_alu instid0(VALU_DEP_1) | instskip(NEXT) | instid1(VALU_DEP_1)
	v_add_f64 v[57:58], v[55:56], v[45:46]
	v_add_f64 v[59:60], v[53:54], -v[57:58]
	v_add_f64 v[51:52], v[57:58], -v[55:56]
	s_delay_alu instid0(VALU_DEP_2) | instskip(NEXT) | instid1(VALU_DEP_2)
	v_add_f64 v[53:54], v[53:54], -v[59:60]
	v_add_f64 v[45:46], v[51:52], -v[45:46]
	s_delay_alu instid0(VALU_DEP_2) | instskip(NEXT) | instid1(VALU_DEP_1)
	v_add_f64 v[53:54], v[53:54], -v[57:58]
	v_add_f64 v[39:40], v[39:40], v[53:54]
	s_delay_alu instid0(VALU_DEP_1) | instskip(NEXT) | instid1(VALU_DEP_1)
	v_add_f64 v[39:40], v[45:46], v[39:40]
	v_add_f64 v[45:46], v[59:60], v[39:40]
	s_delay_alu instid0(VALU_DEP_1) | instskip(SKIP_1) | instid1(VALU_DEP_2)
	v_mul_f64 v[51:52], v[41:42], v[45:46]
	v_add_f64 v[57:58], v[59:60], -v[45:46]
	v_mul_f64 v[53:54], v[47:48], v[51:52]
	s_delay_alu instid0(VALU_DEP_2) | instskip(NEXT) | instid1(VALU_DEP_2)
	v_add_f64 v[39:40], v[39:40], v[57:58]
	v_fma_f64 v[47:48], v[51:52], v[47:48], -v[53:54]
	s_delay_alu instid0(VALU_DEP_1) | instskip(NEXT) | instid1(VALU_DEP_1)
	v_fma_f64 v[43:44], v[51:52], v[43:44], v[47:48]
	v_add_f64 v[47:48], v[53:54], v[43:44]
	s_delay_alu instid0(VALU_DEP_1) | instskip(SKIP_1) | instid1(VALU_DEP_2)
	v_add_f64 v[55:56], v[45:46], -v[47:48]
	v_add_f64 v[53:54], v[47:48], -v[53:54]
	;; [unrolled: 1-line block ×3, first 2 shown]
	s_delay_alu instid0(VALU_DEP_2) | instskip(NEXT) | instid1(VALU_DEP_2)
	v_add_f64 v[43:44], v[53:54], -v[43:44]
	v_add_f64 v[45:46], v[45:46], -v[47:48]
	s_delay_alu instid0(VALU_DEP_1) | instskip(SKIP_1) | instid1(VALU_DEP_2)
	v_add_f64 v[39:40], v[39:40], v[45:46]
	v_add_f64 v[45:46], v[49:50], v[51:52]
	;; [unrolled: 1-line block ×3, first 2 shown]
	s_delay_alu instid0(VALU_DEP_2) | instskip(NEXT) | instid1(VALU_DEP_2)
	v_add_f64 v[43:44], v[45:46], -v[49:50]
	v_add_f64 v[39:40], v[55:56], v[39:40]
	s_delay_alu instid0(VALU_DEP_2) | instskip(NEXT) | instid1(VALU_DEP_2)
	v_add_f64 v[43:44], v[51:52], -v[43:44]
	v_mul_f64 v[39:40], v[41:42], v[39:40]
	s_delay_alu instid0(VALU_DEP_1) | instskip(NEXT) | instid1(VALU_DEP_1)
	v_add_f64 v[39:40], v[43:44], v[39:40]
	v_add_f64 v[41:42], v[45:46], v[39:40]
	s_delay_alu instid0(VALU_DEP_1) | instskip(NEXT) | instid1(VALU_DEP_1)
	v_mul_f64 v[43:44], v[41:42], v[41:42]
	v_fma_f64 v[47:48], v[43:44], s[28:29], s[26:27]
	s_mov_b32 s26, 0xd7f4df2e
	s_mov_b32 s27, 0x3fc7474d
	v_mul_f64 v[49:50], v[41:42], v[43:44]
	s_delay_alu instid0(VALU_DEP_2)
	v_fma_f64 v[47:48], v[43:44], v[47:48], s[26:27]
	s_mov_b32 s26, 0x16291751
	s_mov_b32 s27, 0x3fcc71c0
	s_delay_alu instid0(VALU_DEP_1) | instid1(SALU_CYCLE_1)
	v_fma_f64 v[47:48], v[43:44], v[47:48], s[26:27]
	s_mov_b32 s26, 0x9b27acf1
	s_mov_b32 s27, 0x3fd24924
	s_delay_alu instid0(VALU_DEP_1) | instid1(SALU_CYCLE_1)
	;; [unrolled: 4-line block ×3, first 2 shown]
	v_fma_f64 v[47:48], v[43:44], v[47:48], s[26:27]
	s_delay_alu instid0(VALU_DEP_1) | instskip(SKIP_3) | instid1(VALU_DEP_4)
	v_fma_f64 v[43:44], v[43:44], v[47:48], s[18:19]
	v_ldexp_f64 v[47:48], v[41:42], 1
	v_add_f64 v[41:42], v[41:42], -v[45:46]
	v_cmp_eq_f64_e64 s18, 0x7ff00000, v[37:38]
	v_mul_f64 v[43:44], v[49:50], v[43:44]
	v_cvt_f64_i32_e32 v[49:50], v61
	s_delay_alu instid0(VALU_DEP_4) | instskip(NEXT) | instid1(VALU_DEP_3)
	v_add_f64 v[39:40], v[39:40], -v[41:42]
	v_add_f64 v[45:46], v[47:48], v[43:44]
	s_delay_alu instid0(VALU_DEP_3) | instskip(NEXT) | instid1(VALU_DEP_3)
	v_mul_f64 v[51:52], v[49:50], s[20:21]
	v_ldexp_f64 v[39:40], v[39:40], 1
	s_delay_alu instid0(VALU_DEP_3) | instskip(NEXT) | instid1(VALU_DEP_3)
	v_add_f64 v[41:42], v[45:46], -v[47:48]
	v_fma_f64 v[47:48], v[49:50], s[20:21], -v[51:52]
	s_delay_alu instid0(VALU_DEP_2) | instskip(NEXT) | instid1(VALU_DEP_2)
	v_add_f64 v[41:42], v[43:44], -v[41:42]
	v_fma_f64 v[43:44], v[49:50], s[22:23], v[47:48]
	s_delay_alu instid0(VALU_DEP_2) | instskip(NEXT) | instid1(VALU_DEP_2)
	v_add_f64 v[39:40], v[39:40], v[41:42]
	v_add_f64 v[41:42], v[51:52], v[43:44]
	s_delay_alu instid0(VALU_DEP_2) | instskip(NEXT) | instid1(VALU_DEP_2)
	v_add_f64 v[47:48], v[45:46], v[39:40]
	v_add_f64 v[51:52], v[41:42], -v[51:52]
	s_delay_alu instid0(VALU_DEP_2) | instskip(SKIP_1) | instid1(VALU_DEP_3)
	v_add_f64 v[49:50], v[41:42], v[47:48]
	v_add_f64 v[45:46], v[47:48], -v[45:46]
	v_add_f64 v[43:44], v[43:44], -v[51:52]
	s_delay_alu instid0(VALU_DEP_3) | instskip(NEXT) | instid1(VALU_DEP_3)
	v_add_f64 v[53:54], v[49:50], -v[41:42]
	v_add_f64 v[39:40], v[39:40], -v[45:46]
	s_delay_alu instid0(VALU_DEP_2) | instskip(SKIP_1) | instid1(VALU_DEP_3)
	v_add_f64 v[55:56], v[49:50], -v[53:54]
	v_add_f64 v[45:46], v[47:48], -v[53:54]
	v_add_f64 v[47:48], v[43:44], v[39:40]
	s_delay_alu instid0(VALU_DEP_3) | instskip(NEXT) | instid1(VALU_DEP_1)
	v_add_f64 v[41:42], v[41:42], -v[55:56]
	v_add_f64 v[41:42], v[45:46], v[41:42]
	s_delay_alu instid0(VALU_DEP_3) | instskip(NEXT) | instid1(VALU_DEP_2)
	v_add_f64 v[45:46], v[47:48], -v[43:44]
	v_add_f64 v[41:42], v[47:48], v[41:42]
	s_delay_alu instid0(VALU_DEP_2) | instskip(SKIP_1) | instid1(VALU_DEP_3)
	v_add_f64 v[47:48], v[47:48], -v[45:46]
	v_add_f64 v[39:40], v[39:40], -v[45:46]
	v_add_f64 v[51:52], v[49:50], v[41:42]
	s_delay_alu instid0(VALU_DEP_3) | instskip(NEXT) | instid1(VALU_DEP_2)
	v_add_f64 v[43:44], v[43:44], -v[47:48]
	v_add_f64 v[45:46], v[51:52], -v[49:50]
	s_delay_alu instid0(VALU_DEP_2) | instskip(NEXT) | instid1(VALU_DEP_2)
	v_add_f64 v[39:40], v[39:40], v[43:44]
	v_add_f64 v[41:42], v[41:42], -v[45:46]
	s_delay_alu instid0(VALU_DEP_1) | instskip(NEXT) | instid1(VALU_DEP_1)
	v_add_f64 v[39:40], v[39:40], v[41:42]
	v_add_f64 v[39:40], v[51:52], v[39:40]
	s_delay_alu instid0(VALU_DEP_1) | instskip(NEXT) | instid1(VALU_DEP_2)
	v_cndmask_b32_e64 v39, v39, v37, s18
	v_cndmask_b32_e64 v40, v40, v38, s18
	v_cmp_ngt_f64_e64 s18, -1.0, v[37:38]
	s_delay_alu instid0(VALU_DEP_1) | instskip(SKIP_1) | instid1(VALU_DEP_1)
	v_cndmask_b32_e64 v40, 0x7ff80000, v40, s18
	v_cmp_nge_f64_e64 s18, -1.0, v[37:38]
	v_cndmask_b32_e64 v39, 0, v39, s18
	v_cmp_neq_f64_e64 s18, -1.0, v[37:38]
	s_delay_alu instid0(VALU_DEP_1) | instskip(NEXT) | instid1(VALU_DEP_1)
	v_cndmask_b32_e64 v40, 0xfff00000, v40, s18
	v_add_f64 v[69:70], v[33:34], v[39:40]
.LBB46_34:
	s_or_b32 exec_lo, exec_lo, s24
	v_max_f64 v[33:34], v[29:30], v[29:30]
	s_delay_alu instid0(VALU_DEP_2) | instskip(SKIP_2) | instid1(VALU_DEP_3)
	v_max_f64 v[37:38], v[69:70], v[69:70]
	v_cmp_u_f64_e64 s19, v[69:70], v[69:70]
	v_cmp_u_f64_e64 s18, v[29:30], v[29:30]
	v_min_f64 v[39:40], v[37:38], v[33:34]
	v_max_f64 v[37:38], v[37:38], v[33:34]
	s_delay_alu instid0(VALU_DEP_2) | instskip(NEXT) | instid1(VALU_DEP_3)
	v_cndmask_b32_e64 v39, v39, v69, s19
	v_cndmask_b32_e64 v40, v40, v70, s19
	s_delay_alu instid0(VALU_DEP_3) | instskip(NEXT) | instid1(VALU_DEP_4)
	v_cndmask_b32_e64 v38, v38, v70, s19
	v_cndmask_b32_e64 v37, v37, v69, s19
	s_delay_alu instid0(VALU_DEP_4) | instskip(NEXT) | instid1(VALU_DEP_4)
	v_cndmask_b32_e64 v39, v39, v29, s18
	v_cndmask_b32_e64 v40, v40, v30, s18
	s_delay_alu instid0(VALU_DEP_4) | instskip(NEXT) | instid1(VALU_DEP_4)
	v_cndmask_b32_e64 v38, v38, v30, s18
	v_cndmask_b32_e64 v37, v37, v29, s18
	s_delay_alu instid0(VALU_DEP_3) | instskip(NEXT) | instid1(VALU_DEP_2)
	v_cmp_class_f64_e64 s20, v[39:40], 0x1f8
	v_cmp_neq_f64_e64 s19, v[39:40], v[37:38]
	s_delay_alu instid0(VALU_DEP_1) | instskip(NEXT) | instid1(SALU_CYCLE_1)
	s_or_b32 s19, s19, s20
	s_and_saveexec_b32 s26, s19
	s_cbranch_execz .LBB46_36
; %bb.35:
	v_add_f64 v[39:40], v[39:40], -v[37:38]
	s_mov_b32 s20, 0x652b82fe
	s_mov_b32 s21, 0x3ff71547
	;; [unrolled: 1-line block ×10, first 2 shown]
	s_delay_alu instid0(VALU_DEP_1) | instskip(SKIP_3) | instid1(VALU_DEP_2)
	v_mul_f64 v[41:42], v[39:40], s[20:21]
	s_mov_b32 s20, 0xfca7ab0c
	s_mov_b32 s21, 0x3e928af3
	v_cmp_nlt_f64_e64 s19, 0x40900000, v[39:40]
	v_rndne_f64_e32 v[41:42], v[41:42]
	s_delay_alu instid0(VALU_DEP_1) | instskip(SKIP_2) | instid1(VALU_DEP_2)
	v_fma_f64 v[43:44], v[41:42], s[22:23], v[39:40]
	v_cvt_i32_f64_e32 v47, v[41:42]
	s_mov_b32 s23, 0x3fe62e42
	v_fma_f64 v[43:44], v[41:42], s[24:25], v[43:44]
	s_mov_b32 s25, 0x3c7abc9e
	s_delay_alu instid0(VALU_DEP_1) | instskip(SKIP_4) | instid1(VALU_DEP_1)
	v_fma_f64 v[45:46], v[43:44], s[28:29], s[20:21]
	s_mov_b32 s20, 0x623fde64
	s_mov_b32 s21, 0x3ec71dee
	;; [unrolled: 1-line block ×4, first 2 shown]
	v_fma_f64 v[45:46], v[43:44], v[45:46], s[20:21]
	s_mov_b32 s20, 0x7c89e6b0
	s_mov_b32 s21, 0x3efa0199
	s_delay_alu instid0(VALU_DEP_1) | instid1(SALU_CYCLE_1)
	v_fma_f64 v[45:46], v[43:44], v[45:46], s[20:21]
	s_mov_b32 s20, 0x14761f6e
	s_mov_b32 s21, 0x3f2a01a0
	s_delay_alu instid0(VALU_DEP_1) | instid1(SALU_CYCLE_1)
	;; [unrolled: 4-line block ×7, first 2 shown]
	v_fma_f64 v[45:46], v[43:44], v[45:46], s[20:21]
	v_cmp_ngt_f64_e64 s20, 0xc090cc00, v[39:40]
	s_mov_b32 s21, 0x3fe55555
	s_delay_alu instid0(VALU_DEP_2) | instskip(NEXT) | instid1(VALU_DEP_1)
	v_fma_f64 v[45:46], v[43:44], v[45:46], 1.0
	v_fma_f64 v[41:42], v[43:44], v[45:46], 1.0
	s_delay_alu instid0(VALU_DEP_1) | instskip(NEXT) | instid1(VALU_DEP_1)
	v_ldexp_f64 v[41:42], v[41:42], v47
	v_cndmask_b32_e64 v42, 0x7ff00000, v42, s19
	s_and_b32 s19, s20, s19
	s_delay_alu instid0(VALU_DEP_2) | instid1(SALU_CYCLE_1)
	v_cndmask_b32_e64 v39, 0, v41, s19
	s_delay_alu instid0(VALU_DEP_2) | instskip(SKIP_1) | instid1(VALU_DEP_1)
	v_cndmask_b32_e64 v40, 0, v42, s20
	s_mov_b32 s20, 0x55555555
	v_add_f64 v[41:42], v[39:40], 1.0
	s_delay_alu instid0(VALU_DEP_1) | instskip(SKIP_2) | instid1(VALU_DEP_3)
	v_frexp_mant_f64_e32 v[43:44], v[41:42]
	v_frexp_exp_i32_f64_e32 v47, v[41:42]
	v_add_f64 v[45:46], v[41:42], -1.0
	v_cmp_gt_f64_e64 s19, s[20:21], v[43:44]
	s_mov_b32 s20, 0x55555780
	s_delay_alu instid0(VALU_DEP_2) | instskip(SKIP_1) | instid1(VALU_DEP_3)
	v_add_f64 v[43:44], v[45:46], -v[41:42]
	v_add_f64 v[45:46], v[39:40], -v[45:46]
	v_subrev_co_ci_u32_e64 v69, s19, 0, v47, s19
	s_delay_alu instid0(VALU_DEP_3) | instskip(SKIP_1) | instid1(VALU_DEP_3)
	v_add_f64 v[43:44], v[43:44], 1.0
	v_cmp_eq_f64_e64 s19, 0x7ff00000, v[39:40]
	v_sub_nc_u32_e32 v49, 0, v69
	s_delay_alu instid0(VALU_DEP_1) | instskip(NEXT) | instid1(VALU_DEP_4)
	v_ldexp_f64 v[41:42], v[41:42], v49
	v_add_f64 v[43:44], v[45:46], v[43:44]
	s_delay_alu instid0(VALU_DEP_2) | instskip(SKIP_1) | instid1(VALU_DEP_3)
	v_add_f64 v[47:48], v[41:42], 1.0
	v_add_f64 v[53:54], v[41:42], -1.0
	v_ldexp_f64 v[43:44], v[43:44], v49
	s_delay_alu instid0(VALU_DEP_3) | instskip(NEXT) | instid1(VALU_DEP_3)
	v_add_f64 v[45:46], v[47:48], -1.0
	v_add_f64 v[55:56], v[53:54], 1.0
	s_delay_alu instid0(VALU_DEP_2) | instskip(NEXT) | instid1(VALU_DEP_2)
	v_add_f64 v[45:46], v[41:42], -v[45:46]
	v_add_f64 v[41:42], v[41:42], -v[55:56]
	s_delay_alu instid0(VALU_DEP_2) | instskip(NEXT) | instid1(VALU_DEP_2)
	v_add_f64 v[45:46], v[43:44], v[45:46]
	v_add_f64 v[41:42], v[43:44], v[41:42]
	s_delay_alu instid0(VALU_DEP_2) | instskip(NEXT) | instid1(VALU_DEP_2)
	v_add_f64 v[49:50], v[47:48], v[45:46]
	v_add_f64 v[55:56], v[53:54], v[41:42]
	s_delay_alu instid0(VALU_DEP_2) | instskip(SKIP_1) | instid1(VALU_DEP_2)
	v_rcp_f64_e32 v[51:52], v[49:50]
	v_add_f64 v[47:48], v[49:50], -v[47:48]
	v_add_f64 v[53:54], v[55:56], -v[53:54]
	s_delay_alu instid0(VALU_DEP_2) | instskip(SKIP_3) | instid1(VALU_DEP_2)
	v_add_f64 v[45:46], v[45:46], -v[47:48]
	s_waitcnt_depctr 0xfff
	v_fma_f64 v[57:58], -v[49:50], v[51:52], 1.0
	v_add_f64 v[41:42], v[41:42], -v[53:54]
	v_fma_f64 v[51:52], v[57:58], v[51:52], v[51:52]
	s_delay_alu instid0(VALU_DEP_1) | instskip(NEXT) | instid1(VALU_DEP_1)
	v_fma_f64 v[43:44], -v[49:50], v[51:52], 1.0
	v_fma_f64 v[43:44], v[43:44], v[51:52], v[51:52]
	s_delay_alu instid0(VALU_DEP_1) | instskip(NEXT) | instid1(VALU_DEP_1)
	v_mul_f64 v[51:52], v[55:56], v[43:44]
	v_mul_f64 v[57:58], v[49:50], v[51:52]
	s_delay_alu instid0(VALU_DEP_1) | instskip(NEXT) | instid1(VALU_DEP_1)
	v_fma_f64 v[47:48], v[51:52], v[49:50], -v[57:58]
	v_fma_f64 v[47:48], v[51:52], v[45:46], v[47:48]
	s_delay_alu instid0(VALU_DEP_1) | instskip(NEXT) | instid1(VALU_DEP_1)
	v_add_f64 v[59:60], v[57:58], v[47:48]
	v_add_f64 v[61:62], v[55:56], -v[59:60]
	v_add_f64 v[53:54], v[59:60], -v[57:58]
	s_delay_alu instid0(VALU_DEP_2) | instskip(NEXT) | instid1(VALU_DEP_2)
	v_add_f64 v[55:56], v[55:56], -v[61:62]
	v_add_f64 v[47:48], v[53:54], -v[47:48]
	s_delay_alu instid0(VALU_DEP_2) | instskip(NEXT) | instid1(VALU_DEP_1)
	v_add_f64 v[55:56], v[55:56], -v[59:60]
	v_add_f64 v[41:42], v[41:42], v[55:56]
	s_delay_alu instid0(VALU_DEP_1) | instskip(NEXT) | instid1(VALU_DEP_1)
	v_add_f64 v[41:42], v[47:48], v[41:42]
	v_add_f64 v[47:48], v[61:62], v[41:42]
	s_delay_alu instid0(VALU_DEP_1) | instskip(SKIP_1) | instid1(VALU_DEP_2)
	v_mul_f64 v[53:54], v[43:44], v[47:48]
	v_add_f64 v[59:60], v[61:62], -v[47:48]
	v_mul_f64 v[55:56], v[49:50], v[53:54]
	s_delay_alu instid0(VALU_DEP_2) | instskip(NEXT) | instid1(VALU_DEP_2)
	v_add_f64 v[41:42], v[41:42], v[59:60]
	v_fma_f64 v[49:50], v[53:54], v[49:50], -v[55:56]
	s_delay_alu instid0(VALU_DEP_1) | instskip(NEXT) | instid1(VALU_DEP_1)
	v_fma_f64 v[45:46], v[53:54], v[45:46], v[49:50]
	v_add_f64 v[49:50], v[55:56], v[45:46]
	s_delay_alu instid0(VALU_DEP_1) | instskip(SKIP_1) | instid1(VALU_DEP_2)
	v_add_f64 v[57:58], v[47:48], -v[49:50]
	v_add_f64 v[55:56], v[49:50], -v[55:56]
	;; [unrolled: 1-line block ×3, first 2 shown]
	s_delay_alu instid0(VALU_DEP_2) | instskip(NEXT) | instid1(VALU_DEP_2)
	v_add_f64 v[45:46], v[55:56], -v[45:46]
	v_add_f64 v[47:48], v[47:48], -v[49:50]
	s_delay_alu instid0(VALU_DEP_1) | instskip(SKIP_1) | instid1(VALU_DEP_2)
	v_add_f64 v[41:42], v[41:42], v[47:48]
	v_add_f64 v[47:48], v[51:52], v[53:54]
	;; [unrolled: 1-line block ×3, first 2 shown]
	s_delay_alu instid0(VALU_DEP_2) | instskip(NEXT) | instid1(VALU_DEP_2)
	v_add_f64 v[45:46], v[47:48], -v[51:52]
	v_add_f64 v[41:42], v[57:58], v[41:42]
	s_delay_alu instid0(VALU_DEP_2) | instskip(NEXT) | instid1(VALU_DEP_2)
	v_add_f64 v[45:46], v[53:54], -v[45:46]
	v_mul_f64 v[41:42], v[43:44], v[41:42]
	s_delay_alu instid0(VALU_DEP_1) | instskip(NEXT) | instid1(VALU_DEP_1)
	v_add_f64 v[41:42], v[45:46], v[41:42]
	v_add_f64 v[43:44], v[47:48], v[41:42]
	s_delay_alu instid0(VALU_DEP_1) | instskip(NEXT) | instid1(VALU_DEP_1)
	v_mul_f64 v[45:46], v[43:44], v[43:44]
	v_fma_f64 v[49:50], v[45:46], s[30:31], s[28:29]
	s_mov_b32 s28, 0xd7f4df2e
	s_mov_b32 s29, 0x3fc7474d
	v_mul_f64 v[51:52], v[43:44], v[45:46]
	s_delay_alu instid0(VALU_DEP_2)
	v_fma_f64 v[49:50], v[45:46], v[49:50], s[28:29]
	s_mov_b32 s28, 0x16291751
	s_mov_b32 s29, 0x3fcc71c0
	s_delay_alu instid0(VALU_DEP_1) | instid1(SALU_CYCLE_1)
	v_fma_f64 v[49:50], v[45:46], v[49:50], s[28:29]
	s_mov_b32 s28, 0x9b27acf1
	s_mov_b32 s29, 0x3fd24924
	s_delay_alu instid0(VALU_DEP_1) | instid1(SALU_CYCLE_1)
	;; [unrolled: 4-line block ×3, first 2 shown]
	v_fma_f64 v[49:50], v[45:46], v[49:50], s[28:29]
	s_delay_alu instid0(VALU_DEP_1) | instskip(SKIP_2) | instid1(VALU_DEP_3)
	v_fma_f64 v[45:46], v[45:46], v[49:50], s[20:21]
	v_ldexp_f64 v[49:50], v[43:44], 1
	v_add_f64 v[43:44], v[43:44], -v[47:48]
	v_mul_f64 v[45:46], v[51:52], v[45:46]
	v_cvt_f64_i32_e32 v[51:52], v69
	s_delay_alu instid0(VALU_DEP_3) | instskip(NEXT) | instid1(VALU_DEP_3)
	v_add_f64 v[41:42], v[41:42], -v[43:44]
	v_add_f64 v[47:48], v[49:50], v[45:46]
	s_delay_alu instid0(VALU_DEP_3) | instskip(NEXT) | instid1(VALU_DEP_3)
	v_mul_f64 v[53:54], v[51:52], s[22:23]
	v_ldexp_f64 v[41:42], v[41:42], 1
	s_delay_alu instid0(VALU_DEP_3) | instskip(NEXT) | instid1(VALU_DEP_3)
	v_add_f64 v[43:44], v[47:48], -v[49:50]
	v_fma_f64 v[49:50], v[51:52], s[22:23], -v[53:54]
	s_delay_alu instid0(VALU_DEP_2) | instskip(NEXT) | instid1(VALU_DEP_2)
	v_add_f64 v[43:44], v[45:46], -v[43:44]
	v_fma_f64 v[45:46], v[51:52], s[24:25], v[49:50]
	s_delay_alu instid0(VALU_DEP_2) | instskip(NEXT) | instid1(VALU_DEP_2)
	v_add_f64 v[41:42], v[41:42], v[43:44]
	v_add_f64 v[43:44], v[53:54], v[45:46]
	s_delay_alu instid0(VALU_DEP_2) | instskip(NEXT) | instid1(VALU_DEP_2)
	v_add_f64 v[49:50], v[47:48], v[41:42]
	v_add_f64 v[53:54], v[43:44], -v[53:54]
	s_delay_alu instid0(VALU_DEP_2) | instskip(SKIP_1) | instid1(VALU_DEP_3)
	v_add_f64 v[51:52], v[43:44], v[49:50]
	v_add_f64 v[47:48], v[49:50], -v[47:48]
	v_add_f64 v[45:46], v[45:46], -v[53:54]
	s_delay_alu instid0(VALU_DEP_3) | instskip(NEXT) | instid1(VALU_DEP_3)
	v_add_f64 v[55:56], v[51:52], -v[43:44]
	v_add_f64 v[41:42], v[41:42], -v[47:48]
	s_delay_alu instid0(VALU_DEP_2) | instskip(SKIP_1) | instid1(VALU_DEP_3)
	v_add_f64 v[57:58], v[51:52], -v[55:56]
	v_add_f64 v[47:48], v[49:50], -v[55:56]
	v_add_f64 v[49:50], v[45:46], v[41:42]
	s_delay_alu instid0(VALU_DEP_3) | instskip(NEXT) | instid1(VALU_DEP_1)
	v_add_f64 v[43:44], v[43:44], -v[57:58]
	v_add_f64 v[43:44], v[47:48], v[43:44]
	s_delay_alu instid0(VALU_DEP_3) | instskip(NEXT) | instid1(VALU_DEP_2)
	v_add_f64 v[47:48], v[49:50], -v[45:46]
	v_add_f64 v[43:44], v[49:50], v[43:44]
	s_delay_alu instid0(VALU_DEP_2) | instskip(SKIP_1) | instid1(VALU_DEP_3)
	v_add_f64 v[49:50], v[49:50], -v[47:48]
	v_add_f64 v[41:42], v[41:42], -v[47:48]
	v_add_f64 v[53:54], v[51:52], v[43:44]
	s_delay_alu instid0(VALU_DEP_3) | instskip(NEXT) | instid1(VALU_DEP_2)
	v_add_f64 v[45:46], v[45:46], -v[49:50]
	v_add_f64 v[47:48], v[53:54], -v[51:52]
	s_delay_alu instid0(VALU_DEP_2) | instskip(NEXT) | instid1(VALU_DEP_2)
	v_add_f64 v[41:42], v[41:42], v[45:46]
	v_add_f64 v[43:44], v[43:44], -v[47:48]
	s_delay_alu instid0(VALU_DEP_1) | instskip(NEXT) | instid1(VALU_DEP_1)
	v_add_f64 v[41:42], v[41:42], v[43:44]
	v_add_f64 v[41:42], v[53:54], v[41:42]
	s_delay_alu instid0(VALU_DEP_1) | instskip(NEXT) | instid1(VALU_DEP_2)
	v_cndmask_b32_e64 v41, v41, v39, s19
	v_cndmask_b32_e64 v42, v42, v40, s19
	v_cmp_ngt_f64_e64 s19, -1.0, v[39:40]
	s_delay_alu instid0(VALU_DEP_1) | instskip(SKIP_1) | instid1(VALU_DEP_1)
	v_cndmask_b32_e64 v42, 0x7ff80000, v42, s19
	v_cmp_nge_f64_e64 s19, -1.0, v[39:40]
	v_cndmask_b32_e64 v41, 0, v41, s19
	v_cmp_neq_f64_e64 s19, -1.0, v[39:40]
	s_delay_alu instid0(VALU_DEP_1) | instskip(NEXT) | instid1(VALU_DEP_1)
	v_cndmask_b32_e64 v42, 0xfff00000, v42, s19
	v_add_f64 v[69:70], v[37:38], v[41:42]
.LBB46_36:
	s_or_b32 exec_lo, exec_lo, s26
	v_max_f64 v[37:38], v[31:32], v[31:32]
	s_delay_alu instid0(VALU_DEP_2) | instskip(SKIP_2) | instid1(VALU_DEP_3)
	v_max_f64 v[39:40], v[69:70], v[69:70]
	v_cmp_u_f64_e64 s20, v[69:70], v[69:70]
	v_cmp_u_f64_e64 s19, v[31:32], v[31:32]
	v_min_f64 v[41:42], v[39:40], v[37:38]
	v_max_f64 v[39:40], v[39:40], v[37:38]
	s_delay_alu instid0(VALU_DEP_2) | instskip(NEXT) | instid1(VALU_DEP_3)
	v_cndmask_b32_e64 v41, v41, v69, s20
	v_cndmask_b32_e64 v42, v42, v70, s20
	s_delay_alu instid0(VALU_DEP_3) | instskip(NEXT) | instid1(VALU_DEP_4)
	v_cndmask_b32_e64 v40, v40, v70, s20
	v_cndmask_b32_e64 v39, v39, v69, s20
	s_delay_alu instid0(VALU_DEP_4) | instskip(NEXT) | instid1(VALU_DEP_4)
	v_cndmask_b32_e64 v41, v41, v31, s19
	v_cndmask_b32_e64 v42, v42, v32, s19
	s_delay_alu instid0(VALU_DEP_4) | instskip(NEXT) | instid1(VALU_DEP_4)
	v_cndmask_b32_e64 v40, v40, v32, s19
	v_cndmask_b32_e64 v39, v39, v31, s19
	s_delay_alu instid0(VALU_DEP_3) | instskip(NEXT) | instid1(VALU_DEP_2)
	v_cmp_class_f64_e64 s21, v[41:42], 0x1f8
	v_cmp_neq_f64_e64 s20, v[41:42], v[39:40]
	s_delay_alu instid0(VALU_DEP_1) | instskip(NEXT) | instid1(SALU_CYCLE_1)
	s_or_b32 s20, s20, s21
	s_and_saveexec_b32 s26, s20
	s_cbranch_execz .LBB46_38
; %bb.37:
	v_add_f64 v[41:42], v[41:42], -v[39:40]
	s_mov_b32 s20, 0x652b82fe
	s_mov_b32 s21, 0x3ff71547
	;; [unrolled: 1-line block ×10, first 2 shown]
	s_delay_alu instid0(VALU_DEP_1) | instskip(SKIP_2) | instid1(VALU_DEP_1)
	v_mul_f64 v[43:44], v[41:42], s[20:21]
	s_mov_b32 s20, 0xfca7ab0c
	s_mov_b32 s21, 0x3e928af3
	v_rndne_f64_e32 v[43:44], v[43:44]
	s_delay_alu instid0(VALU_DEP_1) | instskip(SKIP_2) | instid1(VALU_DEP_2)
	v_fma_f64 v[45:46], v[43:44], s[22:23], v[41:42]
	v_cvt_i32_f64_e32 v49, v[43:44]
	s_mov_b32 s23, 0x3fe62e42
	v_fma_f64 v[45:46], v[43:44], s[24:25], v[45:46]
	s_mov_b32 s25, 0x3c7abc9e
	s_delay_alu instid0(VALU_DEP_1) | instskip(SKIP_4) | instid1(VALU_DEP_1)
	v_fma_f64 v[47:48], v[45:46], s[28:29], s[20:21]
	s_mov_b32 s20, 0x623fde64
	s_mov_b32 s21, 0x3ec71dee
	s_mov_b32 s28, 0x6b47b09a
	s_mov_b32 s29, 0x3fc38538
	v_fma_f64 v[47:48], v[45:46], v[47:48], s[20:21]
	s_mov_b32 s20, 0x7c89e6b0
	s_mov_b32 s21, 0x3efa0199
	s_delay_alu instid0(VALU_DEP_1) | instid1(SALU_CYCLE_1)
	v_fma_f64 v[47:48], v[45:46], v[47:48], s[20:21]
	s_mov_b32 s20, 0x14761f6e
	s_mov_b32 s21, 0x3f2a01a0
	s_delay_alu instid0(VALU_DEP_1) | instid1(SALU_CYCLE_1)
	;; [unrolled: 4-line block ×7, first 2 shown]
	v_fma_f64 v[47:48], v[45:46], v[47:48], s[20:21]
	v_cmp_nlt_f64_e64 s20, 0x40900000, v[41:42]
	v_cmp_ngt_f64_e64 s21, 0xc090cc00, v[41:42]
	s_delay_alu instid0(VALU_DEP_3) | instskip(NEXT) | instid1(VALU_DEP_1)
	v_fma_f64 v[47:48], v[45:46], v[47:48], 1.0
	v_fma_f64 v[43:44], v[45:46], v[47:48], 1.0
	s_delay_alu instid0(VALU_DEP_1) | instskip(NEXT) | instid1(VALU_DEP_1)
	v_ldexp_f64 v[43:44], v[43:44], v49
	v_cndmask_b32_e64 v44, 0x7ff00000, v44, s20
	s_and_b32 s20, s21, s20
	s_delay_alu instid0(VALU_DEP_2) | instid1(SALU_CYCLE_1)
	v_cndmask_b32_e64 v41, 0, v43, s20
	s_mov_b32 s20, 0x55555555
	s_delay_alu instid0(VALU_DEP_2) | instskip(SKIP_1) | instid1(VALU_DEP_1)
	v_cndmask_b32_e64 v42, 0, v44, s21
	s_mov_b32 s21, 0x3fe55555
	v_add_f64 v[43:44], v[41:42], 1.0
	s_delay_alu instid0(VALU_DEP_1) | instskip(SKIP_2) | instid1(VALU_DEP_3)
	v_frexp_mant_f64_e32 v[45:46], v[43:44]
	v_frexp_exp_i32_f64_e32 v49, v[43:44]
	v_add_f64 v[47:48], v[43:44], -1.0
	v_cmp_gt_f64_e64 s20, s[20:21], v[45:46]
	s_delay_alu instid0(VALU_DEP_2) | instskip(SKIP_1) | instid1(VALU_DEP_3)
	v_add_f64 v[45:46], v[47:48], -v[43:44]
	v_add_f64 v[47:48], v[41:42], -v[47:48]
	v_subrev_co_ci_u32_e64 v71, s20, 0, v49, s20
	s_delay_alu instid0(VALU_DEP_3) | instskip(SKIP_1) | instid1(VALU_DEP_2)
	v_add_f64 v[45:46], v[45:46], 1.0
	s_mov_b32 s20, 0x55555780
	v_sub_nc_u32_e32 v51, 0, v71
	s_delay_alu instid0(VALU_DEP_1) | instskip(NEXT) | instid1(VALU_DEP_3)
	v_ldexp_f64 v[43:44], v[43:44], v51
	v_add_f64 v[45:46], v[47:48], v[45:46]
	s_delay_alu instid0(VALU_DEP_2) | instskip(SKIP_1) | instid1(VALU_DEP_3)
	v_add_f64 v[49:50], v[43:44], 1.0
	v_add_f64 v[55:56], v[43:44], -1.0
	v_ldexp_f64 v[45:46], v[45:46], v51
	s_delay_alu instid0(VALU_DEP_3) | instskip(NEXT) | instid1(VALU_DEP_3)
	v_add_f64 v[47:48], v[49:50], -1.0
	v_add_f64 v[57:58], v[55:56], 1.0
	s_delay_alu instid0(VALU_DEP_2) | instskip(NEXT) | instid1(VALU_DEP_2)
	v_add_f64 v[47:48], v[43:44], -v[47:48]
	v_add_f64 v[43:44], v[43:44], -v[57:58]
	s_delay_alu instid0(VALU_DEP_2) | instskip(NEXT) | instid1(VALU_DEP_2)
	v_add_f64 v[47:48], v[45:46], v[47:48]
	v_add_f64 v[43:44], v[45:46], v[43:44]
	s_delay_alu instid0(VALU_DEP_2) | instskip(NEXT) | instid1(VALU_DEP_2)
	v_add_f64 v[51:52], v[49:50], v[47:48]
	v_add_f64 v[57:58], v[55:56], v[43:44]
	s_delay_alu instid0(VALU_DEP_2) | instskip(SKIP_1) | instid1(VALU_DEP_2)
	v_rcp_f64_e32 v[53:54], v[51:52]
	v_add_f64 v[49:50], v[51:52], -v[49:50]
	v_add_f64 v[55:56], v[57:58], -v[55:56]
	s_delay_alu instid0(VALU_DEP_2) | instskip(SKIP_3) | instid1(VALU_DEP_2)
	v_add_f64 v[47:48], v[47:48], -v[49:50]
	s_waitcnt_depctr 0xfff
	v_fma_f64 v[59:60], -v[51:52], v[53:54], 1.0
	v_add_f64 v[43:44], v[43:44], -v[55:56]
	v_fma_f64 v[53:54], v[59:60], v[53:54], v[53:54]
	s_delay_alu instid0(VALU_DEP_1) | instskip(NEXT) | instid1(VALU_DEP_1)
	v_fma_f64 v[45:46], -v[51:52], v[53:54], 1.0
	v_fma_f64 v[45:46], v[45:46], v[53:54], v[53:54]
	s_delay_alu instid0(VALU_DEP_1) | instskip(NEXT) | instid1(VALU_DEP_1)
	v_mul_f64 v[53:54], v[57:58], v[45:46]
	v_mul_f64 v[59:60], v[51:52], v[53:54]
	s_delay_alu instid0(VALU_DEP_1) | instskip(NEXT) | instid1(VALU_DEP_1)
	v_fma_f64 v[49:50], v[53:54], v[51:52], -v[59:60]
	v_fma_f64 v[49:50], v[53:54], v[47:48], v[49:50]
	s_delay_alu instid0(VALU_DEP_1) | instskip(NEXT) | instid1(VALU_DEP_1)
	v_add_f64 v[61:62], v[59:60], v[49:50]
	v_add_f64 v[69:70], v[57:58], -v[61:62]
	v_add_f64 v[55:56], v[61:62], -v[59:60]
	s_delay_alu instid0(VALU_DEP_2) | instskip(NEXT) | instid1(VALU_DEP_2)
	v_add_f64 v[57:58], v[57:58], -v[69:70]
	v_add_f64 v[49:50], v[55:56], -v[49:50]
	s_delay_alu instid0(VALU_DEP_2) | instskip(NEXT) | instid1(VALU_DEP_1)
	v_add_f64 v[57:58], v[57:58], -v[61:62]
	v_add_f64 v[43:44], v[43:44], v[57:58]
	s_delay_alu instid0(VALU_DEP_1) | instskip(NEXT) | instid1(VALU_DEP_1)
	v_add_f64 v[43:44], v[49:50], v[43:44]
	v_add_f64 v[49:50], v[69:70], v[43:44]
	s_delay_alu instid0(VALU_DEP_1) | instskip(SKIP_1) | instid1(VALU_DEP_2)
	v_mul_f64 v[55:56], v[45:46], v[49:50]
	v_add_f64 v[61:62], v[69:70], -v[49:50]
	v_mul_f64 v[57:58], v[51:52], v[55:56]
	s_delay_alu instid0(VALU_DEP_2) | instskip(NEXT) | instid1(VALU_DEP_2)
	v_add_f64 v[43:44], v[43:44], v[61:62]
	v_fma_f64 v[51:52], v[55:56], v[51:52], -v[57:58]
	s_delay_alu instid0(VALU_DEP_1) | instskip(NEXT) | instid1(VALU_DEP_1)
	v_fma_f64 v[47:48], v[55:56], v[47:48], v[51:52]
	v_add_f64 v[51:52], v[57:58], v[47:48]
	s_delay_alu instid0(VALU_DEP_1) | instskip(SKIP_1) | instid1(VALU_DEP_2)
	v_add_f64 v[59:60], v[49:50], -v[51:52]
	v_add_f64 v[57:58], v[51:52], -v[57:58]
	;; [unrolled: 1-line block ×3, first 2 shown]
	s_delay_alu instid0(VALU_DEP_2) | instskip(NEXT) | instid1(VALU_DEP_2)
	v_add_f64 v[47:48], v[57:58], -v[47:48]
	v_add_f64 v[49:50], v[49:50], -v[51:52]
	s_delay_alu instid0(VALU_DEP_1) | instskip(SKIP_1) | instid1(VALU_DEP_2)
	v_add_f64 v[43:44], v[43:44], v[49:50]
	v_add_f64 v[49:50], v[53:54], v[55:56]
	;; [unrolled: 1-line block ×3, first 2 shown]
	s_delay_alu instid0(VALU_DEP_2) | instskip(NEXT) | instid1(VALU_DEP_2)
	v_add_f64 v[47:48], v[49:50], -v[53:54]
	v_add_f64 v[43:44], v[59:60], v[43:44]
	s_delay_alu instid0(VALU_DEP_2) | instskip(NEXT) | instid1(VALU_DEP_2)
	v_add_f64 v[47:48], v[55:56], -v[47:48]
	v_mul_f64 v[43:44], v[45:46], v[43:44]
	s_delay_alu instid0(VALU_DEP_1) | instskip(NEXT) | instid1(VALU_DEP_1)
	v_add_f64 v[43:44], v[47:48], v[43:44]
	v_add_f64 v[45:46], v[49:50], v[43:44]
	s_delay_alu instid0(VALU_DEP_1) | instskip(NEXT) | instid1(VALU_DEP_1)
	v_mul_f64 v[47:48], v[45:46], v[45:46]
	v_fma_f64 v[51:52], v[47:48], s[30:31], s[28:29]
	s_mov_b32 s28, 0xd7f4df2e
	s_mov_b32 s29, 0x3fc7474d
	v_mul_f64 v[53:54], v[45:46], v[47:48]
	s_delay_alu instid0(VALU_DEP_2)
	v_fma_f64 v[51:52], v[47:48], v[51:52], s[28:29]
	s_mov_b32 s28, 0x16291751
	s_mov_b32 s29, 0x3fcc71c0
	s_delay_alu instid0(VALU_DEP_1) | instid1(SALU_CYCLE_1)
	v_fma_f64 v[51:52], v[47:48], v[51:52], s[28:29]
	s_mov_b32 s28, 0x9b27acf1
	s_mov_b32 s29, 0x3fd24924
	s_delay_alu instid0(VALU_DEP_1) | instid1(SALU_CYCLE_1)
	;; [unrolled: 4-line block ×3, first 2 shown]
	v_fma_f64 v[51:52], v[47:48], v[51:52], s[28:29]
	s_delay_alu instid0(VALU_DEP_1) | instskip(SKIP_3) | instid1(VALU_DEP_4)
	v_fma_f64 v[47:48], v[47:48], v[51:52], s[20:21]
	v_ldexp_f64 v[51:52], v[45:46], 1
	v_add_f64 v[45:46], v[45:46], -v[49:50]
	v_cmp_eq_f64_e64 s20, 0x7ff00000, v[41:42]
	v_mul_f64 v[47:48], v[53:54], v[47:48]
	v_cvt_f64_i32_e32 v[53:54], v71
	s_delay_alu instid0(VALU_DEP_4) | instskip(NEXT) | instid1(VALU_DEP_3)
	v_add_f64 v[43:44], v[43:44], -v[45:46]
	v_add_f64 v[49:50], v[51:52], v[47:48]
	s_delay_alu instid0(VALU_DEP_3) | instskip(NEXT) | instid1(VALU_DEP_3)
	v_mul_f64 v[55:56], v[53:54], s[22:23]
	v_ldexp_f64 v[43:44], v[43:44], 1
	s_delay_alu instid0(VALU_DEP_3) | instskip(NEXT) | instid1(VALU_DEP_3)
	v_add_f64 v[45:46], v[49:50], -v[51:52]
	v_fma_f64 v[51:52], v[53:54], s[22:23], -v[55:56]
	s_delay_alu instid0(VALU_DEP_2) | instskip(NEXT) | instid1(VALU_DEP_2)
	v_add_f64 v[45:46], v[47:48], -v[45:46]
	v_fma_f64 v[47:48], v[53:54], s[24:25], v[51:52]
	s_delay_alu instid0(VALU_DEP_2) | instskip(NEXT) | instid1(VALU_DEP_2)
	v_add_f64 v[43:44], v[43:44], v[45:46]
	v_add_f64 v[45:46], v[55:56], v[47:48]
	s_delay_alu instid0(VALU_DEP_2) | instskip(NEXT) | instid1(VALU_DEP_2)
	v_add_f64 v[51:52], v[49:50], v[43:44]
	v_add_f64 v[55:56], v[45:46], -v[55:56]
	s_delay_alu instid0(VALU_DEP_2) | instskip(SKIP_1) | instid1(VALU_DEP_3)
	v_add_f64 v[53:54], v[45:46], v[51:52]
	v_add_f64 v[49:50], v[51:52], -v[49:50]
	v_add_f64 v[47:48], v[47:48], -v[55:56]
	s_delay_alu instid0(VALU_DEP_3) | instskip(NEXT) | instid1(VALU_DEP_3)
	v_add_f64 v[57:58], v[53:54], -v[45:46]
	v_add_f64 v[43:44], v[43:44], -v[49:50]
	s_delay_alu instid0(VALU_DEP_2) | instskip(SKIP_1) | instid1(VALU_DEP_3)
	v_add_f64 v[59:60], v[53:54], -v[57:58]
	v_add_f64 v[49:50], v[51:52], -v[57:58]
	v_add_f64 v[51:52], v[47:48], v[43:44]
	s_delay_alu instid0(VALU_DEP_3) | instskip(NEXT) | instid1(VALU_DEP_1)
	v_add_f64 v[45:46], v[45:46], -v[59:60]
	v_add_f64 v[45:46], v[49:50], v[45:46]
	s_delay_alu instid0(VALU_DEP_3) | instskip(NEXT) | instid1(VALU_DEP_2)
	v_add_f64 v[49:50], v[51:52], -v[47:48]
	v_add_f64 v[45:46], v[51:52], v[45:46]
	s_delay_alu instid0(VALU_DEP_2) | instskip(SKIP_1) | instid1(VALU_DEP_3)
	v_add_f64 v[51:52], v[51:52], -v[49:50]
	v_add_f64 v[43:44], v[43:44], -v[49:50]
	v_add_f64 v[55:56], v[53:54], v[45:46]
	s_delay_alu instid0(VALU_DEP_3) | instskip(NEXT) | instid1(VALU_DEP_2)
	v_add_f64 v[47:48], v[47:48], -v[51:52]
	v_add_f64 v[49:50], v[55:56], -v[53:54]
	s_delay_alu instid0(VALU_DEP_2) | instskip(NEXT) | instid1(VALU_DEP_2)
	v_add_f64 v[43:44], v[43:44], v[47:48]
	v_add_f64 v[45:46], v[45:46], -v[49:50]
	s_delay_alu instid0(VALU_DEP_1) | instskip(NEXT) | instid1(VALU_DEP_1)
	v_add_f64 v[43:44], v[43:44], v[45:46]
	v_add_f64 v[43:44], v[55:56], v[43:44]
	s_delay_alu instid0(VALU_DEP_1) | instskip(NEXT) | instid1(VALU_DEP_2)
	v_cndmask_b32_e64 v43, v43, v41, s20
	v_cndmask_b32_e64 v44, v44, v42, s20
	v_cmp_ngt_f64_e64 s20, -1.0, v[41:42]
	s_delay_alu instid0(VALU_DEP_1) | instskip(SKIP_1) | instid1(VALU_DEP_1)
	v_cndmask_b32_e64 v44, 0x7ff80000, v44, s20
	v_cmp_nge_f64_e64 s20, -1.0, v[41:42]
	v_cndmask_b32_e64 v43, 0, v43, s20
	v_cmp_neq_f64_e64 s20, -1.0, v[41:42]
	s_delay_alu instid0(VALU_DEP_1) | instskip(NEXT) | instid1(VALU_DEP_1)
	v_cndmask_b32_e64 v44, 0xfff00000, v44, s20
	v_add_f64 v[69:70], v[39:40], v[43:44]
.LBB46_38:
	s_or_b32 exec_lo, exec_lo, s26
	v_max_f64 v[39:40], v[25:26], v[25:26]
	s_delay_alu instid0(VALU_DEP_2) | instskip(SKIP_2) | instid1(VALU_DEP_3)
	v_max_f64 v[41:42], v[69:70], v[69:70]
	v_cmp_u_f64_e64 s21, v[69:70], v[69:70]
	v_cmp_u_f64_e64 s20, v[25:26], v[25:26]
	v_min_f64 v[43:44], v[41:42], v[39:40]
	v_max_f64 v[41:42], v[41:42], v[39:40]
	s_delay_alu instid0(VALU_DEP_2) | instskip(NEXT) | instid1(VALU_DEP_3)
	v_cndmask_b32_e64 v43, v43, v69, s21
	v_cndmask_b32_e64 v44, v44, v70, s21
	s_delay_alu instid0(VALU_DEP_3) | instskip(NEXT) | instid1(VALU_DEP_4)
	v_cndmask_b32_e64 v42, v42, v70, s21
	v_cndmask_b32_e64 v41, v41, v69, s21
	s_delay_alu instid0(VALU_DEP_4) | instskip(NEXT) | instid1(VALU_DEP_4)
	v_cndmask_b32_e64 v43, v43, v25, s20
	v_cndmask_b32_e64 v44, v44, v26, s20
	s_delay_alu instid0(VALU_DEP_4) | instskip(NEXT) | instid1(VALU_DEP_4)
	v_cndmask_b32_e64 v42, v42, v26, s20
	v_cndmask_b32_e64 v41, v41, v25, s20
	s_delay_alu instid0(VALU_DEP_3) | instskip(NEXT) | instid1(VALU_DEP_2)
	v_cmp_class_f64_e64 s22, v[43:44], 0x1f8
	v_cmp_neq_f64_e64 s21, v[43:44], v[41:42]
	s_delay_alu instid0(VALU_DEP_1) | instskip(NEXT) | instid1(SALU_CYCLE_1)
	s_or_b32 s21, s21, s22
	s_and_saveexec_b32 s28, s21
	s_cbranch_execz .LBB46_40
; %bb.39:
	v_add_f64 v[43:44], v[43:44], -v[41:42]
	s_mov_b32 s22, 0x652b82fe
	s_mov_b32 s23, 0x3ff71547
	;; [unrolled: 1-line block ×10, first 2 shown]
	s_delay_alu instid0(VALU_DEP_1) | instskip(SKIP_3) | instid1(VALU_DEP_2)
	v_mul_f64 v[45:46], v[43:44], s[22:23]
	s_mov_b32 s22, 0xfca7ab0c
	s_mov_b32 s23, 0x3e928af3
	v_cmp_nlt_f64_e64 s21, 0x40900000, v[43:44]
	v_rndne_f64_e32 v[45:46], v[45:46]
	s_delay_alu instid0(VALU_DEP_1) | instskip(SKIP_2) | instid1(VALU_DEP_2)
	v_fma_f64 v[47:48], v[45:46], s[24:25], v[43:44]
	v_cvt_i32_f64_e32 v51, v[45:46]
	s_mov_b32 s25, 0x3fe62e42
	v_fma_f64 v[47:48], v[45:46], s[26:27], v[47:48]
	s_mov_b32 s27, 0x3c7abc9e
	s_delay_alu instid0(VALU_DEP_1) | instskip(SKIP_4) | instid1(VALU_DEP_1)
	v_fma_f64 v[49:50], v[47:48], s[30:31], s[22:23]
	s_mov_b32 s22, 0x623fde64
	s_mov_b32 s23, 0x3ec71dee
	;; [unrolled: 1-line block ×4, first 2 shown]
	v_fma_f64 v[49:50], v[47:48], v[49:50], s[22:23]
	s_mov_b32 s22, 0x7c89e6b0
	s_mov_b32 s23, 0x3efa0199
	s_delay_alu instid0(VALU_DEP_1) | instid1(SALU_CYCLE_1)
	v_fma_f64 v[49:50], v[47:48], v[49:50], s[22:23]
	s_mov_b32 s22, 0x14761f6e
	s_mov_b32 s23, 0x3f2a01a0
	s_delay_alu instid0(VALU_DEP_1) | instid1(SALU_CYCLE_1)
	;; [unrolled: 4-line block ×7, first 2 shown]
	v_fma_f64 v[49:50], v[47:48], v[49:50], s[22:23]
	v_cmp_ngt_f64_e64 s22, 0xc090cc00, v[43:44]
	s_mov_b32 s23, 0x3fe55555
	s_delay_alu instid0(VALU_DEP_2) | instskip(NEXT) | instid1(VALU_DEP_1)
	v_fma_f64 v[49:50], v[47:48], v[49:50], 1.0
	v_fma_f64 v[45:46], v[47:48], v[49:50], 1.0
	s_delay_alu instid0(VALU_DEP_1) | instskip(NEXT) | instid1(VALU_DEP_1)
	v_ldexp_f64 v[45:46], v[45:46], v51
	v_cndmask_b32_e64 v46, 0x7ff00000, v46, s21
	s_and_b32 s21, s22, s21
	s_delay_alu instid0(VALU_DEP_2) | instid1(SALU_CYCLE_1)
	v_cndmask_b32_e64 v43, 0, v45, s21
	s_delay_alu instid0(VALU_DEP_2) | instskip(SKIP_1) | instid1(VALU_DEP_1)
	v_cndmask_b32_e64 v44, 0, v46, s22
	s_mov_b32 s22, 0x55555555
	v_add_f64 v[45:46], v[43:44], 1.0
	s_delay_alu instid0(VALU_DEP_1) | instskip(SKIP_2) | instid1(VALU_DEP_3)
	v_frexp_mant_f64_e32 v[47:48], v[45:46]
	v_frexp_exp_i32_f64_e32 v51, v[45:46]
	v_add_f64 v[49:50], v[45:46], -1.0
	v_cmp_gt_f64_e64 s21, s[22:23], v[47:48]
	s_mov_b32 s22, 0x55555780
	s_delay_alu instid0(VALU_DEP_2) | instskip(SKIP_1) | instid1(VALU_DEP_3)
	v_add_f64 v[47:48], v[49:50], -v[45:46]
	v_add_f64 v[49:50], v[43:44], -v[49:50]
	v_subrev_co_ci_u32_e64 v73, s21, 0, v51, s21
	s_delay_alu instid0(VALU_DEP_3) | instskip(SKIP_1) | instid1(VALU_DEP_3)
	v_add_f64 v[47:48], v[47:48], 1.0
	v_cmp_eq_f64_e64 s21, 0x7ff00000, v[43:44]
	v_sub_nc_u32_e32 v53, 0, v73
	s_delay_alu instid0(VALU_DEP_1) | instskip(NEXT) | instid1(VALU_DEP_4)
	v_ldexp_f64 v[45:46], v[45:46], v53
	v_add_f64 v[47:48], v[49:50], v[47:48]
	s_delay_alu instid0(VALU_DEP_2) | instskip(SKIP_1) | instid1(VALU_DEP_3)
	v_add_f64 v[51:52], v[45:46], 1.0
	v_add_f64 v[57:58], v[45:46], -1.0
	v_ldexp_f64 v[47:48], v[47:48], v53
	s_delay_alu instid0(VALU_DEP_3) | instskip(NEXT) | instid1(VALU_DEP_3)
	v_add_f64 v[49:50], v[51:52], -1.0
	v_add_f64 v[59:60], v[57:58], 1.0
	s_delay_alu instid0(VALU_DEP_2) | instskip(NEXT) | instid1(VALU_DEP_2)
	v_add_f64 v[49:50], v[45:46], -v[49:50]
	v_add_f64 v[45:46], v[45:46], -v[59:60]
	s_delay_alu instid0(VALU_DEP_2) | instskip(NEXT) | instid1(VALU_DEP_2)
	v_add_f64 v[49:50], v[47:48], v[49:50]
	v_add_f64 v[45:46], v[47:48], v[45:46]
	s_delay_alu instid0(VALU_DEP_2) | instskip(NEXT) | instid1(VALU_DEP_2)
	v_add_f64 v[53:54], v[51:52], v[49:50]
	v_add_f64 v[59:60], v[57:58], v[45:46]
	s_delay_alu instid0(VALU_DEP_2) | instskip(SKIP_1) | instid1(VALU_DEP_2)
	v_rcp_f64_e32 v[55:56], v[53:54]
	v_add_f64 v[51:52], v[53:54], -v[51:52]
	v_add_f64 v[57:58], v[59:60], -v[57:58]
	s_delay_alu instid0(VALU_DEP_2) | instskip(SKIP_3) | instid1(VALU_DEP_2)
	v_add_f64 v[49:50], v[49:50], -v[51:52]
	s_waitcnt_depctr 0xfff
	v_fma_f64 v[61:62], -v[53:54], v[55:56], 1.0
	v_add_f64 v[45:46], v[45:46], -v[57:58]
	v_fma_f64 v[55:56], v[61:62], v[55:56], v[55:56]
	s_delay_alu instid0(VALU_DEP_1) | instskip(NEXT) | instid1(VALU_DEP_1)
	v_fma_f64 v[47:48], -v[53:54], v[55:56], 1.0
	v_fma_f64 v[47:48], v[47:48], v[55:56], v[55:56]
	s_delay_alu instid0(VALU_DEP_1) | instskip(NEXT) | instid1(VALU_DEP_1)
	v_mul_f64 v[55:56], v[59:60], v[47:48]
	v_mul_f64 v[61:62], v[53:54], v[55:56]
	s_delay_alu instid0(VALU_DEP_1) | instskip(NEXT) | instid1(VALU_DEP_1)
	v_fma_f64 v[51:52], v[55:56], v[53:54], -v[61:62]
	v_fma_f64 v[51:52], v[55:56], v[49:50], v[51:52]
	s_delay_alu instid0(VALU_DEP_1) | instskip(NEXT) | instid1(VALU_DEP_1)
	v_add_f64 v[69:70], v[61:62], v[51:52]
	v_add_f64 v[71:72], v[59:60], -v[69:70]
	v_add_f64 v[57:58], v[69:70], -v[61:62]
	s_delay_alu instid0(VALU_DEP_2) | instskip(NEXT) | instid1(VALU_DEP_2)
	v_add_f64 v[59:60], v[59:60], -v[71:72]
	v_add_f64 v[51:52], v[57:58], -v[51:52]
	s_delay_alu instid0(VALU_DEP_2) | instskip(NEXT) | instid1(VALU_DEP_1)
	v_add_f64 v[59:60], v[59:60], -v[69:70]
	v_add_f64 v[45:46], v[45:46], v[59:60]
	s_delay_alu instid0(VALU_DEP_1) | instskip(NEXT) | instid1(VALU_DEP_1)
	v_add_f64 v[45:46], v[51:52], v[45:46]
	v_add_f64 v[51:52], v[71:72], v[45:46]
	s_delay_alu instid0(VALU_DEP_1) | instskip(SKIP_1) | instid1(VALU_DEP_2)
	v_mul_f64 v[57:58], v[47:48], v[51:52]
	v_add_f64 v[69:70], v[71:72], -v[51:52]
	v_mul_f64 v[59:60], v[53:54], v[57:58]
	s_delay_alu instid0(VALU_DEP_2) | instskip(NEXT) | instid1(VALU_DEP_2)
	v_add_f64 v[45:46], v[45:46], v[69:70]
	v_fma_f64 v[53:54], v[57:58], v[53:54], -v[59:60]
	s_delay_alu instid0(VALU_DEP_1) | instskip(NEXT) | instid1(VALU_DEP_1)
	v_fma_f64 v[49:50], v[57:58], v[49:50], v[53:54]
	v_add_f64 v[53:54], v[59:60], v[49:50]
	s_delay_alu instid0(VALU_DEP_1) | instskip(SKIP_1) | instid1(VALU_DEP_2)
	v_add_f64 v[61:62], v[51:52], -v[53:54]
	v_add_f64 v[59:60], v[53:54], -v[59:60]
	;; [unrolled: 1-line block ×3, first 2 shown]
	s_delay_alu instid0(VALU_DEP_2) | instskip(NEXT) | instid1(VALU_DEP_2)
	v_add_f64 v[49:50], v[59:60], -v[49:50]
	v_add_f64 v[51:52], v[51:52], -v[53:54]
	s_delay_alu instid0(VALU_DEP_1) | instskip(SKIP_1) | instid1(VALU_DEP_2)
	v_add_f64 v[45:46], v[45:46], v[51:52]
	v_add_f64 v[51:52], v[55:56], v[57:58]
	;; [unrolled: 1-line block ×3, first 2 shown]
	s_delay_alu instid0(VALU_DEP_2) | instskip(NEXT) | instid1(VALU_DEP_2)
	v_add_f64 v[49:50], v[51:52], -v[55:56]
	v_add_f64 v[45:46], v[61:62], v[45:46]
	s_delay_alu instid0(VALU_DEP_2) | instskip(NEXT) | instid1(VALU_DEP_2)
	v_add_f64 v[49:50], v[57:58], -v[49:50]
	v_mul_f64 v[45:46], v[47:48], v[45:46]
	s_delay_alu instid0(VALU_DEP_1) | instskip(NEXT) | instid1(VALU_DEP_1)
	v_add_f64 v[45:46], v[49:50], v[45:46]
	v_add_f64 v[47:48], v[51:52], v[45:46]
	s_delay_alu instid0(VALU_DEP_1) | instskip(NEXT) | instid1(VALU_DEP_1)
	v_mul_f64 v[49:50], v[47:48], v[47:48]
	v_fma_f64 v[53:54], v[49:50], s[34:35], s[30:31]
	s_mov_b32 s30, 0xd7f4df2e
	s_mov_b32 s31, 0x3fc7474d
	v_mul_f64 v[55:56], v[47:48], v[49:50]
	s_delay_alu instid0(VALU_DEP_2)
	v_fma_f64 v[53:54], v[49:50], v[53:54], s[30:31]
	s_mov_b32 s30, 0x16291751
	s_mov_b32 s31, 0x3fcc71c0
	s_delay_alu instid0(VALU_DEP_1) | instid1(SALU_CYCLE_1)
	v_fma_f64 v[53:54], v[49:50], v[53:54], s[30:31]
	s_mov_b32 s30, 0x9b27acf1
	s_mov_b32 s31, 0x3fd24924
	s_delay_alu instid0(VALU_DEP_1) | instid1(SALU_CYCLE_1)
	;; [unrolled: 4-line block ×3, first 2 shown]
	v_fma_f64 v[53:54], v[49:50], v[53:54], s[30:31]
	s_delay_alu instid0(VALU_DEP_1) | instskip(SKIP_2) | instid1(VALU_DEP_3)
	v_fma_f64 v[49:50], v[49:50], v[53:54], s[22:23]
	v_ldexp_f64 v[53:54], v[47:48], 1
	v_add_f64 v[47:48], v[47:48], -v[51:52]
	v_mul_f64 v[49:50], v[55:56], v[49:50]
	v_cvt_f64_i32_e32 v[55:56], v73
	s_delay_alu instid0(VALU_DEP_3) | instskip(NEXT) | instid1(VALU_DEP_3)
	v_add_f64 v[45:46], v[45:46], -v[47:48]
	v_add_f64 v[51:52], v[53:54], v[49:50]
	s_delay_alu instid0(VALU_DEP_3) | instskip(NEXT) | instid1(VALU_DEP_3)
	v_mul_f64 v[57:58], v[55:56], s[24:25]
	v_ldexp_f64 v[45:46], v[45:46], 1
	s_delay_alu instid0(VALU_DEP_3) | instskip(NEXT) | instid1(VALU_DEP_3)
	v_add_f64 v[47:48], v[51:52], -v[53:54]
	v_fma_f64 v[53:54], v[55:56], s[24:25], -v[57:58]
	s_delay_alu instid0(VALU_DEP_2) | instskip(NEXT) | instid1(VALU_DEP_2)
	v_add_f64 v[47:48], v[49:50], -v[47:48]
	v_fma_f64 v[49:50], v[55:56], s[26:27], v[53:54]
	s_delay_alu instid0(VALU_DEP_2) | instskip(NEXT) | instid1(VALU_DEP_2)
	v_add_f64 v[45:46], v[45:46], v[47:48]
	v_add_f64 v[47:48], v[57:58], v[49:50]
	s_delay_alu instid0(VALU_DEP_2) | instskip(NEXT) | instid1(VALU_DEP_2)
	v_add_f64 v[53:54], v[51:52], v[45:46]
	v_add_f64 v[57:58], v[47:48], -v[57:58]
	s_delay_alu instid0(VALU_DEP_2) | instskip(SKIP_1) | instid1(VALU_DEP_3)
	v_add_f64 v[55:56], v[47:48], v[53:54]
	v_add_f64 v[51:52], v[53:54], -v[51:52]
	v_add_f64 v[49:50], v[49:50], -v[57:58]
	s_delay_alu instid0(VALU_DEP_3) | instskip(NEXT) | instid1(VALU_DEP_3)
	v_add_f64 v[59:60], v[55:56], -v[47:48]
	v_add_f64 v[45:46], v[45:46], -v[51:52]
	s_delay_alu instid0(VALU_DEP_2) | instskip(SKIP_1) | instid1(VALU_DEP_3)
	v_add_f64 v[61:62], v[55:56], -v[59:60]
	v_add_f64 v[51:52], v[53:54], -v[59:60]
	v_add_f64 v[53:54], v[49:50], v[45:46]
	s_delay_alu instid0(VALU_DEP_3) | instskip(NEXT) | instid1(VALU_DEP_1)
	v_add_f64 v[47:48], v[47:48], -v[61:62]
	v_add_f64 v[47:48], v[51:52], v[47:48]
	s_delay_alu instid0(VALU_DEP_3) | instskip(NEXT) | instid1(VALU_DEP_2)
	v_add_f64 v[51:52], v[53:54], -v[49:50]
	v_add_f64 v[47:48], v[53:54], v[47:48]
	s_delay_alu instid0(VALU_DEP_2) | instskip(SKIP_1) | instid1(VALU_DEP_3)
	v_add_f64 v[53:54], v[53:54], -v[51:52]
	v_add_f64 v[45:46], v[45:46], -v[51:52]
	v_add_f64 v[57:58], v[55:56], v[47:48]
	s_delay_alu instid0(VALU_DEP_3) | instskip(NEXT) | instid1(VALU_DEP_2)
	v_add_f64 v[49:50], v[49:50], -v[53:54]
	v_add_f64 v[51:52], v[57:58], -v[55:56]
	s_delay_alu instid0(VALU_DEP_2) | instskip(NEXT) | instid1(VALU_DEP_2)
	v_add_f64 v[45:46], v[45:46], v[49:50]
	v_add_f64 v[47:48], v[47:48], -v[51:52]
	s_delay_alu instid0(VALU_DEP_1) | instskip(NEXT) | instid1(VALU_DEP_1)
	v_add_f64 v[45:46], v[45:46], v[47:48]
	v_add_f64 v[45:46], v[57:58], v[45:46]
	s_delay_alu instid0(VALU_DEP_1) | instskip(NEXT) | instid1(VALU_DEP_2)
	v_cndmask_b32_e64 v45, v45, v43, s21
	v_cndmask_b32_e64 v46, v46, v44, s21
	v_cmp_ngt_f64_e64 s21, -1.0, v[43:44]
	s_delay_alu instid0(VALU_DEP_1) | instskip(SKIP_1) | instid1(VALU_DEP_1)
	v_cndmask_b32_e64 v46, 0x7ff80000, v46, s21
	v_cmp_nge_f64_e64 s21, -1.0, v[43:44]
	v_cndmask_b32_e64 v45, 0, v45, s21
	v_cmp_neq_f64_e64 s21, -1.0, v[43:44]
	s_delay_alu instid0(VALU_DEP_1) | instskip(NEXT) | instid1(VALU_DEP_1)
	v_cndmask_b32_e64 v46, 0xfff00000, v46, s21
	v_add_f64 v[69:70], v[41:42], v[45:46]
.LBB46_40:
	s_or_b32 exec_lo, exec_lo, s28
	v_max_f64 v[41:42], v[27:28], v[27:28]
	s_delay_alu instid0(VALU_DEP_2) | instskip(SKIP_2) | instid1(VALU_DEP_3)
	v_max_f64 v[43:44], v[69:70], v[69:70]
	v_cmp_u_f64_e64 s22, v[69:70], v[69:70]
	v_cmp_u_f64_e64 s21, v[27:28], v[27:28]
	v_min_f64 v[45:46], v[43:44], v[41:42]
	v_max_f64 v[43:44], v[43:44], v[41:42]
	s_delay_alu instid0(VALU_DEP_2) | instskip(NEXT) | instid1(VALU_DEP_3)
	v_cndmask_b32_e64 v45, v45, v69, s22
	v_cndmask_b32_e64 v46, v46, v70, s22
	s_delay_alu instid0(VALU_DEP_3) | instskip(NEXT) | instid1(VALU_DEP_4)
	v_cndmask_b32_e64 v44, v44, v70, s22
	v_cndmask_b32_e64 v43, v43, v69, s22
	s_delay_alu instid0(VALU_DEP_4) | instskip(NEXT) | instid1(VALU_DEP_4)
	v_cndmask_b32_e64 v45, v45, v27, s21
	v_cndmask_b32_e64 v46, v46, v28, s21
	s_delay_alu instid0(VALU_DEP_4) | instskip(NEXT) | instid1(VALU_DEP_4)
	v_cndmask_b32_e64 v44, v44, v28, s21
	v_cndmask_b32_e64 v43, v43, v27, s21
	s_delay_alu instid0(VALU_DEP_3) | instskip(NEXT) | instid1(VALU_DEP_2)
	v_cmp_class_f64_e64 s23, v[45:46], 0x1f8
	v_cmp_neq_f64_e64 s22, v[45:46], v[43:44]
	s_delay_alu instid0(VALU_DEP_1) | instskip(NEXT) | instid1(SALU_CYCLE_1)
	s_or_b32 s22, s22, s23
	s_and_saveexec_b32 s28, s22
	s_cbranch_execz .LBB46_42
; %bb.41:
	v_add_f64 v[45:46], v[45:46], -v[43:44]
	s_mov_b32 s22, 0x652b82fe
	s_mov_b32 s23, 0x3ff71547
	;; [unrolled: 1-line block ×10, first 2 shown]
	s_delay_alu instid0(VALU_DEP_1) | instskip(SKIP_2) | instid1(VALU_DEP_1)
	v_mul_f64 v[47:48], v[45:46], s[22:23]
	s_mov_b32 s22, 0xfca7ab0c
	s_mov_b32 s23, 0x3e928af3
	v_rndne_f64_e32 v[47:48], v[47:48]
	s_delay_alu instid0(VALU_DEP_1) | instskip(SKIP_2) | instid1(VALU_DEP_2)
	v_fma_f64 v[49:50], v[47:48], s[24:25], v[45:46]
	v_cvt_i32_f64_e32 v53, v[47:48]
	s_mov_b32 s25, 0x3fe62e42
	v_fma_f64 v[49:50], v[47:48], s[26:27], v[49:50]
	s_mov_b32 s27, 0x3c7abc9e
	s_delay_alu instid0(VALU_DEP_1) | instskip(SKIP_4) | instid1(VALU_DEP_1)
	v_fma_f64 v[51:52], v[49:50], s[30:31], s[22:23]
	s_mov_b32 s22, 0x623fde64
	s_mov_b32 s23, 0x3ec71dee
	;; [unrolled: 1-line block ×4, first 2 shown]
	v_fma_f64 v[51:52], v[49:50], v[51:52], s[22:23]
	s_mov_b32 s22, 0x7c89e6b0
	s_mov_b32 s23, 0x3efa0199
	s_delay_alu instid0(VALU_DEP_1) | instid1(SALU_CYCLE_1)
	v_fma_f64 v[51:52], v[49:50], v[51:52], s[22:23]
	s_mov_b32 s22, 0x14761f6e
	s_mov_b32 s23, 0x3f2a01a0
	s_delay_alu instid0(VALU_DEP_1) | instid1(SALU_CYCLE_1)
	;; [unrolled: 4-line block ×7, first 2 shown]
	v_fma_f64 v[51:52], v[49:50], v[51:52], s[22:23]
	v_cmp_nlt_f64_e64 s22, 0x40900000, v[45:46]
	v_cmp_ngt_f64_e64 s23, 0xc090cc00, v[45:46]
	s_delay_alu instid0(VALU_DEP_3) | instskip(NEXT) | instid1(VALU_DEP_1)
	v_fma_f64 v[51:52], v[49:50], v[51:52], 1.0
	v_fma_f64 v[47:48], v[49:50], v[51:52], 1.0
	s_delay_alu instid0(VALU_DEP_1) | instskip(NEXT) | instid1(VALU_DEP_1)
	v_ldexp_f64 v[47:48], v[47:48], v53
	v_cndmask_b32_e64 v48, 0x7ff00000, v48, s22
	s_and_b32 s22, s23, s22
	s_delay_alu instid0(VALU_DEP_2) | instid1(SALU_CYCLE_1)
	v_cndmask_b32_e64 v45, 0, v47, s22
	s_mov_b32 s22, 0x55555555
	s_delay_alu instid0(VALU_DEP_2) | instskip(SKIP_1) | instid1(VALU_DEP_1)
	v_cndmask_b32_e64 v46, 0, v48, s23
	s_mov_b32 s23, 0x3fe55555
	v_add_f64 v[47:48], v[45:46], 1.0
	s_delay_alu instid0(VALU_DEP_1) | instskip(SKIP_2) | instid1(VALU_DEP_3)
	v_frexp_mant_f64_e32 v[49:50], v[47:48]
	v_frexp_exp_i32_f64_e32 v53, v[47:48]
	v_add_f64 v[51:52], v[47:48], -1.0
	v_cmp_gt_f64_e64 s22, s[22:23], v[49:50]
	s_delay_alu instid0(VALU_DEP_2) | instskip(SKIP_1) | instid1(VALU_DEP_3)
	v_add_f64 v[49:50], v[51:52], -v[47:48]
	v_add_f64 v[51:52], v[45:46], -v[51:52]
	v_subrev_co_ci_u32_e64 v75, s22, 0, v53, s22
	s_delay_alu instid0(VALU_DEP_3) | instskip(SKIP_1) | instid1(VALU_DEP_2)
	v_add_f64 v[49:50], v[49:50], 1.0
	s_mov_b32 s22, 0x55555780
	v_sub_nc_u32_e32 v55, 0, v75
	s_delay_alu instid0(VALU_DEP_1) | instskip(NEXT) | instid1(VALU_DEP_3)
	v_ldexp_f64 v[47:48], v[47:48], v55
	v_add_f64 v[49:50], v[51:52], v[49:50]
	s_delay_alu instid0(VALU_DEP_2) | instskip(SKIP_1) | instid1(VALU_DEP_3)
	v_add_f64 v[53:54], v[47:48], 1.0
	v_add_f64 v[59:60], v[47:48], -1.0
	v_ldexp_f64 v[49:50], v[49:50], v55
	s_delay_alu instid0(VALU_DEP_3) | instskip(NEXT) | instid1(VALU_DEP_3)
	v_add_f64 v[51:52], v[53:54], -1.0
	v_add_f64 v[61:62], v[59:60], 1.0
	s_delay_alu instid0(VALU_DEP_2) | instskip(NEXT) | instid1(VALU_DEP_2)
	v_add_f64 v[51:52], v[47:48], -v[51:52]
	v_add_f64 v[47:48], v[47:48], -v[61:62]
	s_delay_alu instid0(VALU_DEP_2) | instskip(NEXT) | instid1(VALU_DEP_2)
	v_add_f64 v[51:52], v[49:50], v[51:52]
	v_add_f64 v[47:48], v[49:50], v[47:48]
	s_delay_alu instid0(VALU_DEP_2) | instskip(NEXT) | instid1(VALU_DEP_2)
	v_add_f64 v[55:56], v[53:54], v[51:52]
	v_add_f64 v[61:62], v[59:60], v[47:48]
	s_delay_alu instid0(VALU_DEP_2) | instskip(SKIP_1) | instid1(VALU_DEP_2)
	v_rcp_f64_e32 v[57:58], v[55:56]
	v_add_f64 v[53:54], v[55:56], -v[53:54]
	v_add_f64 v[59:60], v[61:62], -v[59:60]
	s_delay_alu instid0(VALU_DEP_2) | instskip(SKIP_3) | instid1(VALU_DEP_2)
	v_add_f64 v[51:52], v[51:52], -v[53:54]
	s_waitcnt_depctr 0xfff
	v_fma_f64 v[69:70], -v[55:56], v[57:58], 1.0
	v_add_f64 v[47:48], v[47:48], -v[59:60]
	v_fma_f64 v[57:58], v[69:70], v[57:58], v[57:58]
	s_delay_alu instid0(VALU_DEP_1) | instskip(NEXT) | instid1(VALU_DEP_1)
	v_fma_f64 v[49:50], -v[55:56], v[57:58], 1.0
	v_fma_f64 v[49:50], v[49:50], v[57:58], v[57:58]
	s_delay_alu instid0(VALU_DEP_1) | instskip(NEXT) | instid1(VALU_DEP_1)
	v_mul_f64 v[57:58], v[61:62], v[49:50]
	v_mul_f64 v[69:70], v[55:56], v[57:58]
	s_delay_alu instid0(VALU_DEP_1) | instskip(NEXT) | instid1(VALU_DEP_1)
	v_fma_f64 v[53:54], v[57:58], v[55:56], -v[69:70]
	v_fma_f64 v[53:54], v[57:58], v[51:52], v[53:54]
	s_delay_alu instid0(VALU_DEP_1) | instskip(NEXT) | instid1(VALU_DEP_1)
	v_add_f64 v[71:72], v[69:70], v[53:54]
	v_add_f64 v[73:74], v[61:62], -v[71:72]
	v_add_f64 v[59:60], v[71:72], -v[69:70]
	s_delay_alu instid0(VALU_DEP_2) | instskip(NEXT) | instid1(VALU_DEP_2)
	v_add_f64 v[61:62], v[61:62], -v[73:74]
	v_add_f64 v[53:54], v[59:60], -v[53:54]
	s_delay_alu instid0(VALU_DEP_2) | instskip(NEXT) | instid1(VALU_DEP_1)
	v_add_f64 v[61:62], v[61:62], -v[71:72]
	v_add_f64 v[47:48], v[47:48], v[61:62]
	s_delay_alu instid0(VALU_DEP_1) | instskip(NEXT) | instid1(VALU_DEP_1)
	v_add_f64 v[47:48], v[53:54], v[47:48]
	v_add_f64 v[53:54], v[73:74], v[47:48]
	s_delay_alu instid0(VALU_DEP_1) | instskip(SKIP_1) | instid1(VALU_DEP_2)
	v_mul_f64 v[59:60], v[49:50], v[53:54]
	v_add_f64 v[71:72], v[73:74], -v[53:54]
	v_mul_f64 v[61:62], v[55:56], v[59:60]
	s_delay_alu instid0(VALU_DEP_2) | instskip(NEXT) | instid1(VALU_DEP_2)
	v_add_f64 v[47:48], v[47:48], v[71:72]
	v_fma_f64 v[55:56], v[59:60], v[55:56], -v[61:62]
	s_delay_alu instid0(VALU_DEP_1) | instskip(NEXT) | instid1(VALU_DEP_1)
	v_fma_f64 v[51:52], v[59:60], v[51:52], v[55:56]
	v_add_f64 v[55:56], v[61:62], v[51:52]
	s_delay_alu instid0(VALU_DEP_1) | instskip(SKIP_1) | instid1(VALU_DEP_2)
	v_add_f64 v[69:70], v[53:54], -v[55:56]
	v_add_f64 v[61:62], v[55:56], -v[61:62]
	;; [unrolled: 1-line block ×3, first 2 shown]
	s_delay_alu instid0(VALU_DEP_2) | instskip(NEXT) | instid1(VALU_DEP_2)
	v_add_f64 v[51:52], v[61:62], -v[51:52]
	v_add_f64 v[53:54], v[53:54], -v[55:56]
	s_delay_alu instid0(VALU_DEP_1) | instskip(SKIP_1) | instid1(VALU_DEP_2)
	v_add_f64 v[47:48], v[47:48], v[53:54]
	v_add_f64 v[53:54], v[57:58], v[59:60]
	;; [unrolled: 1-line block ×3, first 2 shown]
	s_delay_alu instid0(VALU_DEP_2) | instskip(NEXT) | instid1(VALU_DEP_2)
	v_add_f64 v[51:52], v[53:54], -v[57:58]
	v_add_f64 v[47:48], v[69:70], v[47:48]
	s_delay_alu instid0(VALU_DEP_2) | instskip(NEXT) | instid1(VALU_DEP_2)
	v_add_f64 v[51:52], v[59:60], -v[51:52]
	v_mul_f64 v[47:48], v[49:50], v[47:48]
	s_delay_alu instid0(VALU_DEP_1) | instskip(NEXT) | instid1(VALU_DEP_1)
	v_add_f64 v[47:48], v[51:52], v[47:48]
	v_add_f64 v[49:50], v[53:54], v[47:48]
	s_delay_alu instid0(VALU_DEP_1) | instskip(NEXT) | instid1(VALU_DEP_1)
	v_mul_f64 v[51:52], v[49:50], v[49:50]
	v_fma_f64 v[55:56], v[51:52], s[34:35], s[30:31]
	s_mov_b32 s30, 0xd7f4df2e
	s_mov_b32 s31, 0x3fc7474d
	v_mul_f64 v[57:58], v[49:50], v[51:52]
	s_delay_alu instid0(VALU_DEP_2)
	v_fma_f64 v[55:56], v[51:52], v[55:56], s[30:31]
	s_mov_b32 s30, 0x16291751
	s_mov_b32 s31, 0x3fcc71c0
	s_delay_alu instid0(VALU_DEP_1) | instid1(SALU_CYCLE_1)
	v_fma_f64 v[55:56], v[51:52], v[55:56], s[30:31]
	s_mov_b32 s30, 0x9b27acf1
	s_mov_b32 s31, 0x3fd24924
	s_delay_alu instid0(VALU_DEP_1) | instid1(SALU_CYCLE_1)
	;; [unrolled: 4-line block ×3, first 2 shown]
	v_fma_f64 v[55:56], v[51:52], v[55:56], s[30:31]
	s_delay_alu instid0(VALU_DEP_1) | instskip(SKIP_3) | instid1(VALU_DEP_4)
	v_fma_f64 v[51:52], v[51:52], v[55:56], s[22:23]
	v_ldexp_f64 v[55:56], v[49:50], 1
	v_add_f64 v[49:50], v[49:50], -v[53:54]
	v_cmp_eq_f64_e64 s22, 0x7ff00000, v[45:46]
	v_mul_f64 v[51:52], v[57:58], v[51:52]
	v_cvt_f64_i32_e32 v[57:58], v75
	s_delay_alu instid0(VALU_DEP_4) | instskip(NEXT) | instid1(VALU_DEP_3)
	v_add_f64 v[47:48], v[47:48], -v[49:50]
	v_add_f64 v[53:54], v[55:56], v[51:52]
	s_delay_alu instid0(VALU_DEP_3) | instskip(NEXT) | instid1(VALU_DEP_3)
	v_mul_f64 v[59:60], v[57:58], s[24:25]
	v_ldexp_f64 v[47:48], v[47:48], 1
	s_delay_alu instid0(VALU_DEP_3) | instskip(NEXT) | instid1(VALU_DEP_3)
	v_add_f64 v[49:50], v[53:54], -v[55:56]
	v_fma_f64 v[55:56], v[57:58], s[24:25], -v[59:60]
	s_delay_alu instid0(VALU_DEP_2) | instskip(NEXT) | instid1(VALU_DEP_2)
	v_add_f64 v[49:50], v[51:52], -v[49:50]
	v_fma_f64 v[51:52], v[57:58], s[26:27], v[55:56]
	s_delay_alu instid0(VALU_DEP_2) | instskip(NEXT) | instid1(VALU_DEP_2)
	v_add_f64 v[47:48], v[47:48], v[49:50]
	v_add_f64 v[49:50], v[59:60], v[51:52]
	s_delay_alu instid0(VALU_DEP_2) | instskip(NEXT) | instid1(VALU_DEP_2)
	v_add_f64 v[55:56], v[53:54], v[47:48]
	v_add_f64 v[59:60], v[49:50], -v[59:60]
	s_delay_alu instid0(VALU_DEP_2) | instskip(SKIP_1) | instid1(VALU_DEP_3)
	v_add_f64 v[57:58], v[49:50], v[55:56]
	v_add_f64 v[53:54], v[55:56], -v[53:54]
	v_add_f64 v[51:52], v[51:52], -v[59:60]
	s_delay_alu instid0(VALU_DEP_3) | instskip(NEXT) | instid1(VALU_DEP_3)
	v_add_f64 v[61:62], v[57:58], -v[49:50]
	v_add_f64 v[47:48], v[47:48], -v[53:54]
	s_delay_alu instid0(VALU_DEP_2) | instskip(SKIP_1) | instid1(VALU_DEP_3)
	v_add_f64 v[69:70], v[57:58], -v[61:62]
	v_add_f64 v[53:54], v[55:56], -v[61:62]
	v_add_f64 v[55:56], v[51:52], v[47:48]
	s_delay_alu instid0(VALU_DEP_3) | instskip(NEXT) | instid1(VALU_DEP_1)
	v_add_f64 v[49:50], v[49:50], -v[69:70]
	v_add_f64 v[49:50], v[53:54], v[49:50]
	s_delay_alu instid0(VALU_DEP_3) | instskip(NEXT) | instid1(VALU_DEP_2)
	v_add_f64 v[53:54], v[55:56], -v[51:52]
	v_add_f64 v[49:50], v[55:56], v[49:50]
	s_delay_alu instid0(VALU_DEP_2) | instskip(SKIP_1) | instid1(VALU_DEP_3)
	v_add_f64 v[55:56], v[55:56], -v[53:54]
	v_add_f64 v[47:48], v[47:48], -v[53:54]
	v_add_f64 v[59:60], v[57:58], v[49:50]
	s_delay_alu instid0(VALU_DEP_3) | instskip(NEXT) | instid1(VALU_DEP_2)
	v_add_f64 v[51:52], v[51:52], -v[55:56]
	v_add_f64 v[53:54], v[59:60], -v[57:58]
	s_delay_alu instid0(VALU_DEP_2) | instskip(NEXT) | instid1(VALU_DEP_2)
	v_add_f64 v[47:48], v[47:48], v[51:52]
	v_add_f64 v[49:50], v[49:50], -v[53:54]
	s_delay_alu instid0(VALU_DEP_1) | instskip(NEXT) | instid1(VALU_DEP_1)
	v_add_f64 v[47:48], v[47:48], v[49:50]
	v_add_f64 v[47:48], v[59:60], v[47:48]
	s_delay_alu instid0(VALU_DEP_1) | instskip(NEXT) | instid1(VALU_DEP_2)
	v_cndmask_b32_e64 v47, v47, v45, s22
	v_cndmask_b32_e64 v48, v48, v46, s22
	v_cmp_ngt_f64_e64 s22, -1.0, v[45:46]
	s_delay_alu instid0(VALU_DEP_1) | instskip(SKIP_1) | instid1(VALU_DEP_1)
	v_cndmask_b32_e64 v48, 0x7ff80000, v48, s22
	v_cmp_nge_f64_e64 s22, -1.0, v[45:46]
	v_cndmask_b32_e64 v47, 0, v47, s22
	v_cmp_neq_f64_e64 s22, -1.0, v[45:46]
	s_delay_alu instid0(VALU_DEP_1) | instskip(NEXT) | instid1(VALU_DEP_1)
	v_cndmask_b32_e64 v48, 0xfff00000, v48, s22
	v_add_f64 v[69:70], v[43:44], v[47:48]
.LBB46_42:
	s_or_b32 exec_lo, exec_lo, s28
	v_max_f64 v[43:44], v[21:22], v[21:22]
	s_delay_alu instid0(VALU_DEP_2) | instskip(SKIP_2) | instid1(VALU_DEP_3)
	v_max_f64 v[45:46], v[69:70], v[69:70]
	v_cmp_u_f64_e64 s23, v[69:70], v[69:70]
	v_cmp_u_f64_e64 s22, v[21:22], v[21:22]
	v_min_f64 v[47:48], v[45:46], v[43:44]
	v_max_f64 v[45:46], v[45:46], v[43:44]
	s_delay_alu instid0(VALU_DEP_2) | instskip(NEXT) | instid1(VALU_DEP_3)
	v_cndmask_b32_e64 v47, v47, v69, s23
	v_cndmask_b32_e64 v48, v48, v70, s23
	s_delay_alu instid0(VALU_DEP_3) | instskip(NEXT) | instid1(VALU_DEP_4)
	v_cndmask_b32_e64 v46, v46, v70, s23
	v_cndmask_b32_e64 v45, v45, v69, s23
	s_delay_alu instid0(VALU_DEP_4) | instskip(NEXT) | instid1(VALU_DEP_4)
	v_cndmask_b32_e64 v47, v47, v21, s22
	v_cndmask_b32_e64 v48, v48, v22, s22
	s_delay_alu instid0(VALU_DEP_4) | instskip(NEXT) | instid1(VALU_DEP_4)
	v_cndmask_b32_e64 v46, v46, v22, s22
	v_cndmask_b32_e64 v45, v45, v21, s22
	s_delay_alu instid0(VALU_DEP_3) | instskip(NEXT) | instid1(VALU_DEP_2)
	v_cmp_class_f64_e64 s24, v[47:48], 0x1f8
	v_cmp_neq_f64_e64 s23, v[47:48], v[45:46]
	s_delay_alu instid0(VALU_DEP_1) | instskip(NEXT) | instid1(SALU_CYCLE_1)
	s_or_b32 s23, s23, s24
	s_and_saveexec_b32 s30, s23
	s_cbranch_execz .LBB46_44
; %bb.43:
	v_add_f64 v[47:48], v[47:48], -v[45:46]
	s_mov_b32 s24, 0x652b82fe
	s_mov_b32 s25, 0x3ff71547
	;; [unrolled: 1-line block ×10, first 2 shown]
	s_delay_alu instid0(VALU_DEP_1) | instskip(SKIP_3) | instid1(VALU_DEP_2)
	v_mul_f64 v[49:50], v[47:48], s[24:25]
	s_mov_b32 s24, 0xfca7ab0c
	s_mov_b32 s25, 0x3e928af3
	v_cmp_nlt_f64_e64 s23, 0x40900000, v[47:48]
	v_rndne_f64_e32 v[49:50], v[49:50]
	s_delay_alu instid0(VALU_DEP_1) | instskip(SKIP_2) | instid1(VALU_DEP_2)
	v_fma_f64 v[51:52], v[49:50], s[26:27], v[47:48]
	v_cvt_i32_f64_e32 v55, v[49:50]
	s_mov_b32 s27, 0x3fe62e42
	v_fma_f64 v[51:52], v[49:50], s[28:29], v[51:52]
	s_mov_b32 s29, 0x3c7abc9e
	s_delay_alu instid0(VALU_DEP_1) | instskip(SKIP_4) | instid1(VALU_DEP_1)
	v_fma_f64 v[53:54], v[51:52], s[34:35], s[24:25]
	s_mov_b32 s24, 0x623fde64
	s_mov_b32 s25, 0x3ec71dee
	;; [unrolled: 1-line block ×4, first 2 shown]
	v_fma_f64 v[53:54], v[51:52], v[53:54], s[24:25]
	s_mov_b32 s24, 0x7c89e6b0
	s_mov_b32 s25, 0x3efa0199
	s_delay_alu instid0(VALU_DEP_1) | instid1(SALU_CYCLE_1)
	v_fma_f64 v[53:54], v[51:52], v[53:54], s[24:25]
	s_mov_b32 s24, 0x14761f6e
	s_mov_b32 s25, 0x3f2a01a0
	s_delay_alu instid0(VALU_DEP_1) | instid1(SALU_CYCLE_1)
	;; [unrolled: 4-line block ×7, first 2 shown]
	v_fma_f64 v[53:54], v[51:52], v[53:54], s[24:25]
	v_cmp_ngt_f64_e64 s24, 0xc090cc00, v[47:48]
	s_mov_b32 s25, 0x3fe55555
	s_delay_alu instid0(VALU_DEP_2) | instskip(NEXT) | instid1(VALU_DEP_1)
	v_fma_f64 v[53:54], v[51:52], v[53:54], 1.0
	v_fma_f64 v[49:50], v[51:52], v[53:54], 1.0
	s_delay_alu instid0(VALU_DEP_1) | instskip(NEXT) | instid1(VALU_DEP_1)
	v_ldexp_f64 v[49:50], v[49:50], v55
	v_cndmask_b32_e64 v50, 0x7ff00000, v50, s23
	s_and_b32 s23, s24, s23
	s_delay_alu instid0(VALU_DEP_2) | instid1(SALU_CYCLE_1)
	v_cndmask_b32_e64 v47, 0, v49, s23
	s_delay_alu instid0(VALU_DEP_2) | instskip(SKIP_1) | instid1(VALU_DEP_1)
	v_cndmask_b32_e64 v48, 0, v50, s24
	s_mov_b32 s24, 0x55555555
	v_add_f64 v[49:50], v[47:48], 1.0
	s_delay_alu instid0(VALU_DEP_1) | instskip(SKIP_2) | instid1(VALU_DEP_3)
	v_frexp_mant_f64_e32 v[51:52], v[49:50]
	v_frexp_exp_i32_f64_e32 v55, v[49:50]
	v_add_f64 v[53:54], v[49:50], -1.0
	v_cmp_gt_f64_e64 s23, s[24:25], v[51:52]
	s_mov_b32 s24, 0x55555780
	s_delay_alu instid0(VALU_DEP_2) | instskip(SKIP_1) | instid1(VALU_DEP_3)
	v_add_f64 v[51:52], v[53:54], -v[49:50]
	v_add_f64 v[53:54], v[47:48], -v[53:54]
	v_subrev_co_ci_u32_e64 v96, s23, 0, v55, s23
	s_delay_alu instid0(VALU_DEP_3) | instskip(SKIP_1) | instid1(VALU_DEP_3)
	v_add_f64 v[51:52], v[51:52], 1.0
	v_cmp_eq_f64_e64 s23, 0x7ff00000, v[47:48]
	v_sub_nc_u32_e32 v57, 0, v96
	s_delay_alu instid0(VALU_DEP_1) | instskip(NEXT) | instid1(VALU_DEP_4)
	v_ldexp_f64 v[49:50], v[49:50], v57
	v_add_f64 v[51:52], v[53:54], v[51:52]
	s_delay_alu instid0(VALU_DEP_2) | instskip(SKIP_1) | instid1(VALU_DEP_3)
	v_add_f64 v[55:56], v[49:50], 1.0
	v_add_f64 v[61:62], v[49:50], -1.0
	v_ldexp_f64 v[51:52], v[51:52], v57
	s_delay_alu instid0(VALU_DEP_3) | instskip(NEXT) | instid1(VALU_DEP_3)
	v_add_f64 v[53:54], v[55:56], -1.0
	v_add_f64 v[69:70], v[61:62], 1.0
	s_delay_alu instid0(VALU_DEP_2) | instskip(NEXT) | instid1(VALU_DEP_2)
	v_add_f64 v[53:54], v[49:50], -v[53:54]
	v_add_f64 v[49:50], v[49:50], -v[69:70]
	s_delay_alu instid0(VALU_DEP_2) | instskip(NEXT) | instid1(VALU_DEP_2)
	v_add_f64 v[53:54], v[51:52], v[53:54]
	v_add_f64 v[49:50], v[51:52], v[49:50]
	s_delay_alu instid0(VALU_DEP_2) | instskip(NEXT) | instid1(VALU_DEP_2)
	v_add_f64 v[57:58], v[55:56], v[53:54]
	v_add_f64 v[69:70], v[61:62], v[49:50]
	s_delay_alu instid0(VALU_DEP_2) | instskip(SKIP_1) | instid1(VALU_DEP_2)
	v_rcp_f64_e32 v[59:60], v[57:58]
	v_add_f64 v[55:56], v[57:58], -v[55:56]
	v_add_f64 v[61:62], v[69:70], -v[61:62]
	s_delay_alu instid0(VALU_DEP_2) | instskip(SKIP_3) | instid1(VALU_DEP_2)
	v_add_f64 v[53:54], v[53:54], -v[55:56]
	s_waitcnt_depctr 0xfff
	v_fma_f64 v[71:72], -v[57:58], v[59:60], 1.0
	v_add_f64 v[49:50], v[49:50], -v[61:62]
	v_fma_f64 v[59:60], v[71:72], v[59:60], v[59:60]
	s_delay_alu instid0(VALU_DEP_1) | instskip(NEXT) | instid1(VALU_DEP_1)
	v_fma_f64 v[51:52], -v[57:58], v[59:60], 1.0
	v_fma_f64 v[51:52], v[51:52], v[59:60], v[59:60]
	s_delay_alu instid0(VALU_DEP_1) | instskip(NEXT) | instid1(VALU_DEP_1)
	v_mul_f64 v[59:60], v[69:70], v[51:52]
	v_mul_f64 v[71:72], v[57:58], v[59:60]
	s_delay_alu instid0(VALU_DEP_1) | instskip(NEXT) | instid1(VALU_DEP_1)
	v_fma_f64 v[55:56], v[59:60], v[57:58], -v[71:72]
	v_fma_f64 v[55:56], v[59:60], v[53:54], v[55:56]
	s_delay_alu instid0(VALU_DEP_1) | instskip(NEXT) | instid1(VALU_DEP_1)
	v_add_f64 v[73:74], v[71:72], v[55:56]
	v_add_f64 v[75:76], v[69:70], -v[73:74]
	v_add_f64 v[61:62], v[73:74], -v[71:72]
	s_delay_alu instid0(VALU_DEP_2) | instskip(NEXT) | instid1(VALU_DEP_2)
	v_add_f64 v[69:70], v[69:70], -v[75:76]
	v_add_f64 v[55:56], v[61:62], -v[55:56]
	s_delay_alu instid0(VALU_DEP_2) | instskip(NEXT) | instid1(VALU_DEP_1)
	v_add_f64 v[69:70], v[69:70], -v[73:74]
	v_add_f64 v[49:50], v[49:50], v[69:70]
	s_delay_alu instid0(VALU_DEP_1) | instskip(NEXT) | instid1(VALU_DEP_1)
	v_add_f64 v[49:50], v[55:56], v[49:50]
	v_add_f64 v[55:56], v[75:76], v[49:50]
	s_delay_alu instid0(VALU_DEP_1) | instskip(SKIP_1) | instid1(VALU_DEP_2)
	v_mul_f64 v[61:62], v[51:52], v[55:56]
	v_add_f64 v[73:74], v[75:76], -v[55:56]
	v_mul_f64 v[69:70], v[57:58], v[61:62]
	s_delay_alu instid0(VALU_DEP_2) | instskip(NEXT) | instid1(VALU_DEP_2)
	v_add_f64 v[49:50], v[49:50], v[73:74]
	v_fma_f64 v[57:58], v[61:62], v[57:58], -v[69:70]
	s_delay_alu instid0(VALU_DEP_1) | instskip(NEXT) | instid1(VALU_DEP_1)
	v_fma_f64 v[53:54], v[61:62], v[53:54], v[57:58]
	v_add_f64 v[57:58], v[69:70], v[53:54]
	s_delay_alu instid0(VALU_DEP_1) | instskip(SKIP_1) | instid1(VALU_DEP_2)
	v_add_f64 v[71:72], v[55:56], -v[57:58]
	v_add_f64 v[69:70], v[57:58], -v[69:70]
	;; [unrolled: 1-line block ×3, first 2 shown]
	s_delay_alu instid0(VALU_DEP_2) | instskip(NEXT) | instid1(VALU_DEP_2)
	v_add_f64 v[53:54], v[69:70], -v[53:54]
	v_add_f64 v[55:56], v[55:56], -v[57:58]
	s_delay_alu instid0(VALU_DEP_1) | instskip(SKIP_1) | instid1(VALU_DEP_2)
	v_add_f64 v[49:50], v[49:50], v[55:56]
	v_add_f64 v[55:56], v[59:60], v[61:62]
	;; [unrolled: 1-line block ×3, first 2 shown]
	s_delay_alu instid0(VALU_DEP_2) | instskip(NEXT) | instid1(VALU_DEP_2)
	v_add_f64 v[53:54], v[55:56], -v[59:60]
	v_add_f64 v[49:50], v[71:72], v[49:50]
	s_delay_alu instid0(VALU_DEP_2) | instskip(NEXT) | instid1(VALU_DEP_2)
	v_add_f64 v[53:54], v[61:62], -v[53:54]
	v_mul_f64 v[49:50], v[51:52], v[49:50]
	s_delay_alu instid0(VALU_DEP_1) | instskip(NEXT) | instid1(VALU_DEP_1)
	v_add_f64 v[49:50], v[53:54], v[49:50]
	v_add_f64 v[51:52], v[55:56], v[49:50]
	s_delay_alu instid0(VALU_DEP_1) | instskip(NEXT) | instid1(VALU_DEP_1)
	v_mul_f64 v[53:54], v[51:52], v[51:52]
	v_fma_f64 v[57:58], v[53:54], s[36:37], s[34:35]
	s_mov_b32 s34, 0xd7f4df2e
	s_mov_b32 s35, 0x3fc7474d
	v_mul_f64 v[59:60], v[51:52], v[53:54]
	s_delay_alu instid0(VALU_DEP_2)
	v_fma_f64 v[57:58], v[53:54], v[57:58], s[34:35]
	s_mov_b32 s34, 0x16291751
	s_mov_b32 s35, 0x3fcc71c0
	s_delay_alu instid0(VALU_DEP_1) | instid1(SALU_CYCLE_1)
	v_fma_f64 v[57:58], v[53:54], v[57:58], s[34:35]
	s_mov_b32 s34, 0x9b27acf1
	s_mov_b32 s35, 0x3fd24924
	s_delay_alu instid0(VALU_DEP_1) | instid1(SALU_CYCLE_1)
	;; [unrolled: 4-line block ×3, first 2 shown]
	v_fma_f64 v[57:58], v[53:54], v[57:58], s[34:35]
	s_delay_alu instid0(VALU_DEP_1) | instskip(SKIP_2) | instid1(VALU_DEP_3)
	v_fma_f64 v[53:54], v[53:54], v[57:58], s[24:25]
	v_ldexp_f64 v[57:58], v[51:52], 1
	v_add_f64 v[51:52], v[51:52], -v[55:56]
	v_mul_f64 v[53:54], v[59:60], v[53:54]
	v_cvt_f64_i32_e32 v[59:60], v96
	s_delay_alu instid0(VALU_DEP_3) | instskip(NEXT) | instid1(VALU_DEP_3)
	v_add_f64 v[49:50], v[49:50], -v[51:52]
	v_add_f64 v[55:56], v[57:58], v[53:54]
	s_delay_alu instid0(VALU_DEP_3) | instskip(NEXT) | instid1(VALU_DEP_3)
	v_mul_f64 v[61:62], v[59:60], s[26:27]
	v_ldexp_f64 v[49:50], v[49:50], 1
	s_delay_alu instid0(VALU_DEP_3) | instskip(NEXT) | instid1(VALU_DEP_3)
	v_add_f64 v[51:52], v[55:56], -v[57:58]
	v_fma_f64 v[57:58], v[59:60], s[26:27], -v[61:62]
	s_delay_alu instid0(VALU_DEP_2) | instskip(NEXT) | instid1(VALU_DEP_2)
	v_add_f64 v[51:52], v[53:54], -v[51:52]
	v_fma_f64 v[53:54], v[59:60], s[28:29], v[57:58]
	s_delay_alu instid0(VALU_DEP_2) | instskip(NEXT) | instid1(VALU_DEP_2)
	v_add_f64 v[49:50], v[49:50], v[51:52]
	v_add_f64 v[51:52], v[61:62], v[53:54]
	s_delay_alu instid0(VALU_DEP_2) | instskip(NEXT) | instid1(VALU_DEP_2)
	v_add_f64 v[57:58], v[55:56], v[49:50]
	v_add_f64 v[61:62], v[51:52], -v[61:62]
	s_delay_alu instid0(VALU_DEP_2) | instskip(SKIP_1) | instid1(VALU_DEP_3)
	v_add_f64 v[59:60], v[51:52], v[57:58]
	v_add_f64 v[55:56], v[57:58], -v[55:56]
	v_add_f64 v[53:54], v[53:54], -v[61:62]
	s_delay_alu instid0(VALU_DEP_3) | instskip(NEXT) | instid1(VALU_DEP_3)
	v_add_f64 v[69:70], v[59:60], -v[51:52]
	v_add_f64 v[49:50], v[49:50], -v[55:56]
	s_delay_alu instid0(VALU_DEP_2) | instskip(SKIP_1) | instid1(VALU_DEP_3)
	v_add_f64 v[71:72], v[59:60], -v[69:70]
	v_add_f64 v[55:56], v[57:58], -v[69:70]
	v_add_f64 v[57:58], v[53:54], v[49:50]
	s_delay_alu instid0(VALU_DEP_3) | instskip(NEXT) | instid1(VALU_DEP_1)
	v_add_f64 v[51:52], v[51:52], -v[71:72]
	v_add_f64 v[51:52], v[55:56], v[51:52]
	s_delay_alu instid0(VALU_DEP_3) | instskip(NEXT) | instid1(VALU_DEP_2)
	v_add_f64 v[55:56], v[57:58], -v[53:54]
	v_add_f64 v[51:52], v[57:58], v[51:52]
	s_delay_alu instid0(VALU_DEP_2) | instskip(SKIP_1) | instid1(VALU_DEP_3)
	v_add_f64 v[57:58], v[57:58], -v[55:56]
	v_add_f64 v[49:50], v[49:50], -v[55:56]
	v_add_f64 v[61:62], v[59:60], v[51:52]
	s_delay_alu instid0(VALU_DEP_3) | instskip(NEXT) | instid1(VALU_DEP_2)
	v_add_f64 v[53:54], v[53:54], -v[57:58]
	v_add_f64 v[55:56], v[61:62], -v[59:60]
	s_delay_alu instid0(VALU_DEP_2) | instskip(NEXT) | instid1(VALU_DEP_2)
	v_add_f64 v[49:50], v[49:50], v[53:54]
	v_add_f64 v[51:52], v[51:52], -v[55:56]
	s_delay_alu instid0(VALU_DEP_1) | instskip(NEXT) | instid1(VALU_DEP_1)
	v_add_f64 v[49:50], v[49:50], v[51:52]
	v_add_f64 v[49:50], v[61:62], v[49:50]
	s_delay_alu instid0(VALU_DEP_1) | instskip(NEXT) | instid1(VALU_DEP_2)
	v_cndmask_b32_e64 v49, v49, v47, s23
	v_cndmask_b32_e64 v50, v50, v48, s23
	v_cmp_ngt_f64_e64 s23, -1.0, v[47:48]
	s_delay_alu instid0(VALU_DEP_1) | instskip(SKIP_1) | instid1(VALU_DEP_1)
	v_cndmask_b32_e64 v50, 0x7ff80000, v50, s23
	v_cmp_nge_f64_e64 s23, -1.0, v[47:48]
	v_cndmask_b32_e64 v49, 0, v49, s23
	v_cmp_neq_f64_e64 s23, -1.0, v[47:48]
	s_delay_alu instid0(VALU_DEP_1) | instskip(NEXT) | instid1(VALU_DEP_1)
	v_cndmask_b32_e64 v50, 0xfff00000, v50, s23
	v_add_f64 v[69:70], v[45:46], v[49:50]
.LBB46_44:
	s_or_b32 exec_lo, exec_lo, s30
	v_max_f64 v[45:46], v[23:24], v[23:24]
	s_delay_alu instid0(VALU_DEP_2) | instskip(SKIP_2) | instid1(VALU_DEP_3)
	v_max_f64 v[47:48], v[69:70], v[69:70]
	v_cmp_u_f64_e64 s24, v[69:70], v[69:70]
	v_cmp_u_f64_e64 s23, v[23:24], v[23:24]
	v_min_f64 v[49:50], v[47:48], v[45:46]
	v_max_f64 v[47:48], v[47:48], v[45:46]
	s_delay_alu instid0(VALU_DEP_2) | instskip(NEXT) | instid1(VALU_DEP_3)
	v_cndmask_b32_e64 v49, v49, v69, s24
	v_cndmask_b32_e64 v50, v50, v70, s24
	s_delay_alu instid0(VALU_DEP_3) | instskip(NEXT) | instid1(VALU_DEP_4)
	v_cndmask_b32_e64 v48, v48, v70, s24
	v_cndmask_b32_e64 v47, v47, v69, s24
	s_delay_alu instid0(VALU_DEP_4) | instskip(NEXT) | instid1(VALU_DEP_4)
	v_cndmask_b32_e64 v49, v49, v23, s23
	v_cndmask_b32_e64 v50, v50, v24, s23
	s_delay_alu instid0(VALU_DEP_4) | instskip(NEXT) | instid1(VALU_DEP_4)
	v_cndmask_b32_e64 v48, v48, v24, s23
	v_cndmask_b32_e64 v47, v47, v23, s23
	s_delay_alu instid0(VALU_DEP_3) | instskip(NEXT) | instid1(VALU_DEP_2)
	v_cmp_class_f64_e64 s25, v[49:50], 0x1f8
	v_cmp_neq_f64_e64 s24, v[49:50], v[47:48]
	s_delay_alu instid0(VALU_DEP_1) | instskip(NEXT) | instid1(SALU_CYCLE_1)
	s_or_b32 s24, s24, s25
	s_and_saveexec_b32 s30, s24
	s_cbranch_execz .LBB46_46
; %bb.45:
	v_add_f64 v[49:50], v[49:50], -v[47:48]
	s_mov_b32 s24, 0x652b82fe
	s_mov_b32 s25, 0x3ff71547
	;; [unrolled: 1-line block ×10, first 2 shown]
	s_delay_alu instid0(VALU_DEP_1) | instskip(SKIP_2) | instid1(VALU_DEP_1)
	v_mul_f64 v[51:52], v[49:50], s[24:25]
	s_mov_b32 s24, 0xfca7ab0c
	s_mov_b32 s25, 0x3e928af3
	v_rndne_f64_e32 v[51:52], v[51:52]
	s_delay_alu instid0(VALU_DEP_1) | instskip(SKIP_2) | instid1(VALU_DEP_2)
	v_fma_f64 v[53:54], v[51:52], s[26:27], v[49:50]
	v_cvt_i32_f64_e32 v57, v[51:52]
	s_mov_b32 s27, 0x3fe62e42
	v_fma_f64 v[53:54], v[51:52], s[28:29], v[53:54]
	s_mov_b32 s29, 0x3c7abc9e
	s_delay_alu instid0(VALU_DEP_1) | instskip(SKIP_4) | instid1(VALU_DEP_1)
	v_fma_f64 v[55:56], v[53:54], s[34:35], s[24:25]
	s_mov_b32 s24, 0x623fde64
	s_mov_b32 s25, 0x3ec71dee
	;; [unrolled: 1-line block ×4, first 2 shown]
	v_fma_f64 v[55:56], v[53:54], v[55:56], s[24:25]
	s_mov_b32 s24, 0x7c89e6b0
	s_mov_b32 s25, 0x3efa0199
	s_delay_alu instid0(VALU_DEP_1) | instid1(SALU_CYCLE_1)
	v_fma_f64 v[55:56], v[53:54], v[55:56], s[24:25]
	s_mov_b32 s24, 0x14761f6e
	s_mov_b32 s25, 0x3f2a01a0
	s_delay_alu instid0(VALU_DEP_1) | instid1(SALU_CYCLE_1)
	;; [unrolled: 4-line block ×7, first 2 shown]
	v_fma_f64 v[55:56], v[53:54], v[55:56], s[24:25]
	v_cmp_nlt_f64_e64 s24, 0x40900000, v[49:50]
	v_cmp_ngt_f64_e64 s25, 0xc090cc00, v[49:50]
	s_delay_alu instid0(VALU_DEP_3) | instskip(NEXT) | instid1(VALU_DEP_1)
	v_fma_f64 v[55:56], v[53:54], v[55:56], 1.0
	v_fma_f64 v[51:52], v[53:54], v[55:56], 1.0
	s_delay_alu instid0(VALU_DEP_1) | instskip(NEXT) | instid1(VALU_DEP_1)
	v_ldexp_f64 v[51:52], v[51:52], v57
	v_cndmask_b32_e64 v52, 0x7ff00000, v52, s24
	s_and_b32 s24, s25, s24
	s_delay_alu instid0(VALU_DEP_2) | instid1(SALU_CYCLE_1)
	v_cndmask_b32_e64 v49, 0, v51, s24
	s_mov_b32 s24, 0x55555555
	s_delay_alu instid0(VALU_DEP_2) | instskip(SKIP_1) | instid1(VALU_DEP_1)
	v_cndmask_b32_e64 v50, 0, v52, s25
	s_mov_b32 s25, 0x3fe55555
	v_add_f64 v[51:52], v[49:50], 1.0
	s_delay_alu instid0(VALU_DEP_1) | instskip(SKIP_2) | instid1(VALU_DEP_3)
	v_frexp_mant_f64_e32 v[53:54], v[51:52]
	v_frexp_exp_i32_f64_e32 v57, v[51:52]
	v_add_f64 v[55:56], v[51:52], -1.0
	v_cmp_gt_f64_e64 s24, s[24:25], v[53:54]
	s_delay_alu instid0(VALU_DEP_2) | instskip(SKIP_1) | instid1(VALU_DEP_3)
	v_add_f64 v[53:54], v[55:56], -v[51:52]
	v_add_f64 v[55:56], v[49:50], -v[55:56]
	v_subrev_co_ci_u32_e64 v98, s24, 0, v57, s24
	s_delay_alu instid0(VALU_DEP_3) | instskip(SKIP_1) | instid1(VALU_DEP_2)
	v_add_f64 v[53:54], v[53:54], 1.0
	s_mov_b32 s24, 0x55555780
	v_sub_nc_u32_e32 v59, 0, v98
	s_delay_alu instid0(VALU_DEP_1) | instskip(NEXT) | instid1(VALU_DEP_3)
	v_ldexp_f64 v[51:52], v[51:52], v59
	v_add_f64 v[53:54], v[55:56], v[53:54]
	s_delay_alu instid0(VALU_DEP_2) | instskip(SKIP_1) | instid1(VALU_DEP_3)
	v_add_f64 v[57:58], v[51:52], 1.0
	v_add_f64 v[69:70], v[51:52], -1.0
	v_ldexp_f64 v[53:54], v[53:54], v59
	s_delay_alu instid0(VALU_DEP_3) | instskip(NEXT) | instid1(VALU_DEP_3)
	v_add_f64 v[55:56], v[57:58], -1.0
	v_add_f64 v[71:72], v[69:70], 1.0
	s_delay_alu instid0(VALU_DEP_2) | instskip(NEXT) | instid1(VALU_DEP_2)
	v_add_f64 v[55:56], v[51:52], -v[55:56]
	v_add_f64 v[51:52], v[51:52], -v[71:72]
	s_delay_alu instid0(VALU_DEP_2) | instskip(NEXT) | instid1(VALU_DEP_2)
	v_add_f64 v[55:56], v[53:54], v[55:56]
	v_add_f64 v[51:52], v[53:54], v[51:52]
	s_delay_alu instid0(VALU_DEP_2) | instskip(NEXT) | instid1(VALU_DEP_2)
	v_add_f64 v[59:60], v[57:58], v[55:56]
	v_add_f64 v[71:72], v[69:70], v[51:52]
	s_delay_alu instid0(VALU_DEP_2) | instskip(SKIP_1) | instid1(VALU_DEP_2)
	v_rcp_f64_e32 v[61:62], v[59:60]
	v_add_f64 v[57:58], v[59:60], -v[57:58]
	v_add_f64 v[69:70], v[71:72], -v[69:70]
	s_delay_alu instid0(VALU_DEP_2) | instskip(SKIP_3) | instid1(VALU_DEP_2)
	v_add_f64 v[55:56], v[55:56], -v[57:58]
	s_waitcnt_depctr 0xfff
	v_fma_f64 v[73:74], -v[59:60], v[61:62], 1.0
	v_add_f64 v[51:52], v[51:52], -v[69:70]
	v_fma_f64 v[61:62], v[73:74], v[61:62], v[61:62]
	s_delay_alu instid0(VALU_DEP_1) | instskip(NEXT) | instid1(VALU_DEP_1)
	v_fma_f64 v[53:54], -v[59:60], v[61:62], 1.0
	v_fma_f64 v[53:54], v[53:54], v[61:62], v[61:62]
	s_delay_alu instid0(VALU_DEP_1) | instskip(NEXT) | instid1(VALU_DEP_1)
	v_mul_f64 v[61:62], v[71:72], v[53:54]
	v_mul_f64 v[73:74], v[59:60], v[61:62]
	s_delay_alu instid0(VALU_DEP_1) | instskip(NEXT) | instid1(VALU_DEP_1)
	v_fma_f64 v[57:58], v[61:62], v[59:60], -v[73:74]
	v_fma_f64 v[57:58], v[61:62], v[55:56], v[57:58]
	s_delay_alu instid0(VALU_DEP_1) | instskip(NEXT) | instid1(VALU_DEP_1)
	v_add_f64 v[75:76], v[73:74], v[57:58]
	v_add_f64 v[96:97], v[71:72], -v[75:76]
	v_add_f64 v[69:70], v[75:76], -v[73:74]
	s_delay_alu instid0(VALU_DEP_2) | instskip(NEXT) | instid1(VALU_DEP_2)
	v_add_f64 v[71:72], v[71:72], -v[96:97]
	v_add_f64 v[57:58], v[69:70], -v[57:58]
	s_delay_alu instid0(VALU_DEP_2) | instskip(NEXT) | instid1(VALU_DEP_1)
	v_add_f64 v[71:72], v[71:72], -v[75:76]
	v_add_f64 v[51:52], v[51:52], v[71:72]
	s_delay_alu instid0(VALU_DEP_1) | instskip(NEXT) | instid1(VALU_DEP_1)
	v_add_f64 v[51:52], v[57:58], v[51:52]
	v_add_f64 v[57:58], v[96:97], v[51:52]
	s_delay_alu instid0(VALU_DEP_1) | instskip(SKIP_1) | instid1(VALU_DEP_2)
	v_mul_f64 v[69:70], v[53:54], v[57:58]
	v_add_f64 v[75:76], v[96:97], -v[57:58]
	v_mul_f64 v[71:72], v[59:60], v[69:70]
	s_delay_alu instid0(VALU_DEP_2) | instskip(NEXT) | instid1(VALU_DEP_2)
	v_add_f64 v[51:52], v[51:52], v[75:76]
	v_fma_f64 v[59:60], v[69:70], v[59:60], -v[71:72]
	s_delay_alu instid0(VALU_DEP_1) | instskip(NEXT) | instid1(VALU_DEP_1)
	v_fma_f64 v[55:56], v[69:70], v[55:56], v[59:60]
	v_add_f64 v[59:60], v[71:72], v[55:56]
	s_delay_alu instid0(VALU_DEP_1) | instskip(SKIP_1) | instid1(VALU_DEP_2)
	v_add_f64 v[73:74], v[57:58], -v[59:60]
	v_add_f64 v[71:72], v[59:60], -v[71:72]
	v_add_f64 v[57:58], v[57:58], -v[73:74]
	s_delay_alu instid0(VALU_DEP_2) | instskip(NEXT) | instid1(VALU_DEP_2)
	v_add_f64 v[55:56], v[71:72], -v[55:56]
	v_add_f64 v[57:58], v[57:58], -v[59:60]
	s_delay_alu instid0(VALU_DEP_1) | instskip(SKIP_1) | instid1(VALU_DEP_2)
	v_add_f64 v[51:52], v[51:52], v[57:58]
	v_add_f64 v[57:58], v[61:62], v[69:70]
	;; [unrolled: 1-line block ×3, first 2 shown]
	s_delay_alu instid0(VALU_DEP_2) | instskip(NEXT) | instid1(VALU_DEP_2)
	v_add_f64 v[55:56], v[57:58], -v[61:62]
	v_add_f64 v[51:52], v[73:74], v[51:52]
	s_delay_alu instid0(VALU_DEP_2) | instskip(NEXT) | instid1(VALU_DEP_2)
	v_add_f64 v[55:56], v[69:70], -v[55:56]
	v_mul_f64 v[51:52], v[53:54], v[51:52]
	s_delay_alu instid0(VALU_DEP_1) | instskip(NEXT) | instid1(VALU_DEP_1)
	v_add_f64 v[51:52], v[55:56], v[51:52]
	v_add_f64 v[53:54], v[57:58], v[51:52]
	s_delay_alu instid0(VALU_DEP_1) | instskip(NEXT) | instid1(VALU_DEP_1)
	v_mul_f64 v[55:56], v[53:54], v[53:54]
	v_fma_f64 v[59:60], v[55:56], s[36:37], s[34:35]
	s_mov_b32 s34, 0xd7f4df2e
	s_mov_b32 s35, 0x3fc7474d
	v_mul_f64 v[61:62], v[53:54], v[55:56]
	s_delay_alu instid0(VALU_DEP_2)
	v_fma_f64 v[59:60], v[55:56], v[59:60], s[34:35]
	s_mov_b32 s34, 0x16291751
	s_mov_b32 s35, 0x3fcc71c0
	s_delay_alu instid0(VALU_DEP_1) | instid1(SALU_CYCLE_1)
	v_fma_f64 v[59:60], v[55:56], v[59:60], s[34:35]
	s_mov_b32 s34, 0x9b27acf1
	s_mov_b32 s35, 0x3fd24924
	s_delay_alu instid0(VALU_DEP_1) | instid1(SALU_CYCLE_1)
	;; [unrolled: 4-line block ×3, first 2 shown]
	v_fma_f64 v[59:60], v[55:56], v[59:60], s[34:35]
	s_delay_alu instid0(VALU_DEP_1) | instskip(SKIP_3) | instid1(VALU_DEP_4)
	v_fma_f64 v[55:56], v[55:56], v[59:60], s[24:25]
	v_ldexp_f64 v[59:60], v[53:54], 1
	v_add_f64 v[53:54], v[53:54], -v[57:58]
	v_cmp_eq_f64_e64 s24, 0x7ff00000, v[49:50]
	v_mul_f64 v[55:56], v[61:62], v[55:56]
	v_cvt_f64_i32_e32 v[61:62], v98
	s_delay_alu instid0(VALU_DEP_4) | instskip(NEXT) | instid1(VALU_DEP_3)
	v_add_f64 v[51:52], v[51:52], -v[53:54]
	v_add_f64 v[57:58], v[59:60], v[55:56]
	s_delay_alu instid0(VALU_DEP_3) | instskip(NEXT) | instid1(VALU_DEP_3)
	v_mul_f64 v[69:70], v[61:62], s[26:27]
	v_ldexp_f64 v[51:52], v[51:52], 1
	s_delay_alu instid0(VALU_DEP_3) | instskip(NEXT) | instid1(VALU_DEP_3)
	v_add_f64 v[53:54], v[57:58], -v[59:60]
	v_fma_f64 v[59:60], v[61:62], s[26:27], -v[69:70]
	s_delay_alu instid0(VALU_DEP_2) | instskip(NEXT) | instid1(VALU_DEP_2)
	v_add_f64 v[53:54], v[55:56], -v[53:54]
	v_fma_f64 v[55:56], v[61:62], s[28:29], v[59:60]
	s_delay_alu instid0(VALU_DEP_2) | instskip(NEXT) | instid1(VALU_DEP_2)
	v_add_f64 v[51:52], v[51:52], v[53:54]
	v_add_f64 v[53:54], v[69:70], v[55:56]
	s_delay_alu instid0(VALU_DEP_2) | instskip(NEXT) | instid1(VALU_DEP_2)
	v_add_f64 v[59:60], v[57:58], v[51:52]
	v_add_f64 v[69:70], v[53:54], -v[69:70]
	s_delay_alu instid0(VALU_DEP_2) | instskip(SKIP_1) | instid1(VALU_DEP_3)
	v_add_f64 v[61:62], v[53:54], v[59:60]
	v_add_f64 v[57:58], v[59:60], -v[57:58]
	v_add_f64 v[55:56], v[55:56], -v[69:70]
	s_delay_alu instid0(VALU_DEP_3) | instskip(NEXT) | instid1(VALU_DEP_3)
	v_add_f64 v[71:72], v[61:62], -v[53:54]
	v_add_f64 v[51:52], v[51:52], -v[57:58]
	s_delay_alu instid0(VALU_DEP_2) | instskip(SKIP_1) | instid1(VALU_DEP_3)
	v_add_f64 v[73:74], v[61:62], -v[71:72]
	v_add_f64 v[57:58], v[59:60], -v[71:72]
	v_add_f64 v[59:60], v[55:56], v[51:52]
	s_delay_alu instid0(VALU_DEP_3) | instskip(NEXT) | instid1(VALU_DEP_1)
	v_add_f64 v[53:54], v[53:54], -v[73:74]
	v_add_f64 v[53:54], v[57:58], v[53:54]
	s_delay_alu instid0(VALU_DEP_3) | instskip(NEXT) | instid1(VALU_DEP_2)
	v_add_f64 v[57:58], v[59:60], -v[55:56]
	v_add_f64 v[53:54], v[59:60], v[53:54]
	s_delay_alu instid0(VALU_DEP_2) | instskip(SKIP_1) | instid1(VALU_DEP_3)
	v_add_f64 v[59:60], v[59:60], -v[57:58]
	v_add_f64 v[51:52], v[51:52], -v[57:58]
	v_add_f64 v[69:70], v[61:62], v[53:54]
	s_delay_alu instid0(VALU_DEP_3) | instskip(NEXT) | instid1(VALU_DEP_2)
	v_add_f64 v[55:56], v[55:56], -v[59:60]
	v_add_f64 v[57:58], v[69:70], -v[61:62]
	s_delay_alu instid0(VALU_DEP_2) | instskip(NEXT) | instid1(VALU_DEP_2)
	v_add_f64 v[51:52], v[51:52], v[55:56]
	v_add_f64 v[53:54], v[53:54], -v[57:58]
	s_delay_alu instid0(VALU_DEP_1) | instskip(NEXT) | instid1(VALU_DEP_1)
	v_add_f64 v[51:52], v[51:52], v[53:54]
	v_add_f64 v[51:52], v[69:70], v[51:52]
	s_delay_alu instid0(VALU_DEP_1) | instskip(NEXT) | instid1(VALU_DEP_2)
	v_cndmask_b32_e64 v51, v51, v49, s24
	v_cndmask_b32_e64 v52, v52, v50, s24
	v_cmp_ngt_f64_e64 s24, -1.0, v[49:50]
	s_delay_alu instid0(VALU_DEP_1) | instskip(SKIP_1) | instid1(VALU_DEP_1)
	v_cndmask_b32_e64 v52, 0x7ff80000, v52, s24
	v_cmp_nge_f64_e64 s24, -1.0, v[49:50]
	v_cndmask_b32_e64 v51, 0, v51, s24
	v_cmp_neq_f64_e64 s24, -1.0, v[49:50]
	s_delay_alu instid0(VALU_DEP_1) | instskip(NEXT) | instid1(VALU_DEP_1)
	v_cndmask_b32_e64 v52, 0xfff00000, v52, s24
	v_add_f64 v[69:70], v[47:48], v[51:52]
.LBB46_46:
	s_or_b32 exec_lo, exec_lo, s30
	v_max_f64 v[47:48], v[17:18], v[17:18]
	s_delay_alu instid0(VALU_DEP_2) | instskip(SKIP_2) | instid1(VALU_DEP_3)
	v_max_f64 v[49:50], v[69:70], v[69:70]
	v_cmp_u_f64_e64 s25, v[69:70], v[69:70]
	v_cmp_u_f64_e64 s24, v[17:18], v[17:18]
	v_min_f64 v[51:52], v[49:50], v[47:48]
	v_max_f64 v[49:50], v[49:50], v[47:48]
	s_delay_alu instid0(VALU_DEP_2) | instskip(NEXT) | instid1(VALU_DEP_3)
	v_cndmask_b32_e64 v51, v51, v69, s25
	v_cndmask_b32_e64 v52, v52, v70, s25
	s_delay_alu instid0(VALU_DEP_3) | instskip(NEXT) | instid1(VALU_DEP_4)
	v_cndmask_b32_e64 v50, v50, v70, s25
	v_cndmask_b32_e64 v49, v49, v69, s25
	s_delay_alu instid0(VALU_DEP_4) | instskip(NEXT) | instid1(VALU_DEP_4)
	v_cndmask_b32_e64 v51, v51, v17, s24
	v_cndmask_b32_e64 v52, v52, v18, s24
	s_delay_alu instid0(VALU_DEP_4) | instskip(NEXT) | instid1(VALU_DEP_4)
	v_cndmask_b32_e64 v50, v50, v18, s24
	v_cndmask_b32_e64 v49, v49, v17, s24
	s_delay_alu instid0(VALU_DEP_3) | instskip(NEXT) | instid1(VALU_DEP_2)
	v_cmp_class_f64_e64 s26, v[51:52], 0x1f8
	v_cmp_neq_f64_e64 s25, v[51:52], v[49:50]
	s_delay_alu instid0(VALU_DEP_1) | instskip(NEXT) | instid1(SALU_CYCLE_1)
	s_or_b32 s25, s25, s26
	s_and_saveexec_b32 s34, s25
	s_cbranch_execz .LBB46_48
; %bb.47:
	v_add_f64 v[51:52], v[51:52], -v[49:50]
	s_mov_b32 s26, 0x652b82fe
	s_mov_b32 s27, 0x3ff71547
	;; [unrolled: 1-line block ×10, first 2 shown]
	s_delay_alu instid0(VALU_DEP_1) | instskip(SKIP_3) | instid1(VALU_DEP_2)
	v_mul_f64 v[53:54], v[51:52], s[26:27]
	s_mov_b32 s26, 0xfca7ab0c
	s_mov_b32 s27, 0x3e928af3
	v_cmp_nlt_f64_e64 s25, 0x40900000, v[51:52]
	v_rndne_f64_e32 v[53:54], v[53:54]
	s_delay_alu instid0(VALU_DEP_1) | instskip(SKIP_2) | instid1(VALU_DEP_2)
	v_fma_f64 v[55:56], v[53:54], s[28:29], v[51:52]
	v_cvt_i32_f64_e32 v59, v[53:54]
	s_mov_b32 s29, 0x3fe62e42
	v_fma_f64 v[55:56], v[53:54], s[30:31], v[55:56]
	s_mov_b32 s31, 0x3c7abc9e
	s_delay_alu instid0(VALU_DEP_1) | instskip(SKIP_4) | instid1(VALU_DEP_1)
	v_fma_f64 v[57:58], v[55:56], s[36:37], s[26:27]
	s_mov_b32 s26, 0x623fde64
	s_mov_b32 s27, 0x3ec71dee
	s_mov_b32 s36, 0x6b47b09a
	s_mov_b32 s37, 0x3fc38538
	v_fma_f64 v[57:58], v[55:56], v[57:58], s[26:27]
	s_mov_b32 s26, 0x7c89e6b0
	s_mov_b32 s27, 0x3efa0199
	s_delay_alu instid0(VALU_DEP_1) | instid1(SALU_CYCLE_1)
	v_fma_f64 v[57:58], v[55:56], v[57:58], s[26:27]
	s_mov_b32 s26, 0x14761f6e
	s_mov_b32 s27, 0x3f2a01a0
	s_delay_alu instid0(VALU_DEP_1) | instid1(SALU_CYCLE_1)
	;; [unrolled: 4-line block ×7, first 2 shown]
	v_fma_f64 v[57:58], v[55:56], v[57:58], s[26:27]
	v_cmp_ngt_f64_e64 s26, 0xc090cc00, v[51:52]
	s_mov_b32 s27, 0x3fe55555
	s_delay_alu instid0(VALU_DEP_2) | instskip(NEXT) | instid1(VALU_DEP_1)
	v_fma_f64 v[57:58], v[55:56], v[57:58], 1.0
	v_fma_f64 v[53:54], v[55:56], v[57:58], 1.0
	s_delay_alu instid0(VALU_DEP_1) | instskip(NEXT) | instid1(VALU_DEP_1)
	v_ldexp_f64 v[53:54], v[53:54], v59
	v_cndmask_b32_e64 v54, 0x7ff00000, v54, s25
	s_and_b32 s25, s26, s25
	s_delay_alu instid0(VALU_DEP_2) | instid1(SALU_CYCLE_1)
	v_cndmask_b32_e64 v51, 0, v53, s25
	s_delay_alu instid0(VALU_DEP_2) | instskip(SKIP_1) | instid1(VALU_DEP_1)
	v_cndmask_b32_e64 v52, 0, v54, s26
	s_mov_b32 s26, 0x55555555
	v_add_f64 v[53:54], v[51:52], 1.0
	s_delay_alu instid0(VALU_DEP_1) | instskip(SKIP_2) | instid1(VALU_DEP_3)
	v_frexp_mant_f64_e32 v[55:56], v[53:54]
	v_frexp_exp_i32_f64_e32 v59, v[53:54]
	v_add_f64 v[57:58], v[53:54], -1.0
	v_cmp_gt_f64_e64 s25, s[26:27], v[55:56]
	s_mov_b32 s26, 0x55555780
	s_delay_alu instid0(VALU_DEP_2) | instskip(SKIP_1) | instid1(VALU_DEP_3)
	v_add_f64 v[55:56], v[57:58], -v[53:54]
	v_add_f64 v[57:58], v[51:52], -v[57:58]
	v_subrev_co_ci_u32_e64 v100, s25, 0, v59, s25
	s_delay_alu instid0(VALU_DEP_3) | instskip(SKIP_1) | instid1(VALU_DEP_3)
	v_add_f64 v[55:56], v[55:56], 1.0
	v_cmp_eq_f64_e64 s25, 0x7ff00000, v[51:52]
	v_sub_nc_u32_e32 v61, 0, v100
	s_delay_alu instid0(VALU_DEP_1) | instskip(NEXT) | instid1(VALU_DEP_4)
	v_ldexp_f64 v[53:54], v[53:54], v61
	v_add_f64 v[55:56], v[57:58], v[55:56]
	s_delay_alu instid0(VALU_DEP_2) | instskip(SKIP_1) | instid1(VALU_DEP_3)
	v_add_f64 v[59:60], v[53:54], 1.0
	v_add_f64 v[71:72], v[53:54], -1.0
	v_ldexp_f64 v[55:56], v[55:56], v61
	s_delay_alu instid0(VALU_DEP_3) | instskip(NEXT) | instid1(VALU_DEP_3)
	v_add_f64 v[57:58], v[59:60], -1.0
	v_add_f64 v[73:74], v[71:72], 1.0
	s_delay_alu instid0(VALU_DEP_2) | instskip(NEXT) | instid1(VALU_DEP_2)
	v_add_f64 v[57:58], v[53:54], -v[57:58]
	v_add_f64 v[53:54], v[53:54], -v[73:74]
	s_delay_alu instid0(VALU_DEP_2) | instskip(NEXT) | instid1(VALU_DEP_2)
	v_add_f64 v[57:58], v[55:56], v[57:58]
	v_add_f64 v[53:54], v[55:56], v[53:54]
	s_delay_alu instid0(VALU_DEP_2) | instskip(NEXT) | instid1(VALU_DEP_2)
	v_add_f64 v[61:62], v[59:60], v[57:58]
	v_add_f64 v[73:74], v[71:72], v[53:54]
	s_delay_alu instid0(VALU_DEP_2) | instskip(SKIP_1) | instid1(VALU_DEP_2)
	v_rcp_f64_e32 v[69:70], v[61:62]
	v_add_f64 v[59:60], v[61:62], -v[59:60]
	v_add_f64 v[71:72], v[73:74], -v[71:72]
	s_delay_alu instid0(VALU_DEP_2) | instskip(SKIP_3) | instid1(VALU_DEP_2)
	v_add_f64 v[57:58], v[57:58], -v[59:60]
	s_waitcnt_depctr 0xfff
	v_fma_f64 v[75:76], -v[61:62], v[69:70], 1.0
	v_add_f64 v[53:54], v[53:54], -v[71:72]
	v_fma_f64 v[69:70], v[75:76], v[69:70], v[69:70]
	s_delay_alu instid0(VALU_DEP_1) | instskip(NEXT) | instid1(VALU_DEP_1)
	v_fma_f64 v[55:56], -v[61:62], v[69:70], 1.0
	v_fma_f64 v[55:56], v[55:56], v[69:70], v[69:70]
	s_delay_alu instid0(VALU_DEP_1) | instskip(NEXT) | instid1(VALU_DEP_1)
	v_mul_f64 v[69:70], v[73:74], v[55:56]
	v_mul_f64 v[75:76], v[61:62], v[69:70]
	s_delay_alu instid0(VALU_DEP_1) | instskip(NEXT) | instid1(VALU_DEP_1)
	v_fma_f64 v[59:60], v[69:70], v[61:62], -v[75:76]
	v_fma_f64 v[59:60], v[69:70], v[57:58], v[59:60]
	s_delay_alu instid0(VALU_DEP_1) | instskip(NEXT) | instid1(VALU_DEP_1)
	v_add_f64 v[96:97], v[75:76], v[59:60]
	v_add_f64 v[98:99], v[73:74], -v[96:97]
	v_add_f64 v[71:72], v[96:97], -v[75:76]
	s_delay_alu instid0(VALU_DEP_2) | instskip(NEXT) | instid1(VALU_DEP_2)
	v_add_f64 v[73:74], v[73:74], -v[98:99]
	v_add_f64 v[59:60], v[71:72], -v[59:60]
	s_delay_alu instid0(VALU_DEP_2) | instskip(NEXT) | instid1(VALU_DEP_1)
	v_add_f64 v[73:74], v[73:74], -v[96:97]
	v_add_f64 v[53:54], v[53:54], v[73:74]
	s_delay_alu instid0(VALU_DEP_1) | instskip(NEXT) | instid1(VALU_DEP_1)
	v_add_f64 v[53:54], v[59:60], v[53:54]
	v_add_f64 v[59:60], v[98:99], v[53:54]
	s_delay_alu instid0(VALU_DEP_1) | instskip(SKIP_1) | instid1(VALU_DEP_2)
	v_mul_f64 v[71:72], v[55:56], v[59:60]
	v_add_f64 v[96:97], v[98:99], -v[59:60]
	v_mul_f64 v[73:74], v[61:62], v[71:72]
	s_delay_alu instid0(VALU_DEP_2) | instskip(NEXT) | instid1(VALU_DEP_2)
	v_add_f64 v[53:54], v[53:54], v[96:97]
	v_fma_f64 v[61:62], v[71:72], v[61:62], -v[73:74]
	s_delay_alu instid0(VALU_DEP_1) | instskip(NEXT) | instid1(VALU_DEP_1)
	v_fma_f64 v[57:58], v[71:72], v[57:58], v[61:62]
	v_add_f64 v[61:62], v[73:74], v[57:58]
	s_delay_alu instid0(VALU_DEP_1) | instskip(SKIP_1) | instid1(VALU_DEP_2)
	v_add_f64 v[75:76], v[59:60], -v[61:62]
	v_add_f64 v[73:74], v[61:62], -v[73:74]
	;; [unrolled: 1-line block ×3, first 2 shown]
	s_delay_alu instid0(VALU_DEP_2) | instskip(NEXT) | instid1(VALU_DEP_2)
	v_add_f64 v[57:58], v[73:74], -v[57:58]
	v_add_f64 v[59:60], v[59:60], -v[61:62]
	s_delay_alu instid0(VALU_DEP_1) | instskip(SKIP_1) | instid1(VALU_DEP_2)
	v_add_f64 v[53:54], v[53:54], v[59:60]
	v_add_f64 v[59:60], v[69:70], v[71:72]
	;; [unrolled: 1-line block ×3, first 2 shown]
	s_delay_alu instid0(VALU_DEP_2) | instskip(NEXT) | instid1(VALU_DEP_2)
	v_add_f64 v[57:58], v[59:60], -v[69:70]
	v_add_f64 v[53:54], v[75:76], v[53:54]
	s_delay_alu instid0(VALU_DEP_2) | instskip(NEXT) | instid1(VALU_DEP_2)
	v_add_f64 v[57:58], v[71:72], -v[57:58]
	v_mul_f64 v[53:54], v[55:56], v[53:54]
	s_delay_alu instid0(VALU_DEP_1) | instskip(NEXT) | instid1(VALU_DEP_1)
	v_add_f64 v[53:54], v[57:58], v[53:54]
	v_add_f64 v[55:56], v[59:60], v[53:54]
	s_delay_alu instid0(VALU_DEP_1) | instskip(NEXT) | instid1(VALU_DEP_1)
	v_mul_f64 v[57:58], v[55:56], v[55:56]
	v_fma_f64 v[61:62], v[57:58], s[38:39], s[36:37]
	s_mov_b32 s36, 0xd7f4df2e
	s_mov_b32 s37, 0x3fc7474d
	v_mul_f64 v[69:70], v[55:56], v[57:58]
	s_delay_alu instid0(VALU_DEP_2)
	v_fma_f64 v[61:62], v[57:58], v[61:62], s[36:37]
	s_mov_b32 s36, 0x16291751
	s_mov_b32 s37, 0x3fcc71c0
	s_delay_alu instid0(VALU_DEP_1) | instid1(SALU_CYCLE_1)
	v_fma_f64 v[61:62], v[57:58], v[61:62], s[36:37]
	s_mov_b32 s36, 0x9b27acf1
	s_mov_b32 s37, 0x3fd24924
	s_delay_alu instid0(VALU_DEP_1) | instid1(SALU_CYCLE_1)
	;; [unrolled: 4-line block ×3, first 2 shown]
	v_fma_f64 v[61:62], v[57:58], v[61:62], s[36:37]
	s_delay_alu instid0(VALU_DEP_1) | instskip(SKIP_2) | instid1(VALU_DEP_3)
	v_fma_f64 v[57:58], v[57:58], v[61:62], s[26:27]
	v_ldexp_f64 v[61:62], v[55:56], 1
	v_add_f64 v[55:56], v[55:56], -v[59:60]
	v_mul_f64 v[57:58], v[69:70], v[57:58]
	v_cvt_f64_i32_e32 v[69:70], v100
	s_delay_alu instid0(VALU_DEP_3) | instskip(NEXT) | instid1(VALU_DEP_3)
	v_add_f64 v[53:54], v[53:54], -v[55:56]
	v_add_f64 v[59:60], v[61:62], v[57:58]
	s_delay_alu instid0(VALU_DEP_3) | instskip(NEXT) | instid1(VALU_DEP_3)
	v_mul_f64 v[71:72], v[69:70], s[28:29]
	v_ldexp_f64 v[53:54], v[53:54], 1
	s_delay_alu instid0(VALU_DEP_3) | instskip(NEXT) | instid1(VALU_DEP_3)
	v_add_f64 v[55:56], v[59:60], -v[61:62]
	v_fma_f64 v[61:62], v[69:70], s[28:29], -v[71:72]
	s_delay_alu instid0(VALU_DEP_2) | instskip(NEXT) | instid1(VALU_DEP_2)
	v_add_f64 v[55:56], v[57:58], -v[55:56]
	v_fma_f64 v[57:58], v[69:70], s[30:31], v[61:62]
	s_delay_alu instid0(VALU_DEP_2) | instskip(NEXT) | instid1(VALU_DEP_2)
	v_add_f64 v[53:54], v[53:54], v[55:56]
	v_add_f64 v[55:56], v[71:72], v[57:58]
	s_delay_alu instid0(VALU_DEP_2) | instskip(NEXT) | instid1(VALU_DEP_2)
	v_add_f64 v[61:62], v[59:60], v[53:54]
	v_add_f64 v[71:72], v[55:56], -v[71:72]
	s_delay_alu instid0(VALU_DEP_2) | instskip(SKIP_1) | instid1(VALU_DEP_3)
	v_add_f64 v[69:70], v[55:56], v[61:62]
	v_add_f64 v[59:60], v[61:62], -v[59:60]
	v_add_f64 v[57:58], v[57:58], -v[71:72]
	s_delay_alu instid0(VALU_DEP_3) | instskip(NEXT) | instid1(VALU_DEP_3)
	v_add_f64 v[73:74], v[69:70], -v[55:56]
	v_add_f64 v[53:54], v[53:54], -v[59:60]
	s_delay_alu instid0(VALU_DEP_2) | instskip(SKIP_1) | instid1(VALU_DEP_3)
	v_add_f64 v[75:76], v[69:70], -v[73:74]
	v_add_f64 v[59:60], v[61:62], -v[73:74]
	v_add_f64 v[61:62], v[57:58], v[53:54]
	s_delay_alu instid0(VALU_DEP_3) | instskip(NEXT) | instid1(VALU_DEP_1)
	v_add_f64 v[55:56], v[55:56], -v[75:76]
	v_add_f64 v[55:56], v[59:60], v[55:56]
	s_delay_alu instid0(VALU_DEP_3) | instskip(NEXT) | instid1(VALU_DEP_2)
	v_add_f64 v[59:60], v[61:62], -v[57:58]
	v_add_f64 v[55:56], v[61:62], v[55:56]
	s_delay_alu instid0(VALU_DEP_2) | instskip(SKIP_1) | instid1(VALU_DEP_3)
	v_add_f64 v[61:62], v[61:62], -v[59:60]
	v_add_f64 v[53:54], v[53:54], -v[59:60]
	v_add_f64 v[71:72], v[69:70], v[55:56]
	s_delay_alu instid0(VALU_DEP_3) | instskip(NEXT) | instid1(VALU_DEP_2)
	v_add_f64 v[57:58], v[57:58], -v[61:62]
	v_add_f64 v[59:60], v[71:72], -v[69:70]
	s_delay_alu instid0(VALU_DEP_2) | instskip(NEXT) | instid1(VALU_DEP_2)
	v_add_f64 v[53:54], v[53:54], v[57:58]
	v_add_f64 v[55:56], v[55:56], -v[59:60]
	s_delay_alu instid0(VALU_DEP_1) | instskip(NEXT) | instid1(VALU_DEP_1)
	v_add_f64 v[53:54], v[53:54], v[55:56]
	v_add_f64 v[53:54], v[71:72], v[53:54]
	s_delay_alu instid0(VALU_DEP_1) | instskip(NEXT) | instid1(VALU_DEP_2)
	v_cndmask_b32_e64 v53, v53, v51, s25
	v_cndmask_b32_e64 v54, v54, v52, s25
	v_cmp_ngt_f64_e64 s25, -1.0, v[51:52]
	s_delay_alu instid0(VALU_DEP_1) | instskip(SKIP_1) | instid1(VALU_DEP_1)
	v_cndmask_b32_e64 v54, 0x7ff80000, v54, s25
	v_cmp_nge_f64_e64 s25, -1.0, v[51:52]
	v_cndmask_b32_e64 v53, 0, v53, s25
	v_cmp_neq_f64_e64 s25, -1.0, v[51:52]
	s_delay_alu instid0(VALU_DEP_1) | instskip(NEXT) | instid1(VALU_DEP_1)
	v_cndmask_b32_e64 v54, 0xfff00000, v54, s25
	v_add_f64 v[69:70], v[49:50], v[53:54]
.LBB46_48:
	s_or_b32 exec_lo, exec_lo, s34
	v_max_f64 v[49:50], v[19:20], v[19:20]
	s_delay_alu instid0(VALU_DEP_2) | instskip(SKIP_2) | instid1(VALU_DEP_3)
	v_max_f64 v[51:52], v[69:70], v[69:70]
	v_cmp_u_f64_e64 s26, v[69:70], v[69:70]
	v_cmp_u_f64_e64 s25, v[19:20], v[19:20]
	v_min_f64 v[53:54], v[51:52], v[49:50]
	v_max_f64 v[51:52], v[51:52], v[49:50]
	s_delay_alu instid0(VALU_DEP_2) | instskip(NEXT) | instid1(VALU_DEP_3)
	v_cndmask_b32_e64 v53, v53, v69, s26
	v_cndmask_b32_e64 v54, v54, v70, s26
	s_delay_alu instid0(VALU_DEP_3) | instskip(NEXT) | instid1(VALU_DEP_4)
	v_cndmask_b32_e64 v52, v52, v70, s26
	v_cndmask_b32_e64 v51, v51, v69, s26
	s_delay_alu instid0(VALU_DEP_4) | instskip(NEXT) | instid1(VALU_DEP_4)
	v_cndmask_b32_e64 v53, v53, v19, s25
	v_cndmask_b32_e64 v54, v54, v20, s25
	s_delay_alu instid0(VALU_DEP_4) | instskip(NEXT) | instid1(VALU_DEP_4)
	v_cndmask_b32_e64 v52, v52, v20, s25
	v_cndmask_b32_e64 v51, v51, v19, s25
	s_delay_alu instid0(VALU_DEP_3) | instskip(NEXT) | instid1(VALU_DEP_2)
	v_cmp_class_f64_e64 s27, v[53:54], 0x1f8
	v_cmp_neq_f64_e64 s26, v[53:54], v[51:52]
	s_delay_alu instid0(VALU_DEP_1) | instskip(NEXT) | instid1(SALU_CYCLE_1)
	s_or_b32 s26, s26, s27
	s_and_saveexec_b32 s34, s26
	s_cbranch_execz .LBB46_50
; %bb.49:
	v_add_f64 v[53:54], v[53:54], -v[51:52]
	s_mov_b32 s26, 0x652b82fe
	s_mov_b32 s27, 0x3ff71547
	;; [unrolled: 1-line block ×10, first 2 shown]
	s_delay_alu instid0(VALU_DEP_1) | instskip(SKIP_2) | instid1(VALU_DEP_1)
	v_mul_f64 v[55:56], v[53:54], s[26:27]
	s_mov_b32 s26, 0xfca7ab0c
	s_mov_b32 s27, 0x3e928af3
	v_rndne_f64_e32 v[55:56], v[55:56]
	s_delay_alu instid0(VALU_DEP_1) | instskip(SKIP_2) | instid1(VALU_DEP_2)
	v_fma_f64 v[57:58], v[55:56], s[28:29], v[53:54]
	v_cvt_i32_f64_e32 v61, v[55:56]
	s_mov_b32 s29, 0x3fe62e42
	v_fma_f64 v[57:58], v[55:56], s[30:31], v[57:58]
	s_mov_b32 s31, 0x3c7abc9e
	s_delay_alu instid0(VALU_DEP_1) | instskip(SKIP_4) | instid1(VALU_DEP_1)
	v_fma_f64 v[59:60], v[57:58], s[36:37], s[26:27]
	s_mov_b32 s26, 0x623fde64
	s_mov_b32 s27, 0x3ec71dee
	s_mov_b32 s36, 0x6b47b09a
	s_mov_b32 s37, 0x3fc38538
	v_fma_f64 v[59:60], v[57:58], v[59:60], s[26:27]
	s_mov_b32 s26, 0x7c89e6b0
	s_mov_b32 s27, 0x3efa0199
	s_delay_alu instid0(VALU_DEP_1) | instid1(SALU_CYCLE_1)
	v_fma_f64 v[59:60], v[57:58], v[59:60], s[26:27]
	s_mov_b32 s26, 0x14761f6e
	s_mov_b32 s27, 0x3f2a01a0
	s_delay_alu instid0(VALU_DEP_1) | instid1(SALU_CYCLE_1)
	;; [unrolled: 4-line block ×7, first 2 shown]
	v_fma_f64 v[59:60], v[57:58], v[59:60], s[26:27]
	v_cmp_nlt_f64_e64 s26, 0x40900000, v[53:54]
	v_cmp_ngt_f64_e64 s27, 0xc090cc00, v[53:54]
	s_delay_alu instid0(VALU_DEP_3) | instskip(NEXT) | instid1(VALU_DEP_1)
	v_fma_f64 v[59:60], v[57:58], v[59:60], 1.0
	v_fma_f64 v[55:56], v[57:58], v[59:60], 1.0
	s_delay_alu instid0(VALU_DEP_1) | instskip(NEXT) | instid1(VALU_DEP_1)
	v_ldexp_f64 v[55:56], v[55:56], v61
	v_cndmask_b32_e64 v56, 0x7ff00000, v56, s26
	s_and_b32 s26, s27, s26
	s_delay_alu instid0(VALU_DEP_2) | instid1(SALU_CYCLE_1)
	v_cndmask_b32_e64 v53, 0, v55, s26
	s_mov_b32 s26, 0x55555555
	s_delay_alu instid0(VALU_DEP_2) | instskip(SKIP_1) | instid1(VALU_DEP_1)
	v_cndmask_b32_e64 v54, 0, v56, s27
	s_mov_b32 s27, 0x3fe55555
	v_add_f64 v[55:56], v[53:54], 1.0
	s_delay_alu instid0(VALU_DEP_1) | instskip(SKIP_2) | instid1(VALU_DEP_3)
	v_frexp_mant_f64_e32 v[57:58], v[55:56]
	v_frexp_exp_i32_f64_e32 v61, v[55:56]
	v_add_f64 v[59:60], v[55:56], -1.0
	v_cmp_gt_f64_e64 s26, s[26:27], v[57:58]
	s_delay_alu instid0(VALU_DEP_2) | instskip(SKIP_1) | instid1(VALU_DEP_3)
	v_add_f64 v[57:58], v[59:60], -v[55:56]
	v_add_f64 v[59:60], v[53:54], -v[59:60]
	v_subrev_co_ci_u32_e64 v102, s26, 0, v61, s26
	s_delay_alu instid0(VALU_DEP_3) | instskip(SKIP_1) | instid1(VALU_DEP_2)
	v_add_f64 v[57:58], v[57:58], 1.0
	s_mov_b32 s26, 0x55555780
	v_sub_nc_u32_e32 v69, 0, v102
	s_delay_alu instid0(VALU_DEP_1) | instskip(NEXT) | instid1(VALU_DEP_3)
	v_ldexp_f64 v[55:56], v[55:56], v69
	v_add_f64 v[57:58], v[59:60], v[57:58]
	s_delay_alu instid0(VALU_DEP_2) | instskip(SKIP_1) | instid1(VALU_DEP_3)
	v_add_f64 v[61:62], v[55:56], 1.0
	v_add_f64 v[73:74], v[55:56], -1.0
	v_ldexp_f64 v[57:58], v[57:58], v69
	s_delay_alu instid0(VALU_DEP_3) | instskip(NEXT) | instid1(VALU_DEP_3)
	v_add_f64 v[59:60], v[61:62], -1.0
	v_add_f64 v[75:76], v[73:74], 1.0
	s_delay_alu instid0(VALU_DEP_2) | instskip(NEXT) | instid1(VALU_DEP_2)
	v_add_f64 v[59:60], v[55:56], -v[59:60]
	v_add_f64 v[55:56], v[55:56], -v[75:76]
	s_delay_alu instid0(VALU_DEP_2) | instskip(NEXT) | instid1(VALU_DEP_2)
	v_add_f64 v[59:60], v[57:58], v[59:60]
	v_add_f64 v[55:56], v[57:58], v[55:56]
	s_delay_alu instid0(VALU_DEP_2) | instskip(NEXT) | instid1(VALU_DEP_2)
	v_add_f64 v[69:70], v[61:62], v[59:60]
	v_add_f64 v[75:76], v[73:74], v[55:56]
	s_delay_alu instid0(VALU_DEP_2) | instskip(SKIP_1) | instid1(VALU_DEP_2)
	v_rcp_f64_e32 v[71:72], v[69:70]
	v_add_f64 v[61:62], v[69:70], -v[61:62]
	v_add_f64 v[73:74], v[75:76], -v[73:74]
	s_delay_alu instid0(VALU_DEP_2) | instskip(SKIP_3) | instid1(VALU_DEP_2)
	v_add_f64 v[59:60], v[59:60], -v[61:62]
	s_waitcnt_depctr 0xfff
	v_fma_f64 v[96:97], -v[69:70], v[71:72], 1.0
	v_add_f64 v[55:56], v[55:56], -v[73:74]
	v_fma_f64 v[71:72], v[96:97], v[71:72], v[71:72]
	s_delay_alu instid0(VALU_DEP_1) | instskip(NEXT) | instid1(VALU_DEP_1)
	v_fma_f64 v[57:58], -v[69:70], v[71:72], 1.0
	v_fma_f64 v[57:58], v[57:58], v[71:72], v[71:72]
	s_delay_alu instid0(VALU_DEP_1) | instskip(NEXT) | instid1(VALU_DEP_1)
	v_mul_f64 v[71:72], v[75:76], v[57:58]
	v_mul_f64 v[96:97], v[69:70], v[71:72]
	s_delay_alu instid0(VALU_DEP_1) | instskip(NEXT) | instid1(VALU_DEP_1)
	v_fma_f64 v[61:62], v[71:72], v[69:70], -v[96:97]
	v_fma_f64 v[61:62], v[71:72], v[59:60], v[61:62]
	s_delay_alu instid0(VALU_DEP_1) | instskip(NEXT) | instid1(VALU_DEP_1)
	v_add_f64 v[98:99], v[96:97], v[61:62]
	v_add_f64 v[100:101], v[75:76], -v[98:99]
	v_add_f64 v[73:74], v[98:99], -v[96:97]
	s_delay_alu instid0(VALU_DEP_2) | instskip(NEXT) | instid1(VALU_DEP_2)
	v_add_f64 v[75:76], v[75:76], -v[100:101]
	v_add_f64 v[61:62], v[73:74], -v[61:62]
	s_delay_alu instid0(VALU_DEP_2) | instskip(NEXT) | instid1(VALU_DEP_1)
	v_add_f64 v[75:76], v[75:76], -v[98:99]
	v_add_f64 v[55:56], v[55:56], v[75:76]
	s_delay_alu instid0(VALU_DEP_1) | instskip(NEXT) | instid1(VALU_DEP_1)
	v_add_f64 v[55:56], v[61:62], v[55:56]
	v_add_f64 v[61:62], v[100:101], v[55:56]
	s_delay_alu instid0(VALU_DEP_1) | instskip(SKIP_1) | instid1(VALU_DEP_2)
	v_mul_f64 v[73:74], v[57:58], v[61:62]
	v_add_f64 v[98:99], v[100:101], -v[61:62]
	v_mul_f64 v[75:76], v[69:70], v[73:74]
	s_delay_alu instid0(VALU_DEP_2) | instskip(NEXT) | instid1(VALU_DEP_2)
	v_add_f64 v[55:56], v[55:56], v[98:99]
	v_fma_f64 v[69:70], v[73:74], v[69:70], -v[75:76]
	s_delay_alu instid0(VALU_DEP_1) | instskip(NEXT) | instid1(VALU_DEP_1)
	v_fma_f64 v[59:60], v[73:74], v[59:60], v[69:70]
	v_add_f64 v[69:70], v[75:76], v[59:60]
	s_delay_alu instid0(VALU_DEP_1) | instskip(SKIP_1) | instid1(VALU_DEP_2)
	v_add_f64 v[96:97], v[61:62], -v[69:70]
	v_add_f64 v[75:76], v[69:70], -v[75:76]
	;; [unrolled: 1-line block ×3, first 2 shown]
	s_delay_alu instid0(VALU_DEP_2) | instskip(NEXT) | instid1(VALU_DEP_2)
	v_add_f64 v[59:60], v[75:76], -v[59:60]
	v_add_f64 v[61:62], v[61:62], -v[69:70]
	s_delay_alu instid0(VALU_DEP_1) | instskip(SKIP_1) | instid1(VALU_DEP_2)
	v_add_f64 v[55:56], v[55:56], v[61:62]
	v_add_f64 v[61:62], v[71:72], v[73:74]
	;; [unrolled: 1-line block ×3, first 2 shown]
	s_delay_alu instid0(VALU_DEP_2) | instskip(NEXT) | instid1(VALU_DEP_2)
	v_add_f64 v[59:60], v[61:62], -v[71:72]
	v_add_f64 v[55:56], v[96:97], v[55:56]
	s_delay_alu instid0(VALU_DEP_2) | instskip(NEXT) | instid1(VALU_DEP_2)
	v_add_f64 v[59:60], v[73:74], -v[59:60]
	v_mul_f64 v[55:56], v[57:58], v[55:56]
	s_delay_alu instid0(VALU_DEP_1) | instskip(NEXT) | instid1(VALU_DEP_1)
	v_add_f64 v[55:56], v[59:60], v[55:56]
	v_add_f64 v[57:58], v[61:62], v[55:56]
	s_delay_alu instid0(VALU_DEP_1) | instskip(NEXT) | instid1(VALU_DEP_1)
	v_mul_f64 v[59:60], v[57:58], v[57:58]
	v_fma_f64 v[69:70], v[59:60], s[38:39], s[36:37]
	s_mov_b32 s36, 0xd7f4df2e
	s_mov_b32 s37, 0x3fc7474d
	v_mul_f64 v[71:72], v[57:58], v[59:60]
	s_delay_alu instid0(VALU_DEP_2)
	v_fma_f64 v[69:70], v[59:60], v[69:70], s[36:37]
	s_mov_b32 s36, 0x16291751
	s_mov_b32 s37, 0x3fcc71c0
	s_delay_alu instid0(VALU_DEP_1) | instid1(SALU_CYCLE_1)
	v_fma_f64 v[69:70], v[59:60], v[69:70], s[36:37]
	s_mov_b32 s36, 0x9b27acf1
	s_mov_b32 s37, 0x3fd24924
	s_delay_alu instid0(VALU_DEP_1) | instid1(SALU_CYCLE_1)
	v_fma_f64 v[69:70], v[59:60], v[69:70], s[36:37]
	s_mov_b32 s36, 0x998ef7b6
	s_mov_b32 s37, 0x3fd99999
	s_delay_alu instid0(VALU_DEP_1) | instid1(SALU_CYCLE_1)
	v_fma_f64 v[69:70], v[59:60], v[69:70], s[36:37]
	s_delay_alu instid0(VALU_DEP_1) | instskip(SKIP_3) | instid1(VALU_DEP_4)
	v_fma_f64 v[59:60], v[59:60], v[69:70], s[26:27]
	v_ldexp_f64 v[69:70], v[57:58], 1
	v_add_f64 v[57:58], v[57:58], -v[61:62]
	v_cmp_eq_f64_e64 s26, 0x7ff00000, v[53:54]
	v_mul_f64 v[59:60], v[71:72], v[59:60]
	v_cvt_f64_i32_e32 v[71:72], v102
	s_delay_alu instid0(VALU_DEP_4) | instskip(NEXT) | instid1(VALU_DEP_3)
	v_add_f64 v[55:56], v[55:56], -v[57:58]
	v_add_f64 v[61:62], v[69:70], v[59:60]
	s_delay_alu instid0(VALU_DEP_3) | instskip(NEXT) | instid1(VALU_DEP_3)
	v_mul_f64 v[73:74], v[71:72], s[28:29]
	v_ldexp_f64 v[55:56], v[55:56], 1
	s_delay_alu instid0(VALU_DEP_3) | instskip(NEXT) | instid1(VALU_DEP_3)
	v_add_f64 v[57:58], v[61:62], -v[69:70]
	v_fma_f64 v[69:70], v[71:72], s[28:29], -v[73:74]
	s_delay_alu instid0(VALU_DEP_2) | instskip(NEXT) | instid1(VALU_DEP_2)
	v_add_f64 v[57:58], v[59:60], -v[57:58]
	v_fma_f64 v[59:60], v[71:72], s[30:31], v[69:70]
	s_delay_alu instid0(VALU_DEP_2) | instskip(NEXT) | instid1(VALU_DEP_2)
	v_add_f64 v[55:56], v[55:56], v[57:58]
	v_add_f64 v[57:58], v[73:74], v[59:60]
	s_delay_alu instid0(VALU_DEP_2) | instskip(NEXT) | instid1(VALU_DEP_2)
	v_add_f64 v[69:70], v[61:62], v[55:56]
	v_add_f64 v[73:74], v[57:58], -v[73:74]
	s_delay_alu instid0(VALU_DEP_2) | instskip(SKIP_1) | instid1(VALU_DEP_3)
	v_add_f64 v[71:72], v[57:58], v[69:70]
	v_add_f64 v[61:62], v[69:70], -v[61:62]
	v_add_f64 v[59:60], v[59:60], -v[73:74]
	s_delay_alu instid0(VALU_DEP_3) | instskip(NEXT) | instid1(VALU_DEP_3)
	v_add_f64 v[75:76], v[71:72], -v[57:58]
	v_add_f64 v[55:56], v[55:56], -v[61:62]
	s_delay_alu instid0(VALU_DEP_2) | instskip(SKIP_1) | instid1(VALU_DEP_3)
	v_add_f64 v[96:97], v[71:72], -v[75:76]
	v_add_f64 v[61:62], v[69:70], -v[75:76]
	v_add_f64 v[69:70], v[59:60], v[55:56]
	s_delay_alu instid0(VALU_DEP_3) | instskip(NEXT) | instid1(VALU_DEP_1)
	v_add_f64 v[57:58], v[57:58], -v[96:97]
	v_add_f64 v[57:58], v[61:62], v[57:58]
	s_delay_alu instid0(VALU_DEP_3) | instskip(NEXT) | instid1(VALU_DEP_2)
	v_add_f64 v[61:62], v[69:70], -v[59:60]
	v_add_f64 v[57:58], v[69:70], v[57:58]
	s_delay_alu instid0(VALU_DEP_2) | instskip(SKIP_1) | instid1(VALU_DEP_3)
	v_add_f64 v[69:70], v[69:70], -v[61:62]
	v_add_f64 v[55:56], v[55:56], -v[61:62]
	v_add_f64 v[73:74], v[71:72], v[57:58]
	s_delay_alu instid0(VALU_DEP_3) | instskip(NEXT) | instid1(VALU_DEP_2)
	v_add_f64 v[59:60], v[59:60], -v[69:70]
	v_add_f64 v[61:62], v[73:74], -v[71:72]
	s_delay_alu instid0(VALU_DEP_2) | instskip(NEXT) | instid1(VALU_DEP_2)
	v_add_f64 v[55:56], v[55:56], v[59:60]
	v_add_f64 v[57:58], v[57:58], -v[61:62]
	s_delay_alu instid0(VALU_DEP_1) | instskip(NEXT) | instid1(VALU_DEP_1)
	v_add_f64 v[55:56], v[55:56], v[57:58]
	v_add_f64 v[55:56], v[73:74], v[55:56]
	s_delay_alu instid0(VALU_DEP_1) | instskip(NEXT) | instid1(VALU_DEP_2)
	v_cndmask_b32_e64 v55, v55, v53, s26
	v_cndmask_b32_e64 v56, v56, v54, s26
	v_cmp_ngt_f64_e64 s26, -1.0, v[53:54]
	s_delay_alu instid0(VALU_DEP_1) | instskip(SKIP_1) | instid1(VALU_DEP_1)
	v_cndmask_b32_e64 v56, 0x7ff80000, v56, s26
	v_cmp_nge_f64_e64 s26, -1.0, v[53:54]
	v_cndmask_b32_e64 v55, 0, v55, s26
	v_cmp_neq_f64_e64 s26, -1.0, v[53:54]
	s_delay_alu instid0(VALU_DEP_1) | instskip(NEXT) | instid1(VALU_DEP_1)
	v_cndmask_b32_e64 v56, 0xfff00000, v56, s26
	v_add_f64 v[69:70], v[51:52], v[55:56]
.LBB46_50:
	s_or_b32 exec_lo, exec_lo, s34
	v_max_f64 v[51:52], v[13:14], v[13:14]
	s_delay_alu instid0(VALU_DEP_2) | instskip(SKIP_2) | instid1(VALU_DEP_3)
	v_max_f64 v[53:54], v[69:70], v[69:70]
	v_cmp_u_f64_e64 s27, v[69:70], v[69:70]
	v_cmp_u_f64_e64 s26, v[13:14], v[13:14]
	v_min_f64 v[55:56], v[53:54], v[51:52]
	v_max_f64 v[53:54], v[53:54], v[51:52]
	s_delay_alu instid0(VALU_DEP_2) | instskip(NEXT) | instid1(VALU_DEP_3)
	v_cndmask_b32_e64 v55, v55, v69, s27
	v_cndmask_b32_e64 v56, v56, v70, s27
	s_delay_alu instid0(VALU_DEP_3) | instskip(NEXT) | instid1(VALU_DEP_4)
	v_cndmask_b32_e64 v54, v54, v70, s27
	v_cndmask_b32_e64 v53, v53, v69, s27
	s_delay_alu instid0(VALU_DEP_4) | instskip(NEXT) | instid1(VALU_DEP_4)
	v_cndmask_b32_e64 v55, v55, v13, s26
	v_cndmask_b32_e64 v56, v56, v14, s26
	s_delay_alu instid0(VALU_DEP_4) | instskip(NEXT) | instid1(VALU_DEP_4)
	v_cndmask_b32_e64 v54, v54, v14, s26
	v_cndmask_b32_e64 v53, v53, v13, s26
	s_delay_alu instid0(VALU_DEP_3) | instskip(NEXT) | instid1(VALU_DEP_2)
	v_cmp_class_f64_e64 s28, v[55:56], 0x1f8
	v_cmp_neq_f64_e64 s27, v[55:56], v[53:54]
	s_delay_alu instid0(VALU_DEP_1) | instskip(NEXT) | instid1(SALU_CYCLE_1)
	s_or_b32 s27, s27, s28
	s_and_saveexec_b32 s36, s27
	s_cbranch_execz .LBB46_52
; %bb.51:
	v_add_f64 v[55:56], v[55:56], -v[53:54]
	s_mov_b32 s28, 0x652b82fe
	s_mov_b32 s29, 0x3ff71547
	;; [unrolled: 1-line block ×10, first 2 shown]
	s_delay_alu instid0(VALU_DEP_1) | instskip(SKIP_3) | instid1(VALU_DEP_2)
	v_mul_f64 v[57:58], v[55:56], s[28:29]
	s_mov_b32 s28, 0xfca7ab0c
	s_mov_b32 s29, 0x3e928af3
	v_cmp_nlt_f64_e64 s27, 0x40900000, v[55:56]
	v_rndne_f64_e32 v[57:58], v[57:58]
	s_delay_alu instid0(VALU_DEP_1) | instskip(SKIP_2) | instid1(VALU_DEP_2)
	v_fma_f64 v[59:60], v[57:58], s[30:31], v[55:56]
	v_cvt_i32_f64_e32 v69, v[57:58]
	s_mov_b32 s31, 0x3fe62e42
	v_fma_f64 v[59:60], v[57:58], s[34:35], v[59:60]
	s_mov_b32 s35, 0x3c7abc9e
	s_delay_alu instid0(VALU_DEP_1) | instskip(SKIP_4) | instid1(VALU_DEP_1)
	v_fma_f64 v[61:62], v[59:60], s[38:39], s[28:29]
	s_mov_b32 s28, 0x623fde64
	s_mov_b32 s29, 0x3ec71dee
	;; [unrolled: 1-line block ×4, first 2 shown]
	v_fma_f64 v[61:62], v[59:60], v[61:62], s[28:29]
	s_mov_b32 s28, 0x7c89e6b0
	s_mov_b32 s29, 0x3efa0199
	s_delay_alu instid0(VALU_DEP_1) | instid1(SALU_CYCLE_1)
	v_fma_f64 v[61:62], v[59:60], v[61:62], s[28:29]
	s_mov_b32 s28, 0x14761f6e
	s_mov_b32 s29, 0x3f2a01a0
	s_delay_alu instid0(VALU_DEP_1) | instid1(SALU_CYCLE_1)
	;; [unrolled: 4-line block ×7, first 2 shown]
	v_fma_f64 v[61:62], v[59:60], v[61:62], s[28:29]
	v_cmp_ngt_f64_e64 s28, 0xc090cc00, v[55:56]
	s_mov_b32 s29, 0x3fe55555
	s_delay_alu instid0(VALU_DEP_2) | instskip(NEXT) | instid1(VALU_DEP_1)
	v_fma_f64 v[61:62], v[59:60], v[61:62], 1.0
	v_fma_f64 v[57:58], v[59:60], v[61:62], 1.0
	s_delay_alu instid0(VALU_DEP_1) | instskip(NEXT) | instid1(VALU_DEP_1)
	v_ldexp_f64 v[57:58], v[57:58], v69
	v_cndmask_b32_e64 v58, 0x7ff00000, v58, s27
	s_and_b32 s27, s28, s27
	s_delay_alu instid0(VALU_DEP_2) | instid1(SALU_CYCLE_1)
	v_cndmask_b32_e64 v55, 0, v57, s27
	s_delay_alu instid0(VALU_DEP_2) | instskip(SKIP_1) | instid1(VALU_DEP_1)
	v_cndmask_b32_e64 v56, 0, v58, s28
	s_mov_b32 s28, 0x55555555
	v_add_f64 v[57:58], v[55:56], 1.0
	s_delay_alu instid0(VALU_DEP_1) | instskip(SKIP_2) | instid1(VALU_DEP_3)
	v_frexp_mant_f64_e32 v[59:60], v[57:58]
	v_frexp_exp_i32_f64_e32 v69, v[57:58]
	v_add_f64 v[61:62], v[57:58], -1.0
	v_cmp_gt_f64_e64 s27, s[28:29], v[59:60]
	s_mov_b32 s28, 0x55555780
	s_delay_alu instid0(VALU_DEP_2) | instskip(SKIP_1) | instid1(VALU_DEP_3)
	v_add_f64 v[59:60], v[61:62], -v[57:58]
	v_add_f64 v[61:62], v[55:56], -v[61:62]
	v_subrev_co_ci_u32_e64 v104, s27, 0, v69, s27
	s_delay_alu instid0(VALU_DEP_3) | instskip(SKIP_1) | instid1(VALU_DEP_3)
	v_add_f64 v[59:60], v[59:60], 1.0
	v_cmp_eq_f64_e64 s27, 0x7ff00000, v[55:56]
	v_sub_nc_u32_e32 v71, 0, v104
	s_delay_alu instid0(VALU_DEP_1) | instskip(NEXT) | instid1(VALU_DEP_4)
	v_ldexp_f64 v[57:58], v[57:58], v71
	v_add_f64 v[59:60], v[61:62], v[59:60]
	s_delay_alu instid0(VALU_DEP_2) | instskip(SKIP_1) | instid1(VALU_DEP_3)
	v_add_f64 v[69:70], v[57:58], 1.0
	v_add_f64 v[75:76], v[57:58], -1.0
	v_ldexp_f64 v[59:60], v[59:60], v71
	s_delay_alu instid0(VALU_DEP_3) | instskip(NEXT) | instid1(VALU_DEP_3)
	v_add_f64 v[61:62], v[69:70], -1.0
	v_add_f64 v[96:97], v[75:76], 1.0
	s_delay_alu instid0(VALU_DEP_2) | instskip(NEXT) | instid1(VALU_DEP_2)
	v_add_f64 v[61:62], v[57:58], -v[61:62]
	v_add_f64 v[57:58], v[57:58], -v[96:97]
	s_delay_alu instid0(VALU_DEP_2) | instskip(NEXT) | instid1(VALU_DEP_2)
	v_add_f64 v[61:62], v[59:60], v[61:62]
	v_add_f64 v[57:58], v[59:60], v[57:58]
	s_delay_alu instid0(VALU_DEP_2) | instskip(NEXT) | instid1(VALU_DEP_2)
	v_add_f64 v[71:72], v[69:70], v[61:62]
	v_add_f64 v[96:97], v[75:76], v[57:58]
	s_delay_alu instid0(VALU_DEP_2) | instskip(SKIP_1) | instid1(VALU_DEP_2)
	v_rcp_f64_e32 v[73:74], v[71:72]
	v_add_f64 v[69:70], v[71:72], -v[69:70]
	v_add_f64 v[75:76], v[96:97], -v[75:76]
	s_delay_alu instid0(VALU_DEP_2) | instskip(SKIP_3) | instid1(VALU_DEP_2)
	v_add_f64 v[61:62], v[61:62], -v[69:70]
	s_waitcnt_depctr 0xfff
	v_fma_f64 v[98:99], -v[71:72], v[73:74], 1.0
	v_add_f64 v[57:58], v[57:58], -v[75:76]
	v_fma_f64 v[73:74], v[98:99], v[73:74], v[73:74]
	s_delay_alu instid0(VALU_DEP_1) | instskip(NEXT) | instid1(VALU_DEP_1)
	v_fma_f64 v[59:60], -v[71:72], v[73:74], 1.0
	v_fma_f64 v[59:60], v[59:60], v[73:74], v[73:74]
	s_delay_alu instid0(VALU_DEP_1) | instskip(NEXT) | instid1(VALU_DEP_1)
	v_mul_f64 v[73:74], v[96:97], v[59:60]
	v_mul_f64 v[98:99], v[71:72], v[73:74]
	s_delay_alu instid0(VALU_DEP_1) | instskip(NEXT) | instid1(VALU_DEP_1)
	v_fma_f64 v[69:70], v[73:74], v[71:72], -v[98:99]
	v_fma_f64 v[69:70], v[73:74], v[61:62], v[69:70]
	s_delay_alu instid0(VALU_DEP_1) | instskip(NEXT) | instid1(VALU_DEP_1)
	v_add_f64 v[100:101], v[98:99], v[69:70]
	v_add_f64 v[102:103], v[96:97], -v[100:101]
	v_add_f64 v[75:76], v[100:101], -v[98:99]
	s_delay_alu instid0(VALU_DEP_2) | instskip(NEXT) | instid1(VALU_DEP_2)
	v_add_f64 v[96:97], v[96:97], -v[102:103]
	v_add_f64 v[69:70], v[75:76], -v[69:70]
	s_delay_alu instid0(VALU_DEP_2) | instskip(NEXT) | instid1(VALU_DEP_1)
	v_add_f64 v[96:97], v[96:97], -v[100:101]
	v_add_f64 v[57:58], v[57:58], v[96:97]
	s_delay_alu instid0(VALU_DEP_1) | instskip(NEXT) | instid1(VALU_DEP_1)
	v_add_f64 v[57:58], v[69:70], v[57:58]
	v_add_f64 v[69:70], v[102:103], v[57:58]
	s_delay_alu instid0(VALU_DEP_1) | instskip(SKIP_1) | instid1(VALU_DEP_2)
	v_mul_f64 v[75:76], v[59:60], v[69:70]
	v_add_f64 v[100:101], v[102:103], -v[69:70]
	v_mul_f64 v[96:97], v[71:72], v[75:76]
	s_delay_alu instid0(VALU_DEP_2) | instskip(NEXT) | instid1(VALU_DEP_2)
	v_add_f64 v[57:58], v[57:58], v[100:101]
	v_fma_f64 v[71:72], v[75:76], v[71:72], -v[96:97]
	s_delay_alu instid0(VALU_DEP_1) | instskip(NEXT) | instid1(VALU_DEP_1)
	v_fma_f64 v[61:62], v[75:76], v[61:62], v[71:72]
	v_add_f64 v[71:72], v[96:97], v[61:62]
	s_delay_alu instid0(VALU_DEP_1) | instskip(SKIP_1) | instid1(VALU_DEP_2)
	v_add_f64 v[98:99], v[69:70], -v[71:72]
	v_add_f64 v[96:97], v[71:72], -v[96:97]
	;; [unrolled: 1-line block ×3, first 2 shown]
	s_delay_alu instid0(VALU_DEP_2) | instskip(NEXT) | instid1(VALU_DEP_2)
	v_add_f64 v[61:62], v[96:97], -v[61:62]
	v_add_f64 v[69:70], v[69:70], -v[71:72]
	s_delay_alu instid0(VALU_DEP_1) | instskip(SKIP_1) | instid1(VALU_DEP_2)
	v_add_f64 v[57:58], v[57:58], v[69:70]
	v_add_f64 v[69:70], v[73:74], v[75:76]
	;; [unrolled: 1-line block ×3, first 2 shown]
	s_delay_alu instid0(VALU_DEP_2) | instskip(NEXT) | instid1(VALU_DEP_2)
	v_add_f64 v[61:62], v[69:70], -v[73:74]
	v_add_f64 v[57:58], v[98:99], v[57:58]
	s_delay_alu instid0(VALU_DEP_2) | instskip(NEXT) | instid1(VALU_DEP_2)
	v_add_f64 v[61:62], v[75:76], -v[61:62]
	v_mul_f64 v[57:58], v[59:60], v[57:58]
	s_delay_alu instid0(VALU_DEP_1) | instskip(NEXT) | instid1(VALU_DEP_1)
	v_add_f64 v[57:58], v[61:62], v[57:58]
	v_add_f64 v[59:60], v[69:70], v[57:58]
	s_delay_alu instid0(VALU_DEP_1) | instskip(NEXT) | instid1(VALU_DEP_1)
	v_mul_f64 v[61:62], v[59:60], v[59:60]
	v_fma_f64 v[71:72], v[61:62], s[40:41], s[38:39]
	s_mov_b32 s38, 0xd7f4df2e
	s_mov_b32 s39, 0x3fc7474d
	v_mul_f64 v[73:74], v[59:60], v[61:62]
	s_delay_alu instid0(VALU_DEP_2)
	v_fma_f64 v[71:72], v[61:62], v[71:72], s[38:39]
	s_mov_b32 s38, 0x16291751
	s_mov_b32 s39, 0x3fcc71c0
	s_delay_alu instid0(VALU_DEP_1) | instid1(SALU_CYCLE_1)
	v_fma_f64 v[71:72], v[61:62], v[71:72], s[38:39]
	s_mov_b32 s38, 0x9b27acf1
	s_mov_b32 s39, 0x3fd24924
	s_delay_alu instid0(VALU_DEP_1) | instid1(SALU_CYCLE_1)
	;; [unrolled: 4-line block ×3, first 2 shown]
	v_fma_f64 v[71:72], v[61:62], v[71:72], s[38:39]
	s_delay_alu instid0(VALU_DEP_1) | instskip(SKIP_2) | instid1(VALU_DEP_3)
	v_fma_f64 v[61:62], v[61:62], v[71:72], s[28:29]
	v_ldexp_f64 v[71:72], v[59:60], 1
	v_add_f64 v[59:60], v[59:60], -v[69:70]
	v_mul_f64 v[61:62], v[73:74], v[61:62]
	v_cvt_f64_i32_e32 v[73:74], v104
	s_delay_alu instid0(VALU_DEP_3) | instskip(NEXT) | instid1(VALU_DEP_3)
	v_add_f64 v[57:58], v[57:58], -v[59:60]
	v_add_f64 v[69:70], v[71:72], v[61:62]
	s_delay_alu instid0(VALU_DEP_3) | instskip(NEXT) | instid1(VALU_DEP_3)
	v_mul_f64 v[75:76], v[73:74], s[30:31]
	v_ldexp_f64 v[57:58], v[57:58], 1
	s_delay_alu instid0(VALU_DEP_3) | instskip(NEXT) | instid1(VALU_DEP_3)
	v_add_f64 v[59:60], v[69:70], -v[71:72]
	v_fma_f64 v[71:72], v[73:74], s[30:31], -v[75:76]
	s_delay_alu instid0(VALU_DEP_2) | instskip(NEXT) | instid1(VALU_DEP_2)
	v_add_f64 v[59:60], v[61:62], -v[59:60]
	v_fma_f64 v[61:62], v[73:74], s[34:35], v[71:72]
	s_delay_alu instid0(VALU_DEP_2) | instskip(NEXT) | instid1(VALU_DEP_2)
	v_add_f64 v[57:58], v[57:58], v[59:60]
	v_add_f64 v[59:60], v[75:76], v[61:62]
	s_delay_alu instid0(VALU_DEP_2) | instskip(NEXT) | instid1(VALU_DEP_2)
	v_add_f64 v[71:72], v[69:70], v[57:58]
	v_add_f64 v[75:76], v[59:60], -v[75:76]
	s_delay_alu instid0(VALU_DEP_2) | instskip(SKIP_1) | instid1(VALU_DEP_3)
	v_add_f64 v[73:74], v[59:60], v[71:72]
	v_add_f64 v[69:70], v[71:72], -v[69:70]
	v_add_f64 v[61:62], v[61:62], -v[75:76]
	s_delay_alu instid0(VALU_DEP_3) | instskip(NEXT) | instid1(VALU_DEP_3)
	v_add_f64 v[96:97], v[73:74], -v[59:60]
	v_add_f64 v[57:58], v[57:58], -v[69:70]
	s_delay_alu instid0(VALU_DEP_2) | instskip(SKIP_1) | instid1(VALU_DEP_3)
	v_add_f64 v[98:99], v[73:74], -v[96:97]
	v_add_f64 v[69:70], v[71:72], -v[96:97]
	v_add_f64 v[71:72], v[61:62], v[57:58]
	s_delay_alu instid0(VALU_DEP_3) | instskip(NEXT) | instid1(VALU_DEP_1)
	v_add_f64 v[59:60], v[59:60], -v[98:99]
	v_add_f64 v[59:60], v[69:70], v[59:60]
	s_delay_alu instid0(VALU_DEP_3) | instskip(NEXT) | instid1(VALU_DEP_2)
	v_add_f64 v[69:70], v[71:72], -v[61:62]
	v_add_f64 v[59:60], v[71:72], v[59:60]
	s_delay_alu instid0(VALU_DEP_2) | instskip(SKIP_1) | instid1(VALU_DEP_3)
	v_add_f64 v[71:72], v[71:72], -v[69:70]
	v_add_f64 v[57:58], v[57:58], -v[69:70]
	v_add_f64 v[75:76], v[73:74], v[59:60]
	s_delay_alu instid0(VALU_DEP_3) | instskip(NEXT) | instid1(VALU_DEP_2)
	v_add_f64 v[61:62], v[61:62], -v[71:72]
	v_add_f64 v[69:70], v[75:76], -v[73:74]
	s_delay_alu instid0(VALU_DEP_2) | instskip(NEXT) | instid1(VALU_DEP_2)
	v_add_f64 v[57:58], v[57:58], v[61:62]
	v_add_f64 v[59:60], v[59:60], -v[69:70]
	s_delay_alu instid0(VALU_DEP_1) | instskip(NEXT) | instid1(VALU_DEP_1)
	v_add_f64 v[57:58], v[57:58], v[59:60]
	v_add_f64 v[57:58], v[75:76], v[57:58]
	s_delay_alu instid0(VALU_DEP_1) | instskip(NEXT) | instid1(VALU_DEP_2)
	v_cndmask_b32_e64 v57, v57, v55, s27
	v_cndmask_b32_e64 v58, v58, v56, s27
	v_cmp_ngt_f64_e64 s27, -1.0, v[55:56]
	s_delay_alu instid0(VALU_DEP_1) | instskip(SKIP_1) | instid1(VALU_DEP_1)
	v_cndmask_b32_e64 v58, 0x7ff80000, v58, s27
	v_cmp_nge_f64_e64 s27, -1.0, v[55:56]
	v_cndmask_b32_e64 v57, 0, v57, s27
	v_cmp_neq_f64_e64 s27, -1.0, v[55:56]
	s_delay_alu instid0(VALU_DEP_1) | instskip(NEXT) | instid1(VALU_DEP_1)
	v_cndmask_b32_e64 v58, 0xfff00000, v58, s27
	v_add_f64 v[69:70], v[53:54], v[57:58]
.LBB46_52:
	s_or_b32 exec_lo, exec_lo, s36
	v_max_f64 v[53:54], v[15:16], v[15:16]
	s_delay_alu instid0(VALU_DEP_2) | instskip(SKIP_2) | instid1(VALU_DEP_3)
	v_max_f64 v[55:56], v[69:70], v[69:70]
	v_cmp_u_f64_e64 s28, v[69:70], v[69:70]
	v_cmp_u_f64_e64 s27, v[15:16], v[15:16]
	v_min_f64 v[57:58], v[55:56], v[53:54]
	v_max_f64 v[55:56], v[55:56], v[53:54]
	s_delay_alu instid0(VALU_DEP_2) | instskip(NEXT) | instid1(VALU_DEP_3)
	v_cndmask_b32_e64 v57, v57, v69, s28
	v_cndmask_b32_e64 v58, v58, v70, s28
	s_delay_alu instid0(VALU_DEP_3) | instskip(NEXT) | instid1(VALU_DEP_4)
	v_cndmask_b32_e64 v56, v56, v70, s28
	v_cndmask_b32_e64 v55, v55, v69, s28
	s_delay_alu instid0(VALU_DEP_4) | instskip(NEXT) | instid1(VALU_DEP_4)
	v_cndmask_b32_e64 v57, v57, v15, s27
	v_cndmask_b32_e64 v58, v58, v16, s27
	s_delay_alu instid0(VALU_DEP_4) | instskip(NEXT) | instid1(VALU_DEP_4)
	v_cndmask_b32_e64 v56, v56, v16, s27
	v_cndmask_b32_e64 v55, v55, v15, s27
	s_delay_alu instid0(VALU_DEP_3) | instskip(NEXT) | instid1(VALU_DEP_2)
	v_cmp_class_f64_e64 s29, v[57:58], 0x1f8
	v_cmp_neq_f64_e64 s28, v[57:58], v[55:56]
	s_delay_alu instid0(VALU_DEP_1) | instskip(NEXT) | instid1(SALU_CYCLE_1)
	s_or_b32 s28, s28, s29
	s_and_saveexec_b32 s36, s28
	s_cbranch_execz .LBB46_54
; %bb.53:
	v_add_f64 v[57:58], v[57:58], -v[55:56]
	s_mov_b32 s28, 0x652b82fe
	s_mov_b32 s29, 0x3ff71547
	;; [unrolled: 1-line block ×10, first 2 shown]
	s_delay_alu instid0(VALU_DEP_1) | instskip(SKIP_2) | instid1(VALU_DEP_1)
	v_mul_f64 v[59:60], v[57:58], s[28:29]
	s_mov_b32 s28, 0xfca7ab0c
	s_mov_b32 s29, 0x3e928af3
	v_rndne_f64_e32 v[59:60], v[59:60]
	s_delay_alu instid0(VALU_DEP_1) | instskip(SKIP_2) | instid1(VALU_DEP_2)
	v_fma_f64 v[61:62], v[59:60], s[30:31], v[57:58]
	v_cvt_i32_f64_e32 v71, v[59:60]
	s_mov_b32 s31, 0x3fe62e42
	v_fma_f64 v[61:62], v[59:60], s[34:35], v[61:62]
	s_mov_b32 s35, 0x3c7abc9e
	s_delay_alu instid0(VALU_DEP_1) | instskip(SKIP_4) | instid1(VALU_DEP_1)
	v_fma_f64 v[69:70], v[61:62], s[38:39], s[28:29]
	s_mov_b32 s28, 0x623fde64
	s_mov_b32 s29, 0x3ec71dee
	;; [unrolled: 1-line block ×4, first 2 shown]
	v_fma_f64 v[69:70], v[61:62], v[69:70], s[28:29]
	s_mov_b32 s28, 0x7c89e6b0
	s_mov_b32 s29, 0x3efa0199
	s_delay_alu instid0(VALU_DEP_1) | instid1(SALU_CYCLE_1)
	v_fma_f64 v[69:70], v[61:62], v[69:70], s[28:29]
	s_mov_b32 s28, 0x14761f6e
	s_mov_b32 s29, 0x3f2a01a0
	s_delay_alu instid0(VALU_DEP_1) | instid1(SALU_CYCLE_1)
	;; [unrolled: 4-line block ×7, first 2 shown]
	v_fma_f64 v[69:70], v[61:62], v[69:70], s[28:29]
	v_cmp_nlt_f64_e64 s28, 0x40900000, v[57:58]
	v_cmp_ngt_f64_e64 s29, 0xc090cc00, v[57:58]
	s_delay_alu instid0(VALU_DEP_3) | instskip(NEXT) | instid1(VALU_DEP_1)
	v_fma_f64 v[69:70], v[61:62], v[69:70], 1.0
	v_fma_f64 v[59:60], v[61:62], v[69:70], 1.0
	s_delay_alu instid0(VALU_DEP_1) | instskip(NEXT) | instid1(VALU_DEP_1)
	v_ldexp_f64 v[59:60], v[59:60], v71
	v_cndmask_b32_e64 v60, 0x7ff00000, v60, s28
	s_and_b32 s28, s29, s28
	s_delay_alu instid0(VALU_DEP_2) | instid1(SALU_CYCLE_1)
	v_cndmask_b32_e64 v57, 0, v59, s28
	s_mov_b32 s28, 0x55555555
	s_delay_alu instid0(VALU_DEP_2) | instskip(SKIP_1) | instid1(VALU_DEP_1)
	v_cndmask_b32_e64 v58, 0, v60, s29
	s_mov_b32 s29, 0x3fe55555
	v_add_f64 v[59:60], v[57:58], 1.0
	s_delay_alu instid0(VALU_DEP_1) | instskip(SKIP_2) | instid1(VALU_DEP_3)
	v_frexp_mant_f64_e32 v[61:62], v[59:60]
	v_frexp_exp_i32_f64_e32 v71, v[59:60]
	v_add_f64 v[69:70], v[59:60], -1.0
	v_cmp_gt_f64_e64 s28, s[28:29], v[61:62]
	s_delay_alu instid0(VALU_DEP_2) | instskip(SKIP_1) | instid1(VALU_DEP_3)
	v_add_f64 v[61:62], v[69:70], -v[59:60]
	v_add_f64 v[69:70], v[57:58], -v[69:70]
	v_subrev_co_ci_u32_e64 v106, s28, 0, v71, s28
	s_delay_alu instid0(VALU_DEP_3) | instskip(SKIP_1) | instid1(VALU_DEP_2)
	v_add_f64 v[61:62], v[61:62], 1.0
	s_mov_b32 s28, 0x55555780
	v_sub_nc_u32_e32 v73, 0, v106
	s_delay_alu instid0(VALU_DEP_1) | instskip(NEXT) | instid1(VALU_DEP_3)
	v_ldexp_f64 v[59:60], v[59:60], v73
	v_add_f64 v[61:62], v[69:70], v[61:62]
	s_delay_alu instid0(VALU_DEP_2) | instskip(SKIP_1) | instid1(VALU_DEP_3)
	v_add_f64 v[71:72], v[59:60], 1.0
	v_add_f64 v[96:97], v[59:60], -1.0
	v_ldexp_f64 v[61:62], v[61:62], v73
	s_delay_alu instid0(VALU_DEP_3) | instskip(NEXT) | instid1(VALU_DEP_3)
	v_add_f64 v[69:70], v[71:72], -1.0
	v_add_f64 v[98:99], v[96:97], 1.0
	s_delay_alu instid0(VALU_DEP_2) | instskip(NEXT) | instid1(VALU_DEP_2)
	v_add_f64 v[69:70], v[59:60], -v[69:70]
	v_add_f64 v[59:60], v[59:60], -v[98:99]
	s_delay_alu instid0(VALU_DEP_2) | instskip(NEXT) | instid1(VALU_DEP_2)
	v_add_f64 v[69:70], v[61:62], v[69:70]
	v_add_f64 v[59:60], v[61:62], v[59:60]
	s_delay_alu instid0(VALU_DEP_2) | instskip(NEXT) | instid1(VALU_DEP_2)
	v_add_f64 v[73:74], v[71:72], v[69:70]
	v_add_f64 v[98:99], v[96:97], v[59:60]
	s_delay_alu instid0(VALU_DEP_2) | instskip(SKIP_1) | instid1(VALU_DEP_2)
	v_rcp_f64_e32 v[75:76], v[73:74]
	v_add_f64 v[71:72], v[73:74], -v[71:72]
	v_add_f64 v[96:97], v[98:99], -v[96:97]
	s_delay_alu instid0(VALU_DEP_2) | instskip(SKIP_3) | instid1(VALU_DEP_2)
	v_add_f64 v[69:70], v[69:70], -v[71:72]
	s_waitcnt_depctr 0xfff
	v_fma_f64 v[100:101], -v[73:74], v[75:76], 1.0
	v_add_f64 v[59:60], v[59:60], -v[96:97]
	v_fma_f64 v[75:76], v[100:101], v[75:76], v[75:76]
	s_delay_alu instid0(VALU_DEP_1) | instskip(NEXT) | instid1(VALU_DEP_1)
	v_fma_f64 v[61:62], -v[73:74], v[75:76], 1.0
	v_fma_f64 v[61:62], v[61:62], v[75:76], v[75:76]
	s_delay_alu instid0(VALU_DEP_1) | instskip(NEXT) | instid1(VALU_DEP_1)
	v_mul_f64 v[75:76], v[98:99], v[61:62]
	v_mul_f64 v[100:101], v[73:74], v[75:76]
	s_delay_alu instid0(VALU_DEP_1) | instskip(NEXT) | instid1(VALU_DEP_1)
	v_fma_f64 v[71:72], v[75:76], v[73:74], -v[100:101]
	v_fma_f64 v[71:72], v[75:76], v[69:70], v[71:72]
	s_delay_alu instid0(VALU_DEP_1) | instskip(NEXT) | instid1(VALU_DEP_1)
	v_add_f64 v[102:103], v[100:101], v[71:72]
	v_add_f64 v[104:105], v[98:99], -v[102:103]
	v_add_f64 v[96:97], v[102:103], -v[100:101]
	s_delay_alu instid0(VALU_DEP_2) | instskip(NEXT) | instid1(VALU_DEP_2)
	v_add_f64 v[98:99], v[98:99], -v[104:105]
	v_add_f64 v[71:72], v[96:97], -v[71:72]
	s_delay_alu instid0(VALU_DEP_2) | instskip(NEXT) | instid1(VALU_DEP_1)
	v_add_f64 v[98:99], v[98:99], -v[102:103]
	v_add_f64 v[59:60], v[59:60], v[98:99]
	s_delay_alu instid0(VALU_DEP_1) | instskip(NEXT) | instid1(VALU_DEP_1)
	v_add_f64 v[59:60], v[71:72], v[59:60]
	v_add_f64 v[71:72], v[104:105], v[59:60]
	s_delay_alu instid0(VALU_DEP_1) | instskip(SKIP_1) | instid1(VALU_DEP_2)
	v_mul_f64 v[96:97], v[61:62], v[71:72]
	v_add_f64 v[102:103], v[104:105], -v[71:72]
	v_mul_f64 v[98:99], v[73:74], v[96:97]
	s_delay_alu instid0(VALU_DEP_2) | instskip(NEXT) | instid1(VALU_DEP_2)
	v_add_f64 v[59:60], v[59:60], v[102:103]
	v_fma_f64 v[73:74], v[96:97], v[73:74], -v[98:99]
	s_delay_alu instid0(VALU_DEP_1) | instskip(NEXT) | instid1(VALU_DEP_1)
	v_fma_f64 v[69:70], v[96:97], v[69:70], v[73:74]
	v_add_f64 v[73:74], v[98:99], v[69:70]
	s_delay_alu instid0(VALU_DEP_1) | instskip(SKIP_1) | instid1(VALU_DEP_2)
	v_add_f64 v[100:101], v[71:72], -v[73:74]
	v_add_f64 v[98:99], v[73:74], -v[98:99]
	;; [unrolled: 1-line block ×3, first 2 shown]
	s_delay_alu instid0(VALU_DEP_2) | instskip(NEXT) | instid1(VALU_DEP_2)
	v_add_f64 v[69:70], v[98:99], -v[69:70]
	v_add_f64 v[71:72], v[71:72], -v[73:74]
	s_delay_alu instid0(VALU_DEP_1) | instskip(SKIP_1) | instid1(VALU_DEP_2)
	v_add_f64 v[59:60], v[59:60], v[71:72]
	v_add_f64 v[71:72], v[75:76], v[96:97]
	;; [unrolled: 1-line block ×3, first 2 shown]
	s_delay_alu instid0(VALU_DEP_2) | instskip(NEXT) | instid1(VALU_DEP_2)
	v_add_f64 v[69:70], v[71:72], -v[75:76]
	v_add_f64 v[59:60], v[100:101], v[59:60]
	s_delay_alu instid0(VALU_DEP_2) | instskip(NEXT) | instid1(VALU_DEP_2)
	v_add_f64 v[69:70], v[96:97], -v[69:70]
	v_mul_f64 v[59:60], v[61:62], v[59:60]
	s_delay_alu instid0(VALU_DEP_1) | instskip(NEXT) | instid1(VALU_DEP_1)
	v_add_f64 v[59:60], v[69:70], v[59:60]
	v_add_f64 v[61:62], v[71:72], v[59:60]
	s_delay_alu instid0(VALU_DEP_1) | instskip(NEXT) | instid1(VALU_DEP_1)
	v_mul_f64 v[69:70], v[61:62], v[61:62]
	v_fma_f64 v[73:74], v[69:70], s[40:41], s[38:39]
	s_mov_b32 s38, 0xd7f4df2e
	s_mov_b32 s39, 0x3fc7474d
	v_mul_f64 v[75:76], v[61:62], v[69:70]
	s_delay_alu instid0(VALU_DEP_2)
	v_fma_f64 v[73:74], v[69:70], v[73:74], s[38:39]
	s_mov_b32 s38, 0x16291751
	s_mov_b32 s39, 0x3fcc71c0
	s_delay_alu instid0(VALU_DEP_1) | instid1(SALU_CYCLE_1)
	v_fma_f64 v[73:74], v[69:70], v[73:74], s[38:39]
	s_mov_b32 s38, 0x9b27acf1
	s_mov_b32 s39, 0x3fd24924
	s_delay_alu instid0(VALU_DEP_1) | instid1(SALU_CYCLE_1)
	;; [unrolled: 4-line block ×3, first 2 shown]
	v_fma_f64 v[73:74], v[69:70], v[73:74], s[38:39]
	s_delay_alu instid0(VALU_DEP_1) | instskip(SKIP_3) | instid1(VALU_DEP_4)
	v_fma_f64 v[69:70], v[69:70], v[73:74], s[28:29]
	v_ldexp_f64 v[73:74], v[61:62], 1
	v_add_f64 v[61:62], v[61:62], -v[71:72]
	v_cmp_eq_f64_e64 s28, 0x7ff00000, v[57:58]
	v_mul_f64 v[69:70], v[75:76], v[69:70]
	v_cvt_f64_i32_e32 v[75:76], v106
	s_delay_alu instid0(VALU_DEP_4) | instskip(NEXT) | instid1(VALU_DEP_3)
	v_add_f64 v[59:60], v[59:60], -v[61:62]
	v_add_f64 v[71:72], v[73:74], v[69:70]
	s_delay_alu instid0(VALU_DEP_3) | instskip(NEXT) | instid1(VALU_DEP_3)
	v_mul_f64 v[96:97], v[75:76], s[30:31]
	v_ldexp_f64 v[59:60], v[59:60], 1
	s_delay_alu instid0(VALU_DEP_3) | instskip(NEXT) | instid1(VALU_DEP_3)
	v_add_f64 v[61:62], v[71:72], -v[73:74]
	v_fma_f64 v[73:74], v[75:76], s[30:31], -v[96:97]
	s_delay_alu instid0(VALU_DEP_2) | instskip(NEXT) | instid1(VALU_DEP_2)
	v_add_f64 v[61:62], v[69:70], -v[61:62]
	v_fma_f64 v[69:70], v[75:76], s[34:35], v[73:74]
	s_delay_alu instid0(VALU_DEP_2) | instskip(NEXT) | instid1(VALU_DEP_2)
	v_add_f64 v[59:60], v[59:60], v[61:62]
	v_add_f64 v[61:62], v[96:97], v[69:70]
	s_delay_alu instid0(VALU_DEP_2) | instskip(NEXT) | instid1(VALU_DEP_2)
	v_add_f64 v[73:74], v[71:72], v[59:60]
	v_add_f64 v[96:97], v[61:62], -v[96:97]
	s_delay_alu instid0(VALU_DEP_2) | instskip(SKIP_1) | instid1(VALU_DEP_3)
	v_add_f64 v[75:76], v[61:62], v[73:74]
	v_add_f64 v[71:72], v[73:74], -v[71:72]
	v_add_f64 v[69:70], v[69:70], -v[96:97]
	s_delay_alu instid0(VALU_DEP_3) | instskip(NEXT) | instid1(VALU_DEP_3)
	v_add_f64 v[98:99], v[75:76], -v[61:62]
	v_add_f64 v[59:60], v[59:60], -v[71:72]
	s_delay_alu instid0(VALU_DEP_2) | instskip(SKIP_1) | instid1(VALU_DEP_3)
	v_add_f64 v[100:101], v[75:76], -v[98:99]
	v_add_f64 v[71:72], v[73:74], -v[98:99]
	v_add_f64 v[73:74], v[69:70], v[59:60]
	s_delay_alu instid0(VALU_DEP_3) | instskip(NEXT) | instid1(VALU_DEP_1)
	v_add_f64 v[61:62], v[61:62], -v[100:101]
	v_add_f64 v[61:62], v[71:72], v[61:62]
	s_delay_alu instid0(VALU_DEP_3) | instskip(NEXT) | instid1(VALU_DEP_2)
	v_add_f64 v[71:72], v[73:74], -v[69:70]
	v_add_f64 v[61:62], v[73:74], v[61:62]
	s_delay_alu instid0(VALU_DEP_2) | instskip(SKIP_1) | instid1(VALU_DEP_3)
	v_add_f64 v[73:74], v[73:74], -v[71:72]
	v_add_f64 v[59:60], v[59:60], -v[71:72]
	v_add_f64 v[96:97], v[75:76], v[61:62]
	s_delay_alu instid0(VALU_DEP_3) | instskip(NEXT) | instid1(VALU_DEP_2)
	v_add_f64 v[69:70], v[69:70], -v[73:74]
	v_add_f64 v[71:72], v[96:97], -v[75:76]
	s_delay_alu instid0(VALU_DEP_2) | instskip(NEXT) | instid1(VALU_DEP_2)
	v_add_f64 v[59:60], v[59:60], v[69:70]
	v_add_f64 v[61:62], v[61:62], -v[71:72]
	s_delay_alu instid0(VALU_DEP_1) | instskip(NEXT) | instid1(VALU_DEP_1)
	v_add_f64 v[59:60], v[59:60], v[61:62]
	v_add_f64 v[59:60], v[96:97], v[59:60]
	s_delay_alu instid0(VALU_DEP_1) | instskip(NEXT) | instid1(VALU_DEP_2)
	v_cndmask_b32_e64 v59, v59, v57, s28
	v_cndmask_b32_e64 v60, v60, v58, s28
	v_cmp_ngt_f64_e64 s28, -1.0, v[57:58]
	s_delay_alu instid0(VALU_DEP_1) | instskip(SKIP_1) | instid1(VALU_DEP_1)
	v_cndmask_b32_e64 v60, 0x7ff80000, v60, s28
	v_cmp_nge_f64_e64 s28, -1.0, v[57:58]
	v_cndmask_b32_e64 v59, 0, v59, s28
	v_cmp_neq_f64_e64 s28, -1.0, v[57:58]
	s_delay_alu instid0(VALU_DEP_1) | instskip(NEXT) | instid1(VALU_DEP_1)
	v_cndmask_b32_e64 v60, 0xfff00000, v60, s28
	v_add_f64 v[69:70], v[55:56], v[59:60]
.LBB46_54:
	s_or_b32 exec_lo, exec_lo, s36
	v_max_f64 v[55:56], v[9:10], v[9:10]
	s_delay_alu instid0(VALU_DEP_2) | instskip(SKIP_2) | instid1(VALU_DEP_3)
	v_max_f64 v[57:58], v[69:70], v[69:70]
	v_cmp_u_f64_e64 s29, v[69:70], v[69:70]
	v_cmp_u_f64_e64 s28, v[9:10], v[9:10]
	v_min_f64 v[59:60], v[57:58], v[55:56]
	v_max_f64 v[57:58], v[57:58], v[55:56]
	s_delay_alu instid0(VALU_DEP_2) | instskip(NEXT) | instid1(VALU_DEP_3)
	v_cndmask_b32_e64 v59, v59, v69, s29
	v_cndmask_b32_e64 v60, v60, v70, s29
	s_delay_alu instid0(VALU_DEP_3) | instskip(NEXT) | instid1(VALU_DEP_4)
	v_cndmask_b32_e64 v58, v58, v70, s29
	v_cndmask_b32_e64 v57, v57, v69, s29
	s_delay_alu instid0(VALU_DEP_4) | instskip(NEXT) | instid1(VALU_DEP_4)
	v_cndmask_b32_e64 v59, v59, v9, s28
	v_cndmask_b32_e64 v60, v60, v10, s28
	s_delay_alu instid0(VALU_DEP_4) | instskip(NEXT) | instid1(VALU_DEP_4)
	v_cndmask_b32_e64 v58, v58, v10, s28
	v_cndmask_b32_e64 v57, v57, v9, s28
	s_delay_alu instid0(VALU_DEP_3) | instskip(NEXT) | instid1(VALU_DEP_2)
	v_cmp_class_f64_e64 s30, v[59:60], 0x1f8
	v_cmp_neq_f64_e64 s29, v[59:60], v[57:58]
	s_delay_alu instid0(VALU_DEP_1) | instskip(NEXT) | instid1(SALU_CYCLE_1)
	s_or_b32 s29, s29, s30
	s_and_saveexec_b32 s38, s29
	s_cbranch_execz .LBB46_56
; %bb.55:
	v_add_f64 v[59:60], v[59:60], -v[57:58]
	s_mov_b32 s30, 0x652b82fe
	s_mov_b32 s31, 0x3ff71547
	;; [unrolled: 1-line block ×10, first 2 shown]
	s_delay_alu instid0(VALU_DEP_1) | instskip(SKIP_3) | instid1(VALU_DEP_2)
	v_mul_f64 v[61:62], v[59:60], s[30:31]
	s_mov_b32 s30, 0xfca7ab0c
	s_mov_b32 s31, 0x3e928af3
	v_cmp_nlt_f64_e64 s29, 0x40900000, v[59:60]
	v_rndne_f64_e32 v[61:62], v[61:62]
	s_delay_alu instid0(VALU_DEP_1) | instskip(SKIP_2) | instid1(VALU_DEP_2)
	v_fma_f64 v[69:70], v[61:62], s[34:35], v[59:60]
	v_cvt_i32_f64_e32 v73, v[61:62]
	s_mov_b32 s35, 0x3fe62e42
	v_fma_f64 v[69:70], v[61:62], s[36:37], v[69:70]
	s_mov_b32 s37, 0x3c7abc9e
	s_delay_alu instid0(VALU_DEP_1) | instskip(SKIP_4) | instid1(VALU_DEP_1)
	v_fma_f64 v[71:72], v[69:70], s[40:41], s[30:31]
	s_mov_b32 s30, 0x623fde64
	s_mov_b32 s31, 0x3ec71dee
	s_mov_b32 s40, 0x6b47b09a
	s_mov_b32 s41, 0x3fc38538
	v_fma_f64 v[71:72], v[69:70], v[71:72], s[30:31]
	s_mov_b32 s30, 0x7c89e6b0
	s_mov_b32 s31, 0x3efa0199
	s_delay_alu instid0(VALU_DEP_1) | instid1(SALU_CYCLE_1)
	v_fma_f64 v[71:72], v[69:70], v[71:72], s[30:31]
	s_mov_b32 s30, 0x14761f6e
	s_mov_b32 s31, 0x3f2a01a0
	s_delay_alu instid0(VALU_DEP_1) | instid1(SALU_CYCLE_1)
	;; [unrolled: 4-line block ×7, first 2 shown]
	v_fma_f64 v[71:72], v[69:70], v[71:72], s[30:31]
	v_cmp_ngt_f64_e64 s30, 0xc090cc00, v[59:60]
	s_mov_b32 s31, 0x3fe55555
	s_delay_alu instid0(VALU_DEP_2) | instskip(NEXT) | instid1(VALU_DEP_1)
	v_fma_f64 v[71:72], v[69:70], v[71:72], 1.0
	v_fma_f64 v[61:62], v[69:70], v[71:72], 1.0
	s_delay_alu instid0(VALU_DEP_1) | instskip(NEXT) | instid1(VALU_DEP_1)
	v_ldexp_f64 v[61:62], v[61:62], v73
	v_cndmask_b32_e64 v62, 0x7ff00000, v62, s29
	s_and_b32 s29, s30, s29
	s_delay_alu instid0(VALU_DEP_2) | instid1(SALU_CYCLE_1)
	v_cndmask_b32_e64 v59, 0, v61, s29
	s_delay_alu instid0(VALU_DEP_2) | instskip(SKIP_1) | instid1(VALU_DEP_1)
	v_cndmask_b32_e64 v60, 0, v62, s30
	s_mov_b32 s30, 0x55555555
	v_add_f64 v[61:62], v[59:60], 1.0
	s_delay_alu instid0(VALU_DEP_1) | instskip(SKIP_2) | instid1(VALU_DEP_3)
	v_frexp_mant_f64_e32 v[69:70], v[61:62]
	v_frexp_exp_i32_f64_e32 v73, v[61:62]
	v_add_f64 v[71:72], v[61:62], -1.0
	v_cmp_gt_f64_e64 s29, s[30:31], v[69:70]
	s_mov_b32 s30, 0x55555780
	s_delay_alu instid0(VALU_DEP_2) | instskip(SKIP_1) | instid1(VALU_DEP_3)
	v_add_f64 v[69:70], v[71:72], -v[61:62]
	v_add_f64 v[71:72], v[59:60], -v[71:72]
	v_subrev_co_ci_u32_e64 v108, s29, 0, v73, s29
	s_delay_alu instid0(VALU_DEP_3) | instskip(SKIP_1) | instid1(VALU_DEP_3)
	v_add_f64 v[69:70], v[69:70], 1.0
	v_cmp_eq_f64_e64 s29, 0x7ff00000, v[59:60]
	v_sub_nc_u32_e32 v75, 0, v108
	s_delay_alu instid0(VALU_DEP_1) | instskip(NEXT) | instid1(VALU_DEP_4)
	v_ldexp_f64 v[61:62], v[61:62], v75
	v_add_f64 v[69:70], v[71:72], v[69:70]
	s_delay_alu instid0(VALU_DEP_2) | instskip(SKIP_1) | instid1(VALU_DEP_3)
	v_add_f64 v[73:74], v[61:62], 1.0
	v_add_f64 v[98:99], v[61:62], -1.0
	v_ldexp_f64 v[69:70], v[69:70], v75
	s_delay_alu instid0(VALU_DEP_3) | instskip(NEXT) | instid1(VALU_DEP_3)
	v_add_f64 v[71:72], v[73:74], -1.0
	v_add_f64 v[100:101], v[98:99], 1.0
	s_delay_alu instid0(VALU_DEP_2) | instskip(NEXT) | instid1(VALU_DEP_2)
	v_add_f64 v[71:72], v[61:62], -v[71:72]
	v_add_f64 v[61:62], v[61:62], -v[100:101]
	s_delay_alu instid0(VALU_DEP_2) | instskip(NEXT) | instid1(VALU_DEP_2)
	v_add_f64 v[71:72], v[69:70], v[71:72]
	v_add_f64 v[61:62], v[69:70], v[61:62]
	s_delay_alu instid0(VALU_DEP_2) | instskip(NEXT) | instid1(VALU_DEP_2)
	v_add_f64 v[75:76], v[73:74], v[71:72]
	v_add_f64 v[100:101], v[98:99], v[61:62]
	s_delay_alu instid0(VALU_DEP_2) | instskip(SKIP_1) | instid1(VALU_DEP_2)
	v_rcp_f64_e32 v[96:97], v[75:76]
	v_add_f64 v[73:74], v[75:76], -v[73:74]
	v_add_f64 v[98:99], v[100:101], -v[98:99]
	s_delay_alu instid0(VALU_DEP_2) | instskip(SKIP_3) | instid1(VALU_DEP_2)
	v_add_f64 v[71:72], v[71:72], -v[73:74]
	s_waitcnt_depctr 0xfff
	v_fma_f64 v[102:103], -v[75:76], v[96:97], 1.0
	v_add_f64 v[61:62], v[61:62], -v[98:99]
	v_fma_f64 v[96:97], v[102:103], v[96:97], v[96:97]
	s_delay_alu instid0(VALU_DEP_1) | instskip(NEXT) | instid1(VALU_DEP_1)
	v_fma_f64 v[69:70], -v[75:76], v[96:97], 1.0
	v_fma_f64 v[69:70], v[69:70], v[96:97], v[96:97]
	s_delay_alu instid0(VALU_DEP_1) | instskip(NEXT) | instid1(VALU_DEP_1)
	v_mul_f64 v[96:97], v[100:101], v[69:70]
	v_mul_f64 v[102:103], v[75:76], v[96:97]
	s_delay_alu instid0(VALU_DEP_1) | instskip(NEXT) | instid1(VALU_DEP_1)
	v_fma_f64 v[73:74], v[96:97], v[75:76], -v[102:103]
	v_fma_f64 v[73:74], v[96:97], v[71:72], v[73:74]
	s_delay_alu instid0(VALU_DEP_1) | instskip(NEXT) | instid1(VALU_DEP_1)
	v_add_f64 v[104:105], v[102:103], v[73:74]
	v_add_f64 v[106:107], v[100:101], -v[104:105]
	v_add_f64 v[98:99], v[104:105], -v[102:103]
	s_delay_alu instid0(VALU_DEP_2) | instskip(NEXT) | instid1(VALU_DEP_2)
	v_add_f64 v[100:101], v[100:101], -v[106:107]
	v_add_f64 v[73:74], v[98:99], -v[73:74]
	s_delay_alu instid0(VALU_DEP_2) | instskip(NEXT) | instid1(VALU_DEP_1)
	v_add_f64 v[100:101], v[100:101], -v[104:105]
	v_add_f64 v[61:62], v[61:62], v[100:101]
	s_delay_alu instid0(VALU_DEP_1) | instskip(NEXT) | instid1(VALU_DEP_1)
	v_add_f64 v[61:62], v[73:74], v[61:62]
	v_add_f64 v[73:74], v[106:107], v[61:62]
	s_delay_alu instid0(VALU_DEP_1) | instskip(SKIP_1) | instid1(VALU_DEP_2)
	v_mul_f64 v[98:99], v[69:70], v[73:74]
	v_add_f64 v[104:105], v[106:107], -v[73:74]
	v_mul_f64 v[100:101], v[75:76], v[98:99]
	s_delay_alu instid0(VALU_DEP_2) | instskip(NEXT) | instid1(VALU_DEP_2)
	v_add_f64 v[61:62], v[61:62], v[104:105]
	v_fma_f64 v[75:76], v[98:99], v[75:76], -v[100:101]
	s_delay_alu instid0(VALU_DEP_1) | instskip(NEXT) | instid1(VALU_DEP_1)
	v_fma_f64 v[71:72], v[98:99], v[71:72], v[75:76]
	v_add_f64 v[75:76], v[100:101], v[71:72]
	s_delay_alu instid0(VALU_DEP_1) | instskip(SKIP_1) | instid1(VALU_DEP_2)
	v_add_f64 v[102:103], v[73:74], -v[75:76]
	v_add_f64 v[100:101], v[75:76], -v[100:101]
	v_add_f64 v[73:74], v[73:74], -v[102:103]
	s_delay_alu instid0(VALU_DEP_2) | instskip(NEXT) | instid1(VALU_DEP_2)
	v_add_f64 v[71:72], v[100:101], -v[71:72]
	v_add_f64 v[73:74], v[73:74], -v[75:76]
	s_delay_alu instid0(VALU_DEP_1) | instskip(SKIP_1) | instid1(VALU_DEP_2)
	v_add_f64 v[61:62], v[61:62], v[73:74]
	v_add_f64 v[73:74], v[96:97], v[98:99]
	;; [unrolled: 1-line block ×3, first 2 shown]
	s_delay_alu instid0(VALU_DEP_2) | instskip(NEXT) | instid1(VALU_DEP_2)
	v_add_f64 v[71:72], v[73:74], -v[96:97]
	v_add_f64 v[61:62], v[102:103], v[61:62]
	s_delay_alu instid0(VALU_DEP_2) | instskip(NEXT) | instid1(VALU_DEP_2)
	v_add_f64 v[71:72], v[98:99], -v[71:72]
	v_mul_f64 v[61:62], v[69:70], v[61:62]
	s_delay_alu instid0(VALU_DEP_1) | instskip(NEXT) | instid1(VALU_DEP_1)
	v_add_f64 v[61:62], v[71:72], v[61:62]
	v_add_f64 v[69:70], v[73:74], v[61:62]
	s_delay_alu instid0(VALU_DEP_1) | instskip(NEXT) | instid1(VALU_DEP_1)
	v_mul_f64 v[71:72], v[69:70], v[69:70]
	v_fma_f64 v[75:76], v[71:72], s[42:43], s[40:41]
	s_mov_b32 s40, 0xd7f4df2e
	s_mov_b32 s41, 0x3fc7474d
	v_mul_f64 v[96:97], v[69:70], v[71:72]
	s_delay_alu instid0(VALU_DEP_2)
	v_fma_f64 v[75:76], v[71:72], v[75:76], s[40:41]
	s_mov_b32 s40, 0x16291751
	s_mov_b32 s41, 0x3fcc71c0
	s_delay_alu instid0(VALU_DEP_1) | instid1(SALU_CYCLE_1)
	v_fma_f64 v[75:76], v[71:72], v[75:76], s[40:41]
	s_mov_b32 s40, 0x9b27acf1
	s_mov_b32 s41, 0x3fd24924
	s_delay_alu instid0(VALU_DEP_1) | instid1(SALU_CYCLE_1)
	v_fma_f64 v[75:76], v[71:72], v[75:76], s[40:41]
	s_mov_b32 s40, 0x998ef7b6
	s_mov_b32 s41, 0x3fd99999
	s_delay_alu instid0(VALU_DEP_1) | instid1(SALU_CYCLE_1)
	v_fma_f64 v[75:76], v[71:72], v[75:76], s[40:41]
	s_delay_alu instid0(VALU_DEP_1) | instskip(SKIP_2) | instid1(VALU_DEP_3)
	v_fma_f64 v[71:72], v[71:72], v[75:76], s[30:31]
	v_ldexp_f64 v[75:76], v[69:70], 1
	v_add_f64 v[69:70], v[69:70], -v[73:74]
	v_mul_f64 v[71:72], v[96:97], v[71:72]
	v_cvt_f64_i32_e32 v[96:97], v108
	s_delay_alu instid0(VALU_DEP_3) | instskip(NEXT) | instid1(VALU_DEP_3)
	v_add_f64 v[61:62], v[61:62], -v[69:70]
	v_add_f64 v[73:74], v[75:76], v[71:72]
	s_delay_alu instid0(VALU_DEP_3) | instskip(NEXT) | instid1(VALU_DEP_3)
	v_mul_f64 v[98:99], v[96:97], s[34:35]
	v_ldexp_f64 v[61:62], v[61:62], 1
	s_delay_alu instid0(VALU_DEP_3) | instskip(NEXT) | instid1(VALU_DEP_3)
	v_add_f64 v[69:70], v[73:74], -v[75:76]
	v_fma_f64 v[75:76], v[96:97], s[34:35], -v[98:99]
	s_delay_alu instid0(VALU_DEP_2) | instskip(NEXT) | instid1(VALU_DEP_2)
	v_add_f64 v[69:70], v[71:72], -v[69:70]
	v_fma_f64 v[71:72], v[96:97], s[36:37], v[75:76]
	s_delay_alu instid0(VALU_DEP_2) | instskip(NEXT) | instid1(VALU_DEP_2)
	v_add_f64 v[61:62], v[61:62], v[69:70]
	v_add_f64 v[69:70], v[98:99], v[71:72]
	s_delay_alu instid0(VALU_DEP_2) | instskip(NEXT) | instid1(VALU_DEP_2)
	v_add_f64 v[75:76], v[73:74], v[61:62]
	v_add_f64 v[98:99], v[69:70], -v[98:99]
	s_delay_alu instid0(VALU_DEP_2) | instskip(SKIP_1) | instid1(VALU_DEP_3)
	v_add_f64 v[96:97], v[69:70], v[75:76]
	v_add_f64 v[73:74], v[75:76], -v[73:74]
	v_add_f64 v[71:72], v[71:72], -v[98:99]
	s_delay_alu instid0(VALU_DEP_3) | instskip(NEXT) | instid1(VALU_DEP_3)
	v_add_f64 v[100:101], v[96:97], -v[69:70]
	v_add_f64 v[61:62], v[61:62], -v[73:74]
	s_delay_alu instid0(VALU_DEP_2) | instskip(SKIP_1) | instid1(VALU_DEP_3)
	v_add_f64 v[102:103], v[96:97], -v[100:101]
	v_add_f64 v[73:74], v[75:76], -v[100:101]
	v_add_f64 v[75:76], v[71:72], v[61:62]
	s_delay_alu instid0(VALU_DEP_3) | instskip(NEXT) | instid1(VALU_DEP_1)
	v_add_f64 v[69:70], v[69:70], -v[102:103]
	v_add_f64 v[69:70], v[73:74], v[69:70]
	s_delay_alu instid0(VALU_DEP_3) | instskip(NEXT) | instid1(VALU_DEP_2)
	v_add_f64 v[73:74], v[75:76], -v[71:72]
	v_add_f64 v[69:70], v[75:76], v[69:70]
	s_delay_alu instid0(VALU_DEP_2) | instskip(SKIP_1) | instid1(VALU_DEP_3)
	v_add_f64 v[75:76], v[75:76], -v[73:74]
	v_add_f64 v[61:62], v[61:62], -v[73:74]
	v_add_f64 v[98:99], v[96:97], v[69:70]
	s_delay_alu instid0(VALU_DEP_3) | instskip(NEXT) | instid1(VALU_DEP_2)
	v_add_f64 v[71:72], v[71:72], -v[75:76]
	v_add_f64 v[73:74], v[98:99], -v[96:97]
	s_delay_alu instid0(VALU_DEP_2) | instskip(NEXT) | instid1(VALU_DEP_2)
	v_add_f64 v[61:62], v[61:62], v[71:72]
	v_add_f64 v[69:70], v[69:70], -v[73:74]
	s_delay_alu instid0(VALU_DEP_1) | instskip(NEXT) | instid1(VALU_DEP_1)
	v_add_f64 v[61:62], v[61:62], v[69:70]
	v_add_f64 v[61:62], v[98:99], v[61:62]
	s_delay_alu instid0(VALU_DEP_1) | instskip(NEXT) | instid1(VALU_DEP_2)
	v_cndmask_b32_e64 v61, v61, v59, s29
	v_cndmask_b32_e64 v62, v62, v60, s29
	v_cmp_ngt_f64_e64 s29, -1.0, v[59:60]
	s_delay_alu instid0(VALU_DEP_1) | instskip(SKIP_1) | instid1(VALU_DEP_1)
	v_cndmask_b32_e64 v62, 0x7ff80000, v62, s29
	v_cmp_nge_f64_e64 s29, -1.0, v[59:60]
	v_cndmask_b32_e64 v61, 0, v61, s29
	v_cmp_neq_f64_e64 s29, -1.0, v[59:60]
	s_delay_alu instid0(VALU_DEP_1) | instskip(NEXT) | instid1(VALU_DEP_1)
	v_cndmask_b32_e64 v62, 0xfff00000, v62, s29
	v_add_f64 v[69:70], v[57:58], v[61:62]
.LBB46_56:
	s_or_b32 exec_lo, exec_lo, s38
	v_max_f64 v[57:58], v[11:12], v[11:12]
	s_delay_alu instid0(VALU_DEP_2) | instskip(SKIP_2) | instid1(VALU_DEP_3)
	v_max_f64 v[59:60], v[69:70], v[69:70]
	v_cmp_u_f64_e64 s30, v[69:70], v[69:70]
	v_cmp_u_f64_e64 s29, v[11:12], v[11:12]
	v_min_f64 v[61:62], v[59:60], v[57:58]
	v_max_f64 v[59:60], v[59:60], v[57:58]
	s_delay_alu instid0(VALU_DEP_2) | instskip(NEXT) | instid1(VALU_DEP_3)
	v_cndmask_b32_e64 v61, v61, v69, s30
	v_cndmask_b32_e64 v62, v62, v70, s30
	s_delay_alu instid0(VALU_DEP_3) | instskip(NEXT) | instid1(VALU_DEP_4)
	v_cndmask_b32_e64 v60, v60, v70, s30
	v_cndmask_b32_e64 v59, v59, v69, s30
	s_delay_alu instid0(VALU_DEP_4) | instskip(NEXT) | instid1(VALU_DEP_4)
	v_cndmask_b32_e64 v61, v61, v11, s29
	v_cndmask_b32_e64 v62, v62, v12, s29
	s_delay_alu instid0(VALU_DEP_4) | instskip(NEXT) | instid1(VALU_DEP_4)
	v_cndmask_b32_e64 v60, v60, v12, s29
	v_cndmask_b32_e64 v59, v59, v11, s29
	s_delay_alu instid0(VALU_DEP_3) | instskip(NEXT) | instid1(VALU_DEP_2)
	v_cmp_class_f64_e64 s31, v[61:62], 0x1f8
	v_cmp_neq_f64_e64 s30, v[61:62], v[59:60]
	s_delay_alu instid0(VALU_DEP_1) | instskip(NEXT) | instid1(SALU_CYCLE_1)
	s_or_b32 s30, s30, s31
	s_and_saveexec_b32 s38, s30
	s_cbranch_execz .LBB46_58
; %bb.57:
	v_add_f64 v[61:62], v[61:62], -v[59:60]
	s_mov_b32 s30, 0x652b82fe
	s_mov_b32 s31, 0x3ff71547
	;; [unrolled: 1-line block ×10, first 2 shown]
	s_delay_alu instid0(VALU_DEP_1) | instskip(SKIP_2) | instid1(VALU_DEP_1)
	v_mul_f64 v[69:70], v[61:62], s[30:31]
	s_mov_b32 s30, 0xfca7ab0c
	s_mov_b32 s31, 0x3e928af3
	v_rndne_f64_e32 v[69:70], v[69:70]
	s_delay_alu instid0(VALU_DEP_1) | instskip(SKIP_2) | instid1(VALU_DEP_2)
	v_fma_f64 v[71:72], v[69:70], s[34:35], v[61:62]
	v_cvt_i32_f64_e32 v75, v[69:70]
	s_mov_b32 s35, 0x3fe62e42
	v_fma_f64 v[71:72], v[69:70], s[36:37], v[71:72]
	s_mov_b32 s37, 0x3c7abc9e
	s_delay_alu instid0(VALU_DEP_1) | instskip(SKIP_4) | instid1(VALU_DEP_1)
	v_fma_f64 v[73:74], v[71:72], s[40:41], s[30:31]
	s_mov_b32 s30, 0x623fde64
	s_mov_b32 s31, 0x3ec71dee
	;; [unrolled: 1-line block ×4, first 2 shown]
	v_fma_f64 v[73:74], v[71:72], v[73:74], s[30:31]
	s_mov_b32 s30, 0x7c89e6b0
	s_mov_b32 s31, 0x3efa0199
	s_delay_alu instid0(VALU_DEP_1) | instid1(SALU_CYCLE_1)
	v_fma_f64 v[73:74], v[71:72], v[73:74], s[30:31]
	s_mov_b32 s30, 0x14761f6e
	s_mov_b32 s31, 0x3f2a01a0
	s_delay_alu instid0(VALU_DEP_1) | instid1(SALU_CYCLE_1)
	;; [unrolled: 4-line block ×7, first 2 shown]
	v_fma_f64 v[73:74], v[71:72], v[73:74], s[30:31]
	v_cmp_nlt_f64_e64 s30, 0x40900000, v[61:62]
	v_cmp_ngt_f64_e64 s31, 0xc090cc00, v[61:62]
	s_delay_alu instid0(VALU_DEP_3) | instskip(NEXT) | instid1(VALU_DEP_1)
	v_fma_f64 v[73:74], v[71:72], v[73:74], 1.0
	v_fma_f64 v[69:70], v[71:72], v[73:74], 1.0
	s_delay_alu instid0(VALU_DEP_1) | instskip(NEXT) | instid1(VALU_DEP_1)
	v_ldexp_f64 v[69:70], v[69:70], v75
	v_cndmask_b32_e64 v70, 0x7ff00000, v70, s30
	s_and_b32 s30, s31, s30
	s_delay_alu instid0(VALU_DEP_2) | instid1(SALU_CYCLE_1)
	v_cndmask_b32_e64 v61, 0, v69, s30
	s_mov_b32 s30, 0x55555555
	s_delay_alu instid0(VALU_DEP_2) | instskip(SKIP_1) | instid1(VALU_DEP_1)
	v_cndmask_b32_e64 v62, 0, v70, s31
	s_mov_b32 s31, 0x3fe55555
	v_add_f64 v[69:70], v[61:62], 1.0
	s_delay_alu instid0(VALU_DEP_1) | instskip(SKIP_2) | instid1(VALU_DEP_3)
	v_frexp_mant_f64_e32 v[71:72], v[69:70]
	v_frexp_exp_i32_f64_e32 v75, v[69:70]
	v_add_f64 v[73:74], v[69:70], -1.0
	v_cmp_gt_f64_e64 s30, s[30:31], v[71:72]
	s_delay_alu instid0(VALU_DEP_2) | instskip(SKIP_1) | instid1(VALU_DEP_3)
	v_add_f64 v[71:72], v[73:74], -v[69:70]
	v_add_f64 v[73:74], v[61:62], -v[73:74]
	v_subrev_co_ci_u32_e64 v110, s30, 0, v75, s30
	s_delay_alu instid0(VALU_DEP_3) | instskip(SKIP_1) | instid1(VALU_DEP_2)
	v_add_f64 v[71:72], v[71:72], 1.0
	s_mov_b32 s30, 0x55555780
	v_sub_nc_u32_e32 v96, 0, v110
	s_delay_alu instid0(VALU_DEP_1) | instskip(NEXT) | instid1(VALU_DEP_3)
	v_ldexp_f64 v[69:70], v[69:70], v96
	v_add_f64 v[71:72], v[73:74], v[71:72]
	s_delay_alu instid0(VALU_DEP_2) | instskip(SKIP_1) | instid1(VALU_DEP_3)
	v_add_f64 v[75:76], v[69:70], 1.0
	v_add_f64 v[100:101], v[69:70], -1.0
	v_ldexp_f64 v[71:72], v[71:72], v96
	s_delay_alu instid0(VALU_DEP_3) | instskip(NEXT) | instid1(VALU_DEP_3)
	v_add_f64 v[73:74], v[75:76], -1.0
	v_add_f64 v[102:103], v[100:101], 1.0
	s_delay_alu instid0(VALU_DEP_2) | instskip(NEXT) | instid1(VALU_DEP_2)
	v_add_f64 v[73:74], v[69:70], -v[73:74]
	v_add_f64 v[69:70], v[69:70], -v[102:103]
	s_delay_alu instid0(VALU_DEP_2) | instskip(NEXT) | instid1(VALU_DEP_2)
	v_add_f64 v[73:74], v[71:72], v[73:74]
	v_add_f64 v[69:70], v[71:72], v[69:70]
	s_delay_alu instid0(VALU_DEP_2) | instskip(NEXT) | instid1(VALU_DEP_2)
	v_add_f64 v[96:97], v[75:76], v[73:74]
	v_add_f64 v[102:103], v[100:101], v[69:70]
	s_delay_alu instid0(VALU_DEP_2) | instskip(SKIP_1) | instid1(VALU_DEP_2)
	v_rcp_f64_e32 v[98:99], v[96:97]
	v_add_f64 v[75:76], v[96:97], -v[75:76]
	v_add_f64 v[100:101], v[102:103], -v[100:101]
	s_delay_alu instid0(VALU_DEP_2) | instskip(SKIP_3) | instid1(VALU_DEP_2)
	v_add_f64 v[73:74], v[73:74], -v[75:76]
	s_waitcnt_depctr 0xfff
	v_fma_f64 v[104:105], -v[96:97], v[98:99], 1.0
	v_add_f64 v[69:70], v[69:70], -v[100:101]
	v_fma_f64 v[98:99], v[104:105], v[98:99], v[98:99]
	s_delay_alu instid0(VALU_DEP_1) | instskip(NEXT) | instid1(VALU_DEP_1)
	v_fma_f64 v[71:72], -v[96:97], v[98:99], 1.0
	v_fma_f64 v[71:72], v[71:72], v[98:99], v[98:99]
	s_delay_alu instid0(VALU_DEP_1) | instskip(NEXT) | instid1(VALU_DEP_1)
	v_mul_f64 v[98:99], v[102:103], v[71:72]
	v_mul_f64 v[104:105], v[96:97], v[98:99]
	s_delay_alu instid0(VALU_DEP_1) | instskip(NEXT) | instid1(VALU_DEP_1)
	v_fma_f64 v[75:76], v[98:99], v[96:97], -v[104:105]
	v_fma_f64 v[75:76], v[98:99], v[73:74], v[75:76]
	s_delay_alu instid0(VALU_DEP_1) | instskip(NEXT) | instid1(VALU_DEP_1)
	v_add_f64 v[106:107], v[104:105], v[75:76]
	v_add_f64 v[108:109], v[102:103], -v[106:107]
	v_add_f64 v[100:101], v[106:107], -v[104:105]
	s_delay_alu instid0(VALU_DEP_2) | instskip(NEXT) | instid1(VALU_DEP_2)
	v_add_f64 v[102:103], v[102:103], -v[108:109]
	v_add_f64 v[75:76], v[100:101], -v[75:76]
	s_delay_alu instid0(VALU_DEP_2) | instskip(NEXT) | instid1(VALU_DEP_1)
	v_add_f64 v[102:103], v[102:103], -v[106:107]
	v_add_f64 v[69:70], v[69:70], v[102:103]
	s_delay_alu instid0(VALU_DEP_1) | instskip(NEXT) | instid1(VALU_DEP_1)
	v_add_f64 v[69:70], v[75:76], v[69:70]
	v_add_f64 v[75:76], v[108:109], v[69:70]
	s_delay_alu instid0(VALU_DEP_1) | instskip(SKIP_1) | instid1(VALU_DEP_2)
	v_mul_f64 v[100:101], v[71:72], v[75:76]
	v_add_f64 v[106:107], v[108:109], -v[75:76]
	v_mul_f64 v[102:103], v[96:97], v[100:101]
	s_delay_alu instid0(VALU_DEP_2) | instskip(NEXT) | instid1(VALU_DEP_2)
	v_add_f64 v[69:70], v[69:70], v[106:107]
	v_fma_f64 v[96:97], v[100:101], v[96:97], -v[102:103]
	s_delay_alu instid0(VALU_DEP_1) | instskip(NEXT) | instid1(VALU_DEP_1)
	v_fma_f64 v[73:74], v[100:101], v[73:74], v[96:97]
	v_add_f64 v[96:97], v[102:103], v[73:74]
	s_delay_alu instid0(VALU_DEP_1) | instskip(SKIP_1) | instid1(VALU_DEP_2)
	v_add_f64 v[104:105], v[75:76], -v[96:97]
	v_add_f64 v[102:103], v[96:97], -v[102:103]
	v_add_f64 v[75:76], v[75:76], -v[104:105]
	s_delay_alu instid0(VALU_DEP_2) | instskip(NEXT) | instid1(VALU_DEP_2)
	v_add_f64 v[73:74], v[102:103], -v[73:74]
	v_add_f64 v[75:76], v[75:76], -v[96:97]
	s_delay_alu instid0(VALU_DEP_1) | instskip(SKIP_1) | instid1(VALU_DEP_2)
	v_add_f64 v[69:70], v[69:70], v[75:76]
	v_add_f64 v[75:76], v[98:99], v[100:101]
	;; [unrolled: 1-line block ×3, first 2 shown]
	s_delay_alu instid0(VALU_DEP_2) | instskip(NEXT) | instid1(VALU_DEP_2)
	v_add_f64 v[73:74], v[75:76], -v[98:99]
	v_add_f64 v[69:70], v[104:105], v[69:70]
	s_delay_alu instid0(VALU_DEP_2) | instskip(NEXT) | instid1(VALU_DEP_2)
	v_add_f64 v[73:74], v[100:101], -v[73:74]
	v_mul_f64 v[69:70], v[71:72], v[69:70]
	s_delay_alu instid0(VALU_DEP_1) | instskip(NEXT) | instid1(VALU_DEP_1)
	v_add_f64 v[69:70], v[73:74], v[69:70]
	v_add_f64 v[71:72], v[75:76], v[69:70]
	s_delay_alu instid0(VALU_DEP_1) | instskip(NEXT) | instid1(VALU_DEP_1)
	v_mul_f64 v[73:74], v[71:72], v[71:72]
	v_fma_f64 v[96:97], v[73:74], s[42:43], s[40:41]
	s_mov_b32 s40, 0xd7f4df2e
	s_mov_b32 s41, 0x3fc7474d
	v_mul_f64 v[98:99], v[71:72], v[73:74]
	s_delay_alu instid0(VALU_DEP_2)
	v_fma_f64 v[96:97], v[73:74], v[96:97], s[40:41]
	s_mov_b32 s40, 0x16291751
	s_mov_b32 s41, 0x3fcc71c0
	s_delay_alu instid0(VALU_DEP_1) | instid1(SALU_CYCLE_1)
	v_fma_f64 v[96:97], v[73:74], v[96:97], s[40:41]
	s_mov_b32 s40, 0x9b27acf1
	s_mov_b32 s41, 0x3fd24924
	s_delay_alu instid0(VALU_DEP_1) | instid1(SALU_CYCLE_1)
	;; [unrolled: 4-line block ×3, first 2 shown]
	v_fma_f64 v[96:97], v[73:74], v[96:97], s[40:41]
	s_delay_alu instid0(VALU_DEP_1) | instskip(SKIP_3) | instid1(VALU_DEP_4)
	v_fma_f64 v[73:74], v[73:74], v[96:97], s[30:31]
	v_ldexp_f64 v[96:97], v[71:72], 1
	v_add_f64 v[71:72], v[71:72], -v[75:76]
	v_cmp_eq_f64_e64 s30, 0x7ff00000, v[61:62]
	v_mul_f64 v[73:74], v[98:99], v[73:74]
	v_cvt_f64_i32_e32 v[98:99], v110
	s_delay_alu instid0(VALU_DEP_4) | instskip(NEXT) | instid1(VALU_DEP_3)
	v_add_f64 v[69:70], v[69:70], -v[71:72]
	v_add_f64 v[75:76], v[96:97], v[73:74]
	s_delay_alu instid0(VALU_DEP_3) | instskip(NEXT) | instid1(VALU_DEP_3)
	v_mul_f64 v[100:101], v[98:99], s[34:35]
	v_ldexp_f64 v[69:70], v[69:70], 1
	s_delay_alu instid0(VALU_DEP_3) | instskip(NEXT) | instid1(VALU_DEP_3)
	v_add_f64 v[71:72], v[75:76], -v[96:97]
	v_fma_f64 v[96:97], v[98:99], s[34:35], -v[100:101]
	s_delay_alu instid0(VALU_DEP_2) | instskip(NEXT) | instid1(VALU_DEP_2)
	v_add_f64 v[71:72], v[73:74], -v[71:72]
	v_fma_f64 v[73:74], v[98:99], s[36:37], v[96:97]
	s_delay_alu instid0(VALU_DEP_2) | instskip(NEXT) | instid1(VALU_DEP_2)
	v_add_f64 v[69:70], v[69:70], v[71:72]
	v_add_f64 v[71:72], v[100:101], v[73:74]
	s_delay_alu instid0(VALU_DEP_2) | instskip(NEXT) | instid1(VALU_DEP_2)
	v_add_f64 v[96:97], v[75:76], v[69:70]
	v_add_f64 v[100:101], v[71:72], -v[100:101]
	s_delay_alu instid0(VALU_DEP_2) | instskip(SKIP_1) | instid1(VALU_DEP_3)
	v_add_f64 v[98:99], v[71:72], v[96:97]
	v_add_f64 v[75:76], v[96:97], -v[75:76]
	v_add_f64 v[73:74], v[73:74], -v[100:101]
	s_delay_alu instid0(VALU_DEP_3) | instskip(NEXT) | instid1(VALU_DEP_3)
	v_add_f64 v[102:103], v[98:99], -v[71:72]
	v_add_f64 v[69:70], v[69:70], -v[75:76]
	s_delay_alu instid0(VALU_DEP_2) | instskip(SKIP_1) | instid1(VALU_DEP_3)
	v_add_f64 v[104:105], v[98:99], -v[102:103]
	v_add_f64 v[75:76], v[96:97], -v[102:103]
	v_add_f64 v[96:97], v[73:74], v[69:70]
	s_delay_alu instid0(VALU_DEP_3) | instskip(NEXT) | instid1(VALU_DEP_1)
	v_add_f64 v[71:72], v[71:72], -v[104:105]
	v_add_f64 v[71:72], v[75:76], v[71:72]
	s_delay_alu instid0(VALU_DEP_3) | instskip(NEXT) | instid1(VALU_DEP_2)
	v_add_f64 v[75:76], v[96:97], -v[73:74]
	v_add_f64 v[71:72], v[96:97], v[71:72]
	s_delay_alu instid0(VALU_DEP_2) | instskip(SKIP_1) | instid1(VALU_DEP_3)
	v_add_f64 v[96:97], v[96:97], -v[75:76]
	v_add_f64 v[69:70], v[69:70], -v[75:76]
	v_add_f64 v[100:101], v[98:99], v[71:72]
	s_delay_alu instid0(VALU_DEP_3) | instskip(NEXT) | instid1(VALU_DEP_2)
	v_add_f64 v[73:74], v[73:74], -v[96:97]
	v_add_f64 v[75:76], v[100:101], -v[98:99]
	s_delay_alu instid0(VALU_DEP_2) | instskip(NEXT) | instid1(VALU_DEP_2)
	v_add_f64 v[69:70], v[69:70], v[73:74]
	v_add_f64 v[71:72], v[71:72], -v[75:76]
	s_delay_alu instid0(VALU_DEP_1) | instskip(NEXT) | instid1(VALU_DEP_1)
	v_add_f64 v[69:70], v[69:70], v[71:72]
	v_add_f64 v[69:70], v[100:101], v[69:70]
	s_delay_alu instid0(VALU_DEP_1) | instskip(NEXT) | instid1(VALU_DEP_2)
	v_cndmask_b32_e64 v69, v69, v61, s30
	v_cndmask_b32_e64 v70, v70, v62, s30
	v_cmp_ngt_f64_e64 s30, -1.0, v[61:62]
	s_delay_alu instid0(VALU_DEP_1) | instskip(SKIP_1) | instid1(VALU_DEP_1)
	v_cndmask_b32_e64 v70, 0x7ff80000, v70, s30
	v_cmp_nge_f64_e64 s30, -1.0, v[61:62]
	v_cndmask_b32_e64 v69, 0, v69, s30
	v_cmp_neq_f64_e64 s30, -1.0, v[61:62]
	s_delay_alu instid0(VALU_DEP_1) | instskip(NEXT) | instid1(VALU_DEP_1)
	v_cndmask_b32_e64 v70, 0xfff00000, v70, s30
	v_add_f64 v[69:70], v[59:60], v[69:70]
.LBB46_58:
	s_or_b32 exec_lo, exec_lo, s38
	v_max_f64 v[59:60], v[5:6], v[5:6]
	s_delay_alu instid0(VALU_DEP_2) | instskip(SKIP_2) | instid1(VALU_DEP_3)
	v_max_f64 v[61:62], v[69:70], v[69:70]
	v_cmp_u_f64_e64 s31, v[69:70], v[69:70]
	v_cmp_u_f64_e64 s30, v[5:6], v[5:6]
	v_min_f64 v[71:72], v[61:62], v[59:60]
	v_max_f64 v[61:62], v[61:62], v[59:60]
	s_delay_alu instid0(VALU_DEP_2) | instskip(NEXT) | instid1(VALU_DEP_3)
	v_cndmask_b32_e64 v71, v71, v69, s31
	v_cndmask_b32_e64 v72, v72, v70, s31
	s_delay_alu instid0(VALU_DEP_3) | instskip(NEXT) | instid1(VALU_DEP_4)
	v_cndmask_b32_e64 v62, v62, v70, s31
	v_cndmask_b32_e64 v61, v61, v69, s31
	s_delay_alu instid0(VALU_DEP_4) | instskip(NEXT) | instid1(VALU_DEP_4)
	v_cndmask_b32_e64 v71, v71, v5, s30
	v_cndmask_b32_e64 v72, v72, v6, s30
	s_delay_alu instid0(VALU_DEP_4) | instskip(NEXT) | instid1(VALU_DEP_4)
	v_cndmask_b32_e64 v62, v62, v6, s30
	v_cndmask_b32_e64 v61, v61, v5, s30
	s_delay_alu instid0(VALU_DEP_3) | instskip(NEXT) | instid1(VALU_DEP_2)
	v_cmp_class_f64_e64 s34, v[71:72], 0x1f8
	v_cmp_neq_f64_e64 s31, v[71:72], v[61:62]
	s_delay_alu instid0(VALU_DEP_1) | instskip(NEXT) | instid1(SALU_CYCLE_1)
	s_or_b32 s31, s31, s34
	s_and_saveexec_b32 s40, s31
	s_cbranch_execz .LBB46_60
; %bb.59:
	v_add_f64 v[69:70], v[71:72], -v[61:62]
	s_mov_b32 s34, 0x652b82fe
	s_mov_b32 s35, 0x3ff71547
	;; [unrolled: 1-line block ×10, first 2 shown]
	s_delay_alu instid0(VALU_DEP_1) | instskip(SKIP_3) | instid1(VALU_DEP_2)
	v_mul_f64 v[71:72], v[69:70], s[34:35]
	s_mov_b32 s34, 0xfca7ab0c
	s_mov_b32 s35, 0x3e928af3
	v_cmp_nlt_f64_e64 s31, 0x40900000, v[69:70]
	v_rndne_f64_e32 v[71:72], v[71:72]
	s_delay_alu instid0(VALU_DEP_1) | instskip(SKIP_2) | instid1(VALU_DEP_2)
	v_fma_f64 v[73:74], v[71:72], s[36:37], v[69:70]
	v_cvt_i32_f64_e32 v96, v[71:72]
	s_mov_b32 s37, 0x3fe62e42
	v_fma_f64 v[73:74], v[71:72], s[38:39], v[73:74]
	s_mov_b32 s39, 0x3c7abc9e
	s_delay_alu instid0(VALU_DEP_1) | instskip(SKIP_4) | instid1(VALU_DEP_1)
	v_fma_f64 v[75:76], v[73:74], s[42:43], s[34:35]
	s_mov_b32 s34, 0x623fde64
	s_mov_b32 s35, 0x3ec71dee
	;; [unrolled: 1-line block ×4, first 2 shown]
	v_fma_f64 v[75:76], v[73:74], v[75:76], s[34:35]
	s_mov_b32 s34, 0x7c89e6b0
	s_mov_b32 s35, 0x3efa0199
	s_delay_alu instid0(VALU_DEP_1) | instid1(SALU_CYCLE_1)
	v_fma_f64 v[75:76], v[73:74], v[75:76], s[34:35]
	s_mov_b32 s34, 0x14761f6e
	s_mov_b32 s35, 0x3f2a01a0
	s_delay_alu instid0(VALU_DEP_1) | instid1(SALU_CYCLE_1)
	;; [unrolled: 4-line block ×7, first 2 shown]
	v_fma_f64 v[75:76], v[73:74], v[75:76], s[34:35]
	v_cmp_ngt_f64_e64 s34, 0xc090cc00, v[69:70]
	s_mov_b32 s35, 0x3fe55555
	s_delay_alu instid0(VALU_DEP_2) | instskip(NEXT) | instid1(VALU_DEP_1)
	v_fma_f64 v[75:76], v[73:74], v[75:76], 1.0
	v_fma_f64 v[71:72], v[73:74], v[75:76], 1.0
	s_delay_alu instid0(VALU_DEP_1) | instskip(NEXT) | instid1(VALU_DEP_1)
	v_ldexp_f64 v[71:72], v[71:72], v96
	v_cndmask_b32_e64 v72, 0x7ff00000, v72, s31
	s_and_b32 s31, s34, s31
	s_delay_alu instid0(VALU_DEP_2) | instid1(SALU_CYCLE_1)
	v_cndmask_b32_e64 v69, 0, v71, s31
	s_delay_alu instid0(VALU_DEP_2) | instskip(SKIP_1) | instid1(VALU_DEP_1)
	v_cndmask_b32_e64 v70, 0, v72, s34
	s_mov_b32 s34, 0x55555555
	v_add_f64 v[71:72], v[69:70], 1.0
	s_delay_alu instid0(VALU_DEP_1) | instskip(SKIP_2) | instid1(VALU_DEP_3)
	v_frexp_mant_f64_e32 v[73:74], v[71:72]
	v_frexp_exp_i32_f64_e32 v96, v[71:72]
	v_add_f64 v[75:76], v[71:72], -1.0
	v_cmp_gt_f64_e64 s31, s[34:35], v[73:74]
	s_mov_b32 s34, 0x55555780
	s_delay_alu instid0(VALU_DEP_2) | instskip(SKIP_1) | instid1(VALU_DEP_3)
	v_add_f64 v[73:74], v[75:76], -v[71:72]
	v_add_f64 v[75:76], v[69:70], -v[75:76]
	v_subrev_co_ci_u32_e64 v112, s31, 0, v96, s31
	s_delay_alu instid0(VALU_DEP_3) | instskip(SKIP_1) | instid1(VALU_DEP_3)
	v_add_f64 v[73:74], v[73:74], 1.0
	v_cmp_eq_f64_e64 s31, 0x7ff00000, v[69:70]
	v_sub_nc_u32_e32 v98, 0, v112
	s_delay_alu instid0(VALU_DEP_1) | instskip(NEXT) | instid1(VALU_DEP_4)
	v_ldexp_f64 v[71:72], v[71:72], v98
	v_add_f64 v[73:74], v[75:76], v[73:74]
	s_delay_alu instid0(VALU_DEP_2) | instskip(SKIP_1) | instid1(VALU_DEP_3)
	v_add_f64 v[96:97], v[71:72], 1.0
	v_add_f64 v[102:103], v[71:72], -1.0
	v_ldexp_f64 v[73:74], v[73:74], v98
	s_delay_alu instid0(VALU_DEP_3) | instskip(NEXT) | instid1(VALU_DEP_3)
	v_add_f64 v[75:76], v[96:97], -1.0
	v_add_f64 v[104:105], v[102:103], 1.0
	s_delay_alu instid0(VALU_DEP_2) | instskip(NEXT) | instid1(VALU_DEP_2)
	v_add_f64 v[75:76], v[71:72], -v[75:76]
	v_add_f64 v[71:72], v[71:72], -v[104:105]
	s_delay_alu instid0(VALU_DEP_2) | instskip(NEXT) | instid1(VALU_DEP_2)
	v_add_f64 v[75:76], v[73:74], v[75:76]
	v_add_f64 v[71:72], v[73:74], v[71:72]
	s_delay_alu instid0(VALU_DEP_2) | instskip(NEXT) | instid1(VALU_DEP_2)
	v_add_f64 v[98:99], v[96:97], v[75:76]
	v_add_f64 v[104:105], v[102:103], v[71:72]
	s_delay_alu instid0(VALU_DEP_2) | instskip(SKIP_1) | instid1(VALU_DEP_2)
	v_rcp_f64_e32 v[100:101], v[98:99]
	v_add_f64 v[96:97], v[98:99], -v[96:97]
	v_add_f64 v[102:103], v[104:105], -v[102:103]
	s_delay_alu instid0(VALU_DEP_2) | instskip(SKIP_3) | instid1(VALU_DEP_2)
	v_add_f64 v[75:76], v[75:76], -v[96:97]
	s_waitcnt_depctr 0xfff
	v_fma_f64 v[106:107], -v[98:99], v[100:101], 1.0
	v_add_f64 v[71:72], v[71:72], -v[102:103]
	v_fma_f64 v[100:101], v[106:107], v[100:101], v[100:101]
	s_delay_alu instid0(VALU_DEP_1) | instskip(NEXT) | instid1(VALU_DEP_1)
	v_fma_f64 v[73:74], -v[98:99], v[100:101], 1.0
	v_fma_f64 v[73:74], v[73:74], v[100:101], v[100:101]
	s_delay_alu instid0(VALU_DEP_1) | instskip(NEXT) | instid1(VALU_DEP_1)
	v_mul_f64 v[100:101], v[104:105], v[73:74]
	v_mul_f64 v[106:107], v[98:99], v[100:101]
	s_delay_alu instid0(VALU_DEP_1) | instskip(NEXT) | instid1(VALU_DEP_1)
	v_fma_f64 v[96:97], v[100:101], v[98:99], -v[106:107]
	v_fma_f64 v[96:97], v[100:101], v[75:76], v[96:97]
	s_delay_alu instid0(VALU_DEP_1) | instskip(NEXT) | instid1(VALU_DEP_1)
	v_add_f64 v[108:109], v[106:107], v[96:97]
	v_add_f64 v[110:111], v[104:105], -v[108:109]
	v_add_f64 v[102:103], v[108:109], -v[106:107]
	s_delay_alu instid0(VALU_DEP_2) | instskip(NEXT) | instid1(VALU_DEP_2)
	v_add_f64 v[104:105], v[104:105], -v[110:111]
	v_add_f64 v[96:97], v[102:103], -v[96:97]
	s_delay_alu instid0(VALU_DEP_2) | instskip(NEXT) | instid1(VALU_DEP_1)
	v_add_f64 v[104:105], v[104:105], -v[108:109]
	v_add_f64 v[71:72], v[71:72], v[104:105]
	s_delay_alu instid0(VALU_DEP_1) | instskip(NEXT) | instid1(VALU_DEP_1)
	v_add_f64 v[71:72], v[96:97], v[71:72]
	v_add_f64 v[96:97], v[110:111], v[71:72]
	s_delay_alu instid0(VALU_DEP_1) | instskip(SKIP_1) | instid1(VALU_DEP_2)
	v_mul_f64 v[102:103], v[73:74], v[96:97]
	v_add_f64 v[108:109], v[110:111], -v[96:97]
	v_mul_f64 v[104:105], v[98:99], v[102:103]
	s_delay_alu instid0(VALU_DEP_2) | instskip(NEXT) | instid1(VALU_DEP_2)
	v_add_f64 v[71:72], v[71:72], v[108:109]
	v_fma_f64 v[98:99], v[102:103], v[98:99], -v[104:105]
	s_delay_alu instid0(VALU_DEP_1) | instskip(NEXT) | instid1(VALU_DEP_1)
	v_fma_f64 v[75:76], v[102:103], v[75:76], v[98:99]
	v_add_f64 v[98:99], v[104:105], v[75:76]
	s_delay_alu instid0(VALU_DEP_1) | instskip(SKIP_1) | instid1(VALU_DEP_2)
	v_add_f64 v[106:107], v[96:97], -v[98:99]
	v_add_f64 v[104:105], v[98:99], -v[104:105]
	v_add_f64 v[96:97], v[96:97], -v[106:107]
	s_delay_alu instid0(VALU_DEP_2) | instskip(NEXT) | instid1(VALU_DEP_2)
	v_add_f64 v[75:76], v[104:105], -v[75:76]
	v_add_f64 v[96:97], v[96:97], -v[98:99]
	s_delay_alu instid0(VALU_DEP_1) | instskip(SKIP_1) | instid1(VALU_DEP_2)
	v_add_f64 v[71:72], v[71:72], v[96:97]
	v_add_f64 v[96:97], v[100:101], v[102:103]
	;; [unrolled: 1-line block ×3, first 2 shown]
	s_delay_alu instid0(VALU_DEP_2) | instskip(NEXT) | instid1(VALU_DEP_2)
	v_add_f64 v[75:76], v[96:97], -v[100:101]
	v_add_f64 v[71:72], v[106:107], v[71:72]
	s_delay_alu instid0(VALU_DEP_2) | instskip(NEXT) | instid1(VALU_DEP_2)
	v_add_f64 v[75:76], v[102:103], -v[75:76]
	v_mul_f64 v[71:72], v[73:74], v[71:72]
	s_delay_alu instid0(VALU_DEP_1) | instskip(NEXT) | instid1(VALU_DEP_1)
	v_add_f64 v[71:72], v[75:76], v[71:72]
	v_add_f64 v[73:74], v[96:97], v[71:72]
	s_delay_alu instid0(VALU_DEP_1) | instskip(NEXT) | instid1(VALU_DEP_1)
	v_mul_f64 v[75:76], v[73:74], v[73:74]
	v_fma_f64 v[98:99], v[75:76], s[44:45], s[42:43]
	s_mov_b32 s42, 0xd7f4df2e
	s_mov_b32 s43, 0x3fc7474d
	v_mul_f64 v[100:101], v[73:74], v[75:76]
	s_delay_alu instid0(VALU_DEP_2)
	v_fma_f64 v[98:99], v[75:76], v[98:99], s[42:43]
	s_mov_b32 s42, 0x16291751
	s_mov_b32 s43, 0x3fcc71c0
	s_delay_alu instid0(VALU_DEP_1) | instid1(SALU_CYCLE_1)
	v_fma_f64 v[98:99], v[75:76], v[98:99], s[42:43]
	s_mov_b32 s42, 0x9b27acf1
	s_mov_b32 s43, 0x3fd24924
	s_delay_alu instid0(VALU_DEP_1) | instid1(SALU_CYCLE_1)
	;; [unrolled: 4-line block ×3, first 2 shown]
	v_fma_f64 v[98:99], v[75:76], v[98:99], s[42:43]
	s_delay_alu instid0(VALU_DEP_1) | instskip(SKIP_2) | instid1(VALU_DEP_3)
	v_fma_f64 v[75:76], v[75:76], v[98:99], s[34:35]
	v_ldexp_f64 v[98:99], v[73:74], 1
	v_add_f64 v[73:74], v[73:74], -v[96:97]
	v_mul_f64 v[75:76], v[100:101], v[75:76]
	v_cvt_f64_i32_e32 v[100:101], v112
	s_delay_alu instid0(VALU_DEP_3) | instskip(NEXT) | instid1(VALU_DEP_3)
	v_add_f64 v[71:72], v[71:72], -v[73:74]
	v_add_f64 v[96:97], v[98:99], v[75:76]
	s_delay_alu instid0(VALU_DEP_3) | instskip(NEXT) | instid1(VALU_DEP_3)
	v_mul_f64 v[102:103], v[100:101], s[36:37]
	v_ldexp_f64 v[71:72], v[71:72], 1
	s_delay_alu instid0(VALU_DEP_3) | instskip(NEXT) | instid1(VALU_DEP_3)
	v_add_f64 v[73:74], v[96:97], -v[98:99]
	v_fma_f64 v[98:99], v[100:101], s[36:37], -v[102:103]
	s_delay_alu instid0(VALU_DEP_2) | instskip(NEXT) | instid1(VALU_DEP_2)
	v_add_f64 v[73:74], v[75:76], -v[73:74]
	v_fma_f64 v[75:76], v[100:101], s[38:39], v[98:99]
	s_delay_alu instid0(VALU_DEP_2) | instskip(NEXT) | instid1(VALU_DEP_2)
	v_add_f64 v[71:72], v[71:72], v[73:74]
	v_add_f64 v[73:74], v[102:103], v[75:76]
	s_delay_alu instid0(VALU_DEP_2) | instskip(NEXT) | instid1(VALU_DEP_2)
	v_add_f64 v[98:99], v[96:97], v[71:72]
	v_add_f64 v[102:103], v[73:74], -v[102:103]
	s_delay_alu instid0(VALU_DEP_2) | instskip(SKIP_1) | instid1(VALU_DEP_3)
	v_add_f64 v[100:101], v[73:74], v[98:99]
	v_add_f64 v[96:97], v[98:99], -v[96:97]
	v_add_f64 v[75:76], v[75:76], -v[102:103]
	s_delay_alu instid0(VALU_DEP_3) | instskip(NEXT) | instid1(VALU_DEP_3)
	v_add_f64 v[104:105], v[100:101], -v[73:74]
	v_add_f64 v[71:72], v[71:72], -v[96:97]
	s_delay_alu instid0(VALU_DEP_2) | instskip(SKIP_1) | instid1(VALU_DEP_3)
	v_add_f64 v[106:107], v[100:101], -v[104:105]
	v_add_f64 v[96:97], v[98:99], -v[104:105]
	v_add_f64 v[98:99], v[75:76], v[71:72]
	s_delay_alu instid0(VALU_DEP_3) | instskip(NEXT) | instid1(VALU_DEP_1)
	v_add_f64 v[73:74], v[73:74], -v[106:107]
	v_add_f64 v[73:74], v[96:97], v[73:74]
	s_delay_alu instid0(VALU_DEP_3) | instskip(NEXT) | instid1(VALU_DEP_2)
	v_add_f64 v[96:97], v[98:99], -v[75:76]
	v_add_f64 v[73:74], v[98:99], v[73:74]
	s_delay_alu instid0(VALU_DEP_2) | instskip(SKIP_1) | instid1(VALU_DEP_3)
	v_add_f64 v[98:99], v[98:99], -v[96:97]
	v_add_f64 v[71:72], v[71:72], -v[96:97]
	v_add_f64 v[102:103], v[100:101], v[73:74]
	s_delay_alu instid0(VALU_DEP_3) | instskip(NEXT) | instid1(VALU_DEP_2)
	v_add_f64 v[75:76], v[75:76], -v[98:99]
	v_add_f64 v[96:97], v[102:103], -v[100:101]
	s_delay_alu instid0(VALU_DEP_2) | instskip(NEXT) | instid1(VALU_DEP_2)
	v_add_f64 v[71:72], v[71:72], v[75:76]
	v_add_f64 v[73:74], v[73:74], -v[96:97]
	s_delay_alu instid0(VALU_DEP_1) | instskip(NEXT) | instid1(VALU_DEP_1)
	v_add_f64 v[71:72], v[71:72], v[73:74]
	v_add_f64 v[71:72], v[102:103], v[71:72]
	s_delay_alu instid0(VALU_DEP_1) | instskip(NEXT) | instid1(VALU_DEP_2)
	v_cndmask_b32_e64 v71, v71, v69, s31
	v_cndmask_b32_e64 v72, v72, v70, s31
	v_cmp_ngt_f64_e64 s31, -1.0, v[69:70]
	s_delay_alu instid0(VALU_DEP_1) | instskip(SKIP_1) | instid1(VALU_DEP_1)
	v_cndmask_b32_e64 v72, 0x7ff80000, v72, s31
	v_cmp_nge_f64_e64 s31, -1.0, v[69:70]
	v_cndmask_b32_e64 v71, 0, v71, s31
	v_cmp_neq_f64_e64 s31, -1.0, v[69:70]
	s_delay_alu instid0(VALU_DEP_1) | instskip(NEXT) | instid1(VALU_DEP_1)
	v_cndmask_b32_e64 v72, 0xfff00000, v72, s31
	v_add_f64 v[69:70], v[61:62], v[71:72]
.LBB46_60:
	s_or_b32 exec_lo, exec_lo, s40
	v_max_f64 v[61:62], v[7:8], v[7:8]
	s_delay_alu instid0(VALU_DEP_2) | instskip(SKIP_2) | instid1(VALU_DEP_3)
	v_max_f64 v[71:72], v[69:70], v[69:70]
	v_cmp_u_f64_e64 s34, v[69:70], v[69:70]
	v_cmp_u_f64_e64 s31, v[7:8], v[7:8]
	v_min_f64 v[73:74], v[71:72], v[61:62]
	v_max_f64 v[71:72], v[71:72], v[61:62]
	s_delay_alu instid0(VALU_DEP_2) | instskip(NEXT) | instid1(VALU_DEP_3)
	v_cndmask_b32_e64 v73, v73, v69, s34
	v_cndmask_b32_e64 v74, v74, v70, s34
	s_delay_alu instid0(VALU_DEP_3) | instskip(NEXT) | instid1(VALU_DEP_4)
	v_cndmask_b32_e64 v72, v72, v70, s34
	v_cndmask_b32_e64 v71, v71, v69, s34
	s_delay_alu instid0(VALU_DEP_4) | instskip(NEXT) | instid1(VALU_DEP_4)
	v_cndmask_b32_e64 v73, v73, v7, s31
	v_cndmask_b32_e64 v74, v74, v8, s31
	s_delay_alu instid0(VALU_DEP_4) | instskip(NEXT) | instid1(VALU_DEP_4)
	v_cndmask_b32_e64 v72, v72, v8, s31
	v_cndmask_b32_e64 v71, v71, v7, s31
	s_delay_alu instid0(VALU_DEP_3) | instskip(NEXT) | instid1(VALU_DEP_2)
	v_cmp_class_f64_e64 s35, v[73:74], 0x1f8
	v_cmp_neq_f64_e64 s34, v[73:74], v[71:72]
	s_delay_alu instid0(VALU_DEP_1) | instskip(NEXT) | instid1(SALU_CYCLE_1)
	s_or_b32 s34, s34, s35
	s_and_saveexec_b32 s40, s34
	s_cbranch_execz .LBB46_62
; %bb.61:
	v_add_f64 v[69:70], v[73:74], -v[71:72]
	s_mov_b32 s34, 0x652b82fe
	s_mov_b32 s35, 0x3ff71547
	;; [unrolled: 1-line block ×10, first 2 shown]
	s_delay_alu instid0(VALU_DEP_1) | instskip(SKIP_2) | instid1(VALU_DEP_1)
	v_mul_f64 v[73:74], v[69:70], s[34:35]
	s_mov_b32 s34, 0xfca7ab0c
	s_mov_b32 s35, 0x3e928af3
	v_rndne_f64_e32 v[73:74], v[73:74]
	s_delay_alu instid0(VALU_DEP_1) | instskip(SKIP_2) | instid1(VALU_DEP_2)
	v_fma_f64 v[75:76], v[73:74], s[36:37], v[69:70]
	v_cvt_i32_f64_e32 v98, v[73:74]
	s_mov_b32 s37, 0x3fe62e42
	v_fma_f64 v[75:76], v[73:74], s[38:39], v[75:76]
	s_mov_b32 s39, 0x3c7abc9e
	s_delay_alu instid0(VALU_DEP_1) | instskip(SKIP_4) | instid1(VALU_DEP_1)
	v_fma_f64 v[96:97], v[75:76], s[42:43], s[34:35]
	s_mov_b32 s34, 0x623fde64
	s_mov_b32 s35, 0x3ec71dee
	s_mov_b32 s42, 0x6b47b09a
	s_mov_b32 s43, 0x3fc38538
	v_fma_f64 v[96:97], v[75:76], v[96:97], s[34:35]
	s_mov_b32 s34, 0x7c89e6b0
	s_mov_b32 s35, 0x3efa0199
	s_delay_alu instid0(VALU_DEP_1) | instid1(SALU_CYCLE_1)
	v_fma_f64 v[96:97], v[75:76], v[96:97], s[34:35]
	s_mov_b32 s34, 0x14761f6e
	s_mov_b32 s35, 0x3f2a01a0
	s_delay_alu instid0(VALU_DEP_1) | instid1(SALU_CYCLE_1)
	;; [unrolled: 4-line block ×7, first 2 shown]
	v_fma_f64 v[96:97], v[75:76], v[96:97], s[34:35]
	v_cmp_nlt_f64_e64 s34, 0x40900000, v[69:70]
	v_cmp_ngt_f64_e64 s35, 0xc090cc00, v[69:70]
	s_delay_alu instid0(VALU_DEP_3) | instskip(NEXT) | instid1(VALU_DEP_1)
	v_fma_f64 v[96:97], v[75:76], v[96:97], 1.0
	v_fma_f64 v[73:74], v[75:76], v[96:97], 1.0
	s_delay_alu instid0(VALU_DEP_1) | instskip(NEXT) | instid1(VALU_DEP_1)
	v_ldexp_f64 v[73:74], v[73:74], v98
	v_cndmask_b32_e64 v74, 0x7ff00000, v74, s34
	s_and_b32 s34, s35, s34
	s_delay_alu instid0(VALU_DEP_2) | instid1(SALU_CYCLE_1)
	v_cndmask_b32_e64 v69, 0, v73, s34
	s_mov_b32 s34, 0x55555555
	s_delay_alu instid0(VALU_DEP_2) | instskip(SKIP_1) | instid1(VALU_DEP_1)
	v_cndmask_b32_e64 v70, 0, v74, s35
	s_mov_b32 s35, 0x3fe55555
	v_add_f64 v[73:74], v[69:70], 1.0
	s_delay_alu instid0(VALU_DEP_1) | instskip(SKIP_2) | instid1(VALU_DEP_3)
	v_frexp_mant_f64_e32 v[75:76], v[73:74]
	v_frexp_exp_i32_f64_e32 v98, v[73:74]
	v_add_f64 v[96:97], v[73:74], -1.0
	v_cmp_gt_f64_e64 s34, s[34:35], v[75:76]
	s_delay_alu instid0(VALU_DEP_2) | instskip(SKIP_1) | instid1(VALU_DEP_3)
	v_add_f64 v[75:76], v[96:97], -v[73:74]
	v_add_f64 v[96:97], v[69:70], -v[96:97]
	v_subrev_co_ci_u32_e64 v114, s34, 0, v98, s34
	s_delay_alu instid0(VALU_DEP_3) | instskip(SKIP_1) | instid1(VALU_DEP_2)
	v_add_f64 v[75:76], v[75:76], 1.0
	s_mov_b32 s34, 0x55555780
	v_sub_nc_u32_e32 v100, 0, v114
	s_delay_alu instid0(VALU_DEP_1) | instskip(NEXT) | instid1(VALU_DEP_3)
	v_ldexp_f64 v[73:74], v[73:74], v100
	v_add_f64 v[75:76], v[96:97], v[75:76]
	s_delay_alu instid0(VALU_DEP_2) | instskip(SKIP_1) | instid1(VALU_DEP_3)
	v_add_f64 v[98:99], v[73:74], 1.0
	v_add_f64 v[104:105], v[73:74], -1.0
	v_ldexp_f64 v[75:76], v[75:76], v100
	s_delay_alu instid0(VALU_DEP_3) | instskip(NEXT) | instid1(VALU_DEP_3)
	v_add_f64 v[96:97], v[98:99], -1.0
	v_add_f64 v[106:107], v[104:105], 1.0
	s_delay_alu instid0(VALU_DEP_2) | instskip(NEXT) | instid1(VALU_DEP_2)
	v_add_f64 v[96:97], v[73:74], -v[96:97]
	v_add_f64 v[73:74], v[73:74], -v[106:107]
	s_delay_alu instid0(VALU_DEP_2) | instskip(NEXT) | instid1(VALU_DEP_2)
	v_add_f64 v[96:97], v[75:76], v[96:97]
	v_add_f64 v[73:74], v[75:76], v[73:74]
	s_delay_alu instid0(VALU_DEP_2) | instskip(NEXT) | instid1(VALU_DEP_2)
	v_add_f64 v[100:101], v[98:99], v[96:97]
	v_add_f64 v[106:107], v[104:105], v[73:74]
	s_delay_alu instid0(VALU_DEP_2) | instskip(SKIP_1) | instid1(VALU_DEP_2)
	v_rcp_f64_e32 v[102:103], v[100:101]
	v_add_f64 v[98:99], v[100:101], -v[98:99]
	v_add_f64 v[104:105], v[106:107], -v[104:105]
	s_delay_alu instid0(VALU_DEP_2) | instskip(SKIP_3) | instid1(VALU_DEP_2)
	v_add_f64 v[96:97], v[96:97], -v[98:99]
	s_waitcnt_depctr 0xfff
	v_fma_f64 v[108:109], -v[100:101], v[102:103], 1.0
	v_add_f64 v[73:74], v[73:74], -v[104:105]
	v_fma_f64 v[102:103], v[108:109], v[102:103], v[102:103]
	s_delay_alu instid0(VALU_DEP_1) | instskip(NEXT) | instid1(VALU_DEP_1)
	v_fma_f64 v[75:76], -v[100:101], v[102:103], 1.0
	v_fma_f64 v[75:76], v[75:76], v[102:103], v[102:103]
	s_delay_alu instid0(VALU_DEP_1) | instskip(NEXT) | instid1(VALU_DEP_1)
	v_mul_f64 v[102:103], v[106:107], v[75:76]
	v_mul_f64 v[108:109], v[100:101], v[102:103]
	s_delay_alu instid0(VALU_DEP_1) | instskip(NEXT) | instid1(VALU_DEP_1)
	v_fma_f64 v[98:99], v[102:103], v[100:101], -v[108:109]
	v_fma_f64 v[98:99], v[102:103], v[96:97], v[98:99]
	s_delay_alu instid0(VALU_DEP_1) | instskip(NEXT) | instid1(VALU_DEP_1)
	v_add_f64 v[110:111], v[108:109], v[98:99]
	v_add_f64 v[112:113], v[106:107], -v[110:111]
	v_add_f64 v[104:105], v[110:111], -v[108:109]
	s_delay_alu instid0(VALU_DEP_2) | instskip(NEXT) | instid1(VALU_DEP_2)
	v_add_f64 v[106:107], v[106:107], -v[112:113]
	v_add_f64 v[98:99], v[104:105], -v[98:99]
	s_delay_alu instid0(VALU_DEP_2) | instskip(NEXT) | instid1(VALU_DEP_1)
	v_add_f64 v[106:107], v[106:107], -v[110:111]
	v_add_f64 v[73:74], v[73:74], v[106:107]
	s_delay_alu instid0(VALU_DEP_1) | instskip(NEXT) | instid1(VALU_DEP_1)
	v_add_f64 v[73:74], v[98:99], v[73:74]
	v_add_f64 v[98:99], v[112:113], v[73:74]
	s_delay_alu instid0(VALU_DEP_1) | instskip(SKIP_1) | instid1(VALU_DEP_2)
	v_mul_f64 v[104:105], v[75:76], v[98:99]
	v_add_f64 v[110:111], v[112:113], -v[98:99]
	v_mul_f64 v[106:107], v[100:101], v[104:105]
	s_delay_alu instid0(VALU_DEP_2) | instskip(NEXT) | instid1(VALU_DEP_2)
	v_add_f64 v[73:74], v[73:74], v[110:111]
	v_fma_f64 v[100:101], v[104:105], v[100:101], -v[106:107]
	s_delay_alu instid0(VALU_DEP_1) | instskip(NEXT) | instid1(VALU_DEP_1)
	v_fma_f64 v[96:97], v[104:105], v[96:97], v[100:101]
	v_add_f64 v[100:101], v[106:107], v[96:97]
	s_delay_alu instid0(VALU_DEP_1) | instskip(SKIP_1) | instid1(VALU_DEP_2)
	v_add_f64 v[108:109], v[98:99], -v[100:101]
	v_add_f64 v[106:107], v[100:101], -v[106:107]
	v_add_f64 v[98:99], v[98:99], -v[108:109]
	s_delay_alu instid0(VALU_DEP_2) | instskip(NEXT) | instid1(VALU_DEP_2)
	v_add_f64 v[96:97], v[106:107], -v[96:97]
	v_add_f64 v[98:99], v[98:99], -v[100:101]
	s_delay_alu instid0(VALU_DEP_1) | instskip(SKIP_1) | instid1(VALU_DEP_2)
	v_add_f64 v[73:74], v[73:74], v[98:99]
	v_add_f64 v[98:99], v[102:103], v[104:105]
	;; [unrolled: 1-line block ×3, first 2 shown]
	s_delay_alu instid0(VALU_DEP_2) | instskip(NEXT) | instid1(VALU_DEP_2)
	v_add_f64 v[96:97], v[98:99], -v[102:103]
	v_add_f64 v[73:74], v[108:109], v[73:74]
	s_delay_alu instid0(VALU_DEP_2) | instskip(NEXT) | instid1(VALU_DEP_2)
	v_add_f64 v[96:97], v[104:105], -v[96:97]
	v_mul_f64 v[73:74], v[75:76], v[73:74]
	s_delay_alu instid0(VALU_DEP_1) | instskip(NEXT) | instid1(VALU_DEP_1)
	v_add_f64 v[73:74], v[96:97], v[73:74]
	v_add_f64 v[75:76], v[98:99], v[73:74]
	s_delay_alu instid0(VALU_DEP_1) | instskip(NEXT) | instid1(VALU_DEP_1)
	v_mul_f64 v[96:97], v[75:76], v[75:76]
	v_fma_f64 v[100:101], v[96:97], s[44:45], s[42:43]
	s_mov_b32 s42, 0xd7f4df2e
	s_mov_b32 s43, 0x3fc7474d
	v_mul_f64 v[102:103], v[75:76], v[96:97]
	s_delay_alu instid0(VALU_DEP_2)
	v_fma_f64 v[100:101], v[96:97], v[100:101], s[42:43]
	s_mov_b32 s42, 0x16291751
	s_mov_b32 s43, 0x3fcc71c0
	s_delay_alu instid0(VALU_DEP_1) | instid1(SALU_CYCLE_1)
	v_fma_f64 v[100:101], v[96:97], v[100:101], s[42:43]
	s_mov_b32 s42, 0x9b27acf1
	s_mov_b32 s43, 0x3fd24924
	s_delay_alu instid0(VALU_DEP_1) | instid1(SALU_CYCLE_1)
	;; [unrolled: 4-line block ×3, first 2 shown]
	v_fma_f64 v[100:101], v[96:97], v[100:101], s[42:43]
	s_delay_alu instid0(VALU_DEP_1) | instskip(SKIP_3) | instid1(VALU_DEP_4)
	v_fma_f64 v[96:97], v[96:97], v[100:101], s[34:35]
	v_ldexp_f64 v[100:101], v[75:76], 1
	v_add_f64 v[75:76], v[75:76], -v[98:99]
	v_cmp_eq_f64_e64 s34, 0x7ff00000, v[69:70]
	v_mul_f64 v[96:97], v[102:103], v[96:97]
	v_cvt_f64_i32_e32 v[102:103], v114
	s_delay_alu instid0(VALU_DEP_4) | instskip(NEXT) | instid1(VALU_DEP_3)
	v_add_f64 v[73:74], v[73:74], -v[75:76]
	v_add_f64 v[98:99], v[100:101], v[96:97]
	s_delay_alu instid0(VALU_DEP_3) | instskip(NEXT) | instid1(VALU_DEP_3)
	v_mul_f64 v[104:105], v[102:103], s[36:37]
	v_ldexp_f64 v[73:74], v[73:74], 1
	s_delay_alu instid0(VALU_DEP_3) | instskip(NEXT) | instid1(VALU_DEP_3)
	v_add_f64 v[75:76], v[98:99], -v[100:101]
	v_fma_f64 v[100:101], v[102:103], s[36:37], -v[104:105]
	s_delay_alu instid0(VALU_DEP_2) | instskip(NEXT) | instid1(VALU_DEP_2)
	v_add_f64 v[75:76], v[96:97], -v[75:76]
	v_fma_f64 v[96:97], v[102:103], s[38:39], v[100:101]
	s_delay_alu instid0(VALU_DEP_2) | instskip(NEXT) | instid1(VALU_DEP_2)
	v_add_f64 v[73:74], v[73:74], v[75:76]
	v_add_f64 v[75:76], v[104:105], v[96:97]
	s_delay_alu instid0(VALU_DEP_2) | instskip(NEXT) | instid1(VALU_DEP_2)
	v_add_f64 v[100:101], v[98:99], v[73:74]
	v_add_f64 v[104:105], v[75:76], -v[104:105]
	s_delay_alu instid0(VALU_DEP_2) | instskip(SKIP_1) | instid1(VALU_DEP_3)
	v_add_f64 v[102:103], v[75:76], v[100:101]
	v_add_f64 v[98:99], v[100:101], -v[98:99]
	v_add_f64 v[96:97], v[96:97], -v[104:105]
	s_delay_alu instid0(VALU_DEP_3) | instskip(NEXT) | instid1(VALU_DEP_3)
	v_add_f64 v[106:107], v[102:103], -v[75:76]
	v_add_f64 v[73:74], v[73:74], -v[98:99]
	s_delay_alu instid0(VALU_DEP_2) | instskip(SKIP_1) | instid1(VALU_DEP_3)
	v_add_f64 v[108:109], v[102:103], -v[106:107]
	v_add_f64 v[98:99], v[100:101], -v[106:107]
	v_add_f64 v[100:101], v[96:97], v[73:74]
	s_delay_alu instid0(VALU_DEP_3) | instskip(NEXT) | instid1(VALU_DEP_1)
	v_add_f64 v[75:76], v[75:76], -v[108:109]
	v_add_f64 v[75:76], v[98:99], v[75:76]
	s_delay_alu instid0(VALU_DEP_3) | instskip(NEXT) | instid1(VALU_DEP_2)
	v_add_f64 v[98:99], v[100:101], -v[96:97]
	v_add_f64 v[75:76], v[100:101], v[75:76]
	s_delay_alu instid0(VALU_DEP_2) | instskip(SKIP_1) | instid1(VALU_DEP_3)
	v_add_f64 v[100:101], v[100:101], -v[98:99]
	v_add_f64 v[73:74], v[73:74], -v[98:99]
	v_add_f64 v[104:105], v[102:103], v[75:76]
	s_delay_alu instid0(VALU_DEP_3) | instskip(NEXT) | instid1(VALU_DEP_2)
	v_add_f64 v[96:97], v[96:97], -v[100:101]
	v_add_f64 v[98:99], v[104:105], -v[102:103]
	s_delay_alu instid0(VALU_DEP_2) | instskip(NEXT) | instid1(VALU_DEP_2)
	v_add_f64 v[73:74], v[73:74], v[96:97]
	v_add_f64 v[75:76], v[75:76], -v[98:99]
	s_delay_alu instid0(VALU_DEP_1) | instskip(NEXT) | instid1(VALU_DEP_1)
	v_add_f64 v[73:74], v[73:74], v[75:76]
	v_add_f64 v[73:74], v[104:105], v[73:74]
	s_delay_alu instid0(VALU_DEP_1) | instskip(NEXT) | instid1(VALU_DEP_2)
	v_cndmask_b32_e64 v73, v73, v69, s34
	v_cndmask_b32_e64 v74, v74, v70, s34
	v_cmp_ngt_f64_e64 s34, -1.0, v[69:70]
	s_delay_alu instid0(VALU_DEP_1) | instskip(SKIP_1) | instid1(VALU_DEP_1)
	v_cndmask_b32_e64 v74, 0x7ff80000, v74, s34
	v_cmp_nge_f64_e64 s34, -1.0, v[69:70]
	v_cndmask_b32_e64 v73, 0, v73, s34
	v_cmp_neq_f64_e64 s34, -1.0, v[69:70]
	s_delay_alu instid0(VALU_DEP_1) | instskip(NEXT) | instid1(VALU_DEP_1)
	v_cndmask_b32_e64 v74, 0xfff00000, v74, s34
	v_add_f64 v[69:70], v[71:72], v[73:74]
.LBB46_62:
	s_or_b32 exec_lo, exec_lo, s40
	s_load_b64 s[34:35], s[0:1], 0x20
	v_mbcnt_lo_u32_b32 v96, -1, 0
	s_delay_alu instid0(VALU_DEP_2) | instskip(NEXT) | instid1(VALU_DEP_3)
	v_mov_b32_dpp v71, v69 row_shr:1 row_mask:0xf bank_mask:0xf
	v_mov_b32_dpp v72, v70 row_shr:1 row_mask:0xf bank_mask:0xf
	v_dual_mov_b32 v73, v69 :: v_dual_mov_b32 v74, v70
	s_delay_alu instid0(VALU_DEP_4) | instskip(SKIP_1) | instid1(VALU_DEP_1)
	v_and_b32_e32 v75, 15, v96
	s_mov_b32 s40, exec_lo
	v_cmpx_ne_u32_e32 0, v75
	s_cbranch_execz .LBB46_66
; %bb.63:
	v_max_f64 v[73:74], v[71:72], v[71:72]
	v_max_f64 v[97:98], v[69:70], v[69:70]
	v_cmp_u_f64_e64 s0, v[71:72], v[71:72]
	v_cmp_u_f64_e64 s1, v[69:70], v[69:70]
	s_delay_alu instid0(VALU_DEP_3) | instskip(SKIP_1) | instid1(VALU_DEP_2)
	v_min_f64 v[99:100], v[73:74], v[97:98]
	v_max_f64 v[73:74], v[73:74], v[97:98]
	v_cndmask_b32_e64 v76, v99, v71, s0
	s_delay_alu instid0(VALU_DEP_3) | instskip(NEXT) | instid1(VALU_DEP_3)
	v_cndmask_b32_e64 v97, v100, v72, s0
	v_cndmask_b32_e64 v98, v74, v72, s0
	s_delay_alu instid0(VALU_DEP_4) | instskip(NEXT) | instid1(VALU_DEP_4)
	v_cndmask_b32_e64 v99, v73, v71, s0
	v_cndmask_b32_e64 v73, v76, v69, s1
	s_delay_alu instid0(VALU_DEP_4) | instskip(NEXT) | instid1(VALU_DEP_4)
	v_cndmask_b32_e64 v74, v97, v70, s1
	v_cndmask_b32_e64 v70, v98, v70, s1
	s_delay_alu instid0(VALU_DEP_4) | instskip(NEXT) | instid1(VALU_DEP_3)
	v_cndmask_b32_e64 v69, v99, v69, s1
	v_cmp_class_f64_e64 s1, v[73:74], 0x1f8
	s_delay_alu instid0(VALU_DEP_2) | instskip(NEXT) | instid1(VALU_DEP_1)
	v_cmp_neq_f64_e64 s0, v[73:74], v[69:70]
	s_or_b32 s0, s0, s1
	s_delay_alu instid0(SALU_CYCLE_1)
	s_and_saveexec_b32 s41, s0
	s_cbranch_execz .LBB46_65
; %bb.64:
	v_add_f64 v[71:72], v[73:74], -v[69:70]
	s_mov_b32 s0, 0x652b82fe
	s_mov_b32 s1, 0x3ff71547
	;; [unrolled: 1-line block ×10, first 2 shown]
	s_delay_alu instid0(VALU_DEP_1) | instskip(SKIP_2) | instid1(VALU_DEP_1)
	v_mul_f64 v[73:74], v[71:72], s[0:1]
	s_mov_b32 s0, 0xfca7ab0c
	s_mov_b32 s1, 0x3e928af3
	v_rndne_f64_e32 v[73:74], v[73:74]
	s_delay_alu instid0(VALU_DEP_1) | instskip(SKIP_2) | instid1(VALU_DEP_2)
	v_fma_f64 v[97:98], v[73:74], s[36:37], v[71:72]
	v_cvt_i32_f64_e32 v76, v[73:74]
	s_mov_b32 s37, 0x3fe62e42
	v_fma_f64 v[97:98], v[73:74], s[38:39], v[97:98]
	s_mov_b32 s39, 0x3c7abc9e
	s_delay_alu instid0(VALU_DEP_1) | instskip(SKIP_4) | instid1(VALU_DEP_1)
	v_fma_f64 v[99:100], v[97:98], s[42:43], s[0:1]
	s_mov_b32 s0, 0x623fde64
	s_mov_b32 s1, 0x3ec71dee
	;; [unrolled: 1-line block ×4, first 2 shown]
	v_fma_f64 v[99:100], v[97:98], v[99:100], s[0:1]
	s_mov_b32 s0, 0x7c89e6b0
	s_mov_b32 s1, 0x3efa0199
	s_delay_alu instid0(VALU_DEP_1) | instid1(SALU_CYCLE_1)
	v_fma_f64 v[99:100], v[97:98], v[99:100], s[0:1]
	s_mov_b32 s0, 0x14761f6e
	s_mov_b32 s1, 0x3f2a01a0
	s_delay_alu instid0(VALU_DEP_1) | instid1(SALU_CYCLE_1)
	;; [unrolled: 4-line block ×7, first 2 shown]
	v_fma_f64 v[99:100], v[97:98], v[99:100], s[0:1]
	v_cmp_nlt_f64_e64 s0, 0x40900000, v[71:72]
	v_cmp_ngt_f64_e64 s1, 0xc090cc00, v[71:72]
	s_delay_alu instid0(VALU_DEP_3) | instskip(NEXT) | instid1(VALU_DEP_1)
	v_fma_f64 v[99:100], v[97:98], v[99:100], 1.0
	v_fma_f64 v[73:74], v[97:98], v[99:100], 1.0
	s_delay_alu instid0(VALU_DEP_1) | instskip(NEXT) | instid1(VALU_DEP_1)
	v_ldexp_f64 v[73:74], v[73:74], v76
	v_cndmask_b32_e64 v74, 0x7ff00000, v74, s0
	s_and_b32 s0, s1, s0
	s_delay_alu instid0(VALU_DEP_2) | instid1(SALU_CYCLE_1)
	v_cndmask_b32_e64 v71, 0, v73, s0
	s_mov_b32 s0, 0x55555555
	s_delay_alu instid0(VALU_DEP_2) | instskip(SKIP_1) | instid1(VALU_DEP_1)
	v_cndmask_b32_e64 v72, 0, v74, s1
	s_mov_b32 s1, 0x3fe55555
	v_add_f64 v[73:74], v[71:72], 1.0
	s_delay_alu instid0(VALU_DEP_1) | instskip(SKIP_2) | instid1(VALU_DEP_3)
	v_frexp_mant_f64_e32 v[97:98], v[73:74]
	v_frexp_exp_i32_f64_e32 v76, v[73:74]
	v_add_f64 v[99:100], v[73:74], -1.0
	v_cmp_gt_f64_e64 s0, s[0:1], v[97:98]
	s_delay_alu instid0(VALU_DEP_2) | instskip(SKIP_1) | instid1(VALU_DEP_3)
	v_add_f64 v[97:98], v[99:100], -v[73:74]
	v_add_f64 v[99:100], v[71:72], -v[99:100]
	v_subrev_co_ci_u32_e64 v76, s0, 0, v76, s0
	s_delay_alu instid0(VALU_DEP_3) | instskip(SKIP_1) | instid1(VALU_DEP_2)
	v_add_f64 v[97:98], v[97:98], 1.0
	s_mov_b32 s0, 0x55555780
	v_sub_nc_u32_e32 v103, 0, v76
	s_delay_alu instid0(VALU_DEP_1) | instskip(NEXT) | instid1(VALU_DEP_3)
	v_ldexp_f64 v[73:74], v[73:74], v103
	v_add_f64 v[97:98], v[99:100], v[97:98]
	s_delay_alu instid0(VALU_DEP_2) | instskip(SKIP_1) | instid1(VALU_DEP_3)
	v_add_f64 v[101:102], v[73:74], 1.0
	v_add_f64 v[107:108], v[73:74], -1.0
	v_ldexp_f64 v[97:98], v[97:98], v103
	s_delay_alu instid0(VALU_DEP_3) | instskip(NEXT) | instid1(VALU_DEP_3)
	v_add_f64 v[99:100], v[101:102], -1.0
	v_add_f64 v[109:110], v[107:108], 1.0
	s_delay_alu instid0(VALU_DEP_2) | instskip(NEXT) | instid1(VALU_DEP_2)
	v_add_f64 v[99:100], v[73:74], -v[99:100]
	v_add_f64 v[73:74], v[73:74], -v[109:110]
	s_delay_alu instid0(VALU_DEP_2) | instskip(NEXT) | instid1(VALU_DEP_2)
	v_add_f64 v[99:100], v[97:98], v[99:100]
	v_add_f64 v[73:74], v[97:98], v[73:74]
	s_delay_alu instid0(VALU_DEP_2) | instskip(NEXT) | instid1(VALU_DEP_2)
	v_add_f64 v[103:104], v[101:102], v[99:100]
	v_add_f64 v[109:110], v[107:108], v[73:74]
	s_delay_alu instid0(VALU_DEP_2) | instskip(SKIP_1) | instid1(VALU_DEP_2)
	v_rcp_f64_e32 v[105:106], v[103:104]
	v_add_f64 v[101:102], v[103:104], -v[101:102]
	v_add_f64 v[107:108], v[109:110], -v[107:108]
	s_delay_alu instid0(VALU_DEP_2) | instskip(SKIP_3) | instid1(VALU_DEP_2)
	v_add_f64 v[99:100], v[99:100], -v[101:102]
	s_waitcnt_depctr 0xfff
	v_fma_f64 v[111:112], -v[103:104], v[105:106], 1.0
	v_add_f64 v[73:74], v[73:74], -v[107:108]
	v_fma_f64 v[105:106], v[111:112], v[105:106], v[105:106]
	s_delay_alu instid0(VALU_DEP_1) | instskip(NEXT) | instid1(VALU_DEP_1)
	v_fma_f64 v[97:98], -v[103:104], v[105:106], 1.0
	v_fma_f64 v[97:98], v[97:98], v[105:106], v[105:106]
	s_delay_alu instid0(VALU_DEP_1) | instskip(NEXT) | instid1(VALU_DEP_1)
	v_mul_f64 v[105:106], v[109:110], v[97:98]
	v_mul_f64 v[111:112], v[103:104], v[105:106]
	s_delay_alu instid0(VALU_DEP_1) | instskip(NEXT) | instid1(VALU_DEP_1)
	v_fma_f64 v[101:102], v[105:106], v[103:104], -v[111:112]
	v_fma_f64 v[101:102], v[105:106], v[99:100], v[101:102]
	s_delay_alu instid0(VALU_DEP_1) | instskip(NEXT) | instid1(VALU_DEP_1)
	v_add_f64 v[113:114], v[111:112], v[101:102]
	v_add_f64 v[115:116], v[109:110], -v[113:114]
	v_add_f64 v[107:108], v[113:114], -v[111:112]
	s_delay_alu instid0(VALU_DEP_2) | instskip(NEXT) | instid1(VALU_DEP_2)
	v_add_f64 v[109:110], v[109:110], -v[115:116]
	v_add_f64 v[101:102], v[107:108], -v[101:102]
	s_delay_alu instid0(VALU_DEP_2) | instskip(NEXT) | instid1(VALU_DEP_1)
	v_add_f64 v[109:110], v[109:110], -v[113:114]
	v_add_f64 v[73:74], v[73:74], v[109:110]
	s_delay_alu instid0(VALU_DEP_1) | instskip(NEXT) | instid1(VALU_DEP_1)
	v_add_f64 v[73:74], v[101:102], v[73:74]
	v_add_f64 v[101:102], v[115:116], v[73:74]
	s_delay_alu instid0(VALU_DEP_1) | instskip(SKIP_1) | instid1(VALU_DEP_2)
	v_mul_f64 v[107:108], v[97:98], v[101:102]
	v_add_f64 v[113:114], v[115:116], -v[101:102]
	v_mul_f64 v[109:110], v[103:104], v[107:108]
	s_delay_alu instid0(VALU_DEP_2) | instskip(NEXT) | instid1(VALU_DEP_2)
	v_add_f64 v[73:74], v[73:74], v[113:114]
	v_fma_f64 v[103:104], v[107:108], v[103:104], -v[109:110]
	s_delay_alu instid0(VALU_DEP_1) | instskip(NEXT) | instid1(VALU_DEP_1)
	v_fma_f64 v[99:100], v[107:108], v[99:100], v[103:104]
	v_add_f64 v[103:104], v[109:110], v[99:100]
	s_delay_alu instid0(VALU_DEP_1) | instskip(SKIP_1) | instid1(VALU_DEP_2)
	v_add_f64 v[111:112], v[101:102], -v[103:104]
	v_add_f64 v[109:110], v[103:104], -v[109:110]
	;; [unrolled: 1-line block ×3, first 2 shown]
	s_delay_alu instid0(VALU_DEP_2) | instskip(NEXT) | instid1(VALU_DEP_2)
	v_add_f64 v[99:100], v[109:110], -v[99:100]
	v_add_f64 v[101:102], v[101:102], -v[103:104]
	s_delay_alu instid0(VALU_DEP_1) | instskip(SKIP_1) | instid1(VALU_DEP_2)
	v_add_f64 v[73:74], v[73:74], v[101:102]
	v_add_f64 v[101:102], v[105:106], v[107:108]
	;; [unrolled: 1-line block ×3, first 2 shown]
	s_delay_alu instid0(VALU_DEP_2) | instskip(NEXT) | instid1(VALU_DEP_2)
	v_add_f64 v[99:100], v[101:102], -v[105:106]
	v_add_f64 v[73:74], v[111:112], v[73:74]
	s_delay_alu instid0(VALU_DEP_2) | instskip(NEXT) | instid1(VALU_DEP_2)
	v_add_f64 v[99:100], v[107:108], -v[99:100]
	v_mul_f64 v[73:74], v[97:98], v[73:74]
	s_delay_alu instid0(VALU_DEP_1) | instskip(NEXT) | instid1(VALU_DEP_1)
	v_add_f64 v[73:74], v[99:100], v[73:74]
	v_add_f64 v[97:98], v[101:102], v[73:74]
	s_delay_alu instid0(VALU_DEP_1) | instskip(NEXT) | instid1(VALU_DEP_1)
	v_mul_f64 v[99:100], v[97:98], v[97:98]
	v_fma_f64 v[103:104], v[99:100], s[44:45], s[42:43]
	s_mov_b32 s42, 0xd7f4df2e
	s_mov_b32 s43, 0x3fc7474d
	v_mul_f64 v[105:106], v[97:98], v[99:100]
	s_delay_alu instid0(VALU_DEP_2)
	v_fma_f64 v[103:104], v[99:100], v[103:104], s[42:43]
	s_mov_b32 s42, 0x16291751
	s_mov_b32 s43, 0x3fcc71c0
	s_delay_alu instid0(VALU_DEP_1) | instid1(SALU_CYCLE_1)
	v_fma_f64 v[103:104], v[99:100], v[103:104], s[42:43]
	s_mov_b32 s42, 0x9b27acf1
	s_mov_b32 s43, 0x3fd24924
	s_delay_alu instid0(VALU_DEP_1) | instid1(SALU_CYCLE_1)
	;; [unrolled: 4-line block ×3, first 2 shown]
	v_fma_f64 v[103:104], v[99:100], v[103:104], s[42:43]
	s_delay_alu instid0(VALU_DEP_1) | instskip(SKIP_3) | instid1(VALU_DEP_4)
	v_fma_f64 v[99:100], v[99:100], v[103:104], s[0:1]
	v_ldexp_f64 v[103:104], v[97:98], 1
	v_add_f64 v[97:98], v[97:98], -v[101:102]
	v_cmp_eq_f64_e64 s0, 0x7ff00000, v[71:72]
	v_mul_f64 v[99:100], v[105:106], v[99:100]
	v_cvt_f64_i32_e32 v[105:106], v76
	s_delay_alu instid0(VALU_DEP_4) | instskip(NEXT) | instid1(VALU_DEP_3)
	v_add_f64 v[73:74], v[73:74], -v[97:98]
	v_add_f64 v[101:102], v[103:104], v[99:100]
	s_delay_alu instid0(VALU_DEP_3) | instskip(NEXT) | instid1(VALU_DEP_3)
	v_mul_f64 v[107:108], v[105:106], s[36:37]
	v_ldexp_f64 v[73:74], v[73:74], 1
	s_delay_alu instid0(VALU_DEP_3) | instskip(NEXT) | instid1(VALU_DEP_3)
	v_add_f64 v[97:98], v[101:102], -v[103:104]
	v_fma_f64 v[103:104], v[105:106], s[36:37], -v[107:108]
	s_delay_alu instid0(VALU_DEP_2) | instskip(NEXT) | instid1(VALU_DEP_2)
	v_add_f64 v[97:98], v[99:100], -v[97:98]
	v_fma_f64 v[99:100], v[105:106], s[38:39], v[103:104]
	s_delay_alu instid0(VALU_DEP_2) | instskip(NEXT) | instid1(VALU_DEP_2)
	v_add_f64 v[73:74], v[73:74], v[97:98]
	v_add_f64 v[97:98], v[107:108], v[99:100]
	s_delay_alu instid0(VALU_DEP_2) | instskip(NEXT) | instid1(VALU_DEP_2)
	v_add_f64 v[103:104], v[101:102], v[73:74]
	v_add_f64 v[107:108], v[97:98], -v[107:108]
	s_delay_alu instid0(VALU_DEP_2) | instskip(SKIP_1) | instid1(VALU_DEP_3)
	v_add_f64 v[105:106], v[97:98], v[103:104]
	v_add_f64 v[101:102], v[103:104], -v[101:102]
	v_add_f64 v[99:100], v[99:100], -v[107:108]
	s_delay_alu instid0(VALU_DEP_3) | instskip(NEXT) | instid1(VALU_DEP_3)
	v_add_f64 v[109:110], v[105:106], -v[97:98]
	v_add_f64 v[73:74], v[73:74], -v[101:102]
	s_delay_alu instid0(VALU_DEP_2) | instskip(SKIP_1) | instid1(VALU_DEP_3)
	v_add_f64 v[111:112], v[105:106], -v[109:110]
	v_add_f64 v[101:102], v[103:104], -v[109:110]
	v_add_f64 v[103:104], v[99:100], v[73:74]
	s_delay_alu instid0(VALU_DEP_3) | instskip(NEXT) | instid1(VALU_DEP_1)
	v_add_f64 v[97:98], v[97:98], -v[111:112]
	v_add_f64 v[97:98], v[101:102], v[97:98]
	s_delay_alu instid0(VALU_DEP_3) | instskip(NEXT) | instid1(VALU_DEP_2)
	v_add_f64 v[101:102], v[103:104], -v[99:100]
	v_add_f64 v[97:98], v[103:104], v[97:98]
	s_delay_alu instid0(VALU_DEP_2) | instskip(SKIP_1) | instid1(VALU_DEP_3)
	v_add_f64 v[103:104], v[103:104], -v[101:102]
	v_add_f64 v[73:74], v[73:74], -v[101:102]
	v_add_f64 v[107:108], v[105:106], v[97:98]
	s_delay_alu instid0(VALU_DEP_3) | instskip(NEXT) | instid1(VALU_DEP_2)
	v_add_f64 v[99:100], v[99:100], -v[103:104]
	v_add_f64 v[101:102], v[107:108], -v[105:106]
	s_delay_alu instid0(VALU_DEP_2) | instskip(NEXT) | instid1(VALU_DEP_2)
	v_add_f64 v[73:74], v[73:74], v[99:100]
	v_add_f64 v[97:98], v[97:98], -v[101:102]
	s_delay_alu instid0(VALU_DEP_1) | instskip(NEXT) | instid1(VALU_DEP_1)
	v_add_f64 v[73:74], v[73:74], v[97:98]
	v_add_f64 v[73:74], v[107:108], v[73:74]
	s_delay_alu instid0(VALU_DEP_1) | instskip(NEXT) | instid1(VALU_DEP_2)
	v_cndmask_b32_e64 v73, v73, v71, s0
	v_cndmask_b32_e64 v74, v74, v72, s0
	v_cmp_ngt_f64_e64 s0, -1.0, v[71:72]
	s_delay_alu instid0(VALU_DEP_1) | instskip(SKIP_1) | instid1(VALU_DEP_1)
	v_cndmask_b32_e64 v74, 0x7ff80000, v74, s0
	v_cmp_nge_f64_e64 s0, -1.0, v[71:72]
	v_cndmask_b32_e64 v73, 0, v73, s0
	v_cmp_neq_f64_e64 s0, -1.0, v[71:72]
	s_delay_alu instid0(VALU_DEP_1) | instskip(NEXT) | instid1(VALU_DEP_1)
	v_cndmask_b32_e64 v74, 0xfff00000, v74, s0
	v_add_f64 v[71:72], v[69:70], v[73:74]
.LBB46_65:
	s_or_b32 exec_lo, exec_lo, s41
	s_delay_alu instid0(VALU_DEP_1)
	v_dual_mov_b32 v73, v71 :: v_dual_mov_b32 v74, v72
	v_dual_mov_b32 v69, v71 :: v_dual_mov_b32 v70, v72
.LBB46_66:
	s_or_b32 exec_lo, exec_lo, s40
	s_delay_alu instid0(VALU_DEP_2) | instskip(NEXT) | instid1(VALU_DEP_3)
	v_mov_b32_dpp v71, v73 row_shr:2 row_mask:0xf bank_mask:0xf
	v_mov_b32_dpp v72, v74 row_shr:2 row_mask:0xf bank_mask:0xf
	s_mov_b32 s40, exec_lo
	v_cmpx_lt_u32_e32 1, v75
	s_cbranch_execz .LBB46_70
; %bb.67:
	s_delay_alu instid0(VALU_DEP_2) | instskip(SKIP_3) | instid1(VALU_DEP_3)
	v_max_f64 v[73:74], v[71:72], v[71:72]
	v_max_f64 v[97:98], v[69:70], v[69:70]
	v_cmp_u_f64_e64 s0, v[71:72], v[71:72]
	v_cmp_u_f64_e64 s1, v[69:70], v[69:70]
	v_min_f64 v[99:100], v[73:74], v[97:98]
	v_max_f64 v[73:74], v[73:74], v[97:98]
	s_delay_alu instid0(VALU_DEP_2) | instskip(NEXT) | instid1(VALU_DEP_3)
	v_cndmask_b32_e64 v76, v99, v71, s0
	v_cndmask_b32_e64 v97, v100, v72, s0
	s_delay_alu instid0(VALU_DEP_3) | instskip(NEXT) | instid1(VALU_DEP_4)
	v_cndmask_b32_e64 v98, v74, v72, s0
	v_cndmask_b32_e64 v99, v73, v71, s0
	s_delay_alu instid0(VALU_DEP_4) | instskip(NEXT) | instid1(VALU_DEP_4)
	v_cndmask_b32_e64 v73, v76, v69, s1
	v_cndmask_b32_e64 v74, v97, v70, s1
	s_delay_alu instid0(VALU_DEP_4) | instskip(NEXT) | instid1(VALU_DEP_4)
	v_cndmask_b32_e64 v70, v98, v70, s1
	v_cndmask_b32_e64 v69, v99, v69, s1
	s_delay_alu instid0(VALU_DEP_3) | instskip(NEXT) | instid1(VALU_DEP_2)
	v_cmp_class_f64_e64 s1, v[73:74], 0x1f8
	v_cmp_neq_f64_e64 s0, v[73:74], v[69:70]
	s_delay_alu instid0(VALU_DEP_1) | instskip(NEXT) | instid1(SALU_CYCLE_1)
	s_or_b32 s0, s0, s1
	s_and_saveexec_b32 s41, s0
	s_cbranch_execz .LBB46_69
; %bb.68:
	v_add_f64 v[71:72], v[73:74], -v[69:70]
	s_mov_b32 s0, 0x652b82fe
	s_mov_b32 s1, 0x3ff71547
	;; [unrolled: 1-line block ×10, first 2 shown]
	s_delay_alu instid0(VALU_DEP_1) | instskip(SKIP_2) | instid1(VALU_DEP_1)
	v_mul_f64 v[73:74], v[71:72], s[0:1]
	s_mov_b32 s0, 0xfca7ab0c
	s_mov_b32 s1, 0x3e928af3
	v_rndne_f64_e32 v[73:74], v[73:74]
	s_delay_alu instid0(VALU_DEP_1) | instskip(SKIP_2) | instid1(VALU_DEP_2)
	v_fma_f64 v[97:98], v[73:74], s[36:37], v[71:72]
	v_cvt_i32_f64_e32 v76, v[73:74]
	s_mov_b32 s37, 0x3fe62e42
	v_fma_f64 v[97:98], v[73:74], s[38:39], v[97:98]
	s_mov_b32 s39, 0x3c7abc9e
	s_delay_alu instid0(VALU_DEP_1) | instskip(SKIP_4) | instid1(VALU_DEP_1)
	v_fma_f64 v[99:100], v[97:98], s[42:43], s[0:1]
	s_mov_b32 s0, 0x623fde64
	s_mov_b32 s1, 0x3ec71dee
	;; [unrolled: 1-line block ×4, first 2 shown]
	v_fma_f64 v[99:100], v[97:98], v[99:100], s[0:1]
	s_mov_b32 s0, 0x7c89e6b0
	s_mov_b32 s1, 0x3efa0199
	s_delay_alu instid0(VALU_DEP_1) | instid1(SALU_CYCLE_1)
	v_fma_f64 v[99:100], v[97:98], v[99:100], s[0:1]
	s_mov_b32 s0, 0x14761f6e
	s_mov_b32 s1, 0x3f2a01a0
	s_delay_alu instid0(VALU_DEP_1) | instid1(SALU_CYCLE_1)
	v_fma_f64 v[99:100], v[97:98], v[99:100], s[0:1]
	s_mov_b32 s0, 0x1852b7b0
	s_mov_b32 s1, 0x3f56c16c
	s_delay_alu instid0(VALU_DEP_1) | instid1(SALU_CYCLE_1)
	v_fma_f64 v[99:100], v[97:98], v[99:100], s[0:1]
	s_mov_b32 s0, 0x11122322
	s_mov_b32 s1, 0x3f811111
	s_delay_alu instid0(VALU_DEP_1) | instid1(SALU_CYCLE_1)
	v_fma_f64 v[99:100], v[97:98], v[99:100], s[0:1]
	s_mov_b32 s0, 0x555502a1
	s_mov_b32 s1, 0x3fa55555
	s_delay_alu instid0(VALU_DEP_1) | instid1(SALU_CYCLE_1)
	v_fma_f64 v[99:100], v[97:98], v[99:100], s[0:1]
	s_mov_b32 s0, 0x55555511
	s_mov_b32 s1, 0x3fc55555
	s_delay_alu instid0(VALU_DEP_1) | instid1(SALU_CYCLE_1)
	v_fma_f64 v[99:100], v[97:98], v[99:100], s[0:1]
	s_mov_b32 s0, 11
	s_mov_b32 s1, 0x3fe00000
	s_delay_alu instid0(VALU_DEP_1) | instid1(SALU_CYCLE_1)
	v_fma_f64 v[99:100], v[97:98], v[99:100], s[0:1]
	v_cmp_nlt_f64_e64 s0, 0x40900000, v[71:72]
	v_cmp_ngt_f64_e64 s1, 0xc090cc00, v[71:72]
	s_delay_alu instid0(VALU_DEP_3) | instskip(NEXT) | instid1(VALU_DEP_1)
	v_fma_f64 v[99:100], v[97:98], v[99:100], 1.0
	v_fma_f64 v[73:74], v[97:98], v[99:100], 1.0
	s_delay_alu instid0(VALU_DEP_1) | instskip(NEXT) | instid1(VALU_DEP_1)
	v_ldexp_f64 v[73:74], v[73:74], v76
	v_cndmask_b32_e64 v74, 0x7ff00000, v74, s0
	s_and_b32 s0, s1, s0
	s_delay_alu instid0(VALU_DEP_2) | instid1(SALU_CYCLE_1)
	v_cndmask_b32_e64 v71, 0, v73, s0
	s_mov_b32 s0, 0x55555555
	s_delay_alu instid0(VALU_DEP_2) | instskip(SKIP_1) | instid1(VALU_DEP_1)
	v_cndmask_b32_e64 v72, 0, v74, s1
	s_mov_b32 s1, 0x3fe55555
	v_add_f64 v[73:74], v[71:72], 1.0
	s_delay_alu instid0(VALU_DEP_1) | instskip(SKIP_2) | instid1(VALU_DEP_3)
	v_frexp_mant_f64_e32 v[97:98], v[73:74]
	v_frexp_exp_i32_f64_e32 v76, v[73:74]
	v_add_f64 v[99:100], v[73:74], -1.0
	v_cmp_gt_f64_e64 s0, s[0:1], v[97:98]
	s_delay_alu instid0(VALU_DEP_2) | instskip(SKIP_1) | instid1(VALU_DEP_3)
	v_add_f64 v[97:98], v[99:100], -v[73:74]
	v_add_f64 v[99:100], v[71:72], -v[99:100]
	v_subrev_co_ci_u32_e64 v76, s0, 0, v76, s0
	s_delay_alu instid0(VALU_DEP_3) | instskip(SKIP_1) | instid1(VALU_DEP_2)
	v_add_f64 v[97:98], v[97:98], 1.0
	s_mov_b32 s0, 0x55555780
	v_sub_nc_u32_e32 v103, 0, v76
	s_delay_alu instid0(VALU_DEP_1) | instskip(NEXT) | instid1(VALU_DEP_3)
	v_ldexp_f64 v[73:74], v[73:74], v103
	v_add_f64 v[97:98], v[99:100], v[97:98]
	s_delay_alu instid0(VALU_DEP_2) | instskip(SKIP_1) | instid1(VALU_DEP_3)
	v_add_f64 v[101:102], v[73:74], 1.0
	v_add_f64 v[107:108], v[73:74], -1.0
	v_ldexp_f64 v[97:98], v[97:98], v103
	s_delay_alu instid0(VALU_DEP_3) | instskip(NEXT) | instid1(VALU_DEP_3)
	v_add_f64 v[99:100], v[101:102], -1.0
	v_add_f64 v[109:110], v[107:108], 1.0
	s_delay_alu instid0(VALU_DEP_2) | instskip(NEXT) | instid1(VALU_DEP_2)
	v_add_f64 v[99:100], v[73:74], -v[99:100]
	v_add_f64 v[73:74], v[73:74], -v[109:110]
	s_delay_alu instid0(VALU_DEP_2) | instskip(NEXT) | instid1(VALU_DEP_2)
	v_add_f64 v[99:100], v[97:98], v[99:100]
	v_add_f64 v[73:74], v[97:98], v[73:74]
	s_delay_alu instid0(VALU_DEP_2) | instskip(NEXT) | instid1(VALU_DEP_2)
	v_add_f64 v[103:104], v[101:102], v[99:100]
	v_add_f64 v[109:110], v[107:108], v[73:74]
	s_delay_alu instid0(VALU_DEP_2) | instskip(SKIP_1) | instid1(VALU_DEP_2)
	v_rcp_f64_e32 v[105:106], v[103:104]
	v_add_f64 v[101:102], v[103:104], -v[101:102]
	v_add_f64 v[107:108], v[109:110], -v[107:108]
	s_delay_alu instid0(VALU_DEP_2) | instskip(SKIP_3) | instid1(VALU_DEP_2)
	v_add_f64 v[99:100], v[99:100], -v[101:102]
	s_waitcnt_depctr 0xfff
	v_fma_f64 v[111:112], -v[103:104], v[105:106], 1.0
	v_add_f64 v[73:74], v[73:74], -v[107:108]
	v_fma_f64 v[105:106], v[111:112], v[105:106], v[105:106]
	s_delay_alu instid0(VALU_DEP_1) | instskip(NEXT) | instid1(VALU_DEP_1)
	v_fma_f64 v[97:98], -v[103:104], v[105:106], 1.0
	v_fma_f64 v[97:98], v[97:98], v[105:106], v[105:106]
	s_delay_alu instid0(VALU_DEP_1) | instskip(NEXT) | instid1(VALU_DEP_1)
	v_mul_f64 v[105:106], v[109:110], v[97:98]
	v_mul_f64 v[111:112], v[103:104], v[105:106]
	s_delay_alu instid0(VALU_DEP_1) | instskip(NEXT) | instid1(VALU_DEP_1)
	v_fma_f64 v[101:102], v[105:106], v[103:104], -v[111:112]
	v_fma_f64 v[101:102], v[105:106], v[99:100], v[101:102]
	s_delay_alu instid0(VALU_DEP_1) | instskip(NEXT) | instid1(VALU_DEP_1)
	v_add_f64 v[113:114], v[111:112], v[101:102]
	v_add_f64 v[115:116], v[109:110], -v[113:114]
	v_add_f64 v[107:108], v[113:114], -v[111:112]
	s_delay_alu instid0(VALU_DEP_2) | instskip(NEXT) | instid1(VALU_DEP_2)
	v_add_f64 v[109:110], v[109:110], -v[115:116]
	v_add_f64 v[101:102], v[107:108], -v[101:102]
	s_delay_alu instid0(VALU_DEP_2) | instskip(NEXT) | instid1(VALU_DEP_1)
	v_add_f64 v[109:110], v[109:110], -v[113:114]
	v_add_f64 v[73:74], v[73:74], v[109:110]
	s_delay_alu instid0(VALU_DEP_1) | instskip(NEXT) | instid1(VALU_DEP_1)
	v_add_f64 v[73:74], v[101:102], v[73:74]
	v_add_f64 v[101:102], v[115:116], v[73:74]
	s_delay_alu instid0(VALU_DEP_1) | instskip(SKIP_1) | instid1(VALU_DEP_2)
	v_mul_f64 v[107:108], v[97:98], v[101:102]
	v_add_f64 v[113:114], v[115:116], -v[101:102]
	v_mul_f64 v[109:110], v[103:104], v[107:108]
	s_delay_alu instid0(VALU_DEP_2) | instskip(NEXT) | instid1(VALU_DEP_2)
	v_add_f64 v[73:74], v[73:74], v[113:114]
	v_fma_f64 v[103:104], v[107:108], v[103:104], -v[109:110]
	s_delay_alu instid0(VALU_DEP_1) | instskip(NEXT) | instid1(VALU_DEP_1)
	v_fma_f64 v[99:100], v[107:108], v[99:100], v[103:104]
	v_add_f64 v[103:104], v[109:110], v[99:100]
	s_delay_alu instid0(VALU_DEP_1) | instskip(SKIP_1) | instid1(VALU_DEP_2)
	v_add_f64 v[111:112], v[101:102], -v[103:104]
	v_add_f64 v[109:110], v[103:104], -v[109:110]
	;; [unrolled: 1-line block ×3, first 2 shown]
	s_delay_alu instid0(VALU_DEP_2) | instskip(NEXT) | instid1(VALU_DEP_2)
	v_add_f64 v[99:100], v[109:110], -v[99:100]
	v_add_f64 v[101:102], v[101:102], -v[103:104]
	s_delay_alu instid0(VALU_DEP_1) | instskip(SKIP_1) | instid1(VALU_DEP_2)
	v_add_f64 v[73:74], v[73:74], v[101:102]
	v_add_f64 v[101:102], v[105:106], v[107:108]
	;; [unrolled: 1-line block ×3, first 2 shown]
	s_delay_alu instid0(VALU_DEP_2) | instskip(NEXT) | instid1(VALU_DEP_2)
	v_add_f64 v[99:100], v[101:102], -v[105:106]
	v_add_f64 v[73:74], v[111:112], v[73:74]
	s_delay_alu instid0(VALU_DEP_2) | instskip(NEXT) | instid1(VALU_DEP_2)
	v_add_f64 v[99:100], v[107:108], -v[99:100]
	v_mul_f64 v[73:74], v[97:98], v[73:74]
	s_delay_alu instid0(VALU_DEP_1) | instskip(NEXT) | instid1(VALU_DEP_1)
	v_add_f64 v[73:74], v[99:100], v[73:74]
	v_add_f64 v[97:98], v[101:102], v[73:74]
	s_delay_alu instid0(VALU_DEP_1) | instskip(NEXT) | instid1(VALU_DEP_1)
	v_mul_f64 v[99:100], v[97:98], v[97:98]
	v_fma_f64 v[103:104], v[99:100], s[44:45], s[42:43]
	s_mov_b32 s42, 0xd7f4df2e
	s_mov_b32 s43, 0x3fc7474d
	v_mul_f64 v[105:106], v[97:98], v[99:100]
	s_delay_alu instid0(VALU_DEP_2)
	v_fma_f64 v[103:104], v[99:100], v[103:104], s[42:43]
	s_mov_b32 s42, 0x16291751
	s_mov_b32 s43, 0x3fcc71c0
	s_delay_alu instid0(VALU_DEP_1) | instid1(SALU_CYCLE_1)
	v_fma_f64 v[103:104], v[99:100], v[103:104], s[42:43]
	s_mov_b32 s42, 0x9b27acf1
	s_mov_b32 s43, 0x3fd24924
	s_delay_alu instid0(VALU_DEP_1) | instid1(SALU_CYCLE_1)
	;; [unrolled: 4-line block ×3, first 2 shown]
	v_fma_f64 v[103:104], v[99:100], v[103:104], s[42:43]
	s_delay_alu instid0(VALU_DEP_1) | instskip(SKIP_3) | instid1(VALU_DEP_4)
	v_fma_f64 v[99:100], v[99:100], v[103:104], s[0:1]
	v_ldexp_f64 v[103:104], v[97:98], 1
	v_add_f64 v[97:98], v[97:98], -v[101:102]
	v_cmp_eq_f64_e64 s0, 0x7ff00000, v[71:72]
	v_mul_f64 v[99:100], v[105:106], v[99:100]
	v_cvt_f64_i32_e32 v[105:106], v76
	s_delay_alu instid0(VALU_DEP_4) | instskip(NEXT) | instid1(VALU_DEP_3)
	v_add_f64 v[73:74], v[73:74], -v[97:98]
	v_add_f64 v[101:102], v[103:104], v[99:100]
	s_delay_alu instid0(VALU_DEP_3) | instskip(NEXT) | instid1(VALU_DEP_3)
	v_mul_f64 v[107:108], v[105:106], s[36:37]
	v_ldexp_f64 v[73:74], v[73:74], 1
	s_delay_alu instid0(VALU_DEP_3) | instskip(NEXT) | instid1(VALU_DEP_3)
	v_add_f64 v[97:98], v[101:102], -v[103:104]
	v_fma_f64 v[103:104], v[105:106], s[36:37], -v[107:108]
	s_delay_alu instid0(VALU_DEP_2) | instskip(NEXT) | instid1(VALU_DEP_2)
	v_add_f64 v[97:98], v[99:100], -v[97:98]
	v_fma_f64 v[99:100], v[105:106], s[38:39], v[103:104]
	s_delay_alu instid0(VALU_DEP_2) | instskip(NEXT) | instid1(VALU_DEP_2)
	v_add_f64 v[73:74], v[73:74], v[97:98]
	v_add_f64 v[97:98], v[107:108], v[99:100]
	s_delay_alu instid0(VALU_DEP_2) | instskip(NEXT) | instid1(VALU_DEP_2)
	v_add_f64 v[103:104], v[101:102], v[73:74]
	v_add_f64 v[107:108], v[97:98], -v[107:108]
	s_delay_alu instid0(VALU_DEP_2) | instskip(SKIP_1) | instid1(VALU_DEP_3)
	v_add_f64 v[105:106], v[97:98], v[103:104]
	v_add_f64 v[101:102], v[103:104], -v[101:102]
	v_add_f64 v[99:100], v[99:100], -v[107:108]
	s_delay_alu instid0(VALU_DEP_3) | instskip(NEXT) | instid1(VALU_DEP_3)
	v_add_f64 v[109:110], v[105:106], -v[97:98]
	v_add_f64 v[73:74], v[73:74], -v[101:102]
	s_delay_alu instid0(VALU_DEP_2) | instskip(SKIP_1) | instid1(VALU_DEP_3)
	v_add_f64 v[111:112], v[105:106], -v[109:110]
	v_add_f64 v[101:102], v[103:104], -v[109:110]
	v_add_f64 v[103:104], v[99:100], v[73:74]
	s_delay_alu instid0(VALU_DEP_3) | instskip(NEXT) | instid1(VALU_DEP_1)
	v_add_f64 v[97:98], v[97:98], -v[111:112]
	v_add_f64 v[97:98], v[101:102], v[97:98]
	s_delay_alu instid0(VALU_DEP_3) | instskip(NEXT) | instid1(VALU_DEP_2)
	v_add_f64 v[101:102], v[103:104], -v[99:100]
	v_add_f64 v[97:98], v[103:104], v[97:98]
	s_delay_alu instid0(VALU_DEP_2) | instskip(SKIP_1) | instid1(VALU_DEP_3)
	v_add_f64 v[103:104], v[103:104], -v[101:102]
	v_add_f64 v[73:74], v[73:74], -v[101:102]
	v_add_f64 v[107:108], v[105:106], v[97:98]
	s_delay_alu instid0(VALU_DEP_3) | instskip(NEXT) | instid1(VALU_DEP_2)
	v_add_f64 v[99:100], v[99:100], -v[103:104]
	v_add_f64 v[101:102], v[107:108], -v[105:106]
	s_delay_alu instid0(VALU_DEP_2) | instskip(NEXT) | instid1(VALU_DEP_2)
	v_add_f64 v[73:74], v[73:74], v[99:100]
	v_add_f64 v[97:98], v[97:98], -v[101:102]
	s_delay_alu instid0(VALU_DEP_1) | instskip(NEXT) | instid1(VALU_DEP_1)
	v_add_f64 v[73:74], v[73:74], v[97:98]
	v_add_f64 v[73:74], v[107:108], v[73:74]
	s_delay_alu instid0(VALU_DEP_1) | instskip(NEXT) | instid1(VALU_DEP_2)
	v_cndmask_b32_e64 v73, v73, v71, s0
	v_cndmask_b32_e64 v74, v74, v72, s0
	v_cmp_ngt_f64_e64 s0, -1.0, v[71:72]
	s_delay_alu instid0(VALU_DEP_1) | instskip(SKIP_1) | instid1(VALU_DEP_1)
	v_cndmask_b32_e64 v74, 0x7ff80000, v74, s0
	v_cmp_nge_f64_e64 s0, -1.0, v[71:72]
	v_cndmask_b32_e64 v73, 0, v73, s0
	v_cmp_neq_f64_e64 s0, -1.0, v[71:72]
	s_delay_alu instid0(VALU_DEP_1) | instskip(NEXT) | instid1(VALU_DEP_1)
	v_cndmask_b32_e64 v74, 0xfff00000, v74, s0
	v_add_f64 v[71:72], v[69:70], v[73:74]
.LBB46_69:
	s_or_b32 exec_lo, exec_lo, s41
	s_delay_alu instid0(VALU_DEP_1)
	v_dual_mov_b32 v69, v71 :: v_dual_mov_b32 v70, v72
	v_dual_mov_b32 v73, v71 :: v_dual_mov_b32 v74, v72
.LBB46_70:
	s_or_b32 exec_lo, exec_lo, s40
	s_delay_alu instid0(VALU_DEP_1) | instskip(NEXT) | instid1(VALU_DEP_2)
	v_mov_b32_dpp v71, v73 row_shr:4 row_mask:0xf bank_mask:0xf
	v_mov_b32_dpp v72, v74 row_shr:4 row_mask:0xf bank_mask:0xf
	s_mov_b32 s40, exec_lo
	v_cmpx_lt_u32_e32 3, v75
	s_cbranch_execz .LBB46_74
; %bb.71:
	s_delay_alu instid0(VALU_DEP_2) | instskip(SKIP_3) | instid1(VALU_DEP_3)
	v_max_f64 v[73:74], v[71:72], v[71:72]
	v_max_f64 v[97:98], v[69:70], v[69:70]
	v_cmp_u_f64_e64 s0, v[71:72], v[71:72]
	v_cmp_u_f64_e64 s1, v[69:70], v[69:70]
	v_min_f64 v[99:100], v[73:74], v[97:98]
	v_max_f64 v[73:74], v[73:74], v[97:98]
	s_delay_alu instid0(VALU_DEP_2) | instskip(NEXT) | instid1(VALU_DEP_3)
	v_cndmask_b32_e64 v76, v99, v71, s0
	v_cndmask_b32_e64 v97, v100, v72, s0
	s_delay_alu instid0(VALU_DEP_3) | instskip(NEXT) | instid1(VALU_DEP_4)
	v_cndmask_b32_e64 v98, v74, v72, s0
	v_cndmask_b32_e64 v99, v73, v71, s0
	s_delay_alu instid0(VALU_DEP_4) | instskip(NEXT) | instid1(VALU_DEP_4)
	v_cndmask_b32_e64 v73, v76, v69, s1
	v_cndmask_b32_e64 v74, v97, v70, s1
	s_delay_alu instid0(VALU_DEP_4) | instskip(NEXT) | instid1(VALU_DEP_4)
	v_cndmask_b32_e64 v70, v98, v70, s1
	v_cndmask_b32_e64 v69, v99, v69, s1
	s_delay_alu instid0(VALU_DEP_3) | instskip(NEXT) | instid1(VALU_DEP_2)
	v_cmp_class_f64_e64 s1, v[73:74], 0x1f8
	v_cmp_neq_f64_e64 s0, v[73:74], v[69:70]
	s_delay_alu instid0(VALU_DEP_1) | instskip(NEXT) | instid1(SALU_CYCLE_1)
	s_or_b32 s0, s0, s1
	s_and_saveexec_b32 s41, s0
	s_cbranch_execz .LBB46_73
; %bb.72:
	v_add_f64 v[71:72], v[73:74], -v[69:70]
	s_mov_b32 s0, 0x652b82fe
	s_mov_b32 s1, 0x3ff71547
	;; [unrolled: 1-line block ×10, first 2 shown]
	s_delay_alu instid0(VALU_DEP_1) | instskip(SKIP_2) | instid1(VALU_DEP_1)
	v_mul_f64 v[73:74], v[71:72], s[0:1]
	s_mov_b32 s0, 0xfca7ab0c
	s_mov_b32 s1, 0x3e928af3
	v_rndne_f64_e32 v[73:74], v[73:74]
	s_delay_alu instid0(VALU_DEP_1) | instskip(SKIP_2) | instid1(VALU_DEP_2)
	v_fma_f64 v[97:98], v[73:74], s[36:37], v[71:72]
	v_cvt_i32_f64_e32 v76, v[73:74]
	s_mov_b32 s37, 0x3fe62e42
	v_fma_f64 v[97:98], v[73:74], s[38:39], v[97:98]
	s_mov_b32 s39, 0x3c7abc9e
	s_delay_alu instid0(VALU_DEP_1) | instskip(SKIP_4) | instid1(VALU_DEP_1)
	v_fma_f64 v[99:100], v[97:98], s[42:43], s[0:1]
	s_mov_b32 s0, 0x623fde64
	s_mov_b32 s1, 0x3ec71dee
	;; [unrolled: 1-line block ×4, first 2 shown]
	v_fma_f64 v[99:100], v[97:98], v[99:100], s[0:1]
	s_mov_b32 s0, 0x7c89e6b0
	s_mov_b32 s1, 0x3efa0199
	s_delay_alu instid0(VALU_DEP_1) | instid1(SALU_CYCLE_1)
	v_fma_f64 v[99:100], v[97:98], v[99:100], s[0:1]
	s_mov_b32 s0, 0x14761f6e
	s_mov_b32 s1, 0x3f2a01a0
	s_delay_alu instid0(VALU_DEP_1) | instid1(SALU_CYCLE_1)
	;; [unrolled: 4-line block ×7, first 2 shown]
	v_fma_f64 v[99:100], v[97:98], v[99:100], s[0:1]
	v_cmp_nlt_f64_e64 s0, 0x40900000, v[71:72]
	v_cmp_ngt_f64_e64 s1, 0xc090cc00, v[71:72]
	s_delay_alu instid0(VALU_DEP_3) | instskip(NEXT) | instid1(VALU_DEP_1)
	v_fma_f64 v[99:100], v[97:98], v[99:100], 1.0
	v_fma_f64 v[73:74], v[97:98], v[99:100], 1.0
	s_delay_alu instid0(VALU_DEP_1) | instskip(NEXT) | instid1(VALU_DEP_1)
	v_ldexp_f64 v[73:74], v[73:74], v76
	v_cndmask_b32_e64 v74, 0x7ff00000, v74, s0
	s_and_b32 s0, s1, s0
	s_delay_alu instid0(VALU_DEP_2) | instid1(SALU_CYCLE_1)
	v_cndmask_b32_e64 v71, 0, v73, s0
	s_mov_b32 s0, 0x55555555
	s_delay_alu instid0(VALU_DEP_2) | instskip(SKIP_1) | instid1(VALU_DEP_1)
	v_cndmask_b32_e64 v72, 0, v74, s1
	s_mov_b32 s1, 0x3fe55555
	v_add_f64 v[73:74], v[71:72], 1.0
	s_delay_alu instid0(VALU_DEP_1) | instskip(SKIP_2) | instid1(VALU_DEP_3)
	v_frexp_mant_f64_e32 v[97:98], v[73:74]
	v_frexp_exp_i32_f64_e32 v76, v[73:74]
	v_add_f64 v[99:100], v[73:74], -1.0
	v_cmp_gt_f64_e64 s0, s[0:1], v[97:98]
	s_delay_alu instid0(VALU_DEP_2) | instskip(SKIP_1) | instid1(VALU_DEP_3)
	v_add_f64 v[97:98], v[99:100], -v[73:74]
	v_add_f64 v[99:100], v[71:72], -v[99:100]
	v_subrev_co_ci_u32_e64 v76, s0, 0, v76, s0
	s_delay_alu instid0(VALU_DEP_3) | instskip(SKIP_1) | instid1(VALU_DEP_2)
	v_add_f64 v[97:98], v[97:98], 1.0
	s_mov_b32 s0, 0x55555780
	v_sub_nc_u32_e32 v103, 0, v76
	s_delay_alu instid0(VALU_DEP_1) | instskip(NEXT) | instid1(VALU_DEP_3)
	v_ldexp_f64 v[73:74], v[73:74], v103
	v_add_f64 v[97:98], v[99:100], v[97:98]
	s_delay_alu instid0(VALU_DEP_2) | instskip(SKIP_1) | instid1(VALU_DEP_3)
	v_add_f64 v[101:102], v[73:74], 1.0
	v_add_f64 v[107:108], v[73:74], -1.0
	v_ldexp_f64 v[97:98], v[97:98], v103
	s_delay_alu instid0(VALU_DEP_3) | instskip(NEXT) | instid1(VALU_DEP_3)
	v_add_f64 v[99:100], v[101:102], -1.0
	v_add_f64 v[109:110], v[107:108], 1.0
	s_delay_alu instid0(VALU_DEP_2) | instskip(NEXT) | instid1(VALU_DEP_2)
	v_add_f64 v[99:100], v[73:74], -v[99:100]
	v_add_f64 v[73:74], v[73:74], -v[109:110]
	s_delay_alu instid0(VALU_DEP_2) | instskip(NEXT) | instid1(VALU_DEP_2)
	v_add_f64 v[99:100], v[97:98], v[99:100]
	v_add_f64 v[73:74], v[97:98], v[73:74]
	s_delay_alu instid0(VALU_DEP_2) | instskip(NEXT) | instid1(VALU_DEP_2)
	v_add_f64 v[103:104], v[101:102], v[99:100]
	v_add_f64 v[109:110], v[107:108], v[73:74]
	s_delay_alu instid0(VALU_DEP_2) | instskip(SKIP_1) | instid1(VALU_DEP_2)
	v_rcp_f64_e32 v[105:106], v[103:104]
	v_add_f64 v[101:102], v[103:104], -v[101:102]
	v_add_f64 v[107:108], v[109:110], -v[107:108]
	s_delay_alu instid0(VALU_DEP_2) | instskip(SKIP_3) | instid1(VALU_DEP_2)
	v_add_f64 v[99:100], v[99:100], -v[101:102]
	s_waitcnt_depctr 0xfff
	v_fma_f64 v[111:112], -v[103:104], v[105:106], 1.0
	v_add_f64 v[73:74], v[73:74], -v[107:108]
	v_fma_f64 v[105:106], v[111:112], v[105:106], v[105:106]
	s_delay_alu instid0(VALU_DEP_1) | instskip(NEXT) | instid1(VALU_DEP_1)
	v_fma_f64 v[97:98], -v[103:104], v[105:106], 1.0
	v_fma_f64 v[97:98], v[97:98], v[105:106], v[105:106]
	s_delay_alu instid0(VALU_DEP_1) | instskip(NEXT) | instid1(VALU_DEP_1)
	v_mul_f64 v[105:106], v[109:110], v[97:98]
	v_mul_f64 v[111:112], v[103:104], v[105:106]
	s_delay_alu instid0(VALU_DEP_1) | instskip(NEXT) | instid1(VALU_DEP_1)
	v_fma_f64 v[101:102], v[105:106], v[103:104], -v[111:112]
	v_fma_f64 v[101:102], v[105:106], v[99:100], v[101:102]
	s_delay_alu instid0(VALU_DEP_1) | instskip(NEXT) | instid1(VALU_DEP_1)
	v_add_f64 v[113:114], v[111:112], v[101:102]
	v_add_f64 v[115:116], v[109:110], -v[113:114]
	v_add_f64 v[107:108], v[113:114], -v[111:112]
	s_delay_alu instid0(VALU_DEP_2) | instskip(NEXT) | instid1(VALU_DEP_2)
	v_add_f64 v[109:110], v[109:110], -v[115:116]
	v_add_f64 v[101:102], v[107:108], -v[101:102]
	s_delay_alu instid0(VALU_DEP_2) | instskip(NEXT) | instid1(VALU_DEP_1)
	v_add_f64 v[109:110], v[109:110], -v[113:114]
	v_add_f64 v[73:74], v[73:74], v[109:110]
	s_delay_alu instid0(VALU_DEP_1) | instskip(NEXT) | instid1(VALU_DEP_1)
	v_add_f64 v[73:74], v[101:102], v[73:74]
	v_add_f64 v[101:102], v[115:116], v[73:74]
	s_delay_alu instid0(VALU_DEP_1) | instskip(SKIP_1) | instid1(VALU_DEP_2)
	v_mul_f64 v[107:108], v[97:98], v[101:102]
	v_add_f64 v[113:114], v[115:116], -v[101:102]
	v_mul_f64 v[109:110], v[103:104], v[107:108]
	s_delay_alu instid0(VALU_DEP_2) | instskip(NEXT) | instid1(VALU_DEP_2)
	v_add_f64 v[73:74], v[73:74], v[113:114]
	v_fma_f64 v[103:104], v[107:108], v[103:104], -v[109:110]
	s_delay_alu instid0(VALU_DEP_1) | instskip(NEXT) | instid1(VALU_DEP_1)
	v_fma_f64 v[99:100], v[107:108], v[99:100], v[103:104]
	v_add_f64 v[103:104], v[109:110], v[99:100]
	s_delay_alu instid0(VALU_DEP_1) | instskip(SKIP_1) | instid1(VALU_DEP_2)
	v_add_f64 v[111:112], v[101:102], -v[103:104]
	v_add_f64 v[109:110], v[103:104], -v[109:110]
	;; [unrolled: 1-line block ×3, first 2 shown]
	s_delay_alu instid0(VALU_DEP_2) | instskip(NEXT) | instid1(VALU_DEP_2)
	v_add_f64 v[99:100], v[109:110], -v[99:100]
	v_add_f64 v[101:102], v[101:102], -v[103:104]
	s_delay_alu instid0(VALU_DEP_1) | instskip(SKIP_1) | instid1(VALU_DEP_2)
	v_add_f64 v[73:74], v[73:74], v[101:102]
	v_add_f64 v[101:102], v[105:106], v[107:108]
	;; [unrolled: 1-line block ×3, first 2 shown]
	s_delay_alu instid0(VALU_DEP_2) | instskip(NEXT) | instid1(VALU_DEP_2)
	v_add_f64 v[99:100], v[101:102], -v[105:106]
	v_add_f64 v[73:74], v[111:112], v[73:74]
	s_delay_alu instid0(VALU_DEP_2) | instskip(NEXT) | instid1(VALU_DEP_2)
	v_add_f64 v[99:100], v[107:108], -v[99:100]
	v_mul_f64 v[73:74], v[97:98], v[73:74]
	s_delay_alu instid0(VALU_DEP_1) | instskip(NEXT) | instid1(VALU_DEP_1)
	v_add_f64 v[73:74], v[99:100], v[73:74]
	v_add_f64 v[97:98], v[101:102], v[73:74]
	s_delay_alu instid0(VALU_DEP_1) | instskip(NEXT) | instid1(VALU_DEP_1)
	v_mul_f64 v[99:100], v[97:98], v[97:98]
	v_fma_f64 v[103:104], v[99:100], s[44:45], s[42:43]
	s_mov_b32 s42, 0xd7f4df2e
	s_mov_b32 s43, 0x3fc7474d
	v_mul_f64 v[105:106], v[97:98], v[99:100]
	s_delay_alu instid0(VALU_DEP_2)
	v_fma_f64 v[103:104], v[99:100], v[103:104], s[42:43]
	s_mov_b32 s42, 0x16291751
	s_mov_b32 s43, 0x3fcc71c0
	s_delay_alu instid0(VALU_DEP_1) | instid1(SALU_CYCLE_1)
	v_fma_f64 v[103:104], v[99:100], v[103:104], s[42:43]
	s_mov_b32 s42, 0x9b27acf1
	s_mov_b32 s43, 0x3fd24924
	s_delay_alu instid0(VALU_DEP_1) | instid1(SALU_CYCLE_1)
	;; [unrolled: 4-line block ×3, first 2 shown]
	v_fma_f64 v[103:104], v[99:100], v[103:104], s[42:43]
	s_delay_alu instid0(VALU_DEP_1) | instskip(SKIP_3) | instid1(VALU_DEP_4)
	v_fma_f64 v[99:100], v[99:100], v[103:104], s[0:1]
	v_ldexp_f64 v[103:104], v[97:98], 1
	v_add_f64 v[97:98], v[97:98], -v[101:102]
	v_cmp_eq_f64_e64 s0, 0x7ff00000, v[71:72]
	v_mul_f64 v[99:100], v[105:106], v[99:100]
	v_cvt_f64_i32_e32 v[105:106], v76
	s_delay_alu instid0(VALU_DEP_4) | instskip(NEXT) | instid1(VALU_DEP_3)
	v_add_f64 v[73:74], v[73:74], -v[97:98]
	v_add_f64 v[101:102], v[103:104], v[99:100]
	s_delay_alu instid0(VALU_DEP_3) | instskip(NEXT) | instid1(VALU_DEP_3)
	v_mul_f64 v[107:108], v[105:106], s[36:37]
	v_ldexp_f64 v[73:74], v[73:74], 1
	s_delay_alu instid0(VALU_DEP_3) | instskip(NEXT) | instid1(VALU_DEP_3)
	v_add_f64 v[97:98], v[101:102], -v[103:104]
	v_fma_f64 v[103:104], v[105:106], s[36:37], -v[107:108]
	s_delay_alu instid0(VALU_DEP_2) | instskip(NEXT) | instid1(VALU_DEP_2)
	v_add_f64 v[97:98], v[99:100], -v[97:98]
	v_fma_f64 v[99:100], v[105:106], s[38:39], v[103:104]
	s_delay_alu instid0(VALU_DEP_2) | instskip(NEXT) | instid1(VALU_DEP_2)
	v_add_f64 v[73:74], v[73:74], v[97:98]
	v_add_f64 v[97:98], v[107:108], v[99:100]
	s_delay_alu instid0(VALU_DEP_2) | instskip(NEXT) | instid1(VALU_DEP_2)
	v_add_f64 v[103:104], v[101:102], v[73:74]
	v_add_f64 v[107:108], v[97:98], -v[107:108]
	s_delay_alu instid0(VALU_DEP_2) | instskip(SKIP_1) | instid1(VALU_DEP_3)
	v_add_f64 v[105:106], v[97:98], v[103:104]
	v_add_f64 v[101:102], v[103:104], -v[101:102]
	v_add_f64 v[99:100], v[99:100], -v[107:108]
	s_delay_alu instid0(VALU_DEP_3) | instskip(NEXT) | instid1(VALU_DEP_3)
	v_add_f64 v[109:110], v[105:106], -v[97:98]
	v_add_f64 v[73:74], v[73:74], -v[101:102]
	s_delay_alu instid0(VALU_DEP_2) | instskip(SKIP_1) | instid1(VALU_DEP_3)
	v_add_f64 v[111:112], v[105:106], -v[109:110]
	v_add_f64 v[101:102], v[103:104], -v[109:110]
	v_add_f64 v[103:104], v[99:100], v[73:74]
	s_delay_alu instid0(VALU_DEP_3) | instskip(NEXT) | instid1(VALU_DEP_1)
	v_add_f64 v[97:98], v[97:98], -v[111:112]
	v_add_f64 v[97:98], v[101:102], v[97:98]
	s_delay_alu instid0(VALU_DEP_3) | instskip(NEXT) | instid1(VALU_DEP_2)
	v_add_f64 v[101:102], v[103:104], -v[99:100]
	v_add_f64 v[97:98], v[103:104], v[97:98]
	s_delay_alu instid0(VALU_DEP_2) | instskip(SKIP_1) | instid1(VALU_DEP_3)
	v_add_f64 v[103:104], v[103:104], -v[101:102]
	v_add_f64 v[73:74], v[73:74], -v[101:102]
	v_add_f64 v[107:108], v[105:106], v[97:98]
	s_delay_alu instid0(VALU_DEP_3) | instskip(NEXT) | instid1(VALU_DEP_2)
	v_add_f64 v[99:100], v[99:100], -v[103:104]
	v_add_f64 v[101:102], v[107:108], -v[105:106]
	s_delay_alu instid0(VALU_DEP_2) | instskip(NEXT) | instid1(VALU_DEP_2)
	v_add_f64 v[73:74], v[73:74], v[99:100]
	v_add_f64 v[97:98], v[97:98], -v[101:102]
	s_delay_alu instid0(VALU_DEP_1) | instskip(NEXT) | instid1(VALU_DEP_1)
	v_add_f64 v[73:74], v[73:74], v[97:98]
	v_add_f64 v[73:74], v[107:108], v[73:74]
	s_delay_alu instid0(VALU_DEP_1) | instskip(NEXT) | instid1(VALU_DEP_2)
	v_cndmask_b32_e64 v73, v73, v71, s0
	v_cndmask_b32_e64 v74, v74, v72, s0
	v_cmp_ngt_f64_e64 s0, -1.0, v[71:72]
	s_delay_alu instid0(VALU_DEP_1) | instskip(SKIP_1) | instid1(VALU_DEP_1)
	v_cndmask_b32_e64 v74, 0x7ff80000, v74, s0
	v_cmp_nge_f64_e64 s0, -1.0, v[71:72]
	v_cndmask_b32_e64 v73, 0, v73, s0
	v_cmp_neq_f64_e64 s0, -1.0, v[71:72]
	s_delay_alu instid0(VALU_DEP_1) | instskip(NEXT) | instid1(VALU_DEP_1)
	v_cndmask_b32_e64 v74, 0xfff00000, v74, s0
	v_add_f64 v[71:72], v[69:70], v[73:74]
.LBB46_73:
	s_or_b32 exec_lo, exec_lo, s41
	s_delay_alu instid0(VALU_DEP_1)
	v_dual_mov_b32 v69, v71 :: v_dual_mov_b32 v70, v72
	v_dual_mov_b32 v73, v71 :: v_dual_mov_b32 v74, v72
.LBB46_74:
	s_or_b32 exec_lo, exec_lo, s40
	s_delay_alu instid0(VALU_DEP_1) | instskip(NEXT) | instid1(VALU_DEP_2)
	v_mov_b32_dpp v71, v73 row_shr:8 row_mask:0xf bank_mask:0xf
	v_mov_b32_dpp v72, v74 row_shr:8 row_mask:0xf bank_mask:0xf
	s_mov_b32 s40, exec_lo
	v_cmpx_lt_u32_e32 7, v75
	s_cbranch_execz .LBB46_78
; %bb.75:
	s_delay_alu instid0(VALU_DEP_2) | instskip(SKIP_3) | instid1(VALU_DEP_3)
	v_max_f64 v[73:74], v[71:72], v[71:72]
	v_max_f64 v[75:76], v[69:70], v[69:70]
	v_cmp_u_f64_e64 s0, v[71:72], v[71:72]
	v_cmp_u_f64_e64 s1, v[69:70], v[69:70]
	v_min_f64 v[97:98], v[73:74], v[75:76]
	v_max_f64 v[73:74], v[73:74], v[75:76]
	s_delay_alu instid0(VALU_DEP_2) | instskip(NEXT) | instid1(VALU_DEP_3)
	v_cndmask_b32_e64 v75, v97, v71, s0
	v_cndmask_b32_e64 v76, v98, v72, s0
	s_delay_alu instid0(VALU_DEP_3) | instskip(NEXT) | instid1(VALU_DEP_4)
	v_cndmask_b32_e64 v97, v74, v72, s0
	v_cndmask_b32_e64 v98, v73, v71, s0
	s_delay_alu instid0(VALU_DEP_4) | instskip(NEXT) | instid1(VALU_DEP_4)
	v_cndmask_b32_e64 v73, v75, v69, s1
	v_cndmask_b32_e64 v74, v76, v70, s1
	s_delay_alu instid0(VALU_DEP_4) | instskip(NEXT) | instid1(VALU_DEP_4)
	v_cndmask_b32_e64 v70, v97, v70, s1
	v_cndmask_b32_e64 v69, v98, v69, s1
	s_delay_alu instid0(VALU_DEP_3) | instskip(NEXT) | instid1(VALU_DEP_2)
	v_cmp_class_f64_e64 s1, v[73:74], 0x1f8
	v_cmp_neq_f64_e64 s0, v[73:74], v[69:70]
	s_delay_alu instid0(VALU_DEP_1) | instskip(NEXT) | instid1(SALU_CYCLE_1)
	s_or_b32 s0, s0, s1
	s_and_saveexec_b32 s41, s0
	s_cbranch_execz .LBB46_77
; %bb.76:
	v_add_f64 v[71:72], v[73:74], -v[69:70]
	s_mov_b32 s0, 0x652b82fe
	s_mov_b32 s1, 0x3ff71547
	;; [unrolled: 1-line block ×10, first 2 shown]
	s_delay_alu instid0(VALU_DEP_1) | instskip(SKIP_2) | instid1(VALU_DEP_1)
	v_mul_f64 v[73:74], v[71:72], s[0:1]
	s_mov_b32 s0, 0xfca7ab0c
	s_mov_b32 s1, 0x3e928af3
	v_rndne_f64_e32 v[73:74], v[73:74]
	s_delay_alu instid0(VALU_DEP_1) | instskip(SKIP_2) | instid1(VALU_DEP_2)
	v_fma_f64 v[75:76], v[73:74], s[36:37], v[71:72]
	v_cvt_i32_f64_e32 v99, v[73:74]
	s_mov_b32 s37, 0x3fe62e42
	v_fma_f64 v[75:76], v[73:74], s[38:39], v[75:76]
	s_mov_b32 s39, 0x3c7abc9e
	s_delay_alu instid0(VALU_DEP_1) | instskip(SKIP_4) | instid1(VALU_DEP_1)
	v_fma_f64 v[97:98], v[75:76], s[42:43], s[0:1]
	s_mov_b32 s0, 0x623fde64
	s_mov_b32 s1, 0x3ec71dee
	s_mov_b32 s42, 0x6b47b09a
	s_mov_b32 s43, 0x3fc38538
	v_fma_f64 v[97:98], v[75:76], v[97:98], s[0:1]
	s_mov_b32 s0, 0x7c89e6b0
	s_mov_b32 s1, 0x3efa0199
	s_delay_alu instid0(VALU_DEP_1) | instid1(SALU_CYCLE_1)
	v_fma_f64 v[97:98], v[75:76], v[97:98], s[0:1]
	s_mov_b32 s0, 0x14761f6e
	s_mov_b32 s1, 0x3f2a01a0
	s_delay_alu instid0(VALU_DEP_1) | instid1(SALU_CYCLE_1)
	;; [unrolled: 4-line block ×7, first 2 shown]
	v_fma_f64 v[97:98], v[75:76], v[97:98], s[0:1]
	v_cmp_nlt_f64_e64 s0, 0x40900000, v[71:72]
	v_cmp_ngt_f64_e64 s1, 0xc090cc00, v[71:72]
	s_delay_alu instid0(VALU_DEP_3) | instskip(NEXT) | instid1(VALU_DEP_1)
	v_fma_f64 v[97:98], v[75:76], v[97:98], 1.0
	v_fma_f64 v[73:74], v[75:76], v[97:98], 1.0
	s_delay_alu instid0(VALU_DEP_1) | instskip(NEXT) | instid1(VALU_DEP_1)
	v_ldexp_f64 v[73:74], v[73:74], v99
	v_cndmask_b32_e64 v74, 0x7ff00000, v74, s0
	s_and_b32 s0, s1, s0
	s_delay_alu instid0(VALU_DEP_2) | instid1(SALU_CYCLE_1)
	v_cndmask_b32_e64 v71, 0, v73, s0
	s_mov_b32 s0, 0x55555555
	s_delay_alu instid0(VALU_DEP_2) | instskip(SKIP_1) | instid1(VALU_DEP_1)
	v_cndmask_b32_e64 v72, 0, v74, s1
	s_mov_b32 s1, 0x3fe55555
	v_add_f64 v[73:74], v[71:72], 1.0
	s_delay_alu instid0(VALU_DEP_1) | instskip(SKIP_2) | instid1(VALU_DEP_3)
	v_frexp_mant_f64_e32 v[75:76], v[73:74]
	v_frexp_exp_i32_f64_e32 v99, v[73:74]
	v_add_f64 v[97:98], v[73:74], -1.0
	v_cmp_gt_f64_e64 s0, s[0:1], v[75:76]
	s_delay_alu instid0(VALU_DEP_2) | instskip(SKIP_1) | instid1(VALU_DEP_3)
	v_add_f64 v[75:76], v[97:98], -v[73:74]
	v_add_f64 v[97:98], v[71:72], -v[97:98]
	v_subrev_co_ci_u32_e64 v115, s0, 0, v99, s0
	s_delay_alu instid0(VALU_DEP_3) | instskip(SKIP_1) | instid1(VALU_DEP_2)
	v_add_f64 v[75:76], v[75:76], 1.0
	s_mov_b32 s0, 0x55555780
	v_sub_nc_u32_e32 v101, 0, v115
	s_delay_alu instid0(VALU_DEP_1) | instskip(NEXT) | instid1(VALU_DEP_3)
	v_ldexp_f64 v[73:74], v[73:74], v101
	v_add_f64 v[75:76], v[97:98], v[75:76]
	s_delay_alu instid0(VALU_DEP_2) | instskip(SKIP_1) | instid1(VALU_DEP_3)
	v_add_f64 v[99:100], v[73:74], 1.0
	v_add_f64 v[105:106], v[73:74], -1.0
	v_ldexp_f64 v[75:76], v[75:76], v101
	s_delay_alu instid0(VALU_DEP_3) | instskip(NEXT) | instid1(VALU_DEP_3)
	v_add_f64 v[97:98], v[99:100], -1.0
	v_add_f64 v[107:108], v[105:106], 1.0
	s_delay_alu instid0(VALU_DEP_2) | instskip(NEXT) | instid1(VALU_DEP_2)
	v_add_f64 v[97:98], v[73:74], -v[97:98]
	v_add_f64 v[73:74], v[73:74], -v[107:108]
	s_delay_alu instid0(VALU_DEP_2) | instskip(NEXT) | instid1(VALU_DEP_2)
	v_add_f64 v[97:98], v[75:76], v[97:98]
	v_add_f64 v[73:74], v[75:76], v[73:74]
	s_delay_alu instid0(VALU_DEP_2) | instskip(NEXT) | instid1(VALU_DEP_2)
	v_add_f64 v[101:102], v[99:100], v[97:98]
	v_add_f64 v[107:108], v[105:106], v[73:74]
	s_delay_alu instid0(VALU_DEP_2) | instskip(SKIP_1) | instid1(VALU_DEP_2)
	v_rcp_f64_e32 v[103:104], v[101:102]
	v_add_f64 v[99:100], v[101:102], -v[99:100]
	v_add_f64 v[105:106], v[107:108], -v[105:106]
	s_delay_alu instid0(VALU_DEP_2) | instskip(SKIP_3) | instid1(VALU_DEP_2)
	v_add_f64 v[97:98], v[97:98], -v[99:100]
	s_waitcnt_depctr 0xfff
	v_fma_f64 v[109:110], -v[101:102], v[103:104], 1.0
	v_add_f64 v[73:74], v[73:74], -v[105:106]
	v_fma_f64 v[103:104], v[109:110], v[103:104], v[103:104]
	s_delay_alu instid0(VALU_DEP_1) | instskip(NEXT) | instid1(VALU_DEP_1)
	v_fma_f64 v[75:76], -v[101:102], v[103:104], 1.0
	v_fma_f64 v[75:76], v[75:76], v[103:104], v[103:104]
	s_delay_alu instid0(VALU_DEP_1) | instskip(NEXT) | instid1(VALU_DEP_1)
	v_mul_f64 v[103:104], v[107:108], v[75:76]
	v_mul_f64 v[109:110], v[101:102], v[103:104]
	s_delay_alu instid0(VALU_DEP_1) | instskip(NEXT) | instid1(VALU_DEP_1)
	v_fma_f64 v[99:100], v[103:104], v[101:102], -v[109:110]
	v_fma_f64 v[99:100], v[103:104], v[97:98], v[99:100]
	s_delay_alu instid0(VALU_DEP_1) | instskip(NEXT) | instid1(VALU_DEP_1)
	v_add_f64 v[111:112], v[109:110], v[99:100]
	v_add_f64 v[113:114], v[107:108], -v[111:112]
	v_add_f64 v[105:106], v[111:112], -v[109:110]
	s_delay_alu instid0(VALU_DEP_2) | instskip(NEXT) | instid1(VALU_DEP_2)
	v_add_f64 v[107:108], v[107:108], -v[113:114]
	v_add_f64 v[99:100], v[105:106], -v[99:100]
	s_delay_alu instid0(VALU_DEP_2) | instskip(NEXT) | instid1(VALU_DEP_1)
	v_add_f64 v[107:108], v[107:108], -v[111:112]
	v_add_f64 v[73:74], v[73:74], v[107:108]
	s_delay_alu instid0(VALU_DEP_1) | instskip(NEXT) | instid1(VALU_DEP_1)
	v_add_f64 v[73:74], v[99:100], v[73:74]
	v_add_f64 v[99:100], v[113:114], v[73:74]
	s_delay_alu instid0(VALU_DEP_1) | instskip(SKIP_1) | instid1(VALU_DEP_2)
	v_mul_f64 v[105:106], v[75:76], v[99:100]
	v_add_f64 v[111:112], v[113:114], -v[99:100]
	v_mul_f64 v[107:108], v[101:102], v[105:106]
	s_delay_alu instid0(VALU_DEP_2) | instskip(NEXT) | instid1(VALU_DEP_2)
	v_add_f64 v[73:74], v[73:74], v[111:112]
	v_fma_f64 v[101:102], v[105:106], v[101:102], -v[107:108]
	s_delay_alu instid0(VALU_DEP_1) | instskip(NEXT) | instid1(VALU_DEP_1)
	v_fma_f64 v[97:98], v[105:106], v[97:98], v[101:102]
	v_add_f64 v[101:102], v[107:108], v[97:98]
	s_delay_alu instid0(VALU_DEP_1) | instskip(SKIP_1) | instid1(VALU_DEP_2)
	v_add_f64 v[109:110], v[99:100], -v[101:102]
	v_add_f64 v[107:108], v[101:102], -v[107:108]
	;; [unrolled: 1-line block ×3, first 2 shown]
	s_delay_alu instid0(VALU_DEP_2) | instskip(NEXT) | instid1(VALU_DEP_2)
	v_add_f64 v[97:98], v[107:108], -v[97:98]
	v_add_f64 v[99:100], v[99:100], -v[101:102]
	s_delay_alu instid0(VALU_DEP_1) | instskip(SKIP_1) | instid1(VALU_DEP_2)
	v_add_f64 v[73:74], v[73:74], v[99:100]
	v_add_f64 v[99:100], v[103:104], v[105:106]
	;; [unrolled: 1-line block ×3, first 2 shown]
	s_delay_alu instid0(VALU_DEP_2) | instskip(NEXT) | instid1(VALU_DEP_2)
	v_add_f64 v[97:98], v[99:100], -v[103:104]
	v_add_f64 v[73:74], v[109:110], v[73:74]
	s_delay_alu instid0(VALU_DEP_2) | instskip(NEXT) | instid1(VALU_DEP_2)
	v_add_f64 v[97:98], v[105:106], -v[97:98]
	v_mul_f64 v[73:74], v[75:76], v[73:74]
	s_delay_alu instid0(VALU_DEP_1) | instskip(NEXT) | instid1(VALU_DEP_1)
	v_add_f64 v[73:74], v[97:98], v[73:74]
	v_add_f64 v[75:76], v[99:100], v[73:74]
	s_delay_alu instid0(VALU_DEP_1) | instskip(NEXT) | instid1(VALU_DEP_1)
	v_mul_f64 v[97:98], v[75:76], v[75:76]
	v_fma_f64 v[101:102], v[97:98], s[44:45], s[42:43]
	s_mov_b32 s42, 0xd7f4df2e
	s_mov_b32 s43, 0x3fc7474d
	v_mul_f64 v[103:104], v[75:76], v[97:98]
	s_delay_alu instid0(VALU_DEP_2)
	v_fma_f64 v[101:102], v[97:98], v[101:102], s[42:43]
	s_mov_b32 s42, 0x16291751
	s_mov_b32 s43, 0x3fcc71c0
	s_delay_alu instid0(VALU_DEP_1) | instid1(SALU_CYCLE_1)
	v_fma_f64 v[101:102], v[97:98], v[101:102], s[42:43]
	s_mov_b32 s42, 0x9b27acf1
	s_mov_b32 s43, 0x3fd24924
	s_delay_alu instid0(VALU_DEP_1) | instid1(SALU_CYCLE_1)
	;; [unrolled: 4-line block ×3, first 2 shown]
	v_fma_f64 v[101:102], v[97:98], v[101:102], s[42:43]
	s_delay_alu instid0(VALU_DEP_1) | instskip(SKIP_3) | instid1(VALU_DEP_4)
	v_fma_f64 v[97:98], v[97:98], v[101:102], s[0:1]
	v_ldexp_f64 v[101:102], v[75:76], 1
	v_add_f64 v[75:76], v[75:76], -v[99:100]
	v_cmp_eq_f64_e64 s0, 0x7ff00000, v[71:72]
	v_mul_f64 v[97:98], v[103:104], v[97:98]
	v_cvt_f64_i32_e32 v[103:104], v115
	s_delay_alu instid0(VALU_DEP_4) | instskip(NEXT) | instid1(VALU_DEP_3)
	v_add_f64 v[73:74], v[73:74], -v[75:76]
	v_add_f64 v[99:100], v[101:102], v[97:98]
	s_delay_alu instid0(VALU_DEP_3) | instskip(NEXT) | instid1(VALU_DEP_3)
	v_mul_f64 v[105:106], v[103:104], s[36:37]
	v_ldexp_f64 v[73:74], v[73:74], 1
	s_delay_alu instid0(VALU_DEP_3) | instskip(NEXT) | instid1(VALU_DEP_3)
	v_add_f64 v[75:76], v[99:100], -v[101:102]
	v_fma_f64 v[101:102], v[103:104], s[36:37], -v[105:106]
	s_delay_alu instid0(VALU_DEP_2) | instskip(NEXT) | instid1(VALU_DEP_2)
	v_add_f64 v[75:76], v[97:98], -v[75:76]
	v_fma_f64 v[97:98], v[103:104], s[38:39], v[101:102]
	s_delay_alu instid0(VALU_DEP_2) | instskip(NEXT) | instid1(VALU_DEP_2)
	v_add_f64 v[73:74], v[73:74], v[75:76]
	v_add_f64 v[75:76], v[105:106], v[97:98]
	s_delay_alu instid0(VALU_DEP_2) | instskip(NEXT) | instid1(VALU_DEP_2)
	v_add_f64 v[101:102], v[99:100], v[73:74]
	v_add_f64 v[105:106], v[75:76], -v[105:106]
	s_delay_alu instid0(VALU_DEP_2) | instskip(SKIP_1) | instid1(VALU_DEP_3)
	v_add_f64 v[103:104], v[75:76], v[101:102]
	v_add_f64 v[99:100], v[101:102], -v[99:100]
	v_add_f64 v[97:98], v[97:98], -v[105:106]
	s_delay_alu instid0(VALU_DEP_3) | instskip(NEXT) | instid1(VALU_DEP_3)
	v_add_f64 v[107:108], v[103:104], -v[75:76]
	v_add_f64 v[73:74], v[73:74], -v[99:100]
	s_delay_alu instid0(VALU_DEP_2) | instskip(SKIP_1) | instid1(VALU_DEP_3)
	v_add_f64 v[109:110], v[103:104], -v[107:108]
	v_add_f64 v[99:100], v[101:102], -v[107:108]
	v_add_f64 v[101:102], v[97:98], v[73:74]
	s_delay_alu instid0(VALU_DEP_3) | instskip(NEXT) | instid1(VALU_DEP_1)
	v_add_f64 v[75:76], v[75:76], -v[109:110]
	v_add_f64 v[75:76], v[99:100], v[75:76]
	s_delay_alu instid0(VALU_DEP_3) | instskip(NEXT) | instid1(VALU_DEP_2)
	v_add_f64 v[99:100], v[101:102], -v[97:98]
	v_add_f64 v[75:76], v[101:102], v[75:76]
	s_delay_alu instid0(VALU_DEP_2) | instskip(SKIP_1) | instid1(VALU_DEP_3)
	v_add_f64 v[101:102], v[101:102], -v[99:100]
	v_add_f64 v[73:74], v[73:74], -v[99:100]
	v_add_f64 v[105:106], v[103:104], v[75:76]
	s_delay_alu instid0(VALU_DEP_3) | instskip(NEXT) | instid1(VALU_DEP_2)
	v_add_f64 v[97:98], v[97:98], -v[101:102]
	v_add_f64 v[99:100], v[105:106], -v[103:104]
	s_delay_alu instid0(VALU_DEP_2) | instskip(NEXT) | instid1(VALU_DEP_2)
	v_add_f64 v[73:74], v[73:74], v[97:98]
	v_add_f64 v[75:76], v[75:76], -v[99:100]
	s_delay_alu instid0(VALU_DEP_1) | instskip(NEXT) | instid1(VALU_DEP_1)
	v_add_f64 v[73:74], v[73:74], v[75:76]
	v_add_f64 v[73:74], v[105:106], v[73:74]
	s_delay_alu instid0(VALU_DEP_1) | instskip(NEXT) | instid1(VALU_DEP_2)
	v_cndmask_b32_e64 v73, v73, v71, s0
	v_cndmask_b32_e64 v74, v74, v72, s0
	v_cmp_ngt_f64_e64 s0, -1.0, v[71:72]
	s_delay_alu instid0(VALU_DEP_1) | instskip(SKIP_1) | instid1(VALU_DEP_1)
	v_cndmask_b32_e64 v74, 0x7ff80000, v74, s0
	v_cmp_nge_f64_e64 s0, -1.0, v[71:72]
	v_cndmask_b32_e64 v73, 0, v73, s0
	v_cmp_neq_f64_e64 s0, -1.0, v[71:72]
	s_delay_alu instid0(VALU_DEP_1) | instskip(NEXT) | instid1(VALU_DEP_1)
	v_cndmask_b32_e64 v74, 0xfff00000, v74, s0
	v_add_f64 v[71:72], v[69:70], v[73:74]
.LBB46_77:
	s_or_b32 exec_lo, exec_lo, s41
	s_delay_alu instid0(VALU_DEP_1)
	v_dual_mov_b32 v73, v71 :: v_dual_mov_b32 v74, v72
	v_dual_mov_b32 v69, v71 :: v_dual_mov_b32 v70, v72
.LBB46_78:
	s_or_b32 exec_lo, exec_lo, s40
	ds_swizzle_b32 v71, v73 offset:swizzle(BROADCAST,32,15)
	ds_swizzle_b32 v72, v74 offset:swizzle(BROADCAST,32,15)
	v_and_b32_e32 v73, 16, v96
	s_mov_b32 s40, exec_lo
	s_delay_alu instid0(VALU_DEP_1)
	v_cmpx_ne_u32_e32 0, v73
	s_cbranch_execz .LBB46_82
; %bb.79:
	s_waitcnt lgkmcnt(0)
	v_max_f64 v[73:74], v[71:72], v[71:72]
	v_max_f64 v[75:76], v[69:70], v[69:70]
	v_cmp_u_f64_e64 s0, v[71:72], v[71:72]
	v_cmp_u_f64_e64 s1, v[69:70], v[69:70]
	s_delay_alu instid0(VALU_DEP_3) | instskip(SKIP_1) | instid1(VALU_DEP_2)
	v_min_f64 v[97:98], v[73:74], v[75:76]
	v_max_f64 v[73:74], v[73:74], v[75:76]
	v_cndmask_b32_e64 v75, v97, v71, s0
	s_delay_alu instid0(VALU_DEP_3) | instskip(NEXT) | instid1(VALU_DEP_3)
	v_cndmask_b32_e64 v76, v98, v72, s0
	v_cndmask_b32_e64 v97, v74, v72, s0
	s_delay_alu instid0(VALU_DEP_4) | instskip(NEXT) | instid1(VALU_DEP_4)
	v_cndmask_b32_e64 v98, v73, v71, s0
	v_cndmask_b32_e64 v73, v75, v69, s1
	s_delay_alu instid0(VALU_DEP_4) | instskip(NEXT) | instid1(VALU_DEP_4)
	v_cndmask_b32_e64 v74, v76, v70, s1
	v_cndmask_b32_e64 v70, v97, v70, s1
	s_delay_alu instid0(VALU_DEP_4) | instskip(NEXT) | instid1(VALU_DEP_3)
	v_cndmask_b32_e64 v69, v98, v69, s1
	v_cmp_class_f64_e64 s1, v[73:74], 0x1f8
	s_delay_alu instid0(VALU_DEP_2) | instskip(NEXT) | instid1(VALU_DEP_1)
	v_cmp_neq_f64_e64 s0, v[73:74], v[69:70]
	s_or_b32 s0, s0, s1
	s_delay_alu instid0(SALU_CYCLE_1)
	s_and_saveexec_b32 s41, s0
	s_cbranch_execz .LBB46_81
; %bb.80:
	v_add_f64 v[71:72], v[73:74], -v[69:70]
	s_mov_b32 s0, 0x652b82fe
	s_mov_b32 s1, 0x3ff71547
	;; [unrolled: 1-line block ×10, first 2 shown]
	s_delay_alu instid0(VALU_DEP_1) | instskip(SKIP_2) | instid1(VALU_DEP_1)
	v_mul_f64 v[73:74], v[71:72], s[0:1]
	s_mov_b32 s0, 0xfca7ab0c
	s_mov_b32 s1, 0x3e928af3
	v_rndne_f64_e32 v[73:74], v[73:74]
	s_delay_alu instid0(VALU_DEP_1) | instskip(SKIP_2) | instid1(VALU_DEP_2)
	v_fma_f64 v[75:76], v[73:74], s[36:37], v[71:72]
	v_cvt_i32_f64_e32 v99, v[73:74]
	s_mov_b32 s37, 0x3fe62e42
	v_fma_f64 v[75:76], v[73:74], s[38:39], v[75:76]
	s_mov_b32 s39, 0x3c7abc9e
	s_delay_alu instid0(VALU_DEP_1) | instskip(SKIP_4) | instid1(VALU_DEP_1)
	v_fma_f64 v[97:98], v[75:76], s[42:43], s[0:1]
	s_mov_b32 s0, 0x623fde64
	s_mov_b32 s1, 0x3ec71dee
	s_mov_b32 s42, 0x6b47b09a
	s_mov_b32 s43, 0x3fc38538
	v_fma_f64 v[97:98], v[75:76], v[97:98], s[0:1]
	s_mov_b32 s0, 0x7c89e6b0
	s_mov_b32 s1, 0x3efa0199
	s_delay_alu instid0(VALU_DEP_1) | instid1(SALU_CYCLE_1)
	v_fma_f64 v[97:98], v[75:76], v[97:98], s[0:1]
	s_mov_b32 s0, 0x14761f6e
	s_mov_b32 s1, 0x3f2a01a0
	s_delay_alu instid0(VALU_DEP_1) | instid1(SALU_CYCLE_1)
	;; [unrolled: 4-line block ×7, first 2 shown]
	v_fma_f64 v[97:98], v[75:76], v[97:98], s[0:1]
	v_cmp_nlt_f64_e64 s0, 0x40900000, v[71:72]
	v_cmp_ngt_f64_e64 s1, 0xc090cc00, v[71:72]
	s_delay_alu instid0(VALU_DEP_3) | instskip(NEXT) | instid1(VALU_DEP_1)
	v_fma_f64 v[97:98], v[75:76], v[97:98], 1.0
	v_fma_f64 v[73:74], v[75:76], v[97:98], 1.0
	s_delay_alu instid0(VALU_DEP_1) | instskip(NEXT) | instid1(VALU_DEP_1)
	v_ldexp_f64 v[73:74], v[73:74], v99
	v_cndmask_b32_e64 v74, 0x7ff00000, v74, s0
	s_and_b32 s0, s1, s0
	s_delay_alu instid0(VALU_DEP_2) | instid1(SALU_CYCLE_1)
	v_cndmask_b32_e64 v71, 0, v73, s0
	s_mov_b32 s0, 0x55555555
	s_delay_alu instid0(VALU_DEP_2) | instskip(SKIP_1) | instid1(VALU_DEP_1)
	v_cndmask_b32_e64 v72, 0, v74, s1
	s_mov_b32 s1, 0x3fe55555
	v_add_f64 v[73:74], v[71:72], 1.0
	s_delay_alu instid0(VALU_DEP_1) | instskip(SKIP_2) | instid1(VALU_DEP_3)
	v_frexp_mant_f64_e32 v[75:76], v[73:74]
	v_frexp_exp_i32_f64_e32 v99, v[73:74]
	v_add_f64 v[97:98], v[73:74], -1.0
	v_cmp_gt_f64_e64 s0, s[0:1], v[75:76]
	s_delay_alu instid0(VALU_DEP_2) | instskip(SKIP_1) | instid1(VALU_DEP_3)
	v_add_f64 v[75:76], v[97:98], -v[73:74]
	v_add_f64 v[97:98], v[71:72], -v[97:98]
	v_subrev_co_ci_u32_e64 v115, s0, 0, v99, s0
	s_delay_alu instid0(VALU_DEP_3) | instskip(SKIP_1) | instid1(VALU_DEP_2)
	v_add_f64 v[75:76], v[75:76], 1.0
	s_mov_b32 s0, 0x55555780
	v_sub_nc_u32_e32 v101, 0, v115
	s_delay_alu instid0(VALU_DEP_1) | instskip(NEXT) | instid1(VALU_DEP_3)
	v_ldexp_f64 v[73:74], v[73:74], v101
	v_add_f64 v[75:76], v[97:98], v[75:76]
	s_delay_alu instid0(VALU_DEP_2) | instskip(SKIP_1) | instid1(VALU_DEP_3)
	v_add_f64 v[99:100], v[73:74], 1.0
	v_add_f64 v[105:106], v[73:74], -1.0
	v_ldexp_f64 v[75:76], v[75:76], v101
	s_delay_alu instid0(VALU_DEP_3) | instskip(NEXT) | instid1(VALU_DEP_3)
	v_add_f64 v[97:98], v[99:100], -1.0
	v_add_f64 v[107:108], v[105:106], 1.0
	s_delay_alu instid0(VALU_DEP_2) | instskip(NEXT) | instid1(VALU_DEP_2)
	v_add_f64 v[97:98], v[73:74], -v[97:98]
	v_add_f64 v[73:74], v[73:74], -v[107:108]
	s_delay_alu instid0(VALU_DEP_2) | instskip(NEXT) | instid1(VALU_DEP_2)
	v_add_f64 v[97:98], v[75:76], v[97:98]
	v_add_f64 v[73:74], v[75:76], v[73:74]
	s_delay_alu instid0(VALU_DEP_2) | instskip(NEXT) | instid1(VALU_DEP_2)
	v_add_f64 v[101:102], v[99:100], v[97:98]
	v_add_f64 v[107:108], v[105:106], v[73:74]
	s_delay_alu instid0(VALU_DEP_2) | instskip(SKIP_1) | instid1(VALU_DEP_2)
	v_rcp_f64_e32 v[103:104], v[101:102]
	v_add_f64 v[99:100], v[101:102], -v[99:100]
	v_add_f64 v[105:106], v[107:108], -v[105:106]
	s_delay_alu instid0(VALU_DEP_2) | instskip(SKIP_3) | instid1(VALU_DEP_2)
	v_add_f64 v[97:98], v[97:98], -v[99:100]
	s_waitcnt_depctr 0xfff
	v_fma_f64 v[109:110], -v[101:102], v[103:104], 1.0
	v_add_f64 v[73:74], v[73:74], -v[105:106]
	v_fma_f64 v[103:104], v[109:110], v[103:104], v[103:104]
	s_delay_alu instid0(VALU_DEP_1) | instskip(NEXT) | instid1(VALU_DEP_1)
	v_fma_f64 v[75:76], -v[101:102], v[103:104], 1.0
	v_fma_f64 v[75:76], v[75:76], v[103:104], v[103:104]
	s_delay_alu instid0(VALU_DEP_1) | instskip(NEXT) | instid1(VALU_DEP_1)
	v_mul_f64 v[103:104], v[107:108], v[75:76]
	v_mul_f64 v[109:110], v[101:102], v[103:104]
	s_delay_alu instid0(VALU_DEP_1) | instskip(NEXT) | instid1(VALU_DEP_1)
	v_fma_f64 v[99:100], v[103:104], v[101:102], -v[109:110]
	v_fma_f64 v[99:100], v[103:104], v[97:98], v[99:100]
	s_delay_alu instid0(VALU_DEP_1) | instskip(NEXT) | instid1(VALU_DEP_1)
	v_add_f64 v[111:112], v[109:110], v[99:100]
	v_add_f64 v[113:114], v[107:108], -v[111:112]
	v_add_f64 v[105:106], v[111:112], -v[109:110]
	s_delay_alu instid0(VALU_DEP_2) | instskip(NEXT) | instid1(VALU_DEP_2)
	v_add_f64 v[107:108], v[107:108], -v[113:114]
	v_add_f64 v[99:100], v[105:106], -v[99:100]
	s_delay_alu instid0(VALU_DEP_2) | instskip(NEXT) | instid1(VALU_DEP_1)
	v_add_f64 v[107:108], v[107:108], -v[111:112]
	v_add_f64 v[73:74], v[73:74], v[107:108]
	s_delay_alu instid0(VALU_DEP_1) | instskip(NEXT) | instid1(VALU_DEP_1)
	v_add_f64 v[73:74], v[99:100], v[73:74]
	v_add_f64 v[99:100], v[113:114], v[73:74]
	s_delay_alu instid0(VALU_DEP_1) | instskip(SKIP_1) | instid1(VALU_DEP_2)
	v_mul_f64 v[105:106], v[75:76], v[99:100]
	v_add_f64 v[111:112], v[113:114], -v[99:100]
	v_mul_f64 v[107:108], v[101:102], v[105:106]
	s_delay_alu instid0(VALU_DEP_2) | instskip(NEXT) | instid1(VALU_DEP_2)
	v_add_f64 v[73:74], v[73:74], v[111:112]
	v_fma_f64 v[101:102], v[105:106], v[101:102], -v[107:108]
	s_delay_alu instid0(VALU_DEP_1) | instskip(NEXT) | instid1(VALU_DEP_1)
	v_fma_f64 v[97:98], v[105:106], v[97:98], v[101:102]
	v_add_f64 v[101:102], v[107:108], v[97:98]
	s_delay_alu instid0(VALU_DEP_1) | instskip(SKIP_1) | instid1(VALU_DEP_2)
	v_add_f64 v[109:110], v[99:100], -v[101:102]
	v_add_f64 v[107:108], v[101:102], -v[107:108]
	;; [unrolled: 1-line block ×3, first 2 shown]
	s_delay_alu instid0(VALU_DEP_2) | instskip(NEXT) | instid1(VALU_DEP_2)
	v_add_f64 v[97:98], v[107:108], -v[97:98]
	v_add_f64 v[99:100], v[99:100], -v[101:102]
	s_delay_alu instid0(VALU_DEP_1) | instskip(SKIP_1) | instid1(VALU_DEP_2)
	v_add_f64 v[73:74], v[73:74], v[99:100]
	v_add_f64 v[99:100], v[103:104], v[105:106]
	;; [unrolled: 1-line block ×3, first 2 shown]
	s_delay_alu instid0(VALU_DEP_2) | instskip(NEXT) | instid1(VALU_DEP_2)
	v_add_f64 v[97:98], v[99:100], -v[103:104]
	v_add_f64 v[73:74], v[109:110], v[73:74]
	s_delay_alu instid0(VALU_DEP_2) | instskip(NEXT) | instid1(VALU_DEP_2)
	v_add_f64 v[97:98], v[105:106], -v[97:98]
	v_mul_f64 v[73:74], v[75:76], v[73:74]
	s_delay_alu instid0(VALU_DEP_1) | instskip(NEXT) | instid1(VALU_DEP_1)
	v_add_f64 v[73:74], v[97:98], v[73:74]
	v_add_f64 v[75:76], v[99:100], v[73:74]
	s_delay_alu instid0(VALU_DEP_1) | instskip(NEXT) | instid1(VALU_DEP_1)
	v_mul_f64 v[97:98], v[75:76], v[75:76]
	v_fma_f64 v[101:102], v[97:98], s[44:45], s[42:43]
	s_mov_b32 s42, 0xd7f4df2e
	s_mov_b32 s43, 0x3fc7474d
	v_mul_f64 v[103:104], v[75:76], v[97:98]
	s_delay_alu instid0(VALU_DEP_2)
	v_fma_f64 v[101:102], v[97:98], v[101:102], s[42:43]
	s_mov_b32 s42, 0x16291751
	s_mov_b32 s43, 0x3fcc71c0
	s_delay_alu instid0(VALU_DEP_1) | instid1(SALU_CYCLE_1)
	v_fma_f64 v[101:102], v[97:98], v[101:102], s[42:43]
	s_mov_b32 s42, 0x9b27acf1
	s_mov_b32 s43, 0x3fd24924
	s_delay_alu instid0(VALU_DEP_1) | instid1(SALU_CYCLE_1)
	;; [unrolled: 4-line block ×3, first 2 shown]
	v_fma_f64 v[101:102], v[97:98], v[101:102], s[42:43]
	s_delay_alu instid0(VALU_DEP_1) | instskip(SKIP_3) | instid1(VALU_DEP_4)
	v_fma_f64 v[97:98], v[97:98], v[101:102], s[0:1]
	v_ldexp_f64 v[101:102], v[75:76], 1
	v_add_f64 v[75:76], v[75:76], -v[99:100]
	v_cmp_eq_f64_e64 s0, 0x7ff00000, v[71:72]
	v_mul_f64 v[97:98], v[103:104], v[97:98]
	v_cvt_f64_i32_e32 v[103:104], v115
	s_delay_alu instid0(VALU_DEP_4) | instskip(NEXT) | instid1(VALU_DEP_3)
	v_add_f64 v[73:74], v[73:74], -v[75:76]
	v_add_f64 v[99:100], v[101:102], v[97:98]
	s_delay_alu instid0(VALU_DEP_3) | instskip(NEXT) | instid1(VALU_DEP_3)
	v_mul_f64 v[105:106], v[103:104], s[36:37]
	v_ldexp_f64 v[73:74], v[73:74], 1
	s_delay_alu instid0(VALU_DEP_3) | instskip(NEXT) | instid1(VALU_DEP_3)
	v_add_f64 v[75:76], v[99:100], -v[101:102]
	v_fma_f64 v[101:102], v[103:104], s[36:37], -v[105:106]
	s_delay_alu instid0(VALU_DEP_2) | instskip(NEXT) | instid1(VALU_DEP_2)
	v_add_f64 v[75:76], v[97:98], -v[75:76]
	v_fma_f64 v[97:98], v[103:104], s[38:39], v[101:102]
	s_delay_alu instid0(VALU_DEP_2) | instskip(NEXT) | instid1(VALU_DEP_2)
	v_add_f64 v[73:74], v[73:74], v[75:76]
	v_add_f64 v[75:76], v[105:106], v[97:98]
	s_delay_alu instid0(VALU_DEP_2) | instskip(NEXT) | instid1(VALU_DEP_2)
	v_add_f64 v[101:102], v[99:100], v[73:74]
	v_add_f64 v[105:106], v[75:76], -v[105:106]
	s_delay_alu instid0(VALU_DEP_2) | instskip(SKIP_1) | instid1(VALU_DEP_3)
	v_add_f64 v[103:104], v[75:76], v[101:102]
	v_add_f64 v[99:100], v[101:102], -v[99:100]
	v_add_f64 v[97:98], v[97:98], -v[105:106]
	s_delay_alu instid0(VALU_DEP_3) | instskip(NEXT) | instid1(VALU_DEP_3)
	v_add_f64 v[107:108], v[103:104], -v[75:76]
	v_add_f64 v[73:74], v[73:74], -v[99:100]
	s_delay_alu instid0(VALU_DEP_2) | instskip(SKIP_1) | instid1(VALU_DEP_3)
	v_add_f64 v[109:110], v[103:104], -v[107:108]
	v_add_f64 v[99:100], v[101:102], -v[107:108]
	v_add_f64 v[101:102], v[97:98], v[73:74]
	s_delay_alu instid0(VALU_DEP_3) | instskip(NEXT) | instid1(VALU_DEP_1)
	v_add_f64 v[75:76], v[75:76], -v[109:110]
	v_add_f64 v[75:76], v[99:100], v[75:76]
	s_delay_alu instid0(VALU_DEP_3) | instskip(NEXT) | instid1(VALU_DEP_2)
	v_add_f64 v[99:100], v[101:102], -v[97:98]
	v_add_f64 v[75:76], v[101:102], v[75:76]
	s_delay_alu instid0(VALU_DEP_2) | instskip(SKIP_1) | instid1(VALU_DEP_3)
	v_add_f64 v[101:102], v[101:102], -v[99:100]
	v_add_f64 v[73:74], v[73:74], -v[99:100]
	v_add_f64 v[105:106], v[103:104], v[75:76]
	s_delay_alu instid0(VALU_DEP_3) | instskip(NEXT) | instid1(VALU_DEP_2)
	v_add_f64 v[97:98], v[97:98], -v[101:102]
	v_add_f64 v[99:100], v[105:106], -v[103:104]
	s_delay_alu instid0(VALU_DEP_2) | instskip(NEXT) | instid1(VALU_DEP_2)
	v_add_f64 v[73:74], v[73:74], v[97:98]
	v_add_f64 v[75:76], v[75:76], -v[99:100]
	s_delay_alu instid0(VALU_DEP_1) | instskip(NEXT) | instid1(VALU_DEP_1)
	v_add_f64 v[73:74], v[73:74], v[75:76]
	v_add_f64 v[73:74], v[105:106], v[73:74]
	s_delay_alu instid0(VALU_DEP_1) | instskip(NEXT) | instid1(VALU_DEP_2)
	v_cndmask_b32_e64 v73, v73, v71, s0
	v_cndmask_b32_e64 v74, v74, v72, s0
	v_cmp_ngt_f64_e64 s0, -1.0, v[71:72]
	s_delay_alu instid0(VALU_DEP_1) | instskip(SKIP_1) | instid1(VALU_DEP_1)
	v_cndmask_b32_e64 v74, 0x7ff80000, v74, s0
	v_cmp_nge_f64_e64 s0, -1.0, v[71:72]
	v_cndmask_b32_e64 v73, 0, v73, s0
	v_cmp_neq_f64_e64 s0, -1.0, v[71:72]
	s_delay_alu instid0(VALU_DEP_1) | instskip(NEXT) | instid1(VALU_DEP_1)
	v_cndmask_b32_e64 v74, 0xfff00000, v74, s0
	v_add_f64 v[71:72], v[69:70], v[73:74]
.LBB46_81:
	s_or_b32 exec_lo, exec_lo, s41
	s_delay_alu instid0(VALU_DEP_1)
	v_dual_mov_b32 v69, v71 :: v_dual_mov_b32 v70, v72
.LBB46_82:
	s_or_b32 exec_lo, exec_lo, s40
	s_waitcnt lgkmcnt(0)
	v_or_b32_e32 v71, 31, v0
	s_mov_b32 s1, exec_lo
	s_delay_alu instid0(VALU_DEP_1)
	v_cmpx_eq_u32_e64 v71, v0
	s_cbranch_execz .LBB46_84
; %bb.83:
	ds_store_b64 v95, v[69:70]
.LBB46_84:
	s_or_b32 exec_lo, exec_lo, s1
	s_delay_alu instid0(SALU_CYCLE_1)
	s_mov_b32 s40, exec_lo
	s_waitcnt lgkmcnt(0)
	s_barrier
	buffer_gl0_inv
	v_cmpx_gt_u32_e32 8, v0
	s_cbranch_execz .LBB46_98
; %bb.85:
	ds_load_b64 v[71:72], v77
	v_and_b32_e32 v97, 7, v96
	s_mov_b32 s41, exec_lo
	s_waitcnt lgkmcnt(0)
	v_mov_b32_e32 v76, v72
	v_mov_b32_dpp v73, v71 row_shr:1 row_mask:0xf bank_mask:0xf
	v_mov_b32_dpp v74, v72 row_shr:1 row_mask:0xf bank_mask:0xf
	v_mov_b32_e32 v75, v71
	v_cmpx_ne_u32_e32 0, v97
	s_cbranch_execz .LBB46_89
; %bb.86:
	s_delay_alu instid0(VALU_DEP_3) | instskip(SKIP_3) | instid1(VALU_DEP_3)
	v_max_f64 v[75:76], v[73:74], v[73:74]
	v_max_f64 v[98:99], v[71:72], v[71:72]
	v_cmp_u_f64_e64 s0, v[73:74], v[73:74]
	v_cmp_u_f64_e64 s1, v[71:72], v[71:72]
	v_min_f64 v[100:101], v[75:76], v[98:99]
	v_max_f64 v[75:76], v[75:76], v[98:99]
	s_delay_alu instid0(VALU_DEP_2) | instskip(NEXT) | instid1(VALU_DEP_3)
	v_cndmask_b32_e64 v98, v100, v73, s0
	v_cndmask_b32_e64 v99, v101, v74, s0
	s_delay_alu instid0(VALU_DEP_3) | instskip(NEXT) | instid1(VALU_DEP_4)
	v_cndmask_b32_e64 v100, v76, v74, s0
	v_cndmask_b32_e64 v101, v75, v73, s0
	s_delay_alu instid0(VALU_DEP_4) | instskip(NEXT) | instid1(VALU_DEP_4)
	v_cndmask_b32_e64 v75, v98, v71, s1
	v_cndmask_b32_e64 v76, v99, v72, s1
	s_delay_alu instid0(VALU_DEP_4) | instskip(NEXT) | instid1(VALU_DEP_4)
	v_cndmask_b32_e64 v72, v100, v72, s1
	v_cndmask_b32_e64 v71, v101, v71, s1
	s_delay_alu instid0(VALU_DEP_3) | instskip(NEXT) | instid1(VALU_DEP_2)
	v_cmp_class_f64_e64 s1, v[75:76], 0x1f8
	v_cmp_neq_f64_e64 s0, v[75:76], v[71:72]
	s_delay_alu instid0(VALU_DEP_1) | instskip(NEXT) | instid1(SALU_CYCLE_1)
	s_or_b32 s0, s0, s1
	s_and_saveexec_b32 s42, s0
	s_cbranch_execz .LBB46_88
; %bb.87:
	v_add_f64 v[73:74], v[75:76], -v[71:72]
	s_mov_b32 s0, 0x652b82fe
	s_mov_b32 s1, 0x3ff71547
	;; [unrolled: 1-line block ×10, first 2 shown]
	s_delay_alu instid0(VALU_DEP_1) | instskip(SKIP_2) | instid1(VALU_DEP_1)
	v_mul_f64 v[75:76], v[73:74], s[0:1]
	s_mov_b32 s0, 0xfca7ab0c
	s_mov_b32 s1, 0x3e928af3
	v_rndne_f64_e32 v[75:76], v[75:76]
	s_delay_alu instid0(VALU_DEP_1) | instskip(SKIP_2) | instid1(VALU_DEP_2)
	v_fma_f64 v[98:99], v[75:76], s[36:37], v[73:74]
	v_cvt_i32_f64_e32 v102, v[75:76]
	s_mov_b32 s37, 0x3fe62e42
	v_fma_f64 v[98:99], v[75:76], s[38:39], v[98:99]
	s_mov_b32 s39, 0x3c7abc9e
	s_delay_alu instid0(VALU_DEP_1) | instskip(SKIP_4) | instid1(VALU_DEP_1)
	v_fma_f64 v[100:101], v[98:99], s[44:45], s[0:1]
	s_mov_b32 s0, 0x623fde64
	s_mov_b32 s1, 0x3ec71dee
	;; [unrolled: 1-line block ×4, first 2 shown]
	v_fma_f64 v[100:101], v[98:99], v[100:101], s[0:1]
	s_mov_b32 s0, 0x7c89e6b0
	s_mov_b32 s1, 0x3efa0199
	s_delay_alu instid0(VALU_DEP_1) | instid1(SALU_CYCLE_1)
	v_fma_f64 v[100:101], v[98:99], v[100:101], s[0:1]
	s_mov_b32 s0, 0x14761f6e
	s_mov_b32 s1, 0x3f2a01a0
	s_delay_alu instid0(VALU_DEP_1) | instid1(SALU_CYCLE_1)
	;; [unrolled: 4-line block ×7, first 2 shown]
	v_fma_f64 v[100:101], v[98:99], v[100:101], s[0:1]
	v_cmp_nlt_f64_e64 s0, 0x40900000, v[73:74]
	v_cmp_ngt_f64_e64 s1, 0xc090cc00, v[73:74]
	s_delay_alu instid0(VALU_DEP_3) | instskip(NEXT) | instid1(VALU_DEP_1)
	v_fma_f64 v[100:101], v[98:99], v[100:101], 1.0
	v_fma_f64 v[75:76], v[98:99], v[100:101], 1.0
	s_delay_alu instid0(VALU_DEP_1) | instskip(NEXT) | instid1(VALU_DEP_1)
	v_ldexp_f64 v[75:76], v[75:76], v102
	v_cndmask_b32_e64 v76, 0x7ff00000, v76, s0
	s_and_b32 s0, s1, s0
	s_delay_alu instid0(VALU_DEP_2) | instid1(SALU_CYCLE_1)
	v_cndmask_b32_e64 v73, 0, v75, s0
	s_mov_b32 s0, 0x55555555
	s_delay_alu instid0(VALU_DEP_2) | instskip(SKIP_1) | instid1(VALU_DEP_1)
	v_cndmask_b32_e64 v74, 0, v76, s1
	s_mov_b32 s1, 0x3fe55555
	v_add_f64 v[75:76], v[73:74], 1.0
	s_delay_alu instid0(VALU_DEP_1) | instskip(SKIP_2) | instid1(VALU_DEP_3)
	v_frexp_mant_f64_e32 v[98:99], v[75:76]
	v_frexp_exp_i32_f64_e32 v102, v[75:76]
	v_add_f64 v[100:101], v[75:76], -1.0
	v_cmp_gt_f64_e64 s0, s[0:1], v[98:99]
	s_delay_alu instid0(VALU_DEP_2) | instskip(SKIP_1) | instid1(VALU_DEP_3)
	v_add_f64 v[98:99], v[100:101], -v[75:76]
	v_add_f64 v[100:101], v[73:74], -v[100:101]
	v_subrev_co_ci_u32_e64 v118, s0, 0, v102, s0
	s_delay_alu instid0(VALU_DEP_3) | instskip(SKIP_1) | instid1(VALU_DEP_2)
	v_add_f64 v[98:99], v[98:99], 1.0
	s_mov_b32 s0, 0x55555780
	v_sub_nc_u32_e32 v104, 0, v118
	s_delay_alu instid0(VALU_DEP_1) | instskip(NEXT) | instid1(VALU_DEP_3)
	v_ldexp_f64 v[75:76], v[75:76], v104
	v_add_f64 v[98:99], v[100:101], v[98:99]
	s_delay_alu instid0(VALU_DEP_2) | instskip(SKIP_1) | instid1(VALU_DEP_3)
	v_add_f64 v[102:103], v[75:76], 1.0
	v_add_f64 v[108:109], v[75:76], -1.0
	v_ldexp_f64 v[98:99], v[98:99], v104
	s_delay_alu instid0(VALU_DEP_3) | instskip(NEXT) | instid1(VALU_DEP_3)
	v_add_f64 v[100:101], v[102:103], -1.0
	v_add_f64 v[110:111], v[108:109], 1.0
	s_delay_alu instid0(VALU_DEP_2) | instskip(NEXT) | instid1(VALU_DEP_2)
	v_add_f64 v[100:101], v[75:76], -v[100:101]
	v_add_f64 v[75:76], v[75:76], -v[110:111]
	s_delay_alu instid0(VALU_DEP_2) | instskip(NEXT) | instid1(VALU_DEP_2)
	v_add_f64 v[100:101], v[98:99], v[100:101]
	v_add_f64 v[75:76], v[98:99], v[75:76]
	s_delay_alu instid0(VALU_DEP_2) | instskip(NEXT) | instid1(VALU_DEP_2)
	v_add_f64 v[104:105], v[102:103], v[100:101]
	v_add_f64 v[110:111], v[108:109], v[75:76]
	s_delay_alu instid0(VALU_DEP_2) | instskip(SKIP_1) | instid1(VALU_DEP_2)
	v_rcp_f64_e32 v[106:107], v[104:105]
	v_add_f64 v[102:103], v[104:105], -v[102:103]
	v_add_f64 v[108:109], v[110:111], -v[108:109]
	s_delay_alu instid0(VALU_DEP_2) | instskip(SKIP_3) | instid1(VALU_DEP_2)
	v_add_f64 v[100:101], v[100:101], -v[102:103]
	s_waitcnt_depctr 0xfff
	v_fma_f64 v[112:113], -v[104:105], v[106:107], 1.0
	v_add_f64 v[75:76], v[75:76], -v[108:109]
	v_fma_f64 v[106:107], v[112:113], v[106:107], v[106:107]
	s_delay_alu instid0(VALU_DEP_1) | instskip(NEXT) | instid1(VALU_DEP_1)
	v_fma_f64 v[98:99], -v[104:105], v[106:107], 1.0
	v_fma_f64 v[98:99], v[98:99], v[106:107], v[106:107]
	s_delay_alu instid0(VALU_DEP_1) | instskip(NEXT) | instid1(VALU_DEP_1)
	v_mul_f64 v[106:107], v[110:111], v[98:99]
	v_mul_f64 v[112:113], v[104:105], v[106:107]
	s_delay_alu instid0(VALU_DEP_1) | instskip(NEXT) | instid1(VALU_DEP_1)
	v_fma_f64 v[102:103], v[106:107], v[104:105], -v[112:113]
	v_fma_f64 v[102:103], v[106:107], v[100:101], v[102:103]
	s_delay_alu instid0(VALU_DEP_1) | instskip(NEXT) | instid1(VALU_DEP_1)
	v_add_f64 v[114:115], v[112:113], v[102:103]
	v_add_f64 v[116:117], v[110:111], -v[114:115]
	v_add_f64 v[108:109], v[114:115], -v[112:113]
	s_delay_alu instid0(VALU_DEP_2) | instskip(NEXT) | instid1(VALU_DEP_2)
	v_add_f64 v[110:111], v[110:111], -v[116:117]
	v_add_f64 v[102:103], v[108:109], -v[102:103]
	s_delay_alu instid0(VALU_DEP_2) | instskip(NEXT) | instid1(VALU_DEP_1)
	v_add_f64 v[110:111], v[110:111], -v[114:115]
	v_add_f64 v[75:76], v[75:76], v[110:111]
	s_delay_alu instid0(VALU_DEP_1) | instskip(NEXT) | instid1(VALU_DEP_1)
	v_add_f64 v[75:76], v[102:103], v[75:76]
	v_add_f64 v[102:103], v[116:117], v[75:76]
	s_delay_alu instid0(VALU_DEP_1) | instskip(SKIP_1) | instid1(VALU_DEP_2)
	v_mul_f64 v[108:109], v[98:99], v[102:103]
	v_add_f64 v[114:115], v[116:117], -v[102:103]
	v_mul_f64 v[110:111], v[104:105], v[108:109]
	s_delay_alu instid0(VALU_DEP_2) | instskip(NEXT) | instid1(VALU_DEP_2)
	v_add_f64 v[75:76], v[75:76], v[114:115]
	v_fma_f64 v[104:105], v[108:109], v[104:105], -v[110:111]
	s_delay_alu instid0(VALU_DEP_1) | instskip(NEXT) | instid1(VALU_DEP_1)
	v_fma_f64 v[100:101], v[108:109], v[100:101], v[104:105]
	v_add_f64 v[104:105], v[110:111], v[100:101]
	s_delay_alu instid0(VALU_DEP_1) | instskip(SKIP_1) | instid1(VALU_DEP_2)
	v_add_f64 v[112:113], v[102:103], -v[104:105]
	v_add_f64 v[110:111], v[104:105], -v[110:111]
	;; [unrolled: 1-line block ×3, first 2 shown]
	s_delay_alu instid0(VALU_DEP_2) | instskip(NEXT) | instid1(VALU_DEP_2)
	v_add_f64 v[100:101], v[110:111], -v[100:101]
	v_add_f64 v[102:103], v[102:103], -v[104:105]
	s_delay_alu instid0(VALU_DEP_1) | instskip(SKIP_1) | instid1(VALU_DEP_2)
	v_add_f64 v[75:76], v[75:76], v[102:103]
	v_add_f64 v[102:103], v[106:107], v[108:109]
	;; [unrolled: 1-line block ×3, first 2 shown]
	s_delay_alu instid0(VALU_DEP_2) | instskip(NEXT) | instid1(VALU_DEP_2)
	v_add_f64 v[100:101], v[102:103], -v[106:107]
	v_add_f64 v[75:76], v[112:113], v[75:76]
	s_delay_alu instid0(VALU_DEP_2) | instskip(NEXT) | instid1(VALU_DEP_2)
	v_add_f64 v[100:101], v[108:109], -v[100:101]
	v_mul_f64 v[75:76], v[98:99], v[75:76]
	s_delay_alu instid0(VALU_DEP_1) | instskip(NEXT) | instid1(VALU_DEP_1)
	v_add_f64 v[75:76], v[100:101], v[75:76]
	v_add_f64 v[98:99], v[102:103], v[75:76]
	s_delay_alu instid0(VALU_DEP_1) | instskip(NEXT) | instid1(VALU_DEP_1)
	v_mul_f64 v[100:101], v[98:99], v[98:99]
	v_fma_f64 v[104:105], v[100:101], s[46:47], s[44:45]
	s_mov_b32 s44, 0xd7f4df2e
	s_mov_b32 s45, 0x3fc7474d
	v_mul_f64 v[106:107], v[98:99], v[100:101]
	s_delay_alu instid0(VALU_DEP_2)
	v_fma_f64 v[104:105], v[100:101], v[104:105], s[44:45]
	s_mov_b32 s44, 0x16291751
	s_mov_b32 s45, 0x3fcc71c0
	s_delay_alu instid0(VALU_DEP_1) | instid1(SALU_CYCLE_1)
	v_fma_f64 v[104:105], v[100:101], v[104:105], s[44:45]
	s_mov_b32 s44, 0x9b27acf1
	s_mov_b32 s45, 0x3fd24924
	s_delay_alu instid0(VALU_DEP_1) | instid1(SALU_CYCLE_1)
	;; [unrolled: 4-line block ×3, first 2 shown]
	v_fma_f64 v[104:105], v[100:101], v[104:105], s[44:45]
	s_delay_alu instid0(VALU_DEP_1) | instskip(SKIP_3) | instid1(VALU_DEP_4)
	v_fma_f64 v[100:101], v[100:101], v[104:105], s[0:1]
	v_ldexp_f64 v[104:105], v[98:99], 1
	v_add_f64 v[98:99], v[98:99], -v[102:103]
	v_cmp_eq_f64_e64 s0, 0x7ff00000, v[73:74]
	v_mul_f64 v[100:101], v[106:107], v[100:101]
	v_cvt_f64_i32_e32 v[106:107], v118
	s_delay_alu instid0(VALU_DEP_4) | instskip(NEXT) | instid1(VALU_DEP_3)
	v_add_f64 v[75:76], v[75:76], -v[98:99]
	v_add_f64 v[102:103], v[104:105], v[100:101]
	s_delay_alu instid0(VALU_DEP_3) | instskip(NEXT) | instid1(VALU_DEP_3)
	v_mul_f64 v[108:109], v[106:107], s[36:37]
	v_ldexp_f64 v[75:76], v[75:76], 1
	s_delay_alu instid0(VALU_DEP_3) | instskip(NEXT) | instid1(VALU_DEP_3)
	v_add_f64 v[98:99], v[102:103], -v[104:105]
	v_fma_f64 v[104:105], v[106:107], s[36:37], -v[108:109]
	s_delay_alu instid0(VALU_DEP_2) | instskip(NEXT) | instid1(VALU_DEP_2)
	v_add_f64 v[98:99], v[100:101], -v[98:99]
	v_fma_f64 v[100:101], v[106:107], s[38:39], v[104:105]
	s_delay_alu instid0(VALU_DEP_2) | instskip(NEXT) | instid1(VALU_DEP_2)
	v_add_f64 v[75:76], v[75:76], v[98:99]
	v_add_f64 v[98:99], v[108:109], v[100:101]
	s_delay_alu instid0(VALU_DEP_2) | instskip(NEXT) | instid1(VALU_DEP_2)
	v_add_f64 v[104:105], v[102:103], v[75:76]
	v_add_f64 v[108:109], v[98:99], -v[108:109]
	s_delay_alu instid0(VALU_DEP_2) | instskip(SKIP_1) | instid1(VALU_DEP_3)
	v_add_f64 v[106:107], v[98:99], v[104:105]
	v_add_f64 v[102:103], v[104:105], -v[102:103]
	v_add_f64 v[100:101], v[100:101], -v[108:109]
	s_delay_alu instid0(VALU_DEP_3) | instskip(NEXT) | instid1(VALU_DEP_3)
	v_add_f64 v[110:111], v[106:107], -v[98:99]
	v_add_f64 v[75:76], v[75:76], -v[102:103]
	s_delay_alu instid0(VALU_DEP_2) | instskip(SKIP_1) | instid1(VALU_DEP_3)
	v_add_f64 v[112:113], v[106:107], -v[110:111]
	v_add_f64 v[102:103], v[104:105], -v[110:111]
	v_add_f64 v[104:105], v[100:101], v[75:76]
	s_delay_alu instid0(VALU_DEP_3) | instskip(NEXT) | instid1(VALU_DEP_1)
	v_add_f64 v[98:99], v[98:99], -v[112:113]
	v_add_f64 v[98:99], v[102:103], v[98:99]
	s_delay_alu instid0(VALU_DEP_3) | instskip(NEXT) | instid1(VALU_DEP_2)
	v_add_f64 v[102:103], v[104:105], -v[100:101]
	v_add_f64 v[98:99], v[104:105], v[98:99]
	s_delay_alu instid0(VALU_DEP_2) | instskip(SKIP_1) | instid1(VALU_DEP_3)
	v_add_f64 v[104:105], v[104:105], -v[102:103]
	v_add_f64 v[75:76], v[75:76], -v[102:103]
	v_add_f64 v[108:109], v[106:107], v[98:99]
	s_delay_alu instid0(VALU_DEP_3) | instskip(NEXT) | instid1(VALU_DEP_2)
	v_add_f64 v[100:101], v[100:101], -v[104:105]
	v_add_f64 v[102:103], v[108:109], -v[106:107]
	s_delay_alu instid0(VALU_DEP_2) | instskip(NEXT) | instid1(VALU_DEP_2)
	v_add_f64 v[75:76], v[75:76], v[100:101]
	v_add_f64 v[98:99], v[98:99], -v[102:103]
	s_delay_alu instid0(VALU_DEP_1) | instskip(NEXT) | instid1(VALU_DEP_1)
	v_add_f64 v[75:76], v[75:76], v[98:99]
	v_add_f64 v[75:76], v[108:109], v[75:76]
	s_delay_alu instid0(VALU_DEP_1) | instskip(NEXT) | instid1(VALU_DEP_2)
	v_cndmask_b32_e64 v75, v75, v73, s0
	v_cndmask_b32_e64 v76, v76, v74, s0
	v_cmp_ngt_f64_e64 s0, -1.0, v[73:74]
	s_delay_alu instid0(VALU_DEP_1) | instskip(SKIP_1) | instid1(VALU_DEP_1)
	v_cndmask_b32_e64 v76, 0x7ff80000, v76, s0
	v_cmp_nge_f64_e64 s0, -1.0, v[73:74]
	v_cndmask_b32_e64 v75, 0, v75, s0
	v_cmp_neq_f64_e64 s0, -1.0, v[73:74]
	s_delay_alu instid0(VALU_DEP_1) | instskip(NEXT) | instid1(VALU_DEP_1)
	v_cndmask_b32_e64 v76, 0xfff00000, v76, s0
	v_add_f64 v[73:74], v[71:72], v[75:76]
.LBB46_88:
	s_or_b32 exec_lo, exec_lo, s42
	s_delay_alu instid0(VALU_DEP_1)
	v_dual_mov_b32 v75, v73 :: v_dual_mov_b32 v76, v74
	v_dual_mov_b32 v71, v73 :: v_dual_mov_b32 v72, v74
.LBB46_89:
	s_or_b32 exec_lo, exec_lo, s41
	s_delay_alu instid0(VALU_DEP_2) | instskip(NEXT) | instid1(VALU_DEP_3)
	v_mov_b32_dpp v73, v75 row_shr:2 row_mask:0xf bank_mask:0xf
	v_mov_b32_dpp v74, v76 row_shr:2 row_mask:0xf bank_mask:0xf
	s_mov_b32 s41, exec_lo
	v_cmpx_lt_u32_e32 1, v97
	s_cbranch_execz .LBB46_93
; %bb.90:
	s_delay_alu instid0(VALU_DEP_2) | instskip(SKIP_3) | instid1(VALU_DEP_3)
	v_max_f64 v[75:76], v[73:74], v[73:74]
	v_max_f64 v[98:99], v[71:72], v[71:72]
	v_cmp_u_f64_e64 s0, v[73:74], v[73:74]
	v_cmp_u_f64_e64 s1, v[71:72], v[71:72]
	v_min_f64 v[100:101], v[75:76], v[98:99]
	v_max_f64 v[75:76], v[75:76], v[98:99]
	s_delay_alu instid0(VALU_DEP_2) | instskip(NEXT) | instid1(VALU_DEP_3)
	v_cndmask_b32_e64 v98, v100, v73, s0
	v_cndmask_b32_e64 v99, v101, v74, s0
	s_delay_alu instid0(VALU_DEP_3) | instskip(NEXT) | instid1(VALU_DEP_4)
	v_cndmask_b32_e64 v100, v76, v74, s0
	v_cndmask_b32_e64 v101, v75, v73, s0
	s_delay_alu instid0(VALU_DEP_4) | instskip(NEXT) | instid1(VALU_DEP_4)
	v_cndmask_b32_e64 v75, v98, v71, s1
	v_cndmask_b32_e64 v76, v99, v72, s1
	s_delay_alu instid0(VALU_DEP_4) | instskip(NEXT) | instid1(VALU_DEP_4)
	v_cndmask_b32_e64 v72, v100, v72, s1
	v_cndmask_b32_e64 v71, v101, v71, s1
	s_delay_alu instid0(VALU_DEP_3) | instskip(NEXT) | instid1(VALU_DEP_2)
	v_cmp_class_f64_e64 s1, v[75:76], 0x1f8
	v_cmp_neq_f64_e64 s0, v[75:76], v[71:72]
	s_delay_alu instid0(VALU_DEP_1) | instskip(NEXT) | instid1(SALU_CYCLE_1)
	s_or_b32 s0, s0, s1
	s_and_saveexec_b32 s42, s0
	s_cbranch_execz .LBB46_92
; %bb.91:
	v_add_f64 v[73:74], v[75:76], -v[71:72]
	s_mov_b32 s0, 0x652b82fe
	s_mov_b32 s1, 0x3ff71547
	;; [unrolled: 1-line block ×10, first 2 shown]
	s_delay_alu instid0(VALU_DEP_1) | instskip(SKIP_2) | instid1(VALU_DEP_1)
	v_mul_f64 v[75:76], v[73:74], s[0:1]
	s_mov_b32 s0, 0xfca7ab0c
	s_mov_b32 s1, 0x3e928af3
	v_rndne_f64_e32 v[75:76], v[75:76]
	s_delay_alu instid0(VALU_DEP_1) | instskip(SKIP_2) | instid1(VALU_DEP_2)
	v_fma_f64 v[98:99], v[75:76], s[36:37], v[73:74]
	v_cvt_i32_f64_e32 v102, v[75:76]
	s_mov_b32 s37, 0x3fe62e42
	v_fma_f64 v[98:99], v[75:76], s[38:39], v[98:99]
	s_mov_b32 s39, 0x3c7abc9e
	s_delay_alu instid0(VALU_DEP_1) | instskip(SKIP_4) | instid1(VALU_DEP_1)
	v_fma_f64 v[100:101], v[98:99], s[44:45], s[0:1]
	s_mov_b32 s0, 0x623fde64
	s_mov_b32 s1, 0x3ec71dee
	;; [unrolled: 1-line block ×4, first 2 shown]
	v_fma_f64 v[100:101], v[98:99], v[100:101], s[0:1]
	s_mov_b32 s0, 0x7c89e6b0
	s_mov_b32 s1, 0x3efa0199
	s_delay_alu instid0(VALU_DEP_1) | instid1(SALU_CYCLE_1)
	v_fma_f64 v[100:101], v[98:99], v[100:101], s[0:1]
	s_mov_b32 s0, 0x14761f6e
	s_mov_b32 s1, 0x3f2a01a0
	s_delay_alu instid0(VALU_DEP_1) | instid1(SALU_CYCLE_1)
	v_fma_f64 v[100:101], v[98:99], v[100:101], s[0:1]
	s_mov_b32 s0, 0x1852b7b0
	s_mov_b32 s1, 0x3f56c16c
	s_delay_alu instid0(VALU_DEP_1) | instid1(SALU_CYCLE_1)
	v_fma_f64 v[100:101], v[98:99], v[100:101], s[0:1]
	s_mov_b32 s0, 0x11122322
	s_mov_b32 s1, 0x3f811111
	s_delay_alu instid0(VALU_DEP_1) | instid1(SALU_CYCLE_1)
	v_fma_f64 v[100:101], v[98:99], v[100:101], s[0:1]
	s_mov_b32 s0, 0x555502a1
	s_mov_b32 s1, 0x3fa55555
	s_delay_alu instid0(VALU_DEP_1) | instid1(SALU_CYCLE_1)
	v_fma_f64 v[100:101], v[98:99], v[100:101], s[0:1]
	s_mov_b32 s0, 0x55555511
	s_mov_b32 s1, 0x3fc55555
	s_delay_alu instid0(VALU_DEP_1) | instid1(SALU_CYCLE_1)
	v_fma_f64 v[100:101], v[98:99], v[100:101], s[0:1]
	s_mov_b32 s0, 11
	s_mov_b32 s1, 0x3fe00000
	s_delay_alu instid0(VALU_DEP_1) | instid1(SALU_CYCLE_1)
	v_fma_f64 v[100:101], v[98:99], v[100:101], s[0:1]
	v_cmp_nlt_f64_e64 s0, 0x40900000, v[73:74]
	v_cmp_ngt_f64_e64 s1, 0xc090cc00, v[73:74]
	s_delay_alu instid0(VALU_DEP_3) | instskip(NEXT) | instid1(VALU_DEP_1)
	v_fma_f64 v[100:101], v[98:99], v[100:101], 1.0
	v_fma_f64 v[75:76], v[98:99], v[100:101], 1.0
	s_delay_alu instid0(VALU_DEP_1) | instskip(NEXT) | instid1(VALU_DEP_1)
	v_ldexp_f64 v[75:76], v[75:76], v102
	v_cndmask_b32_e64 v76, 0x7ff00000, v76, s0
	s_and_b32 s0, s1, s0
	s_delay_alu instid0(VALU_DEP_2) | instid1(SALU_CYCLE_1)
	v_cndmask_b32_e64 v73, 0, v75, s0
	s_mov_b32 s0, 0x55555555
	s_delay_alu instid0(VALU_DEP_2) | instskip(SKIP_1) | instid1(VALU_DEP_1)
	v_cndmask_b32_e64 v74, 0, v76, s1
	s_mov_b32 s1, 0x3fe55555
	v_add_f64 v[75:76], v[73:74], 1.0
	s_delay_alu instid0(VALU_DEP_1) | instskip(SKIP_2) | instid1(VALU_DEP_3)
	v_frexp_mant_f64_e32 v[98:99], v[75:76]
	v_frexp_exp_i32_f64_e32 v102, v[75:76]
	v_add_f64 v[100:101], v[75:76], -1.0
	v_cmp_gt_f64_e64 s0, s[0:1], v[98:99]
	s_delay_alu instid0(VALU_DEP_2) | instskip(SKIP_1) | instid1(VALU_DEP_3)
	v_add_f64 v[98:99], v[100:101], -v[75:76]
	v_add_f64 v[100:101], v[73:74], -v[100:101]
	v_subrev_co_ci_u32_e64 v118, s0, 0, v102, s0
	s_delay_alu instid0(VALU_DEP_3) | instskip(SKIP_1) | instid1(VALU_DEP_2)
	v_add_f64 v[98:99], v[98:99], 1.0
	s_mov_b32 s0, 0x55555780
	v_sub_nc_u32_e32 v104, 0, v118
	s_delay_alu instid0(VALU_DEP_1) | instskip(NEXT) | instid1(VALU_DEP_3)
	v_ldexp_f64 v[75:76], v[75:76], v104
	v_add_f64 v[98:99], v[100:101], v[98:99]
	s_delay_alu instid0(VALU_DEP_2) | instskip(SKIP_1) | instid1(VALU_DEP_3)
	v_add_f64 v[102:103], v[75:76], 1.0
	v_add_f64 v[108:109], v[75:76], -1.0
	v_ldexp_f64 v[98:99], v[98:99], v104
	s_delay_alu instid0(VALU_DEP_3) | instskip(NEXT) | instid1(VALU_DEP_3)
	v_add_f64 v[100:101], v[102:103], -1.0
	v_add_f64 v[110:111], v[108:109], 1.0
	s_delay_alu instid0(VALU_DEP_2) | instskip(NEXT) | instid1(VALU_DEP_2)
	v_add_f64 v[100:101], v[75:76], -v[100:101]
	v_add_f64 v[75:76], v[75:76], -v[110:111]
	s_delay_alu instid0(VALU_DEP_2) | instskip(NEXT) | instid1(VALU_DEP_2)
	v_add_f64 v[100:101], v[98:99], v[100:101]
	v_add_f64 v[75:76], v[98:99], v[75:76]
	s_delay_alu instid0(VALU_DEP_2) | instskip(NEXT) | instid1(VALU_DEP_2)
	v_add_f64 v[104:105], v[102:103], v[100:101]
	v_add_f64 v[110:111], v[108:109], v[75:76]
	s_delay_alu instid0(VALU_DEP_2) | instskip(SKIP_1) | instid1(VALU_DEP_2)
	v_rcp_f64_e32 v[106:107], v[104:105]
	v_add_f64 v[102:103], v[104:105], -v[102:103]
	v_add_f64 v[108:109], v[110:111], -v[108:109]
	s_delay_alu instid0(VALU_DEP_2) | instskip(SKIP_3) | instid1(VALU_DEP_2)
	v_add_f64 v[100:101], v[100:101], -v[102:103]
	s_waitcnt_depctr 0xfff
	v_fma_f64 v[112:113], -v[104:105], v[106:107], 1.0
	v_add_f64 v[75:76], v[75:76], -v[108:109]
	v_fma_f64 v[106:107], v[112:113], v[106:107], v[106:107]
	s_delay_alu instid0(VALU_DEP_1) | instskip(NEXT) | instid1(VALU_DEP_1)
	v_fma_f64 v[98:99], -v[104:105], v[106:107], 1.0
	v_fma_f64 v[98:99], v[98:99], v[106:107], v[106:107]
	s_delay_alu instid0(VALU_DEP_1) | instskip(NEXT) | instid1(VALU_DEP_1)
	v_mul_f64 v[106:107], v[110:111], v[98:99]
	v_mul_f64 v[112:113], v[104:105], v[106:107]
	s_delay_alu instid0(VALU_DEP_1) | instskip(NEXT) | instid1(VALU_DEP_1)
	v_fma_f64 v[102:103], v[106:107], v[104:105], -v[112:113]
	v_fma_f64 v[102:103], v[106:107], v[100:101], v[102:103]
	s_delay_alu instid0(VALU_DEP_1) | instskip(NEXT) | instid1(VALU_DEP_1)
	v_add_f64 v[114:115], v[112:113], v[102:103]
	v_add_f64 v[116:117], v[110:111], -v[114:115]
	v_add_f64 v[108:109], v[114:115], -v[112:113]
	s_delay_alu instid0(VALU_DEP_2) | instskip(NEXT) | instid1(VALU_DEP_2)
	v_add_f64 v[110:111], v[110:111], -v[116:117]
	v_add_f64 v[102:103], v[108:109], -v[102:103]
	s_delay_alu instid0(VALU_DEP_2) | instskip(NEXT) | instid1(VALU_DEP_1)
	v_add_f64 v[110:111], v[110:111], -v[114:115]
	v_add_f64 v[75:76], v[75:76], v[110:111]
	s_delay_alu instid0(VALU_DEP_1) | instskip(NEXT) | instid1(VALU_DEP_1)
	v_add_f64 v[75:76], v[102:103], v[75:76]
	v_add_f64 v[102:103], v[116:117], v[75:76]
	s_delay_alu instid0(VALU_DEP_1) | instskip(SKIP_1) | instid1(VALU_DEP_2)
	v_mul_f64 v[108:109], v[98:99], v[102:103]
	v_add_f64 v[114:115], v[116:117], -v[102:103]
	v_mul_f64 v[110:111], v[104:105], v[108:109]
	s_delay_alu instid0(VALU_DEP_2) | instskip(NEXT) | instid1(VALU_DEP_2)
	v_add_f64 v[75:76], v[75:76], v[114:115]
	v_fma_f64 v[104:105], v[108:109], v[104:105], -v[110:111]
	s_delay_alu instid0(VALU_DEP_1) | instskip(NEXT) | instid1(VALU_DEP_1)
	v_fma_f64 v[100:101], v[108:109], v[100:101], v[104:105]
	v_add_f64 v[104:105], v[110:111], v[100:101]
	s_delay_alu instid0(VALU_DEP_1) | instskip(SKIP_1) | instid1(VALU_DEP_2)
	v_add_f64 v[112:113], v[102:103], -v[104:105]
	v_add_f64 v[110:111], v[104:105], -v[110:111]
	;; [unrolled: 1-line block ×3, first 2 shown]
	s_delay_alu instid0(VALU_DEP_2) | instskip(NEXT) | instid1(VALU_DEP_2)
	v_add_f64 v[100:101], v[110:111], -v[100:101]
	v_add_f64 v[102:103], v[102:103], -v[104:105]
	s_delay_alu instid0(VALU_DEP_1) | instskip(SKIP_1) | instid1(VALU_DEP_2)
	v_add_f64 v[75:76], v[75:76], v[102:103]
	v_add_f64 v[102:103], v[106:107], v[108:109]
	;; [unrolled: 1-line block ×3, first 2 shown]
	s_delay_alu instid0(VALU_DEP_2) | instskip(NEXT) | instid1(VALU_DEP_2)
	v_add_f64 v[100:101], v[102:103], -v[106:107]
	v_add_f64 v[75:76], v[112:113], v[75:76]
	s_delay_alu instid0(VALU_DEP_2) | instskip(NEXT) | instid1(VALU_DEP_2)
	v_add_f64 v[100:101], v[108:109], -v[100:101]
	v_mul_f64 v[75:76], v[98:99], v[75:76]
	s_delay_alu instid0(VALU_DEP_1) | instskip(NEXT) | instid1(VALU_DEP_1)
	v_add_f64 v[75:76], v[100:101], v[75:76]
	v_add_f64 v[98:99], v[102:103], v[75:76]
	s_delay_alu instid0(VALU_DEP_1) | instskip(NEXT) | instid1(VALU_DEP_1)
	v_mul_f64 v[100:101], v[98:99], v[98:99]
	v_fma_f64 v[104:105], v[100:101], s[46:47], s[44:45]
	s_mov_b32 s44, 0xd7f4df2e
	s_mov_b32 s45, 0x3fc7474d
	v_mul_f64 v[106:107], v[98:99], v[100:101]
	s_delay_alu instid0(VALU_DEP_2)
	v_fma_f64 v[104:105], v[100:101], v[104:105], s[44:45]
	s_mov_b32 s44, 0x16291751
	s_mov_b32 s45, 0x3fcc71c0
	s_delay_alu instid0(VALU_DEP_1) | instid1(SALU_CYCLE_1)
	v_fma_f64 v[104:105], v[100:101], v[104:105], s[44:45]
	s_mov_b32 s44, 0x9b27acf1
	s_mov_b32 s45, 0x3fd24924
	s_delay_alu instid0(VALU_DEP_1) | instid1(SALU_CYCLE_1)
	;; [unrolled: 4-line block ×3, first 2 shown]
	v_fma_f64 v[104:105], v[100:101], v[104:105], s[44:45]
	s_delay_alu instid0(VALU_DEP_1) | instskip(SKIP_3) | instid1(VALU_DEP_4)
	v_fma_f64 v[100:101], v[100:101], v[104:105], s[0:1]
	v_ldexp_f64 v[104:105], v[98:99], 1
	v_add_f64 v[98:99], v[98:99], -v[102:103]
	v_cmp_eq_f64_e64 s0, 0x7ff00000, v[73:74]
	v_mul_f64 v[100:101], v[106:107], v[100:101]
	v_cvt_f64_i32_e32 v[106:107], v118
	s_delay_alu instid0(VALU_DEP_4) | instskip(NEXT) | instid1(VALU_DEP_3)
	v_add_f64 v[75:76], v[75:76], -v[98:99]
	v_add_f64 v[102:103], v[104:105], v[100:101]
	s_delay_alu instid0(VALU_DEP_3) | instskip(NEXT) | instid1(VALU_DEP_3)
	v_mul_f64 v[108:109], v[106:107], s[36:37]
	v_ldexp_f64 v[75:76], v[75:76], 1
	s_delay_alu instid0(VALU_DEP_3) | instskip(NEXT) | instid1(VALU_DEP_3)
	v_add_f64 v[98:99], v[102:103], -v[104:105]
	v_fma_f64 v[104:105], v[106:107], s[36:37], -v[108:109]
	s_delay_alu instid0(VALU_DEP_2) | instskip(NEXT) | instid1(VALU_DEP_2)
	v_add_f64 v[98:99], v[100:101], -v[98:99]
	v_fma_f64 v[100:101], v[106:107], s[38:39], v[104:105]
	s_delay_alu instid0(VALU_DEP_2) | instskip(NEXT) | instid1(VALU_DEP_2)
	v_add_f64 v[75:76], v[75:76], v[98:99]
	v_add_f64 v[98:99], v[108:109], v[100:101]
	s_delay_alu instid0(VALU_DEP_2) | instskip(NEXT) | instid1(VALU_DEP_2)
	v_add_f64 v[104:105], v[102:103], v[75:76]
	v_add_f64 v[108:109], v[98:99], -v[108:109]
	s_delay_alu instid0(VALU_DEP_2) | instskip(SKIP_1) | instid1(VALU_DEP_3)
	v_add_f64 v[106:107], v[98:99], v[104:105]
	v_add_f64 v[102:103], v[104:105], -v[102:103]
	v_add_f64 v[100:101], v[100:101], -v[108:109]
	s_delay_alu instid0(VALU_DEP_3) | instskip(NEXT) | instid1(VALU_DEP_3)
	v_add_f64 v[110:111], v[106:107], -v[98:99]
	v_add_f64 v[75:76], v[75:76], -v[102:103]
	s_delay_alu instid0(VALU_DEP_2) | instskip(SKIP_1) | instid1(VALU_DEP_3)
	v_add_f64 v[112:113], v[106:107], -v[110:111]
	v_add_f64 v[102:103], v[104:105], -v[110:111]
	v_add_f64 v[104:105], v[100:101], v[75:76]
	s_delay_alu instid0(VALU_DEP_3) | instskip(NEXT) | instid1(VALU_DEP_1)
	v_add_f64 v[98:99], v[98:99], -v[112:113]
	v_add_f64 v[98:99], v[102:103], v[98:99]
	s_delay_alu instid0(VALU_DEP_3) | instskip(NEXT) | instid1(VALU_DEP_2)
	v_add_f64 v[102:103], v[104:105], -v[100:101]
	v_add_f64 v[98:99], v[104:105], v[98:99]
	s_delay_alu instid0(VALU_DEP_2) | instskip(SKIP_1) | instid1(VALU_DEP_3)
	v_add_f64 v[104:105], v[104:105], -v[102:103]
	v_add_f64 v[75:76], v[75:76], -v[102:103]
	v_add_f64 v[108:109], v[106:107], v[98:99]
	s_delay_alu instid0(VALU_DEP_3) | instskip(NEXT) | instid1(VALU_DEP_2)
	v_add_f64 v[100:101], v[100:101], -v[104:105]
	v_add_f64 v[102:103], v[108:109], -v[106:107]
	s_delay_alu instid0(VALU_DEP_2) | instskip(NEXT) | instid1(VALU_DEP_2)
	v_add_f64 v[75:76], v[75:76], v[100:101]
	v_add_f64 v[98:99], v[98:99], -v[102:103]
	s_delay_alu instid0(VALU_DEP_1) | instskip(NEXT) | instid1(VALU_DEP_1)
	v_add_f64 v[75:76], v[75:76], v[98:99]
	v_add_f64 v[75:76], v[108:109], v[75:76]
	s_delay_alu instid0(VALU_DEP_1) | instskip(NEXT) | instid1(VALU_DEP_2)
	v_cndmask_b32_e64 v75, v75, v73, s0
	v_cndmask_b32_e64 v76, v76, v74, s0
	v_cmp_ngt_f64_e64 s0, -1.0, v[73:74]
	s_delay_alu instid0(VALU_DEP_1) | instskip(SKIP_1) | instid1(VALU_DEP_1)
	v_cndmask_b32_e64 v76, 0x7ff80000, v76, s0
	v_cmp_nge_f64_e64 s0, -1.0, v[73:74]
	v_cndmask_b32_e64 v75, 0, v75, s0
	v_cmp_neq_f64_e64 s0, -1.0, v[73:74]
	s_delay_alu instid0(VALU_DEP_1) | instskip(NEXT) | instid1(VALU_DEP_1)
	v_cndmask_b32_e64 v76, 0xfff00000, v76, s0
	v_add_f64 v[73:74], v[71:72], v[75:76]
.LBB46_92:
	s_or_b32 exec_lo, exec_lo, s42
	s_delay_alu instid0(VALU_DEP_1)
	v_dual_mov_b32 v75, v73 :: v_dual_mov_b32 v76, v74
	v_dual_mov_b32 v71, v73 :: v_dual_mov_b32 v72, v74
.LBB46_93:
	s_or_b32 exec_lo, exec_lo, s41
	s_delay_alu instid0(VALU_DEP_2) | instskip(NEXT) | instid1(VALU_DEP_3)
	v_mov_b32_dpp v73, v75 row_shr:4 row_mask:0xf bank_mask:0xf
	v_mov_b32_dpp v74, v76 row_shr:4 row_mask:0xf bank_mask:0xf
	s_mov_b32 s41, exec_lo
	v_cmpx_lt_u32_e32 3, v97
	s_cbranch_execz .LBB46_97
; %bb.94:
	s_delay_alu instid0(VALU_DEP_2) | instskip(SKIP_3) | instid1(VALU_DEP_3)
	v_max_f64 v[75:76], v[73:74], v[73:74]
	v_max_f64 v[97:98], v[71:72], v[71:72]
	v_cmp_u_f64_e64 s0, v[73:74], v[73:74]
	v_cmp_u_f64_e64 s1, v[71:72], v[71:72]
	v_min_f64 v[99:100], v[75:76], v[97:98]
	v_max_f64 v[75:76], v[75:76], v[97:98]
	s_delay_alu instid0(VALU_DEP_2) | instskip(NEXT) | instid1(VALU_DEP_3)
	v_cndmask_b32_e64 v97, v99, v73, s0
	v_cndmask_b32_e64 v98, v100, v74, s0
	s_delay_alu instid0(VALU_DEP_3) | instskip(NEXT) | instid1(VALU_DEP_4)
	v_cndmask_b32_e64 v99, v76, v74, s0
	v_cndmask_b32_e64 v100, v75, v73, s0
	s_delay_alu instid0(VALU_DEP_4) | instskip(NEXT) | instid1(VALU_DEP_4)
	v_cndmask_b32_e64 v75, v97, v71, s1
	v_cndmask_b32_e64 v76, v98, v72, s1
	s_delay_alu instid0(VALU_DEP_4) | instskip(NEXT) | instid1(VALU_DEP_4)
	v_cndmask_b32_e64 v72, v99, v72, s1
	v_cndmask_b32_e64 v71, v100, v71, s1
	s_delay_alu instid0(VALU_DEP_3) | instskip(NEXT) | instid1(VALU_DEP_2)
	v_cmp_class_f64_e64 s1, v[75:76], 0x1f8
	v_cmp_neq_f64_e64 s0, v[75:76], v[71:72]
	s_delay_alu instid0(VALU_DEP_1) | instskip(NEXT) | instid1(SALU_CYCLE_1)
	s_or_b32 s0, s0, s1
	s_and_saveexec_b32 s42, s0
	s_cbranch_execz .LBB46_96
; %bb.95:
	v_add_f64 v[73:74], v[75:76], -v[71:72]
	s_mov_b32 s0, 0x652b82fe
	s_mov_b32 s1, 0x3ff71547
	;; [unrolled: 1-line block ×10, first 2 shown]
	s_delay_alu instid0(VALU_DEP_1) | instskip(SKIP_2) | instid1(VALU_DEP_1)
	v_mul_f64 v[75:76], v[73:74], s[0:1]
	s_mov_b32 s0, 0xfca7ab0c
	s_mov_b32 s1, 0x3e928af3
	v_rndne_f64_e32 v[75:76], v[75:76]
	s_delay_alu instid0(VALU_DEP_1) | instskip(SKIP_2) | instid1(VALU_DEP_2)
	v_fma_f64 v[97:98], v[75:76], s[36:37], v[73:74]
	v_cvt_i32_f64_e32 v101, v[75:76]
	s_mov_b32 s37, 0x3fe62e42
	v_fma_f64 v[97:98], v[75:76], s[38:39], v[97:98]
	s_mov_b32 s39, 0x3c7abc9e
	s_delay_alu instid0(VALU_DEP_1) | instskip(SKIP_4) | instid1(VALU_DEP_1)
	v_fma_f64 v[99:100], v[97:98], s[44:45], s[0:1]
	s_mov_b32 s0, 0x623fde64
	s_mov_b32 s1, 0x3ec71dee
	;; [unrolled: 1-line block ×4, first 2 shown]
	v_fma_f64 v[99:100], v[97:98], v[99:100], s[0:1]
	s_mov_b32 s0, 0x7c89e6b0
	s_mov_b32 s1, 0x3efa0199
	s_delay_alu instid0(VALU_DEP_1) | instid1(SALU_CYCLE_1)
	v_fma_f64 v[99:100], v[97:98], v[99:100], s[0:1]
	s_mov_b32 s0, 0x14761f6e
	s_mov_b32 s1, 0x3f2a01a0
	s_delay_alu instid0(VALU_DEP_1) | instid1(SALU_CYCLE_1)
	;; [unrolled: 4-line block ×7, first 2 shown]
	v_fma_f64 v[99:100], v[97:98], v[99:100], s[0:1]
	v_cmp_nlt_f64_e64 s0, 0x40900000, v[73:74]
	v_cmp_ngt_f64_e64 s1, 0xc090cc00, v[73:74]
	s_delay_alu instid0(VALU_DEP_3) | instskip(NEXT) | instid1(VALU_DEP_1)
	v_fma_f64 v[99:100], v[97:98], v[99:100], 1.0
	v_fma_f64 v[75:76], v[97:98], v[99:100], 1.0
	s_delay_alu instid0(VALU_DEP_1) | instskip(NEXT) | instid1(VALU_DEP_1)
	v_ldexp_f64 v[75:76], v[75:76], v101
	v_cndmask_b32_e64 v76, 0x7ff00000, v76, s0
	s_and_b32 s0, s1, s0
	s_delay_alu instid0(VALU_DEP_2) | instid1(SALU_CYCLE_1)
	v_cndmask_b32_e64 v73, 0, v75, s0
	s_mov_b32 s0, 0x55555555
	s_delay_alu instid0(VALU_DEP_2) | instskip(SKIP_1) | instid1(VALU_DEP_1)
	v_cndmask_b32_e64 v74, 0, v76, s1
	s_mov_b32 s1, 0x3fe55555
	v_add_f64 v[75:76], v[73:74], 1.0
	s_delay_alu instid0(VALU_DEP_1) | instskip(SKIP_2) | instid1(VALU_DEP_3)
	v_frexp_mant_f64_e32 v[97:98], v[75:76]
	v_frexp_exp_i32_f64_e32 v101, v[75:76]
	v_add_f64 v[99:100], v[75:76], -1.0
	v_cmp_gt_f64_e64 s0, s[0:1], v[97:98]
	s_delay_alu instid0(VALU_DEP_2) | instskip(SKIP_1) | instid1(VALU_DEP_3)
	v_add_f64 v[97:98], v[99:100], -v[75:76]
	v_add_f64 v[99:100], v[73:74], -v[99:100]
	v_subrev_co_ci_u32_e64 v117, s0, 0, v101, s0
	s_delay_alu instid0(VALU_DEP_3) | instskip(SKIP_1) | instid1(VALU_DEP_2)
	v_add_f64 v[97:98], v[97:98], 1.0
	s_mov_b32 s0, 0x55555780
	v_sub_nc_u32_e32 v103, 0, v117
	s_delay_alu instid0(VALU_DEP_1) | instskip(NEXT) | instid1(VALU_DEP_3)
	v_ldexp_f64 v[75:76], v[75:76], v103
	v_add_f64 v[97:98], v[99:100], v[97:98]
	s_delay_alu instid0(VALU_DEP_2) | instskip(SKIP_1) | instid1(VALU_DEP_3)
	v_add_f64 v[101:102], v[75:76], 1.0
	v_add_f64 v[107:108], v[75:76], -1.0
	v_ldexp_f64 v[97:98], v[97:98], v103
	s_delay_alu instid0(VALU_DEP_3) | instskip(NEXT) | instid1(VALU_DEP_3)
	v_add_f64 v[99:100], v[101:102], -1.0
	v_add_f64 v[109:110], v[107:108], 1.0
	s_delay_alu instid0(VALU_DEP_2) | instskip(NEXT) | instid1(VALU_DEP_2)
	v_add_f64 v[99:100], v[75:76], -v[99:100]
	v_add_f64 v[75:76], v[75:76], -v[109:110]
	s_delay_alu instid0(VALU_DEP_2) | instskip(NEXT) | instid1(VALU_DEP_2)
	v_add_f64 v[99:100], v[97:98], v[99:100]
	v_add_f64 v[75:76], v[97:98], v[75:76]
	s_delay_alu instid0(VALU_DEP_2) | instskip(NEXT) | instid1(VALU_DEP_2)
	v_add_f64 v[103:104], v[101:102], v[99:100]
	v_add_f64 v[109:110], v[107:108], v[75:76]
	s_delay_alu instid0(VALU_DEP_2) | instskip(SKIP_1) | instid1(VALU_DEP_2)
	v_rcp_f64_e32 v[105:106], v[103:104]
	v_add_f64 v[101:102], v[103:104], -v[101:102]
	v_add_f64 v[107:108], v[109:110], -v[107:108]
	s_delay_alu instid0(VALU_DEP_2) | instskip(SKIP_3) | instid1(VALU_DEP_2)
	v_add_f64 v[99:100], v[99:100], -v[101:102]
	s_waitcnt_depctr 0xfff
	v_fma_f64 v[111:112], -v[103:104], v[105:106], 1.0
	v_add_f64 v[75:76], v[75:76], -v[107:108]
	v_fma_f64 v[105:106], v[111:112], v[105:106], v[105:106]
	s_delay_alu instid0(VALU_DEP_1) | instskip(NEXT) | instid1(VALU_DEP_1)
	v_fma_f64 v[97:98], -v[103:104], v[105:106], 1.0
	v_fma_f64 v[97:98], v[97:98], v[105:106], v[105:106]
	s_delay_alu instid0(VALU_DEP_1) | instskip(NEXT) | instid1(VALU_DEP_1)
	v_mul_f64 v[105:106], v[109:110], v[97:98]
	v_mul_f64 v[111:112], v[103:104], v[105:106]
	s_delay_alu instid0(VALU_DEP_1) | instskip(NEXT) | instid1(VALU_DEP_1)
	v_fma_f64 v[101:102], v[105:106], v[103:104], -v[111:112]
	v_fma_f64 v[101:102], v[105:106], v[99:100], v[101:102]
	s_delay_alu instid0(VALU_DEP_1) | instskip(NEXT) | instid1(VALU_DEP_1)
	v_add_f64 v[113:114], v[111:112], v[101:102]
	v_add_f64 v[115:116], v[109:110], -v[113:114]
	v_add_f64 v[107:108], v[113:114], -v[111:112]
	s_delay_alu instid0(VALU_DEP_2) | instskip(NEXT) | instid1(VALU_DEP_2)
	v_add_f64 v[109:110], v[109:110], -v[115:116]
	v_add_f64 v[101:102], v[107:108], -v[101:102]
	s_delay_alu instid0(VALU_DEP_2) | instskip(NEXT) | instid1(VALU_DEP_1)
	v_add_f64 v[109:110], v[109:110], -v[113:114]
	v_add_f64 v[75:76], v[75:76], v[109:110]
	s_delay_alu instid0(VALU_DEP_1) | instskip(NEXT) | instid1(VALU_DEP_1)
	v_add_f64 v[75:76], v[101:102], v[75:76]
	v_add_f64 v[101:102], v[115:116], v[75:76]
	s_delay_alu instid0(VALU_DEP_1) | instskip(SKIP_1) | instid1(VALU_DEP_2)
	v_mul_f64 v[107:108], v[97:98], v[101:102]
	v_add_f64 v[113:114], v[115:116], -v[101:102]
	v_mul_f64 v[109:110], v[103:104], v[107:108]
	s_delay_alu instid0(VALU_DEP_2) | instskip(NEXT) | instid1(VALU_DEP_2)
	v_add_f64 v[75:76], v[75:76], v[113:114]
	v_fma_f64 v[103:104], v[107:108], v[103:104], -v[109:110]
	s_delay_alu instid0(VALU_DEP_1) | instskip(NEXT) | instid1(VALU_DEP_1)
	v_fma_f64 v[99:100], v[107:108], v[99:100], v[103:104]
	v_add_f64 v[103:104], v[109:110], v[99:100]
	s_delay_alu instid0(VALU_DEP_1) | instskip(SKIP_1) | instid1(VALU_DEP_2)
	v_add_f64 v[111:112], v[101:102], -v[103:104]
	v_add_f64 v[109:110], v[103:104], -v[109:110]
	;; [unrolled: 1-line block ×3, first 2 shown]
	s_delay_alu instid0(VALU_DEP_2) | instskip(NEXT) | instid1(VALU_DEP_2)
	v_add_f64 v[99:100], v[109:110], -v[99:100]
	v_add_f64 v[101:102], v[101:102], -v[103:104]
	s_delay_alu instid0(VALU_DEP_1) | instskip(SKIP_1) | instid1(VALU_DEP_2)
	v_add_f64 v[75:76], v[75:76], v[101:102]
	v_add_f64 v[101:102], v[105:106], v[107:108]
	v_add_f64 v[75:76], v[99:100], v[75:76]
	s_delay_alu instid0(VALU_DEP_2) | instskip(NEXT) | instid1(VALU_DEP_2)
	v_add_f64 v[99:100], v[101:102], -v[105:106]
	v_add_f64 v[75:76], v[111:112], v[75:76]
	s_delay_alu instid0(VALU_DEP_2) | instskip(NEXT) | instid1(VALU_DEP_2)
	v_add_f64 v[99:100], v[107:108], -v[99:100]
	v_mul_f64 v[75:76], v[97:98], v[75:76]
	s_delay_alu instid0(VALU_DEP_1) | instskip(NEXT) | instid1(VALU_DEP_1)
	v_add_f64 v[75:76], v[99:100], v[75:76]
	v_add_f64 v[97:98], v[101:102], v[75:76]
	s_delay_alu instid0(VALU_DEP_1) | instskip(NEXT) | instid1(VALU_DEP_1)
	v_mul_f64 v[99:100], v[97:98], v[97:98]
	v_fma_f64 v[103:104], v[99:100], s[46:47], s[44:45]
	s_mov_b32 s44, 0xd7f4df2e
	s_mov_b32 s45, 0x3fc7474d
	v_mul_f64 v[105:106], v[97:98], v[99:100]
	s_delay_alu instid0(VALU_DEP_2)
	v_fma_f64 v[103:104], v[99:100], v[103:104], s[44:45]
	s_mov_b32 s44, 0x16291751
	s_mov_b32 s45, 0x3fcc71c0
	s_delay_alu instid0(VALU_DEP_1) | instid1(SALU_CYCLE_1)
	v_fma_f64 v[103:104], v[99:100], v[103:104], s[44:45]
	s_mov_b32 s44, 0x9b27acf1
	s_mov_b32 s45, 0x3fd24924
	s_delay_alu instid0(VALU_DEP_1) | instid1(SALU_CYCLE_1)
	;; [unrolled: 4-line block ×3, first 2 shown]
	v_fma_f64 v[103:104], v[99:100], v[103:104], s[44:45]
	s_delay_alu instid0(VALU_DEP_1) | instskip(SKIP_3) | instid1(VALU_DEP_4)
	v_fma_f64 v[99:100], v[99:100], v[103:104], s[0:1]
	v_ldexp_f64 v[103:104], v[97:98], 1
	v_add_f64 v[97:98], v[97:98], -v[101:102]
	v_cmp_eq_f64_e64 s0, 0x7ff00000, v[73:74]
	v_mul_f64 v[99:100], v[105:106], v[99:100]
	v_cvt_f64_i32_e32 v[105:106], v117
	s_delay_alu instid0(VALU_DEP_4) | instskip(NEXT) | instid1(VALU_DEP_3)
	v_add_f64 v[75:76], v[75:76], -v[97:98]
	v_add_f64 v[101:102], v[103:104], v[99:100]
	s_delay_alu instid0(VALU_DEP_3) | instskip(NEXT) | instid1(VALU_DEP_3)
	v_mul_f64 v[107:108], v[105:106], s[36:37]
	v_ldexp_f64 v[75:76], v[75:76], 1
	s_delay_alu instid0(VALU_DEP_3) | instskip(NEXT) | instid1(VALU_DEP_3)
	v_add_f64 v[97:98], v[101:102], -v[103:104]
	v_fma_f64 v[103:104], v[105:106], s[36:37], -v[107:108]
	s_delay_alu instid0(VALU_DEP_2) | instskip(NEXT) | instid1(VALU_DEP_2)
	v_add_f64 v[97:98], v[99:100], -v[97:98]
	v_fma_f64 v[99:100], v[105:106], s[38:39], v[103:104]
	s_delay_alu instid0(VALU_DEP_2) | instskip(NEXT) | instid1(VALU_DEP_2)
	v_add_f64 v[75:76], v[75:76], v[97:98]
	v_add_f64 v[97:98], v[107:108], v[99:100]
	s_delay_alu instid0(VALU_DEP_2) | instskip(NEXT) | instid1(VALU_DEP_2)
	v_add_f64 v[103:104], v[101:102], v[75:76]
	v_add_f64 v[107:108], v[97:98], -v[107:108]
	s_delay_alu instid0(VALU_DEP_2) | instskip(SKIP_1) | instid1(VALU_DEP_3)
	v_add_f64 v[105:106], v[97:98], v[103:104]
	v_add_f64 v[101:102], v[103:104], -v[101:102]
	v_add_f64 v[99:100], v[99:100], -v[107:108]
	s_delay_alu instid0(VALU_DEP_3) | instskip(NEXT) | instid1(VALU_DEP_3)
	v_add_f64 v[109:110], v[105:106], -v[97:98]
	v_add_f64 v[75:76], v[75:76], -v[101:102]
	s_delay_alu instid0(VALU_DEP_2) | instskip(SKIP_1) | instid1(VALU_DEP_3)
	v_add_f64 v[111:112], v[105:106], -v[109:110]
	v_add_f64 v[101:102], v[103:104], -v[109:110]
	v_add_f64 v[103:104], v[99:100], v[75:76]
	s_delay_alu instid0(VALU_DEP_3) | instskip(NEXT) | instid1(VALU_DEP_1)
	v_add_f64 v[97:98], v[97:98], -v[111:112]
	v_add_f64 v[97:98], v[101:102], v[97:98]
	s_delay_alu instid0(VALU_DEP_3) | instskip(NEXT) | instid1(VALU_DEP_2)
	v_add_f64 v[101:102], v[103:104], -v[99:100]
	v_add_f64 v[97:98], v[103:104], v[97:98]
	s_delay_alu instid0(VALU_DEP_2) | instskip(SKIP_1) | instid1(VALU_DEP_3)
	v_add_f64 v[103:104], v[103:104], -v[101:102]
	v_add_f64 v[75:76], v[75:76], -v[101:102]
	v_add_f64 v[107:108], v[105:106], v[97:98]
	s_delay_alu instid0(VALU_DEP_3) | instskip(NEXT) | instid1(VALU_DEP_2)
	v_add_f64 v[99:100], v[99:100], -v[103:104]
	v_add_f64 v[101:102], v[107:108], -v[105:106]
	s_delay_alu instid0(VALU_DEP_2) | instskip(NEXT) | instid1(VALU_DEP_2)
	v_add_f64 v[75:76], v[75:76], v[99:100]
	v_add_f64 v[97:98], v[97:98], -v[101:102]
	s_delay_alu instid0(VALU_DEP_1) | instskip(NEXT) | instid1(VALU_DEP_1)
	v_add_f64 v[75:76], v[75:76], v[97:98]
	v_add_f64 v[75:76], v[107:108], v[75:76]
	s_delay_alu instid0(VALU_DEP_1) | instskip(NEXT) | instid1(VALU_DEP_2)
	v_cndmask_b32_e64 v75, v75, v73, s0
	v_cndmask_b32_e64 v76, v76, v74, s0
	v_cmp_ngt_f64_e64 s0, -1.0, v[73:74]
	s_delay_alu instid0(VALU_DEP_1) | instskip(SKIP_1) | instid1(VALU_DEP_1)
	v_cndmask_b32_e64 v76, 0x7ff80000, v76, s0
	v_cmp_nge_f64_e64 s0, -1.0, v[73:74]
	v_cndmask_b32_e64 v75, 0, v75, s0
	v_cmp_neq_f64_e64 s0, -1.0, v[73:74]
	s_delay_alu instid0(VALU_DEP_1) | instskip(NEXT) | instid1(VALU_DEP_1)
	v_cndmask_b32_e64 v76, 0xfff00000, v76, s0
	v_add_f64 v[73:74], v[71:72], v[75:76]
.LBB46_96:
	s_or_b32 exec_lo, exec_lo, s42
	s_delay_alu instid0(VALU_DEP_1)
	v_dual_mov_b32 v71, v73 :: v_dual_mov_b32 v72, v74
.LBB46_97:
	s_or_b32 exec_lo, exec_lo, s41
	ds_store_b64 v77, v[71:72]
.LBB46_98:
	s_or_b32 exec_lo, exec_lo, s40
	s_delay_alu instid0(SALU_CYCLE_1)
	s_mov_b32 s40, exec_lo
	s_waitcnt lgkmcnt(0)
	s_barrier
	buffer_gl0_inv
                                        ; implicit-def: $vgpr71_vgpr72
	v_cmpx_lt_u32_e32 31, v0
	s_cbranch_execz .LBB46_102
; %bb.99:
	v_add_nc_u32_e32 v71, -8, v95
	v_max_f64 v[73:74], v[69:70], v[69:70]
	v_cmp_u_f64_e64 s1, v[69:70], v[69:70]
	ds_load_b64 v[71:72], v71
	s_waitcnt lgkmcnt(0)
	v_max_f64 v[75:76], v[71:72], v[71:72]
	v_cmp_u_f64_e64 s0, v[71:72], v[71:72]
	s_delay_alu instid0(VALU_DEP_2) | instskip(SKIP_1) | instid1(VALU_DEP_2)
	v_min_f64 v[97:98], v[75:76], v[73:74]
	v_max_f64 v[73:74], v[75:76], v[73:74]
	v_cndmask_b32_e64 v75, v97, v71, s0
	s_delay_alu instid0(VALU_DEP_3) | instskip(NEXT) | instid1(VALU_DEP_3)
	v_cndmask_b32_e64 v76, v98, v72, s0
	v_cndmask_b32_e64 v74, v74, v72, s0
	s_delay_alu instid0(VALU_DEP_4) | instskip(NEXT) | instid1(VALU_DEP_4)
	v_cndmask_b32_e64 v73, v73, v71, s0
	v_cndmask_b32_e64 v75, v75, v69, s1
	s_delay_alu instid0(VALU_DEP_4) | instskip(NEXT) | instid1(VALU_DEP_4)
	v_cndmask_b32_e64 v76, v76, v70, s1
	v_cndmask_b32_e64 v74, v74, v70, s1
	s_delay_alu instid0(VALU_DEP_4) | instskip(SKIP_1) | instid1(VALU_DEP_4)
	v_cndmask_b32_e64 v73, v73, v69, s1
	v_dual_mov_b32 v69, v71 :: v_dual_mov_b32 v70, v72
	v_cmp_class_f64_e64 s1, v[75:76], 0x1f8
	s_delay_alu instid0(VALU_DEP_3) | instskip(NEXT) | instid1(VALU_DEP_1)
	v_cmp_neq_f64_e64 s0, v[75:76], v[73:74]
	s_or_b32 s0, s0, s1
	s_delay_alu instid0(SALU_CYCLE_1)
	s_and_saveexec_b32 s41, s0
	s_cbranch_execz .LBB46_101
; %bb.100:
	v_add_f64 v[69:70], v[75:76], -v[73:74]
	s_mov_b32 s0, 0x652b82fe
	s_mov_b32 s1, 0x3ff71547
	;; [unrolled: 1-line block ×10, first 2 shown]
	s_delay_alu instid0(VALU_DEP_1) | instskip(SKIP_2) | instid1(VALU_DEP_1)
	v_mul_f64 v[75:76], v[69:70], s[0:1]
	s_mov_b32 s0, 0xfca7ab0c
	s_mov_b32 s1, 0x3e928af3
	v_rndne_f64_e32 v[75:76], v[75:76]
	s_delay_alu instid0(VALU_DEP_1) | instskip(SKIP_2) | instid1(VALU_DEP_2)
	v_fma_f64 v[97:98], v[75:76], s[36:37], v[69:70]
	v_cvt_i32_f64_e32 v95, v[75:76]
	s_mov_b32 s37, 0x3fe62e42
	v_fma_f64 v[97:98], v[75:76], s[38:39], v[97:98]
	s_mov_b32 s39, 0x3c7abc9e
	s_delay_alu instid0(VALU_DEP_1) | instskip(SKIP_4) | instid1(VALU_DEP_1)
	v_fma_f64 v[99:100], v[97:98], s[42:43], s[0:1]
	s_mov_b32 s0, 0x623fde64
	s_mov_b32 s1, 0x3ec71dee
	;; [unrolled: 1-line block ×4, first 2 shown]
	v_fma_f64 v[99:100], v[97:98], v[99:100], s[0:1]
	s_mov_b32 s0, 0x7c89e6b0
	s_mov_b32 s1, 0x3efa0199
	s_delay_alu instid0(VALU_DEP_1) | instid1(SALU_CYCLE_1)
	v_fma_f64 v[99:100], v[97:98], v[99:100], s[0:1]
	s_mov_b32 s0, 0x14761f6e
	s_mov_b32 s1, 0x3f2a01a0
	s_delay_alu instid0(VALU_DEP_1) | instid1(SALU_CYCLE_1)
	;; [unrolled: 4-line block ×7, first 2 shown]
	v_fma_f64 v[99:100], v[97:98], v[99:100], s[0:1]
	v_cmp_nlt_f64_e64 s0, 0x40900000, v[69:70]
	v_cmp_ngt_f64_e64 s1, 0xc090cc00, v[69:70]
	s_delay_alu instid0(VALU_DEP_3) | instskip(NEXT) | instid1(VALU_DEP_1)
	v_fma_f64 v[99:100], v[97:98], v[99:100], 1.0
	v_fma_f64 v[75:76], v[97:98], v[99:100], 1.0
	s_delay_alu instid0(VALU_DEP_1) | instskip(NEXT) | instid1(VALU_DEP_1)
	v_ldexp_f64 v[75:76], v[75:76], v95
	v_cndmask_b32_e64 v76, 0x7ff00000, v76, s0
	s_and_b32 s0, s1, s0
	s_delay_alu instid0(VALU_DEP_2) | instid1(SALU_CYCLE_1)
	v_cndmask_b32_e64 v69, 0, v75, s0
	s_mov_b32 s0, 0x55555555
	s_delay_alu instid0(VALU_DEP_2) | instskip(SKIP_1) | instid1(VALU_DEP_1)
	v_cndmask_b32_e64 v70, 0, v76, s1
	s_mov_b32 s1, 0x3fe55555
	v_add_f64 v[75:76], v[69:70], 1.0
	s_delay_alu instid0(VALU_DEP_1) | instskip(SKIP_2) | instid1(VALU_DEP_3)
	v_frexp_mant_f64_e32 v[97:98], v[75:76]
	v_frexp_exp_i32_f64_e32 v95, v[75:76]
	v_add_f64 v[99:100], v[75:76], -1.0
	v_cmp_gt_f64_e64 s0, s[0:1], v[97:98]
	s_delay_alu instid0(VALU_DEP_2) | instskip(SKIP_1) | instid1(VALU_DEP_3)
	v_add_f64 v[97:98], v[99:100], -v[75:76]
	v_add_f64 v[99:100], v[69:70], -v[99:100]
	v_subrev_co_ci_u32_e64 v95, s0, 0, v95, s0
	s_delay_alu instid0(VALU_DEP_3) | instskip(SKIP_1) | instid1(VALU_DEP_2)
	v_add_f64 v[97:98], v[97:98], 1.0
	s_mov_b32 s0, 0x55555780
	v_sub_nc_u32_e32 v103, 0, v95
	s_delay_alu instid0(VALU_DEP_1) | instskip(NEXT) | instid1(VALU_DEP_3)
	v_ldexp_f64 v[75:76], v[75:76], v103
	v_add_f64 v[97:98], v[99:100], v[97:98]
	s_delay_alu instid0(VALU_DEP_2) | instskip(SKIP_1) | instid1(VALU_DEP_3)
	v_add_f64 v[101:102], v[75:76], 1.0
	v_add_f64 v[107:108], v[75:76], -1.0
	v_ldexp_f64 v[97:98], v[97:98], v103
	s_delay_alu instid0(VALU_DEP_3) | instskip(NEXT) | instid1(VALU_DEP_3)
	v_add_f64 v[99:100], v[101:102], -1.0
	v_add_f64 v[109:110], v[107:108], 1.0
	s_delay_alu instid0(VALU_DEP_2) | instskip(NEXT) | instid1(VALU_DEP_2)
	v_add_f64 v[99:100], v[75:76], -v[99:100]
	v_add_f64 v[75:76], v[75:76], -v[109:110]
	s_delay_alu instid0(VALU_DEP_2) | instskip(NEXT) | instid1(VALU_DEP_2)
	v_add_f64 v[99:100], v[97:98], v[99:100]
	v_add_f64 v[75:76], v[97:98], v[75:76]
	s_delay_alu instid0(VALU_DEP_2) | instskip(NEXT) | instid1(VALU_DEP_2)
	v_add_f64 v[103:104], v[101:102], v[99:100]
	v_add_f64 v[109:110], v[107:108], v[75:76]
	s_delay_alu instid0(VALU_DEP_2) | instskip(SKIP_1) | instid1(VALU_DEP_2)
	v_rcp_f64_e32 v[105:106], v[103:104]
	v_add_f64 v[101:102], v[103:104], -v[101:102]
	v_add_f64 v[107:108], v[109:110], -v[107:108]
	s_delay_alu instid0(VALU_DEP_2) | instskip(SKIP_3) | instid1(VALU_DEP_2)
	v_add_f64 v[99:100], v[99:100], -v[101:102]
	s_waitcnt_depctr 0xfff
	v_fma_f64 v[111:112], -v[103:104], v[105:106], 1.0
	v_add_f64 v[75:76], v[75:76], -v[107:108]
	v_fma_f64 v[105:106], v[111:112], v[105:106], v[105:106]
	s_delay_alu instid0(VALU_DEP_1) | instskip(NEXT) | instid1(VALU_DEP_1)
	v_fma_f64 v[97:98], -v[103:104], v[105:106], 1.0
	v_fma_f64 v[97:98], v[97:98], v[105:106], v[105:106]
	s_delay_alu instid0(VALU_DEP_1) | instskip(NEXT) | instid1(VALU_DEP_1)
	v_mul_f64 v[105:106], v[109:110], v[97:98]
	v_mul_f64 v[111:112], v[103:104], v[105:106]
	s_delay_alu instid0(VALU_DEP_1) | instskip(NEXT) | instid1(VALU_DEP_1)
	v_fma_f64 v[101:102], v[105:106], v[103:104], -v[111:112]
	v_fma_f64 v[101:102], v[105:106], v[99:100], v[101:102]
	s_delay_alu instid0(VALU_DEP_1) | instskip(NEXT) | instid1(VALU_DEP_1)
	v_add_f64 v[113:114], v[111:112], v[101:102]
	v_add_f64 v[115:116], v[109:110], -v[113:114]
	v_add_f64 v[107:108], v[113:114], -v[111:112]
	s_delay_alu instid0(VALU_DEP_2) | instskip(NEXT) | instid1(VALU_DEP_2)
	v_add_f64 v[109:110], v[109:110], -v[115:116]
	v_add_f64 v[101:102], v[107:108], -v[101:102]
	s_delay_alu instid0(VALU_DEP_2) | instskip(NEXT) | instid1(VALU_DEP_1)
	v_add_f64 v[109:110], v[109:110], -v[113:114]
	v_add_f64 v[75:76], v[75:76], v[109:110]
	s_delay_alu instid0(VALU_DEP_1) | instskip(NEXT) | instid1(VALU_DEP_1)
	v_add_f64 v[75:76], v[101:102], v[75:76]
	v_add_f64 v[101:102], v[115:116], v[75:76]
	s_delay_alu instid0(VALU_DEP_1) | instskip(SKIP_1) | instid1(VALU_DEP_2)
	v_mul_f64 v[107:108], v[97:98], v[101:102]
	v_add_f64 v[113:114], v[115:116], -v[101:102]
	v_mul_f64 v[109:110], v[103:104], v[107:108]
	s_delay_alu instid0(VALU_DEP_2) | instskip(NEXT) | instid1(VALU_DEP_2)
	v_add_f64 v[75:76], v[75:76], v[113:114]
	v_fma_f64 v[103:104], v[107:108], v[103:104], -v[109:110]
	s_delay_alu instid0(VALU_DEP_1) | instskip(NEXT) | instid1(VALU_DEP_1)
	v_fma_f64 v[99:100], v[107:108], v[99:100], v[103:104]
	v_add_f64 v[103:104], v[109:110], v[99:100]
	s_delay_alu instid0(VALU_DEP_1) | instskip(SKIP_1) | instid1(VALU_DEP_2)
	v_add_f64 v[111:112], v[101:102], -v[103:104]
	v_add_f64 v[109:110], v[103:104], -v[109:110]
	;; [unrolled: 1-line block ×3, first 2 shown]
	s_delay_alu instid0(VALU_DEP_2) | instskip(NEXT) | instid1(VALU_DEP_2)
	v_add_f64 v[99:100], v[109:110], -v[99:100]
	v_add_f64 v[101:102], v[101:102], -v[103:104]
	s_delay_alu instid0(VALU_DEP_1) | instskip(SKIP_1) | instid1(VALU_DEP_2)
	v_add_f64 v[75:76], v[75:76], v[101:102]
	v_add_f64 v[101:102], v[105:106], v[107:108]
	;; [unrolled: 1-line block ×3, first 2 shown]
	s_delay_alu instid0(VALU_DEP_2) | instskip(NEXT) | instid1(VALU_DEP_2)
	v_add_f64 v[99:100], v[101:102], -v[105:106]
	v_add_f64 v[75:76], v[111:112], v[75:76]
	s_delay_alu instid0(VALU_DEP_2) | instskip(NEXT) | instid1(VALU_DEP_2)
	v_add_f64 v[99:100], v[107:108], -v[99:100]
	v_mul_f64 v[75:76], v[97:98], v[75:76]
	s_delay_alu instid0(VALU_DEP_1) | instskip(NEXT) | instid1(VALU_DEP_1)
	v_add_f64 v[75:76], v[99:100], v[75:76]
	v_add_f64 v[97:98], v[101:102], v[75:76]
	s_delay_alu instid0(VALU_DEP_1) | instskip(NEXT) | instid1(VALU_DEP_1)
	v_mul_f64 v[99:100], v[97:98], v[97:98]
	v_fma_f64 v[103:104], v[99:100], s[44:45], s[42:43]
	s_mov_b32 s42, 0xd7f4df2e
	s_mov_b32 s43, 0x3fc7474d
	v_mul_f64 v[105:106], v[97:98], v[99:100]
	s_delay_alu instid0(VALU_DEP_2)
	v_fma_f64 v[103:104], v[99:100], v[103:104], s[42:43]
	s_mov_b32 s42, 0x16291751
	s_mov_b32 s43, 0x3fcc71c0
	s_delay_alu instid0(VALU_DEP_1) | instid1(SALU_CYCLE_1)
	v_fma_f64 v[103:104], v[99:100], v[103:104], s[42:43]
	s_mov_b32 s42, 0x9b27acf1
	s_mov_b32 s43, 0x3fd24924
	s_delay_alu instid0(VALU_DEP_1) | instid1(SALU_CYCLE_1)
	;; [unrolled: 4-line block ×3, first 2 shown]
	v_fma_f64 v[103:104], v[99:100], v[103:104], s[42:43]
	s_delay_alu instid0(VALU_DEP_1) | instskip(SKIP_3) | instid1(VALU_DEP_4)
	v_fma_f64 v[99:100], v[99:100], v[103:104], s[0:1]
	v_ldexp_f64 v[103:104], v[97:98], 1
	v_add_f64 v[97:98], v[97:98], -v[101:102]
	v_cmp_eq_f64_e64 s0, 0x7ff00000, v[69:70]
	v_mul_f64 v[99:100], v[105:106], v[99:100]
	v_cvt_f64_i32_e32 v[105:106], v95
	s_delay_alu instid0(VALU_DEP_4) | instskip(NEXT) | instid1(VALU_DEP_3)
	v_add_f64 v[75:76], v[75:76], -v[97:98]
	v_add_f64 v[101:102], v[103:104], v[99:100]
	s_delay_alu instid0(VALU_DEP_3) | instskip(NEXT) | instid1(VALU_DEP_3)
	v_mul_f64 v[107:108], v[105:106], s[36:37]
	v_ldexp_f64 v[75:76], v[75:76], 1
	s_delay_alu instid0(VALU_DEP_3) | instskip(NEXT) | instid1(VALU_DEP_3)
	v_add_f64 v[97:98], v[101:102], -v[103:104]
	v_fma_f64 v[103:104], v[105:106], s[36:37], -v[107:108]
	s_delay_alu instid0(VALU_DEP_2) | instskip(NEXT) | instid1(VALU_DEP_2)
	v_add_f64 v[97:98], v[99:100], -v[97:98]
	v_fma_f64 v[99:100], v[105:106], s[38:39], v[103:104]
	s_delay_alu instid0(VALU_DEP_2) | instskip(NEXT) | instid1(VALU_DEP_2)
	v_add_f64 v[75:76], v[75:76], v[97:98]
	v_add_f64 v[97:98], v[107:108], v[99:100]
	s_delay_alu instid0(VALU_DEP_2) | instskip(NEXT) | instid1(VALU_DEP_2)
	v_add_f64 v[103:104], v[101:102], v[75:76]
	v_add_f64 v[107:108], v[97:98], -v[107:108]
	s_delay_alu instid0(VALU_DEP_2) | instskip(SKIP_1) | instid1(VALU_DEP_3)
	v_add_f64 v[105:106], v[97:98], v[103:104]
	v_add_f64 v[101:102], v[103:104], -v[101:102]
	v_add_f64 v[99:100], v[99:100], -v[107:108]
	s_delay_alu instid0(VALU_DEP_3) | instskip(NEXT) | instid1(VALU_DEP_3)
	v_add_f64 v[109:110], v[105:106], -v[97:98]
	v_add_f64 v[75:76], v[75:76], -v[101:102]
	s_delay_alu instid0(VALU_DEP_2) | instskip(SKIP_1) | instid1(VALU_DEP_3)
	v_add_f64 v[111:112], v[105:106], -v[109:110]
	v_add_f64 v[101:102], v[103:104], -v[109:110]
	v_add_f64 v[103:104], v[99:100], v[75:76]
	s_delay_alu instid0(VALU_DEP_3) | instskip(NEXT) | instid1(VALU_DEP_1)
	v_add_f64 v[97:98], v[97:98], -v[111:112]
	v_add_f64 v[97:98], v[101:102], v[97:98]
	s_delay_alu instid0(VALU_DEP_3) | instskip(NEXT) | instid1(VALU_DEP_2)
	v_add_f64 v[101:102], v[103:104], -v[99:100]
	v_add_f64 v[97:98], v[103:104], v[97:98]
	s_delay_alu instid0(VALU_DEP_2) | instskip(SKIP_1) | instid1(VALU_DEP_3)
	v_add_f64 v[103:104], v[103:104], -v[101:102]
	v_add_f64 v[75:76], v[75:76], -v[101:102]
	v_add_f64 v[107:108], v[105:106], v[97:98]
	s_delay_alu instid0(VALU_DEP_3) | instskip(NEXT) | instid1(VALU_DEP_2)
	v_add_f64 v[99:100], v[99:100], -v[103:104]
	v_add_f64 v[101:102], v[107:108], -v[105:106]
	s_delay_alu instid0(VALU_DEP_2) | instskip(NEXT) | instid1(VALU_DEP_2)
	v_add_f64 v[75:76], v[75:76], v[99:100]
	v_add_f64 v[97:98], v[97:98], -v[101:102]
	s_delay_alu instid0(VALU_DEP_1) | instskip(NEXT) | instid1(VALU_DEP_1)
	v_add_f64 v[75:76], v[75:76], v[97:98]
	v_add_f64 v[75:76], v[107:108], v[75:76]
	s_delay_alu instid0(VALU_DEP_1) | instskip(NEXT) | instid1(VALU_DEP_2)
	v_cndmask_b32_e64 v75, v75, v69, s0
	v_cndmask_b32_e64 v76, v76, v70, s0
	v_cmp_ngt_f64_e64 s0, -1.0, v[69:70]
	s_delay_alu instid0(VALU_DEP_1) | instskip(SKIP_1) | instid1(VALU_DEP_1)
	v_cndmask_b32_e64 v76, 0x7ff80000, v76, s0
	v_cmp_nge_f64_e64 s0, -1.0, v[69:70]
	v_cndmask_b32_e64 v75, 0, v75, s0
	v_cmp_neq_f64_e64 s0, -1.0, v[69:70]
	s_delay_alu instid0(VALU_DEP_1) | instskip(NEXT) | instid1(VALU_DEP_1)
	v_cndmask_b32_e64 v76, 0xfff00000, v76, s0
	v_add_f64 v[69:70], v[73:74], v[75:76]
.LBB46_101:
	s_or_b32 exec_lo, exec_lo, s41
.LBB46_102:
	s_delay_alu instid0(SALU_CYCLE_1) | instskip(SKIP_2) | instid1(VALU_DEP_1)
	s_or_b32 exec_lo, exec_lo, s40
	v_add_nc_u32_e32 v73, -1, v96
	s_mov_b32 s40, exec_lo
	v_cmp_gt_i32_e64 s0, 0, v73
	s_delay_alu instid0(VALU_DEP_1) | instskip(NEXT) | instid1(VALU_DEP_1)
	v_cndmask_b32_e64 v73, v73, v96, s0
	v_lshlrev_b32_e32 v73, 2, v73
	ds_bpermute_b32 v69, v73, v69
	ds_bpermute_b32 v70, v73, v70
	v_cmpx_ne_u32_e32 0, v0
	s_cbranch_execz .LBB46_106
; %bb.103:
	v_cmp_eq_u32_e64 s0, 0, v96
	s_waitcnt lgkmcnt(0)
	s_delay_alu instid0(VALU_DEP_1) | instskip(SKIP_1) | instid1(VALU_DEP_1)
	v_cndmask_b32_e64 v70, v70, v72, s0
	v_cndmask_b32_e64 v69, v69, v71, s0
	v_max_f64 v[65:66], v[69:70], v[69:70]
	v_cmp_u_f64_e64 s0, v[69:70], v[69:70]
	s_delay_alu instid0(VALU_DEP_2) | instskip(SKIP_1) | instid1(VALU_DEP_2)
	v_min_f64 v[67:68], v[65:66], v[63:64]
	v_max_f64 v[63:64], v[65:66], v[63:64]
	v_cndmask_b32_e64 v0, v67, v69, s0
	s_delay_alu instid0(VALU_DEP_3) | instskip(NEXT) | instid1(VALU_DEP_3)
	v_cndmask_b32_e64 v65, v68, v70, s0
	v_cndmask_b32_e64 v66, v64, v70, s0
	s_delay_alu instid0(VALU_DEP_4) | instskip(NEXT) | instid1(VALU_DEP_4)
	v_cndmask_b32_e64 v67, v63, v69, s0
	v_cndmask_b32_e64 v63, v0, v1, s33
	s_delay_alu instid0(VALU_DEP_4) | instskip(NEXT) | instid1(VALU_DEP_4)
	v_cndmask_b32_e64 v64, v65, v2, s33
	v_cndmask_b32_e64 v2, v66, v2, s33
	s_delay_alu instid0(VALU_DEP_4) | instskip(NEXT) | instid1(VALU_DEP_3)
	v_cndmask_b32_e64 v1, v67, v1, s33
	v_cmp_class_f64_e64 s1, v[63:64], 0x1f8
	s_delay_alu instid0(VALU_DEP_2) | instskip(NEXT) | instid1(VALU_DEP_1)
	v_cmp_neq_f64_e64 s0, v[63:64], v[1:2]
	s_or_b32 s0, s0, s1
	s_delay_alu instid0(SALU_CYCLE_1)
	s_and_saveexec_b32 s33, s0
	s_cbranch_execz .LBB46_105
; %bb.104:
	v_add_f64 v[63:64], v[63:64], -v[1:2]
	s_mov_b32 s0, 0x652b82fe
	s_mov_b32 s1, 0x3ff71547
	;; [unrolled: 1-line block ×10, first 2 shown]
	s_delay_alu instid0(VALU_DEP_1) | instskip(SKIP_2) | instid1(VALU_DEP_1)
	v_mul_f64 v[65:66], v[63:64], s[0:1]
	s_mov_b32 s0, 0xfca7ab0c
	s_mov_b32 s1, 0x3e928af3
	v_rndne_f64_e32 v[65:66], v[65:66]
	s_delay_alu instid0(VALU_DEP_1) | instskip(SKIP_2) | instid1(VALU_DEP_2)
	v_fma_f64 v[67:68], v[65:66], s[36:37], v[63:64]
	v_cvt_i32_f64_e32 v0, v[65:66]
	s_mov_b32 s37, 0x3fe62e42
	v_fma_f64 v[67:68], v[65:66], s[38:39], v[67:68]
	s_mov_b32 s39, 0x3c7abc9e
	s_delay_alu instid0(VALU_DEP_1) | instskip(SKIP_4) | instid1(VALU_DEP_1)
	v_fma_f64 v[69:70], v[67:68], s[42:43], s[0:1]
	s_mov_b32 s0, 0x623fde64
	s_mov_b32 s1, 0x3ec71dee
	;; [unrolled: 1-line block ×4, first 2 shown]
	v_fma_f64 v[69:70], v[67:68], v[69:70], s[0:1]
	s_mov_b32 s0, 0x7c89e6b0
	s_mov_b32 s1, 0x3efa0199
	s_delay_alu instid0(VALU_DEP_1) | instid1(SALU_CYCLE_1)
	v_fma_f64 v[69:70], v[67:68], v[69:70], s[0:1]
	s_mov_b32 s0, 0x14761f6e
	s_mov_b32 s1, 0x3f2a01a0
	s_delay_alu instid0(VALU_DEP_1) | instid1(SALU_CYCLE_1)
	;; [unrolled: 4-line block ×7, first 2 shown]
	v_fma_f64 v[69:70], v[67:68], v[69:70], s[0:1]
	v_cmp_nlt_f64_e64 s0, 0x40900000, v[63:64]
	v_cmp_ngt_f64_e64 s1, 0xc090cc00, v[63:64]
	s_delay_alu instid0(VALU_DEP_3) | instskip(NEXT) | instid1(VALU_DEP_1)
	v_fma_f64 v[69:70], v[67:68], v[69:70], 1.0
	v_fma_f64 v[65:66], v[67:68], v[69:70], 1.0
	s_delay_alu instid0(VALU_DEP_1) | instskip(NEXT) | instid1(VALU_DEP_1)
	v_ldexp_f64 v[65:66], v[65:66], v0
	v_cndmask_b32_e64 v0, 0x7ff00000, v66, s0
	s_and_b32 s0, s1, s0
	s_delay_alu instid0(VALU_DEP_2) | instid1(SALU_CYCLE_1)
	v_cndmask_b32_e64 v63, 0, v65, s0
	s_mov_b32 s0, 0x55555555
	s_delay_alu instid0(VALU_DEP_2) | instskip(SKIP_1) | instid1(VALU_DEP_1)
	v_cndmask_b32_e64 v64, 0, v0, s1
	s_mov_b32 s1, 0x3fe55555
	v_add_f64 v[65:66], v[63:64], 1.0
	s_delay_alu instid0(VALU_DEP_1) | instskip(SKIP_2) | instid1(VALU_DEP_3)
	v_frexp_mant_f64_e32 v[67:68], v[65:66]
	v_frexp_exp_i32_f64_e32 v0, v[65:66]
	v_add_f64 v[69:70], v[65:66], -1.0
	v_cmp_gt_f64_e64 s0, s[0:1], v[67:68]
	s_delay_alu instid0(VALU_DEP_2) | instskip(SKIP_1) | instid1(VALU_DEP_3)
	v_add_f64 v[67:68], v[69:70], -v[65:66]
	v_add_f64 v[69:70], v[63:64], -v[69:70]
	v_subrev_co_ci_u32_e64 v0, s0, 0, v0, s0
	s_delay_alu instid0(VALU_DEP_3) | instskip(SKIP_1) | instid1(VALU_DEP_2)
	v_add_f64 v[67:68], v[67:68], 1.0
	s_mov_b32 s0, 0x55555780
	v_sub_nc_u32_e32 v73, 0, v0
	s_delay_alu instid0(VALU_DEP_1) | instskip(NEXT) | instid1(VALU_DEP_3)
	v_ldexp_f64 v[65:66], v[65:66], v73
	v_add_f64 v[67:68], v[69:70], v[67:68]
	s_delay_alu instid0(VALU_DEP_2) | instskip(SKIP_1) | instid1(VALU_DEP_3)
	v_add_f64 v[71:72], v[65:66], 1.0
	v_add_f64 v[95:96], v[65:66], -1.0
	v_ldexp_f64 v[67:68], v[67:68], v73
	s_delay_alu instid0(VALU_DEP_3) | instskip(NEXT) | instid1(VALU_DEP_3)
	v_add_f64 v[69:70], v[71:72], -1.0
	v_add_f64 v[97:98], v[95:96], 1.0
	s_delay_alu instid0(VALU_DEP_2) | instskip(NEXT) | instid1(VALU_DEP_2)
	v_add_f64 v[69:70], v[65:66], -v[69:70]
	v_add_f64 v[65:66], v[65:66], -v[97:98]
	s_delay_alu instid0(VALU_DEP_2) | instskip(NEXT) | instid1(VALU_DEP_2)
	v_add_f64 v[69:70], v[67:68], v[69:70]
	v_add_f64 v[65:66], v[67:68], v[65:66]
	s_delay_alu instid0(VALU_DEP_2) | instskip(NEXT) | instid1(VALU_DEP_2)
	v_add_f64 v[73:74], v[71:72], v[69:70]
	v_add_f64 v[97:98], v[95:96], v[65:66]
	s_delay_alu instid0(VALU_DEP_2) | instskip(SKIP_1) | instid1(VALU_DEP_2)
	v_rcp_f64_e32 v[75:76], v[73:74]
	v_add_f64 v[71:72], v[73:74], -v[71:72]
	v_add_f64 v[95:96], v[97:98], -v[95:96]
	s_delay_alu instid0(VALU_DEP_2) | instskip(SKIP_3) | instid1(VALU_DEP_2)
	v_add_f64 v[69:70], v[69:70], -v[71:72]
	s_waitcnt_depctr 0xfff
	v_fma_f64 v[99:100], -v[73:74], v[75:76], 1.0
	v_add_f64 v[65:66], v[65:66], -v[95:96]
	v_fma_f64 v[75:76], v[99:100], v[75:76], v[75:76]
	s_delay_alu instid0(VALU_DEP_1) | instskip(NEXT) | instid1(VALU_DEP_1)
	v_fma_f64 v[67:68], -v[73:74], v[75:76], 1.0
	v_fma_f64 v[67:68], v[67:68], v[75:76], v[75:76]
	s_delay_alu instid0(VALU_DEP_1) | instskip(NEXT) | instid1(VALU_DEP_1)
	v_mul_f64 v[75:76], v[97:98], v[67:68]
	v_mul_f64 v[99:100], v[73:74], v[75:76]
	s_delay_alu instid0(VALU_DEP_1) | instskip(NEXT) | instid1(VALU_DEP_1)
	v_fma_f64 v[71:72], v[75:76], v[73:74], -v[99:100]
	v_fma_f64 v[71:72], v[75:76], v[69:70], v[71:72]
	s_delay_alu instid0(VALU_DEP_1) | instskip(NEXT) | instid1(VALU_DEP_1)
	v_add_f64 v[101:102], v[99:100], v[71:72]
	v_add_f64 v[103:104], v[97:98], -v[101:102]
	v_add_f64 v[95:96], v[101:102], -v[99:100]
	s_delay_alu instid0(VALU_DEP_2) | instskip(NEXT) | instid1(VALU_DEP_2)
	v_add_f64 v[97:98], v[97:98], -v[103:104]
	v_add_f64 v[71:72], v[95:96], -v[71:72]
	s_delay_alu instid0(VALU_DEP_2) | instskip(NEXT) | instid1(VALU_DEP_1)
	v_add_f64 v[97:98], v[97:98], -v[101:102]
	v_add_f64 v[65:66], v[65:66], v[97:98]
	s_delay_alu instid0(VALU_DEP_1) | instskip(NEXT) | instid1(VALU_DEP_1)
	v_add_f64 v[65:66], v[71:72], v[65:66]
	v_add_f64 v[71:72], v[103:104], v[65:66]
	s_delay_alu instid0(VALU_DEP_1) | instskip(SKIP_1) | instid1(VALU_DEP_2)
	v_mul_f64 v[95:96], v[67:68], v[71:72]
	v_add_f64 v[101:102], v[103:104], -v[71:72]
	v_mul_f64 v[97:98], v[73:74], v[95:96]
	s_delay_alu instid0(VALU_DEP_2) | instskip(NEXT) | instid1(VALU_DEP_2)
	v_add_f64 v[65:66], v[65:66], v[101:102]
	v_fma_f64 v[73:74], v[95:96], v[73:74], -v[97:98]
	s_delay_alu instid0(VALU_DEP_1) | instskip(NEXT) | instid1(VALU_DEP_1)
	v_fma_f64 v[69:70], v[95:96], v[69:70], v[73:74]
	v_add_f64 v[73:74], v[97:98], v[69:70]
	s_delay_alu instid0(VALU_DEP_1) | instskip(SKIP_1) | instid1(VALU_DEP_2)
	v_add_f64 v[99:100], v[71:72], -v[73:74]
	v_add_f64 v[97:98], v[73:74], -v[97:98]
	;; [unrolled: 1-line block ×3, first 2 shown]
	s_delay_alu instid0(VALU_DEP_2) | instskip(NEXT) | instid1(VALU_DEP_2)
	v_add_f64 v[69:70], v[97:98], -v[69:70]
	v_add_f64 v[71:72], v[71:72], -v[73:74]
	s_delay_alu instid0(VALU_DEP_1) | instskip(SKIP_1) | instid1(VALU_DEP_2)
	v_add_f64 v[65:66], v[65:66], v[71:72]
	v_add_f64 v[71:72], v[75:76], v[95:96]
	v_add_f64 v[65:66], v[69:70], v[65:66]
	s_delay_alu instid0(VALU_DEP_2) | instskip(NEXT) | instid1(VALU_DEP_2)
	v_add_f64 v[69:70], v[71:72], -v[75:76]
	v_add_f64 v[65:66], v[99:100], v[65:66]
	s_delay_alu instid0(VALU_DEP_2) | instskip(NEXT) | instid1(VALU_DEP_2)
	v_add_f64 v[69:70], v[95:96], -v[69:70]
	v_mul_f64 v[65:66], v[67:68], v[65:66]
	s_delay_alu instid0(VALU_DEP_1) | instskip(NEXT) | instid1(VALU_DEP_1)
	v_add_f64 v[65:66], v[69:70], v[65:66]
	v_add_f64 v[67:68], v[71:72], v[65:66]
	s_delay_alu instid0(VALU_DEP_1) | instskip(NEXT) | instid1(VALU_DEP_1)
	v_mul_f64 v[69:70], v[67:68], v[67:68]
	v_fma_f64 v[73:74], v[69:70], s[44:45], s[42:43]
	s_mov_b32 s42, 0xd7f4df2e
	s_mov_b32 s43, 0x3fc7474d
	v_mul_f64 v[75:76], v[67:68], v[69:70]
	s_delay_alu instid0(VALU_DEP_2)
	v_fma_f64 v[73:74], v[69:70], v[73:74], s[42:43]
	s_mov_b32 s42, 0x16291751
	s_mov_b32 s43, 0x3fcc71c0
	s_delay_alu instid0(VALU_DEP_1) | instid1(SALU_CYCLE_1)
	v_fma_f64 v[73:74], v[69:70], v[73:74], s[42:43]
	s_mov_b32 s42, 0x9b27acf1
	s_mov_b32 s43, 0x3fd24924
	s_delay_alu instid0(VALU_DEP_1) | instid1(SALU_CYCLE_1)
	;; [unrolled: 4-line block ×3, first 2 shown]
	v_fma_f64 v[73:74], v[69:70], v[73:74], s[42:43]
	s_delay_alu instid0(VALU_DEP_1) | instskip(SKIP_3) | instid1(VALU_DEP_4)
	v_fma_f64 v[69:70], v[69:70], v[73:74], s[0:1]
	v_ldexp_f64 v[73:74], v[67:68], 1
	v_add_f64 v[67:68], v[67:68], -v[71:72]
	v_cmp_eq_f64_e64 s0, 0x7ff00000, v[63:64]
	v_mul_f64 v[69:70], v[75:76], v[69:70]
	v_cvt_f64_i32_e32 v[75:76], v0
	s_delay_alu instid0(VALU_DEP_4) | instskip(NEXT) | instid1(VALU_DEP_3)
	v_add_f64 v[65:66], v[65:66], -v[67:68]
	v_add_f64 v[71:72], v[73:74], v[69:70]
	s_delay_alu instid0(VALU_DEP_3) | instskip(NEXT) | instid1(VALU_DEP_3)
	v_mul_f64 v[95:96], v[75:76], s[36:37]
	v_ldexp_f64 v[65:66], v[65:66], 1
	s_delay_alu instid0(VALU_DEP_3) | instskip(NEXT) | instid1(VALU_DEP_3)
	v_add_f64 v[67:68], v[71:72], -v[73:74]
	v_fma_f64 v[73:74], v[75:76], s[36:37], -v[95:96]
	s_delay_alu instid0(VALU_DEP_2) | instskip(NEXT) | instid1(VALU_DEP_2)
	v_add_f64 v[67:68], v[69:70], -v[67:68]
	v_fma_f64 v[69:70], v[75:76], s[38:39], v[73:74]
	s_delay_alu instid0(VALU_DEP_2) | instskip(NEXT) | instid1(VALU_DEP_2)
	v_add_f64 v[65:66], v[65:66], v[67:68]
	v_add_f64 v[67:68], v[95:96], v[69:70]
	s_delay_alu instid0(VALU_DEP_2) | instskip(NEXT) | instid1(VALU_DEP_2)
	v_add_f64 v[73:74], v[71:72], v[65:66]
	v_add_f64 v[95:96], v[67:68], -v[95:96]
	s_delay_alu instid0(VALU_DEP_2) | instskip(SKIP_1) | instid1(VALU_DEP_3)
	v_add_f64 v[75:76], v[67:68], v[73:74]
	v_add_f64 v[71:72], v[73:74], -v[71:72]
	v_add_f64 v[69:70], v[69:70], -v[95:96]
	s_delay_alu instid0(VALU_DEP_3) | instskip(NEXT) | instid1(VALU_DEP_3)
	v_add_f64 v[97:98], v[75:76], -v[67:68]
	v_add_f64 v[65:66], v[65:66], -v[71:72]
	s_delay_alu instid0(VALU_DEP_2) | instskip(SKIP_1) | instid1(VALU_DEP_3)
	v_add_f64 v[99:100], v[75:76], -v[97:98]
	v_add_f64 v[71:72], v[73:74], -v[97:98]
	v_add_f64 v[73:74], v[69:70], v[65:66]
	s_delay_alu instid0(VALU_DEP_3) | instskip(NEXT) | instid1(VALU_DEP_1)
	v_add_f64 v[67:68], v[67:68], -v[99:100]
	v_add_f64 v[67:68], v[71:72], v[67:68]
	s_delay_alu instid0(VALU_DEP_3) | instskip(NEXT) | instid1(VALU_DEP_2)
	v_add_f64 v[71:72], v[73:74], -v[69:70]
	v_add_f64 v[67:68], v[73:74], v[67:68]
	s_delay_alu instid0(VALU_DEP_2) | instskip(SKIP_1) | instid1(VALU_DEP_3)
	v_add_f64 v[73:74], v[73:74], -v[71:72]
	v_add_f64 v[65:66], v[65:66], -v[71:72]
	v_add_f64 v[95:96], v[75:76], v[67:68]
	s_delay_alu instid0(VALU_DEP_3) | instskip(NEXT) | instid1(VALU_DEP_2)
	v_add_f64 v[69:70], v[69:70], -v[73:74]
	v_add_f64 v[71:72], v[95:96], -v[75:76]
	s_delay_alu instid0(VALU_DEP_2) | instskip(NEXT) | instid1(VALU_DEP_2)
	v_add_f64 v[65:66], v[65:66], v[69:70]
	v_add_f64 v[67:68], v[67:68], -v[71:72]
	s_delay_alu instid0(VALU_DEP_1) | instskip(NEXT) | instid1(VALU_DEP_1)
	v_add_f64 v[65:66], v[65:66], v[67:68]
	v_add_f64 v[65:66], v[95:96], v[65:66]
	s_delay_alu instid0(VALU_DEP_1) | instskip(NEXT) | instid1(VALU_DEP_2)
	v_cndmask_b32_e64 v0, v65, v63, s0
	v_cndmask_b32_e64 v65, v66, v64, s0
	v_cmp_ngt_f64_e64 s0, -1.0, v[63:64]
	s_delay_alu instid0(VALU_DEP_1) | instskip(SKIP_1) | instid1(VALU_DEP_1)
	v_cndmask_b32_e64 v66, 0x7ff80000, v65, s0
	v_cmp_nge_f64_e64 s0, -1.0, v[63:64]
	v_cndmask_b32_e64 v65, 0, v0, s0
	v_cmp_neq_f64_e64 s0, -1.0, v[63:64]
	s_delay_alu instid0(VALU_DEP_1) | instskip(NEXT) | instid1(VALU_DEP_1)
	v_cndmask_b32_e64 v66, 0xfff00000, v66, s0
	v_add_f64 v[69:70], v[1:2], v[65:66]
.LBB46_105:
	s_or_b32 exec_lo, exec_lo, s33
	s_delay_alu instid0(VALU_DEP_1) | instskip(SKIP_1) | instid1(VALU_DEP_1)
	v_max_f64 v[0:1], v[69:70], v[69:70]
	;;#ASMSTART
	;;#ASMEND
	v_min_f64 v[65:66], v[0:1], v[35:36]
	v_max_f64 v[67:68], v[0:1], v[35:36]
	v_dual_mov_b32 v1, v69 :: v_dual_mov_b32 v2, v70
.LBB46_106:
	s_or_b32 exec_lo, exec_lo, s40
	s_delay_alu instid0(VALU_DEP_1) | instskip(NEXT) | instid1(VALU_DEP_1)
	v_cmp_u_f64_e64 s0, v[1:2], v[1:2]
	v_cndmask_b32_e64 v0, v65, v1, s0
	v_cndmask_b32_e64 v35, v66, v2, s0
	v_cndmask_b32_e64 v36, v68, v2, s0
	v_cndmask_b32_e64 v65, v67, v1, s0
	s_delay_alu instid0(VALU_DEP_4) | instskip(NEXT) | instid1(VALU_DEP_4)
	v_cndmask_b32_e64 v63, v0, v3, s17
	v_cndmask_b32_e64 v64, v35, v4, s17
	s_delay_alu instid0(VALU_DEP_4) | instskip(NEXT) | instid1(VALU_DEP_4)
	v_cndmask_b32_e64 v36, v36, v4, s17
	v_cndmask_b32_e64 v35, v65, v3, s17
	v_dual_mov_b32 v4, v2 :: v_dual_mov_b32 v3, v1
	s_delay_alu instid0(VALU_DEP_4) | instskip(NEXT) | instid1(VALU_DEP_3)
	v_cmp_class_f64_e64 s1, v[63:64], 0x1f8
	v_cmp_neq_f64_e64 s0, v[63:64], v[35:36]
	s_delay_alu instid0(VALU_DEP_1) | instskip(NEXT) | instid1(SALU_CYCLE_1)
	s_or_b32 s0, s0, s1
	s_and_saveexec_b32 s17, s0
	s_cbranch_execz .LBB46_108
; %bb.107:
	v_add_f64 v[3:4], v[63:64], -v[35:36]
	s_mov_b32 s0, 0x652b82fe
	s_mov_b32 s1, 0x3ff71547
	;; [unrolled: 1-line block ×10, first 2 shown]
	s_delay_alu instid0(VALU_DEP_1) | instskip(SKIP_2) | instid1(VALU_DEP_1)
	v_mul_f64 v[63:64], v[3:4], s[0:1]
	s_mov_b32 s0, 0xfca7ab0c
	s_mov_b32 s1, 0x3e928af3
	v_rndne_f64_e32 v[63:64], v[63:64]
	s_delay_alu instid0(VALU_DEP_1) | instskip(SKIP_2) | instid1(VALU_DEP_2)
	v_fma_f64 v[65:66], v[63:64], s[36:37], v[3:4]
	v_cvt_i32_f64_e32 v0, v[63:64]
	s_mov_b32 s37, 0x3fe62e42
	v_fma_f64 v[65:66], v[63:64], s[38:39], v[65:66]
	s_mov_b32 s39, 0x3c7abc9e
	s_delay_alu instid0(VALU_DEP_1) | instskip(SKIP_4) | instid1(VALU_DEP_1)
	v_fma_f64 v[67:68], v[65:66], s[40:41], s[0:1]
	s_mov_b32 s0, 0x623fde64
	s_mov_b32 s1, 0x3ec71dee
	;; [unrolled: 1-line block ×4, first 2 shown]
	v_fma_f64 v[67:68], v[65:66], v[67:68], s[0:1]
	s_mov_b32 s0, 0x7c89e6b0
	s_mov_b32 s1, 0x3efa0199
	s_delay_alu instid0(VALU_DEP_1) | instid1(SALU_CYCLE_1)
	v_fma_f64 v[67:68], v[65:66], v[67:68], s[0:1]
	s_mov_b32 s0, 0x14761f6e
	s_mov_b32 s1, 0x3f2a01a0
	s_delay_alu instid0(VALU_DEP_1) | instid1(SALU_CYCLE_1)
	;; [unrolled: 4-line block ×7, first 2 shown]
	v_fma_f64 v[67:68], v[65:66], v[67:68], s[0:1]
	v_cmp_nlt_f64_e64 s0, 0x40900000, v[3:4]
	v_cmp_ngt_f64_e64 s1, 0xc090cc00, v[3:4]
	s_delay_alu instid0(VALU_DEP_3) | instskip(NEXT) | instid1(VALU_DEP_1)
	v_fma_f64 v[67:68], v[65:66], v[67:68], 1.0
	v_fma_f64 v[63:64], v[65:66], v[67:68], 1.0
	s_delay_alu instid0(VALU_DEP_1) | instskip(NEXT) | instid1(VALU_DEP_1)
	v_ldexp_f64 v[63:64], v[63:64], v0
	v_cndmask_b32_e64 v0, 0x7ff00000, v64, s0
	s_and_b32 s0, s1, s0
	s_delay_alu instid0(VALU_DEP_2) | instid1(SALU_CYCLE_1)
	v_cndmask_b32_e64 v3, 0, v63, s0
	s_mov_b32 s0, 0x55555555
	s_delay_alu instid0(VALU_DEP_2) | instskip(SKIP_1) | instid1(VALU_DEP_1)
	v_cndmask_b32_e64 v4, 0, v0, s1
	s_mov_b32 s1, 0x3fe55555
	v_add_f64 v[63:64], v[3:4], 1.0
	s_delay_alu instid0(VALU_DEP_1) | instskip(SKIP_2) | instid1(VALU_DEP_3)
	v_frexp_mant_f64_e32 v[65:66], v[63:64]
	v_frexp_exp_i32_f64_e32 v0, v[63:64]
	v_add_f64 v[67:68], v[63:64], -1.0
	v_cmp_gt_f64_e64 s0, s[0:1], v[65:66]
	s_delay_alu instid0(VALU_DEP_2) | instskip(SKIP_1) | instid1(VALU_DEP_3)
	v_add_f64 v[65:66], v[67:68], -v[63:64]
	v_add_f64 v[67:68], v[3:4], -v[67:68]
	v_subrev_co_ci_u32_e64 v0, s0, 0, v0, s0
	s_delay_alu instid0(VALU_DEP_3) | instskip(SKIP_1) | instid1(VALU_DEP_2)
	v_add_f64 v[65:66], v[65:66], 1.0
	s_mov_b32 s0, 0x55555780
	v_sub_nc_u32_e32 v71, 0, v0
	s_delay_alu instid0(VALU_DEP_1) | instskip(NEXT) | instid1(VALU_DEP_3)
	v_ldexp_f64 v[63:64], v[63:64], v71
	v_add_f64 v[65:66], v[67:68], v[65:66]
	s_waitcnt lgkmcnt(0)
	s_delay_alu instid0(VALU_DEP_2) | instskip(SKIP_1) | instid1(VALU_DEP_3)
	v_add_f64 v[69:70], v[63:64], 1.0
	v_add_f64 v[75:76], v[63:64], -1.0
	v_ldexp_f64 v[65:66], v[65:66], v71
	s_delay_alu instid0(VALU_DEP_3) | instskip(NEXT) | instid1(VALU_DEP_3)
	v_add_f64 v[67:68], v[69:70], -1.0
	v_add_f64 v[95:96], v[75:76], 1.0
	s_delay_alu instid0(VALU_DEP_2) | instskip(NEXT) | instid1(VALU_DEP_2)
	v_add_f64 v[67:68], v[63:64], -v[67:68]
	v_add_f64 v[63:64], v[63:64], -v[95:96]
	s_delay_alu instid0(VALU_DEP_2) | instskip(NEXT) | instid1(VALU_DEP_2)
	v_add_f64 v[67:68], v[65:66], v[67:68]
	v_add_f64 v[63:64], v[65:66], v[63:64]
	s_delay_alu instid0(VALU_DEP_2) | instskip(NEXT) | instid1(VALU_DEP_2)
	v_add_f64 v[71:72], v[69:70], v[67:68]
	v_add_f64 v[95:96], v[75:76], v[63:64]
	s_delay_alu instid0(VALU_DEP_2) | instskip(SKIP_1) | instid1(VALU_DEP_2)
	v_rcp_f64_e32 v[73:74], v[71:72]
	v_add_f64 v[69:70], v[71:72], -v[69:70]
	v_add_f64 v[75:76], v[95:96], -v[75:76]
	s_delay_alu instid0(VALU_DEP_2) | instskip(SKIP_3) | instid1(VALU_DEP_2)
	v_add_f64 v[67:68], v[67:68], -v[69:70]
	s_waitcnt_depctr 0xfff
	v_fma_f64 v[97:98], -v[71:72], v[73:74], 1.0
	v_add_f64 v[63:64], v[63:64], -v[75:76]
	v_fma_f64 v[73:74], v[97:98], v[73:74], v[73:74]
	s_delay_alu instid0(VALU_DEP_1) | instskip(NEXT) | instid1(VALU_DEP_1)
	v_fma_f64 v[65:66], -v[71:72], v[73:74], 1.0
	v_fma_f64 v[65:66], v[65:66], v[73:74], v[73:74]
	s_delay_alu instid0(VALU_DEP_1) | instskip(NEXT) | instid1(VALU_DEP_1)
	v_mul_f64 v[73:74], v[95:96], v[65:66]
	v_mul_f64 v[97:98], v[71:72], v[73:74]
	s_delay_alu instid0(VALU_DEP_1) | instskip(NEXT) | instid1(VALU_DEP_1)
	v_fma_f64 v[69:70], v[73:74], v[71:72], -v[97:98]
	v_fma_f64 v[69:70], v[73:74], v[67:68], v[69:70]
	s_delay_alu instid0(VALU_DEP_1) | instskip(NEXT) | instid1(VALU_DEP_1)
	v_add_f64 v[99:100], v[97:98], v[69:70]
	v_add_f64 v[101:102], v[95:96], -v[99:100]
	v_add_f64 v[75:76], v[99:100], -v[97:98]
	s_delay_alu instid0(VALU_DEP_2) | instskip(NEXT) | instid1(VALU_DEP_2)
	v_add_f64 v[95:96], v[95:96], -v[101:102]
	v_add_f64 v[69:70], v[75:76], -v[69:70]
	s_delay_alu instid0(VALU_DEP_2) | instskip(NEXT) | instid1(VALU_DEP_1)
	v_add_f64 v[95:96], v[95:96], -v[99:100]
	v_add_f64 v[63:64], v[63:64], v[95:96]
	s_delay_alu instid0(VALU_DEP_1) | instskip(NEXT) | instid1(VALU_DEP_1)
	v_add_f64 v[63:64], v[69:70], v[63:64]
	v_add_f64 v[69:70], v[101:102], v[63:64]
	s_delay_alu instid0(VALU_DEP_1) | instskip(SKIP_1) | instid1(VALU_DEP_2)
	v_mul_f64 v[75:76], v[65:66], v[69:70]
	v_add_f64 v[99:100], v[101:102], -v[69:70]
	v_mul_f64 v[95:96], v[71:72], v[75:76]
	s_delay_alu instid0(VALU_DEP_2) | instskip(NEXT) | instid1(VALU_DEP_2)
	v_add_f64 v[63:64], v[63:64], v[99:100]
	v_fma_f64 v[71:72], v[75:76], v[71:72], -v[95:96]
	s_delay_alu instid0(VALU_DEP_1) | instskip(NEXT) | instid1(VALU_DEP_1)
	v_fma_f64 v[67:68], v[75:76], v[67:68], v[71:72]
	v_add_f64 v[71:72], v[95:96], v[67:68]
	s_delay_alu instid0(VALU_DEP_1) | instskip(SKIP_1) | instid1(VALU_DEP_2)
	v_add_f64 v[97:98], v[69:70], -v[71:72]
	v_add_f64 v[95:96], v[71:72], -v[95:96]
	;; [unrolled: 1-line block ×3, first 2 shown]
	s_delay_alu instid0(VALU_DEP_2) | instskip(NEXT) | instid1(VALU_DEP_2)
	v_add_f64 v[67:68], v[95:96], -v[67:68]
	v_add_f64 v[69:70], v[69:70], -v[71:72]
	s_delay_alu instid0(VALU_DEP_1) | instskip(SKIP_1) | instid1(VALU_DEP_2)
	v_add_f64 v[63:64], v[63:64], v[69:70]
	v_add_f64 v[69:70], v[73:74], v[75:76]
	;; [unrolled: 1-line block ×3, first 2 shown]
	s_delay_alu instid0(VALU_DEP_2) | instskip(NEXT) | instid1(VALU_DEP_2)
	v_add_f64 v[67:68], v[69:70], -v[73:74]
	v_add_f64 v[63:64], v[97:98], v[63:64]
	s_delay_alu instid0(VALU_DEP_2) | instskip(NEXT) | instid1(VALU_DEP_2)
	v_add_f64 v[67:68], v[75:76], -v[67:68]
	v_mul_f64 v[63:64], v[65:66], v[63:64]
	s_delay_alu instid0(VALU_DEP_1) | instskip(NEXT) | instid1(VALU_DEP_1)
	v_add_f64 v[63:64], v[67:68], v[63:64]
	v_add_f64 v[65:66], v[69:70], v[63:64]
	s_delay_alu instid0(VALU_DEP_1) | instskip(NEXT) | instid1(VALU_DEP_1)
	v_mul_f64 v[67:68], v[65:66], v[65:66]
	v_fma_f64 v[71:72], v[67:68], s[42:43], s[40:41]
	s_mov_b32 s40, 0xd7f4df2e
	s_mov_b32 s41, 0x3fc7474d
	v_mul_f64 v[73:74], v[65:66], v[67:68]
	s_delay_alu instid0(VALU_DEP_2)
	v_fma_f64 v[71:72], v[67:68], v[71:72], s[40:41]
	s_mov_b32 s40, 0x16291751
	s_mov_b32 s41, 0x3fcc71c0
	s_delay_alu instid0(VALU_DEP_1) | instid1(SALU_CYCLE_1)
	v_fma_f64 v[71:72], v[67:68], v[71:72], s[40:41]
	s_mov_b32 s40, 0x9b27acf1
	s_mov_b32 s41, 0x3fd24924
	s_delay_alu instid0(VALU_DEP_1) | instid1(SALU_CYCLE_1)
	v_fma_f64 v[71:72], v[67:68], v[71:72], s[40:41]
	s_mov_b32 s40, 0x998ef7b6
	s_mov_b32 s41, 0x3fd99999
	s_delay_alu instid0(VALU_DEP_1) | instid1(SALU_CYCLE_1)
	v_fma_f64 v[71:72], v[67:68], v[71:72], s[40:41]
	s_delay_alu instid0(VALU_DEP_1) | instskip(SKIP_3) | instid1(VALU_DEP_4)
	v_fma_f64 v[67:68], v[67:68], v[71:72], s[0:1]
	v_ldexp_f64 v[71:72], v[65:66], 1
	v_add_f64 v[65:66], v[65:66], -v[69:70]
	v_cmp_eq_f64_e64 s0, 0x7ff00000, v[3:4]
	v_mul_f64 v[67:68], v[73:74], v[67:68]
	v_cvt_f64_i32_e32 v[73:74], v0
	s_delay_alu instid0(VALU_DEP_4) | instskip(NEXT) | instid1(VALU_DEP_3)
	v_add_f64 v[63:64], v[63:64], -v[65:66]
	v_add_f64 v[69:70], v[71:72], v[67:68]
	s_delay_alu instid0(VALU_DEP_3) | instskip(NEXT) | instid1(VALU_DEP_3)
	v_mul_f64 v[75:76], v[73:74], s[36:37]
	v_ldexp_f64 v[63:64], v[63:64], 1
	s_delay_alu instid0(VALU_DEP_3) | instskip(NEXT) | instid1(VALU_DEP_3)
	v_add_f64 v[65:66], v[69:70], -v[71:72]
	v_fma_f64 v[71:72], v[73:74], s[36:37], -v[75:76]
	s_delay_alu instid0(VALU_DEP_2) | instskip(NEXT) | instid1(VALU_DEP_2)
	v_add_f64 v[65:66], v[67:68], -v[65:66]
	v_fma_f64 v[67:68], v[73:74], s[38:39], v[71:72]
	s_delay_alu instid0(VALU_DEP_2) | instskip(NEXT) | instid1(VALU_DEP_2)
	v_add_f64 v[63:64], v[63:64], v[65:66]
	v_add_f64 v[65:66], v[75:76], v[67:68]
	s_delay_alu instid0(VALU_DEP_2) | instskip(NEXT) | instid1(VALU_DEP_2)
	v_add_f64 v[71:72], v[69:70], v[63:64]
	v_add_f64 v[75:76], v[65:66], -v[75:76]
	s_delay_alu instid0(VALU_DEP_2) | instskip(SKIP_1) | instid1(VALU_DEP_3)
	v_add_f64 v[73:74], v[65:66], v[71:72]
	v_add_f64 v[69:70], v[71:72], -v[69:70]
	v_add_f64 v[67:68], v[67:68], -v[75:76]
	s_delay_alu instid0(VALU_DEP_3) | instskip(NEXT) | instid1(VALU_DEP_3)
	v_add_f64 v[95:96], v[73:74], -v[65:66]
	v_add_f64 v[63:64], v[63:64], -v[69:70]
	s_delay_alu instid0(VALU_DEP_2) | instskip(SKIP_1) | instid1(VALU_DEP_3)
	v_add_f64 v[97:98], v[73:74], -v[95:96]
	v_add_f64 v[69:70], v[71:72], -v[95:96]
	v_add_f64 v[71:72], v[67:68], v[63:64]
	s_delay_alu instid0(VALU_DEP_3) | instskip(NEXT) | instid1(VALU_DEP_1)
	v_add_f64 v[65:66], v[65:66], -v[97:98]
	v_add_f64 v[65:66], v[69:70], v[65:66]
	s_delay_alu instid0(VALU_DEP_3) | instskip(NEXT) | instid1(VALU_DEP_2)
	v_add_f64 v[69:70], v[71:72], -v[67:68]
	v_add_f64 v[65:66], v[71:72], v[65:66]
	s_delay_alu instid0(VALU_DEP_2) | instskip(SKIP_1) | instid1(VALU_DEP_3)
	v_add_f64 v[71:72], v[71:72], -v[69:70]
	v_add_f64 v[63:64], v[63:64], -v[69:70]
	v_add_f64 v[75:76], v[73:74], v[65:66]
	s_delay_alu instid0(VALU_DEP_3) | instskip(NEXT) | instid1(VALU_DEP_2)
	v_add_f64 v[67:68], v[67:68], -v[71:72]
	v_add_f64 v[69:70], v[75:76], -v[73:74]
	s_delay_alu instid0(VALU_DEP_2) | instskip(NEXT) | instid1(VALU_DEP_2)
	v_add_f64 v[63:64], v[63:64], v[67:68]
	v_add_f64 v[65:66], v[65:66], -v[69:70]
	s_delay_alu instid0(VALU_DEP_1) | instskip(NEXT) | instid1(VALU_DEP_1)
	v_add_f64 v[63:64], v[63:64], v[65:66]
	v_add_f64 v[63:64], v[75:76], v[63:64]
	s_delay_alu instid0(VALU_DEP_1) | instskip(NEXT) | instid1(VALU_DEP_2)
	v_cndmask_b32_e64 v0, v63, v3, s0
	v_cndmask_b32_e64 v63, v64, v4, s0
	v_cmp_ngt_f64_e64 s0, -1.0, v[3:4]
	s_delay_alu instid0(VALU_DEP_1) | instskip(SKIP_1) | instid1(VALU_DEP_1)
	v_cndmask_b32_e64 v64, 0x7ff80000, v63, s0
	v_cmp_nge_f64_e64 s0, -1.0, v[3:4]
	v_cndmask_b32_e64 v63, 0, v0, s0
	v_cmp_neq_f64_e64 s0, -1.0, v[3:4]
	s_delay_alu instid0(VALU_DEP_1) | instskip(NEXT) | instid1(VALU_DEP_1)
	v_cndmask_b32_e64 v64, 0xfff00000, v64, s0
	v_add_f64 v[3:4], v[35:36], v[63:64]
.LBB46_108:
	s_or_b32 exec_lo, exec_lo, s17
	s_delay_alu instid0(VALU_DEP_1) | instskip(SKIP_1) | instid1(VALU_DEP_2)
	v_max_f64 v[35:36], v[3:4], v[3:4]
	v_cmp_u_f64_e64 s0, v[3:4], v[3:4]
	v_min_f64 v[63:64], v[35:36], v[33:34]
	v_max_f64 v[33:34], v[35:36], v[33:34]
	s_delay_alu instid0(VALU_DEP_2) | instskip(NEXT) | instid1(VALU_DEP_3)
	v_cndmask_b32_e64 v0, v63, v3, s0
	v_cndmask_b32_e64 v35, v64, v4, s0
	s_delay_alu instid0(VALU_DEP_3) | instskip(NEXT) | instid1(VALU_DEP_4)
	v_cndmask_b32_e64 v34, v34, v4, s0
	v_cndmask_b32_e64 v33, v33, v3, s0
	s_delay_alu instid0(VALU_DEP_3) | instskip(SKIP_1) | instid1(VALU_DEP_4)
	v_cndmask_b32_e64 v36, v35, v30, s18
	v_cndmask_b32_e64 v35, v0, v29, s18
	;; [unrolled: 1-line block ×3, first 2 shown]
	s_delay_alu instid0(VALU_DEP_4) | instskip(SKIP_1) | instid1(VALU_DEP_4)
	v_cndmask_b32_e64 v33, v33, v29, s18
	v_dual_mov_b32 v30, v4 :: v_dual_mov_b32 v29, v3
	v_cmp_class_f64_e64 s1, v[35:36], 0x1f8
	s_delay_alu instid0(VALU_DEP_3) | instskip(NEXT) | instid1(VALU_DEP_1)
	v_cmp_neq_f64_e64 s0, v[35:36], v[33:34]
	s_or_b32 s0, s0, s1
	s_delay_alu instid0(SALU_CYCLE_1)
	s_and_saveexec_b32 s17, s0
	s_cbranch_execz .LBB46_110
; %bb.109:
	v_add_f64 v[29:30], v[35:36], -v[33:34]
	s_mov_b32 s0, 0x652b82fe
	s_mov_b32 s1, 0x3ff71547
	;; [unrolled: 1-line block ×10, first 2 shown]
	s_delay_alu instid0(VALU_DEP_1) | instskip(SKIP_2) | instid1(VALU_DEP_1)
	v_mul_f64 v[35:36], v[29:30], s[0:1]
	s_mov_b32 s0, 0xfca7ab0c
	s_mov_b32 s1, 0x3e928af3
	v_rndne_f64_e32 v[35:36], v[35:36]
	s_delay_alu instid0(VALU_DEP_1) | instskip(SKIP_2) | instid1(VALU_DEP_2)
	v_fma_f64 v[63:64], v[35:36], s[36:37], v[29:30]
	v_cvt_i32_f64_e32 v0, v[35:36]
	s_mov_b32 s37, 0x3fe62e42
	v_fma_f64 v[63:64], v[35:36], s[38:39], v[63:64]
	s_mov_b32 s39, 0x3c7abc9e
	s_delay_alu instid0(VALU_DEP_1) | instskip(SKIP_4) | instid1(VALU_DEP_1)
	v_fma_f64 v[65:66], v[63:64], s[40:41], s[0:1]
	s_mov_b32 s0, 0x623fde64
	s_mov_b32 s1, 0x3ec71dee
	;; [unrolled: 1-line block ×4, first 2 shown]
	v_fma_f64 v[65:66], v[63:64], v[65:66], s[0:1]
	s_mov_b32 s0, 0x7c89e6b0
	s_mov_b32 s1, 0x3efa0199
	s_delay_alu instid0(VALU_DEP_1) | instid1(SALU_CYCLE_1)
	v_fma_f64 v[65:66], v[63:64], v[65:66], s[0:1]
	s_mov_b32 s0, 0x14761f6e
	s_mov_b32 s1, 0x3f2a01a0
	s_delay_alu instid0(VALU_DEP_1) | instid1(SALU_CYCLE_1)
	;; [unrolled: 4-line block ×7, first 2 shown]
	v_fma_f64 v[65:66], v[63:64], v[65:66], s[0:1]
	v_cmp_nlt_f64_e64 s0, 0x40900000, v[29:30]
	v_cmp_ngt_f64_e64 s1, 0xc090cc00, v[29:30]
	s_delay_alu instid0(VALU_DEP_3) | instskip(NEXT) | instid1(VALU_DEP_1)
	v_fma_f64 v[65:66], v[63:64], v[65:66], 1.0
	v_fma_f64 v[35:36], v[63:64], v[65:66], 1.0
	s_delay_alu instid0(VALU_DEP_1) | instskip(NEXT) | instid1(VALU_DEP_1)
	v_ldexp_f64 v[35:36], v[35:36], v0
	v_cndmask_b32_e64 v0, 0x7ff00000, v36, s0
	s_and_b32 s0, s1, s0
	s_delay_alu instid0(VALU_DEP_2) | instid1(SALU_CYCLE_1)
	v_cndmask_b32_e64 v29, 0, v35, s0
	s_mov_b32 s0, 0x55555555
	s_delay_alu instid0(VALU_DEP_2) | instskip(SKIP_1) | instid1(VALU_DEP_1)
	v_cndmask_b32_e64 v30, 0, v0, s1
	s_mov_b32 s1, 0x3fe55555
	v_add_f64 v[35:36], v[29:30], 1.0
	s_delay_alu instid0(VALU_DEP_1) | instskip(SKIP_2) | instid1(VALU_DEP_3)
	v_frexp_mant_f64_e32 v[63:64], v[35:36]
	v_frexp_exp_i32_f64_e32 v0, v[35:36]
	v_add_f64 v[65:66], v[35:36], -1.0
	v_cmp_gt_f64_e64 s0, s[0:1], v[63:64]
	s_delay_alu instid0(VALU_DEP_2) | instskip(SKIP_1) | instid1(VALU_DEP_3)
	v_add_f64 v[63:64], v[65:66], -v[35:36]
	v_add_f64 v[65:66], v[29:30], -v[65:66]
	v_subrev_co_ci_u32_e64 v0, s0, 0, v0, s0
	s_delay_alu instid0(VALU_DEP_3) | instskip(SKIP_2) | instid1(VALU_DEP_2)
	v_add_f64 v[63:64], v[63:64], 1.0
	s_mov_b32 s0, 0x55555780
	s_waitcnt lgkmcnt(1)
	v_sub_nc_u32_e32 v69, 0, v0
	s_delay_alu instid0(VALU_DEP_1) | instskip(NEXT) | instid1(VALU_DEP_3)
	v_ldexp_f64 v[35:36], v[35:36], v69
	v_add_f64 v[63:64], v[65:66], v[63:64]
	s_delay_alu instid0(VALU_DEP_2) | instskip(SKIP_1) | instid1(VALU_DEP_3)
	v_add_f64 v[67:68], v[35:36], 1.0
	v_add_f64 v[73:74], v[35:36], -1.0
	v_ldexp_f64 v[63:64], v[63:64], v69
	s_delay_alu instid0(VALU_DEP_3) | instskip(NEXT) | instid1(VALU_DEP_3)
	v_add_f64 v[65:66], v[67:68], -1.0
	v_add_f64 v[75:76], v[73:74], 1.0
	s_delay_alu instid0(VALU_DEP_2) | instskip(NEXT) | instid1(VALU_DEP_2)
	v_add_f64 v[65:66], v[35:36], -v[65:66]
	v_add_f64 v[35:36], v[35:36], -v[75:76]
	s_delay_alu instid0(VALU_DEP_2) | instskip(NEXT) | instid1(VALU_DEP_2)
	v_add_f64 v[65:66], v[63:64], v[65:66]
	v_add_f64 v[35:36], v[63:64], v[35:36]
	s_waitcnt lgkmcnt(0)
	s_delay_alu instid0(VALU_DEP_2) | instskip(NEXT) | instid1(VALU_DEP_2)
	v_add_f64 v[69:70], v[67:68], v[65:66]
	v_add_f64 v[75:76], v[73:74], v[35:36]
	s_delay_alu instid0(VALU_DEP_2) | instskip(SKIP_1) | instid1(VALU_DEP_2)
	v_rcp_f64_e32 v[71:72], v[69:70]
	v_add_f64 v[67:68], v[69:70], -v[67:68]
	v_add_f64 v[73:74], v[75:76], -v[73:74]
	s_delay_alu instid0(VALU_DEP_2) | instskip(SKIP_3) | instid1(VALU_DEP_2)
	v_add_f64 v[65:66], v[65:66], -v[67:68]
	s_waitcnt_depctr 0xfff
	v_fma_f64 v[95:96], -v[69:70], v[71:72], 1.0
	v_add_f64 v[35:36], v[35:36], -v[73:74]
	v_fma_f64 v[71:72], v[95:96], v[71:72], v[71:72]
	s_delay_alu instid0(VALU_DEP_1) | instskip(NEXT) | instid1(VALU_DEP_1)
	v_fma_f64 v[63:64], -v[69:70], v[71:72], 1.0
	v_fma_f64 v[63:64], v[63:64], v[71:72], v[71:72]
	s_delay_alu instid0(VALU_DEP_1) | instskip(NEXT) | instid1(VALU_DEP_1)
	v_mul_f64 v[71:72], v[75:76], v[63:64]
	v_mul_f64 v[95:96], v[69:70], v[71:72]
	s_delay_alu instid0(VALU_DEP_1) | instskip(NEXT) | instid1(VALU_DEP_1)
	v_fma_f64 v[67:68], v[71:72], v[69:70], -v[95:96]
	v_fma_f64 v[67:68], v[71:72], v[65:66], v[67:68]
	s_delay_alu instid0(VALU_DEP_1) | instskip(NEXT) | instid1(VALU_DEP_1)
	v_add_f64 v[97:98], v[95:96], v[67:68]
	v_add_f64 v[99:100], v[75:76], -v[97:98]
	v_add_f64 v[73:74], v[97:98], -v[95:96]
	s_delay_alu instid0(VALU_DEP_2) | instskip(NEXT) | instid1(VALU_DEP_2)
	v_add_f64 v[75:76], v[75:76], -v[99:100]
	v_add_f64 v[67:68], v[73:74], -v[67:68]
	s_delay_alu instid0(VALU_DEP_2) | instskip(NEXT) | instid1(VALU_DEP_1)
	v_add_f64 v[75:76], v[75:76], -v[97:98]
	v_add_f64 v[35:36], v[35:36], v[75:76]
	s_delay_alu instid0(VALU_DEP_1) | instskip(NEXT) | instid1(VALU_DEP_1)
	v_add_f64 v[35:36], v[67:68], v[35:36]
	v_add_f64 v[67:68], v[99:100], v[35:36]
	s_delay_alu instid0(VALU_DEP_1) | instskip(SKIP_1) | instid1(VALU_DEP_2)
	v_mul_f64 v[73:74], v[63:64], v[67:68]
	v_add_f64 v[97:98], v[99:100], -v[67:68]
	v_mul_f64 v[75:76], v[69:70], v[73:74]
	s_delay_alu instid0(VALU_DEP_2) | instskip(NEXT) | instid1(VALU_DEP_2)
	v_add_f64 v[35:36], v[35:36], v[97:98]
	v_fma_f64 v[69:70], v[73:74], v[69:70], -v[75:76]
	s_delay_alu instid0(VALU_DEP_1) | instskip(NEXT) | instid1(VALU_DEP_1)
	v_fma_f64 v[65:66], v[73:74], v[65:66], v[69:70]
	v_add_f64 v[69:70], v[75:76], v[65:66]
	s_delay_alu instid0(VALU_DEP_1) | instskip(SKIP_1) | instid1(VALU_DEP_2)
	v_add_f64 v[95:96], v[67:68], -v[69:70]
	v_add_f64 v[75:76], v[69:70], -v[75:76]
	;; [unrolled: 1-line block ×3, first 2 shown]
	s_delay_alu instid0(VALU_DEP_2) | instskip(NEXT) | instid1(VALU_DEP_2)
	v_add_f64 v[65:66], v[75:76], -v[65:66]
	v_add_f64 v[67:68], v[67:68], -v[69:70]
	s_delay_alu instid0(VALU_DEP_1) | instskip(SKIP_1) | instid1(VALU_DEP_2)
	v_add_f64 v[35:36], v[35:36], v[67:68]
	v_add_f64 v[67:68], v[71:72], v[73:74]
	;; [unrolled: 1-line block ×3, first 2 shown]
	s_delay_alu instid0(VALU_DEP_2) | instskip(NEXT) | instid1(VALU_DEP_2)
	v_add_f64 v[65:66], v[67:68], -v[71:72]
	v_add_f64 v[35:36], v[95:96], v[35:36]
	s_delay_alu instid0(VALU_DEP_2) | instskip(NEXT) | instid1(VALU_DEP_2)
	v_add_f64 v[65:66], v[73:74], -v[65:66]
	v_mul_f64 v[35:36], v[63:64], v[35:36]
	s_delay_alu instid0(VALU_DEP_1) | instskip(NEXT) | instid1(VALU_DEP_1)
	v_add_f64 v[35:36], v[65:66], v[35:36]
	v_add_f64 v[63:64], v[67:68], v[35:36]
	s_delay_alu instid0(VALU_DEP_1) | instskip(NEXT) | instid1(VALU_DEP_1)
	v_mul_f64 v[65:66], v[63:64], v[63:64]
	v_fma_f64 v[69:70], v[65:66], s[42:43], s[40:41]
	s_mov_b32 s40, 0xd7f4df2e
	s_mov_b32 s41, 0x3fc7474d
	v_mul_f64 v[71:72], v[63:64], v[65:66]
	s_delay_alu instid0(VALU_DEP_2)
	v_fma_f64 v[69:70], v[65:66], v[69:70], s[40:41]
	s_mov_b32 s40, 0x16291751
	s_mov_b32 s41, 0x3fcc71c0
	s_delay_alu instid0(VALU_DEP_1) | instid1(SALU_CYCLE_1)
	v_fma_f64 v[69:70], v[65:66], v[69:70], s[40:41]
	s_mov_b32 s40, 0x9b27acf1
	s_mov_b32 s41, 0x3fd24924
	s_delay_alu instid0(VALU_DEP_1) | instid1(SALU_CYCLE_1)
	;; [unrolled: 4-line block ×3, first 2 shown]
	v_fma_f64 v[69:70], v[65:66], v[69:70], s[40:41]
	s_delay_alu instid0(VALU_DEP_1) | instskip(SKIP_3) | instid1(VALU_DEP_4)
	v_fma_f64 v[65:66], v[65:66], v[69:70], s[0:1]
	v_ldexp_f64 v[69:70], v[63:64], 1
	v_add_f64 v[63:64], v[63:64], -v[67:68]
	v_cmp_eq_f64_e64 s0, 0x7ff00000, v[29:30]
	v_mul_f64 v[65:66], v[71:72], v[65:66]
	v_cvt_f64_i32_e32 v[71:72], v0
	s_delay_alu instid0(VALU_DEP_4) | instskip(NEXT) | instid1(VALU_DEP_3)
	v_add_f64 v[35:36], v[35:36], -v[63:64]
	v_add_f64 v[67:68], v[69:70], v[65:66]
	s_delay_alu instid0(VALU_DEP_3) | instskip(NEXT) | instid1(VALU_DEP_3)
	v_mul_f64 v[73:74], v[71:72], s[36:37]
	v_ldexp_f64 v[35:36], v[35:36], 1
	s_delay_alu instid0(VALU_DEP_3) | instskip(NEXT) | instid1(VALU_DEP_3)
	v_add_f64 v[63:64], v[67:68], -v[69:70]
	v_fma_f64 v[69:70], v[71:72], s[36:37], -v[73:74]
	s_delay_alu instid0(VALU_DEP_2) | instskip(NEXT) | instid1(VALU_DEP_2)
	v_add_f64 v[63:64], v[65:66], -v[63:64]
	v_fma_f64 v[65:66], v[71:72], s[38:39], v[69:70]
	s_delay_alu instid0(VALU_DEP_2) | instskip(NEXT) | instid1(VALU_DEP_2)
	v_add_f64 v[35:36], v[35:36], v[63:64]
	v_add_f64 v[63:64], v[73:74], v[65:66]
	s_delay_alu instid0(VALU_DEP_2) | instskip(NEXT) | instid1(VALU_DEP_2)
	v_add_f64 v[69:70], v[67:68], v[35:36]
	v_add_f64 v[73:74], v[63:64], -v[73:74]
	s_delay_alu instid0(VALU_DEP_2) | instskip(SKIP_1) | instid1(VALU_DEP_3)
	v_add_f64 v[71:72], v[63:64], v[69:70]
	v_add_f64 v[67:68], v[69:70], -v[67:68]
	v_add_f64 v[65:66], v[65:66], -v[73:74]
	s_delay_alu instid0(VALU_DEP_3) | instskip(NEXT) | instid1(VALU_DEP_3)
	v_add_f64 v[75:76], v[71:72], -v[63:64]
	v_add_f64 v[35:36], v[35:36], -v[67:68]
	s_delay_alu instid0(VALU_DEP_2) | instskip(SKIP_1) | instid1(VALU_DEP_3)
	v_add_f64 v[95:96], v[71:72], -v[75:76]
	v_add_f64 v[67:68], v[69:70], -v[75:76]
	v_add_f64 v[69:70], v[65:66], v[35:36]
	s_delay_alu instid0(VALU_DEP_3) | instskip(NEXT) | instid1(VALU_DEP_1)
	v_add_f64 v[63:64], v[63:64], -v[95:96]
	v_add_f64 v[63:64], v[67:68], v[63:64]
	s_delay_alu instid0(VALU_DEP_3) | instskip(NEXT) | instid1(VALU_DEP_2)
	v_add_f64 v[67:68], v[69:70], -v[65:66]
	v_add_f64 v[63:64], v[69:70], v[63:64]
	s_delay_alu instid0(VALU_DEP_2) | instskip(SKIP_1) | instid1(VALU_DEP_3)
	v_add_f64 v[69:70], v[69:70], -v[67:68]
	v_add_f64 v[35:36], v[35:36], -v[67:68]
	v_add_f64 v[73:74], v[71:72], v[63:64]
	s_delay_alu instid0(VALU_DEP_3) | instskip(NEXT) | instid1(VALU_DEP_2)
	v_add_f64 v[65:66], v[65:66], -v[69:70]
	v_add_f64 v[67:68], v[73:74], -v[71:72]
	s_delay_alu instid0(VALU_DEP_2) | instskip(NEXT) | instid1(VALU_DEP_2)
	v_add_f64 v[35:36], v[35:36], v[65:66]
	v_add_f64 v[63:64], v[63:64], -v[67:68]
	s_delay_alu instid0(VALU_DEP_1) | instskip(NEXT) | instid1(VALU_DEP_1)
	v_add_f64 v[35:36], v[35:36], v[63:64]
	v_add_f64 v[35:36], v[73:74], v[35:36]
	s_delay_alu instid0(VALU_DEP_1) | instskip(NEXT) | instid1(VALU_DEP_2)
	v_cndmask_b32_e64 v0, v35, v29, s0
	v_cndmask_b32_e64 v35, v36, v30, s0
	v_cmp_ngt_f64_e64 s0, -1.0, v[29:30]
	s_delay_alu instid0(VALU_DEP_1) | instskip(SKIP_1) | instid1(VALU_DEP_1)
	v_cndmask_b32_e64 v36, 0x7ff80000, v35, s0
	v_cmp_nge_f64_e64 s0, -1.0, v[29:30]
	v_cndmask_b32_e64 v35, 0, v0, s0
	v_cmp_neq_f64_e64 s0, -1.0, v[29:30]
	s_delay_alu instid0(VALU_DEP_1) | instskip(NEXT) | instid1(VALU_DEP_1)
	v_cndmask_b32_e64 v36, 0xfff00000, v36, s0
	v_add_f64 v[29:30], v[33:34], v[35:36]
.LBB46_110:
	s_or_b32 exec_lo, exec_lo, s17
	s_delay_alu instid0(VALU_DEP_1) | instskip(SKIP_1) | instid1(VALU_DEP_2)
	v_max_f64 v[33:34], v[29:30], v[29:30]
	v_cmp_u_f64_e64 s0, v[29:30], v[29:30]
	v_min_f64 v[35:36], v[33:34], v[37:38]
	v_max_f64 v[33:34], v[33:34], v[37:38]
	s_delay_alu instid0(VALU_DEP_2) | instskip(NEXT) | instid1(VALU_DEP_3)
	v_cndmask_b32_e64 v0, v35, v29, s0
	v_cndmask_b32_e64 v35, v36, v30, s0
	s_delay_alu instid0(VALU_DEP_3) | instskip(NEXT) | instid1(VALU_DEP_4)
	v_cndmask_b32_e64 v34, v34, v30, s0
	v_cndmask_b32_e64 v33, v33, v29, s0
	s_delay_alu instid0(VALU_DEP_3) | instskip(SKIP_1) | instid1(VALU_DEP_4)
	v_cndmask_b32_e64 v36, v35, v32, s19
	v_cndmask_b32_e64 v35, v0, v31, s19
	;; [unrolled: 1-line block ×3, first 2 shown]
	s_delay_alu instid0(VALU_DEP_4) | instskip(SKIP_1) | instid1(VALU_DEP_4)
	v_cndmask_b32_e64 v33, v33, v31, s19
	v_dual_mov_b32 v32, v30 :: v_dual_mov_b32 v31, v29
	v_cmp_class_f64_e64 s1, v[35:36], 0x1f8
	s_delay_alu instid0(VALU_DEP_3) | instskip(NEXT) | instid1(VALU_DEP_1)
	v_cmp_neq_f64_e64 s0, v[35:36], v[33:34]
	s_or_b32 s0, s0, s1
	s_delay_alu instid0(SALU_CYCLE_1)
	s_and_saveexec_b32 s17, s0
	s_cbranch_execz .LBB46_112
; %bb.111:
	v_add_f64 v[31:32], v[35:36], -v[33:34]
	s_mov_b32 s0, 0x652b82fe
	s_mov_b32 s1, 0x3ff71547
	;; [unrolled: 1-line block ×10, first 2 shown]
	s_delay_alu instid0(VALU_DEP_1) | instskip(SKIP_2) | instid1(VALU_DEP_1)
	v_mul_f64 v[35:36], v[31:32], s[0:1]
	s_mov_b32 s0, 0xfca7ab0c
	s_mov_b32 s1, 0x3e928af3
	v_rndne_f64_e32 v[35:36], v[35:36]
	s_delay_alu instid0(VALU_DEP_1) | instskip(SKIP_2) | instid1(VALU_DEP_2)
	v_fma_f64 v[37:38], v[35:36], s[18:19], v[31:32]
	v_cvt_i32_f64_e32 v0, v[35:36]
	s_mov_b32 s19, 0x3fe62e42
	v_fma_f64 v[37:38], v[35:36], s[36:37], v[37:38]
	s_mov_b32 s37, 0x3c7abc9e
	s_delay_alu instid0(VALU_DEP_1) | instskip(SKIP_4) | instid1(VALU_DEP_1)
	v_fma_f64 v[63:64], v[37:38], s[38:39], s[0:1]
	s_mov_b32 s0, 0x623fde64
	s_mov_b32 s1, 0x3ec71dee
	;; [unrolled: 1-line block ×4, first 2 shown]
	v_fma_f64 v[63:64], v[37:38], v[63:64], s[0:1]
	s_mov_b32 s0, 0x7c89e6b0
	s_mov_b32 s1, 0x3efa0199
	s_delay_alu instid0(VALU_DEP_1) | instid1(SALU_CYCLE_1)
	v_fma_f64 v[63:64], v[37:38], v[63:64], s[0:1]
	s_mov_b32 s0, 0x14761f6e
	s_mov_b32 s1, 0x3f2a01a0
	s_delay_alu instid0(VALU_DEP_1) | instid1(SALU_CYCLE_1)
	;; [unrolled: 4-line block ×7, first 2 shown]
	v_fma_f64 v[63:64], v[37:38], v[63:64], s[0:1]
	v_cmp_nlt_f64_e64 s0, 0x40900000, v[31:32]
	v_cmp_ngt_f64_e64 s1, 0xc090cc00, v[31:32]
	s_delay_alu instid0(VALU_DEP_3) | instskip(NEXT) | instid1(VALU_DEP_1)
	v_fma_f64 v[63:64], v[37:38], v[63:64], 1.0
	v_fma_f64 v[35:36], v[37:38], v[63:64], 1.0
	s_delay_alu instid0(VALU_DEP_1) | instskip(NEXT) | instid1(VALU_DEP_1)
	v_ldexp_f64 v[35:36], v[35:36], v0
	v_cndmask_b32_e64 v0, 0x7ff00000, v36, s0
	s_and_b32 s0, s1, s0
	s_delay_alu instid0(VALU_DEP_2) | instid1(SALU_CYCLE_1)
	v_cndmask_b32_e64 v31, 0, v35, s0
	s_mov_b32 s0, 0x55555555
	s_delay_alu instid0(VALU_DEP_2) | instskip(SKIP_1) | instid1(VALU_DEP_1)
	v_cndmask_b32_e64 v32, 0, v0, s1
	s_mov_b32 s1, 0x3fe55555
	v_add_f64 v[35:36], v[31:32], 1.0
	s_delay_alu instid0(VALU_DEP_1) | instskip(SKIP_2) | instid1(VALU_DEP_3)
	v_frexp_mant_f64_e32 v[37:38], v[35:36]
	v_frexp_exp_i32_f64_e32 v0, v[35:36]
	v_add_f64 v[63:64], v[35:36], -1.0
	v_cmp_gt_f64_e64 s0, s[0:1], v[37:38]
	s_delay_alu instid0(VALU_DEP_2) | instskip(SKIP_1) | instid1(VALU_DEP_3)
	v_add_f64 v[37:38], v[63:64], -v[35:36]
	v_add_f64 v[63:64], v[31:32], -v[63:64]
	v_subrev_co_ci_u32_e64 v0, s0, 0, v0, s0
	s_delay_alu instid0(VALU_DEP_3) | instskip(SKIP_1) | instid1(VALU_DEP_2)
	v_add_f64 v[37:38], v[37:38], 1.0
	s_mov_b32 s0, 0x55555780
	v_sub_nc_u32_e32 v67, 0, v0
	s_delay_alu instid0(VALU_DEP_1) | instskip(NEXT) | instid1(VALU_DEP_3)
	v_ldexp_f64 v[35:36], v[35:36], v67
	v_add_f64 v[37:38], v[63:64], v[37:38]
	s_delay_alu instid0(VALU_DEP_2) | instskip(SKIP_1) | instid1(VALU_DEP_3)
	v_add_f64 v[65:66], v[35:36], 1.0
	v_add_f64 v[71:72], v[35:36], -1.0
	v_ldexp_f64 v[37:38], v[37:38], v67
	s_delay_alu instid0(VALU_DEP_3) | instskip(NEXT) | instid1(VALU_DEP_3)
	v_add_f64 v[63:64], v[65:66], -1.0
	v_add_f64 v[73:74], v[71:72], 1.0
	s_delay_alu instid0(VALU_DEP_2) | instskip(NEXT) | instid1(VALU_DEP_2)
	v_add_f64 v[63:64], v[35:36], -v[63:64]
	v_add_f64 v[35:36], v[35:36], -v[73:74]
	s_delay_alu instid0(VALU_DEP_2) | instskip(NEXT) | instid1(VALU_DEP_2)
	v_add_f64 v[63:64], v[37:38], v[63:64]
	v_add_f64 v[35:36], v[37:38], v[35:36]
	s_delay_alu instid0(VALU_DEP_2) | instskip(NEXT) | instid1(VALU_DEP_2)
	v_add_f64 v[67:68], v[65:66], v[63:64]
	v_add_f64 v[73:74], v[71:72], v[35:36]
	s_waitcnt lgkmcnt(0)
	s_delay_alu instid0(VALU_DEP_2) | instskip(SKIP_1) | instid1(VALU_DEP_2)
	v_rcp_f64_e32 v[69:70], v[67:68]
	v_add_f64 v[65:66], v[67:68], -v[65:66]
	v_add_f64 v[71:72], v[73:74], -v[71:72]
	s_delay_alu instid0(VALU_DEP_2) | instskip(SKIP_3) | instid1(VALU_DEP_2)
	v_add_f64 v[63:64], v[63:64], -v[65:66]
	s_waitcnt_depctr 0xfff
	v_fma_f64 v[75:76], -v[67:68], v[69:70], 1.0
	v_add_f64 v[35:36], v[35:36], -v[71:72]
	v_fma_f64 v[69:70], v[75:76], v[69:70], v[69:70]
	s_delay_alu instid0(VALU_DEP_1) | instskip(NEXT) | instid1(VALU_DEP_1)
	v_fma_f64 v[37:38], -v[67:68], v[69:70], 1.0
	v_fma_f64 v[37:38], v[37:38], v[69:70], v[69:70]
	s_delay_alu instid0(VALU_DEP_1) | instskip(NEXT) | instid1(VALU_DEP_1)
	v_mul_f64 v[69:70], v[73:74], v[37:38]
	v_mul_f64 v[75:76], v[67:68], v[69:70]
	s_delay_alu instid0(VALU_DEP_1) | instskip(NEXT) | instid1(VALU_DEP_1)
	v_fma_f64 v[65:66], v[69:70], v[67:68], -v[75:76]
	v_fma_f64 v[65:66], v[69:70], v[63:64], v[65:66]
	s_delay_alu instid0(VALU_DEP_1) | instskip(NEXT) | instid1(VALU_DEP_1)
	v_add_f64 v[95:96], v[75:76], v[65:66]
	v_add_f64 v[97:98], v[73:74], -v[95:96]
	v_add_f64 v[71:72], v[95:96], -v[75:76]
	s_delay_alu instid0(VALU_DEP_2) | instskip(NEXT) | instid1(VALU_DEP_2)
	v_add_f64 v[73:74], v[73:74], -v[97:98]
	v_add_f64 v[65:66], v[71:72], -v[65:66]
	s_delay_alu instid0(VALU_DEP_2) | instskip(NEXT) | instid1(VALU_DEP_1)
	v_add_f64 v[73:74], v[73:74], -v[95:96]
	v_add_f64 v[35:36], v[35:36], v[73:74]
	s_delay_alu instid0(VALU_DEP_1) | instskip(NEXT) | instid1(VALU_DEP_1)
	v_add_f64 v[35:36], v[65:66], v[35:36]
	v_add_f64 v[65:66], v[97:98], v[35:36]
	s_delay_alu instid0(VALU_DEP_1) | instskip(SKIP_1) | instid1(VALU_DEP_2)
	v_mul_f64 v[71:72], v[37:38], v[65:66]
	v_add_f64 v[95:96], v[97:98], -v[65:66]
	v_mul_f64 v[73:74], v[67:68], v[71:72]
	s_delay_alu instid0(VALU_DEP_2) | instskip(NEXT) | instid1(VALU_DEP_2)
	v_add_f64 v[35:36], v[35:36], v[95:96]
	v_fma_f64 v[67:68], v[71:72], v[67:68], -v[73:74]
	s_delay_alu instid0(VALU_DEP_1) | instskip(NEXT) | instid1(VALU_DEP_1)
	v_fma_f64 v[63:64], v[71:72], v[63:64], v[67:68]
	v_add_f64 v[67:68], v[73:74], v[63:64]
	s_delay_alu instid0(VALU_DEP_1) | instskip(SKIP_1) | instid1(VALU_DEP_2)
	v_add_f64 v[75:76], v[65:66], -v[67:68]
	v_add_f64 v[73:74], v[67:68], -v[73:74]
	v_add_f64 v[65:66], v[65:66], -v[75:76]
	s_delay_alu instid0(VALU_DEP_2) | instskip(NEXT) | instid1(VALU_DEP_2)
	v_add_f64 v[63:64], v[73:74], -v[63:64]
	v_add_f64 v[65:66], v[65:66], -v[67:68]
	s_delay_alu instid0(VALU_DEP_1) | instskip(SKIP_1) | instid1(VALU_DEP_2)
	v_add_f64 v[35:36], v[35:36], v[65:66]
	v_add_f64 v[65:66], v[69:70], v[71:72]
	;; [unrolled: 1-line block ×3, first 2 shown]
	s_delay_alu instid0(VALU_DEP_2) | instskip(NEXT) | instid1(VALU_DEP_2)
	v_add_f64 v[63:64], v[65:66], -v[69:70]
	v_add_f64 v[35:36], v[75:76], v[35:36]
	s_delay_alu instid0(VALU_DEP_2) | instskip(NEXT) | instid1(VALU_DEP_2)
	v_add_f64 v[63:64], v[71:72], -v[63:64]
	v_mul_f64 v[35:36], v[37:38], v[35:36]
	s_delay_alu instid0(VALU_DEP_1) | instskip(NEXT) | instid1(VALU_DEP_1)
	v_add_f64 v[35:36], v[63:64], v[35:36]
	v_add_f64 v[37:38], v[65:66], v[35:36]
	s_delay_alu instid0(VALU_DEP_1) | instskip(NEXT) | instid1(VALU_DEP_1)
	v_mul_f64 v[63:64], v[37:38], v[37:38]
	v_fma_f64 v[67:68], v[63:64], s[40:41], s[38:39]
	s_mov_b32 s38, 0xd7f4df2e
	s_mov_b32 s39, 0x3fc7474d
	v_mul_f64 v[69:70], v[37:38], v[63:64]
	s_delay_alu instid0(VALU_DEP_2)
	v_fma_f64 v[67:68], v[63:64], v[67:68], s[38:39]
	s_mov_b32 s38, 0x16291751
	s_mov_b32 s39, 0x3fcc71c0
	s_delay_alu instid0(VALU_DEP_1) | instid1(SALU_CYCLE_1)
	v_fma_f64 v[67:68], v[63:64], v[67:68], s[38:39]
	s_mov_b32 s38, 0x9b27acf1
	s_mov_b32 s39, 0x3fd24924
	s_delay_alu instid0(VALU_DEP_1) | instid1(SALU_CYCLE_1)
	;; [unrolled: 4-line block ×3, first 2 shown]
	v_fma_f64 v[67:68], v[63:64], v[67:68], s[38:39]
	s_delay_alu instid0(VALU_DEP_1) | instskip(SKIP_3) | instid1(VALU_DEP_4)
	v_fma_f64 v[63:64], v[63:64], v[67:68], s[0:1]
	v_ldexp_f64 v[67:68], v[37:38], 1
	v_add_f64 v[37:38], v[37:38], -v[65:66]
	v_cmp_eq_f64_e64 s0, 0x7ff00000, v[31:32]
	v_mul_f64 v[63:64], v[69:70], v[63:64]
	v_cvt_f64_i32_e32 v[69:70], v0
	s_delay_alu instid0(VALU_DEP_4) | instskip(NEXT) | instid1(VALU_DEP_3)
	v_add_f64 v[35:36], v[35:36], -v[37:38]
	v_add_f64 v[65:66], v[67:68], v[63:64]
	s_delay_alu instid0(VALU_DEP_3) | instskip(NEXT) | instid1(VALU_DEP_3)
	v_mul_f64 v[71:72], v[69:70], s[18:19]
	v_ldexp_f64 v[35:36], v[35:36], 1
	s_delay_alu instid0(VALU_DEP_3) | instskip(NEXT) | instid1(VALU_DEP_3)
	v_add_f64 v[37:38], v[65:66], -v[67:68]
	v_fma_f64 v[67:68], v[69:70], s[18:19], -v[71:72]
	s_delay_alu instid0(VALU_DEP_2) | instskip(NEXT) | instid1(VALU_DEP_2)
	v_add_f64 v[37:38], v[63:64], -v[37:38]
	v_fma_f64 v[63:64], v[69:70], s[36:37], v[67:68]
	s_delay_alu instid0(VALU_DEP_2) | instskip(NEXT) | instid1(VALU_DEP_2)
	v_add_f64 v[35:36], v[35:36], v[37:38]
	v_add_f64 v[37:38], v[71:72], v[63:64]
	s_delay_alu instid0(VALU_DEP_2) | instskip(NEXT) | instid1(VALU_DEP_2)
	v_add_f64 v[67:68], v[65:66], v[35:36]
	v_add_f64 v[71:72], v[37:38], -v[71:72]
	s_delay_alu instid0(VALU_DEP_2) | instskip(SKIP_1) | instid1(VALU_DEP_3)
	v_add_f64 v[69:70], v[37:38], v[67:68]
	v_add_f64 v[65:66], v[67:68], -v[65:66]
	v_add_f64 v[63:64], v[63:64], -v[71:72]
	s_delay_alu instid0(VALU_DEP_3) | instskip(NEXT) | instid1(VALU_DEP_3)
	v_add_f64 v[73:74], v[69:70], -v[37:38]
	v_add_f64 v[35:36], v[35:36], -v[65:66]
	s_delay_alu instid0(VALU_DEP_2) | instskip(SKIP_1) | instid1(VALU_DEP_3)
	v_add_f64 v[75:76], v[69:70], -v[73:74]
	v_add_f64 v[65:66], v[67:68], -v[73:74]
	v_add_f64 v[67:68], v[63:64], v[35:36]
	s_delay_alu instid0(VALU_DEP_3) | instskip(NEXT) | instid1(VALU_DEP_1)
	v_add_f64 v[37:38], v[37:38], -v[75:76]
	v_add_f64 v[37:38], v[65:66], v[37:38]
	s_delay_alu instid0(VALU_DEP_3) | instskip(NEXT) | instid1(VALU_DEP_2)
	v_add_f64 v[65:66], v[67:68], -v[63:64]
	v_add_f64 v[37:38], v[67:68], v[37:38]
	s_delay_alu instid0(VALU_DEP_2) | instskip(SKIP_1) | instid1(VALU_DEP_3)
	v_add_f64 v[67:68], v[67:68], -v[65:66]
	v_add_f64 v[35:36], v[35:36], -v[65:66]
	v_add_f64 v[71:72], v[69:70], v[37:38]
	s_delay_alu instid0(VALU_DEP_3) | instskip(NEXT) | instid1(VALU_DEP_2)
	v_add_f64 v[63:64], v[63:64], -v[67:68]
	v_add_f64 v[65:66], v[71:72], -v[69:70]
	s_delay_alu instid0(VALU_DEP_2) | instskip(NEXT) | instid1(VALU_DEP_2)
	v_add_f64 v[35:36], v[35:36], v[63:64]
	v_add_f64 v[37:38], v[37:38], -v[65:66]
	s_delay_alu instid0(VALU_DEP_1) | instskip(NEXT) | instid1(VALU_DEP_1)
	v_add_f64 v[35:36], v[35:36], v[37:38]
	v_add_f64 v[35:36], v[71:72], v[35:36]
	s_delay_alu instid0(VALU_DEP_1) | instskip(NEXT) | instid1(VALU_DEP_2)
	v_cndmask_b32_e64 v0, v35, v31, s0
	v_cndmask_b32_e64 v35, v36, v32, s0
	v_cmp_ngt_f64_e64 s0, -1.0, v[31:32]
	s_delay_alu instid0(VALU_DEP_1) | instskip(SKIP_1) | instid1(VALU_DEP_1)
	v_cndmask_b32_e64 v36, 0x7ff80000, v35, s0
	v_cmp_nge_f64_e64 s0, -1.0, v[31:32]
	v_cndmask_b32_e64 v35, 0, v0, s0
	v_cmp_neq_f64_e64 s0, -1.0, v[31:32]
	s_delay_alu instid0(VALU_DEP_1) | instskip(NEXT) | instid1(VALU_DEP_1)
	v_cndmask_b32_e64 v36, 0xfff00000, v36, s0
	v_add_f64 v[31:32], v[33:34], v[35:36]
.LBB46_112:
	s_or_b32 exec_lo, exec_lo, s17
	s_delay_alu instid0(VALU_DEP_1) | instskip(SKIP_1) | instid1(VALU_DEP_2)
	v_max_f64 v[33:34], v[31:32], v[31:32]
	v_cmp_u_f64_e64 s0, v[31:32], v[31:32]
	v_min_f64 v[35:36], v[33:34], v[39:40]
	v_max_f64 v[33:34], v[33:34], v[39:40]
	s_delay_alu instid0(VALU_DEP_2) | instskip(NEXT) | instid1(VALU_DEP_3)
	v_cndmask_b32_e64 v0, v35, v31, s0
	v_cndmask_b32_e64 v35, v36, v32, s0
	s_delay_alu instid0(VALU_DEP_3) | instskip(NEXT) | instid1(VALU_DEP_4)
	v_cndmask_b32_e64 v34, v34, v32, s0
	v_cndmask_b32_e64 v33, v33, v31, s0
	s_delay_alu instid0(VALU_DEP_3) | instskip(SKIP_1) | instid1(VALU_DEP_4)
	v_cndmask_b32_e64 v36, v35, v26, s20
	v_cndmask_b32_e64 v35, v0, v25, s20
	;; [unrolled: 1-line block ×3, first 2 shown]
	s_delay_alu instid0(VALU_DEP_4) | instskip(SKIP_1) | instid1(VALU_DEP_4)
	v_cndmask_b32_e64 v33, v33, v25, s20
	v_dual_mov_b32 v25, v31 :: v_dual_mov_b32 v26, v32
	v_cmp_class_f64_e64 s1, v[35:36], 0x1f8
	s_delay_alu instid0(VALU_DEP_3) | instskip(NEXT) | instid1(VALU_DEP_1)
	v_cmp_neq_f64_e64 s0, v[35:36], v[33:34]
	s_or_b32 s0, s0, s1
	s_delay_alu instid0(SALU_CYCLE_1)
	s_and_saveexec_b32 s17, s0
	s_cbranch_execz .LBB46_114
; %bb.113:
	v_add_f64 v[25:26], v[35:36], -v[33:34]
	s_mov_b32 s0, 0x652b82fe
	s_mov_b32 s1, 0x3ff71547
	;; [unrolled: 1-line block ×10, first 2 shown]
	s_delay_alu instid0(VALU_DEP_1) | instskip(SKIP_2) | instid1(VALU_DEP_1)
	v_mul_f64 v[35:36], v[25:26], s[0:1]
	s_mov_b32 s0, 0xfca7ab0c
	s_mov_b32 s1, 0x3e928af3
	v_rndne_f64_e32 v[35:36], v[35:36]
	s_delay_alu instid0(VALU_DEP_1) | instskip(SKIP_2) | instid1(VALU_DEP_2)
	v_fma_f64 v[37:38], v[35:36], s[18:19], v[25:26]
	v_cvt_i32_f64_e32 v0, v[35:36]
	s_mov_b32 s19, 0x3fe62e42
	v_fma_f64 v[37:38], v[35:36], s[36:37], v[37:38]
	s_mov_b32 s37, 0x3c7abc9e
	s_delay_alu instid0(VALU_DEP_1) | instskip(SKIP_4) | instid1(VALU_DEP_1)
	v_fma_f64 v[39:40], v[37:38], s[38:39], s[0:1]
	s_mov_b32 s0, 0x623fde64
	s_mov_b32 s1, 0x3ec71dee
	;; [unrolled: 1-line block ×4, first 2 shown]
	v_fma_f64 v[39:40], v[37:38], v[39:40], s[0:1]
	s_mov_b32 s0, 0x7c89e6b0
	s_mov_b32 s1, 0x3efa0199
	s_delay_alu instid0(VALU_DEP_1) | instid1(SALU_CYCLE_1)
	v_fma_f64 v[39:40], v[37:38], v[39:40], s[0:1]
	s_mov_b32 s0, 0x14761f6e
	s_mov_b32 s1, 0x3f2a01a0
	s_delay_alu instid0(VALU_DEP_1) | instid1(SALU_CYCLE_1)
	;; [unrolled: 4-line block ×7, first 2 shown]
	v_fma_f64 v[39:40], v[37:38], v[39:40], s[0:1]
	v_cmp_nlt_f64_e64 s0, 0x40900000, v[25:26]
	v_cmp_ngt_f64_e64 s1, 0xc090cc00, v[25:26]
	s_delay_alu instid0(VALU_DEP_3) | instskip(NEXT) | instid1(VALU_DEP_1)
	v_fma_f64 v[39:40], v[37:38], v[39:40], 1.0
	v_fma_f64 v[35:36], v[37:38], v[39:40], 1.0
	s_delay_alu instid0(VALU_DEP_1) | instskip(NEXT) | instid1(VALU_DEP_1)
	v_ldexp_f64 v[35:36], v[35:36], v0
	v_cndmask_b32_e64 v0, 0x7ff00000, v36, s0
	s_and_b32 s0, s1, s0
	s_delay_alu instid0(VALU_DEP_2) | instid1(SALU_CYCLE_1)
	v_cndmask_b32_e64 v25, 0, v35, s0
	s_mov_b32 s0, 0x55555555
	s_delay_alu instid0(VALU_DEP_2) | instskip(SKIP_1) | instid1(VALU_DEP_1)
	v_cndmask_b32_e64 v26, 0, v0, s1
	s_mov_b32 s1, 0x3fe55555
	v_add_f64 v[35:36], v[25:26], 1.0
	s_delay_alu instid0(VALU_DEP_1) | instskip(SKIP_2) | instid1(VALU_DEP_3)
	v_frexp_mant_f64_e32 v[37:38], v[35:36]
	v_frexp_exp_i32_f64_e32 v0, v[35:36]
	v_add_f64 v[39:40], v[35:36], -1.0
	v_cmp_gt_f64_e64 s0, s[0:1], v[37:38]
	s_delay_alu instid0(VALU_DEP_2) | instskip(SKIP_1) | instid1(VALU_DEP_3)
	v_add_f64 v[37:38], v[39:40], -v[35:36]
	v_add_f64 v[39:40], v[25:26], -v[39:40]
	v_subrev_co_ci_u32_e64 v0, s0, 0, v0, s0
	s_delay_alu instid0(VALU_DEP_3) | instskip(SKIP_1) | instid1(VALU_DEP_2)
	v_add_f64 v[37:38], v[37:38], 1.0
	s_mov_b32 s0, 0x55555780
	v_sub_nc_u32_e32 v65, 0, v0
	s_delay_alu instid0(VALU_DEP_1) | instskip(NEXT) | instid1(VALU_DEP_3)
	v_ldexp_f64 v[35:36], v[35:36], v65
	v_add_f64 v[37:38], v[39:40], v[37:38]
	s_delay_alu instid0(VALU_DEP_2) | instskip(SKIP_2) | instid1(VALU_DEP_3)
	v_add_f64 v[63:64], v[35:36], 1.0
	s_waitcnt lgkmcnt(0)
	v_add_f64 v[69:70], v[35:36], -1.0
	v_ldexp_f64 v[37:38], v[37:38], v65
	s_delay_alu instid0(VALU_DEP_3) | instskip(NEXT) | instid1(VALU_DEP_3)
	v_add_f64 v[39:40], v[63:64], -1.0
	v_add_f64 v[71:72], v[69:70], 1.0
	s_delay_alu instid0(VALU_DEP_2) | instskip(NEXT) | instid1(VALU_DEP_2)
	v_add_f64 v[39:40], v[35:36], -v[39:40]
	v_add_f64 v[35:36], v[35:36], -v[71:72]
	s_delay_alu instid0(VALU_DEP_2) | instskip(NEXT) | instid1(VALU_DEP_2)
	v_add_f64 v[39:40], v[37:38], v[39:40]
	v_add_f64 v[35:36], v[37:38], v[35:36]
	s_delay_alu instid0(VALU_DEP_2) | instskip(NEXT) | instid1(VALU_DEP_2)
	v_add_f64 v[65:66], v[63:64], v[39:40]
	v_add_f64 v[71:72], v[69:70], v[35:36]
	s_delay_alu instid0(VALU_DEP_2) | instskip(SKIP_1) | instid1(VALU_DEP_2)
	v_rcp_f64_e32 v[67:68], v[65:66]
	v_add_f64 v[63:64], v[65:66], -v[63:64]
	v_add_f64 v[69:70], v[71:72], -v[69:70]
	s_delay_alu instid0(VALU_DEP_2) | instskip(SKIP_3) | instid1(VALU_DEP_2)
	v_add_f64 v[39:40], v[39:40], -v[63:64]
	s_waitcnt_depctr 0xfff
	v_fma_f64 v[73:74], -v[65:66], v[67:68], 1.0
	v_add_f64 v[35:36], v[35:36], -v[69:70]
	v_fma_f64 v[67:68], v[73:74], v[67:68], v[67:68]
	s_delay_alu instid0(VALU_DEP_1) | instskip(NEXT) | instid1(VALU_DEP_1)
	v_fma_f64 v[37:38], -v[65:66], v[67:68], 1.0
	v_fma_f64 v[37:38], v[37:38], v[67:68], v[67:68]
	s_delay_alu instid0(VALU_DEP_1) | instskip(NEXT) | instid1(VALU_DEP_1)
	v_mul_f64 v[67:68], v[71:72], v[37:38]
	v_mul_f64 v[73:74], v[65:66], v[67:68]
	s_delay_alu instid0(VALU_DEP_1) | instskip(NEXT) | instid1(VALU_DEP_1)
	v_fma_f64 v[63:64], v[67:68], v[65:66], -v[73:74]
	v_fma_f64 v[63:64], v[67:68], v[39:40], v[63:64]
	s_delay_alu instid0(VALU_DEP_1) | instskip(NEXT) | instid1(VALU_DEP_1)
	v_add_f64 v[75:76], v[73:74], v[63:64]
	v_add_f64 v[95:96], v[71:72], -v[75:76]
	v_add_f64 v[69:70], v[75:76], -v[73:74]
	s_delay_alu instid0(VALU_DEP_2) | instskip(NEXT) | instid1(VALU_DEP_2)
	v_add_f64 v[71:72], v[71:72], -v[95:96]
	v_add_f64 v[63:64], v[69:70], -v[63:64]
	s_delay_alu instid0(VALU_DEP_2) | instskip(NEXT) | instid1(VALU_DEP_1)
	v_add_f64 v[71:72], v[71:72], -v[75:76]
	v_add_f64 v[35:36], v[35:36], v[71:72]
	s_delay_alu instid0(VALU_DEP_1) | instskip(NEXT) | instid1(VALU_DEP_1)
	v_add_f64 v[35:36], v[63:64], v[35:36]
	v_add_f64 v[63:64], v[95:96], v[35:36]
	s_delay_alu instid0(VALU_DEP_1) | instskip(SKIP_1) | instid1(VALU_DEP_2)
	v_mul_f64 v[69:70], v[37:38], v[63:64]
	v_add_f64 v[75:76], v[95:96], -v[63:64]
	v_mul_f64 v[71:72], v[65:66], v[69:70]
	s_delay_alu instid0(VALU_DEP_2) | instskip(NEXT) | instid1(VALU_DEP_2)
	v_add_f64 v[35:36], v[35:36], v[75:76]
	v_fma_f64 v[65:66], v[69:70], v[65:66], -v[71:72]
	s_delay_alu instid0(VALU_DEP_1) | instskip(NEXT) | instid1(VALU_DEP_1)
	v_fma_f64 v[39:40], v[69:70], v[39:40], v[65:66]
	v_add_f64 v[65:66], v[71:72], v[39:40]
	s_delay_alu instid0(VALU_DEP_1) | instskip(SKIP_1) | instid1(VALU_DEP_2)
	v_add_f64 v[73:74], v[63:64], -v[65:66]
	v_add_f64 v[71:72], v[65:66], -v[71:72]
	v_add_f64 v[63:64], v[63:64], -v[73:74]
	s_delay_alu instid0(VALU_DEP_2) | instskip(NEXT) | instid1(VALU_DEP_2)
	v_add_f64 v[39:40], v[71:72], -v[39:40]
	v_add_f64 v[63:64], v[63:64], -v[65:66]
	s_delay_alu instid0(VALU_DEP_1) | instskip(SKIP_1) | instid1(VALU_DEP_2)
	v_add_f64 v[35:36], v[35:36], v[63:64]
	v_add_f64 v[63:64], v[67:68], v[69:70]
	;; [unrolled: 1-line block ×3, first 2 shown]
	s_delay_alu instid0(VALU_DEP_2) | instskip(NEXT) | instid1(VALU_DEP_2)
	v_add_f64 v[39:40], v[63:64], -v[67:68]
	v_add_f64 v[35:36], v[73:74], v[35:36]
	s_delay_alu instid0(VALU_DEP_2) | instskip(NEXT) | instid1(VALU_DEP_2)
	v_add_f64 v[39:40], v[69:70], -v[39:40]
	v_mul_f64 v[35:36], v[37:38], v[35:36]
	s_delay_alu instid0(VALU_DEP_1) | instskip(NEXT) | instid1(VALU_DEP_1)
	v_add_f64 v[35:36], v[39:40], v[35:36]
	v_add_f64 v[37:38], v[63:64], v[35:36]
	s_delay_alu instid0(VALU_DEP_1) | instskip(NEXT) | instid1(VALU_DEP_1)
	v_mul_f64 v[39:40], v[37:38], v[37:38]
	v_fma_f64 v[65:66], v[39:40], s[40:41], s[38:39]
	s_mov_b32 s38, 0xd7f4df2e
	s_mov_b32 s39, 0x3fc7474d
	v_mul_f64 v[67:68], v[37:38], v[39:40]
	s_delay_alu instid0(VALU_DEP_2)
	v_fma_f64 v[65:66], v[39:40], v[65:66], s[38:39]
	s_mov_b32 s38, 0x16291751
	s_mov_b32 s39, 0x3fcc71c0
	s_delay_alu instid0(VALU_DEP_1) | instid1(SALU_CYCLE_1)
	v_fma_f64 v[65:66], v[39:40], v[65:66], s[38:39]
	s_mov_b32 s38, 0x9b27acf1
	s_mov_b32 s39, 0x3fd24924
	s_delay_alu instid0(VALU_DEP_1) | instid1(SALU_CYCLE_1)
	;; [unrolled: 4-line block ×3, first 2 shown]
	v_fma_f64 v[65:66], v[39:40], v[65:66], s[38:39]
	s_delay_alu instid0(VALU_DEP_1) | instskip(SKIP_3) | instid1(VALU_DEP_4)
	v_fma_f64 v[39:40], v[39:40], v[65:66], s[0:1]
	v_ldexp_f64 v[65:66], v[37:38], 1
	v_add_f64 v[37:38], v[37:38], -v[63:64]
	v_cmp_eq_f64_e64 s0, 0x7ff00000, v[25:26]
	v_mul_f64 v[39:40], v[67:68], v[39:40]
	v_cvt_f64_i32_e32 v[67:68], v0
	s_delay_alu instid0(VALU_DEP_4) | instskip(NEXT) | instid1(VALU_DEP_3)
	v_add_f64 v[35:36], v[35:36], -v[37:38]
	v_add_f64 v[63:64], v[65:66], v[39:40]
	s_delay_alu instid0(VALU_DEP_3) | instskip(NEXT) | instid1(VALU_DEP_3)
	v_mul_f64 v[69:70], v[67:68], s[18:19]
	v_ldexp_f64 v[35:36], v[35:36], 1
	s_delay_alu instid0(VALU_DEP_3) | instskip(NEXT) | instid1(VALU_DEP_3)
	v_add_f64 v[37:38], v[63:64], -v[65:66]
	v_fma_f64 v[65:66], v[67:68], s[18:19], -v[69:70]
	s_delay_alu instid0(VALU_DEP_2) | instskip(NEXT) | instid1(VALU_DEP_2)
	v_add_f64 v[37:38], v[39:40], -v[37:38]
	v_fma_f64 v[39:40], v[67:68], s[36:37], v[65:66]
	s_delay_alu instid0(VALU_DEP_2) | instskip(NEXT) | instid1(VALU_DEP_2)
	v_add_f64 v[35:36], v[35:36], v[37:38]
	v_add_f64 v[37:38], v[69:70], v[39:40]
	s_delay_alu instid0(VALU_DEP_2) | instskip(NEXT) | instid1(VALU_DEP_2)
	v_add_f64 v[65:66], v[63:64], v[35:36]
	v_add_f64 v[69:70], v[37:38], -v[69:70]
	s_delay_alu instid0(VALU_DEP_2) | instskip(SKIP_1) | instid1(VALU_DEP_3)
	v_add_f64 v[67:68], v[37:38], v[65:66]
	v_add_f64 v[63:64], v[65:66], -v[63:64]
	v_add_f64 v[39:40], v[39:40], -v[69:70]
	s_delay_alu instid0(VALU_DEP_3) | instskip(NEXT) | instid1(VALU_DEP_3)
	v_add_f64 v[71:72], v[67:68], -v[37:38]
	v_add_f64 v[35:36], v[35:36], -v[63:64]
	s_delay_alu instid0(VALU_DEP_2) | instskip(SKIP_1) | instid1(VALU_DEP_3)
	v_add_f64 v[73:74], v[67:68], -v[71:72]
	v_add_f64 v[63:64], v[65:66], -v[71:72]
	v_add_f64 v[65:66], v[39:40], v[35:36]
	s_delay_alu instid0(VALU_DEP_3) | instskip(NEXT) | instid1(VALU_DEP_1)
	v_add_f64 v[37:38], v[37:38], -v[73:74]
	v_add_f64 v[37:38], v[63:64], v[37:38]
	s_delay_alu instid0(VALU_DEP_3) | instskip(NEXT) | instid1(VALU_DEP_2)
	v_add_f64 v[63:64], v[65:66], -v[39:40]
	v_add_f64 v[37:38], v[65:66], v[37:38]
	s_delay_alu instid0(VALU_DEP_2) | instskip(SKIP_1) | instid1(VALU_DEP_3)
	v_add_f64 v[65:66], v[65:66], -v[63:64]
	v_add_f64 v[35:36], v[35:36], -v[63:64]
	v_add_f64 v[69:70], v[67:68], v[37:38]
	s_delay_alu instid0(VALU_DEP_3) | instskip(NEXT) | instid1(VALU_DEP_2)
	v_add_f64 v[39:40], v[39:40], -v[65:66]
	v_add_f64 v[63:64], v[69:70], -v[67:68]
	s_delay_alu instid0(VALU_DEP_2) | instskip(NEXT) | instid1(VALU_DEP_2)
	v_add_f64 v[35:36], v[35:36], v[39:40]
	v_add_f64 v[37:38], v[37:38], -v[63:64]
	s_delay_alu instid0(VALU_DEP_1) | instskip(NEXT) | instid1(VALU_DEP_1)
	v_add_f64 v[35:36], v[35:36], v[37:38]
	v_add_f64 v[35:36], v[69:70], v[35:36]
	s_delay_alu instid0(VALU_DEP_1) | instskip(NEXT) | instid1(VALU_DEP_2)
	v_cndmask_b32_e64 v0, v35, v25, s0
	v_cndmask_b32_e64 v35, v36, v26, s0
	v_cmp_ngt_f64_e64 s0, -1.0, v[25:26]
	s_delay_alu instid0(VALU_DEP_1) | instskip(SKIP_1) | instid1(VALU_DEP_1)
	v_cndmask_b32_e64 v36, 0x7ff80000, v35, s0
	v_cmp_nge_f64_e64 s0, -1.0, v[25:26]
	v_cndmask_b32_e64 v35, 0, v0, s0
	v_cmp_neq_f64_e64 s0, -1.0, v[25:26]
	s_delay_alu instid0(VALU_DEP_1) | instskip(NEXT) | instid1(VALU_DEP_1)
	v_cndmask_b32_e64 v36, 0xfff00000, v36, s0
	v_add_f64 v[25:26], v[33:34], v[35:36]
.LBB46_114:
	s_or_b32 exec_lo, exec_lo, s17
	s_delay_alu instid0(VALU_DEP_1) | instskip(SKIP_1) | instid1(VALU_DEP_2)
	v_max_f64 v[33:34], v[25:26], v[25:26]
	v_cmp_u_f64_e64 s0, v[25:26], v[25:26]
	v_min_f64 v[35:36], v[33:34], v[41:42]
	v_max_f64 v[33:34], v[33:34], v[41:42]
	s_delay_alu instid0(VALU_DEP_2) | instskip(NEXT) | instid1(VALU_DEP_3)
	v_cndmask_b32_e64 v0, v35, v25, s0
	v_cndmask_b32_e64 v35, v36, v26, s0
	s_delay_alu instid0(VALU_DEP_3) | instskip(NEXT) | instid1(VALU_DEP_4)
	v_cndmask_b32_e64 v34, v34, v26, s0
	v_cndmask_b32_e64 v33, v33, v25, s0
	s_delay_alu instid0(VALU_DEP_3) | instskip(SKIP_1) | instid1(VALU_DEP_4)
	v_cndmask_b32_e64 v36, v35, v28, s21
	v_cndmask_b32_e64 v35, v0, v27, s21
	;; [unrolled: 1-line block ×3, first 2 shown]
	s_delay_alu instid0(VALU_DEP_4) | instskip(SKIP_1) | instid1(VALU_DEP_4)
	v_cndmask_b32_e64 v33, v33, v27, s21
	v_dual_mov_b32 v28, v26 :: v_dual_mov_b32 v27, v25
	v_cmp_class_f64_e64 s1, v[35:36], 0x1f8
	s_delay_alu instid0(VALU_DEP_3) | instskip(NEXT) | instid1(VALU_DEP_1)
	v_cmp_neq_f64_e64 s0, v[35:36], v[33:34]
	s_or_b32 s0, s0, s1
	s_delay_alu instid0(SALU_CYCLE_1)
	s_and_saveexec_b32 s17, s0
	s_cbranch_execz .LBB46_116
; %bb.115:
	v_add_f64 v[27:28], v[35:36], -v[33:34]
	s_mov_b32 s0, 0x652b82fe
	s_mov_b32 s1, 0x3ff71547
	;; [unrolled: 1-line block ×10, first 2 shown]
	s_delay_alu instid0(VALU_DEP_1) | instskip(SKIP_2) | instid1(VALU_DEP_1)
	v_mul_f64 v[35:36], v[27:28], s[0:1]
	s_mov_b32 s0, 0xfca7ab0c
	s_mov_b32 s1, 0x3e928af3
	v_rndne_f64_e32 v[35:36], v[35:36]
	s_delay_alu instid0(VALU_DEP_1) | instskip(SKIP_2) | instid1(VALU_DEP_2)
	v_fma_f64 v[37:38], v[35:36], s[18:19], v[27:28]
	v_cvt_i32_f64_e32 v0, v[35:36]
	s_mov_b32 s19, 0x3fe62e42
	v_fma_f64 v[37:38], v[35:36], s[20:21], v[37:38]
	s_mov_b32 s21, 0x3c7abc9e
	s_delay_alu instid0(VALU_DEP_1) | instskip(SKIP_4) | instid1(VALU_DEP_1)
	v_fma_f64 v[39:40], v[37:38], s[36:37], s[0:1]
	s_mov_b32 s0, 0x623fde64
	s_mov_b32 s1, 0x3ec71dee
	;; [unrolled: 1-line block ×4, first 2 shown]
	v_fma_f64 v[39:40], v[37:38], v[39:40], s[0:1]
	s_mov_b32 s0, 0x7c89e6b0
	s_mov_b32 s1, 0x3efa0199
	s_delay_alu instid0(VALU_DEP_1) | instid1(SALU_CYCLE_1)
	v_fma_f64 v[39:40], v[37:38], v[39:40], s[0:1]
	s_mov_b32 s0, 0x14761f6e
	s_mov_b32 s1, 0x3f2a01a0
	s_delay_alu instid0(VALU_DEP_1) | instid1(SALU_CYCLE_1)
	;; [unrolled: 4-line block ×7, first 2 shown]
	v_fma_f64 v[39:40], v[37:38], v[39:40], s[0:1]
	v_cmp_nlt_f64_e64 s0, 0x40900000, v[27:28]
	v_cmp_ngt_f64_e64 s1, 0xc090cc00, v[27:28]
	s_delay_alu instid0(VALU_DEP_3) | instskip(NEXT) | instid1(VALU_DEP_1)
	v_fma_f64 v[39:40], v[37:38], v[39:40], 1.0
	v_fma_f64 v[35:36], v[37:38], v[39:40], 1.0
	s_delay_alu instid0(VALU_DEP_1) | instskip(NEXT) | instid1(VALU_DEP_1)
	v_ldexp_f64 v[35:36], v[35:36], v0
	v_cndmask_b32_e64 v0, 0x7ff00000, v36, s0
	s_and_b32 s0, s1, s0
	s_delay_alu instid0(VALU_DEP_2) | instid1(SALU_CYCLE_1)
	v_cndmask_b32_e64 v27, 0, v35, s0
	s_mov_b32 s0, 0x55555555
	s_delay_alu instid0(VALU_DEP_2) | instskip(SKIP_1) | instid1(VALU_DEP_1)
	v_cndmask_b32_e64 v28, 0, v0, s1
	s_mov_b32 s1, 0x3fe55555
	v_add_f64 v[35:36], v[27:28], 1.0
	s_delay_alu instid0(VALU_DEP_1) | instskip(SKIP_2) | instid1(VALU_DEP_3)
	v_frexp_mant_f64_e32 v[37:38], v[35:36]
	v_frexp_exp_i32_f64_e32 v0, v[35:36]
	v_add_f64 v[39:40], v[35:36], -1.0
	v_cmp_gt_f64_e64 s0, s[0:1], v[37:38]
	s_delay_alu instid0(VALU_DEP_2) | instskip(SKIP_1) | instid1(VALU_DEP_3)
	v_add_f64 v[37:38], v[39:40], -v[35:36]
	v_add_f64 v[39:40], v[27:28], -v[39:40]
	v_subrev_co_ci_u32_e64 v0, s0, 0, v0, s0
	s_delay_alu instid0(VALU_DEP_3) | instskip(SKIP_1) | instid1(VALU_DEP_2)
	v_add_f64 v[37:38], v[37:38], 1.0
	s_mov_b32 s0, 0x55555780
	v_sub_nc_u32_e32 v63, 0, v0
	s_delay_alu instid0(VALU_DEP_1) | instskip(NEXT) | instid1(VALU_DEP_3)
	v_ldexp_f64 v[35:36], v[35:36], v63
	v_add_f64 v[37:38], v[39:40], v[37:38]
	s_delay_alu instid0(VALU_DEP_2) | instskip(SKIP_1) | instid1(VALU_DEP_3)
	v_add_f64 v[41:42], v[35:36], 1.0
	v_add_f64 v[67:68], v[35:36], -1.0
	v_ldexp_f64 v[37:38], v[37:38], v63
	s_delay_alu instid0(VALU_DEP_3) | instskip(SKIP_1) | instid1(VALU_DEP_3)
	v_add_f64 v[39:40], v[41:42], -1.0
	s_waitcnt lgkmcnt(0)
	v_add_f64 v[69:70], v[67:68], 1.0
	s_delay_alu instid0(VALU_DEP_2) | instskip(NEXT) | instid1(VALU_DEP_2)
	v_add_f64 v[39:40], v[35:36], -v[39:40]
	v_add_f64 v[35:36], v[35:36], -v[69:70]
	s_delay_alu instid0(VALU_DEP_2) | instskip(NEXT) | instid1(VALU_DEP_2)
	v_add_f64 v[39:40], v[37:38], v[39:40]
	v_add_f64 v[35:36], v[37:38], v[35:36]
	s_delay_alu instid0(VALU_DEP_2) | instskip(NEXT) | instid1(VALU_DEP_2)
	v_add_f64 v[63:64], v[41:42], v[39:40]
	v_add_f64 v[69:70], v[67:68], v[35:36]
	s_delay_alu instid0(VALU_DEP_2) | instskip(SKIP_1) | instid1(VALU_DEP_2)
	v_rcp_f64_e32 v[65:66], v[63:64]
	v_add_f64 v[41:42], v[63:64], -v[41:42]
	v_add_f64 v[67:68], v[69:70], -v[67:68]
	s_delay_alu instid0(VALU_DEP_2) | instskip(SKIP_3) | instid1(VALU_DEP_2)
	v_add_f64 v[39:40], v[39:40], -v[41:42]
	s_waitcnt_depctr 0xfff
	v_fma_f64 v[71:72], -v[63:64], v[65:66], 1.0
	v_add_f64 v[35:36], v[35:36], -v[67:68]
	v_fma_f64 v[65:66], v[71:72], v[65:66], v[65:66]
	s_delay_alu instid0(VALU_DEP_1) | instskip(NEXT) | instid1(VALU_DEP_1)
	v_fma_f64 v[37:38], -v[63:64], v[65:66], 1.0
	v_fma_f64 v[37:38], v[37:38], v[65:66], v[65:66]
	s_delay_alu instid0(VALU_DEP_1) | instskip(NEXT) | instid1(VALU_DEP_1)
	v_mul_f64 v[65:66], v[69:70], v[37:38]
	v_mul_f64 v[71:72], v[63:64], v[65:66]
	s_delay_alu instid0(VALU_DEP_1) | instskip(NEXT) | instid1(VALU_DEP_1)
	v_fma_f64 v[41:42], v[65:66], v[63:64], -v[71:72]
	v_fma_f64 v[41:42], v[65:66], v[39:40], v[41:42]
	s_delay_alu instid0(VALU_DEP_1) | instskip(NEXT) | instid1(VALU_DEP_1)
	v_add_f64 v[73:74], v[71:72], v[41:42]
	v_add_f64 v[75:76], v[69:70], -v[73:74]
	v_add_f64 v[67:68], v[73:74], -v[71:72]
	s_delay_alu instid0(VALU_DEP_2) | instskip(NEXT) | instid1(VALU_DEP_2)
	v_add_f64 v[69:70], v[69:70], -v[75:76]
	v_add_f64 v[41:42], v[67:68], -v[41:42]
	s_delay_alu instid0(VALU_DEP_2) | instskip(NEXT) | instid1(VALU_DEP_1)
	v_add_f64 v[69:70], v[69:70], -v[73:74]
	v_add_f64 v[35:36], v[35:36], v[69:70]
	s_delay_alu instid0(VALU_DEP_1) | instskip(NEXT) | instid1(VALU_DEP_1)
	v_add_f64 v[35:36], v[41:42], v[35:36]
	v_add_f64 v[41:42], v[75:76], v[35:36]
	s_delay_alu instid0(VALU_DEP_1) | instskip(SKIP_1) | instid1(VALU_DEP_2)
	v_mul_f64 v[67:68], v[37:38], v[41:42]
	v_add_f64 v[73:74], v[75:76], -v[41:42]
	v_mul_f64 v[69:70], v[63:64], v[67:68]
	s_delay_alu instid0(VALU_DEP_2) | instskip(NEXT) | instid1(VALU_DEP_2)
	v_add_f64 v[35:36], v[35:36], v[73:74]
	v_fma_f64 v[63:64], v[67:68], v[63:64], -v[69:70]
	s_delay_alu instid0(VALU_DEP_1) | instskip(NEXT) | instid1(VALU_DEP_1)
	v_fma_f64 v[39:40], v[67:68], v[39:40], v[63:64]
	v_add_f64 v[63:64], v[69:70], v[39:40]
	s_delay_alu instid0(VALU_DEP_1) | instskip(SKIP_1) | instid1(VALU_DEP_2)
	v_add_f64 v[71:72], v[41:42], -v[63:64]
	v_add_f64 v[69:70], v[63:64], -v[69:70]
	;; [unrolled: 1-line block ×3, first 2 shown]
	s_delay_alu instid0(VALU_DEP_2) | instskip(NEXT) | instid1(VALU_DEP_2)
	v_add_f64 v[39:40], v[69:70], -v[39:40]
	v_add_f64 v[41:42], v[41:42], -v[63:64]
	s_delay_alu instid0(VALU_DEP_1) | instskip(SKIP_1) | instid1(VALU_DEP_2)
	v_add_f64 v[35:36], v[35:36], v[41:42]
	v_add_f64 v[41:42], v[65:66], v[67:68]
	v_add_f64 v[35:36], v[39:40], v[35:36]
	s_delay_alu instid0(VALU_DEP_2) | instskip(NEXT) | instid1(VALU_DEP_2)
	v_add_f64 v[39:40], v[41:42], -v[65:66]
	v_add_f64 v[35:36], v[71:72], v[35:36]
	s_delay_alu instid0(VALU_DEP_2) | instskip(NEXT) | instid1(VALU_DEP_2)
	v_add_f64 v[39:40], v[67:68], -v[39:40]
	v_mul_f64 v[35:36], v[37:38], v[35:36]
	s_delay_alu instid0(VALU_DEP_1) | instskip(NEXT) | instid1(VALU_DEP_1)
	v_add_f64 v[35:36], v[39:40], v[35:36]
	v_add_f64 v[37:38], v[41:42], v[35:36]
	s_delay_alu instid0(VALU_DEP_1) | instskip(NEXT) | instid1(VALU_DEP_1)
	v_mul_f64 v[39:40], v[37:38], v[37:38]
	v_fma_f64 v[63:64], v[39:40], s[38:39], s[36:37]
	s_mov_b32 s36, 0xd7f4df2e
	s_mov_b32 s37, 0x3fc7474d
	v_mul_f64 v[65:66], v[37:38], v[39:40]
	s_delay_alu instid0(VALU_DEP_2)
	v_fma_f64 v[63:64], v[39:40], v[63:64], s[36:37]
	s_mov_b32 s36, 0x16291751
	s_mov_b32 s37, 0x3fcc71c0
	s_delay_alu instid0(VALU_DEP_1) | instid1(SALU_CYCLE_1)
	v_fma_f64 v[63:64], v[39:40], v[63:64], s[36:37]
	s_mov_b32 s36, 0x9b27acf1
	s_mov_b32 s37, 0x3fd24924
	s_delay_alu instid0(VALU_DEP_1) | instid1(SALU_CYCLE_1)
	;; [unrolled: 4-line block ×3, first 2 shown]
	v_fma_f64 v[63:64], v[39:40], v[63:64], s[36:37]
	s_delay_alu instid0(VALU_DEP_1) | instskip(SKIP_3) | instid1(VALU_DEP_4)
	v_fma_f64 v[39:40], v[39:40], v[63:64], s[0:1]
	v_ldexp_f64 v[63:64], v[37:38], 1
	v_add_f64 v[37:38], v[37:38], -v[41:42]
	v_cmp_eq_f64_e64 s0, 0x7ff00000, v[27:28]
	v_mul_f64 v[39:40], v[65:66], v[39:40]
	v_cvt_f64_i32_e32 v[65:66], v0
	s_delay_alu instid0(VALU_DEP_4) | instskip(NEXT) | instid1(VALU_DEP_3)
	v_add_f64 v[35:36], v[35:36], -v[37:38]
	v_add_f64 v[41:42], v[63:64], v[39:40]
	s_delay_alu instid0(VALU_DEP_3) | instskip(NEXT) | instid1(VALU_DEP_3)
	v_mul_f64 v[67:68], v[65:66], s[18:19]
	v_ldexp_f64 v[35:36], v[35:36], 1
	s_delay_alu instid0(VALU_DEP_3) | instskip(NEXT) | instid1(VALU_DEP_3)
	v_add_f64 v[37:38], v[41:42], -v[63:64]
	v_fma_f64 v[63:64], v[65:66], s[18:19], -v[67:68]
	s_delay_alu instid0(VALU_DEP_2) | instskip(NEXT) | instid1(VALU_DEP_2)
	v_add_f64 v[37:38], v[39:40], -v[37:38]
	v_fma_f64 v[39:40], v[65:66], s[20:21], v[63:64]
	s_delay_alu instid0(VALU_DEP_2) | instskip(NEXT) | instid1(VALU_DEP_2)
	v_add_f64 v[35:36], v[35:36], v[37:38]
	v_add_f64 v[37:38], v[67:68], v[39:40]
	s_delay_alu instid0(VALU_DEP_2) | instskip(NEXT) | instid1(VALU_DEP_2)
	v_add_f64 v[63:64], v[41:42], v[35:36]
	v_add_f64 v[67:68], v[37:38], -v[67:68]
	s_delay_alu instid0(VALU_DEP_2) | instskip(SKIP_1) | instid1(VALU_DEP_3)
	v_add_f64 v[65:66], v[37:38], v[63:64]
	v_add_f64 v[41:42], v[63:64], -v[41:42]
	v_add_f64 v[39:40], v[39:40], -v[67:68]
	s_delay_alu instid0(VALU_DEP_3) | instskip(NEXT) | instid1(VALU_DEP_3)
	v_add_f64 v[69:70], v[65:66], -v[37:38]
	v_add_f64 v[35:36], v[35:36], -v[41:42]
	s_delay_alu instid0(VALU_DEP_2) | instskip(SKIP_1) | instid1(VALU_DEP_3)
	v_add_f64 v[71:72], v[65:66], -v[69:70]
	v_add_f64 v[41:42], v[63:64], -v[69:70]
	v_add_f64 v[63:64], v[39:40], v[35:36]
	s_delay_alu instid0(VALU_DEP_3) | instskip(NEXT) | instid1(VALU_DEP_1)
	v_add_f64 v[37:38], v[37:38], -v[71:72]
	v_add_f64 v[37:38], v[41:42], v[37:38]
	s_delay_alu instid0(VALU_DEP_3) | instskip(NEXT) | instid1(VALU_DEP_2)
	v_add_f64 v[41:42], v[63:64], -v[39:40]
	v_add_f64 v[37:38], v[63:64], v[37:38]
	s_delay_alu instid0(VALU_DEP_2) | instskip(SKIP_1) | instid1(VALU_DEP_3)
	v_add_f64 v[63:64], v[63:64], -v[41:42]
	v_add_f64 v[35:36], v[35:36], -v[41:42]
	v_add_f64 v[67:68], v[65:66], v[37:38]
	s_delay_alu instid0(VALU_DEP_3) | instskip(NEXT) | instid1(VALU_DEP_2)
	v_add_f64 v[39:40], v[39:40], -v[63:64]
	v_add_f64 v[41:42], v[67:68], -v[65:66]
	s_delay_alu instid0(VALU_DEP_2) | instskip(NEXT) | instid1(VALU_DEP_2)
	v_add_f64 v[35:36], v[35:36], v[39:40]
	v_add_f64 v[37:38], v[37:38], -v[41:42]
	s_delay_alu instid0(VALU_DEP_1) | instskip(NEXT) | instid1(VALU_DEP_1)
	v_add_f64 v[35:36], v[35:36], v[37:38]
	v_add_f64 v[35:36], v[67:68], v[35:36]
	s_delay_alu instid0(VALU_DEP_1) | instskip(NEXT) | instid1(VALU_DEP_2)
	v_cndmask_b32_e64 v0, v35, v27, s0
	v_cndmask_b32_e64 v35, v36, v28, s0
	v_cmp_ngt_f64_e64 s0, -1.0, v[27:28]
	s_delay_alu instid0(VALU_DEP_1) | instskip(SKIP_1) | instid1(VALU_DEP_1)
	v_cndmask_b32_e64 v36, 0x7ff80000, v35, s0
	v_cmp_nge_f64_e64 s0, -1.0, v[27:28]
	v_cndmask_b32_e64 v35, 0, v0, s0
	v_cmp_neq_f64_e64 s0, -1.0, v[27:28]
	s_delay_alu instid0(VALU_DEP_1) | instskip(NEXT) | instid1(VALU_DEP_1)
	v_cndmask_b32_e64 v36, 0xfff00000, v36, s0
	v_add_f64 v[27:28], v[33:34], v[35:36]
.LBB46_116:
	s_or_b32 exec_lo, exec_lo, s17
	s_delay_alu instid0(VALU_DEP_1) | instskip(SKIP_1) | instid1(VALU_DEP_2)
	v_max_f64 v[33:34], v[27:28], v[27:28]
	v_cmp_u_f64_e64 s0, v[27:28], v[27:28]
	v_min_f64 v[35:36], v[33:34], v[43:44]
	v_max_f64 v[33:34], v[33:34], v[43:44]
	s_delay_alu instid0(VALU_DEP_2) | instskip(NEXT) | instid1(VALU_DEP_3)
	v_cndmask_b32_e64 v0, v35, v27, s0
	v_cndmask_b32_e64 v35, v36, v28, s0
	s_delay_alu instid0(VALU_DEP_3) | instskip(NEXT) | instid1(VALU_DEP_4)
	v_cndmask_b32_e64 v34, v34, v28, s0
	v_cndmask_b32_e64 v33, v33, v27, s0
	s_delay_alu instid0(VALU_DEP_3) | instskip(SKIP_1) | instid1(VALU_DEP_4)
	v_cndmask_b32_e64 v36, v35, v22, s22
	v_cndmask_b32_e64 v35, v0, v21, s22
	;; [unrolled: 1-line block ×3, first 2 shown]
	s_delay_alu instid0(VALU_DEP_4) | instskip(SKIP_1) | instid1(VALU_DEP_4)
	v_cndmask_b32_e64 v33, v33, v21, s22
	v_dual_mov_b32 v21, v27 :: v_dual_mov_b32 v22, v28
	v_cmp_class_f64_e64 s1, v[35:36], 0x1f8
	s_delay_alu instid0(VALU_DEP_3) | instskip(NEXT) | instid1(VALU_DEP_1)
	v_cmp_neq_f64_e64 s0, v[35:36], v[33:34]
	s_or_b32 s0, s0, s1
	s_delay_alu instid0(SALU_CYCLE_1)
	s_and_saveexec_b32 s17, s0
	s_cbranch_execz .LBB46_118
; %bb.117:
	v_add_f64 v[21:22], v[35:36], -v[33:34]
	s_mov_b32 s0, 0x652b82fe
	s_mov_b32 s1, 0x3ff71547
	;; [unrolled: 1-line block ×10, first 2 shown]
	s_delay_alu instid0(VALU_DEP_1) | instskip(SKIP_2) | instid1(VALU_DEP_1)
	v_mul_f64 v[35:36], v[21:22], s[0:1]
	s_mov_b32 s0, 0xfca7ab0c
	s_mov_b32 s1, 0x3e928af3
	v_rndne_f64_e32 v[35:36], v[35:36]
	s_delay_alu instid0(VALU_DEP_1) | instskip(SKIP_2) | instid1(VALU_DEP_2)
	v_fma_f64 v[37:38], v[35:36], s[18:19], v[21:22]
	v_cvt_i32_f64_e32 v0, v[35:36]
	s_mov_b32 s19, 0x3fe62e42
	v_fma_f64 v[37:38], v[35:36], s[20:21], v[37:38]
	s_mov_b32 s21, 0x3c7abc9e
	s_delay_alu instid0(VALU_DEP_1) | instskip(SKIP_4) | instid1(VALU_DEP_1)
	v_fma_f64 v[39:40], v[37:38], s[36:37], s[0:1]
	s_mov_b32 s0, 0x623fde64
	s_mov_b32 s1, 0x3ec71dee
	;; [unrolled: 1-line block ×4, first 2 shown]
	v_fma_f64 v[39:40], v[37:38], v[39:40], s[0:1]
	s_mov_b32 s0, 0x7c89e6b0
	s_mov_b32 s1, 0x3efa0199
	s_delay_alu instid0(VALU_DEP_1) | instid1(SALU_CYCLE_1)
	v_fma_f64 v[39:40], v[37:38], v[39:40], s[0:1]
	s_mov_b32 s0, 0x14761f6e
	s_mov_b32 s1, 0x3f2a01a0
	s_delay_alu instid0(VALU_DEP_1) | instid1(SALU_CYCLE_1)
	;; [unrolled: 4-line block ×7, first 2 shown]
	v_fma_f64 v[39:40], v[37:38], v[39:40], s[0:1]
	v_cmp_nlt_f64_e64 s0, 0x40900000, v[21:22]
	v_cmp_ngt_f64_e64 s1, 0xc090cc00, v[21:22]
	s_delay_alu instid0(VALU_DEP_3) | instskip(NEXT) | instid1(VALU_DEP_1)
	v_fma_f64 v[39:40], v[37:38], v[39:40], 1.0
	v_fma_f64 v[35:36], v[37:38], v[39:40], 1.0
	s_delay_alu instid0(VALU_DEP_1) | instskip(NEXT) | instid1(VALU_DEP_1)
	v_ldexp_f64 v[35:36], v[35:36], v0
	v_cndmask_b32_e64 v0, 0x7ff00000, v36, s0
	s_and_b32 s0, s1, s0
	s_delay_alu instid0(VALU_DEP_2) | instid1(SALU_CYCLE_1)
	v_cndmask_b32_e64 v21, 0, v35, s0
	s_mov_b32 s0, 0x55555555
	s_delay_alu instid0(VALU_DEP_2) | instskip(SKIP_1) | instid1(VALU_DEP_1)
	v_cndmask_b32_e64 v22, 0, v0, s1
	s_mov_b32 s1, 0x3fe55555
	v_add_f64 v[35:36], v[21:22], 1.0
	s_delay_alu instid0(VALU_DEP_1) | instskip(SKIP_2) | instid1(VALU_DEP_3)
	v_frexp_mant_f64_e32 v[37:38], v[35:36]
	v_frexp_exp_i32_f64_e32 v0, v[35:36]
	v_add_f64 v[39:40], v[35:36], -1.0
	v_cmp_gt_f64_e64 s0, s[0:1], v[37:38]
	s_delay_alu instid0(VALU_DEP_2) | instskip(SKIP_1) | instid1(VALU_DEP_3)
	v_add_f64 v[37:38], v[39:40], -v[35:36]
	v_add_f64 v[39:40], v[21:22], -v[39:40]
	v_subrev_co_ci_u32_e64 v0, s0, 0, v0, s0
	s_delay_alu instid0(VALU_DEP_3) | instskip(SKIP_1) | instid1(VALU_DEP_2)
	v_add_f64 v[37:38], v[37:38], 1.0
	s_mov_b32 s0, 0x55555780
	v_sub_nc_u32_e32 v43, 0, v0
	s_delay_alu instid0(VALU_DEP_1) | instskip(NEXT) | instid1(VALU_DEP_3)
	v_ldexp_f64 v[35:36], v[35:36], v43
	v_add_f64 v[37:38], v[39:40], v[37:38]
	s_delay_alu instid0(VALU_DEP_2) | instskip(SKIP_1) | instid1(VALU_DEP_3)
	v_add_f64 v[41:42], v[35:36], 1.0
	v_add_f64 v[65:66], v[35:36], -1.0
	v_ldexp_f64 v[37:38], v[37:38], v43
	s_delay_alu instid0(VALU_DEP_3) | instskip(NEXT) | instid1(VALU_DEP_3)
	v_add_f64 v[39:40], v[41:42], -1.0
	v_add_f64 v[67:68], v[65:66], 1.0
	s_delay_alu instid0(VALU_DEP_2) | instskip(NEXT) | instid1(VALU_DEP_2)
	v_add_f64 v[39:40], v[35:36], -v[39:40]
	v_add_f64 v[35:36], v[35:36], -v[67:68]
	s_delay_alu instid0(VALU_DEP_2) | instskip(NEXT) | instid1(VALU_DEP_2)
	v_add_f64 v[39:40], v[37:38], v[39:40]
	v_add_f64 v[35:36], v[37:38], v[35:36]
	s_delay_alu instid0(VALU_DEP_2) | instskip(NEXT) | instid1(VALU_DEP_2)
	v_add_f64 v[43:44], v[41:42], v[39:40]
	v_add_f64 v[67:68], v[65:66], v[35:36]
	s_delay_alu instid0(VALU_DEP_2) | instskip(SKIP_1) | instid1(VALU_DEP_2)
	v_rcp_f64_e32 v[63:64], v[43:44]
	v_add_f64 v[41:42], v[43:44], -v[41:42]
	v_add_f64 v[65:66], v[67:68], -v[65:66]
	s_delay_alu instid0(VALU_DEP_2) | instskip(SKIP_4) | instid1(VALU_DEP_2)
	v_add_f64 v[39:40], v[39:40], -v[41:42]
	s_waitcnt lgkmcnt(0)
	s_waitcnt_depctr 0xfff
	v_fma_f64 v[69:70], -v[43:44], v[63:64], 1.0
	v_add_f64 v[35:36], v[35:36], -v[65:66]
	v_fma_f64 v[63:64], v[69:70], v[63:64], v[63:64]
	s_delay_alu instid0(VALU_DEP_1) | instskip(NEXT) | instid1(VALU_DEP_1)
	v_fma_f64 v[37:38], -v[43:44], v[63:64], 1.0
	v_fma_f64 v[37:38], v[37:38], v[63:64], v[63:64]
	s_delay_alu instid0(VALU_DEP_1) | instskip(NEXT) | instid1(VALU_DEP_1)
	v_mul_f64 v[63:64], v[67:68], v[37:38]
	v_mul_f64 v[69:70], v[43:44], v[63:64]
	s_delay_alu instid0(VALU_DEP_1) | instskip(NEXT) | instid1(VALU_DEP_1)
	v_fma_f64 v[41:42], v[63:64], v[43:44], -v[69:70]
	v_fma_f64 v[41:42], v[63:64], v[39:40], v[41:42]
	s_delay_alu instid0(VALU_DEP_1) | instskip(NEXT) | instid1(VALU_DEP_1)
	v_add_f64 v[71:72], v[69:70], v[41:42]
	v_add_f64 v[73:74], v[67:68], -v[71:72]
	v_add_f64 v[65:66], v[71:72], -v[69:70]
	s_delay_alu instid0(VALU_DEP_2) | instskip(NEXT) | instid1(VALU_DEP_2)
	v_add_f64 v[67:68], v[67:68], -v[73:74]
	v_add_f64 v[41:42], v[65:66], -v[41:42]
	s_delay_alu instid0(VALU_DEP_2) | instskip(NEXT) | instid1(VALU_DEP_1)
	v_add_f64 v[67:68], v[67:68], -v[71:72]
	v_add_f64 v[35:36], v[35:36], v[67:68]
	s_delay_alu instid0(VALU_DEP_1) | instskip(NEXT) | instid1(VALU_DEP_1)
	v_add_f64 v[35:36], v[41:42], v[35:36]
	v_add_f64 v[41:42], v[73:74], v[35:36]
	s_delay_alu instid0(VALU_DEP_1) | instskip(SKIP_1) | instid1(VALU_DEP_2)
	v_mul_f64 v[65:66], v[37:38], v[41:42]
	v_add_f64 v[71:72], v[73:74], -v[41:42]
	v_mul_f64 v[67:68], v[43:44], v[65:66]
	s_delay_alu instid0(VALU_DEP_2) | instskip(NEXT) | instid1(VALU_DEP_2)
	v_add_f64 v[35:36], v[35:36], v[71:72]
	v_fma_f64 v[43:44], v[65:66], v[43:44], -v[67:68]
	s_delay_alu instid0(VALU_DEP_1) | instskip(NEXT) | instid1(VALU_DEP_1)
	v_fma_f64 v[39:40], v[65:66], v[39:40], v[43:44]
	v_add_f64 v[43:44], v[67:68], v[39:40]
	s_delay_alu instid0(VALU_DEP_1) | instskip(SKIP_1) | instid1(VALU_DEP_2)
	v_add_f64 v[69:70], v[41:42], -v[43:44]
	v_add_f64 v[67:68], v[43:44], -v[67:68]
	;; [unrolled: 1-line block ×3, first 2 shown]
	s_delay_alu instid0(VALU_DEP_2) | instskip(NEXT) | instid1(VALU_DEP_2)
	v_add_f64 v[39:40], v[67:68], -v[39:40]
	v_add_f64 v[41:42], v[41:42], -v[43:44]
	s_delay_alu instid0(VALU_DEP_1) | instskip(SKIP_1) | instid1(VALU_DEP_2)
	v_add_f64 v[35:36], v[35:36], v[41:42]
	v_add_f64 v[41:42], v[63:64], v[65:66]
	;; [unrolled: 1-line block ×3, first 2 shown]
	s_delay_alu instid0(VALU_DEP_2) | instskip(NEXT) | instid1(VALU_DEP_2)
	v_add_f64 v[39:40], v[41:42], -v[63:64]
	v_add_f64 v[35:36], v[69:70], v[35:36]
	s_delay_alu instid0(VALU_DEP_2) | instskip(NEXT) | instid1(VALU_DEP_2)
	v_add_f64 v[39:40], v[65:66], -v[39:40]
	v_mul_f64 v[35:36], v[37:38], v[35:36]
	s_delay_alu instid0(VALU_DEP_1) | instskip(NEXT) | instid1(VALU_DEP_1)
	v_add_f64 v[35:36], v[39:40], v[35:36]
	v_add_f64 v[37:38], v[41:42], v[35:36]
	s_delay_alu instid0(VALU_DEP_1) | instskip(NEXT) | instid1(VALU_DEP_1)
	v_mul_f64 v[39:40], v[37:38], v[37:38]
	v_fma_f64 v[43:44], v[39:40], s[38:39], s[36:37]
	s_mov_b32 s36, 0xd7f4df2e
	s_mov_b32 s37, 0x3fc7474d
	v_mul_f64 v[63:64], v[37:38], v[39:40]
	s_delay_alu instid0(VALU_DEP_2)
	v_fma_f64 v[43:44], v[39:40], v[43:44], s[36:37]
	s_mov_b32 s36, 0x16291751
	s_mov_b32 s37, 0x3fcc71c0
	s_delay_alu instid0(VALU_DEP_1) | instid1(SALU_CYCLE_1)
	v_fma_f64 v[43:44], v[39:40], v[43:44], s[36:37]
	s_mov_b32 s36, 0x9b27acf1
	s_mov_b32 s37, 0x3fd24924
	s_delay_alu instid0(VALU_DEP_1) | instid1(SALU_CYCLE_1)
	;; [unrolled: 4-line block ×3, first 2 shown]
	v_fma_f64 v[43:44], v[39:40], v[43:44], s[36:37]
	s_delay_alu instid0(VALU_DEP_1) | instskip(SKIP_3) | instid1(VALU_DEP_4)
	v_fma_f64 v[39:40], v[39:40], v[43:44], s[0:1]
	v_ldexp_f64 v[43:44], v[37:38], 1
	v_add_f64 v[37:38], v[37:38], -v[41:42]
	v_cmp_eq_f64_e64 s0, 0x7ff00000, v[21:22]
	v_mul_f64 v[39:40], v[63:64], v[39:40]
	v_cvt_f64_i32_e32 v[63:64], v0
	s_delay_alu instid0(VALU_DEP_4) | instskip(NEXT) | instid1(VALU_DEP_3)
	v_add_f64 v[35:36], v[35:36], -v[37:38]
	v_add_f64 v[41:42], v[43:44], v[39:40]
	s_delay_alu instid0(VALU_DEP_3) | instskip(NEXT) | instid1(VALU_DEP_3)
	v_mul_f64 v[65:66], v[63:64], s[18:19]
	v_ldexp_f64 v[35:36], v[35:36], 1
	s_delay_alu instid0(VALU_DEP_3) | instskip(NEXT) | instid1(VALU_DEP_3)
	v_add_f64 v[37:38], v[41:42], -v[43:44]
	v_fma_f64 v[43:44], v[63:64], s[18:19], -v[65:66]
	s_delay_alu instid0(VALU_DEP_2) | instskip(NEXT) | instid1(VALU_DEP_2)
	v_add_f64 v[37:38], v[39:40], -v[37:38]
	v_fma_f64 v[39:40], v[63:64], s[20:21], v[43:44]
	s_delay_alu instid0(VALU_DEP_2) | instskip(NEXT) | instid1(VALU_DEP_2)
	v_add_f64 v[35:36], v[35:36], v[37:38]
	v_add_f64 v[37:38], v[65:66], v[39:40]
	s_delay_alu instid0(VALU_DEP_2) | instskip(NEXT) | instid1(VALU_DEP_2)
	v_add_f64 v[43:44], v[41:42], v[35:36]
	v_add_f64 v[65:66], v[37:38], -v[65:66]
	s_delay_alu instid0(VALU_DEP_2) | instskip(SKIP_1) | instid1(VALU_DEP_3)
	v_add_f64 v[63:64], v[37:38], v[43:44]
	v_add_f64 v[41:42], v[43:44], -v[41:42]
	v_add_f64 v[39:40], v[39:40], -v[65:66]
	s_delay_alu instid0(VALU_DEP_3) | instskip(NEXT) | instid1(VALU_DEP_3)
	v_add_f64 v[67:68], v[63:64], -v[37:38]
	v_add_f64 v[35:36], v[35:36], -v[41:42]
	s_delay_alu instid0(VALU_DEP_2) | instskip(SKIP_1) | instid1(VALU_DEP_3)
	v_add_f64 v[69:70], v[63:64], -v[67:68]
	v_add_f64 v[41:42], v[43:44], -v[67:68]
	v_add_f64 v[43:44], v[39:40], v[35:36]
	s_delay_alu instid0(VALU_DEP_3) | instskip(NEXT) | instid1(VALU_DEP_1)
	v_add_f64 v[37:38], v[37:38], -v[69:70]
	v_add_f64 v[37:38], v[41:42], v[37:38]
	s_delay_alu instid0(VALU_DEP_3) | instskip(NEXT) | instid1(VALU_DEP_2)
	v_add_f64 v[41:42], v[43:44], -v[39:40]
	v_add_f64 v[37:38], v[43:44], v[37:38]
	s_delay_alu instid0(VALU_DEP_2) | instskip(SKIP_1) | instid1(VALU_DEP_3)
	v_add_f64 v[43:44], v[43:44], -v[41:42]
	v_add_f64 v[35:36], v[35:36], -v[41:42]
	v_add_f64 v[65:66], v[63:64], v[37:38]
	s_delay_alu instid0(VALU_DEP_3) | instskip(NEXT) | instid1(VALU_DEP_2)
	v_add_f64 v[39:40], v[39:40], -v[43:44]
	v_add_f64 v[41:42], v[65:66], -v[63:64]
	s_delay_alu instid0(VALU_DEP_2) | instskip(NEXT) | instid1(VALU_DEP_2)
	v_add_f64 v[35:36], v[35:36], v[39:40]
	v_add_f64 v[37:38], v[37:38], -v[41:42]
	s_delay_alu instid0(VALU_DEP_1) | instskip(NEXT) | instid1(VALU_DEP_1)
	v_add_f64 v[35:36], v[35:36], v[37:38]
	v_add_f64 v[35:36], v[65:66], v[35:36]
	s_delay_alu instid0(VALU_DEP_1) | instskip(NEXT) | instid1(VALU_DEP_2)
	v_cndmask_b32_e64 v0, v35, v21, s0
	v_cndmask_b32_e64 v35, v36, v22, s0
	v_cmp_ngt_f64_e64 s0, -1.0, v[21:22]
	s_delay_alu instid0(VALU_DEP_1) | instskip(SKIP_1) | instid1(VALU_DEP_1)
	v_cndmask_b32_e64 v36, 0x7ff80000, v35, s0
	v_cmp_nge_f64_e64 s0, -1.0, v[21:22]
	v_cndmask_b32_e64 v35, 0, v0, s0
	v_cmp_neq_f64_e64 s0, -1.0, v[21:22]
	s_delay_alu instid0(VALU_DEP_1) | instskip(NEXT) | instid1(VALU_DEP_1)
	v_cndmask_b32_e64 v36, 0xfff00000, v36, s0
	v_add_f64 v[21:22], v[33:34], v[35:36]
.LBB46_118:
	s_or_b32 exec_lo, exec_lo, s17
	s_delay_alu instid0(VALU_DEP_1) | instskip(SKIP_1) | instid1(VALU_DEP_2)
	v_max_f64 v[33:34], v[21:22], v[21:22]
	v_cmp_u_f64_e64 s0, v[21:22], v[21:22]
	v_min_f64 v[35:36], v[33:34], v[45:46]
	v_max_f64 v[33:34], v[33:34], v[45:46]
	s_delay_alu instid0(VALU_DEP_2) | instskip(NEXT) | instid1(VALU_DEP_3)
	v_cndmask_b32_e64 v0, v35, v21, s0
	v_cndmask_b32_e64 v35, v36, v22, s0
	s_delay_alu instid0(VALU_DEP_3) | instskip(NEXT) | instid1(VALU_DEP_4)
	v_cndmask_b32_e64 v34, v34, v22, s0
	v_cndmask_b32_e64 v33, v33, v21, s0
	s_delay_alu instid0(VALU_DEP_3) | instskip(SKIP_1) | instid1(VALU_DEP_4)
	v_cndmask_b32_e64 v36, v35, v24, s23
	v_cndmask_b32_e64 v35, v0, v23, s23
	;; [unrolled: 1-line block ×3, first 2 shown]
	s_delay_alu instid0(VALU_DEP_4) | instskip(SKIP_1) | instid1(VALU_DEP_4)
	v_cndmask_b32_e64 v33, v33, v23, s23
	v_dual_mov_b32 v24, v22 :: v_dual_mov_b32 v23, v21
	v_cmp_class_f64_e64 s1, v[35:36], 0x1f8
	s_delay_alu instid0(VALU_DEP_3) | instskip(NEXT) | instid1(VALU_DEP_1)
	v_cmp_neq_f64_e64 s0, v[35:36], v[33:34]
	s_or_b32 s0, s0, s1
	s_delay_alu instid0(SALU_CYCLE_1)
	s_and_saveexec_b32 s17, s0
	s_cbranch_execz .LBB46_120
; %bb.119:
	v_add_f64 v[23:24], v[35:36], -v[33:34]
	s_mov_b32 s0, 0x652b82fe
	s_mov_b32 s1, 0x3ff71547
	;; [unrolled: 1-line block ×10, first 2 shown]
	s_delay_alu instid0(VALU_DEP_1) | instskip(SKIP_2) | instid1(VALU_DEP_1)
	v_mul_f64 v[35:36], v[23:24], s[0:1]
	s_mov_b32 s0, 0xfca7ab0c
	s_mov_b32 s1, 0x3e928af3
	v_rndne_f64_e32 v[35:36], v[35:36]
	s_delay_alu instid0(VALU_DEP_1) | instskip(SKIP_2) | instid1(VALU_DEP_2)
	v_fma_f64 v[37:38], v[35:36], s[18:19], v[23:24]
	v_cvt_i32_f64_e32 v0, v[35:36]
	s_mov_b32 s19, 0x3fe62e42
	v_fma_f64 v[37:38], v[35:36], s[20:21], v[37:38]
	s_mov_b32 s21, 0x3c7abc9e
	s_delay_alu instid0(VALU_DEP_1) | instskip(SKIP_4) | instid1(VALU_DEP_1)
	v_fma_f64 v[39:40], v[37:38], s[22:23], s[0:1]
	s_mov_b32 s0, 0x623fde64
	s_mov_b32 s1, 0x3ec71dee
	;; [unrolled: 1-line block ×4, first 2 shown]
	v_fma_f64 v[39:40], v[37:38], v[39:40], s[0:1]
	s_mov_b32 s0, 0x7c89e6b0
	s_mov_b32 s1, 0x3efa0199
	s_delay_alu instid0(VALU_DEP_1) | instid1(SALU_CYCLE_1)
	v_fma_f64 v[39:40], v[37:38], v[39:40], s[0:1]
	s_mov_b32 s0, 0x14761f6e
	s_mov_b32 s1, 0x3f2a01a0
	s_delay_alu instid0(VALU_DEP_1) | instid1(SALU_CYCLE_1)
	;; [unrolled: 4-line block ×7, first 2 shown]
	v_fma_f64 v[39:40], v[37:38], v[39:40], s[0:1]
	v_cmp_nlt_f64_e64 s0, 0x40900000, v[23:24]
	v_cmp_ngt_f64_e64 s1, 0xc090cc00, v[23:24]
	s_delay_alu instid0(VALU_DEP_3) | instskip(NEXT) | instid1(VALU_DEP_1)
	v_fma_f64 v[39:40], v[37:38], v[39:40], 1.0
	v_fma_f64 v[35:36], v[37:38], v[39:40], 1.0
	s_delay_alu instid0(VALU_DEP_1) | instskip(NEXT) | instid1(VALU_DEP_1)
	v_ldexp_f64 v[35:36], v[35:36], v0
	v_cndmask_b32_e64 v0, 0x7ff00000, v36, s0
	s_and_b32 s0, s1, s0
	s_delay_alu instid0(VALU_DEP_2) | instid1(SALU_CYCLE_1)
	v_cndmask_b32_e64 v23, 0, v35, s0
	s_mov_b32 s0, 0x55555555
	s_delay_alu instid0(VALU_DEP_2) | instskip(SKIP_1) | instid1(VALU_DEP_1)
	v_cndmask_b32_e64 v24, 0, v0, s1
	s_mov_b32 s1, 0x3fe55555
	v_add_f64 v[35:36], v[23:24], 1.0
	s_delay_alu instid0(VALU_DEP_1) | instskip(SKIP_2) | instid1(VALU_DEP_3)
	v_frexp_mant_f64_e32 v[37:38], v[35:36]
	v_frexp_exp_i32_f64_e32 v0, v[35:36]
	v_add_f64 v[39:40], v[35:36], -1.0
	v_cmp_gt_f64_e64 s0, s[0:1], v[37:38]
	s_delay_alu instid0(VALU_DEP_2) | instskip(SKIP_1) | instid1(VALU_DEP_3)
	v_add_f64 v[37:38], v[39:40], -v[35:36]
	v_add_f64 v[39:40], v[23:24], -v[39:40]
	v_subrev_co_ci_u32_e64 v0, s0, 0, v0, s0
	s_delay_alu instid0(VALU_DEP_3) | instskip(SKIP_1) | instid1(VALU_DEP_2)
	v_add_f64 v[37:38], v[37:38], 1.0
	s_mov_b32 s0, 0x55555780
	v_sub_nc_u32_e32 v43, 0, v0
	s_delay_alu instid0(VALU_DEP_1) | instskip(NEXT) | instid1(VALU_DEP_3)
	v_ldexp_f64 v[35:36], v[35:36], v43
	v_add_f64 v[37:38], v[39:40], v[37:38]
	s_delay_alu instid0(VALU_DEP_2) | instskip(SKIP_1) | instid1(VALU_DEP_3)
	v_add_f64 v[41:42], v[35:36], 1.0
	v_add_f64 v[63:64], v[35:36], -1.0
	v_ldexp_f64 v[37:38], v[37:38], v43
	s_delay_alu instid0(VALU_DEP_3) | instskip(NEXT) | instid1(VALU_DEP_3)
	v_add_f64 v[39:40], v[41:42], -1.0
	v_add_f64 v[65:66], v[63:64], 1.0
	s_delay_alu instid0(VALU_DEP_2) | instskip(NEXT) | instid1(VALU_DEP_2)
	v_add_f64 v[39:40], v[35:36], -v[39:40]
	v_add_f64 v[35:36], v[35:36], -v[65:66]
	s_delay_alu instid0(VALU_DEP_2) | instskip(NEXT) | instid1(VALU_DEP_2)
	v_add_f64 v[39:40], v[37:38], v[39:40]
	v_add_f64 v[35:36], v[37:38], v[35:36]
	s_delay_alu instid0(VALU_DEP_2) | instskip(NEXT) | instid1(VALU_DEP_2)
	v_add_f64 v[43:44], v[41:42], v[39:40]
	v_add_f64 v[65:66], v[63:64], v[35:36]
	s_delay_alu instid0(VALU_DEP_2) | instskip(SKIP_1) | instid1(VALU_DEP_2)
	v_rcp_f64_e32 v[45:46], v[43:44]
	v_add_f64 v[41:42], v[43:44], -v[41:42]
	v_add_f64 v[63:64], v[65:66], -v[63:64]
	s_delay_alu instid0(VALU_DEP_2) | instskip(SKIP_3) | instid1(VALU_DEP_2)
	v_add_f64 v[39:40], v[39:40], -v[41:42]
	s_waitcnt_depctr 0xfff
	v_fma_f64 v[67:68], -v[43:44], v[45:46], 1.0
	v_add_f64 v[35:36], v[35:36], -v[63:64]
	v_fma_f64 v[45:46], v[67:68], v[45:46], v[45:46]
	s_delay_alu instid0(VALU_DEP_1) | instskip(NEXT) | instid1(VALU_DEP_1)
	v_fma_f64 v[37:38], -v[43:44], v[45:46], 1.0
	v_fma_f64 v[37:38], v[37:38], v[45:46], v[45:46]
	s_delay_alu instid0(VALU_DEP_1) | instskip(NEXT) | instid1(VALU_DEP_1)
	v_mul_f64 v[45:46], v[65:66], v[37:38]
	v_mul_f64 v[67:68], v[43:44], v[45:46]
	s_delay_alu instid0(VALU_DEP_1) | instskip(NEXT) | instid1(VALU_DEP_1)
	v_fma_f64 v[41:42], v[45:46], v[43:44], -v[67:68]
	v_fma_f64 v[41:42], v[45:46], v[39:40], v[41:42]
	s_waitcnt lgkmcnt(0)
	s_delay_alu instid0(VALU_DEP_1) | instskip(NEXT) | instid1(VALU_DEP_1)
	v_add_f64 v[69:70], v[67:68], v[41:42]
	v_add_f64 v[71:72], v[65:66], -v[69:70]
	v_add_f64 v[63:64], v[69:70], -v[67:68]
	s_delay_alu instid0(VALU_DEP_2) | instskip(NEXT) | instid1(VALU_DEP_2)
	v_add_f64 v[65:66], v[65:66], -v[71:72]
	v_add_f64 v[41:42], v[63:64], -v[41:42]
	s_delay_alu instid0(VALU_DEP_2) | instskip(NEXT) | instid1(VALU_DEP_1)
	v_add_f64 v[65:66], v[65:66], -v[69:70]
	v_add_f64 v[35:36], v[35:36], v[65:66]
	s_delay_alu instid0(VALU_DEP_1) | instskip(NEXT) | instid1(VALU_DEP_1)
	v_add_f64 v[35:36], v[41:42], v[35:36]
	v_add_f64 v[41:42], v[71:72], v[35:36]
	s_delay_alu instid0(VALU_DEP_1) | instskip(SKIP_1) | instid1(VALU_DEP_2)
	v_mul_f64 v[63:64], v[37:38], v[41:42]
	v_add_f64 v[69:70], v[71:72], -v[41:42]
	v_mul_f64 v[65:66], v[43:44], v[63:64]
	s_delay_alu instid0(VALU_DEP_2) | instskip(NEXT) | instid1(VALU_DEP_2)
	v_add_f64 v[35:36], v[35:36], v[69:70]
	v_fma_f64 v[43:44], v[63:64], v[43:44], -v[65:66]
	s_delay_alu instid0(VALU_DEP_1) | instskip(NEXT) | instid1(VALU_DEP_1)
	v_fma_f64 v[39:40], v[63:64], v[39:40], v[43:44]
	v_add_f64 v[43:44], v[65:66], v[39:40]
	s_delay_alu instid0(VALU_DEP_1) | instskip(SKIP_1) | instid1(VALU_DEP_2)
	v_add_f64 v[67:68], v[41:42], -v[43:44]
	v_add_f64 v[65:66], v[43:44], -v[65:66]
	v_add_f64 v[41:42], v[41:42], -v[67:68]
	s_delay_alu instid0(VALU_DEP_2) | instskip(NEXT) | instid1(VALU_DEP_2)
	v_add_f64 v[39:40], v[65:66], -v[39:40]
	v_add_f64 v[41:42], v[41:42], -v[43:44]
	s_delay_alu instid0(VALU_DEP_1) | instskip(SKIP_1) | instid1(VALU_DEP_2)
	v_add_f64 v[35:36], v[35:36], v[41:42]
	v_add_f64 v[41:42], v[45:46], v[63:64]
	;; [unrolled: 1-line block ×3, first 2 shown]
	s_delay_alu instid0(VALU_DEP_2) | instskip(NEXT) | instid1(VALU_DEP_2)
	v_add_f64 v[39:40], v[41:42], -v[45:46]
	v_add_f64 v[35:36], v[67:68], v[35:36]
	s_delay_alu instid0(VALU_DEP_2) | instskip(NEXT) | instid1(VALU_DEP_2)
	v_add_f64 v[39:40], v[63:64], -v[39:40]
	v_mul_f64 v[35:36], v[37:38], v[35:36]
	s_delay_alu instid0(VALU_DEP_1) | instskip(NEXT) | instid1(VALU_DEP_1)
	v_add_f64 v[35:36], v[39:40], v[35:36]
	v_add_f64 v[37:38], v[41:42], v[35:36]
	s_delay_alu instid0(VALU_DEP_1) | instskip(NEXT) | instid1(VALU_DEP_1)
	v_mul_f64 v[39:40], v[37:38], v[37:38]
	v_fma_f64 v[43:44], v[39:40], s[36:37], s[22:23]
	s_mov_b32 s22, 0xd7f4df2e
	s_mov_b32 s23, 0x3fc7474d
	v_mul_f64 v[45:46], v[37:38], v[39:40]
	s_delay_alu instid0(VALU_DEP_2)
	v_fma_f64 v[43:44], v[39:40], v[43:44], s[22:23]
	s_mov_b32 s22, 0x16291751
	s_mov_b32 s23, 0x3fcc71c0
	s_delay_alu instid0(VALU_DEP_1) | instid1(SALU_CYCLE_1)
	v_fma_f64 v[43:44], v[39:40], v[43:44], s[22:23]
	s_mov_b32 s22, 0x9b27acf1
	s_mov_b32 s23, 0x3fd24924
	s_delay_alu instid0(VALU_DEP_1) | instid1(SALU_CYCLE_1)
	;; [unrolled: 4-line block ×3, first 2 shown]
	v_fma_f64 v[43:44], v[39:40], v[43:44], s[22:23]
	s_delay_alu instid0(VALU_DEP_1) | instskip(SKIP_3) | instid1(VALU_DEP_4)
	v_fma_f64 v[39:40], v[39:40], v[43:44], s[0:1]
	v_ldexp_f64 v[43:44], v[37:38], 1
	v_add_f64 v[37:38], v[37:38], -v[41:42]
	v_cmp_eq_f64_e64 s0, 0x7ff00000, v[23:24]
	v_mul_f64 v[39:40], v[45:46], v[39:40]
	v_cvt_f64_i32_e32 v[45:46], v0
	s_delay_alu instid0(VALU_DEP_4) | instskip(NEXT) | instid1(VALU_DEP_3)
	v_add_f64 v[35:36], v[35:36], -v[37:38]
	v_add_f64 v[41:42], v[43:44], v[39:40]
	s_delay_alu instid0(VALU_DEP_3) | instskip(NEXT) | instid1(VALU_DEP_3)
	v_mul_f64 v[63:64], v[45:46], s[18:19]
	v_ldexp_f64 v[35:36], v[35:36], 1
	s_delay_alu instid0(VALU_DEP_3) | instskip(NEXT) | instid1(VALU_DEP_3)
	v_add_f64 v[37:38], v[41:42], -v[43:44]
	v_fma_f64 v[43:44], v[45:46], s[18:19], -v[63:64]
	s_delay_alu instid0(VALU_DEP_2) | instskip(NEXT) | instid1(VALU_DEP_2)
	v_add_f64 v[37:38], v[39:40], -v[37:38]
	v_fma_f64 v[39:40], v[45:46], s[20:21], v[43:44]
	s_delay_alu instid0(VALU_DEP_2) | instskip(NEXT) | instid1(VALU_DEP_2)
	v_add_f64 v[35:36], v[35:36], v[37:38]
	v_add_f64 v[37:38], v[63:64], v[39:40]
	s_delay_alu instid0(VALU_DEP_2) | instskip(NEXT) | instid1(VALU_DEP_2)
	v_add_f64 v[43:44], v[41:42], v[35:36]
	v_add_f64 v[63:64], v[37:38], -v[63:64]
	s_delay_alu instid0(VALU_DEP_2) | instskip(SKIP_1) | instid1(VALU_DEP_3)
	v_add_f64 v[45:46], v[37:38], v[43:44]
	v_add_f64 v[41:42], v[43:44], -v[41:42]
	v_add_f64 v[39:40], v[39:40], -v[63:64]
	s_delay_alu instid0(VALU_DEP_3) | instskip(NEXT) | instid1(VALU_DEP_3)
	v_add_f64 v[65:66], v[45:46], -v[37:38]
	v_add_f64 v[35:36], v[35:36], -v[41:42]
	s_delay_alu instid0(VALU_DEP_2) | instskip(SKIP_1) | instid1(VALU_DEP_3)
	v_add_f64 v[67:68], v[45:46], -v[65:66]
	v_add_f64 v[41:42], v[43:44], -v[65:66]
	v_add_f64 v[43:44], v[39:40], v[35:36]
	s_delay_alu instid0(VALU_DEP_3) | instskip(NEXT) | instid1(VALU_DEP_1)
	v_add_f64 v[37:38], v[37:38], -v[67:68]
	v_add_f64 v[37:38], v[41:42], v[37:38]
	s_delay_alu instid0(VALU_DEP_3) | instskip(NEXT) | instid1(VALU_DEP_2)
	v_add_f64 v[41:42], v[43:44], -v[39:40]
	v_add_f64 v[37:38], v[43:44], v[37:38]
	s_delay_alu instid0(VALU_DEP_2) | instskip(SKIP_1) | instid1(VALU_DEP_3)
	v_add_f64 v[43:44], v[43:44], -v[41:42]
	v_add_f64 v[35:36], v[35:36], -v[41:42]
	v_add_f64 v[63:64], v[45:46], v[37:38]
	s_delay_alu instid0(VALU_DEP_3) | instskip(NEXT) | instid1(VALU_DEP_2)
	v_add_f64 v[39:40], v[39:40], -v[43:44]
	v_add_f64 v[41:42], v[63:64], -v[45:46]
	s_delay_alu instid0(VALU_DEP_2) | instskip(NEXT) | instid1(VALU_DEP_2)
	v_add_f64 v[35:36], v[35:36], v[39:40]
	v_add_f64 v[37:38], v[37:38], -v[41:42]
	s_delay_alu instid0(VALU_DEP_1) | instskip(NEXT) | instid1(VALU_DEP_1)
	v_add_f64 v[35:36], v[35:36], v[37:38]
	v_add_f64 v[35:36], v[63:64], v[35:36]
	s_delay_alu instid0(VALU_DEP_1) | instskip(NEXT) | instid1(VALU_DEP_2)
	v_cndmask_b32_e64 v0, v35, v23, s0
	v_cndmask_b32_e64 v35, v36, v24, s0
	v_cmp_ngt_f64_e64 s0, -1.0, v[23:24]
	s_delay_alu instid0(VALU_DEP_1) | instskip(SKIP_1) | instid1(VALU_DEP_1)
	v_cndmask_b32_e64 v36, 0x7ff80000, v35, s0
	v_cmp_nge_f64_e64 s0, -1.0, v[23:24]
	v_cndmask_b32_e64 v35, 0, v0, s0
	v_cmp_neq_f64_e64 s0, -1.0, v[23:24]
	s_delay_alu instid0(VALU_DEP_1) | instskip(NEXT) | instid1(VALU_DEP_1)
	v_cndmask_b32_e64 v36, 0xfff00000, v36, s0
	v_add_f64 v[23:24], v[33:34], v[35:36]
.LBB46_120:
	s_or_b32 exec_lo, exec_lo, s17
	s_delay_alu instid0(VALU_DEP_1) | instskip(SKIP_1) | instid1(VALU_DEP_2)
	v_max_f64 v[33:34], v[23:24], v[23:24]
	v_cmp_u_f64_e64 s0, v[23:24], v[23:24]
	v_min_f64 v[35:36], v[33:34], v[47:48]
	v_max_f64 v[33:34], v[33:34], v[47:48]
	s_delay_alu instid0(VALU_DEP_2) | instskip(NEXT) | instid1(VALU_DEP_3)
	v_cndmask_b32_e64 v0, v35, v23, s0
	v_cndmask_b32_e64 v35, v36, v24, s0
	s_delay_alu instid0(VALU_DEP_3) | instskip(NEXT) | instid1(VALU_DEP_4)
	v_cndmask_b32_e64 v34, v34, v24, s0
	v_cndmask_b32_e64 v33, v33, v23, s0
	s_delay_alu instid0(VALU_DEP_3) | instskip(SKIP_1) | instid1(VALU_DEP_4)
	v_cndmask_b32_e64 v36, v35, v18, s24
	v_cndmask_b32_e64 v35, v0, v17, s24
	;; [unrolled: 1-line block ×3, first 2 shown]
	s_delay_alu instid0(VALU_DEP_4) | instskip(SKIP_1) | instid1(VALU_DEP_4)
	v_cndmask_b32_e64 v33, v33, v17, s24
	v_dual_mov_b32 v17, v23 :: v_dual_mov_b32 v18, v24
	v_cmp_class_f64_e64 s1, v[35:36], 0x1f8
	s_delay_alu instid0(VALU_DEP_3) | instskip(NEXT) | instid1(VALU_DEP_1)
	v_cmp_neq_f64_e64 s0, v[35:36], v[33:34]
	s_or_b32 s0, s0, s1
	s_delay_alu instid0(SALU_CYCLE_1)
	s_and_saveexec_b32 s17, s0
	s_cbranch_execz .LBB46_122
; %bb.121:
	v_add_f64 v[17:18], v[35:36], -v[33:34]
	s_mov_b32 s0, 0x652b82fe
	s_mov_b32 s1, 0x3ff71547
	;; [unrolled: 1-line block ×10, first 2 shown]
	s_delay_alu instid0(VALU_DEP_1) | instskip(SKIP_2) | instid1(VALU_DEP_1)
	v_mul_f64 v[35:36], v[17:18], s[0:1]
	s_mov_b32 s0, 0xfca7ab0c
	s_mov_b32 s1, 0x3e928af3
	v_rndne_f64_e32 v[35:36], v[35:36]
	s_delay_alu instid0(VALU_DEP_1) | instskip(SKIP_2) | instid1(VALU_DEP_2)
	v_fma_f64 v[37:38], v[35:36], s[18:19], v[17:18]
	v_cvt_i32_f64_e32 v0, v[35:36]
	s_mov_b32 s19, 0x3fe62e42
	v_fma_f64 v[37:38], v[35:36], s[20:21], v[37:38]
	s_mov_b32 s21, 0x3c7abc9e
	s_delay_alu instid0(VALU_DEP_1) | instskip(SKIP_4) | instid1(VALU_DEP_1)
	v_fma_f64 v[39:40], v[37:38], s[22:23], s[0:1]
	s_mov_b32 s0, 0x623fde64
	s_mov_b32 s1, 0x3ec71dee
	s_mov_b32 s22, 0x6b47b09a
	s_mov_b32 s23, 0x3fc38538
	v_fma_f64 v[39:40], v[37:38], v[39:40], s[0:1]
	s_mov_b32 s0, 0x7c89e6b0
	s_mov_b32 s1, 0x3efa0199
	s_delay_alu instid0(VALU_DEP_1) | instid1(SALU_CYCLE_1)
	v_fma_f64 v[39:40], v[37:38], v[39:40], s[0:1]
	s_mov_b32 s0, 0x14761f6e
	s_mov_b32 s1, 0x3f2a01a0
	s_delay_alu instid0(VALU_DEP_1) | instid1(SALU_CYCLE_1)
	;; [unrolled: 4-line block ×7, first 2 shown]
	v_fma_f64 v[39:40], v[37:38], v[39:40], s[0:1]
	v_cmp_nlt_f64_e64 s0, 0x40900000, v[17:18]
	v_cmp_ngt_f64_e64 s1, 0xc090cc00, v[17:18]
	s_delay_alu instid0(VALU_DEP_3) | instskip(NEXT) | instid1(VALU_DEP_1)
	v_fma_f64 v[39:40], v[37:38], v[39:40], 1.0
	v_fma_f64 v[35:36], v[37:38], v[39:40], 1.0
	s_delay_alu instid0(VALU_DEP_1) | instskip(NEXT) | instid1(VALU_DEP_1)
	v_ldexp_f64 v[35:36], v[35:36], v0
	v_cndmask_b32_e64 v0, 0x7ff00000, v36, s0
	s_and_b32 s0, s1, s0
	s_delay_alu instid0(VALU_DEP_2) | instid1(SALU_CYCLE_1)
	v_cndmask_b32_e64 v17, 0, v35, s0
	s_mov_b32 s0, 0x55555555
	s_delay_alu instid0(VALU_DEP_2) | instskip(SKIP_1) | instid1(VALU_DEP_1)
	v_cndmask_b32_e64 v18, 0, v0, s1
	s_mov_b32 s1, 0x3fe55555
	v_add_f64 v[35:36], v[17:18], 1.0
	s_delay_alu instid0(VALU_DEP_1) | instskip(SKIP_2) | instid1(VALU_DEP_3)
	v_frexp_mant_f64_e32 v[37:38], v[35:36]
	v_frexp_exp_i32_f64_e32 v0, v[35:36]
	v_add_f64 v[39:40], v[35:36], -1.0
	v_cmp_gt_f64_e64 s0, s[0:1], v[37:38]
	s_delay_alu instid0(VALU_DEP_2) | instskip(SKIP_1) | instid1(VALU_DEP_3)
	v_add_f64 v[37:38], v[39:40], -v[35:36]
	v_add_f64 v[39:40], v[17:18], -v[39:40]
	v_subrev_co_ci_u32_e64 v0, s0, 0, v0, s0
	s_delay_alu instid0(VALU_DEP_3) | instskip(SKIP_1) | instid1(VALU_DEP_2)
	v_add_f64 v[37:38], v[37:38], 1.0
	s_mov_b32 s0, 0x55555780
	v_sub_nc_u32_e32 v43, 0, v0
	s_delay_alu instid0(VALU_DEP_1) | instskip(NEXT) | instid1(VALU_DEP_3)
	v_ldexp_f64 v[35:36], v[35:36], v43
	v_add_f64 v[37:38], v[39:40], v[37:38]
	s_delay_alu instid0(VALU_DEP_2) | instskip(SKIP_1) | instid1(VALU_DEP_3)
	v_add_f64 v[41:42], v[35:36], 1.0
	v_add_f64 v[47:48], v[35:36], -1.0
	v_ldexp_f64 v[37:38], v[37:38], v43
	s_delay_alu instid0(VALU_DEP_3) | instskip(NEXT) | instid1(VALU_DEP_3)
	v_add_f64 v[39:40], v[41:42], -1.0
	v_add_f64 v[63:64], v[47:48], 1.0
	s_delay_alu instid0(VALU_DEP_2) | instskip(NEXT) | instid1(VALU_DEP_2)
	v_add_f64 v[39:40], v[35:36], -v[39:40]
	v_add_f64 v[35:36], v[35:36], -v[63:64]
	s_delay_alu instid0(VALU_DEP_2) | instskip(NEXT) | instid1(VALU_DEP_2)
	v_add_f64 v[39:40], v[37:38], v[39:40]
	v_add_f64 v[35:36], v[37:38], v[35:36]
	s_delay_alu instid0(VALU_DEP_2) | instskip(NEXT) | instid1(VALU_DEP_2)
	v_add_f64 v[43:44], v[41:42], v[39:40]
	v_add_f64 v[63:64], v[47:48], v[35:36]
	s_delay_alu instid0(VALU_DEP_2) | instskip(SKIP_1) | instid1(VALU_DEP_2)
	v_rcp_f64_e32 v[45:46], v[43:44]
	v_add_f64 v[41:42], v[43:44], -v[41:42]
	v_add_f64 v[47:48], v[63:64], -v[47:48]
	s_delay_alu instid0(VALU_DEP_2) | instskip(SKIP_3) | instid1(VALU_DEP_2)
	v_add_f64 v[39:40], v[39:40], -v[41:42]
	s_waitcnt_depctr 0xfff
	v_fma_f64 v[65:66], -v[43:44], v[45:46], 1.0
	v_add_f64 v[35:36], v[35:36], -v[47:48]
	v_fma_f64 v[45:46], v[65:66], v[45:46], v[45:46]
	s_delay_alu instid0(VALU_DEP_1) | instskip(NEXT) | instid1(VALU_DEP_1)
	v_fma_f64 v[37:38], -v[43:44], v[45:46], 1.0
	v_fma_f64 v[37:38], v[37:38], v[45:46], v[45:46]
	s_delay_alu instid0(VALU_DEP_1) | instskip(NEXT) | instid1(VALU_DEP_1)
	v_mul_f64 v[45:46], v[63:64], v[37:38]
	v_mul_f64 v[65:66], v[43:44], v[45:46]
	s_delay_alu instid0(VALU_DEP_1) | instskip(NEXT) | instid1(VALU_DEP_1)
	v_fma_f64 v[41:42], v[45:46], v[43:44], -v[65:66]
	v_fma_f64 v[41:42], v[45:46], v[39:40], v[41:42]
	s_delay_alu instid0(VALU_DEP_1) | instskip(SKIP_1) | instid1(VALU_DEP_1)
	v_add_f64 v[67:68], v[65:66], v[41:42]
	s_waitcnt lgkmcnt(0)
	v_add_f64 v[69:70], v[63:64], -v[67:68]
	v_add_f64 v[47:48], v[67:68], -v[65:66]
	s_delay_alu instid0(VALU_DEP_2) | instskip(NEXT) | instid1(VALU_DEP_2)
	v_add_f64 v[63:64], v[63:64], -v[69:70]
	v_add_f64 v[41:42], v[47:48], -v[41:42]
	s_delay_alu instid0(VALU_DEP_2) | instskip(NEXT) | instid1(VALU_DEP_1)
	v_add_f64 v[63:64], v[63:64], -v[67:68]
	v_add_f64 v[35:36], v[35:36], v[63:64]
	s_delay_alu instid0(VALU_DEP_1) | instskip(NEXT) | instid1(VALU_DEP_1)
	v_add_f64 v[35:36], v[41:42], v[35:36]
	v_add_f64 v[41:42], v[69:70], v[35:36]
	s_delay_alu instid0(VALU_DEP_1) | instskip(SKIP_1) | instid1(VALU_DEP_2)
	v_mul_f64 v[47:48], v[37:38], v[41:42]
	v_add_f64 v[67:68], v[69:70], -v[41:42]
	v_mul_f64 v[63:64], v[43:44], v[47:48]
	s_delay_alu instid0(VALU_DEP_2) | instskip(NEXT) | instid1(VALU_DEP_2)
	v_add_f64 v[35:36], v[35:36], v[67:68]
	v_fma_f64 v[43:44], v[47:48], v[43:44], -v[63:64]
	s_delay_alu instid0(VALU_DEP_1) | instskip(NEXT) | instid1(VALU_DEP_1)
	v_fma_f64 v[39:40], v[47:48], v[39:40], v[43:44]
	v_add_f64 v[43:44], v[63:64], v[39:40]
	s_delay_alu instid0(VALU_DEP_1) | instskip(SKIP_1) | instid1(VALU_DEP_2)
	v_add_f64 v[65:66], v[41:42], -v[43:44]
	v_add_f64 v[63:64], v[43:44], -v[63:64]
	;; [unrolled: 1-line block ×3, first 2 shown]
	s_delay_alu instid0(VALU_DEP_2) | instskip(NEXT) | instid1(VALU_DEP_2)
	v_add_f64 v[39:40], v[63:64], -v[39:40]
	v_add_f64 v[41:42], v[41:42], -v[43:44]
	s_delay_alu instid0(VALU_DEP_1) | instskip(SKIP_1) | instid1(VALU_DEP_2)
	v_add_f64 v[35:36], v[35:36], v[41:42]
	v_add_f64 v[41:42], v[45:46], v[47:48]
	;; [unrolled: 1-line block ×3, first 2 shown]
	s_delay_alu instid0(VALU_DEP_2) | instskip(NEXT) | instid1(VALU_DEP_2)
	v_add_f64 v[39:40], v[41:42], -v[45:46]
	v_add_f64 v[35:36], v[65:66], v[35:36]
	s_delay_alu instid0(VALU_DEP_2) | instskip(NEXT) | instid1(VALU_DEP_2)
	v_add_f64 v[39:40], v[47:48], -v[39:40]
	v_mul_f64 v[35:36], v[37:38], v[35:36]
	s_delay_alu instid0(VALU_DEP_1) | instskip(NEXT) | instid1(VALU_DEP_1)
	v_add_f64 v[35:36], v[39:40], v[35:36]
	v_add_f64 v[37:38], v[41:42], v[35:36]
	s_delay_alu instid0(VALU_DEP_1) | instskip(NEXT) | instid1(VALU_DEP_1)
	v_mul_f64 v[39:40], v[37:38], v[37:38]
	v_fma_f64 v[43:44], v[39:40], s[36:37], s[22:23]
	s_mov_b32 s22, 0xd7f4df2e
	s_mov_b32 s23, 0x3fc7474d
	v_mul_f64 v[45:46], v[37:38], v[39:40]
	s_delay_alu instid0(VALU_DEP_2)
	v_fma_f64 v[43:44], v[39:40], v[43:44], s[22:23]
	s_mov_b32 s22, 0x16291751
	s_mov_b32 s23, 0x3fcc71c0
	s_delay_alu instid0(VALU_DEP_1) | instid1(SALU_CYCLE_1)
	v_fma_f64 v[43:44], v[39:40], v[43:44], s[22:23]
	s_mov_b32 s22, 0x9b27acf1
	s_mov_b32 s23, 0x3fd24924
	s_delay_alu instid0(VALU_DEP_1) | instid1(SALU_CYCLE_1)
	;; [unrolled: 4-line block ×3, first 2 shown]
	v_fma_f64 v[43:44], v[39:40], v[43:44], s[22:23]
	s_delay_alu instid0(VALU_DEP_1) | instskip(SKIP_3) | instid1(VALU_DEP_4)
	v_fma_f64 v[39:40], v[39:40], v[43:44], s[0:1]
	v_ldexp_f64 v[43:44], v[37:38], 1
	v_add_f64 v[37:38], v[37:38], -v[41:42]
	v_cmp_eq_f64_e64 s0, 0x7ff00000, v[17:18]
	v_mul_f64 v[39:40], v[45:46], v[39:40]
	v_cvt_f64_i32_e32 v[45:46], v0
	s_delay_alu instid0(VALU_DEP_4) | instskip(NEXT) | instid1(VALU_DEP_3)
	v_add_f64 v[35:36], v[35:36], -v[37:38]
	v_add_f64 v[41:42], v[43:44], v[39:40]
	s_delay_alu instid0(VALU_DEP_3) | instskip(NEXT) | instid1(VALU_DEP_3)
	v_mul_f64 v[47:48], v[45:46], s[18:19]
	v_ldexp_f64 v[35:36], v[35:36], 1
	s_delay_alu instid0(VALU_DEP_3) | instskip(NEXT) | instid1(VALU_DEP_3)
	v_add_f64 v[37:38], v[41:42], -v[43:44]
	v_fma_f64 v[43:44], v[45:46], s[18:19], -v[47:48]
	s_delay_alu instid0(VALU_DEP_2) | instskip(NEXT) | instid1(VALU_DEP_2)
	v_add_f64 v[37:38], v[39:40], -v[37:38]
	v_fma_f64 v[39:40], v[45:46], s[20:21], v[43:44]
	s_delay_alu instid0(VALU_DEP_2) | instskip(NEXT) | instid1(VALU_DEP_2)
	v_add_f64 v[35:36], v[35:36], v[37:38]
	v_add_f64 v[37:38], v[47:48], v[39:40]
	s_delay_alu instid0(VALU_DEP_2) | instskip(NEXT) | instid1(VALU_DEP_2)
	v_add_f64 v[43:44], v[41:42], v[35:36]
	v_add_f64 v[47:48], v[37:38], -v[47:48]
	s_delay_alu instid0(VALU_DEP_2) | instskip(SKIP_1) | instid1(VALU_DEP_3)
	v_add_f64 v[45:46], v[37:38], v[43:44]
	v_add_f64 v[41:42], v[43:44], -v[41:42]
	v_add_f64 v[39:40], v[39:40], -v[47:48]
	s_delay_alu instid0(VALU_DEP_3) | instskip(NEXT) | instid1(VALU_DEP_3)
	v_add_f64 v[63:64], v[45:46], -v[37:38]
	v_add_f64 v[35:36], v[35:36], -v[41:42]
	s_delay_alu instid0(VALU_DEP_2) | instskip(SKIP_1) | instid1(VALU_DEP_3)
	v_add_f64 v[65:66], v[45:46], -v[63:64]
	v_add_f64 v[41:42], v[43:44], -v[63:64]
	v_add_f64 v[43:44], v[39:40], v[35:36]
	s_delay_alu instid0(VALU_DEP_3) | instskip(NEXT) | instid1(VALU_DEP_1)
	v_add_f64 v[37:38], v[37:38], -v[65:66]
	v_add_f64 v[37:38], v[41:42], v[37:38]
	s_delay_alu instid0(VALU_DEP_3) | instskip(NEXT) | instid1(VALU_DEP_2)
	v_add_f64 v[41:42], v[43:44], -v[39:40]
	v_add_f64 v[37:38], v[43:44], v[37:38]
	s_delay_alu instid0(VALU_DEP_2) | instskip(SKIP_1) | instid1(VALU_DEP_3)
	v_add_f64 v[43:44], v[43:44], -v[41:42]
	v_add_f64 v[35:36], v[35:36], -v[41:42]
	v_add_f64 v[47:48], v[45:46], v[37:38]
	s_delay_alu instid0(VALU_DEP_3) | instskip(NEXT) | instid1(VALU_DEP_2)
	v_add_f64 v[39:40], v[39:40], -v[43:44]
	v_add_f64 v[41:42], v[47:48], -v[45:46]
	s_delay_alu instid0(VALU_DEP_2) | instskip(NEXT) | instid1(VALU_DEP_2)
	v_add_f64 v[35:36], v[35:36], v[39:40]
	v_add_f64 v[37:38], v[37:38], -v[41:42]
	s_delay_alu instid0(VALU_DEP_1) | instskip(NEXT) | instid1(VALU_DEP_1)
	v_add_f64 v[35:36], v[35:36], v[37:38]
	v_add_f64 v[35:36], v[47:48], v[35:36]
	s_delay_alu instid0(VALU_DEP_1) | instskip(NEXT) | instid1(VALU_DEP_2)
	v_cndmask_b32_e64 v0, v35, v17, s0
	v_cndmask_b32_e64 v35, v36, v18, s0
	v_cmp_ngt_f64_e64 s0, -1.0, v[17:18]
	s_delay_alu instid0(VALU_DEP_1) | instskip(SKIP_1) | instid1(VALU_DEP_1)
	v_cndmask_b32_e64 v36, 0x7ff80000, v35, s0
	v_cmp_nge_f64_e64 s0, -1.0, v[17:18]
	v_cndmask_b32_e64 v35, 0, v0, s0
	v_cmp_neq_f64_e64 s0, -1.0, v[17:18]
	s_delay_alu instid0(VALU_DEP_1) | instskip(NEXT) | instid1(VALU_DEP_1)
	v_cndmask_b32_e64 v36, 0xfff00000, v36, s0
	v_add_f64 v[17:18], v[33:34], v[35:36]
.LBB46_122:
	s_or_b32 exec_lo, exec_lo, s17
	s_delay_alu instid0(VALU_DEP_1) | instskip(SKIP_1) | instid1(VALU_DEP_2)
	v_max_f64 v[33:34], v[17:18], v[17:18]
	v_cmp_u_f64_e64 s0, v[17:18], v[17:18]
	v_min_f64 v[35:36], v[33:34], v[49:50]
	v_max_f64 v[33:34], v[33:34], v[49:50]
	s_delay_alu instid0(VALU_DEP_2) | instskip(NEXT) | instid1(VALU_DEP_3)
	v_cndmask_b32_e64 v0, v35, v17, s0
	v_cndmask_b32_e64 v35, v36, v18, s0
	s_delay_alu instid0(VALU_DEP_3) | instskip(NEXT) | instid1(VALU_DEP_4)
	v_cndmask_b32_e64 v34, v34, v18, s0
	v_cndmask_b32_e64 v33, v33, v17, s0
	s_delay_alu instid0(VALU_DEP_3) | instskip(SKIP_1) | instid1(VALU_DEP_4)
	v_cndmask_b32_e64 v36, v35, v20, s25
	v_cndmask_b32_e64 v35, v0, v19, s25
	;; [unrolled: 1-line block ×3, first 2 shown]
	s_delay_alu instid0(VALU_DEP_4) | instskip(SKIP_1) | instid1(VALU_DEP_4)
	v_cndmask_b32_e64 v33, v33, v19, s25
	v_dual_mov_b32 v20, v18 :: v_dual_mov_b32 v19, v17
	v_cmp_class_f64_e64 s1, v[35:36], 0x1f8
	s_delay_alu instid0(VALU_DEP_3) | instskip(NEXT) | instid1(VALU_DEP_1)
	v_cmp_neq_f64_e64 s0, v[35:36], v[33:34]
	s_or_b32 s0, s0, s1
	s_delay_alu instid0(SALU_CYCLE_1)
	s_and_saveexec_b32 s17, s0
	s_cbranch_execz .LBB46_124
; %bb.123:
	v_add_f64 v[19:20], v[35:36], -v[33:34]
	s_mov_b32 s0, 0x652b82fe
	s_mov_b32 s1, 0x3ff71547
	;; [unrolled: 1-line block ×10, first 2 shown]
	s_delay_alu instid0(VALU_DEP_1) | instskip(SKIP_2) | instid1(VALU_DEP_1)
	v_mul_f64 v[35:36], v[19:20], s[0:1]
	s_mov_b32 s0, 0xfca7ab0c
	s_mov_b32 s1, 0x3e928af3
	v_rndne_f64_e32 v[35:36], v[35:36]
	s_delay_alu instid0(VALU_DEP_1) | instskip(SKIP_2) | instid1(VALU_DEP_2)
	v_fma_f64 v[37:38], v[35:36], s[18:19], v[19:20]
	v_cvt_i32_f64_e32 v0, v[35:36]
	s_mov_b32 s19, 0x3fe62e42
	v_fma_f64 v[37:38], v[35:36], s[20:21], v[37:38]
	s_mov_b32 s21, 0x3c7abc9e
	s_delay_alu instid0(VALU_DEP_1) | instskip(SKIP_4) | instid1(VALU_DEP_1)
	v_fma_f64 v[39:40], v[37:38], s[22:23], s[0:1]
	s_mov_b32 s0, 0x623fde64
	s_mov_b32 s1, 0x3ec71dee
	;; [unrolled: 1-line block ×4, first 2 shown]
	v_fma_f64 v[39:40], v[37:38], v[39:40], s[0:1]
	s_mov_b32 s0, 0x7c89e6b0
	s_mov_b32 s1, 0x3efa0199
	s_delay_alu instid0(VALU_DEP_1) | instid1(SALU_CYCLE_1)
	v_fma_f64 v[39:40], v[37:38], v[39:40], s[0:1]
	s_mov_b32 s0, 0x14761f6e
	s_mov_b32 s1, 0x3f2a01a0
	s_delay_alu instid0(VALU_DEP_1) | instid1(SALU_CYCLE_1)
	;; [unrolled: 4-line block ×7, first 2 shown]
	v_fma_f64 v[39:40], v[37:38], v[39:40], s[0:1]
	v_cmp_nlt_f64_e64 s0, 0x40900000, v[19:20]
	v_cmp_ngt_f64_e64 s1, 0xc090cc00, v[19:20]
	s_delay_alu instid0(VALU_DEP_3) | instskip(NEXT) | instid1(VALU_DEP_1)
	v_fma_f64 v[39:40], v[37:38], v[39:40], 1.0
	v_fma_f64 v[35:36], v[37:38], v[39:40], 1.0
	s_delay_alu instid0(VALU_DEP_1) | instskip(NEXT) | instid1(VALU_DEP_1)
	v_ldexp_f64 v[35:36], v[35:36], v0
	v_cndmask_b32_e64 v0, 0x7ff00000, v36, s0
	s_and_b32 s0, s1, s0
	s_delay_alu instid0(VALU_DEP_2) | instid1(SALU_CYCLE_1)
	v_cndmask_b32_e64 v19, 0, v35, s0
	s_mov_b32 s0, 0x55555555
	s_delay_alu instid0(VALU_DEP_2) | instskip(SKIP_1) | instid1(VALU_DEP_1)
	v_cndmask_b32_e64 v20, 0, v0, s1
	s_mov_b32 s1, 0x3fe55555
	v_add_f64 v[35:36], v[19:20], 1.0
	s_delay_alu instid0(VALU_DEP_1) | instskip(SKIP_2) | instid1(VALU_DEP_3)
	v_frexp_mant_f64_e32 v[37:38], v[35:36]
	v_frexp_exp_i32_f64_e32 v0, v[35:36]
	v_add_f64 v[39:40], v[35:36], -1.0
	v_cmp_gt_f64_e64 s0, s[0:1], v[37:38]
	s_delay_alu instid0(VALU_DEP_2) | instskip(SKIP_1) | instid1(VALU_DEP_3)
	v_add_f64 v[37:38], v[39:40], -v[35:36]
	v_add_f64 v[39:40], v[19:20], -v[39:40]
	v_subrev_co_ci_u32_e64 v0, s0, 0, v0, s0
	s_delay_alu instid0(VALU_DEP_3) | instskip(SKIP_1) | instid1(VALU_DEP_2)
	v_add_f64 v[37:38], v[37:38], 1.0
	s_mov_b32 s0, 0x55555780
	v_sub_nc_u32_e32 v43, 0, v0
	s_delay_alu instid0(VALU_DEP_1) | instskip(NEXT) | instid1(VALU_DEP_3)
	v_ldexp_f64 v[35:36], v[35:36], v43
	v_add_f64 v[37:38], v[39:40], v[37:38]
	s_delay_alu instid0(VALU_DEP_2) | instskip(SKIP_1) | instid1(VALU_DEP_3)
	v_add_f64 v[41:42], v[35:36], 1.0
	v_add_f64 v[47:48], v[35:36], -1.0
	v_ldexp_f64 v[37:38], v[37:38], v43
	s_delay_alu instid0(VALU_DEP_3) | instskip(NEXT) | instid1(VALU_DEP_3)
	v_add_f64 v[39:40], v[41:42], -1.0
	v_add_f64 v[49:50], v[47:48], 1.0
	s_delay_alu instid0(VALU_DEP_2) | instskip(NEXT) | instid1(VALU_DEP_2)
	v_add_f64 v[39:40], v[35:36], -v[39:40]
	v_add_f64 v[35:36], v[35:36], -v[49:50]
	s_delay_alu instid0(VALU_DEP_2) | instskip(NEXT) | instid1(VALU_DEP_2)
	v_add_f64 v[39:40], v[37:38], v[39:40]
	v_add_f64 v[35:36], v[37:38], v[35:36]
	s_delay_alu instid0(VALU_DEP_2) | instskip(NEXT) | instid1(VALU_DEP_2)
	v_add_f64 v[43:44], v[41:42], v[39:40]
	v_add_f64 v[49:50], v[47:48], v[35:36]
	s_delay_alu instid0(VALU_DEP_2) | instskip(SKIP_1) | instid1(VALU_DEP_2)
	v_rcp_f64_e32 v[45:46], v[43:44]
	v_add_f64 v[41:42], v[43:44], -v[41:42]
	v_add_f64 v[47:48], v[49:50], -v[47:48]
	s_delay_alu instid0(VALU_DEP_2) | instskip(SKIP_3) | instid1(VALU_DEP_2)
	v_add_f64 v[39:40], v[39:40], -v[41:42]
	s_waitcnt_depctr 0xfff
	v_fma_f64 v[63:64], -v[43:44], v[45:46], 1.0
	v_add_f64 v[35:36], v[35:36], -v[47:48]
	v_fma_f64 v[45:46], v[63:64], v[45:46], v[45:46]
	s_delay_alu instid0(VALU_DEP_1) | instskip(NEXT) | instid1(VALU_DEP_1)
	v_fma_f64 v[37:38], -v[43:44], v[45:46], 1.0
	v_fma_f64 v[37:38], v[37:38], v[45:46], v[45:46]
	s_delay_alu instid0(VALU_DEP_1) | instskip(NEXT) | instid1(VALU_DEP_1)
	v_mul_f64 v[45:46], v[49:50], v[37:38]
	v_mul_f64 v[63:64], v[43:44], v[45:46]
	s_delay_alu instid0(VALU_DEP_1) | instskip(NEXT) | instid1(VALU_DEP_1)
	v_fma_f64 v[41:42], v[45:46], v[43:44], -v[63:64]
	v_fma_f64 v[41:42], v[45:46], v[39:40], v[41:42]
	s_delay_alu instid0(VALU_DEP_1) | instskip(NEXT) | instid1(VALU_DEP_1)
	v_add_f64 v[65:66], v[63:64], v[41:42]
	v_add_f64 v[67:68], v[49:50], -v[65:66]
	v_add_f64 v[47:48], v[65:66], -v[63:64]
	s_delay_alu instid0(VALU_DEP_2) | instskip(NEXT) | instid1(VALU_DEP_2)
	v_add_f64 v[49:50], v[49:50], -v[67:68]
	v_add_f64 v[41:42], v[47:48], -v[41:42]
	s_delay_alu instid0(VALU_DEP_2) | instskip(NEXT) | instid1(VALU_DEP_1)
	v_add_f64 v[49:50], v[49:50], -v[65:66]
	v_add_f64 v[35:36], v[35:36], v[49:50]
	s_delay_alu instid0(VALU_DEP_1) | instskip(NEXT) | instid1(VALU_DEP_1)
	v_add_f64 v[35:36], v[41:42], v[35:36]
	v_add_f64 v[41:42], v[67:68], v[35:36]
	s_delay_alu instid0(VALU_DEP_1) | instskip(SKIP_1) | instid1(VALU_DEP_2)
	v_mul_f64 v[47:48], v[37:38], v[41:42]
	v_add_f64 v[65:66], v[67:68], -v[41:42]
	v_mul_f64 v[49:50], v[43:44], v[47:48]
	s_delay_alu instid0(VALU_DEP_2) | instskip(NEXT) | instid1(VALU_DEP_2)
	v_add_f64 v[35:36], v[35:36], v[65:66]
	v_fma_f64 v[43:44], v[47:48], v[43:44], -v[49:50]
	s_delay_alu instid0(VALU_DEP_1) | instskip(NEXT) | instid1(VALU_DEP_1)
	v_fma_f64 v[39:40], v[47:48], v[39:40], v[43:44]
	v_add_f64 v[43:44], v[49:50], v[39:40]
	s_delay_alu instid0(VALU_DEP_1) | instskip(SKIP_1) | instid1(VALU_DEP_2)
	v_add_f64 v[63:64], v[41:42], -v[43:44]
	v_add_f64 v[49:50], v[43:44], -v[49:50]
	;; [unrolled: 1-line block ×3, first 2 shown]
	s_delay_alu instid0(VALU_DEP_2) | instskip(NEXT) | instid1(VALU_DEP_2)
	v_add_f64 v[39:40], v[49:50], -v[39:40]
	v_add_f64 v[41:42], v[41:42], -v[43:44]
	s_delay_alu instid0(VALU_DEP_1) | instskip(SKIP_1) | instid1(VALU_DEP_2)
	v_add_f64 v[35:36], v[35:36], v[41:42]
	v_add_f64 v[41:42], v[45:46], v[47:48]
	;; [unrolled: 1-line block ×3, first 2 shown]
	s_delay_alu instid0(VALU_DEP_2) | instskip(NEXT) | instid1(VALU_DEP_2)
	v_add_f64 v[39:40], v[41:42], -v[45:46]
	v_add_f64 v[35:36], v[63:64], v[35:36]
	s_delay_alu instid0(VALU_DEP_2) | instskip(NEXT) | instid1(VALU_DEP_2)
	v_add_f64 v[39:40], v[47:48], -v[39:40]
	v_mul_f64 v[35:36], v[37:38], v[35:36]
	s_delay_alu instid0(VALU_DEP_1) | instskip(NEXT) | instid1(VALU_DEP_1)
	v_add_f64 v[35:36], v[39:40], v[35:36]
	v_add_f64 v[37:38], v[41:42], v[35:36]
	s_delay_alu instid0(VALU_DEP_1) | instskip(NEXT) | instid1(VALU_DEP_1)
	v_mul_f64 v[39:40], v[37:38], v[37:38]
	v_fma_f64 v[43:44], v[39:40], s[24:25], s[22:23]
	s_mov_b32 s22, 0xd7f4df2e
	s_mov_b32 s23, 0x3fc7474d
	v_mul_f64 v[45:46], v[37:38], v[39:40]
	s_delay_alu instid0(VALU_DEP_2)
	v_fma_f64 v[43:44], v[39:40], v[43:44], s[22:23]
	s_mov_b32 s22, 0x16291751
	s_mov_b32 s23, 0x3fcc71c0
	s_delay_alu instid0(VALU_DEP_1) | instid1(SALU_CYCLE_1)
	v_fma_f64 v[43:44], v[39:40], v[43:44], s[22:23]
	s_mov_b32 s22, 0x9b27acf1
	s_mov_b32 s23, 0x3fd24924
	s_delay_alu instid0(VALU_DEP_1) | instid1(SALU_CYCLE_1)
	;; [unrolled: 4-line block ×3, first 2 shown]
	v_fma_f64 v[43:44], v[39:40], v[43:44], s[22:23]
	s_delay_alu instid0(VALU_DEP_1) | instskip(SKIP_3) | instid1(VALU_DEP_4)
	v_fma_f64 v[39:40], v[39:40], v[43:44], s[0:1]
	v_ldexp_f64 v[43:44], v[37:38], 1
	v_add_f64 v[37:38], v[37:38], -v[41:42]
	v_cmp_eq_f64_e64 s0, 0x7ff00000, v[19:20]
	v_mul_f64 v[39:40], v[45:46], v[39:40]
	v_cvt_f64_i32_e32 v[45:46], v0
	s_delay_alu instid0(VALU_DEP_4) | instskip(NEXT) | instid1(VALU_DEP_3)
	v_add_f64 v[35:36], v[35:36], -v[37:38]
	v_add_f64 v[41:42], v[43:44], v[39:40]
	s_delay_alu instid0(VALU_DEP_3) | instskip(NEXT) | instid1(VALU_DEP_3)
	v_mul_f64 v[47:48], v[45:46], s[18:19]
	v_ldexp_f64 v[35:36], v[35:36], 1
	s_delay_alu instid0(VALU_DEP_3) | instskip(NEXT) | instid1(VALU_DEP_3)
	v_add_f64 v[37:38], v[41:42], -v[43:44]
	v_fma_f64 v[43:44], v[45:46], s[18:19], -v[47:48]
	s_delay_alu instid0(VALU_DEP_2) | instskip(NEXT) | instid1(VALU_DEP_2)
	v_add_f64 v[37:38], v[39:40], -v[37:38]
	v_fma_f64 v[39:40], v[45:46], s[20:21], v[43:44]
	s_delay_alu instid0(VALU_DEP_2) | instskip(NEXT) | instid1(VALU_DEP_2)
	v_add_f64 v[35:36], v[35:36], v[37:38]
	v_add_f64 v[37:38], v[47:48], v[39:40]
	s_delay_alu instid0(VALU_DEP_2) | instskip(NEXT) | instid1(VALU_DEP_2)
	v_add_f64 v[43:44], v[41:42], v[35:36]
	v_add_f64 v[47:48], v[37:38], -v[47:48]
	s_delay_alu instid0(VALU_DEP_2) | instskip(SKIP_1) | instid1(VALU_DEP_3)
	v_add_f64 v[45:46], v[37:38], v[43:44]
	v_add_f64 v[41:42], v[43:44], -v[41:42]
	v_add_f64 v[39:40], v[39:40], -v[47:48]
	s_delay_alu instid0(VALU_DEP_3) | instskip(NEXT) | instid1(VALU_DEP_3)
	v_add_f64 v[49:50], v[45:46], -v[37:38]
	v_add_f64 v[35:36], v[35:36], -v[41:42]
	s_delay_alu instid0(VALU_DEP_2) | instskip(SKIP_1) | instid1(VALU_DEP_3)
	v_add_f64 v[63:64], v[45:46], -v[49:50]
	v_add_f64 v[41:42], v[43:44], -v[49:50]
	v_add_f64 v[43:44], v[39:40], v[35:36]
	s_delay_alu instid0(VALU_DEP_3) | instskip(NEXT) | instid1(VALU_DEP_1)
	v_add_f64 v[37:38], v[37:38], -v[63:64]
	v_add_f64 v[37:38], v[41:42], v[37:38]
	s_delay_alu instid0(VALU_DEP_3) | instskip(NEXT) | instid1(VALU_DEP_2)
	v_add_f64 v[41:42], v[43:44], -v[39:40]
	v_add_f64 v[37:38], v[43:44], v[37:38]
	s_delay_alu instid0(VALU_DEP_2) | instskip(SKIP_1) | instid1(VALU_DEP_3)
	v_add_f64 v[43:44], v[43:44], -v[41:42]
	v_add_f64 v[35:36], v[35:36], -v[41:42]
	v_add_f64 v[47:48], v[45:46], v[37:38]
	s_delay_alu instid0(VALU_DEP_3) | instskip(NEXT) | instid1(VALU_DEP_2)
	v_add_f64 v[39:40], v[39:40], -v[43:44]
	v_add_f64 v[41:42], v[47:48], -v[45:46]
	s_delay_alu instid0(VALU_DEP_2) | instskip(NEXT) | instid1(VALU_DEP_2)
	v_add_f64 v[35:36], v[35:36], v[39:40]
	v_add_f64 v[37:38], v[37:38], -v[41:42]
	s_delay_alu instid0(VALU_DEP_1) | instskip(NEXT) | instid1(VALU_DEP_1)
	v_add_f64 v[35:36], v[35:36], v[37:38]
	v_add_f64 v[35:36], v[47:48], v[35:36]
	s_delay_alu instid0(VALU_DEP_1) | instskip(NEXT) | instid1(VALU_DEP_2)
	v_cndmask_b32_e64 v0, v35, v19, s0
	v_cndmask_b32_e64 v35, v36, v20, s0
	v_cmp_ngt_f64_e64 s0, -1.0, v[19:20]
	s_delay_alu instid0(VALU_DEP_1) | instskip(SKIP_1) | instid1(VALU_DEP_1)
	v_cndmask_b32_e64 v36, 0x7ff80000, v35, s0
	v_cmp_nge_f64_e64 s0, -1.0, v[19:20]
	v_cndmask_b32_e64 v35, 0, v0, s0
	v_cmp_neq_f64_e64 s0, -1.0, v[19:20]
	s_delay_alu instid0(VALU_DEP_1) | instskip(NEXT) | instid1(VALU_DEP_1)
	v_cndmask_b32_e64 v36, 0xfff00000, v36, s0
	v_add_f64 v[19:20], v[33:34], v[35:36]
.LBB46_124:
	s_or_b32 exec_lo, exec_lo, s17
	s_delay_alu instid0(VALU_DEP_1) | instskip(SKIP_1) | instid1(VALU_DEP_2)
	v_max_f64 v[33:34], v[19:20], v[19:20]
	v_cmp_u_f64_e64 s0, v[19:20], v[19:20]
	v_min_f64 v[35:36], v[33:34], v[51:52]
	v_max_f64 v[33:34], v[33:34], v[51:52]
	s_delay_alu instid0(VALU_DEP_2) | instskip(NEXT) | instid1(VALU_DEP_3)
	v_cndmask_b32_e64 v0, v35, v19, s0
	v_cndmask_b32_e64 v35, v36, v20, s0
	s_delay_alu instid0(VALU_DEP_3) | instskip(NEXT) | instid1(VALU_DEP_4)
	v_cndmask_b32_e64 v34, v34, v20, s0
	v_cndmask_b32_e64 v33, v33, v19, s0
	s_delay_alu instid0(VALU_DEP_3) | instskip(SKIP_1) | instid1(VALU_DEP_4)
	v_cndmask_b32_e64 v36, v35, v14, s26
	v_cndmask_b32_e64 v35, v0, v13, s26
	;; [unrolled: 1-line block ×3, first 2 shown]
	s_delay_alu instid0(VALU_DEP_4) | instskip(SKIP_1) | instid1(VALU_DEP_4)
	v_cndmask_b32_e64 v33, v33, v13, s26
	v_dual_mov_b32 v13, v19 :: v_dual_mov_b32 v14, v20
	v_cmp_class_f64_e64 s1, v[35:36], 0x1f8
	s_delay_alu instid0(VALU_DEP_3) | instskip(NEXT) | instid1(VALU_DEP_1)
	v_cmp_neq_f64_e64 s0, v[35:36], v[33:34]
	s_or_b32 s0, s0, s1
	s_delay_alu instid0(SALU_CYCLE_1)
	s_and_saveexec_b32 s17, s0
	s_cbranch_execz .LBB46_126
; %bb.125:
	v_add_f64 v[13:14], v[35:36], -v[33:34]
	s_mov_b32 s0, 0x652b82fe
	s_mov_b32 s1, 0x3ff71547
	;; [unrolled: 1-line block ×10, first 2 shown]
	s_delay_alu instid0(VALU_DEP_1) | instskip(SKIP_2) | instid1(VALU_DEP_1)
	v_mul_f64 v[35:36], v[13:14], s[0:1]
	s_mov_b32 s0, 0xfca7ab0c
	s_mov_b32 s1, 0x3e928af3
	v_rndne_f64_e32 v[35:36], v[35:36]
	s_delay_alu instid0(VALU_DEP_1) | instskip(SKIP_2) | instid1(VALU_DEP_2)
	v_fma_f64 v[37:38], v[35:36], s[18:19], v[13:14]
	v_cvt_i32_f64_e32 v0, v[35:36]
	s_mov_b32 s19, 0x3fe62e42
	v_fma_f64 v[37:38], v[35:36], s[20:21], v[37:38]
	s_mov_b32 s21, 0x3c7abc9e
	s_delay_alu instid0(VALU_DEP_1) | instskip(SKIP_4) | instid1(VALU_DEP_1)
	v_fma_f64 v[39:40], v[37:38], s[22:23], s[0:1]
	s_mov_b32 s0, 0x623fde64
	s_mov_b32 s1, 0x3ec71dee
	;; [unrolled: 1-line block ×4, first 2 shown]
	v_fma_f64 v[39:40], v[37:38], v[39:40], s[0:1]
	s_mov_b32 s0, 0x7c89e6b0
	s_mov_b32 s1, 0x3efa0199
	s_delay_alu instid0(VALU_DEP_1) | instid1(SALU_CYCLE_1)
	v_fma_f64 v[39:40], v[37:38], v[39:40], s[0:1]
	s_mov_b32 s0, 0x14761f6e
	s_mov_b32 s1, 0x3f2a01a0
	s_delay_alu instid0(VALU_DEP_1) | instid1(SALU_CYCLE_1)
	;; [unrolled: 4-line block ×7, first 2 shown]
	v_fma_f64 v[39:40], v[37:38], v[39:40], s[0:1]
	v_cmp_nlt_f64_e64 s0, 0x40900000, v[13:14]
	v_cmp_ngt_f64_e64 s1, 0xc090cc00, v[13:14]
	s_delay_alu instid0(VALU_DEP_3) | instskip(NEXT) | instid1(VALU_DEP_1)
	v_fma_f64 v[39:40], v[37:38], v[39:40], 1.0
	v_fma_f64 v[35:36], v[37:38], v[39:40], 1.0
	s_delay_alu instid0(VALU_DEP_1) | instskip(NEXT) | instid1(VALU_DEP_1)
	v_ldexp_f64 v[35:36], v[35:36], v0
	v_cndmask_b32_e64 v0, 0x7ff00000, v36, s0
	s_and_b32 s0, s1, s0
	s_delay_alu instid0(VALU_DEP_2) | instid1(SALU_CYCLE_1)
	v_cndmask_b32_e64 v13, 0, v35, s0
	s_mov_b32 s0, 0x55555555
	s_delay_alu instid0(VALU_DEP_2) | instskip(SKIP_1) | instid1(VALU_DEP_1)
	v_cndmask_b32_e64 v14, 0, v0, s1
	s_mov_b32 s1, 0x3fe55555
	v_add_f64 v[35:36], v[13:14], 1.0
	s_delay_alu instid0(VALU_DEP_1) | instskip(SKIP_2) | instid1(VALU_DEP_3)
	v_frexp_mant_f64_e32 v[37:38], v[35:36]
	v_frexp_exp_i32_f64_e32 v0, v[35:36]
	v_add_f64 v[39:40], v[35:36], -1.0
	v_cmp_gt_f64_e64 s0, s[0:1], v[37:38]
	s_delay_alu instid0(VALU_DEP_2) | instskip(SKIP_1) | instid1(VALU_DEP_3)
	v_add_f64 v[37:38], v[39:40], -v[35:36]
	v_add_f64 v[39:40], v[13:14], -v[39:40]
	v_subrev_co_ci_u32_e64 v0, s0, 0, v0, s0
	s_delay_alu instid0(VALU_DEP_3) | instskip(SKIP_1) | instid1(VALU_DEP_2)
	v_add_f64 v[37:38], v[37:38], 1.0
	s_mov_b32 s0, 0x55555780
	v_sub_nc_u32_e32 v43, 0, v0
	s_delay_alu instid0(VALU_DEP_1) | instskip(NEXT) | instid1(VALU_DEP_3)
	v_ldexp_f64 v[35:36], v[35:36], v43
	v_add_f64 v[37:38], v[39:40], v[37:38]
	s_delay_alu instid0(VALU_DEP_2) | instskip(SKIP_1) | instid1(VALU_DEP_3)
	v_add_f64 v[41:42], v[35:36], 1.0
	v_add_f64 v[47:48], v[35:36], -1.0
	v_ldexp_f64 v[37:38], v[37:38], v43
	s_delay_alu instid0(VALU_DEP_3) | instskip(NEXT) | instid1(VALU_DEP_3)
	v_add_f64 v[39:40], v[41:42], -1.0
	v_add_f64 v[49:50], v[47:48], 1.0
	s_delay_alu instid0(VALU_DEP_2) | instskip(NEXT) | instid1(VALU_DEP_2)
	v_add_f64 v[39:40], v[35:36], -v[39:40]
	v_add_f64 v[35:36], v[35:36], -v[49:50]
	s_delay_alu instid0(VALU_DEP_2) | instskip(NEXT) | instid1(VALU_DEP_2)
	v_add_f64 v[39:40], v[37:38], v[39:40]
	v_add_f64 v[35:36], v[37:38], v[35:36]
	s_delay_alu instid0(VALU_DEP_2) | instskip(NEXT) | instid1(VALU_DEP_2)
	v_add_f64 v[43:44], v[41:42], v[39:40]
	v_add_f64 v[49:50], v[47:48], v[35:36]
	s_delay_alu instid0(VALU_DEP_2) | instskip(SKIP_1) | instid1(VALU_DEP_2)
	v_rcp_f64_e32 v[45:46], v[43:44]
	v_add_f64 v[41:42], v[43:44], -v[41:42]
	v_add_f64 v[47:48], v[49:50], -v[47:48]
	s_delay_alu instid0(VALU_DEP_2) | instskip(SKIP_3) | instid1(VALU_DEP_2)
	v_add_f64 v[39:40], v[39:40], -v[41:42]
	s_waitcnt_depctr 0xfff
	v_fma_f64 v[51:52], -v[43:44], v[45:46], 1.0
	v_add_f64 v[35:36], v[35:36], -v[47:48]
	v_fma_f64 v[45:46], v[51:52], v[45:46], v[45:46]
	s_delay_alu instid0(VALU_DEP_1) | instskip(NEXT) | instid1(VALU_DEP_1)
	v_fma_f64 v[37:38], -v[43:44], v[45:46], 1.0
	v_fma_f64 v[37:38], v[37:38], v[45:46], v[45:46]
	s_delay_alu instid0(VALU_DEP_1) | instskip(NEXT) | instid1(VALU_DEP_1)
	v_mul_f64 v[45:46], v[49:50], v[37:38]
	v_mul_f64 v[51:52], v[43:44], v[45:46]
	s_delay_alu instid0(VALU_DEP_1) | instskip(NEXT) | instid1(VALU_DEP_1)
	v_fma_f64 v[41:42], v[45:46], v[43:44], -v[51:52]
	v_fma_f64 v[41:42], v[45:46], v[39:40], v[41:42]
	s_delay_alu instid0(VALU_DEP_1) | instskip(NEXT) | instid1(VALU_DEP_1)
	v_add_f64 v[63:64], v[51:52], v[41:42]
	v_add_f64 v[65:66], v[49:50], -v[63:64]
	v_add_f64 v[47:48], v[63:64], -v[51:52]
	s_delay_alu instid0(VALU_DEP_2) | instskip(NEXT) | instid1(VALU_DEP_2)
	v_add_f64 v[49:50], v[49:50], -v[65:66]
	v_add_f64 v[41:42], v[47:48], -v[41:42]
	s_delay_alu instid0(VALU_DEP_2) | instskip(NEXT) | instid1(VALU_DEP_1)
	v_add_f64 v[49:50], v[49:50], -v[63:64]
	v_add_f64 v[35:36], v[35:36], v[49:50]
	s_delay_alu instid0(VALU_DEP_1) | instskip(NEXT) | instid1(VALU_DEP_1)
	v_add_f64 v[35:36], v[41:42], v[35:36]
	v_add_f64 v[41:42], v[65:66], v[35:36]
	s_delay_alu instid0(VALU_DEP_1) | instskip(SKIP_1) | instid1(VALU_DEP_2)
	v_mul_f64 v[47:48], v[37:38], v[41:42]
	v_add_f64 v[63:64], v[65:66], -v[41:42]
	v_mul_f64 v[49:50], v[43:44], v[47:48]
	s_delay_alu instid0(VALU_DEP_2) | instskip(NEXT) | instid1(VALU_DEP_2)
	v_add_f64 v[35:36], v[35:36], v[63:64]
	v_fma_f64 v[43:44], v[47:48], v[43:44], -v[49:50]
	s_delay_alu instid0(VALU_DEP_1) | instskip(NEXT) | instid1(VALU_DEP_1)
	v_fma_f64 v[39:40], v[47:48], v[39:40], v[43:44]
	v_add_f64 v[43:44], v[49:50], v[39:40]
	s_delay_alu instid0(VALU_DEP_1) | instskip(SKIP_1) | instid1(VALU_DEP_2)
	v_add_f64 v[51:52], v[41:42], -v[43:44]
	v_add_f64 v[49:50], v[43:44], -v[49:50]
	;; [unrolled: 1-line block ×3, first 2 shown]
	s_delay_alu instid0(VALU_DEP_2) | instskip(NEXT) | instid1(VALU_DEP_2)
	v_add_f64 v[39:40], v[49:50], -v[39:40]
	v_add_f64 v[41:42], v[41:42], -v[43:44]
	s_delay_alu instid0(VALU_DEP_1) | instskip(SKIP_1) | instid1(VALU_DEP_2)
	v_add_f64 v[35:36], v[35:36], v[41:42]
	v_add_f64 v[41:42], v[45:46], v[47:48]
	;; [unrolled: 1-line block ×3, first 2 shown]
	s_delay_alu instid0(VALU_DEP_2) | instskip(NEXT) | instid1(VALU_DEP_2)
	v_add_f64 v[39:40], v[41:42], -v[45:46]
	v_add_f64 v[35:36], v[51:52], v[35:36]
	s_delay_alu instid0(VALU_DEP_2) | instskip(NEXT) | instid1(VALU_DEP_2)
	v_add_f64 v[39:40], v[47:48], -v[39:40]
	v_mul_f64 v[35:36], v[37:38], v[35:36]
	s_delay_alu instid0(VALU_DEP_1) | instskip(NEXT) | instid1(VALU_DEP_1)
	v_add_f64 v[35:36], v[39:40], v[35:36]
	v_add_f64 v[37:38], v[41:42], v[35:36]
	s_delay_alu instid0(VALU_DEP_1) | instskip(NEXT) | instid1(VALU_DEP_1)
	v_mul_f64 v[39:40], v[37:38], v[37:38]
	v_fma_f64 v[43:44], v[39:40], s[24:25], s[22:23]
	s_mov_b32 s22, 0xd7f4df2e
	s_mov_b32 s23, 0x3fc7474d
	v_mul_f64 v[45:46], v[37:38], v[39:40]
	s_delay_alu instid0(VALU_DEP_2)
	v_fma_f64 v[43:44], v[39:40], v[43:44], s[22:23]
	s_mov_b32 s22, 0x16291751
	s_mov_b32 s23, 0x3fcc71c0
	s_delay_alu instid0(VALU_DEP_1) | instid1(SALU_CYCLE_1)
	v_fma_f64 v[43:44], v[39:40], v[43:44], s[22:23]
	s_mov_b32 s22, 0x9b27acf1
	s_mov_b32 s23, 0x3fd24924
	s_delay_alu instid0(VALU_DEP_1) | instid1(SALU_CYCLE_1)
	v_fma_f64 v[43:44], v[39:40], v[43:44], s[22:23]
	s_mov_b32 s22, 0x998ef7b6
	s_mov_b32 s23, 0x3fd99999
	s_delay_alu instid0(VALU_DEP_1) | instid1(SALU_CYCLE_1)
	v_fma_f64 v[43:44], v[39:40], v[43:44], s[22:23]
	s_delay_alu instid0(VALU_DEP_1) | instskip(SKIP_3) | instid1(VALU_DEP_4)
	v_fma_f64 v[39:40], v[39:40], v[43:44], s[0:1]
	v_ldexp_f64 v[43:44], v[37:38], 1
	v_add_f64 v[37:38], v[37:38], -v[41:42]
	v_cmp_eq_f64_e64 s0, 0x7ff00000, v[13:14]
	v_mul_f64 v[39:40], v[45:46], v[39:40]
	v_cvt_f64_i32_e32 v[45:46], v0
	s_delay_alu instid0(VALU_DEP_4) | instskip(NEXT) | instid1(VALU_DEP_3)
	v_add_f64 v[35:36], v[35:36], -v[37:38]
	v_add_f64 v[41:42], v[43:44], v[39:40]
	s_delay_alu instid0(VALU_DEP_3) | instskip(NEXT) | instid1(VALU_DEP_3)
	v_mul_f64 v[47:48], v[45:46], s[18:19]
	v_ldexp_f64 v[35:36], v[35:36], 1
	s_delay_alu instid0(VALU_DEP_3) | instskip(NEXT) | instid1(VALU_DEP_3)
	v_add_f64 v[37:38], v[41:42], -v[43:44]
	v_fma_f64 v[43:44], v[45:46], s[18:19], -v[47:48]
	s_delay_alu instid0(VALU_DEP_2) | instskip(NEXT) | instid1(VALU_DEP_2)
	v_add_f64 v[37:38], v[39:40], -v[37:38]
	v_fma_f64 v[39:40], v[45:46], s[20:21], v[43:44]
	s_delay_alu instid0(VALU_DEP_2) | instskip(NEXT) | instid1(VALU_DEP_2)
	v_add_f64 v[35:36], v[35:36], v[37:38]
	v_add_f64 v[37:38], v[47:48], v[39:40]
	s_delay_alu instid0(VALU_DEP_2) | instskip(NEXT) | instid1(VALU_DEP_2)
	v_add_f64 v[43:44], v[41:42], v[35:36]
	v_add_f64 v[47:48], v[37:38], -v[47:48]
	s_delay_alu instid0(VALU_DEP_2) | instskip(SKIP_1) | instid1(VALU_DEP_3)
	v_add_f64 v[45:46], v[37:38], v[43:44]
	v_add_f64 v[41:42], v[43:44], -v[41:42]
	v_add_f64 v[39:40], v[39:40], -v[47:48]
	s_delay_alu instid0(VALU_DEP_3) | instskip(NEXT) | instid1(VALU_DEP_3)
	v_add_f64 v[49:50], v[45:46], -v[37:38]
	v_add_f64 v[35:36], v[35:36], -v[41:42]
	s_delay_alu instid0(VALU_DEP_2) | instskip(SKIP_1) | instid1(VALU_DEP_3)
	v_add_f64 v[51:52], v[45:46], -v[49:50]
	v_add_f64 v[41:42], v[43:44], -v[49:50]
	v_add_f64 v[43:44], v[39:40], v[35:36]
	s_delay_alu instid0(VALU_DEP_3) | instskip(NEXT) | instid1(VALU_DEP_1)
	v_add_f64 v[37:38], v[37:38], -v[51:52]
	v_add_f64 v[37:38], v[41:42], v[37:38]
	s_delay_alu instid0(VALU_DEP_3) | instskip(NEXT) | instid1(VALU_DEP_2)
	v_add_f64 v[41:42], v[43:44], -v[39:40]
	v_add_f64 v[37:38], v[43:44], v[37:38]
	s_delay_alu instid0(VALU_DEP_2) | instskip(SKIP_1) | instid1(VALU_DEP_3)
	v_add_f64 v[43:44], v[43:44], -v[41:42]
	v_add_f64 v[35:36], v[35:36], -v[41:42]
	v_add_f64 v[47:48], v[45:46], v[37:38]
	s_delay_alu instid0(VALU_DEP_3) | instskip(NEXT) | instid1(VALU_DEP_2)
	v_add_f64 v[39:40], v[39:40], -v[43:44]
	v_add_f64 v[41:42], v[47:48], -v[45:46]
	s_delay_alu instid0(VALU_DEP_2) | instskip(NEXT) | instid1(VALU_DEP_2)
	v_add_f64 v[35:36], v[35:36], v[39:40]
	v_add_f64 v[37:38], v[37:38], -v[41:42]
	s_delay_alu instid0(VALU_DEP_1) | instskip(NEXT) | instid1(VALU_DEP_1)
	v_add_f64 v[35:36], v[35:36], v[37:38]
	v_add_f64 v[35:36], v[47:48], v[35:36]
	s_delay_alu instid0(VALU_DEP_1) | instskip(NEXT) | instid1(VALU_DEP_2)
	v_cndmask_b32_e64 v0, v35, v13, s0
	v_cndmask_b32_e64 v35, v36, v14, s0
	v_cmp_ngt_f64_e64 s0, -1.0, v[13:14]
	s_delay_alu instid0(VALU_DEP_1) | instskip(SKIP_1) | instid1(VALU_DEP_1)
	v_cndmask_b32_e64 v36, 0x7ff80000, v35, s0
	v_cmp_nge_f64_e64 s0, -1.0, v[13:14]
	v_cndmask_b32_e64 v35, 0, v0, s0
	v_cmp_neq_f64_e64 s0, -1.0, v[13:14]
	s_delay_alu instid0(VALU_DEP_1) | instskip(NEXT) | instid1(VALU_DEP_1)
	v_cndmask_b32_e64 v36, 0xfff00000, v36, s0
	v_add_f64 v[13:14], v[33:34], v[35:36]
.LBB46_126:
	s_or_b32 exec_lo, exec_lo, s17
	s_delay_alu instid0(VALU_DEP_1) | instskip(SKIP_1) | instid1(VALU_DEP_2)
	v_max_f64 v[33:34], v[13:14], v[13:14]
	v_cmp_u_f64_e64 s0, v[13:14], v[13:14]
	v_min_f64 v[35:36], v[33:34], v[53:54]
	v_max_f64 v[33:34], v[33:34], v[53:54]
	s_delay_alu instid0(VALU_DEP_2) | instskip(NEXT) | instid1(VALU_DEP_3)
	v_cndmask_b32_e64 v0, v35, v13, s0
	v_cndmask_b32_e64 v35, v36, v14, s0
	s_delay_alu instid0(VALU_DEP_3) | instskip(NEXT) | instid1(VALU_DEP_4)
	v_cndmask_b32_e64 v34, v34, v14, s0
	v_cndmask_b32_e64 v33, v33, v13, s0
	s_delay_alu instid0(VALU_DEP_3) | instskip(SKIP_1) | instid1(VALU_DEP_4)
	v_cndmask_b32_e64 v36, v35, v16, s27
	v_cndmask_b32_e64 v35, v0, v15, s27
	;; [unrolled: 1-line block ×3, first 2 shown]
	s_delay_alu instid0(VALU_DEP_4) | instskip(SKIP_1) | instid1(VALU_DEP_4)
	v_cndmask_b32_e64 v33, v33, v15, s27
	v_dual_mov_b32 v16, v14 :: v_dual_mov_b32 v15, v13
	v_cmp_class_f64_e64 s1, v[35:36], 0x1f8
	s_delay_alu instid0(VALU_DEP_3) | instskip(NEXT) | instid1(VALU_DEP_1)
	v_cmp_neq_f64_e64 s0, v[35:36], v[33:34]
	s_or_b32 s0, s0, s1
	s_delay_alu instid0(SALU_CYCLE_1)
	s_and_saveexec_b32 s17, s0
	s_cbranch_execz .LBB46_128
; %bb.127:
	v_add_f64 v[15:16], v[35:36], -v[33:34]
	s_mov_b32 s0, 0x652b82fe
	s_mov_b32 s1, 0x3ff71547
	;; [unrolled: 1-line block ×10, first 2 shown]
	s_delay_alu instid0(VALU_DEP_1) | instskip(SKIP_2) | instid1(VALU_DEP_1)
	v_mul_f64 v[35:36], v[15:16], s[0:1]
	s_mov_b32 s0, 0xfca7ab0c
	s_mov_b32 s1, 0x3e928af3
	v_rndne_f64_e32 v[35:36], v[35:36]
	s_delay_alu instid0(VALU_DEP_1) | instskip(SKIP_2) | instid1(VALU_DEP_2)
	v_fma_f64 v[37:38], v[35:36], s[18:19], v[15:16]
	v_cvt_i32_f64_e32 v0, v[35:36]
	s_mov_b32 s19, 0x3fe62e42
	v_fma_f64 v[37:38], v[35:36], s[20:21], v[37:38]
	s_mov_b32 s21, 0x3c7abc9e
	s_delay_alu instid0(VALU_DEP_1) | instskip(SKIP_4) | instid1(VALU_DEP_1)
	v_fma_f64 v[39:40], v[37:38], s[22:23], s[0:1]
	s_mov_b32 s0, 0x623fde64
	s_mov_b32 s1, 0x3ec71dee
	;; [unrolled: 1-line block ×4, first 2 shown]
	v_fma_f64 v[39:40], v[37:38], v[39:40], s[0:1]
	s_mov_b32 s0, 0x7c89e6b0
	s_mov_b32 s1, 0x3efa0199
	s_delay_alu instid0(VALU_DEP_1) | instid1(SALU_CYCLE_1)
	v_fma_f64 v[39:40], v[37:38], v[39:40], s[0:1]
	s_mov_b32 s0, 0x14761f6e
	s_mov_b32 s1, 0x3f2a01a0
	s_delay_alu instid0(VALU_DEP_1) | instid1(SALU_CYCLE_1)
	v_fma_f64 v[39:40], v[37:38], v[39:40], s[0:1]
	s_mov_b32 s0, 0x1852b7b0
	s_mov_b32 s1, 0x3f56c16c
	s_delay_alu instid0(VALU_DEP_1) | instid1(SALU_CYCLE_1)
	v_fma_f64 v[39:40], v[37:38], v[39:40], s[0:1]
	s_mov_b32 s0, 0x11122322
	s_mov_b32 s1, 0x3f811111
	s_delay_alu instid0(VALU_DEP_1) | instid1(SALU_CYCLE_1)
	v_fma_f64 v[39:40], v[37:38], v[39:40], s[0:1]
	s_mov_b32 s0, 0x555502a1
	s_mov_b32 s1, 0x3fa55555
	s_delay_alu instid0(VALU_DEP_1) | instid1(SALU_CYCLE_1)
	v_fma_f64 v[39:40], v[37:38], v[39:40], s[0:1]
	s_mov_b32 s0, 0x55555511
	s_mov_b32 s1, 0x3fc55555
	s_delay_alu instid0(VALU_DEP_1) | instid1(SALU_CYCLE_1)
	v_fma_f64 v[39:40], v[37:38], v[39:40], s[0:1]
	s_mov_b32 s0, 11
	s_mov_b32 s1, 0x3fe00000
	s_delay_alu instid0(VALU_DEP_1) | instid1(SALU_CYCLE_1)
	v_fma_f64 v[39:40], v[37:38], v[39:40], s[0:1]
	v_cmp_nlt_f64_e64 s0, 0x40900000, v[15:16]
	v_cmp_ngt_f64_e64 s1, 0xc090cc00, v[15:16]
	s_delay_alu instid0(VALU_DEP_3) | instskip(NEXT) | instid1(VALU_DEP_1)
	v_fma_f64 v[39:40], v[37:38], v[39:40], 1.0
	v_fma_f64 v[35:36], v[37:38], v[39:40], 1.0
	s_delay_alu instid0(VALU_DEP_1) | instskip(NEXT) | instid1(VALU_DEP_1)
	v_ldexp_f64 v[35:36], v[35:36], v0
	v_cndmask_b32_e64 v0, 0x7ff00000, v36, s0
	s_and_b32 s0, s1, s0
	s_delay_alu instid0(VALU_DEP_2) | instid1(SALU_CYCLE_1)
	v_cndmask_b32_e64 v15, 0, v35, s0
	s_mov_b32 s0, 0x55555555
	s_delay_alu instid0(VALU_DEP_2) | instskip(SKIP_1) | instid1(VALU_DEP_1)
	v_cndmask_b32_e64 v16, 0, v0, s1
	s_mov_b32 s1, 0x3fe55555
	v_add_f64 v[35:36], v[15:16], 1.0
	s_delay_alu instid0(VALU_DEP_1) | instskip(SKIP_2) | instid1(VALU_DEP_3)
	v_frexp_mant_f64_e32 v[37:38], v[35:36]
	v_frexp_exp_i32_f64_e32 v0, v[35:36]
	v_add_f64 v[39:40], v[35:36], -1.0
	v_cmp_gt_f64_e64 s0, s[0:1], v[37:38]
	s_delay_alu instid0(VALU_DEP_2) | instskip(SKIP_1) | instid1(VALU_DEP_3)
	v_add_f64 v[37:38], v[39:40], -v[35:36]
	v_add_f64 v[39:40], v[15:16], -v[39:40]
	v_subrev_co_ci_u32_e64 v0, s0, 0, v0, s0
	s_delay_alu instid0(VALU_DEP_3) | instskip(SKIP_1) | instid1(VALU_DEP_2)
	v_add_f64 v[37:38], v[37:38], 1.0
	s_mov_b32 s0, 0x55555780
	v_sub_nc_u32_e32 v43, 0, v0
	s_delay_alu instid0(VALU_DEP_1) | instskip(NEXT) | instid1(VALU_DEP_3)
	v_ldexp_f64 v[35:36], v[35:36], v43
	v_add_f64 v[37:38], v[39:40], v[37:38]
	s_delay_alu instid0(VALU_DEP_2) | instskip(SKIP_1) | instid1(VALU_DEP_3)
	v_add_f64 v[41:42], v[35:36], 1.0
	v_add_f64 v[47:48], v[35:36], -1.0
	v_ldexp_f64 v[37:38], v[37:38], v43
	s_delay_alu instid0(VALU_DEP_3) | instskip(NEXT) | instid1(VALU_DEP_3)
	v_add_f64 v[39:40], v[41:42], -1.0
	v_add_f64 v[49:50], v[47:48], 1.0
	s_delay_alu instid0(VALU_DEP_2) | instskip(NEXT) | instid1(VALU_DEP_2)
	v_add_f64 v[39:40], v[35:36], -v[39:40]
	v_add_f64 v[35:36], v[35:36], -v[49:50]
	s_delay_alu instid0(VALU_DEP_2) | instskip(NEXT) | instid1(VALU_DEP_2)
	v_add_f64 v[39:40], v[37:38], v[39:40]
	v_add_f64 v[35:36], v[37:38], v[35:36]
	s_delay_alu instid0(VALU_DEP_2) | instskip(NEXT) | instid1(VALU_DEP_2)
	v_add_f64 v[43:44], v[41:42], v[39:40]
	v_add_f64 v[49:50], v[47:48], v[35:36]
	s_delay_alu instid0(VALU_DEP_2) | instskip(SKIP_1) | instid1(VALU_DEP_2)
	v_rcp_f64_e32 v[45:46], v[43:44]
	v_add_f64 v[41:42], v[43:44], -v[41:42]
	v_add_f64 v[47:48], v[49:50], -v[47:48]
	s_delay_alu instid0(VALU_DEP_2) | instskip(SKIP_3) | instid1(VALU_DEP_2)
	v_add_f64 v[39:40], v[39:40], -v[41:42]
	s_waitcnt_depctr 0xfff
	v_fma_f64 v[51:52], -v[43:44], v[45:46], 1.0
	v_add_f64 v[35:36], v[35:36], -v[47:48]
	v_fma_f64 v[45:46], v[51:52], v[45:46], v[45:46]
	s_delay_alu instid0(VALU_DEP_1) | instskip(NEXT) | instid1(VALU_DEP_1)
	v_fma_f64 v[37:38], -v[43:44], v[45:46], 1.0
	v_fma_f64 v[37:38], v[37:38], v[45:46], v[45:46]
	s_delay_alu instid0(VALU_DEP_1) | instskip(NEXT) | instid1(VALU_DEP_1)
	v_mul_f64 v[45:46], v[49:50], v[37:38]
	v_mul_f64 v[51:52], v[43:44], v[45:46]
	s_delay_alu instid0(VALU_DEP_1) | instskip(NEXT) | instid1(VALU_DEP_1)
	v_fma_f64 v[41:42], v[45:46], v[43:44], -v[51:52]
	v_fma_f64 v[41:42], v[45:46], v[39:40], v[41:42]
	s_delay_alu instid0(VALU_DEP_1) | instskip(NEXT) | instid1(VALU_DEP_1)
	v_add_f64 v[53:54], v[51:52], v[41:42]
	v_add_f64 v[63:64], v[49:50], -v[53:54]
	v_add_f64 v[47:48], v[53:54], -v[51:52]
	s_delay_alu instid0(VALU_DEP_2) | instskip(NEXT) | instid1(VALU_DEP_2)
	v_add_f64 v[49:50], v[49:50], -v[63:64]
	v_add_f64 v[41:42], v[47:48], -v[41:42]
	s_delay_alu instid0(VALU_DEP_2) | instskip(NEXT) | instid1(VALU_DEP_1)
	v_add_f64 v[49:50], v[49:50], -v[53:54]
	v_add_f64 v[35:36], v[35:36], v[49:50]
	s_delay_alu instid0(VALU_DEP_1) | instskip(NEXT) | instid1(VALU_DEP_1)
	v_add_f64 v[35:36], v[41:42], v[35:36]
	v_add_f64 v[41:42], v[63:64], v[35:36]
	s_delay_alu instid0(VALU_DEP_1) | instskip(SKIP_1) | instid1(VALU_DEP_2)
	v_mul_f64 v[47:48], v[37:38], v[41:42]
	v_add_f64 v[53:54], v[63:64], -v[41:42]
	v_mul_f64 v[49:50], v[43:44], v[47:48]
	s_delay_alu instid0(VALU_DEP_2) | instskip(NEXT) | instid1(VALU_DEP_2)
	v_add_f64 v[35:36], v[35:36], v[53:54]
	v_fma_f64 v[43:44], v[47:48], v[43:44], -v[49:50]
	s_delay_alu instid0(VALU_DEP_1) | instskip(NEXT) | instid1(VALU_DEP_1)
	v_fma_f64 v[39:40], v[47:48], v[39:40], v[43:44]
	v_add_f64 v[43:44], v[49:50], v[39:40]
	s_delay_alu instid0(VALU_DEP_1) | instskip(SKIP_1) | instid1(VALU_DEP_2)
	v_add_f64 v[51:52], v[41:42], -v[43:44]
	v_add_f64 v[49:50], v[43:44], -v[49:50]
	;; [unrolled: 1-line block ×3, first 2 shown]
	s_delay_alu instid0(VALU_DEP_2) | instskip(NEXT) | instid1(VALU_DEP_2)
	v_add_f64 v[39:40], v[49:50], -v[39:40]
	v_add_f64 v[41:42], v[41:42], -v[43:44]
	s_delay_alu instid0(VALU_DEP_1) | instskip(SKIP_1) | instid1(VALU_DEP_2)
	v_add_f64 v[35:36], v[35:36], v[41:42]
	v_add_f64 v[41:42], v[45:46], v[47:48]
	;; [unrolled: 1-line block ×3, first 2 shown]
	s_delay_alu instid0(VALU_DEP_2) | instskip(NEXT) | instid1(VALU_DEP_2)
	v_add_f64 v[39:40], v[41:42], -v[45:46]
	v_add_f64 v[35:36], v[51:52], v[35:36]
	s_delay_alu instid0(VALU_DEP_2) | instskip(NEXT) | instid1(VALU_DEP_2)
	v_add_f64 v[39:40], v[47:48], -v[39:40]
	v_mul_f64 v[35:36], v[37:38], v[35:36]
	s_delay_alu instid0(VALU_DEP_1) | instskip(NEXT) | instid1(VALU_DEP_1)
	v_add_f64 v[35:36], v[39:40], v[35:36]
	v_add_f64 v[37:38], v[41:42], v[35:36]
	s_delay_alu instid0(VALU_DEP_1) | instskip(NEXT) | instid1(VALU_DEP_1)
	v_mul_f64 v[39:40], v[37:38], v[37:38]
	v_fma_f64 v[43:44], v[39:40], s[24:25], s[22:23]
	s_mov_b32 s22, 0xd7f4df2e
	s_mov_b32 s23, 0x3fc7474d
	v_mul_f64 v[45:46], v[37:38], v[39:40]
	s_delay_alu instid0(VALU_DEP_2)
	v_fma_f64 v[43:44], v[39:40], v[43:44], s[22:23]
	s_mov_b32 s22, 0x16291751
	s_mov_b32 s23, 0x3fcc71c0
	s_delay_alu instid0(VALU_DEP_1) | instid1(SALU_CYCLE_1)
	v_fma_f64 v[43:44], v[39:40], v[43:44], s[22:23]
	s_mov_b32 s22, 0x9b27acf1
	s_mov_b32 s23, 0x3fd24924
	s_delay_alu instid0(VALU_DEP_1) | instid1(SALU_CYCLE_1)
	;; [unrolled: 4-line block ×3, first 2 shown]
	v_fma_f64 v[43:44], v[39:40], v[43:44], s[22:23]
	s_delay_alu instid0(VALU_DEP_1) | instskip(SKIP_3) | instid1(VALU_DEP_4)
	v_fma_f64 v[39:40], v[39:40], v[43:44], s[0:1]
	v_ldexp_f64 v[43:44], v[37:38], 1
	v_add_f64 v[37:38], v[37:38], -v[41:42]
	v_cmp_eq_f64_e64 s0, 0x7ff00000, v[15:16]
	v_mul_f64 v[39:40], v[45:46], v[39:40]
	v_cvt_f64_i32_e32 v[45:46], v0
	s_delay_alu instid0(VALU_DEP_4) | instskip(NEXT) | instid1(VALU_DEP_3)
	v_add_f64 v[35:36], v[35:36], -v[37:38]
	v_add_f64 v[41:42], v[43:44], v[39:40]
	s_delay_alu instid0(VALU_DEP_3) | instskip(NEXT) | instid1(VALU_DEP_3)
	v_mul_f64 v[47:48], v[45:46], s[18:19]
	v_ldexp_f64 v[35:36], v[35:36], 1
	s_delay_alu instid0(VALU_DEP_3) | instskip(NEXT) | instid1(VALU_DEP_3)
	v_add_f64 v[37:38], v[41:42], -v[43:44]
	v_fma_f64 v[43:44], v[45:46], s[18:19], -v[47:48]
	s_delay_alu instid0(VALU_DEP_2) | instskip(NEXT) | instid1(VALU_DEP_2)
	v_add_f64 v[37:38], v[39:40], -v[37:38]
	v_fma_f64 v[39:40], v[45:46], s[20:21], v[43:44]
	s_delay_alu instid0(VALU_DEP_2) | instskip(NEXT) | instid1(VALU_DEP_2)
	v_add_f64 v[35:36], v[35:36], v[37:38]
	v_add_f64 v[37:38], v[47:48], v[39:40]
	s_delay_alu instid0(VALU_DEP_2) | instskip(NEXT) | instid1(VALU_DEP_2)
	v_add_f64 v[43:44], v[41:42], v[35:36]
	v_add_f64 v[47:48], v[37:38], -v[47:48]
	s_delay_alu instid0(VALU_DEP_2) | instskip(SKIP_1) | instid1(VALU_DEP_3)
	v_add_f64 v[45:46], v[37:38], v[43:44]
	v_add_f64 v[41:42], v[43:44], -v[41:42]
	v_add_f64 v[39:40], v[39:40], -v[47:48]
	s_delay_alu instid0(VALU_DEP_3) | instskip(NEXT) | instid1(VALU_DEP_3)
	v_add_f64 v[49:50], v[45:46], -v[37:38]
	v_add_f64 v[35:36], v[35:36], -v[41:42]
	s_delay_alu instid0(VALU_DEP_2) | instskip(SKIP_1) | instid1(VALU_DEP_3)
	v_add_f64 v[51:52], v[45:46], -v[49:50]
	v_add_f64 v[41:42], v[43:44], -v[49:50]
	v_add_f64 v[43:44], v[39:40], v[35:36]
	s_delay_alu instid0(VALU_DEP_3) | instskip(NEXT) | instid1(VALU_DEP_1)
	v_add_f64 v[37:38], v[37:38], -v[51:52]
	v_add_f64 v[37:38], v[41:42], v[37:38]
	s_delay_alu instid0(VALU_DEP_3) | instskip(NEXT) | instid1(VALU_DEP_2)
	v_add_f64 v[41:42], v[43:44], -v[39:40]
	v_add_f64 v[37:38], v[43:44], v[37:38]
	s_delay_alu instid0(VALU_DEP_2) | instskip(SKIP_1) | instid1(VALU_DEP_3)
	v_add_f64 v[43:44], v[43:44], -v[41:42]
	v_add_f64 v[35:36], v[35:36], -v[41:42]
	v_add_f64 v[47:48], v[45:46], v[37:38]
	s_delay_alu instid0(VALU_DEP_3) | instskip(NEXT) | instid1(VALU_DEP_2)
	v_add_f64 v[39:40], v[39:40], -v[43:44]
	v_add_f64 v[41:42], v[47:48], -v[45:46]
	s_delay_alu instid0(VALU_DEP_2) | instskip(NEXT) | instid1(VALU_DEP_2)
	v_add_f64 v[35:36], v[35:36], v[39:40]
	v_add_f64 v[37:38], v[37:38], -v[41:42]
	s_delay_alu instid0(VALU_DEP_1) | instskip(NEXT) | instid1(VALU_DEP_1)
	v_add_f64 v[35:36], v[35:36], v[37:38]
	v_add_f64 v[35:36], v[47:48], v[35:36]
	s_delay_alu instid0(VALU_DEP_1) | instskip(NEXT) | instid1(VALU_DEP_2)
	v_cndmask_b32_e64 v0, v35, v15, s0
	v_cndmask_b32_e64 v35, v36, v16, s0
	v_cmp_ngt_f64_e64 s0, -1.0, v[15:16]
	s_delay_alu instid0(VALU_DEP_1) | instskip(SKIP_1) | instid1(VALU_DEP_1)
	v_cndmask_b32_e64 v36, 0x7ff80000, v35, s0
	v_cmp_nge_f64_e64 s0, -1.0, v[15:16]
	v_cndmask_b32_e64 v35, 0, v0, s0
	v_cmp_neq_f64_e64 s0, -1.0, v[15:16]
	s_delay_alu instid0(VALU_DEP_1) | instskip(NEXT) | instid1(VALU_DEP_1)
	v_cndmask_b32_e64 v36, 0xfff00000, v36, s0
	v_add_f64 v[15:16], v[33:34], v[35:36]
.LBB46_128:
	s_or_b32 exec_lo, exec_lo, s17
	s_delay_alu instid0(VALU_DEP_1) | instskip(SKIP_1) | instid1(VALU_DEP_2)
	v_max_f64 v[33:34], v[15:16], v[15:16]
	v_cmp_u_f64_e64 s0, v[15:16], v[15:16]
	v_min_f64 v[35:36], v[33:34], v[55:56]
	v_max_f64 v[33:34], v[33:34], v[55:56]
	s_delay_alu instid0(VALU_DEP_2) | instskip(NEXT) | instid1(VALU_DEP_3)
	v_cndmask_b32_e64 v0, v35, v15, s0
	v_cndmask_b32_e64 v35, v36, v16, s0
	s_delay_alu instid0(VALU_DEP_3) | instskip(NEXT) | instid1(VALU_DEP_4)
	v_cndmask_b32_e64 v34, v34, v16, s0
	v_cndmask_b32_e64 v33, v33, v15, s0
	s_delay_alu instid0(VALU_DEP_3) | instskip(SKIP_1) | instid1(VALU_DEP_4)
	v_cndmask_b32_e64 v36, v35, v10, s28
	v_cndmask_b32_e64 v35, v0, v9, s28
	v_cndmask_b32_e64 v34, v34, v10, s28
	s_delay_alu instid0(VALU_DEP_4) | instskip(SKIP_1) | instid1(VALU_DEP_4)
	v_cndmask_b32_e64 v33, v33, v9, s28
	v_dual_mov_b32 v9, v15 :: v_dual_mov_b32 v10, v16
	v_cmp_class_f64_e64 s1, v[35:36], 0x1f8
	s_delay_alu instid0(VALU_DEP_3) | instskip(NEXT) | instid1(VALU_DEP_1)
	v_cmp_neq_f64_e64 s0, v[35:36], v[33:34]
	s_or_b32 s0, s0, s1
	s_delay_alu instid0(SALU_CYCLE_1)
	s_and_saveexec_b32 s17, s0
	s_cbranch_execz .LBB46_130
; %bb.129:
	v_add_f64 v[9:10], v[35:36], -v[33:34]
	s_mov_b32 s0, 0x652b82fe
	s_mov_b32 s1, 0x3ff71547
	;; [unrolled: 1-line block ×10, first 2 shown]
	s_delay_alu instid0(VALU_DEP_1) | instskip(SKIP_2) | instid1(VALU_DEP_1)
	v_mul_f64 v[35:36], v[9:10], s[0:1]
	s_mov_b32 s0, 0xfca7ab0c
	s_mov_b32 s1, 0x3e928af3
	v_rndne_f64_e32 v[35:36], v[35:36]
	s_delay_alu instid0(VALU_DEP_1) | instskip(SKIP_2) | instid1(VALU_DEP_2)
	v_fma_f64 v[37:38], v[35:36], s[18:19], v[9:10]
	v_cvt_i32_f64_e32 v0, v[35:36]
	s_mov_b32 s19, 0x3fe62e42
	v_fma_f64 v[37:38], v[35:36], s[20:21], v[37:38]
	s_mov_b32 s21, 0x3c7abc9e
	s_delay_alu instid0(VALU_DEP_1) | instskip(SKIP_4) | instid1(VALU_DEP_1)
	v_fma_f64 v[39:40], v[37:38], s[22:23], s[0:1]
	s_mov_b32 s0, 0x623fde64
	s_mov_b32 s1, 0x3ec71dee
	;; [unrolled: 1-line block ×4, first 2 shown]
	v_fma_f64 v[39:40], v[37:38], v[39:40], s[0:1]
	s_mov_b32 s0, 0x7c89e6b0
	s_mov_b32 s1, 0x3efa0199
	s_delay_alu instid0(VALU_DEP_1) | instid1(SALU_CYCLE_1)
	v_fma_f64 v[39:40], v[37:38], v[39:40], s[0:1]
	s_mov_b32 s0, 0x14761f6e
	s_mov_b32 s1, 0x3f2a01a0
	s_delay_alu instid0(VALU_DEP_1) | instid1(SALU_CYCLE_1)
	v_fma_f64 v[39:40], v[37:38], v[39:40], s[0:1]
	s_mov_b32 s0, 0x1852b7b0
	s_mov_b32 s1, 0x3f56c16c
	s_delay_alu instid0(VALU_DEP_1) | instid1(SALU_CYCLE_1)
	v_fma_f64 v[39:40], v[37:38], v[39:40], s[0:1]
	s_mov_b32 s0, 0x11122322
	s_mov_b32 s1, 0x3f811111
	s_delay_alu instid0(VALU_DEP_1) | instid1(SALU_CYCLE_1)
	v_fma_f64 v[39:40], v[37:38], v[39:40], s[0:1]
	s_mov_b32 s0, 0x555502a1
	s_mov_b32 s1, 0x3fa55555
	s_delay_alu instid0(VALU_DEP_1) | instid1(SALU_CYCLE_1)
	v_fma_f64 v[39:40], v[37:38], v[39:40], s[0:1]
	s_mov_b32 s0, 0x55555511
	s_mov_b32 s1, 0x3fc55555
	s_delay_alu instid0(VALU_DEP_1) | instid1(SALU_CYCLE_1)
	v_fma_f64 v[39:40], v[37:38], v[39:40], s[0:1]
	s_mov_b32 s0, 11
	s_mov_b32 s1, 0x3fe00000
	s_delay_alu instid0(VALU_DEP_1) | instid1(SALU_CYCLE_1)
	v_fma_f64 v[39:40], v[37:38], v[39:40], s[0:1]
	v_cmp_nlt_f64_e64 s0, 0x40900000, v[9:10]
	v_cmp_ngt_f64_e64 s1, 0xc090cc00, v[9:10]
	s_delay_alu instid0(VALU_DEP_3) | instskip(NEXT) | instid1(VALU_DEP_1)
	v_fma_f64 v[39:40], v[37:38], v[39:40], 1.0
	v_fma_f64 v[35:36], v[37:38], v[39:40], 1.0
	s_delay_alu instid0(VALU_DEP_1) | instskip(NEXT) | instid1(VALU_DEP_1)
	v_ldexp_f64 v[35:36], v[35:36], v0
	v_cndmask_b32_e64 v0, 0x7ff00000, v36, s0
	s_and_b32 s0, s1, s0
	s_delay_alu instid0(VALU_DEP_2) | instid1(SALU_CYCLE_1)
	v_cndmask_b32_e64 v9, 0, v35, s0
	s_mov_b32 s0, 0x55555555
	s_delay_alu instid0(VALU_DEP_2) | instskip(SKIP_1) | instid1(VALU_DEP_1)
	v_cndmask_b32_e64 v10, 0, v0, s1
	s_mov_b32 s1, 0x3fe55555
	v_add_f64 v[35:36], v[9:10], 1.0
	s_delay_alu instid0(VALU_DEP_1) | instskip(SKIP_2) | instid1(VALU_DEP_3)
	v_frexp_mant_f64_e32 v[37:38], v[35:36]
	v_frexp_exp_i32_f64_e32 v0, v[35:36]
	v_add_f64 v[39:40], v[35:36], -1.0
	v_cmp_gt_f64_e64 s0, s[0:1], v[37:38]
	s_delay_alu instid0(VALU_DEP_2) | instskip(SKIP_1) | instid1(VALU_DEP_3)
	v_add_f64 v[37:38], v[39:40], -v[35:36]
	v_add_f64 v[39:40], v[9:10], -v[39:40]
	v_subrev_co_ci_u32_e64 v0, s0, 0, v0, s0
	s_delay_alu instid0(VALU_DEP_3) | instskip(SKIP_1) | instid1(VALU_DEP_2)
	v_add_f64 v[37:38], v[37:38], 1.0
	s_mov_b32 s0, 0x55555780
	v_sub_nc_u32_e32 v43, 0, v0
	s_delay_alu instid0(VALU_DEP_1) | instskip(NEXT) | instid1(VALU_DEP_3)
	v_ldexp_f64 v[35:36], v[35:36], v43
	v_add_f64 v[37:38], v[39:40], v[37:38]
	s_delay_alu instid0(VALU_DEP_2) | instskip(SKIP_1) | instid1(VALU_DEP_3)
	v_add_f64 v[41:42], v[35:36], 1.0
	v_add_f64 v[47:48], v[35:36], -1.0
	v_ldexp_f64 v[37:38], v[37:38], v43
	s_delay_alu instid0(VALU_DEP_3) | instskip(NEXT) | instid1(VALU_DEP_3)
	v_add_f64 v[39:40], v[41:42], -1.0
	v_add_f64 v[49:50], v[47:48], 1.0
	s_delay_alu instid0(VALU_DEP_2) | instskip(NEXT) | instid1(VALU_DEP_2)
	v_add_f64 v[39:40], v[35:36], -v[39:40]
	v_add_f64 v[35:36], v[35:36], -v[49:50]
	s_delay_alu instid0(VALU_DEP_2) | instskip(NEXT) | instid1(VALU_DEP_2)
	v_add_f64 v[39:40], v[37:38], v[39:40]
	v_add_f64 v[35:36], v[37:38], v[35:36]
	s_delay_alu instid0(VALU_DEP_2) | instskip(NEXT) | instid1(VALU_DEP_2)
	v_add_f64 v[43:44], v[41:42], v[39:40]
	v_add_f64 v[49:50], v[47:48], v[35:36]
	s_delay_alu instid0(VALU_DEP_2) | instskip(SKIP_1) | instid1(VALU_DEP_2)
	v_rcp_f64_e32 v[45:46], v[43:44]
	v_add_f64 v[41:42], v[43:44], -v[41:42]
	v_add_f64 v[47:48], v[49:50], -v[47:48]
	s_delay_alu instid0(VALU_DEP_2) | instskip(SKIP_3) | instid1(VALU_DEP_2)
	v_add_f64 v[39:40], v[39:40], -v[41:42]
	s_waitcnt_depctr 0xfff
	v_fma_f64 v[51:52], -v[43:44], v[45:46], 1.0
	v_add_f64 v[35:36], v[35:36], -v[47:48]
	v_fma_f64 v[45:46], v[51:52], v[45:46], v[45:46]
	s_delay_alu instid0(VALU_DEP_1) | instskip(NEXT) | instid1(VALU_DEP_1)
	v_fma_f64 v[37:38], -v[43:44], v[45:46], 1.0
	v_fma_f64 v[37:38], v[37:38], v[45:46], v[45:46]
	s_delay_alu instid0(VALU_DEP_1) | instskip(NEXT) | instid1(VALU_DEP_1)
	v_mul_f64 v[45:46], v[49:50], v[37:38]
	v_mul_f64 v[51:52], v[43:44], v[45:46]
	s_delay_alu instid0(VALU_DEP_1) | instskip(NEXT) | instid1(VALU_DEP_1)
	v_fma_f64 v[41:42], v[45:46], v[43:44], -v[51:52]
	v_fma_f64 v[41:42], v[45:46], v[39:40], v[41:42]
	s_delay_alu instid0(VALU_DEP_1) | instskip(NEXT) | instid1(VALU_DEP_1)
	v_add_f64 v[53:54], v[51:52], v[41:42]
	v_add_f64 v[55:56], v[49:50], -v[53:54]
	v_add_f64 v[47:48], v[53:54], -v[51:52]
	s_delay_alu instid0(VALU_DEP_2) | instskip(NEXT) | instid1(VALU_DEP_2)
	v_add_f64 v[49:50], v[49:50], -v[55:56]
	v_add_f64 v[41:42], v[47:48], -v[41:42]
	s_delay_alu instid0(VALU_DEP_2) | instskip(NEXT) | instid1(VALU_DEP_1)
	v_add_f64 v[49:50], v[49:50], -v[53:54]
	v_add_f64 v[35:36], v[35:36], v[49:50]
	s_delay_alu instid0(VALU_DEP_1) | instskip(NEXT) | instid1(VALU_DEP_1)
	v_add_f64 v[35:36], v[41:42], v[35:36]
	v_add_f64 v[41:42], v[55:56], v[35:36]
	s_delay_alu instid0(VALU_DEP_1) | instskip(SKIP_1) | instid1(VALU_DEP_2)
	v_mul_f64 v[47:48], v[37:38], v[41:42]
	v_add_f64 v[53:54], v[55:56], -v[41:42]
	v_mul_f64 v[49:50], v[43:44], v[47:48]
	s_delay_alu instid0(VALU_DEP_2) | instskip(NEXT) | instid1(VALU_DEP_2)
	v_add_f64 v[35:36], v[35:36], v[53:54]
	v_fma_f64 v[43:44], v[47:48], v[43:44], -v[49:50]
	s_delay_alu instid0(VALU_DEP_1) | instskip(NEXT) | instid1(VALU_DEP_1)
	v_fma_f64 v[39:40], v[47:48], v[39:40], v[43:44]
	v_add_f64 v[43:44], v[49:50], v[39:40]
	s_delay_alu instid0(VALU_DEP_1) | instskip(SKIP_1) | instid1(VALU_DEP_2)
	v_add_f64 v[51:52], v[41:42], -v[43:44]
	v_add_f64 v[49:50], v[43:44], -v[49:50]
	;; [unrolled: 1-line block ×3, first 2 shown]
	s_delay_alu instid0(VALU_DEP_2) | instskip(NEXT) | instid1(VALU_DEP_2)
	v_add_f64 v[39:40], v[49:50], -v[39:40]
	v_add_f64 v[41:42], v[41:42], -v[43:44]
	s_delay_alu instid0(VALU_DEP_1) | instskip(SKIP_1) | instid1(VALU_DEP_2)
	v_add_f64 v[35:36], v[35:36], v[41:42]
	v_add_f64 v[41:42], v[45:46], v[47:48]
	;; [unrolled: 1-line block ×3, first 2 shown]
	s_delay_alu instid0(VALU_DEP_2) | instskip(NEXT) | instid1(VALU_DEP_2)
	v_add_f64 v[39:40], v[41:42], -v[45:46]
	v_add_f64 v[35:36], v[51:52], v[35:36]
	s_delay_alu instid0(VALU_DEP_2) | instskip(NEXT) | instid1(VALU_DEP_2)
	v_add_f64 v[39:40], v[47:48], -v[39:40]
	v_mul_f64 v[35:36], v[37:38], v[35:36]
	s_delay_alu instid0(VALU_DEP_1) | instskip(NEXT) | instid1(VALU_DEP_1)
	v_add_f64 v[35:36], v[39:40], v[35:36]
	v_add_f64 v[37:38], v[41:42], v[35:36]
	s_delay_alu instid0(VALU_DEP_1) | instskip(NEXT) | instid1(VALU_DEP_1)
	v_mul_f64 v[39:40], v[37:38], v[37:38]
	v_fma_f64 v[43:44], v[39:40], s[24:25], s[22:23]
	s_mov_b32 s22, 0xd7f4df2e
	s_mov_b32 s23, 0x3fc7474d
	v_mul_f64 v[45:46], v[37:38], v[39:40]
	s_delay_alu instid0(VALU_DEP_2)
	v_fma_f64 v[43:44], v[39:40], v[43:44], s[22:23]
	s_mov_b32 s22, 0x16291751
	s_mov_b32 s23, 0x3fcc71c0
	s_delay_alu instid0(VALU_DEP_1) | instid1(SALU_CYCLE_1)
	v_fma_f64 v[43:44], v[39:40], v[43:44], s[22:23]
	s_mov_b32 s22, 0x9b27acf1
	s_mov_b32 s23, 0x3fd24924
	s_delay_alu instid0(VALU_DEP_1) | instid1(SALU_CYCLE_1)
	v_fma_f64 v[43:44], v[39:40], v[43:44], s[22:23]
	s_mov_b32 s22, 0x998ef7b6
	s_mov_b32 s23, 0x3fd99999
	s_delay_alu instid0(VALU_DEP_1) | instid1(SALU_CYCLE_1)
	v_fma_f64 v[43:44], v[39:40], v[43:44], s[22:23]
	s_delay_alu instid0(VALU_DEP_1) | instskip(SKIP_3) | instid1(VALU_DEP_4)
	v_fma_f64 v[39:40], v[39:40], v[43:44], s[0:1]
	v_ldexp_f64 v[43:44], v[37:38], 1
	v_add_f64 v[37:38], v[37:38], -v[41:42]
	v_cmp_eq_f64_e64 s0, 0x7ff00000, v[9:10]
	v_mul_f64 v[39:40], v[45:46], v[39:40]
	v_cvt_f64_i32_e32 v[45:46], v0
	s_delay_alu instid0(VALU_DEP_4) | instskip(NEXT) | instid1(VALU_DEP_3)
	v_add_f64 v[35:36], v[35:36], -v[37:38]
	v_add_f64 v[41:42], v[43:44], v[39:40]
	s_delay_alu instid0(VALU_DEP_3) | instskip(NEXT) | instid1(VALU_DEP_3)
	v_mul_f64 v[47:48], v[45:46], s[18:19]
	v_ldexp_f64 v[35:36], v[35:36], 1
	s_delay_alu instid0(VALU_DEP_3) | instskip(NEXT) | instid1(VALU_DEP_3)
	v_add_f64 v[37:38], v[41:42], -v[43:44]
	v_fma_f64 v[43:44], v[45:46], s[18:19], -v[47:48]
	s_delay_alu instid0(VALU_DEP_2) | instskip(NEXT) | instid1(VALU_DEP_2)
	v_add_f64 v[37:38], v[39:40], -v[37:38]
	v_fma_f64 v[39:40], v[45:46], s[20:21], v[43:44]
	s_delay_alu instid0(VALU_DEP_2) | instskip(NEXT) | instid1(VALU_DEP_2)
	v_add_f64 v[35:36], v[35:36], v[37:38]
	v_add_f64 v[37:38], v[47:48], v[39:40]
	s_delay_alu instid0(VALU_DEP_2) | instskip(NEXT) | instid1(VALU_DEP_2)
	v_add_f64 v[43:44], v[41:42], v[35:36]
	v_add_f64 v[47:48], v[37:38], -v[47:48]
	s_delay_alu instid0(VALU_DEP_2) | instskip(SKIP_1) | instid1(VALU_DEP_3)
	v_add_f64 v[45:46], v[37:38], v[43:44]
	v_add_f64 v[41:42], v[43:44], -v[41:42]
	v_add_f64 v[39:40], v[39:40], -v[47:48]
	s_delay_alu instid0(VALU_DEP_3) | instskip(NEXT) | instid1(VALU_DEP_3)
	v_add_f64 v[49:50], v[45:46], -v[37:38]
	v_add_f64 v[35:36], v[35:36], -v[41:42]
	s_delay_alu instid0(VALU_DEP_2) | instskip(SKIP_1) | instid1(VALU_DEP_3)
	v_add_f64 v[51:52], v[45:46], -v[49:50]
	v_add_f64 v[41:42], v[43:44], -v[49:50]
	v_add_f64 v[43:44], v[39:40], v[35:36]
	s_delay_alu instid0(VALU_DEP_3) | instskip(NEXT) | instid1(VALU_DEP_1)
	v_add_f64 v[37:38], v[37:38], -v[51:52]
	v_add_f64 v[37:38], v[41:42], v[37:38]
	s_delay_alu instid0(VALU_DEP_3) | instskip(NEXT) | instid1(VALU_DEP_2)
	v_add_f64 v[41:42], v[43:44], -v[39:40]
	v_add_f64 v[37:38], v[43:44], v[37:38]
	s_delay_alu instid0(VALU_DEP_2) | instskip(SKIP_1) | instid1(VALU_DEP_3)
	v_add_f64 v[43:44], v[43:44], -v[41:42]
	v_add_f64 v[35:36], v[35:36], -v[41:42]
	v_add_f64 v[47:48], v[45:46], v[37:38]
	s_delay_alu instid0(VALU_DEP_3) | instskip(NEXT) | instid1(VALU_DEP_2)
	v_add_f64 v[39:40], v[39:40], -v[43:44]
	v_add_f64 v[41:42], v[47:48], -v[45:46]
	s_delay_alu instid0(VALU_DEP_2) | instskip(NEXT) | instid1(VALU_DEP_2)
	v_add_f64 v[35:36], v[35:36], v[39:40]
	v_add_f64 v[37:38], v[37:38], -v[41:42]
	s_delay_alu instid0(VALU_DEP_1) | instskip(NEXT) | instid1(VALU_DEP_1)
	v_add_f64 v[35:36], v[35:36], v[37:38]
	v_add_f64 v[35:36], v[47:48], v[35:36]
	s_delay_alu instid0(VALU_DEP_1) | instskip(NEXT) | instid1(VALU_DEP_2)
	v_cndmask_b32_e64 v0, v35, v9, s0
	v_cndmask_b32_e64 v35, v36, v10, s0
	v_cmp_ngt_f64_e64 s0, -1.0, v[9:10]
	s_delay_alu instid0(VALU_DEP_1) | instskip(SKIP_1) | instid1(VALU_DEP_1)
	v_cndmask_b32_e64 v36, 0x7ff80000, v35, s0
	v_cmp_nge_f64_e64 s0, -1.0, v[9:10]
	v_cndmask_b32_e64 v35, 0, v0, s0
	v_cmp_neq_f64_e64 s0, -1.0, v[9:10]
	s_delay_alu instid0(VALU_DEP_1) | instskip(NEXT) | instid1(VALU_DEP_1)
	v_cndmask_b32_e64 v36, 0xfff00000, v36, s0
	v_add_f64 v[9:10], v[33:34], v[35:36]
.LBB46_130:
	s_or_b32 exec_lo, exec_lo, s17
	s_delay_alu instid0(VALU_DEP_1) | instskip(SKIP_1) | instid1(VALU_DEP_2)
	v_max_f64 v[33:34], v[9:10], v[9:10]
	v_cmp_u_f64_e64 s0, v[9:10], v[9:10]
	v_min_f64 v[35:36], v[33:34], v[57:58]
	v_max_f64 v[33:34], v[33:34], v[57:58]
	s_delay_alu instid0(VALU_DEP_2) | instskip(NEXT) | instid1(VALU_DEP_3)
	v_cndmask_b32_e64 v0, v35, v9, s0
	v_cndmask_b32_e64 v35, v36, v10, s0
	s_delay_alu instid0(VALU_DEP_3) | instskip(NEXT) | instid1(VALU_DEP_4)
	v_cndmask_b32_e64 v34, v34, v10, s0
	v_cndmask_b32_e64 v33, v33, v9, s0
	s_delay_alu instid0(VALU_DEP_3) | instskip(SKIP_1) | instid1(VALU_DEP_4)
	v_cndmask_b32_e64 v36, v35, v12, s29
	v_cndmask_b32_e64 v35, v0, v11, s29
	;; [unrolled: 1-line block ×3, first 2 shown]
	s_delay_alu instid0(VALU_DEP_4) | instskip(SKIP_1) | instid1(VALU_DEP_4)
	v_cndmask_b32_e64 v33, v33, v11, s29
	v_dual_mov_b32 v12, v10 :: v_dual_mov_b32 v11, v9
	v_cmp_class_f64_e64 s1, v[35:36], 0x1f8
	s_delay_alu instid0(VALU_DEP_3) | instskip(NEXT) | instid1(VALU_DEP_1)
	v_cmp_neq_f64_e64 s0, v[35:36], v[33:34]
	s_or_b32 s0, s0, s1
	s_delay_alu instid0(SALU_CYCLE_1)
	s_and_saveexec_b32 s17, s0
	s_cbranch_execz .LBB46_132
; %bb.131:
	v_add_f64 v[11:12], v[35:36], -v[33:34]
	s_mov_b32 s0, 0x652b82fe
	s_mov_b32 s1, 0x3ff71547
	;; [unrolled: 1-line block ×10, first 2 shown]
	s_delay_alu instid0(VALU_DEP_1) | instskip(SKIP_2) | instid1(VALU_DEP_1)
	v_mul_f64 v[35:36], v[11:12], s[0:1]
	s_mov_b32 s0, 0xfca7ab0c
	s_mov_b32 s1, 0x3e928af3
	v_rndne_f64_e32 v[35:36], v[35:36]
	s_delay_alu instid0(VALU_DEP_1) | instskip(SKIP_2) | instid1(VALU_DEP_2)
	v_fma_f64 v[37:38], v[35:36], s[18:19], v[11:12]
	v_cvt_i32_f64_e32 v0, v[35:36]
	s_mov_b32 s19, 0x3fe62e42
	v_fma_f64 v[37:38], v[35:36], s[20:21], v[37:38]
	s_mov_b32 s21, 0x3c7abc9e
	s_delay_alu instid0(VALU_DEP_1) | instskip(SKIP_4) | instid1(VALU_DEP_1)
	v_fma_f64 v[39:40], v[37:38], s[22:23], s[0:1]
	s_mov_b32 s0, 0x623fde64
	s_mov_b32 s1, 0x3ec71dee
	;; [unrolled: 1-line block ×4, first 2 shown]
	v_fma_f64 v[39:40], v[37:38], v[39:40], s[0:1]
	s_mov_b32 s0, 0x7c89e6b0
	s_mov_b32 s1, 0x3efa0199
	s_delay_alu instid0(VALU_DEP_1) | instid1(SALU_CYCLE_1)
	v_fma_f64 v[39:40], v[37:38], v[39:40], s[0:1]
	s_mov_b32 s0, 0x14761f6e
	s_mov_b32 s1, 0x3f2a01a0
	s_delay_alu instid0(VALU_DEP_1) | instid1(SALU_CYCLE_1)
	;; [unrolled: 4-line block ×7, first 2 shown]
	v_fma_f64 v[39:40], v[37:38], v[39:40], s[0:1]
	v_cmp_nlt_f64_e64 s0, 0x40900000, v[11:12]
	v_cmp_ngt_f64_e64 s1, 0xc090cc00, v[11:12]
	s_delay_alu instid0(VALU_DEP_3) | instskip(NEXT) | instid1(VALU_DEP_1)
	v_fma_f64 v[39:40], v[37:38], v[39:40], 1.0
	v_fma_f64 v[35:36], v[37:38], v[39:40], 1.0
	s_delay_alu instid0(VALU_DEP_1) | instskip(NEXT) | instid1(VALU_DEP_1)
	v_ldexp_f64 v[35:36], v[35:36], v0
	v_cndmask_b32_e64 v0, 0x7ff00000, v36, s0
	s_and_b32 s0, s1, s0
	s_delay_alu instid0(VALU_DEP_2) | instid1(SALU_CYCLE_1)
	v_cndmask_b32_e64 v11, 0, v35, s0
	s_mov_b32 s0, 0x55555555
	s_delay_alu instid0(VALU_DEP_2) | instskip(SKIP_1) | instid1(VALU_DEP_1)
	v_cndmask_b32_e64 v12, 0, v0, s1
	s_mov_b32 s1, 0x3fe55555
	v_add_f64 v[35:36], v[11:12], 1.0
	s_delay_alu instid0(VALU_DEP_1) | instskip(SKIP_2) | instid1(VALU_DEP_3)
	v_frexp_mant_f64_e32 v[37:38], v[35:36]
	v_frexp_exp_i32_f64_e32 v0, v[35:36]
	v_add_f64 v[39:40], v[35:36], -1.0
	v_cmp_gt_f64_e64 s0, s[0:1], v[37:38]
	s_delay_alu instid0(VALU_DEP_2) | instskip(SKIP_1) | instid1(VALU_DEP_3)
	v_add_f64 v[37:38], v[39:40], -v[35:36]
	v_add_f64 v[39:40], v[11:12], -v[39:40]
	v_subrev_co_ci_u32_e64 v0, s0, 0, v0, s0
	s_delay_alu instid0(VALU_DEP_3) | instskip(SKIP_1) | instid1(VALU_DEP_2)
	v_add_f64 v[37:38], v[37:38], 1.0
	s_mov_b32 s0, 0x55555780
	v_sub_nc_u32_e32 v43, 0, v0
	s_delay_alu instid0(VALU_DEP_1) | instskip(NEXT) | instid1(VALU_DEP_3)
	v_ldexp_f64 v[35:36], v[35:36], v43
	v_add_f64 v[37:38], v[39:40], v[37:38]
	s_delay_alu instid0(VALU_DEP_2) | instskip(SKIP_1) | instid1(VALU_DEP_3)
	v_add_f64 v[41:42], v[35:36], 1.0
	v_add_f64 v[47:48], v[35:36], -1.0
	v_ldexp_f64 v[37:38], v[37:38], v43
	s_delay_alu instid0(VALU_DEP_3) | instskip(NEXT) | instid1(VALU_DEP_3)
	v_add_f64 v[39:40], v[41:42], -1.0
	v_add_f64 v[49:50], v[47:48], 1.0
	s_delay_alu instid0(VALU_DEP_2) | instskip(NEXT) | instid1(VALU_DEP_2)
	v_add_f64 v[39:40], v[35:36], -v[39:40]
	v_add_f64 v[35:36], v[35:36], -v[49:50]
	s_delay_alu instid0(VALU_DEP_2) | instskip(NEXT) | instid1(VALU_DEP_2)
	v_add_f64 v[39:40], v[37:38], v[39:40]
	v_add_f64 v[35:36], v[37:38], v[35:36]
	s_delay_alu instid0(VALU_DEP_2) | instskip(NEXT) | instid1(VALU_DEP_2)
	v_add_f64 v[43:44], v[41:42], v[39:40]
	v_add_f64 v[49:50], v[47:48], v[35:36]
	s_delay_alu instid0(VALU_DEP_2) | instskip(SKIP_1) | instid1(VALU_DEP_2)
	v_rcp_f64_e32 v[45:46], v[43:44]
	v_add_f64 v[41:42], v[43:44], -v[41:42]
	v_add_f64 v[47:48], v[49:50], -v[47:48]
	s_delay_alu instid0(VALU_DEP_2) | instskip(SKIP_3) | instid1(VALU_DEP_2)
	v_add_f64 v[39:40], v[39:40], -v[41:42]
	s_waitcnt_depctr 0xfff
	v_fma_f64 v[51:52], -v[43:44], v[45:46], 1.0
	v_add_f64 v[35:36], v[35:36], -v[47:48]
	v_fma_f64 v[45:46], v[51:52], v[45:46], v[45:46]
	s_delay_alu instid0(VALU_DEP_1) | instskip(NEXT) | instid1(VALU_DEP_1)
	v_fma_f64 v[37:38], -v[43:44], v[45:46], 1.0
	v_fma_f64 v[37:38], v[37:38], v[45:46], v[45:46]
	s_delay_alu instid0(VALU_DEP_1) | instskip(NEXT) | instid1(VALU_DEP_1)
	v_mul_f64 v[45:46], v[49:50], v[37:38]
	v_mul_f64 v[51:52], v[43:44], v[45:46]
	s_delay_alu instid0(VALU_DEP_1) | instskip(NEXT) | instid1(VALU_DEP_1)
	v_fma_f64 v[41:42], v[45:46], v[43:44], -v[51:52]
	v_fma_f64 v[41:42], v[45:46], v[39:40], v[41:42]
	s_delay_alu instid0(VALU_DEP_1) | instskip(NEXT) | instid1(VALU_DEP_1)
	v_add_f64 v[53:54], v[51:52], v[41:42]
	v_add_f64 v[55:56], v[49:50], -v[53:54]
	v_add_f64 v[47:48], v[53:54], -v[51:52]
	s_delay_alu instid0(VALU_DEP_2) | instskip(NEXT) | instid1(VALU_DEP_2)
	v_add_f64 v[49:50], v[49:50], -v[55:56]
	v_add_f64 v[41:42], v[47:48], -v[41:42]
	s_delay_alu instid0(VALU_DEP_2) | instskip(NEXT) | instid1(VALU_DEP_1)
	v_add_f64 v[49:50], v[49:50], -v[53:54]
	v_add_f64 v[35:36], v[35:36], v[49:50]
	s_delay_alu instid0(VALU_DEP_1) | instskip(NEXT) | instid1(VALU_DEP_1)
	v_add_f64 v[35:36], v[41:42], v[35:36]
	v_add_f64 v[41:42], v[55:56], v[35:36]
	s_delay_alu instid0(VALU_DEP_1) | instskip(SKIP_1) | instid1(VALU_DEP_2)
	v_mul_f64 v[47:48], v[37:38], v[41:42]
	v_add_f64 v[53:54], v[55:56], -v[41:42]
	v_mul_f64 v[49:50], v[43:44], v[47:48]
	s_delay_alu instid0(VALU_DEP_2) | instskip(NEXT) | instid1(VALU_DEP_2)
	v_add_f64 v[35:36], v[35:36], v[53:54]
	v_fma_f64 v[43:44], v[47:48], v[43:44], -v[49:50]
	s_delay_alu instid0(VALU_DEP_1) | instskip(NEXT) | instid1(VALU_DEP_1)
	v_fma_f64 v[39:40], v[47:48], v[39:40], v[43:44]
	v_add_f64 v[43:44], v[49:50], v[39:40]
	s_delay_alu instid0(VALU_DEP_1) | instskip(SKIP_1) | instid1(VALU_DEP_2)
	v_add_f64 v[51:52], v[41:42], -v[43:44]
	v_add_f64 v[49:50], v[43:44], -v[49:50]
	;; [unrolled: 1-line block ×3, first 2 shown]
	s_delay_alu instid0(VALU_DEP_2) | instskip(NEXT) | instid1(VALU_DEP_2)
	v_add_f64 v[39:40], v[49:50], -v[39:40]
	v_add_f64 v[41:42], v[41:42], -v[43:44]
	s_delay_alu instid0(VALU_DEP_1) | instskip(SKIP_1) | instid1(VALU_DEP_2)
	v_add_f64 v[35:36], v[35:36], v[41:42]
	v_add_f64 v[41:42], v[45:46], v[47:48]
	;; [unrolled: 1-line block ×3, first 2 shown]
	s_delay_alu instid0(VALU_DEP_2) | instskip(NEXT) | instid1(VALU_DEP_2)
	v_add_f64 v[39:40], v[41:42], -v[45:46]
	v_add_f64 v[35:36], v[51:52], v[35:36]
	s_delay_alu instid0(VALU_DEP_2) | instskip(NEXT) | instid1(VALU_DEP_2)
	v_add_f64 v[39:40], v[47:48], -v[39:40]
	v_mul_f64 v[35:36], v[37:38], v[35:36]
	s_delay_alu instid0(VALU_DEP_1) | instskip(NEXT) | instid1(VALU_DEP_1)
	v_add_f64 v[35:36], v[39:40], v[35:36]
	v_add_f64 v[37:38], v[41:42], v[35:36]
	s_delay_alu instid0(VALU_DEP_1) | instskip(NEXT) | instid1(VALU_DEP_1)
	v_mul_f64 v[39:40], v[37:38], v[37:38]
	v_fma_f64 v[43:44], v[39:40], s[24:25], s[22:23]
	s_mov_b32 s22, 0xd7f4df2e
	s_mov_b32 s23, 0x3fc7474d
	v_mul_f64 v[45:46], v[37:38], v[39:40]
	s_delay_alu instid0(VALU_DEP_2)
	v_fma_f64 v[43:44], v[39:40], v[43:44], s[22:23]
	s_mov_b32 s22, 0x16291751
	s_mov_b32 s23, 0x3fcc71c0
	s_delay_alu instid0(VALU_DEP_1) | instid1(SALU_CYCLE_1)
	v_fma_f64 v[43:44], v[39:40], v[43:44], s[22:23]
	s_mov_b32 s22, 0x9b27acf1
	s_mov_b32 s23, 0x3fd24924
	s_delay_alu instid0(VALU_DEP_1) | instid1(SALU_CYCLE_1)
	;; [unrolled: 4-line block ×3, first 2 shown]
	v_fma_f64 v[43:44], v[39:40], v[43:44], s[22:23]
	s_delay_alu instid0(VALU_DEP_1) | instskip(SKIP_3) | instid1(VALU_DEP_4)
	v_fma_f64 v[39:40], v[39:40], v[43:44], s[0:1]
	v_ldexp_f64 v[43:44], v[37:38], 1
	v_add_f64 v[37:38], v[37:38], -v[41:42]
	v_cmp_eq_f64_e64 s0, 0x7ff00000, v[11:12]
	v_mul_f64 v[39:40], v[45:46], v[39:40]
	v_cvt_f64_i32_e32 v[45:46], v0
	s_delay_alu instid0(VALU_DEP_4) | instskip(NEXT) | instid1(VALU_DEP_3)
	v_add_f64 v[35:36], v[35:36], -v[37:38]
	v_add_f64 v[41:42], v[43:44], v[39:40]
	s_delay_alu instid0(VALU_DEP_3) | instskip(NEXT) | instid1(VALU_DEP_3)
	v_mul_f64 v[47:48], v[45:46], s[18:19]
	v_ldexp_f64 v[35:36], v[35:36], 1
	s_delay_alu instid0(VALU_DEP_3) | instskip(NEXT) | instid1(VALU_DEP_3)
	v_add_f64 v[37:38], v[41:42], -v[43:44]
	v_fma_f64 v[43:44], v[45:46], s[18:19], -v[47:48]
	s_delay_alu instid0(VALU_DEP_2) | instskip(NEXT) | instid1(VALU_DEP_2)
	v_add_f64 v[37:38], v[39:40], -v[37:38]
	v_fma_f64 v[39:40], v[45:46], s[20:21], v[43:44]
	s_delay_alu instid0(VALU_DEP_2) | instskip(NEXT) | instid1(VALU_DEP_2)
	v_add_f64 v[35:36], v[35:36], v[37:38]
	v_add_f64 v[37:38], v[47:48], v[39:40]
	s_delay_alu instid0(VALU_DEP_2) | instskip(NEXT) | instid1(VALU_DEP_2)
	v_add_f64 v[43:44], v[41:42], v[35:36]
	v_add_f64 v[47:48], v[37:38], -v[47:48]
	s_delay_alu instid0(VALU_DEP_2) | instskip(SKIP_1) | instid1(VALU_DEP_3)
	v_add_f64 v[45:46], v[37:38], v[43:44]
	v_add_f64 v[41:42], v[43:44], -v[41:42]
	v_add_f64 v[39:40], v[39:40], -v[47:48]
	s_delay_alu instid0(VALU_DEP_3) | instskip(NEXT) | instid1(VALU_DEP_3)
	v_add_f64 v[49:50], v[45:46], -v[37:38]
	v_add_f64 v[35:36], v[35:36], -v[41:42]
	s_delay_alu instid0(VALU_DEP_2) | instskip(SKIP_1) | instid1(VALU_DEP_3)
	v_add_f64 v[51:52], v[45:46], -v[49:50]
	v_add_f64 v[41:42], v[43:44], -v[49:50]
	v_add_f64 v[43:44], v[39:40], v[35:36]
	s_delay_alu instid0(VALU_DEP_3) | instskip(NEXT) | instid1(VALU_DEP_1)
	v_add_f64 v[37:38], v[37:38], -v[51:52]
	v_add_f64 v[37:38], v[41:42], v[37:38]
	s_delay_alu instid0(VALU_DEP_3) | instskip(NEXT) | instid1(VALU_DEP_2)
	v_add_f64 v[41:42], v[43:44], -v[39:40]
	v_add_f64 v[37:38], v[43:44], v[37:38]
	s_delay_alu instid0(VALU_DEP_2) | instskip(SKIP_1) | instid1(VALU_DEP_3)
	v_add_f64 v[43:44], v[43:44], -v[41:42]
	v_add_f64 v[35:36], v[35:36], -v[41:42]
	v_add_f64 v[47:48], v[45:46], v[37:38]
	s_delay_alu instid0(VALU_DEP_3) | instskip(NEXT) | instid1(VALU_DEP_2)
	v_add_f64 v[39:40], v[39:40], -v[43:44]
	v_add_f64 v[41:42], v[47:48], -v[45:46]
	s_delay_alu instid0(VALU_DEP_2) | instskip(NEXT) | instid1(VALU_DEP_2)
	v_add_f64 v[35:36], v[35:36], v[39:40]
	v_add_f64 v[37:38], v[37:38], -v[41:42]
	s_delay_alu instid0(VALU_DEP_1) | instskip(NEXT) | instid1(VALU_DEP_1)
	v_add_f64 v[35:36], v[35:36], v[37:38]
	v_add_f64 v[35:36], v[47:48], v[35:36]
	s_delay_alu instid0(VALU_DEP_1) | instskip(NEXT) | instid1(VALU_DEP_2)
	v_cndmask_b32_e64 v0, v35, v11, s0
	v_cndmask_b32_e64 v35, v36, v12, s0
	v_cmp_ngt_f64_e64 s0, -1.0, v[11:12]
	s_delay_alu instid0(VALU_DEP_1) | instskip(SKIP_1) | instid1(VALU_DEP_1)
	v_cndmask_b32_e64 v36, 0x7ff80000, v35, s0
	v_cmp_nge_f64_e64 s0, -1.0, v[11:12]
	v_cndmask_b32_e64 v35, 0, v0, s0
	v_cmp_neq_f64_e64 s0, -1.0, v[11:12]
	s_delay_alu instid0(VALU_DEP_1) | instskip(NEXT) | instid1(VALU_DEP_1)
	v_cndmask_b32_e64 v36, 0xfff00000, v36, s0
	v_add_f64 v[11:12], v[33:34], v[35:36]
.LBB46_132:
	s_or_b32 exec_lo, exec_lo, s17
	s_delay_alu instid0(VALU_DEP_1) | instskip(SKIP_1) | instid1(VALU_DEP_2)
	v_max_f64 v[33:34], v[11:12], v[11:12]
	v_cmp_u_f64_e64 s0, v[11:12], v[11:12]
	v_min_f64 v[35:36], v[33:34], v[59:60]
	v_max_f64 v[33:34], v[33:34], v[59:60]
	s_delay_alu instid0(VALU_DEP_2) | instskip(NEXT) | instid1(VALU_DEP_3)
	v_cndmask_b32_e64 v0, v35, v11, s0
	v_cndmask_b32_e64 v35, v36, v12, s0
	s_delay_alu instid0(VALU_DEP_3) | instskip(NEXT) | instid1(VALU_DEP_4)
	v_cndmask_b32_e64 v34, v34, v12, s0
	v_cndmask_b32_e64 v33, v33, v11, s0
	s_delay_alu instid0(VALU_DEP_3) | instskip(SKIP_1) | instid1(VALU_DEP_4)
	v_cndmask_b32_e64 v36, v35, v6, s30
	v_cndmask_b32_e64 v35, v0, v5, s30
	;; [unrolled: 1-line block ×3, first 2 shown]
	s_delay_alu instid0(VALU_DEP_4) | instskip(SKIP_1) | instid1(VALU_DEP_4)
	v_cndmask_b32_e64 v33, v33, v5, s30
	v_dual_mov_b32 v5, v11 :: v_dual_mov_b32 v6, v12
	v_cmp_class_f64_e64 s1, v[35:36], 0x1f8
	s_delay_alu instid0(VALU_DEP_3) | instskip(NEXT) | instid1(VALU_DEP_1)
	v_cmp_neq_f64_e64 s0, v[35:36], v[33:34]
	s_or_b32 s0, s0, s1
	s_delay_alu instid0(SALU_CYCLE_1)
	s_and_saveexec_b32 s17, s0
	s_cbranch_execz .LBB46_134
; %bb.133:
	v_add_f64 v[5:6], v[35:36], -v[33:34]
	s_mov_b32 s0, 0x652b82fe
	s_mov_b32 s1, 0x3ff71547
	;; [unrolled: 1-line block ×10, first 2 shown]
	s_delay_alu instid0(VALU_DEP_1) | instskip(SKIP_2) | instid1(VALU_DEP_1)
	v_mul_f64 v[35:36], v[5:6], s[0:1]
	s_mov_b32 s0, 0xfca7ab0c
	s_mov_b32 s1, 0x3e928af3
	v_rndne_f64_e32 v[35:36], v[35:36]
	s_delay_alu instid0(VALU_DEP_1) | instskip(SKIP_2) | instid1(VALU_DEP_2)
	v_fma_f64 v[37:38], v[35:36], s[18:19], v[5:6]
	v_cvt_i32_f64_e32 v0, v[35:36]
	s_mov_b32 s19, 0x3fe62e42
	v_fma_f64 v[37:38], v[35:36], s[20:21], v[37:38]
	s_mov_b32 s21, 0x3c7abc9e
	s_delay_alu instid0(VALU_DEP_1) | instskip(SKIP_4) | instid1(VALU_DEP_1)
	v_fma_f64 v[39:40], v[37:38], s[22:23], s[0:1]
	s_mov_b32 s0, 0x623fde64
	s_mov_b32 s1, 0x3ec71dee
	s_mov_b32 s22, 0x6b47b09a
	s_mov_b32 s23, 0x3fc38538
	v_fma_f64 v[39:40], v[37:38], v[39:40], s[0:1]
	s_mov_b32 s0, 0x7c89e6b0
	s_mov_b32 s1, 0x3efa0199
	s_delay_alu instid0(VALU_DEP_1) | instid1(SALU_CYCLE_1)
	v_fma_f64 v[39:40], v[37:38], v[39:40], s[0:1]
	s_mov_b32 s0, 0x14761f6e
	s_mov_b32 s1, 0x3f2a01a0
	s_delay_alu instid0(VALU_DEP_1) | instid1(SALU_CYCLE_1)
	;; [unrolled: 4-line block ×7, first 2 shown]
	v_fma_f64 v[39:40], v[37:38], v[39:40], s[0:1]
	v_cmp_nlt_f64_e64 s0, 0x40900000, v[5:6]
	v_cmp_ngt_f64_e64 s1, 0xc090cc00, v[5:6]
	s_delay_alu instid0(VALU_DEP_3) | instskip(NEXT) | instid1(VALU_DEP_1)
	v_fma_f64 v[39:40], v[37:38], v[39:40], 1.0
	v_fma_f64 v[35:36], v[37:38], v[39:40], 1.0
	s_delay_alu instid0(VALU_DEP_1) | instskip(NEXT) | instid1(VALU_DEP_1)
	v_ldexp_f64 v[35:36], v[35:36], v0
	v_cndmask_b32_e64 v0, 0x7ff00000, v36, s0
	s_and_b32 s0, s1, s0
	s_delay_alu instid0(VALU_DEP_2) | instid1(SALU_CYCLE_1)
	v_cndmask_b32_e64 v5, 0, v35, s0
	s_mov_b32 s0, 0x55555555
	s_delay_alu instid0(VALU_DEP_2) | instskip(SKIP_1) | instid1(VALU_DEP_1)
	v_cndmask_b32_e64 v6, 0, v0, s1
	s_mov_b32 s1, 0x3fe55555
	v_add_f64 v[35:36], v[5:6], 1.0
	s_delay_alu instid0(VALU_DEP_1) | instskip(SKIP_2) | instid1(VALU_DEP_3)
	v_frexp_mant_f64_e32 v[37:38], v[35:36]
	v_frexp_exp_i32_f64_e32 v0, v[35:36]
	v_add_f64 v[39:40], v[35:36], -1.0
	v_cmp_gt_f64_e64 s0, s[0:1], v[37:38]
	s_delay_alu instid0(VALU_DEP_2) | instskip(SKIP_1) | instid1(VALU_DEP_3)
	v_add_f64 v[37:38], v[39:40], -v[35:36]
	v_add_f64 v[39:40], v[5:6], -v[39:40]
	v_subrev_co_ci_u32_e64 v0, s0, 0, v0, s0
	s_delay_alu instid0(VALU_DEP_3) | instskip(SKIP_1) | instid1(VALU_DEP_2)
	v_add_f64 v[37:38], v[37:38], 1.0
	s_mov_b32 s0, 0x55555780
	v_sub_nc_u32_e32 v43, 0, v0
	s_delay_alu instid0(VALU_DEP_1) | instskip(NEXT) | instid1(VALU_DEP_3)
	v_ldexp_f64 v[35:36], v[35:36], v43
	v_add_f64 v[37:38], v[39:40], v[37:38]
	s_delay_alu instid0(VALU_DEP_2) | instskip(SKIP_1) | instid1(VALU_DEP_3)
	v_add_f64 v[41:42], v[35:36], 1.0
	v_add_f64 v[47:48], v[35:36], -1.0
	v_ldexp_f64 v[37:38], v[37:38], v43
	s_delay_alu instid0(VALU_DEP_3) | instskip(NEXT) | instid1(VALU_DEP_3)
	v_add_f64 v[39:40], v[41:42], -1.0
	v_add_f64 v[49:50], v[47:48], 1.0
	s_delay_alu instid0(VALU_DEP_2) | instskip(NEXT) | instid1(VALU_DEP_2)
	v_add_f64 v[39:40], v[35:36], -v[39:40]
	v_add_f64 v[35:36], v[35:36], -v[49:50]
	s_delay_alu instid0(VALU_DEP_2) | instskip(NEXT) | instid1(VALU_DEP_2)
	v_add_f64 v[39:40], v[37:38], v[39:40]
	v_add_f64 v[35:36], v[37:38], v[35:36]
	s_delay_alu instid0(VALU_DEP_2) | instskip(NEXT) | instid1(VALU_DEP_2)
	v_add_f64 v[43:44], v[41:42], v[39:40]
	v_add_f64 v[49:50], v[47:48], v[35:36]
	s_delay_alu instid0(VALU_DEP_2) | instskip(SKIP_1) | instid1(VALU_DEP_2)
	v_rcp_f64_e32 v[45:46], v[43:44]
	v_add_f64 v[41:42], v[43:44], -v[41:42]
	v_add_f64 v[47:48], v[49:50], -v[47:48]
	s_delay_alu instid0(VALU_DEP_2) | instskip(SKIP_3) | instid1(VALU_DEP_2)
	v_add_f64 v[39:40], v[39:40], -v[41:42]
	s_waitcnt_depctr 0xfff
	v_fma_f64 v[51:52], -v[43:44], v[45:46], 1.0
	v_add_f64 v[35:36], v[35:36], -v[47:48]
	v_fma_f64 v[45:46], v[51:52], v[45:46], v[45:46]
	s_delay_alu instid0(VALU_DEP_1) | instskip(NEXT) | instid1(VALU_DEP_1)
	v_fma_f64 v[37:38], -v[43:44], v[45:46], 1.0
	v_fma_f64 v[37:38], v[37:38], v[45:46], v[45:46]
	s_delay_alu instid0(VALU_DEP_1) | instskip(NEXT) | instid1(VALU_DEP_1)
	v_mul_f64 v[45:46], v[49:50], v[37:38]
	v_mul_f64 v[51:52], v[43:44], v[45:46]
	s_delay_alu instid0(VALU_DEP_1) | instskip(NEXT) | instid1(VALU_DEP_1)
	v_fma_f64 v[41:42], v[45:46], v[43:44], -v[51:52]
	v_fma_f64 v[41:42], v[45:46], v[39:40], v[41:42]
	s_delay_alu instid0(VALU_DEP_1) | instskip(NEXT) | instid1(VALU_DEP_1)
	v_add_f64 v[53:54], v[51:52], v[41:42]
	v_add_f64 v[55:56], v[49:50], -v[53:54]
	v_add_f64 v[47:48], v[53:54], -v[51:52]
	s_delay_alu instid0(VALU_DEP_2) | instskip(NEXT) | instid1(VALU_DEP_2)
	v_add_f64 v[49:50], v[49:50], -v[55:56]
	v_add_f64 v[41:42], v[47:48], -v[41:42]
	s_delay_alu instid0(VALU_DEP_2) | instskip(NEXT) | instid1(VALU_DEP_1)
	v_add_f64 v[49:50], v[49:50], -v[53:54]
	v_add_f64 v[35:36], v[35:36], v[49:50]
	s_delay_alu instid0(VALU_DEP_1) | instskip(NEXT) | instid1(VALU_DEP_1)
	v_add_f64 v[35:36], v[41:42], v[35:36]
	v_add_f64 v[41:42], v[55:56], v[35:36]
	s_delay_alu instid0(VALU_DEP_1) | instskip(SKIP_1) | instid1(VALU_DEP_2)
	v_mul_f64 v[47:48], v[37:38], v[41:42]
	v_add_f64 v[53:54], v[55:56], -v[41:42]
	v_mul_f64 v[49:50], v[43:44], v[47:48]
	s_delay_alu instid0(VALU_DEP_2) | instskip(NEXT) | instid1(VALU_DEP_2)
	v_add_f64 v[35:36], v[35:36], v[53:54]
	v_fma_f64 v[43:44], v[47:48], v[43:44], -v[49:50]
	s_delay_alu instid0(VALU_DEP_1) | instskip(NEXT) | instid1(VALU_DEP_1)
	v_fma_f64 v[39:40], v[47:48], v[39:40], v[43:44]
	v_add_f64 v[43:44], v[49:50], v[39:40]
	s_delay_alu instid0(VALU_DEP_1) | instskip(SKIP_1) | instid1(VALU_DEP_2)
	v_add_f64 v[51:52], v[41:42], -v[43:44]
	v_add_f64 v[49:50], v[43:44], -v[49:50]
	v_add_f64 v[41:42], v[41:42], -v[51:52]
	s_delay_alu instid0(VALU_DEP_2) | instskip(NEXT) | instid1(VALU_DEP_2)
	v_add_f64 v[39:40], v[49:50], -v[39:40]
	v_add_f64 v[41:42], v[41:42], -v[43:44]
	s_delay_alu instid0(VALU_DEP_1) | instskip(SKIP_1) | instid1(VALU_DEP_2)
	v_add_f64 v[35:36], v[35:36], v[41:42]
	v_add_f64 v[41:42], v[45:46], v[47:48]
	;; [unrolled: 1-line block ×3, first 2 shown]
	s_delay_alu instid0(VALU_DEP_2) | instskip(NEXT) | instid1(VALU_DEP_2)
	v_add_f64 v[39:40], v[41:42], -v[45:46]
	v_add_f64 v[35:36], v[51:52], v[35:36]
	s_delay_alu instid0(VALU_DEP_2) | instskip(NEXT) | instid1(VALU_DEP_2)
	v_add_f64 v[39:40], v[47:48], -v[39:40]
	v_mul_f64 v[35:36], v[37:38], v[35:36]
	s_delay_alu instid0(VALU_DEP_1) | instskip(NEXT) | instid1(VALU_DEP_1)
	v_add_f64 v[35:36], v[39:40], v[35:36]
	v_add_f64 v[37:38], v[41:42], v[35:36]
	s_delay_alu instid0(VALU_DEP_1) | instskip(NEXT) | instid1(VALU_DEP_1)
	v_mul_f64 v[39:40], v[37:38], v[37:38]
	v_fma_f64 v[43:44], v[39:40], s[24:25], s[22:23]
	s_mov_b32 s22, 0xd7f4df2e
	s_mov_b32 s23, 0x3fc7474d
	v_mul_f64 v[45:46], v[37:38], v[39:40]
	s_delay_alu instid0(VALU_DEP_2)
	v_fma_f64 v[43:44], v[39:40], v[43:44], s[22:23]
	s_mov_b32 s22, 0x16291751
	s_mov_b32 s23, 0x3fcc71c0
	s_delay_alu instid0(VALU_DEP_1) | instid1(SALU_CYCLE_1)
	v_fma_f64 v[43:44], v[39:40], v[43:44], s[22:23]
	s_mov_b32 s22, 0x9b27acf1
	s_mov_b32 s23, 0x3fd24924
	s_delay_alu instid0(VALU_DEP_1) | instid1(SALU_CYCLE_1)
	v_fma_f64 v[43:44], v[39:40], v[43:44], s[22:23]
	s_mov_b32 s22, 0x998ef7b6
	s_mov_b32 s23, 0x3fd99999
	s_delay_alu instid0(VALU_DEP_1) | instid1(SALU_CYCLE_1)
	v_fma_f64 v[43:44], v[39:40], v[43:44], s[22:23]
	s_delay_alu instid0(VALU_DEP_1) | instskip(SKIP_3) | instid1(VALU_DEP_4)
	v_fma_f64 v[39:40], v[39:40], v[43:44], s[0:1]
	v_ldexp_f64 v[43:44], v[37:38], 1
	v_add_f64 v[37:38], v[37:38], -v[41:42]
	v_cmp_eq_f64_e64 s0, 0x7ff00000, v[5:6]
	v_mul_f64 v[39:40], v[45:46], v[39:40]
	v_cvt_f64_i32_e32 v[45:46], v0
	s_delay_alu instid0(VALU_DEP_4) | instskip(NEXT) | instid1(VALU_DEP_3)
	v_add_f64 v[35:36], v[35:36], -v[37:38]
	v_add_f64 v[41:42], v[43:44], v[39:40]
	s_delay_alu instid0(VALU_DEP_3) | instskip(NEXT) | instid1(VALU_DEP_3)
	v_mul_f64 v[47:48], v[45:46], s[18:19]
	v_ldexp_f64 v[35:36], v[35:36], 1
	s_delay_alu instid0(VALU_DEP_3) | instskip(NEXT) | instid1(VALU_DEP_3)
	v_add_f64 v[37:38], v[41:42], -v[43:44]
	v_fma_f64 v[43:44], v[45:46], s[18:19], -v[47:48]
	s_delay_alu instid0(VALU_DEP_2) | instskip(NEXT) | instid1(VALU_DEP_2)
	v_add_f64 v[37:38], v[39:40], -v[37:38]
	v_fma_f64 v[39:40], v[45:46], s[20:21], v[43:44]
	s_delay_alu instid0(VALU_DEP_2) | instskip(NEXT) | instid1(VALU_DEP_2)
	v_add_f64 v[35:36], v[35:36], v[37:38]
	v_add_f64 v[37:38], v[47:48], v[39:40]
	s_delay_alu instid0(VALU_DEP_2) | instskip(NEXT) | instid1(VALU_DEP_2)
	v_add_f64 v[43:44], v[41:42], v[35:36]
	v_add_f64 v[47:48], v[37:38], -v[47:48]
	s_delay_alu instid0(VALU_DEP_2) | instskip(SKIP_1) | instid1(VALU_DEP_3)
	v_add_f64 v[45:46], v[37:38], v[43:44]
	v_add_f64 v[41:42], v[43:44], -v[41:42]
	v_add_f64 v[39:40], v[39:40], -v[47:48]
	s_delay_alu instid0(VALU_DEP_3) | instskip(NEXT) | instid1(VALU_DEP_3)
	v_add_f64 v[49:50], v[45:46], -v[37:38]
	v_add_f64 v[35:36], v[35:36], -v[41:42]
	s_delay_alu instid0(VALU_DEP_2) | instskip(SKIP_1) | instid1(VALU_DEP_3)
	v_add_f64 v[51:52], v[45:46], -v[49:50]
	v_add_f64 v[41:42], v[43:44], -v[49:50]
	v_add_f64 v[43:44], v[39:40], v[35:36]
	s_delay_alu instid0(VALU_DEP_3) | instskip(NEXT) | instid1(VALU_DEP_1)
	v_add_f64 v[37:38], v[37:38], -v[51:52]
	v_add_f64 v[37:38], v[41:42], v[37:38]
	s_delay_alu instid0(VALU_DEP_3) | instskip(NEXT) | instid1(VALU_DEP_2)
	v_add_f64 v[41:42], v[43:44], -v[39:40]
	v_add_f64 v[37:38], v[43:44], v[37:38]
	s_delay_alu instid0(VALU_DEP_2) | instskip(SKIP_1) | instid1(VALU_DEP_3)
	v_add_f64 v[43:44], v[43:44], -v[41:42]
	v_add_f64 v[35:36], v[35:36], -v[41:42]
	v_add_f64 v[47:48], v[45:46], v[37:38]
	s_delay_alu instid0(VALU_DEP_3) | instskip(NEXT) | instid1(VALU_DEP_2)
	v_add_f64 v[39:40], v[39:40], -v[43:44]
	v_add_f64 v[41:42], v[47:48], -v[45:46]
	s_delay_alu instid0(VALU_DEP_2) | instskip(NEXT) | instid1(VALU_DEP_2)
	v_add_f64 v[35:36], v[35:36], v[39:40]
	v_add_f64 v[37:38], v[37:38], -v[41:42]
	s_delay_alu instid0(VALU_DEP_1) | instskip(NEXT) | instid1(VALU_DEP_1)
	v_add_f64 v[35:36], v[35:36], v[37:38]
	v_add_f64 v[35:36], v[47:48], v[35:36]
	s_delay_alu instid0(VALU_DEP_1) | instskip(NEXT) | instid1(VALU_DEP_2)
	v_cndmask_b32_e64 v0, v35, v5, s0
	v_cndmask_b32_e64 v35, v36, v6, s0
	v_cmp_ngt_f64_e64 s0, -1.0, v[5:6]
	s_delay_alu instid0(VALU_DEP_1) | instskip(SKIP_1) | instid1(VALU_DEP_1)
	v_cndmask_b32_e64 v36, 0x7ff80000, v35, s0
	v_cmp_nge_f64_e64 s0, -1.0, v[5:6]
	v_cndmask_b32_e64 v35, 0, v0, s0
	v_cmp_neq_f64_e64 s0, -1.0, v[5:6]
	s_delay_alu instid0(VALU_DEP_1) | instskip(NEXT) | instid1(VALU_DEP_1)
	v_cndmask_b32_e64 v36, 0xfff00000, v36, s0
	v_add_f64 v[5:6], v[33:34], v[35:36]
.LBB46_134:
	s_or_b32 exec_lo, exec_lo, s17
	s_delay_alu instid0(VALU_DEP_1) | instskip(SKIP_1) | instid1(VALU_DEP_2)
	v_max_f64 v[33:34], v[5:6], v[5:6]
	v_cmp_u_f64_e64 s0, v[5:6], v[5:6]
	v_min_f64 v[35:36], v[33:34], v[61:62]
	v_max_f64 v[33:34], v[33:34], v[61:62]
	s_delay_alu instid0(VALU_DEP_2) | instskip(NEXT) | instid1(VALU_DEP_3)
	v_cndmask_b32_e64 v0, v35, v5, s0
	v_cndmask_b32_e64 v35, v36, v6, s0
	s_delay_alu instid0(VALU_DEP_3) | instskip(NEXT) | instid1(VALU_DEP_4)
	v_cndmask_b32_e64 v34, v34, v6, s0
	v_cndmask_b32_e64 v33, v33, v5, s0
	s_delay_alu instid0(VALU_DEP_3) | instskip(SKIP_1) | instid1(VALU_DEP_4)
	v_cndmask_b32_e64 v36, v35, v8, s31
	v_cndmask_b32_e64 v35, v0, v7, s31
	;; [unrolled: 1-line block ×3, first 2 shown]
	s_delay_alu instid0(VALU_DEP_4) | instskip(SKIP_1) | instid1(VALU_DEP_4)
	v_cndmask_b32_e64 v7, v33, v7, s31
	v_dual_mov_b32 v34, v6 :: v_dual_mov_b32 v33, v5
	v_cmp_class_f64_e64 s1, v[35:36], 0x1f8
	s_delay_alu instid0(VALU_DEP_3) | instskip(NEXT) | instid1(VALU_DEP_1)
	v_cmp_neq_f64_e64 s0, v[35:36], v[7:8]
	s_or_b32 s0, s0, s1
	s_delay_alu instid0(SALU_CYCLE_1)
	s_and_saveexec_b32 s17, s0
	s_cbranch_execz .LBB46_136
; %bb.135:
	v_add_f64 v[33:34], v[35:36], -v[7:8]
	s_mov_b32 s0, 0x652b82fe
	s_mov_b32 s1, 0x3ff71547
	;; [unrolled: 1-line block ×10, first 2 shown]
	s_delay_alu instid0(VALU_DEP_1) | instskip(SKIP_2) | instid1(VALU_DEP_1)
	v_mul_f64 v[35:36], v[33:34], s[0:1]
	s_mov_b32 s0, 0xfca7ab0c
	s_mov_b32 s1, 0x3e928af3
	v_rndne_f64_e32 v[35:36], v[35:36]
	s_delay_alu instid0(VALU_DEP_1) | instskip(SKIP_2) | instid1(VALU_DEP_2)
	v_fma_f64 v[37:38], v[35:36], s[18:19], v[33:34]
	v_cvt_i32_f64_e32 v0, v[35:36]
	s_mov_b32 s19, 0x3fe62e42
	v_fma_f64 v[37:38], v[35:36], s[20:21], v[37:38]
	s_mov_b32 s21, 0x3c7abc9e
	s_delay_alu instid0(VALU_DEP_1) | instskip(SKIP_4) | instid1(VALU_DEP_1)
	v_fma_f64 v[39:40], v[37:38], s[22:23], s[0:1]
	s_mov_b32 s0, 0x623fde64
	s_mov_b32 s1, 0x3ec71dee
	;; [unrolled: 1-line block ×4, first 2 shown]
	v_fma_f64 v[39:40], v[37:38], v[39:40], s[0:1]
	s_mov_b32 s0, 0x7c89e6b0
	s_mov_b32 s1, 0x3efa0199
	s_delay_alu instid0(VALU_DEP_1) | instid1(SALU_CYCLE_1)
	v_fma_f64 v[39:40], v[37:38], v[39:40], s[0:1]
	s_mov_b32 s0, 0x14761f6e
	s_mov_b32 s1, 0x3f2a01a0
	s_delay_alu instid0(VALU_DEP_1) | instid1(SALU_CYCLE_1)
	;; [unrolled: 4-line block ×7, first 2 shown]
	v_fma_f64 v[39:40], v[37:38], v[39:40], s[0:1]
	v_cmp_nlt_f64_e64 s0, 0x40900000, v[33:34]
	v_cmp_ngt_f64_e64 s1, 0xc090cc00, v[33:34]
	s_delay_alu instid0(VALU_DEP_3) | instskip(NEXT) | instid1(VALU_DEP_1)
	v_fma_f64 v[39:40], v[37:38], v[39:40], 1.0
	v_fma_f64 v[35:36], v[37:38], v[39:40], 1.0
	s_delay_alu instid0(VALU_DEP_1) | instskip(NEXT) | instid1(VALU_DEP_1)
	v_ldexp_f64 v[35:36], v[35:36], v0
	v_cndmask_b32_e64 v0, 0x7ff00000, v36, s0
	s_and_b32 s0, s1, s0
	s_delay_alu instid0(VALU_DEP_2) | instid1(SALU_CYCLE_1)
	v_cndmask_b32_e64 v33, 0, v35, s0
	s_mov_b32 s0, 0x55555555
	s_delay_alu instid0(VALU_DEP_2) | instskip(SKIP_1) | instid1(VALU_DEP_1)
	v_cndmask_b32_e64 v34, 0, v0, s1
	s_mov_b32 s1, 0x3fe55555
	v_add_f64 v[35:36], v[33:34], 1.0
	s_delay_alu instid0(VALU_DEP_1) | instskip(SKIP_2) | instid1(VALU_DEP_3)
	v_frexp_mant_f64_e32 v[37:38], v[35:36]
	v_frexp_exp_i32_f64_e32 v0, v[35:36]
	v_add_f64 v[39:40], v[35:36], -1.0
	v_cmp_gt_f64_e64 s0, s[0:1], v[37:38]
	s_delay_alu instid0(VALU_DEP_2) | instskip(SKIP_1) | instid1(VALU_DEP_3)
	v_add_f64 v[37:38], v[39:40], -v[35:36]
	v_add_f64 v[39:40], v[33:34], -v[39:40]
	v_subrev_co_ci_u32_e64 v0, s0, 0, v0, s0
	s_delay_alu instid0(VALU_DEP_3) | instskip(SKIP_1) | instid1(VALU_DEP_2)
	v_add_f64 v[37:38], v[37:38], 1.0
	s_mov_b32 s0, 0x55555780
	v_sub_nc_u32_e32 v43, 0, v0
	s_delay_alu instid0(VALU_DEP_1) | instskip(NEXT) | instid1(VALU_DEP_3)
	v_ldexp_f64 v[35:36], v[35:36], v43
	v_add_f64 v[37:38], v[39:40], v[37:38]
	s_delay_alu instid0(VALU_DEP_2) | instskip(SKIP_1) | instid1(VALU_DEP_3)
	v_add_f64 v[41:42], v[35:36], 1.0
	v_add_f64 v[47:48], v[35:36], -1.0
	v_ldexp_f64 v[37:38], v[37:38], v43
	s_delay_alu instid0(VALU_DEP_3) | instskip(NEXT) | instid1(VALU_DEP_3)
	v_add_f64 v[39:40], v[41:42], -1.0
	v_add_f64 v[49:50], v[47:48], 1.0
	s_delay_alu instid0(VALU_DEP_2) | instskip(NEXT) | instid1(VALU_DEP_2)
	v_add_f64 v[39:40], v[35:36], -v[39:40]
	v_add_f64 v[35:36], v[35:36], -v[49:50]
	s_delay_alu instid0(VALU_DEP_2) | instskip(NEXT) | instid1(VALU_DEP_2)
	v_add_f64 v[39:40], v[37:38], v[39:40]
	v_add_f64 v[35:36], v[37:38], v[35:36]
	s_delay_alu instid0(VALU_DEP_2) | instskip(NEXT) | instid1(VALU_DEP_2)
	v_add_f64 v[43:44], v[41:42], v[39:40]
	v_add_f64 v[49:50], v[47:48], v[35:36]
	s_delay_alu instid0(VALU_DEP_2) | instskip(SKIP_1) | instid1(VALU_DEP_2)
	v_rcp_f64_e32 v[45:46], v[43:44]
	v_add_f64 v[41:42], v[43:44], -v[41:42]
	v_add_f64 v[47:48], v[49:50], -v[47:48]
	s_delay_alu instid0(VALU_DEP_2) | instskip(SKIP_3) | instid1(VALU_DEP_2)
	v_add_f64 v[39:40], v[39:40], -v[41:42]
	s_waitcnt_depctr 0xfff
	v_fma_f64 v[51:52], -v[43:44], v[45:46], 1.0
	v_add_f64 v[35:36], v[35:36], -v[47:48]
	v_fma_f64 v[45:46], v[51:52], v[45:46], v[45:46]
	s_delay_alu instid0(VALU_DEP_1) | instskip(NEXT) | instid1(VALU_DEP_1)
	v_fma_f64 v[37:38], -v[43:44], v[45:46], 1.0
	v_fma_f64 v[37:38], v[37:38], v[45:46], v[45:46]
	s_delay_alu instid0(VALU_DEP_1) | instskip(NEXT) | instid1(VALU_DEP_1)
	v_mul_f64 v[45:46], v[49:50], v[37:38]
	v_mul_f64 v[51:52], v[43:44], v[45:46]
	s_delay_alu instid0(VALU_DEP_1) | instskip(NEXT) | instid1(VALU_DEP_1)
	v_fma_f64 v[41:42], v[45:46], v[43:44], -v[51:52]
	v_fma_f64 v[41:42], v[45:46], v[39:40], v[41:42]
	s_delay_alu instid0(VALU_DEP_1) | instskip(NEXT) | instid1(VALU_DEP_1)
	v_add_f64 v[53:54], v[51:52], v[41:42]
	v_add_f64 v[55:56], v[49:50], -v[53:54]
	v_add_f64 v[47:48], v[53:54], -v[51:52]
	s_delay_alu instid0(VALU_DEP_2) | instskip(NEXT) | instid1(VALU_DEP_2)
	v_add_f64 v[49:50], v[49:50], -v[55:56]
	v_add_f64 v[41:42], v[47:48], -v[41:42]
	s_delay_alu instid0(VALU_DEP_2) | instskip(NEXT) | instid1(VALU_DEP_1)
	v_add_f64 v[49:50], v[49:50], -v[53:54]
	v_add_f64 v[35:36], v[35:36], v[49:50]
	s_delay_alu instid0(VALU_DEP_1) | instskip(NEXT) | instid1(VALU_DEP_1)
	v_add_f64 v[35:36], v[41:42], v[35:36]
	v_add_f64 v[41:42], v[55:56], v[35:36]
	s_delay_alu instid0(VALU_DEP_1) | instskip(SKIP_1) | instid1(VALU_DEP_2)
	v_mul_f64 v[47:48], v[37:38], v[41:42]
	v_add_f64 v[53:54], v[55:56], -v[41:42]
	v_mul_f64 v[49:50], v[43:44], v[47:48]
	s_delay_alu instid0(VALU_DEP_2) | instskip(NEXT) | instid1(VALU_DEP_2)
	v_add_f64 v[35:36], v[35:36], v[53:54]
	v_fma_f64 v[43:44], v[47:48], v[43:44], -v[49:50]
	s_delay_alu instid0(VALU_DEP_1) | instskip(NEXT) | instid1(VALU_DEP_1)
	v_fma_f64 v[39:40], v[47:48], v[39:40], v[43:44]
	v_add_f64 v[43:44], v[49:50], v[39:40]
	s_delay_alu instid0(VALU_DEP_1) | instskip(SKIP_1) | instid1(VALU_DEP_2)
	v_add_f64 v[51:52], v[41:42], -v[43:44]
	v_add_f64 v[49:50], v[43:44], -v[49:50]
	v_add_f64 v[41:42], v[41:42], -v[51:52]
	s_delay_alu instid0(VALU_DEP_2) | instskip(NEXT) | instid1(VALU_DEP_2)
	v_add_f64 v[39:40], v[49:50], -v[39:40]
	v_add_f64 v[41:42], v[41:42], -v[43:44]
	s_delay_alu instid0(VALU_DEP_1) | instskip(SKIP_1) | instid1(VALU_DEP_2)
	v_add_f64 v[35:36], v[35:36], v[41:42]
	v_add_f64 v[41:42], v[45:46], v[47:48]
	;; [unrolled: 1-line block ×3, first 2 shown]
	s_delay_alu instid0(VALU_DEP_2) | instskip(NEXT) | instid1(VALU_DEP_2)
	v_add_f64 v[39:40], v[41:42], -v[45:46]
	v_add_f64 v[35:36], v[51:52], v[35:36]
	s_delay_alu instid0(VALU_DEP_2) | instskip(NEXT) | instid1(VALU_DEP_2)
	v_add_f64 v[39:40], v[47:48], -v[39:40]
	v_mul_f64 v[35:36], v[37:38], v[35:36]
	s_delay_alu instid0(VALU_DEP_1) | instskip(NEXT) | instid1(VALU_DEP_1)
	v_add_f64 v[35:36], v[39:40], v[35:36]
	v_add_f64 v[37:38], v[41:42], v[35:36]
	s_delay_alu instid0(VALU_DEP_1) | instskip(NEXT) | instid1(VALU_DEP_1)
	v_mul_f64 v[39:40], v[37:38], v[37:38]
	v_fma_f64 v[43:44], v[39:40], s[24:25], s[22:23]
	s_mov_b32 s22, 0xd7f4df2e
	s_mov_b32 s23, 0x3fc7474d
	v_mul_f64 v[45:46], v[37:38], v[39:40]
	s_delay_alu instid0(VALU_DEP_2)
	v_fma_f64 v[43:44], v[39:40], v[43:44], s[22:23]
	s_mov_b32 s22, 0x16291751
	s_mov_b32 s23, 0x3fcc71c0
	s_delay_alu instid0(VALU_DEP_1) | instid1(SALU_CYCLE_1)
	v_fma_f64 v[43:44], v[39:40], v[43:44], s[22:23]
	s_mov_b32 s22, 0x9b27acf1
	s_mov_b32 s23, 0x3fd24924
	s_delay_alu instid0(VALU_DEP_1) | instid1(SALU_CYCLE_1)
	;; [unrolled: 4-line block ×3, first 2 shown]
	v_fma_f64 v[43:44], v[39:40], v[43:44], s[22:23]
	s_delay_alu instid0(VALU_DEP_1) | instskip(SKIP_3) | instid1(VALU_DEP_4)
	v_fma_f64 v[39:40], v[39:40], v[43:44], s[0:1]
	v_ldexp_f64 v[43:44], v[37:38], 1
	v_add_f64 v[37:38], v[37:38], -v[41:42]
	v_cmp_eq_f64_e64 s0, 0x7ff00000, v[33:34]
	v_mul_f64 v[39:40], v[45:46], v[39:40]
	v_cvt_f64_i32_e32 v[45:46], v0
	s_delay_alu instid0(VALU_DEP_4) | instskip(NEXT) | instid1(VALU_DEP_3)
	v_add_f64 v[35:36], v[35:36], -v[37:38]
	v_add_f64 v[41:42], v[43:44], v[39:40]
	s_delay_alu instid0(VALU_DEP_3) | instskip(NEXT) | instid1(VALU_DEP_3)
	v_mul_f64 v[47:48], v[45:46], s[18:19]
	v_ldexp_f64 v[35:36], v[35:36], 1
	s_delay_alu instid0(VALU_DEP_3) | instskip(NEXT) | instid1(VALU_DEP_3)
	v_add_f64 v[37:38], v[41:42], -v[43:44]
	v_fma_f64 v[43:44], v[45:46], s[18:19], -v[47:48]
	s_delay_alu instid0(VALU_DEP_2) | instskip(NEXT) | instid1(VALU_DEP_2)
	v_add_f64 v[37:38], v[39:40], -v[37:38]
	v_fma_f64 v[39:40], v[45:46], s[20:21], v[43:44]
	s_delay_alu instid0(VALU_DEP_2) | instskip(NEXT) | instid1(VALU_DEP_2)
	v_add_f64 v[35:36], v[35:36], v[37:38]
	v_add_f64 v[37:38], v[47:48], v[39:40]
	s_delay_alu instid0(VALU_DEP_2) | instskip(NEXT) | instid1(VALU_DEP_2)
	v_add_f64 v[43:44], v[41:42], v[35:36]
	v_add_f64 v[47:48], v[37:38], -v[47:48]
	s_delay_alu instid0(VALU_DEP_2) | instskip(SKIP_1) | instid1(VALU_DEP_3)
	v_add_f64 v[45:46], v[37:38], v[43:44]
	v_add_f64 v[41:42], v[43:44], -v[41:42]
	v_add_f64 v[39:40], v[39:40], -v[47:48]
	s_delay_alu instid0(VALU_DEP_3) | instskip(NEXT) | instid1(VALU_DEP_3)
	v_add_f64 v[49:50], v[45:46], -v[37:38]
	v_add_f64 v[35:36], v[35:36], -v[41:42]
	s_delay_alu instid0(VALU_DEP_2) | instskip(SKIP_1) | instid1(VALU_DEP_3)
	v_add_f64 v[51:52], v[45:46], -v[49:50]
	v_add_f64 v[41:42], v[43:44], -v[49:50]
	v_add_f64 v[43:44], v[39:40], v[35:36]
	s_delay_alu instid0(VALU_DEP_3) | instskip(NEXT) | instid1(VALU_DEP_1)
	v_add_f64 v[37:38], v[37:38], -v[51:52]
	v_add_f64 v[37:38], v[41:42], v[37:38]
	s_delay_alu instid0(VALU_DEP_3) | instskip(NEXT) | instid1(VALU_DEP_2)
	v_add_f64 v[41:42], v[43:44], -v[39:40]
	v_add_f64 v[37:38], v[43:44], v[37:38]
	s_delay_alu instid0(VALU_DEP_2) | instskip(SKIP_1) | instid1(VALU_DEP_3)
	v_add_f64 v[43:44], v[43:44], -v[41:42]
	v_add_f64 v[35:36], v[35:36], -v[41:42]
	v_add_f64 v[47:48], v[45:46], v[37:38]
	s_delay_alu instid0(VALU_DEP_3) | instskip(NEXT) | instid1(VALU_DEP_2)
	v_add_f64 v[39:40], v[39:40], -v[43:44]
	v_add_f64 v[41:42], v[47:48], -v[45:46]
	s_delay_alu instid0(VALU_DEP_2) | instskip(NEXT) | instid1(VALU_DEP_2)
	v_add_f64 v[35:36], v[35:36], v[39:40]
	v_add_f64 v[37:38], v[37:38], -v[41:42]
	s_delay_alu instid0(VALU_DEP_1) | instskip(NEXT) | instid1(VALU_DEP_1)
	v_add_f64 v[35:36], v[35:36], v[37:38]
	v_add_f64 v[35:36], v[47:48], v[35:36]
	s_delay_alu instid0(VALU_DEP_1) | instskip(NEXT) | instid1(VALU_DEP_2)
	v_cndmask_b32_e64 v0, v35, v33, s0
	v_cndmask_b32_e64 v35, v36, v34, s0
	v_cmp_ngt_f64_e64 s0, -1.0, v[33:34]
	s_delay_alu instid0(VALU_DEP_1) | instskip(SKIP_1) | instid1(VALU_DEP_1)
	v_cndmask_b32_e64 v36, 0x7ff80000, v35, s0
	v_cmp_nge_f64_e64 s0, -1.0, v[33:34]
	v_cndmask_b32_e64 v35, 0, v0, s0
	v_cmp_neq_f64_e64 s0, -1.0, v[33:34]
	s_delay_alu instid0(VALU_DEP_1) | instskip(NEXT) | instid1(VALU_DEP_1)
	v_cndmask_b32_e64 v36, 0xfff00000, v36, s0
	v_add_f64 v[33:34], v[7:8], v[35:36]
.LBB46_136:
	s_or_b32 exec_lo, exec_lo, s17
	s_waitcnt lgkmcnt(0)
	s_barrier
	buffer_gl0_inv
	ds_store_2addr_b64 v94, v[1:2], v[3:4] offset1:1
	ds_store_2addr_b64 v94, v[29:30], v[31:32] offset0:2 offset1:3
	ds_store_2addr_b64 v94, v[25:26], v[27:28] offset0:4 offset1:5
	;; [unrolled: 1-line block ×7, first 2 shown]
	s_waitcnt lgkmcnt(0)
	s_barrier
	buffer_gl0_inv
	ds_load_b64 v[30:31], v79 offset:2048
	ds_load_b64 v[28:29], v80 offset:4096
	;; [unrolled: 1-line block ×15, first 2 shown]
	v_add_co_u32 v2, s0, s34, v77
	s_delay_alu instid0(VALU_DEP_1)
	v_add_co_ci_u32_e64 v3, null, s35, 0, s0
	s_and_saveexec_b32 s0, vcc_lo
	s_cbranch_execnz .LBB46_153
; %bb.137:
	s_or_b32 exec_lo, exec_lo, s0
	s_and_saveexec_b32 s0, s2
	s_cbranch_execnz .LBB46_154
.LBB46_138:
	s_or_b32 exec_lo, exec_lo, s0
	s_and_saveexec_b32 s0, s3
	s_cbranch_execnz .LBB46_155
.LBB46_139:
	s_or_b32 exec_lo, exec_lo, s0
	s_and_saveexec_b32 s0, s4
	s_cbranch_execnz .LBB46_156
.LBB46_140:
	s_or_b32 exec_lo, exec_lo, s0
	s_and_saveexec_b32 s0, s5
	s_cbranch_execnz .LBB46_157
.LBB46_141:
	s_or_b32 exec_lo, exec_lo, s0
	s_and_saveexec_b32 s0, s6
	s_cbranch_execnz .LBB46_158
.LBB46_142:
	s_or_b32 exec_lo, exec_lo, s0
	s_and_saveexec_b32 s0, s7
	s_cbranch_execnz .LBB46_159
.LBB46_143:
	s_or_b32 exec_lo, exec_lo, s0
	s_and_saveexec_b32 s0, s8
	s_cbranch_execnz .LBB46_160
.LBB46_144:
	s_or_b32 exec_lo, exec_lo, s0
	s_and_saveexec_b32 s0, s9
	s_cbranch_execnz .LBB46_161
.LBB46_145:
	s_or_b32 exec_lo, exec_lo, s0
	s_and_saveexec_b32 s0, s10
	s_cbranch_execnz .LBB46_162
.LBB46_146:
	s_or_b32 exec_lo, exec_lo, s0
	s_and_saveexec_b32 s0, s11
	s_cbranch_execnz .LBB46_163
.LBB46_147:
	s_or_b32 exec_lo, exec_lo, s0
	s_and_saveexec_b32 s0, s12
	s_cbranch_execnz .LBB46_164
.LBB46_148:
	s_or_b32 exec_lo, exec_lo, s0
	s_and_saveexec_b32 s0, s13
	s_cbranch_execnz .LBB46_165
.LBB46_149:
	s_or_b32 exec_lo, exec_lo, s0
	s_and_saveexec_b32 s0, s14
	s_cbranch_execnz .LBB46_166
.LBB46_150:
	s_or_b32 exec_lo, exec_lo, s0
	s_and_saveexec_b32 s0, s15
	s_cbranch_execnz .LBB46_167
.LBB46_151:
	s_or_b32 exec_lo, exec_lo, s0
	s_and_saveexec_b32 s0, s16
	s_cbranch_execnz .LBB46_168
.LBB46_152:
	s_nop 0
	s_sendmsg sendmsg(MSG_DEALLOC_VGPRS)
	s_endpgm
.LBB46_153:
	ds_load_b64 v[32:33], v78
	s_waitcnt lgkmcnt(0)
	global_store_b64 v[2:3], v[32:33], off
	s_or_b32 exec_lo, exec_lo, s0
	s_and_saveexec_b32 s0, s2
	s_cbranch_execz .LBB46_138
.LBB46_154:
	s_waitcnt lgkmcnt(14)
	global_store_b64 v[2:3], v[30:31], off offset:2048
	s_or_b32 exec_lo, exec_lo, s0
	s_and_saveexec_b32 s0, s3
	s_cbranch_execz .LBB46_139
.LBB46_155:
	s_waitcnt lgkmcnt(14)
	v_add_co_u32 v30, vcc_lo, 0x1000, v2
	v_add_co_ci_u32_e32 v31, vcc_lo, 0, v3, vcc_lo
	s_waitcnt lgkmcnt(13)
	global_store_b64 v[30:31], v[28:29], off
	s_or_b32 exec_lo, exec_lo, s0
	s_and_saveexec_b32 s0, s4
	s_cbranch_execz .LBB46_140
.LBB46_156:
	s_waitcnt lgkmcnt(13)
	v_add_co_u32 v28, vcc_lo, 0x1000, v2
	v_add_co_ci_u32_e32 v29, vcc_lo, 0, v3, vcc_lo
	s_waitcnt lgkmcnt(12)
	global_store_b64 v[28:29], v[26:27], off offset:2048
	s_or_b32 exec_lo, exec_lo, s0
	s_and_saveexec_b32 s0, s5
	s_cbranch_execz .LBB46_141
.LBB46_157:
	s_waitcnt lgkmcnt(12)
	v_add_co_u32 v26, vcc_lo, 0x2000, v2
	v_add_co_ci_u32_e32 v27, vcc_lo, 0, v3, vcc_lo
	s_waitcnt lgkmcnt(11)
	global_store_b64 v[26:27], v[24:25], off
	s_or_b32 exec_lo, exec_lo, s0
	s_and_saveexec_b32 s0, s6
	s_cbranch_execz .LBB46_142
.LBB46_158:
	s_waitcnt lgkmcnt(11)
	v_add_co_u32 v24, vcc_lo, 0x2000, v2
	v_add_co_ci_u32_e32 v25, vcc_lo, 0, v3, vcc_lo
	s_waitcnt lgkmcnt(10)
	global_store_b64 v[24:25], v[22:23], off offset:2048
	s_or_b32 exec_lo, exec_lo, s0
	s_and_saveexec_b32 s0, s7
	s_cbranch_execz .LBB46_143
.LBB46_159:
	s_waitcnt lgkmcnt(10)
	v_add_co_u32 v22, vcc_lo, 0x3000, v2
	v_add_co_ci_u32_e32 v23, vcc_lo, 0, v3, vcc_lo
	s_waitcnt lgkmcnt(9)
	global_store_b64 v[22:23], v[20:21], off
	s_or_b32 exec_lo, exec_lo, s0
	s_and_saveexec_b32 s0, s8
	s_cbranch_execz .LBB46_144
.LBB46_160:
	s_waitcnt lgkmcnt(9)
	v_add_co_u32 v20, vcc_lo, 0x3000, v2
	v_add_co_ci_u32_e32 v21, vcc_lo, 0, v3, vcc_lo
	s_waitcnt lgkmcnt(8)
	global_store_b64 v[20:21], v[18:19], off offset:2048
	s_or_b32 exec_lo, exec_lo, s0
	s_and_saveexec_b32 s0, s9
	s_cbranch_execz .LBB46_145
.LBB46_161:
	s_waitcnt lgkmcnt(8)
	v_add_co_u32 v18, vcc_lo, 0x4000, v2
	v_add_co_ci_u32_e32 v19, vcc_lo, 0, v3, vcc_lo
	s_waitcnt lgkmcnt(7)
	global_store_b64 v[18:19], v[16:17], off
	s_or_b32 exec_lo, exec_lo, s0
	s_and_saveexec_b32 s0, s10
	s_cbranch_execz .LBB46_146
.LBB46_162:
	s_waitcnt lgkmcnt(7)
	v_add_co_u32 v16, vcc_lo, 0x4000, v2
	v_add_co_ci_u32_e32 v17, vcc_lo, 0, v3, vcc_lo
	s_waitcnt lgkmcnt(6)
	global_store_b64 v[16:17], v[14:15], off offset:2048
	s_or_b32 exec_lo, exec_lo, s0
	s_and_saveexec_b32 s0, s11
	s_cbranch_execz .LBB46_147
.LBB46_163:
	s_waitcnt lgkmcnt(6)
	v_add_co_u32 v14, vcc_lo, 0x5000, v2
	v_add_co_ci_u32_e32 v15, vcc_lo, 0, v3, vcc_lo
	s_waitcnt lgkmcnt(5)
	global_store_b64 v[14:15], v[12:13], off
	s_or_b32 exec_lo, exec_lo, s0
	s_and_saveexec_b32 s0, s12
	s_cbranch_execz .LBB46_148
.LBB46_164:
	s_waitcnt lgkmcnt(5)
	v_add_co_u32 v12, vcc_lo, 0x5000, v2
	v_add_co_ci_u32_e32 v13, vcc_lo, 0, v3, vcc_lo
	s_waitcnt lgkmcnt(4)
	global_store_b64 v[12:13], v[10:11], off offset:2048
	s_or_b32 exec_lo, exec_lo, s0
	s_and_saveexec_b32 s0, s13
	s_cbranch_execz .LBB46_149
.LBB46_165:
	s_waitcnt lgkmcnt(4)
	v_add_co_u32 v10, vcc_lo, 0x6000, v2
	v_add_co_ci_u32_e32 v11, vcc_lo, 0, v3, vcc_lo
	s_waitcnt lgkmcnt(3)
	global_store_b64 v[10:11], v[8:9], off
	s_or_b32 exec_lo, exec_lo, s0
	s_and_saveexec_b32 s0, s14
	s_cbranch_execz .LBB46_150
.LBB46_166:
	s_waitcnt lgkmcnt(3)
	v_add_co_u32 v8, vcc_lo, 0x6000, v2
	v_add_co_ci_u32_e32 v9, vcc_lo, 0, v3, vcc_lo
	s_waitcnt lgkmcnt(2)
	global_store_b64 v[8:9], v[6:7], off offset:2048
	s_or_b32 exec_lo, exec_lo, s0
	s_and_saveexec_b32 s0, s15
	s_cbranch_execz .LBB46_151
.LBB46_167:
	s_waitcnt lgkmcnt(2)
	v_add_co_u32 v6, vcc_lo, 0x7000, v2
	v_add_co_ci_u32_e32 v7, vcc_lo, 0, v3, vcc_lo
	s_waitcnt lgkmcnt(1)
	global_store_b64 v[6:7], v[4:5], off
	s_or_b32 exec_lo, exec_lo, s0
	s_and_saveexec_b32 s0, s16
	s_cbranch_execz .LBB46_152
.LBB46_168:
	v_add_co_u32 v2, vcc_lo, 0x7000, v2
	v_add_co_ci_u32_e32 v3, vcc_lo, 0, v3, vcc_lo
	s_waitcnt lgkmcnt(0)
	global_store_b64 v[2:3], v[0:1], off offset:2048
	s_nop 0
	s_sendmsg sendmsg(MSG_DEALLOC_VGPRS)
	s_endpgm
	.section	.rodata,"a",@progbits
	.p2align	6, 0x0
	.amdhsa_kernel _ZN7rocprim17ROCPRIM_400000_NS6detail17trampoline_kernelINS0_14default_configENS1_20scan_config_selectorIdEEZZNS1_9scan_implILNS1_25lookback_scan_determinismE0ELb0ELb0ES3_PKdPddZZZN2at6native31launch_logcumsumexp_cuda_kernelERKNSB_10TensorBaseESF_lENKUlvE_clEvENKUlvE_clEvEUlddE_dEEDaPvRmT3_T4_T5_mT6_P12ihipStream_tbENKUlT_T0_E_clISt17integral_constantIbLb1EESW_EEDaSR_SS_EUlSR_E0_NS1_11comp_targetILNS1_3genE9ELNS1_11target_archE1100ELNS1_3gpuE3ELNS1_3repE0EEENS1_30default_config_static_selectorELNS0_4arch9wavefront6targetE0EEEvT1_
		.amdhsa_group_segment_fixed_size 33792
		.amdhsa_private_segment_fixed_size 0
		.amdhsa_kernarg_size 40
		.amdhsa_user_sgpr_count 15
		.amdhsa_user_sgpr_dispatch_ptr 0
		.amdhsa_user_sgpr_queue_ptr 0
		.amdhsa_user_sgpr_kernarg_segment_ptr 1
		.amdhsa_user_sgpr_dispatch_id 0
		.amdhsa_user_sgpr_private_segment_size 0
		.amdhsa_wavefront_size32 1
		.amdhsa_uses_dynamic_stack 0
		.amdhsa_enable_private_segment 0
		.amdhsa_system_sgpr_workgroup_id_x 1
		.amdhsa_system_sgpr_workgroup_id_y 0
		.amdhsa_system_sgpr_workgroup_id_z 0
		.amdhsa_system_sgpr_workgroup_info 0
		.amdhsa_system_vgpr_workitem_id 0
		.amdhsa_next_free_vgpr 119
		.amdhsa_next_free_sgpr 48
		.amdhsa_reserve_vcc 1
		.amdhsa_float_round_mode_32 0
		.amdhsa_float_round_mode_16_64 0
		.amdhsa_float_denorm_mode_32 3
		.amdhsa_float_denorm_mode_16_64 3
		.amdhsa_dx10_clamp 1
		.amdhsa_ieee_mode 1
		.amdhsa_fp16_overflow 0
		.amdhsa_workgroup_processor_mode 1
		.amdhsa_memory_ordered 1
		.amdhsa_forward_progress 0
		.amdhsa_shared_vgpr_count 0
		.amdhsa_exception_fp_ieee_invalid_op 0
		.amdhsa_exception_fp_denorm_src 0
		.amdhsa_exception_fp_ieee_div_zero 0
		.amdhsa_exception_fp_ieee_overflow 0
		.amdhsa_exception_fp_ieee_underflow 0
		.amdhsa_exception_fp_ieee_inexact 0
		.amdhsa_exception_int_div_zero 0
	.end_amdhsa_kernel
	.section	.text._ZN7rocprim17ROCPRIM_400000_NS6detail17trampoline_kernelINS0_14default_configENS1_20scan_config_selectorIdEEZZNS1_9scan_implILNS1_25lookback_scan_determinismE0ELb0ELb0ES3_PKdPddZZZN2at6native31launch_logcumsumexp_cuda_kernelERKNSB_10TensorBaseESF_lENKUlvE_clEvENKUlvE_clEvEUlddE_dEEDaPvRmT3_T4_T5_mT6_P12ihipStream_tbENKUlT_T0_E_clISt17integral_constantIbLb1EESW_EEDaSR_SS_EUlSR_E0_NS1_11comp_targetILNS1_3genE9ELNS1_11target_archE1100ELNS1_3gpuE3ELNS1_3repE0EEENS1_30default_config_static_selectorELNS0_4arch9wavefront6targetE0EEEvT1_,"axG",@progbits,_ZN7rocprim17ROCPRIM_400000_NS6detail17trampoline_kernelINS0_14default_configENS1_20scan_config_selectorIdEEZZNS1_9scan_implILNS1_25lookback_scan_determinismE0ELb0ELb0ES3_PKdPddZZZN2at6native31launch_logcumsumexp_cuda_kernelERKNSB_10TensorBaseESF_lENKUlvE_clEvENKUlvE_clEvEUlddE_dEEDaPvRmT3_T4_T5_mT6_P12ihipStream_tbENKUlT_T0_E_clISt17integral_constantIbLb1EESW_EEDaSR_SS_EUlSR_E0_NS1_11comp_targetILNS1_3genE9ELNS1_11target_archE1100ELNS1_3gpuE3ELNS1_3repE0EEENS1_30default_config_static_selectorELNS0_4arch9wavefront6targetE0EEEvT1_,comdat
.Lfunc_end46:
	.size	_ZN7rocprim17ROCPRIM_400000_NS6detail17trampoline_kernelINS0_14default_configENS1_20scan_config_selectorIdEEZZNS1_9scan_implILNS1_25lookback_scan_determinismE0ELb0ELb0ES3_PKdPddZZZN2at6native31launch_logcumsumexp_cuda_kernelERKNSB_10TensorBaseESF_lENKUlvE_clEvENKUlvE_clEvEUlddE_dEEDaPvRmT3_T4_T5_mT6_P12ihipStream_tbENKUlT_T0_E_clISt17integral_constantIbLb1EESW_EEDaSR_SS_EUlSR_E0_NS1_11comp_targetILNS1_3genE9ELNS1_11target_archE1100ELNS1_3gpuE3ELNS1_3repE0EEENS1_30default_config_static_selectorELNS0_4arch9wavefront6targetE0EEEvT1_, .Lfunc_end46-_ZN7rocprim17ROCPRIM_400000_NS6detail17trampoline_kernelINS0_14default_configENS1_20scan_config_selectorIdEEZZNS1_9scan_implILNS1_25lookback_scan_determinismE0ELb0ELb0ES3_PKdPddZZZN2at6native31launch_logcumsumexp_cuda_kernelERKNSB_10TensorBaseESF_lENKUlvE_clEvENKUlvE_clEvEUlddE_dEEDaPvRmT3_T4_T5_mT6_P12ihipStream_tbENKUlT_T0_E_clISt17integral_constantIbLb1EESW_EEDaSR_SS_EUlSR_E0_NS1_11comp_targetILNS1_3genE9ELNS1_11target_archE1100ELNS1_3gpuE3ELNS1_3repE0EEENS1_30default_config_static_selectorELNS0_4arch9wavefront6targetE0EEEvT1_
                                        ; -- End function
	.section	.AMDGPU.csdata,"",@progbits
; Kernel info:
; codeLenInByte = 80364
; NumSgprs: 50
; NumVgprs: 119
; ScratchSize: 0
; MemoryBound: 0
; FloatMode: 240
; IeeeMode: 1
; LDSByteSize: 33792 bytes/workgroup (compile time only)
; SGPRBlocks: 6
; VGPRBlocks: 14
; NumSGPRsForWavesPerEU: 50
; NumVGPRsForWavesPerEU: 119
; Occupancy: 6
; WaveLimiterHint : 0
; COMPUTE_PGM_RSRC2:SCRATCH_EN: 0
; COMPUTE_PGM_RSRC2:USER_SGPR: 15
; COMPUTE_PGM_RSRC2:TRAP_HANDLER: 0
; COMPUTE_PGM_RSRC2:TGID_X_EN: 1
; COMPUTE_PGM_RSRC2:TGID_Y_EN: 0
; COMPUTE_PGM_RSRC2:TGID_Z_EN: 0
; COMPUTE_PGM_RSRC2:TIDIG_COMP_CNT: 0
	.section	.text._ZN7rocprim17ROCPRIM_400000_NS6detail17trampoline_kernelINS0_14default_configENS1_20scan_config_selectorIdEEZZNS1_9scan_implILNS1_25lookback_scan_determinismE0ELb0ELb0ES3_PKdPddZZZN2at6native31launch_logcumsumexp_cuda_kernelERKNSB_10TensorBaseESF_lENKUlvE_clEvENKUlvE_clEvEUlddE_dEEDaPvRmT3_T4_T5_mT6_P12ihipStream_tbENKUlT_T0_E_clISt17integral_constantIbLb1EESW_EEDaSR_SS_EUlSR_E0_NS1_11comp_targetILNS1_3genE8ELNS1_11target_archE1030ELNS1_3gpuE2ELNS1_3repE0EEENS1_30default_config_static_selectorELNS0_4arch9wavefront6targetE0EEEvT1_,"axG",@progbits,_ZN7rocprim17ROCPRIM_400000_NS6detail17trampoline_kernelINS0_14default_configENS1_20scan_config_selectorIdEEZZNS1_9scan_implILNS1_25lookback_scan_determinismE0ELb0ELb0ES3_PKdPddZZZN2at6native31launch_logcumsumexp_cuda_kernelERKNSB_10TensorBaseESF_lENKUlvE_clEvENKUlvE_clEvEUlddE_dEEDaPvRmT3_T4_T5_mT6_P12ihipStream_tbENKUlT_T0_E_clISt17integral_constantIbLb1EESW_EEDaSR_SS_EUlSR_E0_NS1_11comp_targetILNS1_3genE8ELNS1_11target_archE1030ELNS1_3gpuE2ELNS1_3repE0EEENS1_30default_config_static_selectorELNS0_4arch9wavefront6targetE0EEEvT1_,comdat
	.globl	_ZN7rocprim17ROCPRIM_400000_NS6detail17trampoline_kernelINS0_14default_configENS1_20scan_config_selectorIdEEZZNS1_9scan_implILNS1_25lookback_scan_determinismE0ELb0ELb0ES3_PKdPddZZZN2at6native31launch_logcumsumexp_cuda_kernelERKNSB_10TensorBaseESF_lENKUlvE_clEvENKUlvE_clEvEUlddE_dEEDaPvRmT3_T4_T5_mT6_P12ihipStream_tbENKUlT_T0_E_clISt17integral_constantIbLb1EESW_EEDaSR_SS_EUlSR_E0_NS1_11comp_targetILNS1_3genE8ELNS1_11target_archE1030ELNS1_3gpuE2ELNS1_3repE0EEENS1_30default_config_static_selectorELNS0_4arch9wavefront6targetE0EEEvT1_ ; -- Begin function _ZN7rocprim17ROCPRIM_400000_NS6detail17trampoline_kernelINS0_14default_configENS1_20scan_config_selectorIdEEZZNS1_9scan_implILNS1_25lookback_scan_determinismE0ELb0ELb0ES3_PKdPddZZZN2at6native31launch_logcumsumexp_cuda_kernelERKNSB_10TensorBaseESF_lENKUlvE_clEvENKUlvE_clEvEUlddE_dEEDaPvRmT3_T4_T5_mT6_P12ihipStream_tbENKUlT_T0_E_clISt17integral_constantIbLb1EESW_EEDaSR_SS_EUlSR_E0_NS1_11comp_targetILNS1_3genE8ELNS1_11target_archE1030ELNS1_3gpuE2ELNS1_3repE0EEENS1_30default_config_static_selectorELNS0_4arch9wavefront6targetE0EEEvT1_
	.p2align	8
	.type	_ZN7rocprim17ROCPRIM_400000_NS6detail17trampoline_kernelINS0_14default_configENS1_20scan_config_selectorIdEEZZNS1_9scan_implILNS1_25lookback_scan_determinismE0ELb0ELb0ES3_PKdPddZZZN2at6native31launch_logcumsumexp_cuda_kernelERKNSB_10TensorBaseESF_lENKUlvE_clEvENKUlvE_clEvEUlddE_dEEDaPvRmT3_T4_T5_mT6_P12ihipStream_tbENKUlT_T0_E_clISt17integral_constantIbLb1EESW_EEDaSR_SS_EUlSR_E0_NS1_11comp_targetILNS1_3genE8ELNS1_11target_archE1030ELNS1_3gpuE2ELNS1_3repE0EEENS1_30default_config_static_selectorELNS0_4arch9wavefront6targetE0EEEvT1_,@function
_ZN7rocprim17ROCPRIM_400000_NS6detail17trampoline_kernelINS0_14default_configENS1_20scan_config_selectorIdEEZZNS1_9scan_implILNS1_25lookback_scan_determinismE0ELb0ELb0ES3_PKdPddZZZN2at6native31launch_logcumsumexp_cuda_kernelERKNSB_10TensorBaseESF_lENKUlvE_clEvENKUlvE_clEvEUlddE_dEEDaPvRmT3_T4_T5_mT6_P12ihipStream_tbENKUlT_T0_E_clISt17integral_constantIbLb1EESW_EEDaSR_SS_EUlSR_E0_NS1_11comp_targetILNS1_3genE8ELNS1_11target_archE1030ELNS1_3gpuE2ELNS1_3repE0EEENS1_30default_config_static_selectorELNS0_4arch9wavefront6targetE0EEEvT1_: ; @_ZN7rocprim17ROCPRIM_400000_NS6detail17trampoline_kernelINS0_14default_configENS1_20scan_config_selectorIdEEZZNS1_9scan_implILNS1_25lookback_scan_determinismE0ELb0ELb0ES3_PKdPddZZZN2at6native31launch_logcumsumexp_cuda_kernelERKNSB_10TensorBaseESF_lENKUlvE_clEvENKUlvE_clEvEUlddE_dEEDaPvRmT3_T4_T5_mT6_P12ihipStream_tbENKUlT_T0_E_clISt17integral_constantIbLb1EESW_EEDaSR_SS_EUlSR_E0_NS1_11comp_targetILNS1_3genE8ELNS1_11target_archE1030ELNS1_3gpuE2ELNS1_3repE0EEENS1_30default_config_static_selectorELNS0_4arch9wavefront6targetE0EEEvT1_
; %bb.0:
	.section	.rodata,"a",@progbits
	.p2align	6, 0x0
	.amdhsa_kernel _ZN7rocprim17ROCPRIM_400000_NS6detail17trampoline_kernelINS0_14default_configENS1_20scan_config_selectorIdEEZZNS1_9scan_implILNS1_25lookback_scan_determinismE0ELb0ELb0ES3_PKdPddZZZN2at6native31launch_logcumsumexp_cuda_kernelERKNSB_10TensorBaseESF_lENKUlvE_clEvENKUlvE_clEvEUlddE_dEEDaPvRmT3_T4_T5_mT6_P12ihipStream_tbENKUlT_T0_E_clISt17integral_constantIbLb1EESW_EEDaSR_SS_EUlSR_E0_NS1_11comp_targetILNS1_3genE8ELNS1_11target_archE1030ELNS1_3gpuE2ELNS1_3repE0EEENS1_30default_config_static_selectorELNS0_4arch9wavefront6targetE0EEEvT1_
		.amdhsa_group_segment_fixed_size 0
		.amdhsa_private_segment_fixed_size 0
		.amdhsa_kernarg_size 40
		.amdhsa_user_sgpr_count 15
		.amdhsa_user_sgpr_dispatch_ptr 0
		.amdhsa_user_sgpr_queue_ptr 0
		.amdhsa_user_sgpr_kernarg_segment_ptr 1
		.amdhsa_user_sgpr_dispatch_id 0
		.amdhsa_user_sgpr_private_segment_size 0
		.amdhsa_wavefront_size32 1
		.amdhsa_uses_dynamic_stack 0
		.amdhsa_enable_private_segment 0
		.amdhsa_system_sgpr_workgroup_id_x 1
		.amdhsa_system_sgpr_workgroup_id_y 0
		.amdhsa_system_sgpr_workgroup_id_z 0
		.amdhsa_system_sgpr_workgroup_info 0
		.amdhsa_system_vgpr_workitem_id 0
		.amdhsa_next_free_vgpr 1
		.amdhsa_next_free_sgpr 1
		.amdhsa_reserve_vcc 0
		.amdhsa_float_round_mode_32 0
		.amdhsa_float_round_mode_16_64 0
		.amdhsa_float_denorm_mode_32 3
		.amdhsa_float_denorm_mode_16_64 3
		.amdhsa_dx10_clamp 1
		.amdhsa_ieee_mode 1
		.amdhsa_fp16_overflow 0
		.amdhsa_workgroup_processor_mode 1
		.amdhsa_memory_ordered 1
		.amdhsa_forward_progress 0
		.amdhsa_shared_vgpr_count 0
		.amdhsa_exception_fp_ieee_invalid_op 0
		.amdhsa_exception_fp_denorm_src 0
		.amdhsa_exception_fp_ieee_div_zero 0
		.amdhsa_exception_fp_ieee_overflow 0
		.amdhsa_exception_fp_ieee_underflow 0
		.amdhsa_exception_fp_ieee_inexact 0
		.amdhsa_exception_int_div_zero 0
	.end_amdhsa_kernel
	.section	.text._ZN7rocprim17ROCPRIM_400000_NS6detail17trampoline_kernelINS0_14default_configENS1_20scan_config_selectorIdEEZZNS1_9scan_implILNS1_25lookback_scan_determinismE0ELb0ELb0ES3_PKdPddZZZN2at6native31launch_logcumsumexp_cuda_kernelERKNSB_10TensorBaseESF_lENKUlvE_clEvENKUlvE_clEvEUlddE_dEEDaPvRmT3_T4_T5_mT6_P12ihipStream_tbENKUlT_T0_E_clISt17integral_constantIbLb1EESW_EEDaSR_SS_EUlSR_E0_NS1_11comp_targetILNS1_3genE8ELNS1_11target_archE1030ELNS1_3gpuE2ELNS1_3repE0EEENS1_30default_config_static_selectorELNS0_4arch9wavefront6targetE0EEEvT1_,"axG",@progbits,_ZN7rocprim17ROCPRIM_400000_NS6detail17trampoline_kernelINS0_14default_configENS1_20scan_config_selectorIdEEZZNS1_9scan_implILNS1_25lookback_scan_determinismE0ELb0ELb0ES3_PKdPddZZZN2at6native31launch_logcumsumexp_cuda_kernelERKNSB_10TensorBaseESF_lENKUlvE_clEvENKUlvE_clEvEUlddE_dEEDaPvRmT3_T4_T5_mT6_P12ihipStream_tbENKUlT_T0_E_clISt17integral_constantIbLb1EESW_EEDaSR_SS_EUlSR_E0_NS1_11comp_targetILNS1_3genE8ELNS1_11target_archE1030ELNS1_3gpuE2ELNS1_3repE0EEENS1_30default_config_static_selectorELNS0_4arch9wavefront6targetE0EEEvT1_,comdat
.Lfunc_end47:
	.size	_ZN7rocprim17ROCPRIM_400000_NS6detail17trampoline_kernelINS0_14default_configENS1_20scan_config_selectorIdEEZZNS1_9scan_implILNS1_25lookback_scan_determinismE0ELb0ELb0ES3_PKdPddZZZN2at6native31launch_logcumsumexp_cuda_kernelERKNSB_10TensorBaseESF_lENKUlvE_clEvENKUlvE_clEvEUlddE_dEEDaPvRmT3_T4_T5_mT6_P12ihipStream_tbENKUlT_T0_E_clISt17integral_constantIbLb1EESW_EEDaSR_SS_EUlSR_E0_NS1_11comp_targetILNS1_3genE8ELNS1_11target_archE1030ELNS1_3gpuE2ELNS1_3repE0EEENS1_30default_config_static_selectorELNS0_4arch9wavefront6targetE0EEEvT1_, .Lfunc_end47-_ZN7rocprim17ROCPRIM_400000_NS6detail17trampoline_kernelINS0_14default_configENS1_20scan_config_selectorIdEEZZNS1_9scan_implILNS1_25lookback_scan_determinismE0ELb0ELb0ES3_PKdPddZZZN2at6native31launch_logcumsumexp_cuda_kernelERKNSB_10TensorBaseESF_lENKUlvE_clEvENKUlvE_clEvEUlddE_dEEDaPvRmT3_T4_T5_mT6_P12ihipStream_tbENKUlT_T0_E_clISt17integral_constantIbLb1EESW_EEDaSR_SS_EUlSR_E0_NS1_11comp_targetILNS1_3genE8ELNS1_11target_archE1030ELNS1_3gpuE2ELNS1_3repE0EEENS1_30default_config_static_selectorELNS0_4arch9wavefront6targetE0EEEvT1_
                                        ; -- End function
	.section	.AMDGPU.csdata,"",@progbits
; Kernel info:
; codeLenInByte = 0
; NumSgprs: 0
; NumVgprs: 0
; ScratchSize: 0
; MemoryBound: 0
; FloatMode: 240
; IeeeMode: 1
; LDSByteSize: 0 bytes/workgroup (compile time only)
; SGPRBlocks: 0
; VGPRBlocks: 0
; NumSGPRsForWavesPerEU: 1
; NumVGPRsForWavesPerEU: 1
; Occupancy: 16
; WaveLimiterHint : 0
; COMPUTE_PGM_RSRC2:SCRATCH_EN: 0
; COMPUTE_PGM_RSRC2:USER_SGPR: 15
; COMPUTE_PGM_RSRC2:TRAP_HANDLER: 0
; COMPUTE_PGM_RSRC2:TGID_X_EN: 1
; COMPUTE_PGM_RSRC2:TGID_Y_EN: 0
; COMPUTE_PGM_RSRC2:TGID_Z_EN: 0
; COMPUTE_PGM_RSRC2:TIDIG_COMP_CNT: 0
	.section	.text._ZN7rocprim17ROCPRIM_400000_NS6detail31init_lookback_scan_state_kernelINS1_19lookback_scan_stateIdLb1ELb1EEENS1_16block_id_wrapperIjLb0EEEEEvT_jT0_jPNS7_10value_typeE,"axG",@progbits,_ZN7rocprim17ROCPRIM_400000_NS6detail31init_lookback_scan_state_kernelINS1_19lookback_scan_stateIdLb1ELb1EEENS1_16block_id_wrapperIjLb0EEEEEvT_jT0_jPNS7_10value_typeE,comdat
	.protected	_ZN7rocprim17ROCPRIM_400000_NS6detail31init_lookback_scan_state_kernelINS1_19lookback_scan_stateIdLb1ELb1EEENS1_16block_id_wrapperIjLb0EEEEEvT_jT0_jPNS7_10value_typeE ; -- Begin function _ZN7rocprim17ROCPRIM_400000_NS6detail31init_lookback_scan_state_kernelINS1_19lookback_scan_stateIdLb1ELb1EEENS1_16block_id_wrapperIjLb0EEEEEvT_jT0_jPNS7_10value_typeE
	.globl	_ZN7rocprim17ROCPRIM_400000_NS6detail31init_lookback_scan_state_kernelINS1_19lookback_scan_stateIdLb1ELb1EEENS1_16block_id_wrapperIjLb0EEEEEvT_jT0_jPNS7_10value_typeE
	.p2align	8
	.type	_ZN7rocprim17ROCPRIM_400000_NS6detail31init_lookback_scan_state_kernelINS1_19lookback_scan_stateIdLb1ELb1EEENS1_16block_id_wrapperIjLb0EEEEEvT_jT0_jPNS7_10value_typeE,@function
_ZN7rocprim17ROCPRIM_400000_NS6detail31init_lookback_scan_state_kernelINS1_19lookback_scan_stateIdLb1ELb1EEENS1_16block_id_wrapperIjLb0EEEEEvT_jT0_jPNS7_10value_typeE: ; @_ZN7rocprim17ROCPRIM_400000_NS6detail31init_lookback_scan_state_kernelINS1_19lookback_scan_stateIdLb1ELb1EEENS1_16block_id_wrapperIjLb0EEEEEvT_jT0_jPNS7_10value_typeE
; %bb.0:
	s_clause 0x3
	s_load_b32 s7, s[0:1], 0x2c
	s_load_b64 s[4:5], s[0:1], 0x18
	s_load_b64 s[2:3], s[0:1], 0x0
	s_load_b32 s6, s[0:1], 0x8
	s_waitcnt lgkmcnt(0)
	s_and_b32 s7, s7, 0xffff
	s_cmp_eq_u64 s[4:5], 0
	v_mad_u64_u32 v[1:2], null, s15, s7, v[0:1]
	s_cbranch_scc1 .LBB48_10
; %bb.1:
	s_load_b32 s0, s[0:1], 0x10
	s_waitcnt lgkmcnt(0)
	s_cmp_lt_u32 s0, s6
	s_cselect_b32 s1, s0, 0
	s_delay_alu instid0(VALU_DEP_1) | instid1(SALU_CYCLE_1)
	v_cmp_eq_u32_e32 vcc_lo, s1, v1
	s_mov_b32 s1, 0
	s_and_saveexec_b32 s7, vcc_lo
	s_cbranch_execz .LBB48_9
; %bb.2:
	s_add_i32 s0, s0, 32
	s_mov_b32 s8, exec_lo
	s_lshl_b64 s[0:1], s[0:1], 4
	v_mov_b32_e32 v6, 0
	s_add_u32 s0, s2, s0
	s_addc_u32 s1, s3, s1
	s_delay_alu instid0(SALU_CYCLE_1) | instskip(SKIP_2) | instid1(VALU_DEP_1)
	v_dual_mov_b32 v3, s1 :: v_dual_mov_b32 v2, s0
	;;#ASMSTART
	global_load_dwordx4 v[2:5], v[2:3] off glc	
s_waitcnt vmcnt(0)
	;;#ASMEND
	v_and_b32_e32 v5, 0xff, v4
	v_cmpx_eq_u64_e32 0, v[5:6]
	s_cbranch_execz .LBB48_8
; %bb.3:
	v_dual_mov_b32 v8, s1 :: v_dual_mov_b32 v7, s0
	s_mov_b32 s1, 1
	s_mov_b32 s0, 0
	.p2align	6
.LBB48_4:                               ; =>This Loop Header: Depth=1
                                        ;     Child Loop BB48_5 Depth 2
	s_max_u32 s9, s1, 1
.LBB48_5:                               ;   Parent Loop BB48_4 Depth=1
                                        ; =>  This Inner Loop Header: Depth=2
	s_delay_alu instid0(SALU_CYCLE_1)
	s_add_i32 s9, s9, -1
	s_sleep 1
	s_cmp_eq_u32 s9, 0
	s_cbranch_scc0 .LBB48_5
; %bb.6:                                ;   in Loop: Header=BB48_4 Depth=1
	;;#ASMSTART
	global_load_dwordx4 v[2:5], v[7:8] off glc	
s_waitcnt vmcnt(0)
	;;#ASMEND
	v_and_b32_e32 v5, 0xff, v4
	s_cmp_lt_u32 s1, 32
	s_cselect_b32 s9, -1, 0
	s_delay_alu instid0(SALU_CYCLE_1) | instskip(NEXT) | instid1(VALU_DEP_1)
	s_cmp_lg_u32 s9, 0
	v_cmp_ne_u64_e32 vcc_lo, 0, v[5:6]
	s_addc_u32 s1, s1, 0
	s_or_b32 s0, vcc_lo, s0
	s_delay_alu instid0(SALU_CYCLE_1)
	s_and_not1_b32 exec_lo, exec_lo, s0
	s_cbranch_execnz .LBB48_4
; %bb.7:
	s_or_b32 exec_lo, exec_lo, s0
.LBB48_8:
	s_delay_alu instid0(SALU_CYCLE_1)
	s_or_b32 exec_lo, exec_lo, s8
	v_mov_b32_e32 v0, 0
	global_store_b64 v0, v[2:3], s[4:5]
.LBB48_9:
	s_or_b32 exec_lo, exec_lo, s7
.LBB48_10:
	s_delay_alu instid0(SALU_CYCLE_1) | instskip(NEXT) | instid1(VALU_DEP_1)
	s_mov_b32 s0, exec_lo
	v_cmpx_gt_u32_e64 s6, v1
	s_cbranch_execz .LBB48_12
; %bb.11:
	v_dual_mov_b32 v3, 0 :: v_dual_add_nc_u32 v2, 32, v1
	s_delay_alu instid0(VALU_DEP_1) | instskip(SKIP_2) | instid1(VALU_DEP_3)
	v_lshlrev_b64 v[5:6], 4, v[2:3]
	v_mov_b32_e32 v2, v3
	v_mov_b32_e32 v4, v3
	v_add_co_u32 v7, vcc_lo, s2, v5
	s_delay_alu instid0(VALU_DEP_4)
	v_add_co_ci_u32_e32 v8, vcc_lo, s3, v6, vcc_lo
	v_mov_b32_e32 v5, v3
	global_store_b128 v[7:8], v[2:5], off
.LBB48_12:
	s_or_b32 exec_lo, exec_lo, s0
	s_delay_alu instid0(SALU_CYCLE_1)
	s_mov_b32 s0, exec_lo
	v_cmpx_gt_u32_e32 32, v1
	s_cbranch_execz .LBB48_14
; %bb.13:
	v_dual_mov_b32 v2, 0 :: v_dual_mov_b32 v3, 0xff
	s_delay_alu instid0(VALU_DEP_1) | instskip(SKIP_1) | instid1(VALU_DEP_2)
	v_lshlrev_b64 v[4:5], 4, v[1:2]
	v_mov_b32_e32 v1, v2
	v_add_co_u32 v6, vcc_lo, s2, v4
	s_delay_alu instid0(VALU_DEP_3)
	v_add_co_ci_u32_e32 v7, vcc_lo, s3, v5, vcc_lo
	v_mov_b32_e32 v4, v2
	global_store_b128 v[6:7], v[1:4], off
.LBB48_14:
	s_nop 0
	s_sendmsg sendmsg(MSG_DEALLOC_VGPRS)
	s_endpgm
	.section	.rodata,"a",@progbits
	.p2align	6, 0x0
	.amdhsa_kernel _ZN7rocprim17ROCPRIM_400000_NS6detail31init_lookback_scan_state_kernelINS1_19lookback_scan_stateIdLb1ELb1EEENS1_16block_id_wrapperIjLb0EEEEEvT_jT0_jPNS7_10value_typeE
		.amdhsa_group_segment_fixed_size 0
		.amdhsa_private_segment_fixed_size 0
		.amdhsa_kernarg_size 288
		.amdhsa_user_sgpr_count 15
		.amdhsa_user_sgpr_dispatch_ptr 0
		.amdhsa_user_sgpr_queue_ptr 0
		.amdhsa_user_sgpr_kernarg_segment_ptr 1
		.amdhsa_user_sgpr_dispatch_id 0
		.amdhsa_user_sgpr_private_segment_size 0
		.amdhsa_wavefront_size32 1
		.amdhsa_uses_dynamic_stack 0
		.amdhsa_enable_private_segment 0
		.amdhsa_system_sgpr_workgroup_id_x 1
		.amdhsa_system_sgpr_workgroup_id_y 0
		.amdhsa_system_sgpr_workgroup_id_z 0
		.amdhsa_system_sgpr_workgroup_info 0
		.amdhsa_system_vgpr_workitem_id 0
		.amdhsa_next_free_vgpr 9
		.amdhsa_next_free_sgpr 16
		.amdhsa_reserve_vcc 1
		.amdhsa_float_round_mode_32 0
		.amdhsa_float_round_mode_16_64 0
		.amdhsa_float_denorm_mode_32 3
		.amdhsa_float_denorm_mode_16_64 3
		.amdhsa_dx10_clamp 1
		.amdhsa_ieee_mode 1
		.amdhsa_fp16_overflow 0
		.amdhsa_workgroup_processor_mode 1
		.amdhsa_memory_ordered 1
		.amdhsa_forward_progress 0
		.amdhsa_shared_vgpr_count 0
		.amdhsa_exception_fp_ieee_invalid_op 0
		.amdhsa_exception_fp_denorm_src 0
		.amdhsa_exception_fp_ieee_div_zero 0
		.amdhsa_exception_fp_ieee_overflow 0
		.amdhsa_exception_fp_ieee_underflow 0
		.amdhsa_exception_fp_ieee_inexact 0
		.amdhsa_exception_int_div_zero 0
	.end_amdhsa_kernel
	.section	.text._ZN7rocprim17ROCPRIM_400000_NS6detail31init_lookback_scan_state_kernelINS1_19lookback_scan_stateIdLb1ELb1EEENS1_16block_id_wrapperIjLb0EEEEEvT_jT0_jPNS7_10value_typeE,"axG",@progbits,_ZN7rocprim17ROCPRIM_400000_NS6detail31init_lookback_scan_state_kernelINS1_19lookback_scan_stateIdLb1ELb1EEENS1_16block_id_wrapperIjLb0EEEEEvT_jT0_jPNS7_10value_typeE,comdat
.Lfunc_end48:
	.size	_ZN7rocprim17ROCPRIM_400000_NS6detail31init_lookback_scan_state_kernelINS1_19lookback_scan_stateIdLb1ELb1EEENS1_16block_id_wrapperIjLb0EEEEEvT_jT0_jPNS7_10value_typeE, .Lfunc_end48-_ZN7rocprim17ROCPRIM_400000_NS6detail31init_lookback_scan_state_kernelINS1_19lookback_scan_stateIdLb1ELb1EEENS1_16block_id_wrapperIjLb0EEEEEvT_jT0_jPNS7_10value_typeE
                                        ; -- End function
	.section	.AMDGPU.csdata,"",@progbits
; Kernel info:
; codeLenInByte = 516
; NumSgprs: 18
; NumVgprs: 9
; ScratchSize: 0
; MemoryBound: 0
; FloatMode: 240
; IeeeMode: 1
; LDSByteSize: 0 bytes/workgroup (compile time only)
; SGPRBlocks: 2
; VGPRBlocks: 1
; NumSGPRsForWavesPerEU: 18
; NumVGPRsForWavesPerEU: 9
; Occupancy: 16
; WaveLimiterHint : 0
; COMPUTE_PGM_RSRC2:SCRATCH_EN: 0
; COMPUTE_PGM_RSRC2:USER_SGPR: 15
; COMPUTE_PGM_RSRC2:TRAP_HANDLER: 0
; COMPUTE_PGM_RSRC2:TGID_X_EN: 1
; COMPUTE_PGM_RSRC2:TGID_Y_EN: 0
; COMPUTE_PGM_RSRC2:TGID_Z_EN: 0
; COMPUTE_PGM_RSRC2:TIDIG_COMP_CNT: 0
	.section	.text._ZN7rocprim17ROCPRIM_400000_NS6detail17trampoline_kernelINS0_14default_configENS1_20scan_config_selectorIdEEZZNS1_9scan_implILNS1_25lookback_scan_determinismE0ELb0ELb0ES3_PKdPddZZZN2at6native31launch_logcumsumexp_cuda_kernelERKNSB_10TensorBaseESF_lENKUlvE_clEvENKUlvE_clEvEUlddE_dEEDaPvRmT3_T4_T5_mT6_P12ihipStream_tbENKUlT_T0_E_clISt17integral_constantIbLb1EESV_IbLb0EEEEDaSR_SS_EUlSR_E_NS1_11comp_targetILNS1_3genE0ELNS1_11target_archE4294967295ELNS1_3gpuE0ELNS1_3repE0EEENS1_30default_config_static_selectorELNS0_4arch9wavefront6targetE0EEEvT1_,"axG",@progbits,_ZN7rocprim17ROCPRIM_400000_NS6detail17trampoline_kernelINS0_14default_configENS1_20scan_config_selectorIdEEZZNS1_9scan_implILNS1_25lookback_scan_determinismE0ELb0ELb0ES3_PKdPddZZZN2at6native31launch_logcumsumexp_cuda_kernelERKNSB_10TensorBaseESF_lENKUlvE_clEvENKUlvE_clEvEUlddE_dEEDaPvRmT3_T4_T5_mT6_P12ihipStream_tbENKUlT_T0_E_clISt17integral_constantIbLb1EESV_IbLb0EEEEDaSR_SS_EUlSR_E_NS1_11comp_targetILNS1_3genE0ELNS1_11target_archE4294967295ELNS1_3gpuE0ELNS1_3repE0EEENS1_30default_config_static_selectorELNS0_4arch9wavefront6targetE0EEEvT1_,comdat
	.globl	_ZN7rocprim17ROCPRIM_400000_NS6detail17trampoline_kernelINS0_14default_configENS1_20scan_config_selectorIdEEZZNS1_9scan_implILNS1_25lookback_scan_determinismE0ELb0ELb0ES3_PKdPddZZZN2at6native31launch_logcumsumexp_cuda_kernelERKNSB_10TensorBaseESF_lENKUlvE_clEvENKUlvE_clEvEUlddE_dEEDaPvRmT3_T4_T5_mT6_P12ihipStream_tbENKUlT_T0_E_clISt17integral_constantIbLb1EESV_IbLb0EEEEDaSR_SS_EUlSR_E_NS1_11comp_targetILNS1_3genE0ELNS1_11target_archE4294967295ELNS1_3gpuE0ELNS1_3repE0EEENS1_30default_config_static_selectorELNS0_4arch9wavefront6targetE0EEEvT1_ ; -- Begin function _ZN7rocprim17ROCPRIM_400000_NS6detail17trampoline_kernelINS0_14default_configENS1_20scan_config_selectorIdEEZZNS1_9scan_implILNS1_25lookback_scan_determinismE0ELb0ELb0ES3_PKdPddZZZN2at6native31launch_logcumsumexp_cuda_kernelERKNSB_10TensorBaseESF_lENKUlvE_clEvENKUlvE_clEvEUlddE_dEEDaPvRmT3_T4_T5_mT6_P12ihipStream_tbENKUlT_T0_E_clISt17integral_constantIbLb1EESV_IbLb0EEEEDaSR_SS_EUlSR_E_NS1_11comp_targetILNS1_3genE0ELNS1_11target_archE4294967295ELNS1_3gpuE0ELNS1_3repE0EEENS1_30default_config_static_selectorELNS0_4arch9wavefront6targetE0EEEvT1_
	.p2align	8
	.type	_ZN7rocprim17ROCPRIM_400000_NS6detail17trampoline_kernelINS0_14default_configENS1_20scan_config_selectorIdEEZZNS1_9scan_implILNS1_25lookback_scan_determinismE0ELb0ELb0ES3_PKdPddZZZN2at6native31launch_logcumsumexp_cuda_kernelERKNSB_10TensorBaseESF_lENKUlvE_clEvENKUlvE_clEvEUlddE_dEEDaPvRmT3_T4_T5_mT6_P12ihipStream_tbENKUlT_T0_E_clISt17integral_constantIbLb1EESV_IbLb0EEEEDaSR_SS_EUlSR_E_NS1_11comp_targetILNS1_3genE0ELNS1_11target_archE4294967295ELNS1_3gpuE0ELNS1_3repE0EEENS1_30default_config_static_selectorELNS0_4arch9wavefront6targetE0EEEvT1_,@function
_ZN7rocprim17ROCPRIM_400000_NS6detail17trampoline_kernelINS0_14default_configENS1_20scan_config_selectorIdEEZZNS1_9scan_implILNS1_25lookback_scan_determinismE0ELb0ELb0ES3_PKdPddZZZN2at6native31launch_logcumsumexp_cuda_kernelERKNSB_10TensorBaseESF_lENKUlvE_clEvENKUlvE_clEvEUlddE_dEEDaPvRmT3_T4_T5_mT6_P12ihipStream_tbENKUlT_T0_E_clISt17integral_constantIbLb1EESV_IbLb0EEEEDaSR_SS_EUlSR_E_NS1_11comp_targetILNS1_3genE0ELNS1_11target_archE4294967295ELNS1_3gpuE0ELNS1_3repE0EEENS1_30default_config_static_selectorELNS0_4arch9wavefront6targetE0EEEvT1_: ; @_ZN7rocprim17ROCPRIM_400000_NS6detail17trampoline_kernelINS0_14default_configENS1_20scan_config_selectorIdEEZZNS1_9scan_implILNS1_25lookback_scan_determinismE0ELb0ELb0ES3_PKdPddZZZN2at6native31launch_logcumsumexp_cuda_kernelERKNSB_10TensorBaseESF_lENKUlvE_clEvENKUlvE_clEvEUlddE_dEEDaPvRmT3_T4_T5_mT6_P12ihipStream_tbENKUlT_T0_E_clISt17integral_constantIbLb1EESV_IbLb0EEEEDaSR_SS_EUlSR_E_NS1_11comp_targetILNS1_3genE0ELNS1_11target_archE4294967295ELNS1_3gpuE0ELNS1_3repE0EEENS1_30default_config_static_selectorELNS0_4arch9wavefront6targetE0EEEvT1_
; %bb.0:
	.section	.rodata,"a",@progbits
	.p2align	6, 0x0
	.amdhsa_kernel _ZN7rocprim17ROCPRIM_400000_NS6detail17trampoline_kernelINS0_14default_configENS1_20scan_config_selectorIdEEZZNS1_9scan_implILNS1_25lookback_scan_determinismE0ELb0ELb0ES3_PKdPddZZZN2at6native31launch_logcumsumexp_cuda_kernelERKNSB_10TensorBaseESF_lENKUlvE_clEvENKUlvE_clEvEUlddE_dEEDaPvRmT3_T4_T5_mT6_P12ihipStream_tbENKUlT_T0_E_clISt17integral_constantIbLb1EESV_IbLb0EEEEDaSR_SS_EUlSR_E_NS1_11comp_targetILNS1_3genE0ELNS1_11target_archE4294967295ELNS1_3gpuE0ELNS1_3repE0EEENS1_30default_config_static_selectorELNS0_4arch9wavefront6targetE0EEEvT1_
		.amdhsa_group_segment_fixed_size 0
		.amdhsa_private_segment_fixed_size 0
		.amdhsa_kernarg_size 104
		.amdhsa_user_sgpr_count 15
		.amdhsa_user_sgpr_dispatch_ptr 0
		.amdhsa_user_sgpr_queue_ptr 0
		.amdhsa_user_sgpr_kernarg_segment_ptr 1
		.amdhsa_user_sgpr_dispatch_id 0
		.amdhsa_user_sgpr_private_segment_size 0
		.amdhsa_wavefront_size32 1
		.amdhsa_uses_dynamic_stack 0
		.amdhsa_enable_private_segment 0
		.amdhsa_system_sgpr_workgroup_id_x 1
		.amdhsa_system_sgpr_workgroup_id_y 0
		.amdhsa_system_sgpr_workgroup_id_z 0
		.amdhsa_system_sgpr_workgroup_info 0
		.amdhsa_system_vgpr_workitem_id 0
		.amdhsa_next_free_vgpr 1
		.amdhsa_next_free_sgpr 1
		.amdhsa_reserve_vcc 0
		.amdhsa_float_round_mode_32 0
		.amdhsa_float_round_mode_16_64 0
		.amdhsa_float_denorm_mode_32 3
		.amdhsa_float_denorm_mode_16_64 3
		.amdhsa_dx10_clamp 1
		.amdhsa_ieee_mode 1
		.amdhsa_fp16_overflow 0
		.amdhsa_workgroup_processor_mode 1
		.amdhsa_memory_ordered 1
		.amdhsa_forward_progress 0
		.amdhsa_shared_vgpr_count 0
		.amdhsa_exception_fp_ieee_invalid_op 0
		.amdhsa_exception_fp_denorm_src 0
		.amdhsa_exception_fp_ieee_div_zero 0
		.amdhsa_exception_fp_ieee_overflow 0
		.amdhsa_exception_fp_ieee_underflow 0
		.amdhsa_exception_fp_ieee_inexact 0
		.amdhsa_exception_int_div_zero 0
	.end_amdhsa_kernel
	.section	.text._ZN7rocprim17ROCPRIM_400000_NS6detail17trampoline_kernelINS0_14default_configENS1_20scan_config_selectorIdEEZZNS1_9scan_implILNS1_25lookback_scan_determinismE0ELb0ELb0ES3_PKdPddZZZN2at6native31launch_logcumsumexp_cuda_kernelERKNSB_10TensorBaseESF_lENKUlvE_clEvENKUlvE_clEvEUlddE_dEEDaPvRmT3_T4_T5_mT6_P12ihipStream_tbENKUlT_T0_E_clISt17integral_constantIbLb1EESV_IbLb0EEEEDaSR_SS_EUlSR_E_NS1_11comp_targetILNS1_3genE0ELNS1_11target_archE4294967295ELNS1_3gpuE0ELNS1_3repE0EEENS1_30default_config_static_selectorELNS0_4arch9wavefront6targetE0EEEvT1_,"axG",@progbits,_ZN7rocprim17ROCPRIM_400000_NS6detail17trampoline_kernelINS0_14default_configENS1_20scan_config_selectorIdEEZZNS1_9scan_implILNS1_25lookback_scan_determinismE0ELb0ELb0ES3_PKdPddZZZN2at6native31launch_logcumsumexp_cuda_kernelERKNSB_10TensorBaseESF_lENKUlvE_clEvENKUlvE_clEvEUlddE_dEEDaPvRmT3_T4_T5_mT6_P12ihipStream_tbENKUlT_T0_E_clISt17integral_constantIbLb1EESV_IbLb0EEEEDaSR_SS_EUlSR_E_NS1_11comp_targetILNS1_3genE0ELNS1_11target_archE4294967295ELNS1_3gpuE0ELNS1_3repE0EEENS1_30default_config_static_selectorELNS0_4arch9wavefront6targetE0EEEvT1_,comdat
.Lfunc_end49:
	.size	_ZN7rocprim17ROCPRIM_400000_NS6detail17trampoline_kernelINS0_14default_configENS1_20scan_config_selectorIdEEZZNS1_9scan_implILNS1_25lookback_scan_determinismE0ELb0ELb0ES3_PKdPddZZZN2at6native31launch_logcumsumexp_cuda_kernelERKNSB_10TensorBaseESF_lENKUlvE_clEvENKUlvE_clEvEUlddE_dEEDaPvRmT3_T4_T5_mT6_P12ihipStream_tbENKUlT_T0_E_clISt17integral_constantIbLb1EESV_IbLb0EEEEDaSR_SS_EUlSR_E_NS1_11comp_targetILNS1_3genE0ELNS1_11target_archE4294967295ELNS1_3gpuE0ELNS1_3repE0EEENS1_30default_config_static_selectorELNS0_4arch9wavefront6targetE0EEEvT1_, .Lfunc_end49-_ZN7rocprim17ROCPRIM_400000_NS6detail17trampoline_kernelINS0_14default_configENS1_20scan_config_selectorIdEEZZNS1_9scan_implILNS1_25lookback_scan_determinismE0ELb0ELb0ES3_PKdPddZZZN2at6native31launch_logcumsumexp_cuda_kernelERKNSB_10TensorBaseESF_lENKUlvE_clEvENKUlvE_clEvEUlddE_dEEDaPvRmT3_T4_T5_mT6_P12ihipStream_tbENKUlT_T0_E_clISt17integral_constantIbLb1EESV_IbLb0EEEEDaSR_SS_EUlSR_E_NS1_11comp_targetILNS1_3genE0ELNS1_11target_archE4294967295ELNS1_3gpuE0ELNS1_3repE0EEENS1_30default_config_static_selectorELNS0_4arch9wavefront6targetE0EEEvT1_
                                        ; -- End function
	.section	.AMDGPU.csdata,"",@progbits
; Kernel info:
; codeLenInByte = 0
; NumSgprs: 0
; NumVgprs: 0
; ScratchSize: 0
; MemoryBound: 0
; FloatMode: 240
; IeeeMode: 1
; LDSByteSize: 0 bytes/workgroup (compile time only)
; SGPRBlocks: 0
; VGPRBlocks: 0
; NumSGPRsForWavesPerEU: 1
; NumVGPRsForWavesPerEU: 1
; Occupancy: 16
; WaveLimiterHint : 0
; COMPUTE_PGM_RSRC2:SCRATCH_EN: 0
; COMPUTE_PGM_RSRC2:USER_SGPR: 15
; COMPUTE_PGM_RSRC2:TRAP_HANDLER: 0
; COMPUTE_PGM_RSRC2:TGID_X_EN: 1
; COMPUTE_PGM_RSRC2:TGID_Y_EN: 0
; COMPUTE_PGM_RSRC2:TGID_Z_EN: 0
; COMPUTE_PGM_RSRC2:TIDIG_COMP_CNT: 0
	.section	.text._ZN7rocprim17ROCPRIM_400000_NS6detail17trampoline_kernelINS0_14default_configENS1_20scan_config_selectorIdEEZZNS1_9scan_implILNS1_25lookback_scan_determinismE0ELb0ELb0ES3_PKdPddZZZN2at6native31launch_logcumsumexp_cuda_kernelERKNSB_10TensorBaseESF_lENKUlvE_clEvENKUlvE_clEvEUlddE_dEEDaPvRmT3_T4_T5_mT6_P12ihipStream_tbENKUlT_T0_E_clISt17integral_constantIbLb1EESV_IbLb0EEEEDaSR_SS_EUlSR_E_NS1_11comp_targetILNS1_3genE5ELNS1_11target_archE942ELNS1_3gpuE9ELNS1_3repE0EEENS1_30default_config_static_selectorELNS0_4arch9wavefront6targetE0EEEvT1_,"axG",@progbits,_ZN7rocprim17ROCPRIM_400000_NS6detail17trampoline_kernelINS0_14default_configENS1_20scan_config_selectorIdEEZZNS1_9scan_implILNS1_25lookback_scan_determinismE0ELb0ELb0ES3_PKdPddZZZN2at6native31launch_logcumsumexp_cuda_kernelERKNSB_10TensorBaseESF_lENKUlvE_clEvENKUlvE_clEvEUlddE_dEEDaPvRmT3_T4_T5_mT6_P12ihipStream_tbENKUlT_T0_E_clISt17integral_constantIbLb1EESV_IbLb0EEEEDaSR_SS_EUlSR_E_NS1_11comp_targetILNS1_3genE5ELNS1_11target_archE942ELNS1_3gpuE9ELNS1_3repE0EEENS1_30default_config_static_selectorELNS0_4arch9wavefront6targetE0EEEvT1_,comdat
	.globl	_ZN7rocprim17ROCPRIM_400000_NS6detail17trampoline_kernelINS0_14default_configENS1_20scan_config_selectorIdEEZZNS1_9scan_implILNS1_25lookback_scan_determinismE0ELb0ELb0ES3_PKdPddZZZN2at6native31launch_logcumsumexp_cuda_kernelERKNSB_10TensorBaseESF_lENKUlvE_clEvENKUlvE_clEvEUlddE_dEEDaPvRmT3_T4_T5_mT6_P12ihipStream_tbENKUlT_T0_E_clISt17integral_constantIbLb1EESV_IbLb0EEEEDaSR_SS_EUlSR_E_NS1_11comp_targetILNS1_3genE5ELNS1_11target_archE942ELNS1_3gpuE9ELNS1_3repE0EEENS1_30default_config_static_selectorELNS0_4arch9wavefront6targetE0EEEvT1_ ; -- Begin function _ZN7rocprim17ROCPRIM_400000_NS6detail17trampoline_kernelINS0_14default_configENS1_20scan_config_selectorIdEEZZNS1_9scan_implILNS1_25lookback_scan_determinismE0ELb0ELb0ES3_PKdPddZZZN2at6native31launch_logcumsumexp_cuda_kernelERKNSB_10TensorBaseESF_lENKUlvE_clEvENKUlvE_clEvEUlddE_dEEDaPvRmT3_T4_T5_mT6_P12ihipStream_tbENKUlT_T0_E_clISt17integral_constantIbLb1EESV_IbLb0EEEEDaSR_SS_EUlSR_E_NS1_11comp_targetILNS1_3genE5ELNS1_11target_archE942ELNS1_3gpuE9ELNS1_3repE0EEENS1_30default_config_static_selectorELNS0_4arch9wavefront6targetE0EEEvT1_
	.p2align	8
	.type	_ZN7rocprim17ROCPRIM_400000_NS6detail17trampoline_kernelINS0_14default_configENS1_20scan_config_selectorIdEEZZNS1_9scan_implILNS1_25lookback_scan_determinismE0ELb0ELb0ES3_PKdPddZZZN2at6native31launch_logcumsumexp_cuda_kernelERKNSB_10TensorBaseESF_lENKUlvE_clEvENKUlvE_clEvEUlddE_dEEDaPvRmT3_T4_T5_mT6_P12ihipStream_tbENKUlT_T0_E_clISt17integral_constantIbLb1EESV_IbLb0EEEEDaSR_SS_EUlSR_E_NS1_11comp_targetILNS1_3genE5ELNS1_11target_archE942ELNS1_3gpuE9ELNS1_3repE0EEENS1_30default_config_static_selectorELNS0_4arch9wavefront6targetE0EEEvT1_,@function
_ZN7rocprim17ROCPRIM_400000_NS6detail17trampoline_kernelINS0_14default_configENS1_20scan_config_selectorIdEEZZNS1_9scan_implILNS1_25lookback_scan_determinismE0ELb0ELb0ES3_PKdPddZZZN2at6native31launch_logcumsumexp_cuda_kernelERKNSB_10TensorBaseESF_lENKUlvE_clEvENKUlvE_clEvEUlddE_dEEDaPvRmT3_T4_T5_mT6_P12ihipStream_tbENKUlT_T0_E_clISt17integral_constantIbLb1EESV_IbLb0EEEEDaSR_SS_EUlSR_E_NS1_11comp_targetILNS1_3genE5ELNS1_11target_archE942ELNS1_3gpuE9ELNS1_3repE0EEENS1_30default_config_static_selectorELNS0_4arch9wavefront6targetE0EEEvT1_: ; @_ZN7rocprim17ROCPRIM_400000_NS6detail17trampoline_kernelINS0_14default_configENS1_20scan_config_selectorIdEEZZNS1_9scan_implILNS1_25lookback_scan_determinismE0ELb0ELb0ES3_PKdPddZZZN2at6native31launch_logcumsumexp_cuda_kernelERKNSB_10TensorBaseESF_lENKUlvE_clEvENKUlvE_clEvEUlddE_dEEDaPvRmT3_T4_T5_mT6_P12ihipStream_tbENKUlT_T0_E_clISt17integral_constantIbLb1EESV_IbLb0EEEEDaSR_SS_EUlSR_E_NS1_11comp_targetILNS1_3genE5ELNS1_11target_archE942ELNS1_3gpuE9ELNS1_3repE0EEENS1_30default_config_static_selectorELNS0_4arch9wavefront6targetE0EEEvT1_
; %bb.0:
	.section	.rodata,"a",@progbits
	.p2align	6, 0x0
	.amdhsa_kernel _ZN7rocprim17ROCPRIM_400000_NS6detail17trampoline_kernelINS0_14default_configENS1_20scan_config_selectorIdEEZZNS1_9scan_implILNS1_25lookback_scan_determinismE0ELb0ELb0ES3_PKdPddZZZN2at6native31launch_logcumsumexp_cuda_kernelERKNSB_10TensorBaseESF_lENKUlvE_clEvENKUlvE_clEvEUlddE_dEEDaPvRmT3_T4_T5_mT6_P12ihipStream_tbENKUlT_T0_E_clISt17integral_constantIbLb1EESV_IbLb0EEEEDaSR_SS_EUlSR_E_NS1_11comp_targetILNS1_3genE5ELNS1_11target_archE942ELNS1_3gpuE9ELNS1_3repE0EEENS1_30default_config_static_selectorELNS0_4arch9wavefront6targetE0EEEvT1_
		.amdhsa_group_segment_fixed_size 0
		.amdhsa_private_segment_fixed_size 0
		.amdhsa_kernarg_size 104
		.amdhsa_user_sgpr_count 15
		.amdhsa_user_sgpr_dispatch_ptr 0
		.amdhsa_user_sgpr_queue_ptr 0
		.amdhsa_user_sgpr_kernarg_segment_ptr 1
		.amdhsa_user_sgpr_dispatch_id 0
		.amdhsa_user_sgpr_private_segment_size 0
		.amdhsa_wavefront_size32 1
		.amdhsa_uses_dynamic_stack 0
		.amdhsa_enable_private_segment 0
		.amdhsa_system_sgpr_workgroup_id_x 1
		.amdhsa_system_sgpr_workgroup_id_y 0
		.amdhsa_system_sgpr_workgroup_id_z 0
		.amdhsa_system_sgpr_workgroup_info 0
		.amdhsa_system_vgpr_workitem_id 0
		.amdhsa_next_free_vgpr 1
		.amdhsa_next_free_sgpr 1
		.amdhsa_reserve_vcc 0
		.amdhsa_float_round_mode_32 0
		.amdhsa_float_round_mode_16_64 0
		.amdhsa_float_denorm_mode_32 3
		.amdhsa_float_denorm_mode_16_64 3
		.amdhsa_dx10_clamp 1
		.amdhsa_ieee_mode 1
		.amdhsa_fp16_overflow 0
		.amdhsa_workgroup_processor_mode 1
		.amdhsa_memory_ordered 1
		.amdhsa_forward_progress 0
		.amdhsa_shared_vgpr_count 0
		.amdhsa_exception_fp_ieee_invalid_op 0
		.amdhsa_exception_fp_denorm_src 0
		.amdhsa_exception_fp_ieee_div_zero 0
		.amdhsa_exception_fp_ieee_overflow 0
		.amdhsa_exception_fp_ieee_underflow 0
		.amdhsa_exception_fp_ieee_inexact 0
		.amdhsa_exception_int_div_zero 0
	.end_amdhsa_kernel
	.section	.text._ZN7rocprim17ROCPRIM_400000_NS6detail17trampoline_kernelINS0_14default_configENS1_20scan_config_selectorIdEEZZNS1_9scan_implILNS1_25lookback_scan_determinismE0ELb0ELb0ES3_PKdPddZZZN2at6native31launch_logcumsumexp_cuda_kernelERKNSB_10TensorBaseESF_lENKUlvE_clEvENKUlvE_clEvEUlddE_dEEDaPvRmT3_T4_T5_mT6_P12ihipStream_tbENKUlT_T0_E_clISt17integral_constantIbLb1EESV_IbLb0EEEEDaSR_SS_EUlSR_E_NS1_11comp_targetILNS1_3genE5ELNS1_11target_archE942ELNS1_3gpuE9ELNS1_3repE0EEENS1_30default_config_static_selectorELNS0_4arch9wavefront6targetE0EEEvT1_,"axG",@progbits,_ZN7rocprim17ROCPRIM_400000_NS6detail17trampoline_kernelINS0_14default_configENS1_20scan_config_selectorIdEEZZNS1_9scan_implILNS1_25lookback_scan_determinismE0ELb0ELb0ES3_PKdPddZZZN2at6native31launch_logcumsumexp_cuda_kernelERKNSB_10TensorBaseESF_lENKUlvE_clEvENKUlvE_clEvEUlddE_dEEDaPvRmT3_T4_T5_mT6_P12ihipStream_tbENKUlT_T0_E_clISt17integral_constantIbLb1EESV_IbLb0EEEEDaSR_SS_EUlSR_E_NS1_11comp_targetILNS1_3genE5ELNS1_11target_archE942ELNS1_3gpuE9ELNS1_3repE0EEENS1_30default_config_static_selectorELNS0_4arch9wavefront6targetE0EEEvT1_,comdat
.Lfunc_end50:
	.size	_ZN7rocprim17ROCPRIM_400000_NS6detail17trampoline_kernelINS0_14default_configENS1_20scan_config_selectorIdEEZZNS1_9scan_implILNS1_25lookback_scan_determinismE0ELb0ELb0ES3_PKdPddZZZN2at6native31launch_logcumsumexp_cuda_kernelERKNSB_10TensorBaseESF_lENKUlvE_clEvENKUlvE_clEvEUlddE_dEEDaPvRmT3_T4_T5_mT6_P12ihipStream_tbENKUlT_T0_E_clISt17integral_constantIbLb1EESV_IbLb0EEEEDaSR_SS_EUlSR_E_NS1_11comp_targetILNS1_3genE5ELNS1_11target_archE942ELNS1_3gpuE9ELNS1_3repE0EEENS1_30default_config_static_selectorELNS0_4arch9wavefront6targetE0EEEvT1_, .Lfunc_end50-_ZN7rocprim17ROCPRIM_400000_NS6detail17trampoline_kernelINS0_14default_configENS1_20scan_config_selectorIdEEZZNS1_9scan_implILNS1_25lookback_scan_determinismE0ELb0ELb0ES3_PKdPddZZZN2at6native31launch_logcumsumexp_cuda_kernelERKNSB_10TensorBaseESF_lENKUlvE_clEvENKUlvE_clEvEUlddE_dEEDaPvRmT3_T4_T5_mT6_P12ihipStream_tbENKUlT_T0_E_clISt17integral_constantIbLb1EESV_IbLb0EEEEDaSR_SS_EUlSR_E_NS1_11comp_targetILNS1_3genE5ELNS1_11target_archE942ELNS1_3gpuE9ELNS1_3repE0EEENS1_30default_config_static_selectorELNS0_4arch9wavefront6targetE0EEEvT1_
                                        ; -- End function
	.section	.AMDGPU.csdata,"",@progbits
; Kernel info:
; codeLenInByte = 0
; NumSgprs: 0
; NumVgprs: 0
; ScratchSize: 0
; MemoryBound: 0
; FloatMode: 240
; IeeeMode: 1
; LDSByteSize: 0 bytes/workgroup (compile time only)
; SGPRBlocks: 0
; VGPRBlocks: 0
; NumSGPRsForWavesPerEU: 1
; NumVGPRsForWavesPerEU: 1
; Occupancy: 16
; WaveLimiterHint : 0
; COMPUTE_PGM_RSRC2:SCRATCH_EN: 0
; COMPUTE_PGM_RSRC2:USER_SGPR: 15
; COMPUTE_PGM_RSRC2:TRAP_HANDLER: 0
; COMPUTE_PGM_RSRC2:TGID_X_EN: 1
; COMPUTE_PGM_RSRC2:TGID_Y_EN: 0
; COMPUTE_PGM_RSRC2:TGID_Z_EN: 0
; COMPUTE_PGM_RSRC2:TIDIG_COMP_CNT: 0
	.section	.text._ZN7rocprim17ROCPRIM_400000_NS6detail17trampoline_kernelINS0_14default_configENS1_20scan_config_selectorIdEEZZNS1_9scan_implILNS1_25lookback_scan_determinismE0ELb0ELb0ES3_PKdPddZZZN2at6native31launch_logcumsumexp_cuda_kernelERKNSB_10TensorBaseESF_lENKUlvE_clEvENKUlvE_clEvEUlddE_dEEDaPvRmT3_T4_T5_mT6_P12ihipStream_tbENKUlT_T0_E_clISt17integral_constantIbLb1EESV_IbLb0EEEEDaSR_SS_EUlSR_E_NS1_11comp_targetILNS1_3genE4ELNS1_11target_archE910ELNS1_3gpuE8ELNS1_3repE0EEENS1_30default_config_static_selectorELNS0_4arch9wavefront6targetE0EEEvT1_,"axG",@progbits,_ZN7rocprim17ROCPRIM_400000_NS6detail17trampoline_kernelINS0_14default_configENS1_20scan_config_selectorIdEEZZNS1_9scan_implILNS1_25lookback_scan_determinismE0ELb0ELb0ES3_PKdPddZZZN2at6native31launch_logcumsumexp_cuda_kernelERKNSB_10TensorBaseESF_lENKUlvE_clEvENKUlvE_clEvEUlddE_dEEDaPvRmT3_T4_T5_mT6_P12ihipStream_tbENKUlT_T0_E_clISt17integral_constantIbLb1EESV_IbLb0EEEEDaSR_SS_EUlSR_E_NS1_11comp_targetILNS1_3genE4ELNS1_11target_archE910ELNS1_3gpuE8ELNS1_3repE0EEENS1_30default_config_static_selectorELNS0_4arch9wavefront6targetE0EEEvT1_,comdat
	.globl	_ZN7rocprim17ROCPRIM_400000_NS6detail17trampoline_kernelINS0_14default_configENS1_20scan_config_selectorIdEEZZNS1_9scan_implILNS1_25lookback_scan_determinismE0ELb0ELb0ES3_PKdPddZZZN2at6native31launch_logcumsumexp_cuda_kernelERKNSB_10TensorBaseESF_lENKUlvE_clEvENKUlvE_clEvEUlddE_dEEDaPvRmT3_T4_T5_mT6_P12ihipStream_tbENKUlT_T0_E_clISt17integral_constantIbLb1EESV_IbLb0EEEEDaSR_SS_EUlSR_E_NS1_11comp_targetILNS1_3genE4ELNS1_11target_archE910ELNS1_3gpuE8ELNS1_3repE0EEENS1_30default_config_static_selectorELNS0_4arch9wavefront6targetE0EEEvT1_ ; -- Begin function _ZN7rocprim17ROCPRIM_400000_NS6detail17trampoline_kernelINS0_14default_configENS1_20scan_config_selectorIdEEZZNS1_9scan_implILNS1_25lookback_scan_determinismE0ELb0ELb0ES3_PKdPddZZZN2at6native31launch_logcumsumexp_cuda_kernelERKNSB_10TensorBaseESF_lENKUlvE_clEvENKUlvE_clEvEUlddE_dEEDaPvRmT3_T4_T5_mT6_P12ihipStream_tbENKUlT_T0_E_clISt17integral_constantIbLb1EESV_IbLb0EEEEDaSR_SS_EUlSR_E_NS1_11comp_targetILNS1_3genE4ELNS1_11target_archE910ELNS1_3gpuE8ELNS1_3repE0EEENS1_30default_config_static_selectorELNS0_4arch9wavefront6targetE0EEEvT1_
	.p2align	8
	.type	_ZN7rocprim17ROCPRIM_400000_NS6detail17trampoline_kernelINS0_14default_configENS1_20scan_config_selectorIdEEZZNS1_9scan_implILNS1_25lookback_scan_determinismE0ELb0ELb0ES3_PKdPddZZZN2at6native31launch_logcumsumexp_cuda_kernelERKNSB_10TensorBaseESF_lENKUlvE_clEvENKUlvE_clEvEUlddE_dEEDaPvRmT3_T4_T5_mT6_P12ihipStream_tbENKUlT_T0_E_clISt17integral_constantIbLb1EESV_IbLb0EEEEDaSR_SS_EUlSR_E_NS1_11comp_targetILNS1_3genE4ELNS1_11target_archE910ELNS1_3gpuE8ELNS1_3repE0EEENS1_30default_config_static_selectorELNS0_4arch9wavefront6targetE0EEEvT1_,@function
_ZN7rocprim17ROCPRIM_400000_NS6detail17trampoline_kernelINS0_14default_configENS1_20scan_config_selectorIdEEZZNS1_9scan_implILNS1_25lookback_scan_determinismE0ELb0ELb0ES3_PKdPddZZZN2at6native31launch_logcumsumexp_cuda_kernelERKNSB_10TensorBaseESF_lENKUlvE_clEvENKUlvE_clEvEUlddE_dEEDaPvRmT3_T4_T5_mT6_P12ihipStream_tbENKUlT_T0_E_clISt17integral_constantIbLb1EESV_IbLb0EEEEDaSR_SS_EUlSR_E_NS1_11comp_targetILNS1_3genE4ELNS1_11target_archE910ELNS1_3gpuE8ELNS1_3repE0EEENS1_30default_config_static_selectorELNS0_4arch9wavefront6targetE0EEEvT1_: ; @_ZN7rocprim17ROCPRIM_400000_NS6detail17trampoline_kernelINS0_14default_configENS1_20scan_config_selectorIdEEZZNS1_9scan_implILNS1_25lookback_scan_determinismE0ELb0ELb0ES3_PKdPddZZZN2at6native31launch_logcumsumexp_cuda_kernelERKNSB_10TensorBaseESF_lENKUlvE_clEvENKUlvE_clEvEUlddE_dEEDaPvRmT3_T4_T5_mT6_P12ihipStream_tbENKUlT_T0_E_clISt17integral_constantIbLb1EESV_IbLb0EEEEDaSR_SS_EUlSR_E_NS1_11comp_targetILNS1_3genE4ELNS1_11target_archE910ELNS1_3gpuE8ELNS1_3repE0EEENS1_30default_config_static_selectorELNS0_4arch9wavefront6targetE0EEEvT1_
; %bb.0:
	.section	.rodata,"a",@progbits
	.p2align	6, 0x0
	.amdhsa_kernel _ZN7rocprim17ROCPRIM_400000_NS6detail17trampoline_kernelINS0_14default_configENS1_20scan_config_selectorIdEEZZNS1_9scan_implILNS1_25lookback_scan_determinismE0ELb0ELb0ES3_PKdPddZZZN2at6native31launch_logcumsumexp_cuda_kernelERKNSB_10TensorBaseESF_lENKUlvE_clEvENKUlvE_clEvEUlddE_dEEDaPvRmT3_T4_T5_mT6_P12ihipStream_tbENKUlT_T0_E_clISt17integral_constantIbLb1EESV_IbLb0EEEEDaSR_SS_EUlSR_E_NS1_11comp_targetILNS1_3genE4ELNS1_11target_archE910ELNS1_3gpuE8ELNS1_3repE0EEENS1_30default_config_static_selectorELNS0_4arch9wavefront6targetE0EEEvT1_
		.amdhsa_group_segment_fixed_size 0
		.amdhsa_private_segment_fixed_size 0
		.amdhsa_kernarg_size 104
		.amdhsa_user_sgpr_count 15
		.amdhsa_user_sgpr_dispatch_ptr 0
		.amdhsa_user_sgpr_queue_ptr 0
		.amdhsa_user_sgpr_kernarg_segment_ptr 1
		.amdhsa_user_sgpr_dispatch_id 0
		.amdhsa_user_sgpr_private_segment_size 0
		.amdhsa_wavefront_size32 1
		.amdhsa_uses_dynamic_stack 0
		.amdhsa_enable_private_segment 0
		.amdhsa_system_sgpr_workgroup_id_x 1
		.amdhsa_system_sgpr_workgroup_id_y 0
		.amdhsa_system_sgpr_workgroup_id_z 0
		.amdhsa_system_sgpr_workgroup_info 0
		.amdhsa_system_vgpr_workitem_id 0
		.amdhsa_next_free_vgpr 1
		.amdhsa_next_free_sgpr 1
		.amdhsa_reserve_vcc 0
		.amdhsa_float_round_mode_32 0
		.amdhsa_float_round_mode_16_64 0
		.amdhsa_float_denorm_mode_32 3
		.amdhsa_float_denorm_mode_16_64 3
		.amdhsa_dx10_clamp 1
		.amdhsa_ieee_mode 1
		.amdhsa_fp16_overflow 0
		.amdhsa_workgroup_processor_mode 1
		.amdhsa_memory_ordered 1
		.amdhsa_forward_progress 0
		.amdhsa_shared_vgpr_count 0
		.amdhsa_exception_fp_ieee_invalid_op 0
		.amdhsa_exception_fp_denorm_src 0
		.amdhsa_exception_fp_ieee_div_zero 0
		.amdhsa_exception_fp_ieee_overflow 0
		.amdhsa_exception_fp_ieee_underflow 0
		.amdhsa_exception_fp_ieee_inexact 0
		.amdhsa_exception_int_div_zero 0
	.end_amdhsa_kernel
	.section	.text._ZN7rocprim17ROCPRIM_400000_NS6detail17trampoline_kernelINS0_14default_configENS1_20scan_config_selectorIdEEZZNS1_9scan_implILNS1_25lookback_scan_determinismE0ELb0ELb0ES3_PKdPddZZZN2at6native31launch_logcumsumexp_cuda_kernelERKNSB_10TensorBaseESF_lENKUlvE_clEvENKUlvE_clEvEUlddE_dEEDaPvRmT3_T4_T5_mT6_P12ihipStream_tbENKUlT_T0_E_clISt17integral_constantIbLb1EESV_IbLb0EEEEDaSR_SS_EUlSR_E_NS1_11comp_targetILNS1_3genE4ELNS1_11target_archE910ELNS1_3gpuE8ELNS1_3repE0EEENS1_30default_config_static_selectorELNS0_4arch9wavefront6targetE0EEEvT1_,"axG",@progbits,_ZN7rocprim17ROCPRIM_400000_NS6detail17trampoline_kernelINS0_14default_configENS1_20scan_config_selectorIdEEZZNS1_9scan_implILNS1_25lookback_scan_determinismE0ELb0ELb0ES3_PKdPddZZZN2at6native31launch_logcumsumexp_cuda_kernelERKNSB_10TensorBaseESF_lENKUlvE_clEvENKUlvE_clEvEUlddE_dEEDaPvRmT3_T4_T5_mT6_P12ihipStream_tbENKUlT_T0_E_clISt17integral_constantIbLb1EESV_IbLb0EEEEDaSR_SS_EUlSR_E_NS1_11comp_targetILNS1_3genE4ELNS1_11target_archE910ELNS1_3gpuE8ELNS1_3repE0EEENS1_30default_config_static_selectorELNS0_4arch9wavefront6targetE0EEEvT1_,comdat
.Lfunc_end51:
	.size	_ZN7rocprim17ROCPRIM_400000_NS6detail17trampoline_kernelINS0_14default_configENS1_20scan_config_selectorIdEEZZNS1_9scan_implILNS1_25lookback_scan_determinismE0ELb0ELb0ES3_PKdPddZZZN2at6native31launch_logcumsumexp_cuda_kernelERKNSB_10TensorBaseESF_lENKUlvE_clEvENKUlvE_clEvEUlddE_dEEDaPvRmT3_T4_T5_mT6_P12ihipStream_tbENKUlT_T0_E_clISt17integral_constantIbLb1EESV_IbLb0EEEEDaSR_SS_EUlSR_E_NS1_11comp_targetILNS1_3genE4ELNS1_11target_archE910ELNS1_3gpuE8ELNS1_3repE0EEENS1_30default_config_static_selectorELNS0_4arch9wavefront6targetE0EEEvT1_, .Lfunc_end51-_ZN7rocprim17ROCPRIM_400000_NS6detail17trampoline_kernelINS0_14default_configENS1_20scan_config_selectorIdEEZZNS1_9scan_implILNS1_25lookback_scan_determinismE0ELb0ELb0ES3_PKdPddZZZN2at6native31launch_logcumsumexp_cuda_kernelERKNSB_10TensorBaseESF_lENKUlvE_clEvENKUlvE_clEvEUlddE_dEEDaPvRmT3_T4_T5_mT6_P12ihipStream_tbENKUlT_T0_E_clISt17integral_constantIbLb1EESV_IbLb0EEEEDaSR_SS_EUlSR_E_NS1_11comp_targetILNS1_3genE4ELNS1_11target_archE910ELNS1_3gpuE8ELNS1_3repE0EEENS1_30default_config_static_selectorELNS0_4arch9wavefront6targetE0EEEvT1_
                                        ; -- End function
	.section	.AMDGPU.csdata,"",@progbits
; Kernel info:
; codeLenInByte = 0
; NumSgprs: 0
; NumVgprs: 0
; ScratchSize: 0
; MemoryBound: 0
; FloatMode: 240
; IeeeMode: 1
; LDSByteSize: 0 bytes/workgroup (compile time only)
; SGPRBlocks: 0
; VGPRBlocks: 0
; NumSGPRsForWavesPerEU: 1
; NumVGPRsForWavesPerEU: 1
; Occupancy: 16
; WaveLimiterHint : 0
; COMPUTE_PGM_RSRC2:SCRATCH_EN: 0
; COMPUTE_PGM_RSRC2:USER_SGPR: 15
; COMPUTE_PGM_RSRC2:TRAP_HANDLER: 0
; COMPUTE_PGM_RSRC2:TGID_X_EN: 1
; COMPUTE_PGM_RSRC2:TGID_Y_EN: 0
; COMPUTE_PGM_RSRC2:TGID_Z_EN: 0
; COMPUTE_PGM_RSRC2:TIDIG_COMP_CNT: 0
	.section	.text._ZN7rocprim17ROCPRIM_400000_NS6detail17trampoline_kernelINS0_14default_configENS1_20scan_config_selectorIdEEZZNS1_9scan_implILNS1_25lookback_scan_determinismE0ELb0ELb0ES3_PKdPddZZZN2at6native31launch_logcumsumexp_cuda_kernelERKNSB_10TensorBaseESF_lENKUlvE_clEvENKUlvE_clEvEUlddE_dEEDaPvRmT3_T4_T5_mT6_P12ihipStream_tbENKUlT_T0_E_clISt17integral_constantIbLb1EESV_IbLb0EEEEDaSR_SS_EUlSR_E_NS1_11comp_targetILNS1_3genE3ELNS1_11target_archE908ELNS1_3gpuE7ELNS1_3repE0EEENS1_30default_config_static_selectorELNS0_4arch9wavefront6targetE0EEEvT1_,"axG",@progbits,_ZN7rocprim17ROCPRIM_400000_NS6detail17trampoline_kernelINS0_14default_configENS1_20scan_config_selectorIdEEZZNS1_9scan_implILNS1_25lookback_scan_determinismE0ELb0ELb0ES3_PKdPddZZZN2at6native31launch_logcumsumexp_cuda_kernelERKNSB_10TensorBaseESF_lENKUlvE_clEvENKUlvE_clEvEUlddE_dEEDaPvRmT3_T4_T5_mT6_P12ihipStream_tbENKUlT_T0_E_clISt17integral_constantIbLb1EESV_IbLb0EEEEDaSR_SS_EUlSR_E_NS1_11comp_targetILNS1_3genE3ELNS1_11target_archE908ELNS1_3gpuE7ELNS1_3repE0EEENS1_30default_config_static_selectorELNS0_4arch9wavefront6targetE0EEEvT1_,comdat
	.globl	_ZN7rocprim17ROCPRIM_400000_NS6detail17trampoline_kernelINS0_14default_configENS1_20scan_config_selectorIdEEZZNS1_9scan_implILNS1_25lookback_scan_determinismE0ELb0ELb0ES3_PKdPddZZZN2at6native31launch_logcumsumexp_cuda_kernelERKNSB_10TensorBaseESF_lENKUlvE_clEvENKUlvE_clEvEUlddE_dEEDaPvRmT3_T4_T5_mT6_P12ihipStream_tbENKUlT_T0_E_clISt17integral_constantIbLb1EESV_IbLb0EEEEDaSR_SS_EUlSR_E_NS1_11comp_targetILNS1_3genE3ELNS1_11target_archE908ELNS1_3gpuE7ELNS1_3repE0EEENS1_30default_config_static_selectorELNS0_4arch9wavefront6targetE0EEEvT1_ ; -- Begin function _ZN7rocprim17ROCPRIM_400000_NS6detail17trampoline_kernelINS0_14default_configENS1_20scan_config_selectorIdEEZZNS1_9scan_implILNS1_25lookback_scan_determinismE0ELb0ELb0ES3_PKdPddZZZN2at6native31launch_logcumsumexp_cuda_kernelERKNSB_10TensorBaseESF_lENKUlvE_clEvENKUlvE_clEvEUlddE_dEEDaPvRmT3_T4_T5_mT6_P12ihipStream_tbENKUlT_T0_E_clISt17integral_constantIbLb1EESV_IbLb0EEEEDaSR_SS_EUlSR_E_NS1_11comp_targetILNS1_3genE3ELNS1_11target_archE908ELNS1_3gpuE7ELNS1_3repE0EEENS1_30default_config_static_selectorELNS0_4arch9wavefront6targetE0EEEvT1_
	.p2align	8
	.type	_ZN7rocprim17ROCPRIM_400000_NS6detail17trampoline_kernelINS0_14default_configENS1_20scan_config_selectorIdEEZZNS1_9scan_implILNS1_25lookback_scan_determinismE0ELb0ELb0ES3_PKdPddZZZN2at6native31launch_logcumsumexp_cuda_kernelERKNSB_10TensorBaseESF_lENKUlvE_clEvENKUlvE_clEvEUlddE_dEEDaPvRmT3_T4_T5_mT6_P12ihipStream_tbENKUlT_T0_E_clISt17integral_constantIbLb1EESV_IbLb0EEEEDaSR_SS_EUlSR_E_NS1_11comp_targetILNS1_3genE3ELNS1_11target_archE908ELNS1_3gpuE7ELNS1_3repE0EEENS1_30default_config_static_selectorELNS0_4arch9wavefront6targetE0EEEvT1_,@function
_ZN7rocprim17ROCPRIM_400000_NS6detail17trampoline_kernelINS0_14default_configENS1_20scan_config_selectorIdEEZZNS1_9scan_implILNS1_25lookback_scan_determinismE0ELb0ELb0ES3_PKdPddZZZN2at6native31launch_logcumsumexp_cuda_kernelERKNSB_10TensorBaseESF_lENKUlvE_clEvENKUlvE_clEvEUlddE_dEEDaPvRmT3_T4_T5_mT6_P12ihipStream_tbENKUlT_T0_E_clISt17integral_constantIbLb1EESV_IbLb0EEEEDaSR_SS_EUlSR_E_NS1_11comp_targetILNS1_3genE3ELNS1_11target_archE908ELNS1_3gpuE7ELNS1_3repE0EEENS1_30default_config_static_selectorELNS0_4arch9wavefront6targetE0EEEvT1_: ; @_ZN7rocprim17ROCPRIM_400000_NS6detail17trampoline_kernelINS0_14default_configENS1_20scan_config_selectorIdEEZZNS1_9scan_implILNS1_25lookback_scan_determinismE0ELb0ELb0ES3_PKdPddZZZN2at6native31launch_logcumsumexp_cuda_kernelERKNSB_10TensorBaseESF_lENKUlvE_clEvENKUlvE_clEvEUlddE_dEEDaPvRmT3_T4_T5_mT6_P12ihipStream_tbENKUlT_T0_E_clISt17integral_constantIbLb1EESV_IbLb0EEEEDaSR_SS_EUlSR_E_NS1_11comp_targetILNS1_3genE3ELNS1_11target_archE908ELNS1_3gpuE7ELNS1_3repE0EEENS1_30default_config_static_selectorELNS0_4arch9wavefront6targetE0EEEvT1_
; %bb.0:
	.section	.rodata,"a",@progbits
	.p2align	6, 0x0
	.amdhsa_kernel _ZN7rocprim17ROCPRIM_400000_NS6detail17trampoline_kernelINS0_14default_configENS1_20scan_config_selectorIdEEZZNS1_9scan_implILNS1_25lookback_scan_determinismE0ELb0ELb0ES3_PKdPddZZZN2at6native31launch_logcumsumexp_cuda_kernelERKNSB_10TensorBaseESF_lENKUlvE_clEvENKUlvE_clEvEUlddE_dEEDaPvRmT3_T4_T5_mT6_P12ihipStream_tbENKUlT_T0_E_clISt17integral_constantIbLb1EESV_IbLb0EEEEDaSR_SS_EUlSR_E_NS1_11comp_targetILNS1_3genE3ELNS1_11target_archE908ELNS1_3gpuE7ELNS1_3repE0EEENS1_30default_config_static_selectorELNS0_4arch9wavefront6targetE0EEEvT1_
		.amdhsa_group_segment_fixed_size 0
		.amdhsa_private_segment_fixed_size 0
		.amdhsa_kernarg_size 104
		.amdhsa_user_sgpr_count 15
		.amdhsa_user_sgpr_dispatch_ptr 0
		.amdhsa_user_sgpr_queue_ptr 0
		.amdhsa_user_sgpr_kernarg_segment_ptr 1
		.amdhsa_user_sgpr_dispatch_id 0
		.amdhsa_user_sgpr_private_segment_size 0
		.amdhsa_wavefront_size32 1
		.amdhsa_uses_dynamic_stack 0
		.amdhsa_enable_private_segment 0
		.amdhsa_system_sgpr_workgroup_id_x 1
		.amdhsa_system_sgpr_workgroup_id_y 0
		.amdhsa_system_sgpr_workgroup_id_z 0
		.amdhsa_system_sgpr_workgroup_info 0
		.amdhsa_system_vgpr_workitem_id 0
		.amdhsa_next_free_vgpr 1
		.amdhsa_next_free_sgpr 1
		.amdhsa_reserve_vcc 0
		.amdhsa_float_round_mode_32 0
		.amdhsa_float_round_mode_16_64 0
		.amdhsa_float_denorm_mode_32 3
		.amdhsa_float_denorm_mode_16_64 3
		.amdhsa_dx10_clamp 1
		.amdhsa_ieee_mode 1
		.amdhsa_fp16_overflow 0
		.amdhsa_workgroup_processor_mode 1
		.amdhsa_memory_ordered 1
		.amdhsa_forward_progress 0
		.amdhsa_shared_vgpr_count 0
		.amdhsa_exception_fp_ieee_invalid_op 0
		.amdhsa_exception_fp_denorm_src 0
		.amdhsa_exception_fp_ieee_div_zero 0
		.amdhsa_exception_fp_ieee_overflow 0
		.amdhsa_exception_fp_ieee_underflow 0
		.amdhsa_exception_fp_ieee_inexact 0
		.amdhsa_exception_int_div_zero 0
	.end_amdhsa_kernel
	.section	.text._ZN7rocprim17ROCPRIM_400000_NS6detail17trampoline_kernelINS0_14default_configENS1_20scan_config_selectorIdEEZZNS1_9scan_implILNS1_25lookback_scan_determinismE0ELb0ELb0ES3_PKdPddZZZN2at6native31launch_logcumsumexp_cuda_kernelERKNSB_10TensorBaseESF_lENKUlvE_clEvENKUlvE_clEvEUlddE_dEEDaPvRmT3_T4_T5_mT6_P12ihipStream_tbENKUlT_T0_E_clISt17integral_constantIbLb1EESV_IbLb0EEEEDaSR_SS_EUlSR_E_NS1_11comp_targetILNS1_3genE3ELNS1_11target_archE908ELNS1_3gpuE7ELNS1_3repE0EEENS1_30default_config_static_selectorELNS0_4arch9wavefront6targetE0EEEvT1_,"axG",@progbits,_ZN7rocprim17ROCPRIM_400000_NS6detail17trampoline_kernelINS0_14default_configENS1_20scan_config_selectorIdEEZZNS1_9scan_implILNS1_25lookback_scan_determinismE0ELb0ELb0ES3_PKdPddZZZN2at6native31launch_logcumsumexp_cuda_kernelERKNSB_10TensorBaseESF_lENKUlvE_clEvENKUlvE_clEvEUlddE_dEEDaPvRmT3_T4_T5_mT6_P12ihipStream_tbENKUlT_T0_E_clISt17integral_constantIbLb1EESV_IbLb0EEEEDaSR_SS_EUlSR_E_NS1_11comp_targetILNS1_3genE3ELNS1_11target_archE908ELNS1_3gpuE7ELNS1_3repE0EEENS1_30default_config_static_selectorELNS0_4arch9wavefront6targetE0EEEvT1_,comdat
.Lfunc_end52:
	.size	_ZN7rocprim17ROCPRIM_400000_NS6detail17trampoline_kernelINS0_14default_configENS1_20scan_config_selectorIdEEZZNS1_9scan_implILNS1_25lookback_scan_determinismE0ELb0ELb0ES3_PKdPddZZZN2at6native31launch_logcumsumexp_cuda_kernelERKNSB_10TensorBaseESF_lENKUlvE_clEvENKUlvE_clEvEUlddE_dEEDaPvRmT3_T4_T5_mT6_P12ihipStream_tbENKUlT_T0_E_clISt17integral_constantIbLb1EESV_IbLb0EEEEDaSR_SS_EUlSR_E_NS1_11comp_targetILNS1_3genE3ELNS1_11target_archE908ELNS1_3gpuE7ELNS1_3repE0EEENS1_30default_config_static_selectorELNS0_4arch9wavefront6targetE0EEEvT1_, .Lfunc_end52-_ZN7rocprim17ROCPRIM_400000_NS6detail17trampoline_kernelINS0_14default_configENS1_20scan_config_selectorIdEEZZNS1_9scan_implILNS1_25lookback_scan_determinismE0ELb0ELb0ES3_PKdPddZZZN2at6native31launch_logcumsumexp_cuda_kernelERKNSB_10TensorBaseESF_lENKUlvE_clEvENKUlvE_clEvEUlddE_dEEDaPvRmT3_T4_T5_mT6_P12ihipStream_tbENKUlT_T0_E_clISt17integral_constantIbLb1EESV_IbLb0EEEEDaSR_SS_EUlSR_E_NS1_11comp_targetILNS1_3genE3ELNS1_11target_archE908ELNS1_3gpuE7ELNS1_3repE0EEENS1_30default_config_static_selectorELNS0_4arch9wavefront6targetE0EEEvT1_
                                        ; -- End function
	.section	.AMDGPU.csdata,"",@progbits
; Kernel info:
; codeLenInByte = 0
; NumSgprs: 0
; NumVgprs: 0
; ScratchSize: 0
; MemoryBound: 0
; FloatMode: 240
; IeeeMode: 1
; LDSByteSize: 0 bytes/workgroup (compile time only)
; SGPRBlocks: 0
; VGPRBlocks: 0
; NumSGPRsForWavesPerEU: 1
; NumVGPRsForWavesPerEU: 1
; Occupancy: 16
; WaveLimiterHint : 0
; COMPUTE_PGM_RSRC2:SCRATCH_EN: 0
; COMPUTE_PGM_RSRC2:USER_SGPR: 15
; COMPUTE_PGM_RSRC2:TRAP_HANDLER: 0
; COMPUTE_PGM_RSRC2:TGID_X_EN: 1
; COMPUTE_PGM_RSRC2:TGID_Y_EN: 0
; COMPUTE_PGM_RSRC2:TGID_Z_EN: 0
; COMPUTE_PGM_RSRC2:TIDIG_COMP_CNT: 0
	.section	.text._ZN7rocprim17ROCPRIM_400000_NS6detail17trampoline_kernelINS0_14default_configENS1_20scan_config_selectorIdEEZZNS1_9scan_implILNS1_25lookback_scan_determinismE0ELb0ELb0ES3_PKdPddZZZN2at6native31launch_logcumsumexp_cuda_kernelERKNSB_10TensorBaseESF_lENKUlvE_clEvENKUlvE_clEvEUlddE_dEEDaPvRmT3_T4_T5_mT6_P12ihipStream_tbENKUlT_T0_E_clISt17integral_constantIbLb1EESV_IbLb0EEEEDaSR_SS_EUlSR_E_NS1_11comp_targetILNS1_3genE2ELNS1_11target_archE906ELNS1_3gpuE6ELNS1_3repE0EEENS1_30default_config_static_selectorELNS0_4arch9wavefront6targetE0EEEvT1_,"axG",@progbits,_ZN7rocprim17ROCPRIM_400000_NS6detail17trampoline_kernelINS0_14default_configENS1_20scan_config_selectorIdEEZZNS1_9scan_implILNS1_25lookback_scan_determinismE0ELb0ELb0ES3_PKdPddZZZN2at6native31launch_logcumsumexp_cuda_kernelERKNSB_10TensorBaseESF_lENKUlvE_clEvENKUlvE_clEvEUlddE_dEEDaPvRmT3_T4_T5_mT6_P12ihipStream_tbENKUlT_T0_E_clISt17integral_constantIbLb1EESV_IbLb0EEEEDaSR_SS_EUlSR_E_NS1_11comp_targetILNS1_3genE2ELNS1_11target_archE906ELNS1_3gpuE6ELNS1_3repE0EEENS1_30default_config_static_selectorELNS0_4arch9wavefront6targetE0EEEvT1_,comdat
	.globl	_ZN7rocprim17ROCPRIM_400000_NS6detail17trampoline_kernelINS0_14default_configENS1_20scan_config_selectorIdEEZZNS1_9scan_implILNS1_25lookback_scan_determinismE0ELb0ELb0ES3_PKdPddZZZN2at6native31launch_logcumsumexp_cuda_kernelERKNSB_10TensorBaseESF_lENKUlvE_clEvENKUlvE_clEvEUlddE_dEEDaPvRmT3_T4_T5_mT6_P12ihipStream_tbENKUlT_T0_E_clISt17integral_constantIbLb1EESV_IbLb0EEEEDaSR_SS_EUlSR_E_NS1_11comp_targetILNS1_3genE2ELNS1_11target_archE906ELNS1_3gpuE6ELNS1_3repE0EEENS1_30default_config_static_selectorELNS0_4arch9wavefront6targetE0EEEvT1_ ; -- Begin function _ZN7rocprim17ROCPRIM_400000_NS6detail17trampoline_kernelINS0_14default_configENS1_20scan_config_selectorIdEEZZNS1_9scan_implILNS1_25lookback_scan_determinismE0ELb0ELb0ES3_PKdPddZZZN2at6native31launch_logcumsumexp_cuda_kernelERKNSB_10TensorBaseESF_lENKUlvE_clEvENKUlvE_clEvEUlddE_dEEDaPvRmT3_T4_T5_mT6_P12ihipStream_tbENKUlT_T0_E_clISt17integral_constantIbLb1EESV_IbLb0EEEEDaSR_SS_EUlSR_E_NS1_11comp_targetILNS1_3genE2ELNS1_11target_archE906ELNS1_3gpuE6ELNS1_3repE0EEENS1_30default_config_static_selectorELNS0_4arch9wavefront6targetE0EEEvT1_
	.p2align	8
	.type	_ZN7rocprim17ROCPRIM_400000_NS6detail17trampoline_kernelINS0_14default_configENS1_20scan_config_selectorIdEEZZNS1_9scan_implILNS1_25lookback_scan_determinismE0ELb0ELb0ES3_PKdPddZZZN2at6native31launch_logcumsumexp_cuda_kernelERKNSB_10TensorBaseESF_lENKUlvE_clEvENKUlvE_clEvEUlddE_dEEDaPvRmT3_T4_T5_mT6_P12ihipStream_tbENKUlT_T0_E_clISt17integral_constantIbLb1EESV_IbLb0EEEEDaSR_SS_EUlSR_E_NS1_11comp_targetILNS1_3genE2ELNS1_11target_archE906ELNS1_3gpuE6ELNS1_3repE0EEENS1_30default_config_static_selectorELNS0_4arch9wavefront6targetE0EEEvT1_,@function
_ZN7rocprim17ROCPRIM_400000_NS6detail17trampoline_kernelINS0_14default_configENS1_20scan_config_selectorIdEEZZNS1_9scan_implILNS1_25lookback_scan_determinismE0ELb0ELb0ES3_PKdPddZZZN2at6native31launch_logcumsumexp_cuda_kernelERKNSB_10TensorBaseESF_lENKUlvE_clEvENKUlvE_clEvEUlddE_dEEDaPvRmT3_T4_T5_mT6_P12ihipStream_tbENKUlT_T0_E_clISt17integral_constantIbLb1EESV_IbLb0EEEEDaSR_SS_EUlSR_E_NS1_11comp_targetILNS1_3genE2ELNS1_11target_archE906ELNS1_3gpuE6ELNS1_3repE0EEENS1_30default_config_static_selectorELNS0_4arch9wavefront6targetE0EEEvT1_: ; @_ZN7rocprim17ROCPRIM_400000_NS6detail17trampoline_kernelINS0_14default_configENS1_20scan_config_selectorIdEEZZNS1_9scan_implILNS1_25lookback_scan_determinismE0ELb0ELb0ES3_PKdPddZZZN2at6native31launch_logcumsumexp_cuda_kernelERKNSB_10TensorBaseESF_lENKUlvE_clEvENKUlvE_clEvEUlddE_dEEDaPvRmT3_T4_T5_mT6_P12ihipStream_tbENKUlT_T0_E_clISt17integral_constantIbLb1EESV_IbLb0EEEEDaSR_SS_EUlSR_E_NS1_11comp_targetILNS1_3genE2ELNS1_11target_archE906ELNS1_3gpuE6ELNS1_3repE0EEENS1_30default_config_static_selectorELNS0_4arch9wavefront6targetE0EEEvT1_
; %bb.0:
	.section	.rodata,"a",@progbits
	.p2align	6, 0x0
	.amdhsa_kernel _ZN7rocprim17ROCPRIM_400000_NS6detail17trampoline_kernelINS0_14default_configENS1_20scan_config_selectorIdEEZZNS1_9scan_implILNS1_25lookback_scan_determinismE0ELb0ELb0ES3_PKdPddZZZN2at6native31launch_logcumsumexp_cuda_kernelERKNSB_10TensorBaseESF_lENKUlvE_clEvENKUlvE_clEvEUlddE_dEEDaPvRmT3_T4_T5_mT6_P12ihipStream_tbENKUlT_T0_E_clISt17integral_constantIbLb1EESV_IbLb0EEEEDaSR_SS_EUlSR_E_NS1_11comp_targetILNS1_3genE2ELNS1_11target_archE906ELNS1_3gpuE6ELNS1_3repE0EEENS1_30default_config_static_selectorELNS0_4arch9wavefront6targetE0EEEvT1_
		.amdhsa_group_segment_fixed_size 0
		.amdhsa_private_segment_fixed_size 0
		.amdhsa_kernarg_size 104
		.amdhsa_user_sgpr_count 15
		.amdhsa_user_sgpr_dispatch_ptr 0
		.amdhsa_user_sgpr_queue_ptr 0
		.amdhsa_user_sgpr_kernarg_segment_ptr 1
		.amdhsa_user_sgpr_dispatch_id 0
		.amdhsa_user_sgpr_private_segment_size 0
		.amdhsa_wavefront_size32 1
		.amdhsa_uses_dynamic_stack 0
		.amdhsa_enable_private_segment 0
		.amdhsa_system_sgpr_workgroup_id_x 1
		.amdhsa_system_sgpr_workgroup_id_y 0
		.amdhsa_system_sgpr_workgroup_id_z 0
		.amdhsa_system_sgpr_workgroup_info 0
		.amdhsa_system_vgpr_workitem_id 0
		.amdhsa_next_free_vgpr 1
		.amdhsa_next_free_sgpr 1
		.amdhsa_reserve_vcc 0
		.amdhsa_float_round_mode_32 0
		.amdhsa_float_round_mode_16_64 0
		.amdhsa_float_denorm_mode_32 3
		.amdhsa_float_denorm_mode_16_64 3
		.amdhsa_dx10_clamp 1
		.amdhsa_ieee_mode 1
		.amdhsa_fp16_overflow 0
		.amdhsa_workgroup_processor_mode 1
		.amdhsa_memory_ordered 1
		.amdhsa_forward_progress 0
		.amdhsa_shared_vgpr_count 0
		.amdhsa_exception_fp_ieee_invalid_op 0
		.amdhsa_exception_fp_denorm_src 0
		.amdhsa_exception_fp_ieee_div_zero 0
		.amdhsa_exception_fp_ieee_overflow 0
		.amdhsa_exception_fp_ieee_underflow 0
		.amdhsa_exception_fp_ieee_inexact 0
		.amdhsa_exception_int_div_zero 0
	.end_amdhsa_kernel
	.section	.text._ZN7rocprim17ROCPRIM_400000_NS6detail17trampoline_kernelINS0_14default_configENS1_20scan_config_selectorIdEEZZNS1_9scan_implILNS1_25lookback_scan_determinismE0ELb0ELb0ES3_PKdPddZZZN2at6native31launch_logcumsumexp_cuda_kernelERKNSB_10TensorBaseESF_lENKUlvE_clEvENKUlvE_clEvEUlddE_dEEDaPvRmT3_T4_T5_mT6_P12ihipStream_tbENKUlT_T0_E_clISt17integral_constantIbLb1EESV_IbLb0EEEEDaSR_SS_EUlSR_E_NS1_11comp_targetILNS1_3genE2ELNS1_11target_archE906ELNS1_3gpuE6ELNS1_3repE0EEENS1_30default_config_static_selectorELNS0_4arch9wavefront6targetE0EEEvT1_,"axG",@progbits,_ZN7rocprim17ROCPRIM_400000_NS6detail17trampoline_kernelINS0_14default_configENS1_20scan_config_selectorIdEEZZNS1_9scan_implILNS1_25lookback_scan_determinismE0ELb0ELb0ES3_PKdPddZZZN2at6native31launch_logcumsumexp_cuda_kernelERKNSB_10TensorBaseESF_lENKUlvE_clEvENKUlvE_clEvEUlddE_dEEDaPvRmT3_T4_T5_mT6_P12ihipStream_tbENKUlT_T0_E_clISt17integral_constantIbLb1EESV_IbLb0EEEEDaSR_SS_EUlSR_E_NS1_11comp_targetILNS1_3genE2ELNS1_11target_archE906ELNS1_3gpuE6ELNS1_3repE0EEENS1_30default_config_static_selectorELNS0_4arch9wavefront6targetE0EEEvT1_,comdat
.Lfunc_end53:
	.size	_ZN7rocprim17ROCPRIM_400000_NS6detail17trampoline_kernelINS0_14default_configENS1_20scan_config_selectorIdEEZZNS1_9scan_implILNS1_25lookback_scan_determinismE0ELb0ELb0ES3_PKdPddZZZN2at6native31launch_logcumsumexp_cuda_kernelERKNSB_10TensorBaseESF_lENKUlvE_clEvENKUlvE_clEvEUlddE_dEEDaPvRmT3_T4_T5_mT6_P12ihipStream_tbENKUlT_T0_E_clISt17integral_constantIbLb1EESV_IbLb0EEEEDaSR_SS_EUlSR_E_NS1_11comp_targetILNS1_3genE2ELNS1_11target_archE906ELNS1_3gpuE6ELNS1_3repE0EEENS1_30default_config_static_selectorELNS0_4arch9wavefront6targetE0EEEvT1_, .Lfunc_end53-_ZN7rocprim17ROCPRIM_400000_NS6detail17trampoline_kernelINS0_14default_configENS1_20scan_config_selectorIdEEZZNS1_9scan_implILNS1_25lookback_scan_determinismE0ELb0ELb0ES3_PKdPddZZZN2at6native31launch_logcumsumexp_cuda_kernelERKNSB_10TensorBaseESF_lENKUlvE_clEvENKUlvE_clEvEUlddE_dEEDaPvRmT3_T4_T5_mT6_P12ihipStream_tbENKUlT_T0_E_clISt17integral_constantIbLb1EESV_IbLb0EEEEDaSR_SS_EUlSR_E_NS1_11comp_targetILNS1_3genE2ELNS1_11target_archE906ELNS1_3gpuE6ELNS1_3repE0EEENS1_30default_config_static_selectorELNS0_4arch9wavefront6targetE0EEEvT1_
                                        ; -- End function
	.section	.AMDGPU.csdata,"",@progbits
; Kernel info:
; codeLenInByte = 0
; NumSgprs: 0
; NumVgprs: 0
; ScratchSize: 0
; MemoryBound: 0
; FloatMode: 240
; IeeeMode: 1
; LDSByteSize: 0 bytes/workgroup (compile time only)
; SGPRBlocks: 0
; VGPRBlocks: 0
; NumSGPRsForWavesPerEU: 1
; NumVGPRsForWavesPerEU: 1
; Occupancy: 16
; WaveLimiterHint : 0
; COMPUTE_PGM_RSRC2:SCRATCH_EN: 0
; COMPUTE_PGM_RSRC2:USER_SGPR: 15
; COMPUTE_PGM_RSRC2:TRAP_HANDLER: 0
; COMPUTE_PGM_RSRC2:TGID_X_EN: 1
; COMPUTE_PGM_RSRC2:TGID_Y_EN: 0
; COMPUTE_PGM_RSRC2:TGID_Z_EN: 0
; COMPUTE_PGM_RSRC2:TIDIG_COMP_CNT: 0
	.section	.text._ZN7rocprim17ROCPRIM_400000_NS6detail17trampoline_kernelINS0_14default_configENS1_20scan_config_selectorIdEEZZNS1_9scan_implILNS1_25lookback_scan_determinismE0ELb0ELb0ES3_PKdPddZZZN2at6native31launch_logcumsumexp_cuda_kernelERKNSB_10TensorBaseESF_lENKUlvE_clEvENKUlvE_clEvEUlddE_dEEDaPvRmT3_T4_T5_mT6_P12ihipStream_tbENKUlT_T0_E_clISt17integral_constantIbLb1EESV_IbLb0EEEEDaSR_SS_EUlSR_E_NS1_11comp_targetILNS1_3genE10ELNS1_11target_archE1201ELNS1_3gpuE5ELNS1_3repE0EEENS1_30default_config_static_selectorELNS0_4arch9wavefront6targetE0EEEvT1_,"axG",@progbits,_ZN7rocprim17ROCPRIM_400000_NS6detail17trampoline_kernelINS0_14default_configENS1_20scan_config_selectorIdEEZZNS1_9scan_implILNS1_25lookback_scan_determinismE0ELb0ELb0ES3_PKdPddZZZN2at6native31launch_logcumsumexp_cuda_kernelERKNSB_10TensorBaseESF_lENKUlvE_clEvENKUlvE_clEvEUlddE_dEEDaPvRmT3_T4_T5_mT6_P12ihipStream_tbENKUlT_T0_E_clISt17integral_constantIbLb1EESV_IbLb0EEEEDaSR_SS_EUlSR_E_NS1_11comp_targetILNS1_3genE10ELNS1_11target_archE1201ELNS1_3gpuE5ELNS1_3repE0EEENS1_30default_config_static_selectorELNS0_4arch9wavefront6targetE0EEEvT1_,comdat
	.globl	_ZN7rocprim17ROCPRIM_400000_NS6detail17trampoline_kernelINS0_14default_configENS1_20scan_config_selectorIdEEZZNS1_9scan_implILNS1_25lookback_scan_determinismE0ELb0ELb0ES3_PKdPddZZZN2at6native31launch_logcumsumexp_cuda_kernelERKNSB_10TensorBaseESF_lENKUlvE_clEvENKUlvE_clEvEUlddE_dEEDaPvRmT3_T4_T5_mT6_P12ihipStream_tbENKUlT_T0_E_clISt17integral_constantIbLb1EESV_IbLb0EEEEDaSR_SS_EUlSR_E_NS1_11comp_targetILNS1_3genE10ELNS1_11target_archE1201ELNS1_3gpuE5ELNS1_3repE0EEENS1_30default_config_static_selectorELNS0_4arch9wavefront6targetE0EEEvT1_ ; -- Begin function _ZN7rocprim17ROCPRIM_400000_NS6detail17trampoline_kernelINS0_14default_configENS1_20scan_config_selectorIdEEZZNS1_9scan_implILNS1_25lookback_scan_determinismE0ELb0ELb0ES3_PKdPddZZZN2at6native31launch_logcumsumexp_cuda_kernelERKNSB_10TensorBaseESF_lENKUlvE_clEvENKUlvE_clEvEUlddE_dEEDaPvRmT3_T4_T5_mT6_P12ihipStream_tbENKUlT_T0_E_clISt17integral_constantIbLb1EESV_IbLb0EEEEDaSR_SS_EUlSR_E_NS1_11comp_targetILNS1_3genE10ELNS1_11target_archE1201ELNS1_3gpuE5ELNS1_3repE0EEENS1_30default_config_static_selectorELNS0_4arch9wavefront6targetE0EEEvT1_
	.p2align	8
	.type	_ZN7rocprim17ROCPRIM_400000_NS6detail17trampoline_kernelINS0_14default_configENS1_20scan_config_selectorIdEEZZNS1_9scan_implILNS1_25lookback_scan_determinismE0ELb0ELb0ES3_PKdPddZZZN2at6native31launch_logcumsumexp_cuda_kernelERKNSB_10TensorBaseESF_lENKUlvE_clEvENKUlvE_clEvEUlddE_dEEDaPvRmT3_T4_T5_mT6_P12ihipStream_tbENKUlT_T0_E_clISt17integral_constantIbLb1EESV_IbLb0EEEEDaSR_SS_EUlSR_E_NS1_11comp_targetILNS1_3genE10ELNS1_11target_archE1201ELNS1_3gpuE5ELNS1_3repE0EEENS1_30default_config_static_selectorELNS0_4arch9wavefront6targetE0EEEvT1_,@function
_ZN7rocprim17ROCPRIM_400000_NS6detail17trampoline_kernelINS0_14default_configENS1_20scan_config_selectorIdEEZZNS1_9scan_implILNS1_25lookback_scan_determinismE0ELb0ELb0ES3_PKdPddZZZN2at6native31launch_logcumsumexp_cuda_kernelERKNSB_10TensorBaseESF_lENKUlvE_clEvENKUlvE_clEvEUlddE_dEEDaPvRmT3_T4_T5_mT6_P12ihipStream_tbENKUlT_T0_E_clISt17integral_constantIbLb1EESV_IbLb0EEEEDaSR_SS_EUlSR_E_NS1_11comp_targetILNS1_3genE10ELNS1_11target_archE1201ELNS1_3gpuE5ELNS1_3repE0EEENS1_30default_config_static_selectorELNS0_4arch9wavefront6targetE0EEEvT1_: ; @_ZN7rocprim17ROCPRIM_400000_NS6detail17trampoline_kernelINS0_14default_configENS1_20scan_config_selectorIdEEZZNS1_9scan_implILNS1_25lookback_scan_determinismE0ELb0ELb0ES3_PKdPddZZZN2at6native31launch_logcumsumexp_cuda_kernelERKNSB_10TensorBaseESF_lENKUlvE_clEvENKUlvE_clEvEUlddE_dEEDaPvRmT3_T4_T5_mT6_P12ihipStream_tbENKUlT_T0_E_clISt17integral_constantIbLb1EESV_IbLb0EEEEDaSR_SS_EUlSR_E_NS1_11comp_targetILNS1_3genE10ELNS1_11target_archE1201ELNS1_3gpuE5ELNS1_3repE0EEENS1_30default_config_static_selectorELNS0_4arch9wavefront6targetE0EEEvT1_
; %bb.0:
	.section	.rodata,"a",@progbits
	.p2align	6, 0x0
	.amdhsa_kernel _ZN7rocprim17ROCPRIM_400000_NS6detail17trampoline_kernelINS0_14default_configENS1_20scan_config_selectorIdEEZZNS1_9scan_implILNS1_25lookback_scan_determinismE0ELb0ELb0ES3_PKdPddZZZN2at6native31launch_logcumsumexp_cuda_kernelERKNSB_10TensorBaseESF_lENKUlvE_clEvENKUlvE_clEvEUlddE_dEEDaPvRmT3_T4_T5_mT6_P12ihipStream_tbENKUlT_T0_E_clISt17integral_constantIbLb1EESV_IbLb0EEEEDaSR_SS_EUlSR_E_NS1_11comp_targetILNS1_3genE10ELNS1_11target_archE1201ELNS1_3gpuE5ELNS1_3repE0EEENS1_30default_config_static_selectorELNS0_4arch9wavefront6targetE0EEEvT1_
		.amdhsa_group_segment_fixed_size 0
		.amdhsa_private_segment_fixed_size 0
		.amdhsa_kernarg_size 104
		.amdhsa_user_sgpr_count 15
		.amdhsa_user_sgpr_dispatch_ptr 0
		.amdhsa_user_sgpr_queue_ptr 0
		.amdhsa_user_sgpr_kernarg_segment_ptr 1
		.amdhsa_user_sgpr_dispatch_id 0
		.amdhsa_user_sgpr_private_segment_size 0
		.amdhsa_wavefront_size32 1
		.amdhsa_uses_dynamic_stack 0
		.amdhsa_enable_private_segment 0
		.amdhsa_system_sgpr_workgroup_id_x 1
		.amdhsa_system_sgpr_workgroup_id_y 0
		.amdhsa_system_sgpr_workgroup_id_z 0
		.amdhsa_system_sgpr_workgroup_info 0
		.amdhsa_system_vgpr_workitem_id 0
		.amdhsa_next_free_vgpr 1
		.amdhsa_next_free_sgpr 1
		.amdhsa_reserve_vcc 0
		.amdhsa_float_round_mode_32 0
		.amdhsa_float_round_mode_16_64 0
		.amdhsa_float_denorm_mode_32 3
		.amdhsa_float_denorm_mode_16_64 3
		.amdhsa_dx10_clamp 1
		.amdhsa_ieee_mode 1
		.amdhsa_fp16_overflow 0
		.amdhsa_workgroup_processor_mode 1
		.amdhsa_memory_ordered 1
		.amdhsa_forward_progress 0
		.amdhsa_shared_vgpr_count 0
		.amdhsa_exception_fp_ieee_invalid_op 0
		.amdhsa_exception_fp_denorm_src 0
		.amdhsa_exception_fp_ieee_div_zero 0
		.amdhsa_exception_fp_ieee_overflow 0
		.amdhsa_exception_fp_ieee_underflow 0
		.amdhsa_exception_fp_ieee_inexact 0
		.amdhsa_exception_int_div_zero 0
	.end_amdhsa_kernel
	.section	.text._ZN7rocprim17ROCPRIM_400000_NS6detail17trampoline_kernelINS0_14default_configENS1_20scan_config_selectorIdEEZZNS1_9scan_implILNS1_25lookback_scan_determinismE0ELb0ELb0ES3_PKdPddZZZN2at6native31launch_logcumsumexp_cuda_kernelERKNSB_10TensorBaseESF_lENKUlvE_clEvENKUlvE_clEvEUlddE_dEEDaPvRmT3_T4_T5_mT6_P12ihipStream_tbENKUlT_T0_E_clISt17integral_constantIbLb1EESV_IbLb0EEEEDaSR_SS_EUlSR_E_NS1_11comp_targetILNS1_3genE10ELNS1_11target_archE1201ELNS1_3gpuE5ELNS1_3repE0EEENS1_30default_config_static_selectorELNS0_4arch9wavefront6targetE0EEEvT1_,"axG",@progbits,_ZN7rocprim17ROCPRIM_400000_NS6detail17trampoline_kernelINS0_14default_configENS1_20scan_config_selectorIdEEZZNS1_9scan_implILNS1_25lookback_scan_determinismE0ELb0ELb0ES3_PKdPddZZZN2at6native31launch_logcumsumexp_cuda_kernelERKNSB_10TensorBaseESF_lENKUlvE_clEvENKUlvE_clEvEUlddE_dEEDaPvRmT3_T4_T5_mT6_P12ihipStream_tbENKUlT_T0_E_clISt17integral_constantIbLb1EESV_IbLb0EEEEDaSR_SS_EUlSR_E_NS1_11comp_targetILNS1_3genE10ELNS1_11target_archE1201ELNS1_3gpuE5ELNS1_3repE0EEENS1_30default_config_static_selectorELNS0_4arch9wavefront6targetE0EEEvT1_,comdat
.Lfunc_end54:
	.size	_ZN7rocprim17ROCPRIM_400000_NS6detail17trampoline_kernelINS0_14default_configENS1_20scan_config_selectorIdEEZZNS1_9scan_implILNS1_25lookback_scan_determinismE0ELb0ELb0ES3_PKdPddZZZN2at6native31launch_logcumsumexp_cuda_kernelERKNSB_10TensorBaseESF_lENKUlvE_clEvENKUlvE_clEvEUlddE_dEEDaPvRmT3_T4_T5_mT6_P12ihipStream_tbENKUlT_T0_E_clISt17integral_constantIbLb1EESV_IbLb0EEEEDaSR_SS_EUlSR_E_NS1_11comp_targetILNS1_3genE10ELNS1_11target_archE1201ELNS1_3gpuE5ELNS1_3repE0EEENS1_30default_config_static_selectorELNS0_4arch9wavefront6targetE0EEEvT1_, .Lfunc_end54-_ZN7rocprim17ROCPRIM_400000_NS6detail17trampoline_kernelINS0_14default_configENS1_20scan_config_selectorIdEEZZNS1_9scan_implILNS1_25lookback_scan_determinismE0ELb0ELb0ES3_PKdPddZZZN2at6native31launch_logcumsumexp_cuda_kernelERKNSB_10TensorBaseESF_lENKUlvE_clEvENKUlvE_clEvEUlddE_dEEDaPvRmT3_T4_T5_mT6_P12ihipStream_tbENKUlT_T0_E_clISt17integral_constantIbLb1EESV_IbLb0EEEEDaSR_SS_EUlSR_E_NS1_11comp_targetILNS1_3genE10ELNS1_11target_archE1201ELNS1_3gpuE5ELNS1_3repE0EEENS1_30default_config_static_selectorELNS0_4arch9wavefront6targetE0EEEvT1_
                                        ; -- End function
	.section	.AMDGPU.csdata,"",@progbits
; Kernel info:
; codeLenInByte = 0
; NumSgprs: 0
; NumVgprs: 0
; ScratchSize: 0
; MemoryBound: 0
; FloatMode: 240
; IeeeMode: 1
; LDSByteSize: 0 bytes/workgroup (compile time only)
; SGPRBlocks: 0
; VGPRBlocks: 0
; NumSGPRsForWavesPerEU: 1
; NumVGPRsForWavesPerEU: 1
; Occupancy: 16
; WaveLimiterHint : 0
; COMPUTE_PGM_RSRC2:SCRATCH_EN: 0
; COMPUTE_PGM_RSRC2:USER_SGPR: 15
; COMPUTE_PGM_RSRC2:TRAP_HANDLER: 0
; COMPUTE_PGM_RSRC2:TGID_X_EN: 1
; COMPUTE_PGM_RSRC2:TGID_Y_EN: 0
; COMPUTE_PGM_RSRC2:TGID_Z_EN: 0
; COMPUTE_PGM_RSRC2:TIDIG_COMP_CNT: 0
	.section	.text._ZN7rocprim17ROCPRIM_400000_NS6detail17trampoline_kernelINS0_14default_configENS1_20scan_config_selectorIdEEZZNS1_9scan_implILNS1_25lookback_scan_determinismE0ELb0ELb0ES3_PKdPddZZZN2at6native31launch_logcumsumexp_cuda_kernelERKNSB_10TensorBaseESF_lENKUlvE_clEvENKUlvE_clEvEUlddE_dEEDaPvRmT3_T4_T5_mT6_P12ihipStream_tbENKUlT_T0_E_clISt17integral_constantIbLb1EESV_IbLb0EEEEDaSR_SS_EUlSR_E_NS1_11comp_targetILNS1_3genE10ELNS1_11target_archE1200ELNS1_3gpuE4ELNS1_3repE0EEENS1_30default_config_static_selectorELNS0_4arch9wavefront6targetE0EEEvT1_,"axG",@progbits,_ZN7rocprim17ROCPRIM_400000_NS6detail17trampoline_kernelINS0_14default_configENS1_20scan_config_selectorIdEEZZNS1_9scan_implILNS1_25lookback_scan_determinismE0ELb0ELb0ES3_PKdPddZZZN2at6native31launch_logcumsumexp_cuda_kernelERKNSB_10TensorBaseESF_lENKUlvE_clEvENKUlvE_clEvEUlddE_dEEDaPvRmT3_T4_T5_mT6_P12ihipStream_tbENKUlT_T0_E_clISt17integral_constantIbLb1EESV_IbLb0EEEEDaSR_SS_EUlSR_E_NS1_11comp_targetILNS1_3genE10ELNS1_11target_archE1200ELNS1_3gpuE4ELNS1_3repE0EEENS1_30default_config_static_selectorELNS0_4arch9wavefront6targetE0EEEvT1_,comdat
	.globl	_ZN7rocprim17ROCPRIM_400000_NS6detail17trampoline_kernelINS0_14default_configENS1_20scan_config_selectorIdEEZZNS1_9scan_implILNS1_25lookback_scan_determinismE0ELb0ELb0ES3_PKdPddZZZN2at6native31launch_logcumsumexp_cuda_kernelERKNSB_10TensorBaseESF_lENKUlvE_clEvENKUlvE_clEvEUlddE_dEEDaPvRmT3_T4_T5_mT6_P12ihipStream_tbENKUlT_T0_E_clISt17integral_constantIbLb1EESV_IbLb0EEEEDaSR_SS_EUlSR_E_NS1_11comp_targetILNS1_3genE10ELNS1_11target_archE1200ELNS1_3gpuE4ELNS1_3repE0EEENS1_30default_config_static_selectorELNS0_4arch9wavefront6targetE0EEEvT1_ ; -- Begin function _ZN7rocprim17ROCPRIM_400000_NS6detail17trampoline_kernelINS0_14default_configENS1_20scan_config_selectorIdEEZZNS1_9scan_implILNS1_25lookback_scan_determinismE0ELb0ELb0ES3_PKdPddZZZN2at6native31launch_logcumsumexp_cuda_kernelERKNSB_10TensorBaseESF_lENKUlvE_clEvENKUlvE_clEvEUlddE_dEEDaPvRmT3_T4_T5_mT6_P12ihipStream_tbENKUlT_T0_E_clISt17integral_constantIbLb1EESV_IbLb0EEEEDaSR_SS_EUlSR_E_NS1_11comp_targetILNS1_3genE10ELNS1_11target_archE1200ELNS1_3gpuE4ELNS1_3repE0EEENS1_30default_config_static_selectorELNS0_4arch9wavefront6targetE0EEEvT1_
	.p2align	8
	.type	_ZN7rocprim17ROCPRIM_400000_NS6detail17trampoline_kernelINS0_14default_configENS1_20scan_config_selectorIdEEZZNS1_9scan_implILNS1_25lookback_scan_determinismE0ELb0ELb0ES3_PKdPddZZZN2at6native31launch_logcumsumexp_cuda_kernelERKNSB_10TensorBaseESF_lENKUlvE_clEvENKUlvE_clEvEUlddE_dEEDaPvRmT3_T4_T5_mT6_P12ihipStream_tbENKUlT_T0_E_clISt17integral_constantIbLb1EESV_IbLb0EEEEDaSR_SS_EUlSR_E_NS1_11comp_targetILNS1_3genE10ELNS1_11target_archE1200ELNS1_3gpuE4ELNS1_3repE0EEENS1_30default_config_static_selectorELNS0_4arch9wavefront6targetE0EEEvT1_,@function
_ZN7rocprim17ROCPRIM_400000_NS6detail17trampoline_kernelINS0_14default_configENS1_20scan_config_selectorIdEEZZNS1_9scan_implILNS1_25lookback_scan_determinismE0ELb0ELb0ES3_PKdPddZZZN2at6native31launch_logcumsumexp_cuda_kernelERKNSB_10TensorBaseESF_lENKUlvE_clEvENKUlvE_clEvEUlddE_dEEDaPvRmT3_T4_T5_mT6_P12ihipStream_tbENKUlT_T0_E_clISt17integral_constantIbLb1EESV_IbLb0EEEEDaSR_SS_EUlSR_E_NS1_11comp_targetILNS1_3genE10ELNS1_11target_archE1200ELNS1_3gpuE4ELNS1_3repE0EEENS1_30default_config_static_selectorELNS0_4arch9wavefront6targetE0EEEvT1_: ; @_ZN7rocprim17ROCPRIM_400000_NS6detail17trampoline_kernelINS0_14default_configENS1_20scan_config_selectorIdEEZZNS1_9scan_implILNS1_25lookback_scan_determinismE0ELb0ELb0ES3_PKdPddZZZN2at6native31launch_logcumsumexp_cuda_kernelERKNSB_10TensorBaseESF_lENKUlvE_clEvENKUlvE_clEvEUlddE_dEEDaPvRmT3_T4_T5_mT6_P12ihipStream_tbENKUlT_T0_E_clISt17integral_constantIbLb1EESV_IbLb0EEEEDaSR_SS_EUlSR_E_NS1_11comp_targetILNS1_3genE10ELNS1_11target_archE1200ELNS1_3gpuE4ELNS1_3repE0EEENS1_30default_config_static_selectorELNS0_4arch9wavefront6targetE0EEEvT1_
; %bb.0:
	.section	.rodata,"a",@progbits
	.p2align	6, 0x0
	.amdhsa_kernel _ZN7rocprim17ROCPRIM_400000_NS6detail17trampoline_kernelINS0_14default_configENS1_20scan_config_selectorIdEEZZNS1_9scan_implILNS1_25lookback_scan_determinismE0ELb0ELb0ES3_PKdPddZZZN2at6native31launch_logcumsumexp_cuda_kernelERKNSB_10TensorBaseESF_lENKUlvE_clEvENKUlvE_clEvEUlddE_dEEDaPvRmT3_T4_T5_mT6_P12ihipStream_tbENKUlT_T0_E_clISt17integral_constantIbLb1EESV_IbLb0EEEEDaSR_SS_EUlSR_E_NS1_11comp_targetILNS1_3genE10ELNS1_11target_archE1200ELNS1_3gpuE4ELNS1_3repE0EEENS1_30default_config_static_selectorELNS0_4arch9wavefront6targetE0EEEvT1_
		.amdhsa_group_segment_fixed_size 0
		.amdhsa_private_segment_fixed_size 0
		.amdhsa_kernarg_size 104
		.amdhsa_user_sgpr_count 15
		.amdhsa_user_sgpr_dispatch_ptr 0
		.amdhsa_user_sgpr_queue_ptr 0
		.amdhsa_user_sgpr_kernarg_segment_ptr 1
		.amdhsa_user_sgpr_dispatch_id 0
		.amdhsa_user_sgpr_private_segment_size 0
		.amdhsa_wavefront_size32 1
		.amdhsa_uses_dynamic_stack 0
		.amdhsa_enable_private_segment 0
		.amdhsa_system_sgpr_workgroup_id_x 1
		.amdhsa_system_sgpr_workgroup_id_y 0
		.amdhsa_system_sgpr_workgroup_id_z 0
		.amdhsa_system_sgpr_workgroup_info 0
		.amdhsa_system_vgpr_workitem_id 0
		.amdhsa_next_free_vgpr 1
		.amdhsa_next_free_sgpr 1
		.amdhsa_reserve_vcc 0
		.amdhsa_float_round_mode_32 0
		.amdhsa_float_round_mode_16_64 0
		.amdhsa_float_denorm_mode_32 3
		.amdhsa_float_denorm_mode_16_64 3
		.amdhsa_dx10_clamp 1
		.amdhsa_ieee_mode 1
		.amdhsa_fp16_overflow 0
		.amdhsa_workgroup_processor_mode 1
		.amdhsa_memory_ordered 1
		.amdhsa_forward_progress 0
		.amdhsa_shared_vgpr_count 0
		.amdhsa_exception_fp_ieee_invalid_op 0
		.amdhsa_exception_fp_denorm_src 0
		.amdhsa_exception_fp_ieee_div_zero 0
		.amdhsa_exception_fp_ieee_overflow 0
		.amdhsa_exception_fp_ieee_underflow 0
		.amdhsa_exception_fp_ieee_inexact 0
		.amdhsa_exception_int_div_zero 0
	.end_amdhsa_kernel
	.section	.text._ZN7rocprim17ROCPRIM_400000_NS6detail17trampoline_kernelINS0_14default_configENS1_20scan_config_selectorIdEEZZNS1_9scan_implILNS1_25lookback_scan_determinismE0ELb0ELb0ES3_PKdPddZZZN2at6native31launch_logcumsumexp_cuda_kernelERKNSB_10TensorBaseESF_lENKUlvE_clEvENKUlvE_clEvEUlddE_dEEDaPvRmT3_T4_T5_mT6_P12ihipStream_tbENKUlT_T0_E_clISt17integral_constantIbLb1EESV_IbLb0EEEEDaSR_SS_EUlSR_E_NS1_11comp_targetILNS1_3genE10ELNS1_11target_archE1200ELNS1_3gpuE4ELNS1_3repE0EEENS1_30default_config_static_selectorELNS0_4arch9wavefront6targetE0EEEvT1_,"axG",@progbits,_ZN7rocprim17ROCPRIM_400000_NS6detail17trampoline_kernelINS0_14default_configENS1_20scan_config_selectorIdEEZZNS1_9scan_implILNS1_25lookback_scan_determinismE0ELb0ELb0ES3_PKdPddZZZN2at6native31launch_logcumsumexp_cuda_kernelERKNSB_10TensorBaseESF_lENKUlvE_clEvENKUlvE_clEvEUlddE_dEEDaPvRmT3_T4_T5_mT6_P12ihipStream_tbENKUlT_T0_E_clISt17integral_constantIbLb1EESV_IbLb0EEEEDaSR_SS_EUlSR_E_NS1_11comp_targetILNS1_3genE10ELNS1_11target_archE1200ELNS1_3gpuE4ELNS1_3repE0EEENS1_30default_config_static_selectorELNS0_4arch9wavefront6targetE0EEEvT1_,comdat
.Lfunc_end55:
	.size	_ZN7rocprim17ROCPRIM_400000_NS6detail17trampoline_kernelINS0_14default_configENS1_20scan_config_selectorIdEEZZNS1_9scan_implILNS1_25lookback_scan_determinismE0ELb0ELb0ES3_PKdPddZZZN2at6native31launch_logcumsumexp_cuda_kernelERKNSB_10TensorBaseESF_lENKUlvE_clEvENKUlvE_clEvEUlddE_dEEDaPvRmT3_T4_T5_mT6_P12ihipStream_tbENKUlT_T0_E_clISt17integral_constantIbLb1EESV_IbLb0EEEEDaSR_SS_EUlSR_E_NS1_11comp_targetILNS1_3genE10ELNS1_11target_archE1200ELNS1_3gpuE4ELNS1_3repE0EEENS1_30default_config_static_selectorELNS0_4arch9wavefront6targetE0EEEvT1_, .Lfunc_end55-_ZN7rocprim17ROCPRIM_400000_NS6detail17trampoline_kernelINS0_14default_configENS1_20scan_config_selectorIdEEZZNS1_9scan_implILNS1_25lookback_scan_determinismE0ELb0ELb0ES3_PKdPddZZZN2at6native31launch_logcumsumexp_cuda_kernelERKNSB_10TensorBaseESF_lENKUlvE_clEvENKUlvE_clEvEUlddE_dEEDaPvRmT3_T4_T5_mT6_P12ihipStream_tbENKUlT_T0_E_clISt17integral_constantIbLb1EESV_IbLb0EEEEDaSR_SS_EUlSR_E_NS1_11comp_targetILNS1_3genE10ELNS1_11target_archE1200ELNS1_3gpuE4ELNS1_3repE0EEENS1_30default_config_static_selectorELNS0_4arch9wavefront6targetE0EEEvT1_
                                        ; -- End function
	.section	.AMDGPU.csdata,"",@progbits
; Kernel info:
; codeLenInByte = 0
; NumSgprs: 0
; NumVgprs: 0
; ScratchSize: 0
; MemoryBound: 0
; FloatMode: 240
; IeeeMode: 1
; LDSByteSize: 0 bytes/workgroup (compile time only)
; SGPRBlocks: 0
; VGPRBlocks: 0
; NumSGPRsForWavesPerEU: 1
; NumVGPRsForWavesPerEU: 1
; Occupancy: 16
; WaveLimiterHint : 0
; COMPUTE_PGM_RSRC2:SCRATCH_EN: 0
; COMPUTE_PGM_RSRC2:USER_SGPR: 15
; COMPUTE_PGM_RSRC2:TRAP_HANDLER: 0
; COMPUTE_PGM_RSRC2:TGID_X_EN: 1
; COMPUTE_PGM_RSRC2:TGID_Y_EN: 0
; COMPUTE_PGM_RSRC2:TGID_Z_EN: 0
; COMPUTE_PGM_RSRC2:TIDIG_COMP_CNT: 0
	.text
	.p2align	2                               ; -- Begin function _ZZZN7rocprim17ROCPRIM_400000_NS6detail9scan_implILNS1_25lookback_scan_determinismE0ELb0ELb0ENS0_14default_configEPKdPddZZZN2at6native31launch_logcumsumexp_cuda_kernelERKNS8_10TensorBaseESC_lENKUlvE_clEvENKUlvE_clEvEUlddE_dEEDaPvRmT3_T4_T5_mT6_P12ihipStream_tbENKUlT_T0_E_clISt17integral_constantIbLb1EESS_IbLb0EEEEDaSO_SP_ENKUlSO_E_clINS1_13target_configIS4_NS1_20scan_config_selectorIdEENS1_11comp_targetILNS1_3genE9ELNS1_11target_archE1100ELNS1_3gpuE3ELNS1_3repE0EEELNS0_4arch9wavefront6targetE0EEEEEDaSO_
	.type	_ZZZN7rocprim17ROCPRIM_400000_NS6detail9scan_implILNS1_25lookback_scan_determinismE0ELb0ELb0ENS0_14default_configEPKdPddZZZN2at6native31launch_logcumsumexp_cuda_kernelERKNS8_10TensorBaseESC_lENKUlvE_clEvENKUlvE_clEvEUlddE_dEEDaPvRmT3_T4_T5_mT6_P12ihipStream_tbENKUlT_T0_E_clISt17integral_constantIbLb1EESS_IbLb0EEEEDaSO_SP_ENKUlSO_E_clINS1_13target_configIS4_NS1_20scan_config_selectorIdEENS1_11comp_targetILNS1_3genE9ELNS1_11target_archE1100ELNS1_3gpuE3ELNS1_3repE0EEELNS0_4arch9wavefront6targetE0EEEEEDaSO_,@function
_ZZZN7rocprim17ROCPRIM_400000_NS6detail9scan_implILNS1_25lookback_scan_determinismE0ELb0ELb0ENS0_14default_configEPKdPddZZZN2at6native31launch_logcumsumexp_cuda_kernelERKNS8_10TensorBaseESC_lENKUlvE_clEvENKUlvE_clEvEUlddE_dEEDaPvRmT3_T4_T5_mT6_P12ihipStream_tbENKUlT_T0_E_clISt17integral_constantIbLb1EESS_IbLb0EEEEDaSO_SP_ENKUlSO_E_clINS1_13target_configIS4_NS1_20scan_config_selectorIdEENS1_11comp_targetILNS1_3genE9ELNS1_11target_archE1100ELNS1_3gpuE3ELNS1_3repE0EEELNS0_4arch9wavefront6targetE0EEEEEDaSO_: ; @_ZZZN7rocprim17ROCPRIM_400000_NS6detail9scan_implILNS1_25lookback_scan_determinismE0ELb0ELb0ENS0_14default_configEPKdPddZZZN2at6native31launch_logcumsumexp_cuda_kernelERKNS8_10TensorBaseESC_lENKUlvE_clEvENKUlvE_clEvEUlddE_dEEDaPvRmT3_T4_T5_mT6_P12ihipStream_tbENKUlT_T0_E_clISt17integral_constantIbLb1EESS_IbLb0EEEEDaSO_SP_ENKUlSO_E_clINS1_13target_configIS4_NS1_20scan_config_selectorIdEENS1_11comp_targetILNS1_3genE9ELNS1_11target_archE1100ELNS1_3gpuE3ELNS1_3repE0EEELNS0_4arch9wavefront6targetE0EEEEEDaSO_
; %bb.0:
	s_waitcnt vmcnt(0) expcnt(0) lgkmcnt(0)
	s_or_saveexec_b32 s0, -1
	scratch_store_b32 off, v44, s32         ; 4-byte Folded Spill
	s_mov_b32 exec_lo, s0
	v_writelane_b32 v44, s30, 0
	v_writelane_b32 v44, s31, 1
	s_clause 0x4
	flat_load_b96 v[116:118], v[0:1] offset:48
	flat_load_b128 v[2:5], v[0:1]
	flat_load_b128 v[52:55], v[0:1] offset:16
	flat_load_b128 v[36:39], v[0:1] offset:64
	;; [unrolled: 1-line block ×3, first 2 shown]
	s_mov_b32 s1, 0
	s_lshl_b32 s0, s12, 12
	v_and_b32_e32 v128, 0x3ff, v31
	s_lshl_b64 s[22:23], s[0:1], 3
	s_delay_alu instid0(VALU_DEP_1)
	v_lshlrev_b32_e32 v195, 3, v128
	v_lshrrev_b32_e32 v34, 2, v128
	v_add_nc_u32_e32 v199, 0x100, v128
	v_add_nc_u32_e32 v198, 0x200, v128
	v_add_nc_u32_e32 v197, 0x300, v128
	v_or_b32_e32 v196, 0x400, v128
	v_add_nc_u32_e32 v194, 0x500, v128
	v_add_nc_u32_e32 v193, 0x600, v128
	v_add_nc_u32_e32 v192, 0x700, v128
	v_or_b32_e32 v183, 0x800, v128
	;; [unrolled: 4-line block ×3, first 2 shown]
	v_add_nc_u32_e32 v176, 0xd00, v128
	v_add_nc_u32_e32 v167, 0xe00, v128
	;; [unrolled: 1-line block ×3, first 2 shown]
	s_waitcnt vmcnt(4) lgkmcnt(4)
	v_add_nc_u32_e32 v0, -1, v118
	s_waitcnt vmcnt(3) lgkmcnt(3)
	v_lshlrev_b64 v[118:119], 3, v[4:5]
	s_delay_alu instid0(VALU_DEP_2) | instskip(SKIP_1) | instid1(VALU_DEP_3)
	v_lshlrev_b32_e32 v1, 12, v0
	v_cmp_ne_u32_e64 s0, s12, v0
	v_add_co_u32 v0, vcc_lo, v2, v118
	s_delay_alu instid0(VALU_DEP_4)
	v_add_co_ci_u32_e32 v2, vcc_lo, v3, v119, vcc_lo
	s_waitcnt vmcnt(2) lgkmcnt(2)
	v_sub_co_u32 v181, vcc_lo, v54, v1
	v_subrev_co_ci_u32_e32 v182, vcc_lo, 0, v55, vcc_lo
	v_add_co_u32 v30, vcc_lo, v0, s22
	v_add_co_ci_u32_e32 v31, vcc_lo, s23, v2, vcc_lo
	s_and_saveexec_b32 s1, s0
	s_delay_alu instid0(SALU_CYCLE_1)
	s_xor_b32 s1, exec_lo, s1
	s_cbranch_execz .LBB56_2
; %bb.1:
	v_add_co_u32 v0, vcc_lo, v30, v195
	v_add_co_ci_u32_e32 v1, vcc_lo, 0, v31, vcc_lo
	v_lshrrev_b32_e32 v33, 2, v199
	s_delay_alu instid0(VALU_DEP_3) | instskip(NEXT) | instid1(VALU_DEP_3)
	v_add_co_u32 v2, vcc_lo, 0x1000, v0
	v_add_co_ci_u32_e32 v3, vcc_lo, 0, v1, vcc_lo
	v_add_co_u32 v4, vcc_lo, 0x2000, v0
	v_add_co_ci_u32_e32 v5, vcc_lo, 0, v1, vcc_lo
	;; [unrolled: 2-line block ×6, first 2 shown]
	s_clause 0x7
	flat_load_b64 v[8:9], v[0:1]
	flat_load_b64 v[10:11], v[0:1] offset:2048
	flat_load_b64 v[12:13], v[2:3]
	flat_load_b64 v[2:3], v[2:3] offset:2048
	;; [unrolled: 2-line block ×4, first 2 shown]
	v_add_co_u32 v0, vcc_lo, 0x7000, v0
	v_add_co_ci_u32_e32 v1, vcc_lo, 0, v1, vcc_lo
	s_clause 0x7
	flat_load_b64 v[24:25], v[18:19]
	flat_load_b64 v[18:19], v[18:19] offset:2048
	flat_load_b64 v[26:27], v[20:21]
	flat_load_b64 v[20:21], v[20:21] offset:2048
	;; [unrolled: 2-line block ×4, first 2 shown]
	v_and_b32_e32 v32, 0xf8, v34
	v_lshrrev_b32_e32 v34, 2, v198
	v_lshrrev_b32_e32 v35, 2, v197
	;; [unrolled: 1-line block ×14, first 2 shown]
	v_and_b32_e32 v33, 0x1f8, v33
	v_and_b32_e32 v34, 0x1f8, v34
	;; [unrolled: 1-line block ×4, first 2 shown]
	v_add_nc_u32_e32 v32, v32, v195
	v_and_b32_e32 v55, 0x3f8, v55
	v_and_b32_e32 v64, 0x3f8, v64
	;; [unrolled: 1-line block ×11, first 2 shown]
	v_add_nc_u32_e32 v33, v33, v195
	v_add_nc_u32_e32 v34, v34, v195
	;; [unrolled: 1-line block ×15, first 2 shown]
	s_waitcnt vmcnt(15) lgkmcnt(15)
	ds_store_b64 v32, v[8:9]
	s_waitcnt vmcnt(14) lgkmcnt(15)
	ds_store_b64 v33, v[10:11] offset:2048
	s_waitcnt vmcnt(13) lgkmcnt(15)
	ds_store_b64 v34, v[12:13] offset:4096
	;; [unrolled: 2-line block ×15, first 2 shown]
	s_waitcnt lgkmcnt(0)
	s_waitcnt_vscnt null, 0x0
	s_barrier
                                        ; implicit-def: $vgpr34
                                        ; implicit-def: $vgpr30
.LBB56_2:
	s_and_not1_saveexec_b32 s1, s1
	s_cbranch_execz .LBB56_21
; %bb.3:
	flat_load_b64 v[16:17], v[30:31]
	v_cmp_lt_u32_e32 vcc_lo, v128, v181
	s_waitcnt vmcnt(0) lgkmcnt(0)
	v_dual_mov_b32 v26, v16 :: v_dual_mov_b32 v27, v17
	v_dual_mov_b32 v28, v16 :: v_dual_mov_b32 v29, v17
	;; [unrolled: 1-line block ×15, first 2 shown]
	s_and_saveexec_b32 s2, vcc_lo
	s_cbranch_execnz .LBB56_124
; %bb.4:
	s_or_b32 exec_lo, exec_lo, s2
	s_delay_alu instid0(SALU_CYCLE_1)
	s_mov_b32 s2, exec_lo
	v_cmpx_lt_u32_e64 v199, v181
	s_cbranch_execnz .LBB56_125
.LBB56_5:
	s_or_b32 exec_lo, exec_lo, s2
	s_delay_alu instid0(SALU_CYCLE_1)
	s_mov_b32 s2, exec_lo
	v_cmpx_lt_u32_e64 v198, v181
	s_cbranch_execnz .LBB56_126
.LBB56_6:
	s_or_b32 exec_lo, exec_lo, s2
	s_delay_alu instid0(SALU_CYCLE_1)
	s_mov_b32 s2, exec_lo
	v_cmpx_lt_u32_e64 v197, v181
	s_cbranch_execnz .LBB56_127
.LBB56_7:
	s_or_b32 exec_lo, exec_lo, s2
	s_delay_alu instid0(SALU_CYCLE_1)
	s_mov_b32 s2, exec_lo
	v_cmpx_lt_u32_e64 v196, v181
	s_cbranch_execnz .LBB56_128
.LBB56_8:
	s_or_b32 exec_lo, exec_lo, s2
	s_delay_alu instid0(SALU_CYCLE_1)
	s_mov_b32 s2, exec_lo
	v_cmpx_lt_u32_e64 v194, v181
	s_cbranch_execnz .LBB56_129
.LBB56_9:
	s_or_b32 exec_lo, exec_lo, s2
	s_delay_alu instid0(SALU_CYCLE_1)
	s_mov_b32 s2, exec_lo
	v_cmpx_lt_u32_e64 v193, v181
	s_cbranch_execnz .LBB56_130
.LBB56_10:
	s_or_b32 exec_lo, exec_lo, s2
	s_delay_alu instid0(SALU_CYCLE_1)
	s_mov_b32 s2, exec_lo
	v_cmpx_lt_u32_e64 v192, v181
	s_cbranch_execnz .LBB56_131
.LBB56_11:
	s_or_b32 exec_lo, exec_lo, s2
	s_delay_alu instid0(SALU_CYCLE_1)
	s_mov_b32 s2, exec_lo
	v_cmpx_lt_u32_e64 v183, v181
	s_cbranch_execnz .LBB56_132
.LBB56_12:
	s_or_b32 exec_lo, exec_lo, s2
	s_delay_alu instid0(SALU_CYCLE_1)
	s_mov_b32 s2, exec_lo
	v_cmpx_lt_u32_e64 v180, v181
	s_cbranch_execnz .LBB56_133
.LBB56_13:
	s_or_b32 exec_lo, exec_lo, s2
	s_delay_alu instid0(SALU_CYCLE_1)
	s_mov_b32 s2, exec_lo
	v_cmpx_lt_u32_e64 v179, v181
	s_cbranch_execnz .LBB56_134
.LBB56_14:
	s_or_b32 exec_lo, exec_lo, s2
	s_delay_alu instid0(SALU_CYCLE_1)
	s_mov_b32 s2, exec_lo
	v_cmpx_lt_u32_e64 v178, v181
	s_cbranch_execnz .LBB56_135
.LBB56_15:
	s_or_b32 exec_lo, exec_lo, s2
	s_delay_alu instid0(SALU_CYCLE_1)
	s_mov_b32 s2, exec_lo
	v_cmpx_lt_u32_e64 v177, v181
	s_cbranch_execnz .LBB56_136
.LBB56_16:
	s_or_b32 exec_lo, exec_lo, s2
	s_delay_alu instid0(SALU_CYCLE_1)
	s_mov_b32 s2, exec_lo
	v_cmpx_lt_u32_e64 v176, v181
	s_cbranch_execnz .LBB56_137
.LBB56_17:
	s_or_b32 exec_lo, exec_lo, s2
	s_delay_alu instid0(SALU_CYCLE_1)
	s_mov_b32 s2, exec_lo
	v_cmpx_lt_u32_e64 v167, v181
	s_cbranch_execnz .LBB56_138
.LBB56_18:
	s_or_b32 exec_lo, exec_lo, s2
	s_delay_alu instid0(SALU_CYCLE_1)
	s_mov_b32 s2, exec_lo
	v_cmpx_lt_u32_e64 v135, v181
	s_cbranch_execz .LBB56_20
.LBB56_19:
	v_lshlrev_b32_e32 v14, 3, v135
	s_delay_alu instid0(VALU_DEP_1)
	v_add_co_u32 v14, vcc_lo, v30, v14
	v_add_co_ci_u32_e32 v15, vcc_lo, 0, v31, vcc_lo
	flat_load_b64 v[14:15], v[14:15]
.LBB56_20:
	s_or_b32 exec_lo, exec_lo, s2
	v_lshrrev_b32_e32 v30, 2, v199
	v_lshrrev_b32_e32 v31, 2, v198
	;; [unrolled: 1-line block ×3, first 2 shown]
	v_and_b32_e32 v34, 0xf8, v34
	v_lshrrev_b32_e32 v54, 2, v196
	v_and_b32_e32 v30, 0x1f8, v30
	v_and_b32_e32 v31, 0x1f8, v31
	;; [unrolled: 1-line block ×3, first 2 shown]
	v_lshrrev_b32_e32 v55, 2, v194
	v_add_nc_u32_e32 v34, v34, v195
	v_lshrrev_b32_e32 v64, 2, v193
	v_add_nc_u32_e32 v30, v30, v195
	;; [unrolled: 2-line block ×3, first 2 shown]
	v_add_nc_u32_e32 v35, v35, v195
	v_and_b32_e32 v54, 0x1f8, v54
	v_and_b32_e32 v55, 0x3f8, v55
	s_waitcnt vmcnt(0) lgkmcnt(0)
	ds_store_b64 v34, v[32:33]
	ds_store_b64 v30, v[16:17] offset:2048
	ds_store_b64 v31, v[26:27] offset:4096
	;; [unrolled: 1-line block ×3, first 2 shown]
	v_and_b32_e32 v26, 0x3f8, v64
	v_and_b32_e32 v27, 0x3f8, v65
	v_add_nc_u32_e32 v16, v54, v195
	v_add_nc_u32_e32 v17, v55, v195
	v_lshrrev_b32_e32 v28, 2, v183
	v_add_nc_u32_e32 v26, v26, v195
	v_lshrrev_b32_e32 v29, 2, v180
	;; [unrolled: 2-line block ×3, first 2 shown]
	ds_store_b64 v16, v[18:19] offset:8192
	ds_store_b64 v17, v[20:21] offset:10240
	;; [unrolled: 1-line block ×4, first 2 shown]
	v_lshrrev_b32_e32 v19, 2, v178
	v_lshrrev_b32_e32 v20, 2, v177
	v_and_b32_e32 v28, 0x3f8, v28
	v_lshrrev_b32_e32 v21, 2, v176
	v_lshrrev_b32_e32 v22, 2, v167
	;; [unrolled: 1-line block ×3, first 2 shown]
	v_and_b32_e32 v29, 0x3f8, v29
	v_and_b32_e32 v30, 0x3f8, v30
	;; [unrolled: 1-line block ×4, first 2 shown]
	v_add_nc_u32_e32 v16, v28, v195
	v_and_b32_e32 v21, 0x7f8, v21
	v_and_b32_e32 v22, 0x7f8, v22
	;; [unrolled: 1-line block ×3, first 2 shown]
	v_add_nc_u32_e32 v17, v29, v195
	v_add_nc_u32_e32 v18, v30, v195
	;; [unrolled: 1-line block ×7, first 2 shown]
	ds_store_b64 v16, v[0:1] offset:16384
	ds_store_b64 v17, v[2:3] offset:18432
	;; [unrolled: 1-line block ×8, first 2 shown]
	s_waitcnt lgkmcnt(0)
	s_waitcnt_vscnt null, 0x0
	s_barrier
.LBB56_21:
	s_or_b32 exec_lo, exec_lo, s1
	v_lshlrev_b32_e32 v0, 4, v128
	v_lshrrev_b32_e32 v208, 1, v128
	s_waitcnt vmcnt(0) lgkmcnt(0)
	s_waitcnt_vscnt null, 0x0
	buffer_gl0_inv
	s_cmp_lg_u32 s12, 0
	v_add_lshl_u32 v4, v208, v0, 3
	ds_load_2addr_b64 v[0:3], v4 offset1:1
	ds_load_2addr_b64 v[112:115], v4 offset0:2 offset1:3
	ds_load_2addr_b64 v[100:103], v4 offset0:4 offset1:5
	;; [unrolled: 1-line block ×7, first 2 shown]
	s_waitcnt lgkmcnt(0)
	s_barrier
	buffer_gl0_inv
	v_cmp_u_f64_e64 s1, v[2:3], v[2:3]
	v_max_f64 v[54:55], v[2:3], v[2:3]
	s_cbranch_scc0 .LBB56_123
; %bb.22:
	v_max_f64 v[131:132], v[0:1], v[0:1]
	v_cmp_u_f64_e64 s17, v[0:1], v[0:1]
	s_delay_alu instid0(VALU_DEP_2) | instskip(SKIP_1) | instid1(VALU_DEP_2)
	v_min_f64 v[4:5], v[131:132], v[54:55]
	v_max_f64 v[6:7], v[131:132], v[54:55]
	v_cndmask_b32_e64 v4, v4, v0, s17
	s_delay_alu instid0(VALU_DEP_3) | instskip(NEXT) | instid1(VALU_DEP_3)
	v_cndmask_b32_e64 v5, v5, v1, s17
	v_cndmask_b32_e64 v7, v7, v1, s17
	s_delay_alu instid0(VALU_DEP_4) | instskip(NEXT) | instid1(VALU_DEP_4)
	v_cndmask_b32_e64 v6, v6, v0, s17
	v_cndmask_b32_e64 v8, v4, v2, s1
	s_delay_alu instid0(VALU_DEP_4) | instskip(NEXT) | instid1(VALU_DEP_4)
	v_cndmask_b32_e64 v9, v5, v3, s1
	v_cndmask_b32_e64 v7, v7, v3, s1
	s_delay_alu instid0(VALU_DEP_4) | instskip(SKIP_1) | instid1(VALU_DEP_4)
	v_cndmask_b32_e64 v6, v6, v2, s1
	v_dual_mov_b32 v5, v1 :: v_dual_mov_b32 v4, v0
	v_cmp_class_f64_e64 s2, v[8:9], 0x1f8
	s_delay_alu instid0(VALU_DEP_3) | instskip(NEXT) | instid1(VALU_DEP_2)
	v_cmp_neq_f64_e32 vcc_lo, v[8:9], v[6:7]
	s_or_b32 s2, vcc_lo, s2
	s_delay_alu instid0(SALU_CYCLE_1)
	s_and_saveexec_b32 s8, s2
	s_cbranch_execz .LBB56_24
; %bb.23:
	v_add_f64 v[4:5], v[8:9], -v[6:7]
	s_mov_b32 s2, 0x652b82fe
	s_mov_b32 s3, 0x3ff71547
	;; [unrolled: 1-line block ×10, first 2 shown]
	s_delay_alu instid0(VALU_DEP_1) | instskip(SKIP_3) | instid1(VALU_DEP_2)
	v_mul_f64 v[8:9], v[4:5], s[2:3]
	s_mov_b32 s2, 0xfca7ab0c
	s_mov_b32 s3, 0x3e928af3
	v_cmp_nlt_f64_e32 vcc_lo, 0x40900000, v[4:5]
	v_rndne_f64_e32 v[8:9], v[8:9]
	s_delay_alu instid0(VALU_DEP_1) | instskip(SKIP_2) | instid1(VALU_DEP_2)
	v_fma_f64 v[10:11], v[8:9], s[4:5], v[4:5]
	v_cvt_i32_f64_e32 v14, v[8:9]
	s_mov_b32 s5, 0x3fe62e42
	v_fma_f64 v[10:11], v[8:9], s[6:7], v[10:11]
	s_mov_b32 s7, 0x3c7abc9e
	s_delay_alu instid0(VALU_DEP_1) | instskip(SKIP_4) | instid1(VALU_DEP_1)
	v_fma_f64 v[12:13], v[10:11], s[10:11], s[2:3]
	s_mov_b32 s2, 0x623fde64
	s_mov_b32 s3, 0x3ec71dee
	s_mov_b32 s10, 0x6b47b09a
	s_mov_b32 s11, 0x3fc38538
	v_fma_f64 v[12:13], v[10:11], v[12:13], s[2:3]
	s_mov_b32 s2, 0x7c89e6b0
	s_mov_b32 s3, 0x3efa0199
	s_delay_alu instid0(VALU_DEP_1) | instid1(SALU_CYCLE_1)
	v_fma_f64 v[12:13], v[10:11], v[12:13], s[2:3]
	s_mov_b32 s2, 0x14761f6e
	s_mov_b32 s3, 0x3f2a01a0
	s_delay_alu instid0(VALU_DEP_1) | instid1(SALU_CYCLE_1)
	;; [unrolled: 4-line block ×7, first 2 shown]
	v_fma_f64 v[12:13], v[10:11], v[12:13], s[2:3]
	v_cmp_ngt_f64_e64 s2, 0xc090cc00, v[4:5]
	s_mov_b32 s3, 0x3fe55555
	s_delay_alu instid0(VALU_DEP_2) | instskip(NEXT) | instid1(VALU_DEP_1)
	v_fma_f64 v[12:13], v[10:11], v[12:13], 1.0
	v_fma_f64 v[8:9], v[10:11], v[12:13], 1.0
	s_delay_alu instid0(VALU_DEP_1) | instskip(NEXT) | instid1(VALU_DEP_1)
	v_ldexp_f64 v[8:9], v[8:9], v14
	v_cndmask_b32_e32 v9, 0x7ff00000, v9, vcc_lo
	s_and_b32 vcc_lo, s2, vcc_lo
	s_delay_alu instid0(VALU_DEP_1) | instskip(NEXT) | instid1(VALU_DEP_3)
	v_cndmask_b32_e64 v5, 0, v9, s2
	v_cndmask_b32_e32 v4, 0, v8, vcc_lo
	s_mov_b32 s2, 0x55555555
	s_delay_alu instid0(VALU_DEP_1) | instskip(NEXT) | instid1(VALU_DEP_1)
	v_add_f64 v[8:9], v[4:5], 1.0
	v_frexp_mant_f64_e32 v[10:11], v[8:9]
	v_frexp_exp_i32_f64_e32 v14, v[8:9]
	v_add_f64 v[12:13], v[8:9], -1.0
	s_delay_alu instid0(VALU_DEP_3) | instskip(SKIP_1) | instid1(VALU_DEP_2)
	v_cmp_gt_f64_e32 vcc_lo, s[2:3], v[10:11]
	s_mov_b32 s2, 0x55555780
	v_add_f64 v[10:11], v[12:13], -v[8:9]
	v_add_f64 v[12:13], v[4:5], -v[12:13]
	v_subrev_co_ci_u32_e32 v30, vcc_lo, 0, v14, vcc_lo
	s_delay_alu instid0(VALU_DEP_3) | instskip(SKIP_1) | instid1(VALU_DEP_3)
	v_add_f64 v[10:11], v[10:11], 1.0
	v_cmp_eq_f64_e32 vcc_lo, 0x7ff00000, v[4:5]
	v_sub_nc_u32_e32 v16, 0, v30
	s_delay_alu instid0(VALU_DEP_1) | instskip(NEXT) | instid1(VALU_DEP_4)
	v_ldexp_f64 v[8:9], v[8:9], v16
	v_add_f64 v[10:11], v[12:13], v[10:11]
	s_delay_alu instid0(VALU_DEP_2) | instskip(SKIP_1) | instid1(VALU_DEP_3)
	v_add_f64 v[14:15], v[8:9], 1.0
	v_add_f64 v[20:21], v[8:9], -1.0
	v_ldexp_f64 v[10:11], v[10:11], v16
	s_delay_alu instid0(VALU_DEP_3) | instskip(NEXT) | instid1(VALU_DEP_3)
	v_add_f64 v[12:13], v[14:15], -1.0
	v_add_f64 v[22:23], v[20:21], 1.0
	s_delay_alu instid0(VALU_DEP_2) | instskip(NEXT) | instid1(VALU_DEP_2)
	v_add_f64 v[12:13], v[8:9], -v[12:13]
	v_add_f64 v[8:9], v[8:9], -v[22:23]
	s_delay_alu instid0(VALU_DEP_2) | instskip(NEXT) | instid1(VALU_DEP_2)
	v_add_f64 v[12:13], v[10:11], v[12:13]
	v_add_f64 v[8:9], v[10:11], v[8:9]
	s_delay_alu instid0(VALU_DEP_2) | instskip(NEXT) | instid1(VALU_DEP_2)
	v_add_f64 v[16:17], v[14:15], v[12:13]
	v_add_f64 v[22:23], v[20:21], v[8:9]
	s_delay_alu instid0(VALU_DEP_2) | instskip(SKIP_1) | instid1(VALU_DEP_2)
	v_rcp_f64_e32 v[18:19], v[16:17]
	v_add_f64 v[14:15], v[16:17], -v[14:15]
	v_add_f64 v[20:21], v[22:23], -v[20:21]
	s_delay_alu instid0(VALU_DEP_2) | instskip(SKIP_3) | instid1(VALU_DEP_2)
	v_add_f64 v[12:13], v[12:13], -v[14:15]
	s_waitcnt_depctr 0xfff
	v_fma_f64 v[24:25], -v[16:17], v[18:19], 1.0
	v_add_f64 v[8:9], v[8:9], -v[20:21]
	v_fma_f64 v[18:19], v[24:25], v[18:19], v[18:19]
	s_delay_alu instid0(VALU_DEP_1) | instskip(NEXT) | instid1(VALU_DEP_1)
	v_fma_f64 v[10:11], -v[16:17], v[18:19], 1.0
	v_fma_f64 v[10:11], v[10:11], v[18:19], v[18:19]
	s_delay_alu instid0(VALU_DEP_1) | instskip(NEXT) | instid1(VALU_DEP_1)
	v_mul_f64 v[18:19], v[22:23], v[10:11]
	v_mul_f64 v[24:25], v[16:17], v[18:19]
	s_delay_alu instid0(VALU_DEP_1) | instskip(NEXT) | instid1(VALU_DEP_1)
	v_fma_f64 v[14:15], v[18:19], v[16:17], -v[24:25]
	v_fma_f64 v[14:15], v[18:19], v[12:13], v[14:15]
	s_delay_alu instid0(VALU_DEP_1) | instskip(NEXT) | instid1(VALU_DEP_1)
	v_add_f64 v[26:27], v[24:25], v[14:15]
	v_add_f64 v[28:29], v[22:23], -v[26:27]
	v_add_f64 v[20:21], v[26:27], -v[24:25]
	s_delay_alu instid0(VALU_DEP_2) | instskip(NEXT) | instid1(VALU_DEP_2)
	v_add_f64 v[22:23], v[22:23], -v[28:29]
	v_add_f64 v[14:15], v[20:21], -v[14:15]
	s_delay_alu instid0(VALU_DEP_2) | instskip(NEXT) | instid1(VALU_DEP_1)
	v_add_f64 v[22:23], v[22:23], -v[26:27]
	v_add_f64 v[8:9], v[8:9], v[22:23]
	s_delay_alu instid0(VALU_DEP_1) | instskip(NEXT) | instid1(VALU_DEP_1)
	v_add_f64 v[8:9], v[14:15], v[8:9]
	v_add_f64 v[14:15], v[28:29], v[8:9]
	s_delay_alu instid0(VALU_DEP_1) | instskip(SKIP_1) | instid1(VALU_DEP_2)
	v_mul_f64 v[20:21], v[10:11], v[14:15]
	v_add_f64 v[26:27], v[28:29], -v[14:15]
	v_mul_f64 v[22:23], v[16:17], v[20:21]
	s_delay_alu instid0(VALU_DEP_2) | instskip(NEXT) | instid1(VALU_DEP_2)
	v_add_f64 v[8:9], v[8:9], v[26:27]
	v_fma_f64 v[16:17], v[20:21], v[16:17], -v[22:23]
	s_delay_alu instid0(VALU_DEP_1) | instskip(NEXT) | instid1(VALU_DEP_1)
	v_fma_f64 v[12:13], v[20:21], v[12:13], v[16:17]
	v_add_f64 v[16:17], v[22:23], v[12:13]
	s_delay_alu instid0(VALU_DEP_1) | instskip(SKIP_1) | instid1(VALU_DEP_2)
	v_add_f64 v[24:25], v[14:15], -v[16:17]
	v_add_f64 v[22:23], v[16:17], -v[22:23]
	;; [unrolled: 1-line block ×3, first 2 shown]
	s_delay_alu instid0(VALU_DEP_2) | instskip(NEXT) | instid1(VALU_DEP_2)
	v_add_f64 v[12:13], v[22:23], -v[12:13]
	v_add_f64 v[14:15], v[14:15], -v[16:17]
	s_delay_alu instid0(VALU_DEP_1) | instskip(SKIP_1) | instid1(VALU_DEP_2)
	v_add_f64 v[8:9], v[8:9], v[14:15]
	v_add_f64 v[14:15], v[18:19], v[20:21]
	;; [unrolled: 1-line block ×3, first 2 shown]
	s_delay_alu instid0(VALU_DEP_2) | instskip(NEXT) | instid1(VALU_DEP_2)
	v_add_f64 v[12:13], v[14:15], -v[18:19]
	v_add_f64 v[8:9], v[24:25], v[8:9]
	s_delay_alu instid0(VALU_DEP_2) | instskip(NEXT) | instid1(VALU_DEP_2)
	v_add_f64 v[12:13], v[20:21], -v[12:13]
	v_mul_f64 v[8:9], v[10:11], v[8:9]
	s_delay_alu instid0(VALU_DEP_1) | instskip(NEXT) | instid1(VALU_DEP_1)
	v_add_f64 v[8:9], v[12:13], v[8:9]
	v_add_f64 v[10:11], v[14:15], v[8:9]
	s_delay_alu instid0(VALU_DEP_1) | instskip(NEXT) | instid1(VALU_DEP_1)
	v_mul_f64 v[12:13], v[10:11], v[10:11]
	v_fma_f64 v[16:17], v[12:13], s[14:15], s[10:11]
	s_mov_b32 s10, 0xd7f4df2e
	s_mov_b32 s11, 0x3fc7474d
	v_mul_f64 v[18:19], v[10:11], v[12:13]
	s_delay_alu instid0(VALU_DEP_2)
	v_fma_f64 v[16:17], v[12:13], v[16:17], s[10:11]
	s_mov_b32 s10, 0x16291751
	s_mov_b32 s11, 0x3fcc71c0
	s_delay_alu instid0(VALU_DEP_1) | instid1(SALU_CYCLE_1)
	v_fma_f64 v[16:17], v[12:13], v[16:17], s[10:11]
	s_mov_b32 s10, 0x9b27acf1
	s_mov_b32 s11, 0x3fd24924
	s_delay_alu instid0(VALU_DEP_1) | instid1(SALU_CYCLE_1)
	;; [unrolled: 4-line block ×3, first 2 shown]
	v_fma_f64 v[16:17], v[12:13], v[16:17], s[10:11]
	s_delay_alu instid0(VALU_DEP_1) | instskip(SKIP_2) | instid1(VALU_DEP_3)
	v_fma_f64 v[12:13], v[12:13], v[16:17], s[2:3]
	v_ldexp_f64 v[16:17], v[10:11], 1
	v_add_f64 v[10:11], v[10:11], -v[14:15]
	v_mul_f64 v[12:13], v[18:19], v[12:13]
	v_cvt_f64_i32_e32 v[18:19], v30
	s_delay_alu instid0(VALU_DEP_3) | instskip(NEXT) | instid1(VALU_DEP_3)
	v_add_f64 v[8:9], v[8:9], -v[10:11]
	v_add_f64 v[14:15], v[16:17], v[12:13]
	s_delay_alu instid0(VALU_DEP_3) | instskip(NEXT) | instid1(VALU_DEP_3)
	v_mul_f64 v[20:21], v[18:19], s[4:5]
	v_ldexp_f64 v[8:9], v[8:9], 1
	s_delay_alu instid0(VALU_DEP_3) | instskip(NEXT) | instid1(VALU_DEP_3)
	v_add_f64 v[10:11], v[14:15], -v[16:17]
	v_fma_f64 v[16:17], v[18:19], s[4:5], -v[20:21]
	s_delay_alu instid0(VALU_DEP_2) | instskip(NEXT) | instid1(VALU_DEP_2)
	v_add_f64 v[10:11], v[12:13], -v[10:11]
	v_fma_f64 v[12:13], v[18:19], s[6:7], v[16:17]
	s_delay_alu instid0(VALU_DEP_2) | instskip(NEXT) | instid1(VALU_DEP_2)
	v_add_f64 v[8:9], v[8:9], v[10:11]
	v_add_f64 v[10:11], v[20:21], v[12:13]
	s_delay_alu instid0(VALU_DEP_2) | instskip(NEXT) | instid1(VALU_DEP_2)
	v_add_f64 v[16:17], v[14:15], v[8:9]
	v_add_f64 v[20:21], v[10:11], -v[20:21]
	s_delay_alu instid0(VALU_DEP_2) | instskip(SKIP_1) | instid1(VALU_DEP_3)
	v_add_f64 v[18:19], v[10:11], v[16:17]
	v_add_f64 v[14:15], v[16:17], -v[14:15]
	v_add_f64 v[12:13], v[12:13], -v[20:21]
	s_delay_alu instid0(VALU_DEP_3) | instskip(NEXT) | instid1(VALU_DEP_3)
	v_add_f64 v[22:23], v[18:19], -v[10:11]
	v_add_f64 v[8:9], v[8:9], -v[14:15]
	s_delay_alu instid0(VALU_DEP_2) | instskip(SKIP_1) | instid1(VALU_DEP_3)
	v_add_f64 v[24:25], v[18:19], -v[22:23]
	v_add_f64 v[14:15], v[16:17], -v[22:23]
	v_add_f64 v[16:17], v[12:13], v[8:9]
	s_delay_alu instid0(VALU_DEP_3) | instskip(NEXT) | instid1(VALU_DEP_1)
	v_add_f64 v[10:11], v[10:11], -v[24:25]
	v_add_f64 v[10:11], v[14:15], v[10:11]
	s_delay_alu instid0(VALU_DEP_3) | instskip(NEXT) | instid1(VALU_DEP_2)
	v_add_f64 v[14:15], v[16:17], -v[12:13]
	v_add_f64 v[10:11], v[16:17], v[10:11]
	s_delay_alu instid0(VALU_DEP_2) | instskip(SKIP_1) | instid1(VALU_DEP_3)
	v_add_f64 v[16:17], v[16:17], -v[14:15]
	v_add_f64 v[8:9], v[8:9], -v[14:15]
	v_add_f64 v[20:21], v[18:19], v[10:11]
	s_delay_alu instid0(VALU_DEP_3) | instskip(NEXT) | instid1(VALU_DEP_2)
	v_add_f64 v[12:13], v[12:13], -v[16:17]
	v_add_f64 v[14:15], v[20:21], -v[18:19]
	s_delay_alu instid0(VALU_DEP_2) | instskip(NEXT) | instid1(VALU_DEP_2)
	v_add_f64 v[8:9], v[8:9], v[12:13]
	v_add_f64 v[10:11], v[10:11], -v[14:15]
	s_delay_alu instid0(VALU_DEP_1) | instskip(NEXT) | instid1(VALU_DEP_1)
	v_add_f64 v[8:9], v[8:9], v[10:11]
	v_add_f64 v[8:9], v[20:21], v[8:9]
	s_delay_alu instid0(VALU_DEP_1) | instskip(SKIP_1) | instid1(VALU_DEP_2)
	v_dual_cndmask_b32 v9, v9, v5 :: v_dual_cndmask_b32 v8, v8, v4
	v_cmp_ngt_f64_e32 vcc_lo, -1.0, v[4:5]
	v_cndmask_b32_e32 v9, 0x7ff80000, v9, vcc_lo
	v_cmp_nge_f64_e32 vcc_lo, -1.0, v[4:5]
	s_delay_alu instid0(VALU_DEP_4) | instskip(SKIP_1) | instid1(VALU_DEP_4)
	v_cndmask_b32_e32 v8, 0, v8, vcc_lo
	v_cmp_neq_f64_e32 vcc_lo, -1.0, v[4:5]
	v_cndmask_b32_e32 v9, 0xfff00000, v9, vcc_lo
	s_delay_alu instid0(VALU_DEP_1)
	v_add_f64 v[4:5], v[6:7], v[8:9]
.LBB56_24:
	s_or_b32 exec_lo, exec_lo, s8
	v_max_f64 v[10:11], v[112:113], v[112:113]
	s_delay_alu instid0(VALU_DEP_2) | instskip(SKIP_2) | instid1(VALU_DEP_3)
	v_max_f64 v[6:7], v[4:5], v[4:5]
	v_cmp_u_f64_e32 vcc_lo, v[4:5], v[4:5]
	v_cmp_u_f64_e64 s2, v[112:113], v[112:113]
	v_min_f64 v[8:9], v[6:7], v[10:11]
	v_max_f64 v[6:7], v[6:7], v[10:11]
	s_delay_alu instid0(VALU_DEP_2) | instskip(NEXT) | instid1(VALU_DEP_2)
	v_dual_cndmask_b32 v8, v8, v4 :: v_dual_cndmask_b32 v9, v9, v5
	v_dual_cndmask_b32 v7, v7, v5 :: v_dual_cndmask_b32 v6, v6, v4
	s_delay_alu instid0(VALU_DEP_2) | instskip(NEXT) | instid1(VALU_DEP_3)
	v_cndmask_b32_e64 v8, v8, v112, s2
	v_cndmask_b32_e64 v9, v9, v113, s2
	s_delay_alu instid0(VALU_DEP_3) | instskip(NEXT) | instid1(VALU_DEP_4)
	v_cndmask_b32_e64 v7, v7, v113, s2
	v_cndmask_b32_e64 v6, v6, v112, s2
	s_delay_alu instid0(VALU_DEP_3) | instskip(NEXT) | instid1(VALU_DEP_2)
	v_cmp_class_f64_e64 s3, v[8:9], 0x1f8
	v_cmp_neq_f64_e32 vcc_lo, v[8:9], v[6:7]
	s_delay_alu instid0(VALU_DEP_2) | instskip(NEXT) | instid1(SALU_CYCLE_1)
	s_or_b32 s3, vcc_lo, s3
	s_and_saveexec_b32 s10, s3
	s_cbranch_execz .LBB56_26
; %bb.25:
	v_add_f64 v[4:5], v[8:9], -v[6:7]
	s_mov_b32 s4, 0x652b82fe
	s_mov_b32 s5, 0x3ff71547
	;; [unrolled: 1-line block ×10, first 2 shown]
	s_delay_alu instid0(VALU_DEP_1) | instskip(SKIP_4) | instid1(VALU_DEP_3)
	v_mul_f64 v[8:9], v[4:5], s[4:5]
	s_mov_b32 s5, 0xbfe62e42
	s_mov_b32 s4, 0xfefa39ef
	v_cmp_nlt_f64_e32 vcc_lo, 0x40900000, v[4:5]
	v_cmp_ngt_f64_e64 s3, 0xc090cc00, v[4:5]
	v_rndne_f64_e32 v[8:9], v[8:9]
	s_delay_alu instid0(VALU_DEP_1) | instskip(SKIP_2) | instid1(VALU_DEP_2)
	v_fma_f64 v[12:13], v[8:9], s[4:5], v[4:5]
	v_cvt_i32_f64_e32 v16, v[8:9]
	s_mov_b32 s5, 0x3fe62e42
	v_fma_f64 v[12:13], v[8:9], s[6:7], v[12:13]
	s_mov_b32 s7, 0x3c7abc9e
	s_delay_alu instid0(VALU_DEP_1) | instskip(SKIP_4) | instid1(VALU_DEP_1)
	v_fma_f64 v[14:15], v[12:13], s[14:15], s[8:9]
	s_mov_b32 s8, 0x623fde64
	s_mov_b32 s9, 0x3ec71dee
	;; [unrolled: 1-line block ×4, first 2 shown]
	v_fma_f64 v[14:15], v[12:13], v[14:15], s[8:9]
	s_mov_b32 s8, 0x7c89e6b0
	s_mov_b32 s9, 0x3efa0199
	s_delay_alu instid0(VALU_DEP_1) | instid1(SALU_CYCLE_1)
	v_fma_f64 v[14:15], v[12:13], v[14:15], s[8:9]
	s_mov_b32 s8, 0x14761f6e
	s_mov_b32 s9, 0x3f2a01a0
	s_delay_alu instid0(VALU_DEP_1) | instid1(SALU_CYCLE_1)
	;; [unrolled: 4-line block ×7, first 2 shown]
	v_fma_f64 v[14:15], v[12:13], v[14:15], s[8:9]
	s_mov_b32 s9, 0x3fe55555
	s_mov_b32 s8, 0x55555555
	s_delay_alu instid0(VALU_DEP_1) | instskip(NEXT) | instid1(VALU_DEP_1)
	v_fma_f64 v[14:15], v[12:13], v[14:15], 1.0
	v_fma_f64 v[8:9], v[12:13], v[14:15], 1.0
	s_delay_alu instid0(VALU_DEP_1) | instskip(NEXT) | instid1(VALU_DEP_1)
	v_ldexp_f64 v[8:9], v[8:9], v16
	v_cndmask_b32_e32 v9, 0x7ff00000, v9, vcc_lo
	s_and_b32 vcc_lo, s3, vcc_lo
	s_delay_alu instid0(VALU_DEP_1) | instskip(NEXT) | instid1(VALU_DEP_3)
	v_cndmask_b32_e64 v5, 0, v9, s3
	v_cndmask_b32_e32 v4, 0, v8, vcc_lo
	s_delay_alu instid0(VALU_DEP_1) | instskip(NEXT) | instid1(VALU_DEP_1)
	v_add_f64 v[8:9], v[4:5], 1.0
	v_frexp_mant_f64_e32 v[12:13], v[8:9]
	v_frexp_exp_i32_f64_e32 v16, v[8:9]
	v_add_f64 v[14:15], v[8:9], -1.0
	s_delay_alu instid0(VALU_DEP_3) | instskip(SKIP_1) | instid1(VALU_DEP_2)
	v_cmp_gt_f64_e32 vcc_lo, s[8:9], v[12:13]
	s_mov_b32 s8, 0x55555780
	v_add_f64 v[12:13], v[14:15], -v[8:9]
	v_add_f64 v[14:15], v[4:5], -v[14:15]
	v_subrev_co_ci_u32_e32 v32, vcc_lo, 0, v16, vcc_lo
	s_delay_alu instid0(VALU_DEP_3) | instskip(SKIP_1) | instid1(VALU_DEP_3)
	v_add_f64 v[12:13], v[12:13], 1.0
	v_cmp_eq_f64_e32 vcc_lo, 0x7ff00000, v[4:5]
	v_sub_nc_u32_e32 v18, 0, v32
	s_delay_alu instid0(VALU_DEP_1) | instskip(NEXT) | instid1(VALU_DEP_4)
	v_ldexp_f64 v[8:9], v[8:9], v18
	v_add_f64 v[12:13], v[14:15], v[12:13]
	s_delay_alu instid0(VALU_DEP_2) | instskip(SKIP_1) | instid1(VALU_DEP_3)
	v_add_f64 v[16:17], v[8:9], 1.0
	v_add_f64 v[22:23], v[8:9], -1.0
	v_ldexp_f64 v[12:13], v[12:13], v18
	s_delay_alu instid0(VALU_DEP_3) | instskip(NEXT) | instid1(VALU_DEP_3)
	v_add_f64 v[14:15], v[16:17], -1.0
	v_add_f64 v[24:25], v[22:23], 1.0
	s_delay_alu instid0(VALU_DEP_2) | instskip(NEXT) | instid1(VALU_DEP_2)
	v_add_f64 v[14:15], v[8:9], -v[14:15]
	v_add_f64 v[8:9], v[8:9], -v[24:25]
	s_delay_alu instid0(VALU_DEP_2) | instskip(NEXT) | instid1(VALU_DEP_2)
	v_add_f64 v[14:15], v[12:13], v[14:15]
	v_add_f64 v[8:9], v[12:13], v[8:9]
	s_delay_alu instid0(VALU_DEP_2) | instskip(NEXT) | instid1(VALU_DEP_2)
	v_add_f64 v[18:19], v[16:17], v[14:15]
	v_add_f64 v[24:25], v[22:23], v[8:9]
	s_delay_alu instid0(VALU_DEP_2) | instskip(SKIP_1) | instid1(VALU_DEP_2)
	v_rcp_f64_e32 v[20:21], v[18:19]
	v_add_f64 v[16:17], v[18:19], -v[16:17]
	v_add_f64 v[22:23], v[24:25], -v[22:23]
	s_delay_alu instid0(VALU_DEP_2) | instskip(SKIP_3) | instid1(VALU_DEP_2)
	v_add_f64 v[14:15], v[14:15], -v[16:17]
	s_waitcnt_depctr 0xfff
	v_fma_f64 v[26:27], -v[18:19], v[20:21], 1.0
	v_add_f64 v[8:9], v[8:9], -v[22:23]
	v_fma_f64 v[20:21], v[26:27], v[20:21], v[20:21]
	s_delay_alu instid0(VALU_DEP_1) | instskip(NEXT) | instid1(VALU_DEP_1)
	v_fma_f64 v[12:13], -v[18:19], v[20:21], 1.0
	v_fma_f64 v[12:13], v[12:13], v[20:21], v[20:21]
	s_delay_alu instid0(VALU_DEP_1) | instskip(NEXT) | instid1(VALU_DEP_1)
	v_mul_f64 v[20:21], v[24:25], v[12:13]
	v_mul_f64 v[26:27], v[18:19], v[20:21]
	s_delay_alu instid0(VALU_DEP_1) | instskip(NEXT) | instid1(VALU_DEP_1)
	v_fma_f64 v[16:17], v[20:21], v[18:19], -v[26:27]
	v_fma_f64 v[16:17], v[20:21], v[14:15], v[16:17]
	s_delay_alu instid0(VALU_DEP_1) | instskip(NEXT) | instid1(VALU_DEP_1)
	v_add_f64 v[28:29], v[26:27], v[16:17]
	v_add_f64 v[30:31], v[24:25], -v[28:29]
	v_add_f64 v[22:23], v[28:29], -v[26:27]
	s_delay_alu instid0(VALU_DEP_2) | instskip(NEXT) | instid1(VALU_DEP_2)
	v_add_f64 v[24:25], v[24:25], -v[30:31]
	v_add_f64 v[16:17], v[22:23], -v[16:17]
	s_delay_alu instid0(VALU_DEP_2) | instskip(NEXT) | instid1(VALU_DEP_1)
	v_add_f64 v[24:25], v[24:25], -v[28:29]
	v_add_f64 v[8:9], v[8:9], v[24:25]
	s_delay_alu instid0(VALU_DEP_1) | instskip(NEXT) | instid1(VALU_DEP_1)
	v_add_f64 v[8:9], v[16:17], v[8:9]
	v_add_f64 v[16:17], v[30:31], v[8:9]
	s_delay_alu instid0(VALU_DEP_1) | instskip(SKIP_1) | instid1(VALU_DEP_2)
	v_mul_f64 v[22:23], v[12:13], v[16:17]
	v_add_f64 v[28:29], v[30:31], -v[16:17]
	v_mul_f64 v[24:25], v[18:19], v[22:23]
	s_delay_alu instid0(VALU_DEP_2) | instskip(NEXT) | instid1(VALU_DEP_2)
	v_add_f64 v[8:9], v[8:9], v[28:29]
	v_fma_f64 v[18:19], v[22:23], v[18:19], -v[24:25]
	s_delay_alu instid0(VALU_DEP_1) | instskip(NEXT) | instid1(VALU_DEP_1)
	v_fma_f64 v[14:15], v[22:23], v[14:15], v[18:19]
	v_add_f64 v[18:19], v[24:25], v[14:15]
	s_delay_alu instid0(VALU_DEP_1) | instskip(SKIP_1) | instid1(VALU_DEP_2)
	v_add_f64 v[26:27], v[16:17], -v[18:19]
	v_add_f64 v[24:25], v[18:19], -v[24:25]
	;; [unrolled: 1-line block ×3, first 2 shown]
	s_delay_alu instid0(VALU_DEP_2) | instskip(NEXT) | instid1(VALU_DEP_2)
	v_add_f64 v[14:15], v[24:25], -v[14:15]
	v_add_f64 v[16:17], v[16:17], -v[18:19]
	s_delay_alu instid0(VALU_DEP_1) | instskip(SKIP_1) | instid1(VALU_DEP_2)
	v_add_f64 v[8:9], v[8:9], v[16:17]
	v_add_f64 v[16:17], v[20:21], v[22:23]
	;; [unrolled: 1-line block ×3, first 2 shown]
	s_delay_alu instid0(VALU_DEP_2) | instskip(NEXT) | instid1(VALU_DEP_2)
	v_add_f64 v[14:15], v[16:17], -v[20:21]
	v_add_f64 v[8:9], v[26:27], v[8:9]
	s_delay_alu instid0(VALU_DEP_2) | instskip(NEXT) | instid1(VALU_DEP_2)
	v_add_f64 v[14:15], v[22:23], -v[14:15]
	v_mul_f64 v[8:9], v[12:13], v[8:9]
	s_delay_alu instid0(VALU_DEP_1) | instskip(NEXT) | instid1(VALU_DEP_1)
	v_add_f64 v[8:9], v[14:15], v[8:9]
	v_add_f64 v[12:13], v[16:17], v[8:9]
	s_delay_alu instid0(VALU_DEP_1) | instskip(NEXT) | instid1(VALU_DEP_1)
	v_mul_f64 v[14:15], v[12:13], v[12:13]
	v_fma_f64 v[18:19], v[14:15], s[18:19], s[14:15]
	s_mov_b32 s14, 0xd7f4df2e
	s_mov_b32 s15, 0x3fc7474d
	v_mul_f64 v[20:21], v[12:13], v[14:15]
	s_delay_alu instid0(VALU_DEP_2)
	v_fma_f64 v[18:19], v[14:15], v[18:19], s[14:15]
	s_mov_b32 s14, 0x16291751
	s_mov_b32 s15, 0x3fcc71c0
	s_delay_alu instid0(VALU_DEP_1) | instid1(SALU_CYCLE_1)
	v_fma_f64 v[18:19], v[14:15], v[18:19], s[14:15]
	s_mov_b32 s14, 0x9b27acf1
	s_mov_b32 s15, 0x3fd24924
	s_delay_alu instid0(VALU_DEP_1) | instid1(SALU_CYCLE_1)
	;; [unrolled: 4-line block ×3, first 2 shown]
	v_fma_f64 v[18:19], v[14:15], v[18:19], s[14:15]
	s_delay_alu instid0(VALU_DEP_1) | instskip(SKIP_2) | instid1(VALU_DEP_3)
	v_fma_f64 v[14:15], v[14:15], v[18:19], s[8:9]
	v_ldexp_f64 v[18:19], v[12:13], 1
	v_add_f64 v[12:13], v[12:13], -v[16:17]
	v_mul_f64 v[14:15], v[20:21], v[14:15]
	v_cvt_f64_i32_e32 v[20:21], v32
	s_delay_alu instid0(VALU_DEP_3) | instskip(NEXT) | instid1(VALU_DEP_3)
	v_add_f64 v[8:9], v[8:9], -v[12:13]
	v_add_f64 v[16:17], v[18:19], v[14:15]
	s_delay_alu instid0(VALU_DEP_3) | instskip(NEXT) | instid1(VALU_DEP_3)
	v_mul_f64 v[22:23], v[20:21], s[4:5]
	v_ldexp_f64 v[8:9], v[8:9], 1
	s_delay_alu instid0(VALU_DEP_3) | instskip(NEXT) | instid1(VALU_DEP_3)
	v_add_f64 v[12:13], v[16:17], -v[18:19]
	v_fma_f64 v[18:19], v[20:21], s[4:5], -v[22:23]
	s_delay_alu instid0(VALU_DEP_2) | instskip(NEXT) | instid1(VALU_DEP_2)
	v_add_f64 v[12:13], v[14:15], -v[12:13]
	v_fma_f64 v[14:15], v[20:21], s[6:7], v[18:19]
	s_delay_alu instid0(VALU_DEP_2) | instskip(NEXT) | instid1(VALU_DEP_2)
	v_add_f64 v[8:9], v[8:9], v[12:13]
	v_add_f64 v[12:13], v[22:23], v[14:15]
	s_delay_alu instid0(VALU_DEP_2) | instskip(NEXT) | instid1(VALU_DEP_2)
	v_add_f64 v[18:19], v[16:17], v[8:9]
	v_add_f64 v[22:23], v[12:13], -v[22:23]
	s_delay_alu instid0(VALU_DEP_2) | instskip(SKIP_1) | instid1(VALU_DEP_3)
	v_add_f64 v[20:21], v[12:13], v[18:19]
	v_add_f64 v[16:17], v[18:19], -v[16:17]
	v_add_f64 v[14:15], v[14:15], -v[22:23]
	s_delay_alu instid0(VALU_DEP_3) | instskip(NEXT) | instid1(VALU_DEP_3)
	v_add_f64 v[24:25], v[20:21], -v[12:13]
	v_add_f64 v[8:9], v[8:9], -v[16:17]
	s_delay_alu instid0(VALU_DEP_2) | instskip(SKIP_1) | instid1(VALU_DEP_3)
	v_add_f64 v[26:27], v[20:21], -v[24:25]
	v_add_f64 v[16:17], v[18:19], -v[24:25]
	v_add_f64 v[18:19], v[14:15], v[8:9]
	s_delay_alu instid0(VALU_DEP_3) | instskip(NEXT) | instid1(VALU_DEP_1)
	v_add_f64 v[12:13], v[12:13], -v[26:27]
	v_add_f64 v[12:13], v[16:17], v[12:13]
	s_delay_alu instid0(VALU_DEP_3) | instskip(NEXT) | instid1(VALU_DEP_2)
	v_add_f64 v[16:17], v[18:19], -v[14:15]
	v_add_f64 v[12:13], v[18:19], v[12:13]
	s_delay_alu instid0(VALU_DEP_2) | instskip(SKIP_1) | instid1(VALU_DEP_3)
	v_add_f64 v[18:19], v[18:19], -v[16:17]
	v_add_f64 v[8:9], v[8:9], -v[16:17]
	v_add_f64 v[22:23], v[20:21], v[12:13]
	s_delay_alu instid0(VALU_DEP_3) | instskip(NEXT) | instid1(VALU_DEP_2)
	v_add_f64 v[14:15], v[14:15], -v[18:19]
	v_add_f64 v[16:17], v[22:23], -v[20:21]
	s_delay_alu instid0(VALU_DEP_2) | instskip(NEXT) | instid1(VALU_DEP_2)
	v_add_f64 v[8:9], v[8:9], v[14:15]
	v_add_f64 v[12:13], v[12:13], -v[16:17]
	s_delay_alu instid0(VALU_DEP_1) | instskip(NEXT) | instid1(VALU_DEP_1)
	v_add_f64 v[8:9], v[8:9], v[12:13]
	v_add_f64 v[8:9], v[22:23], v[8:9]
	s_delay_alu instid0(VALU_DEP_1) | instskip(SKIP_1) | instid1(VALU_DEP_2)
	v_dual_cndmask_b32 v9, v9, v5 :: v_dual_cndmask_b32 v8, v8, v4
	v_cmp_ngt_f64_e32 vcc_lo, -1.0, v[4:5]
	v_cndmask_b32_e32 v9, 0x7ff80000, v9, vcc_lo
	v_cmp_nge_f64_e32 vcc_lo, -1.0, v[4:5]
	s_delay_alu instid0(VALU_DEP_4) | instskip(SKIP_1) | instid1(VALU_DEP_4)
	v_cndmask_b32_e32 v8, 0, v8, vcc_lo
	v_cmp_neq_f64_e32 vcc_lo, -1.0, v[4:5]
	v_cndmask_b32_e32 v9, 0xfff00000, v9, vcc_lo
	s_delay_alu instid0(VALU_DEP_1)
	v_add_f64 v[4:5], v[6:7], v[8:9]
.LBB56_26:
	s_or_b32 exec_lo, exec_lo, s10
	v_max_f64 v[12:13], v[114:115], v[114:115]
	s_delay_alu instid0(VALU_DEP_2) | instskip(SKIP_2) | instid1(VALU_DEP_3)
	v_max_f64 v[6:7], v[4:5], v[4:5]
	v_cmp_u_f64_e32 vcc_lo, v[4:5], v[4:5]
	v_cmp_u_f64_e64 s3, v[114:115], v[114:115]
	v_min_f64 v[8:9], v[6:7], v[12:13]
	v_max_f64 v[6:7], v[6:7], v[12:13]
	s_delay_alu instid0(VALU_DEP_2) | instskip(NEXT) | instid1(VALU_DEP_2)
	v_dual_cndmask_b32 v8, v8, v4 :: v_dual_cndmask_b32 v9, v9, v5
	v_dual_cndmask_b32 v7, v7, v5 :: v_dual_cndmask_b32 v6, v6, v4
	s_delay_alu instid0(VALU_DEP_2) | instskip(NEXT) | instid1(VALU_DEP_3)
	v_cndmask_b32_e64 v8, v8, v114, s3
	v_cndmask_b32_e64 v9, v9, v115, s3
	s_delay_alu instid0(VALU_DEP_3) | instskip(NEXT) | instid1(VALU_DEP_4)
	v_cndmask_b32_e64 v7, v7, v115, s3
	v_cndmask_b32_e64 v6, v6, v114, s3
	s_delay_alu instid0(VALU_DEP_3) | instskip(NEXT) | instid1(VALU_DEP_2)
	v_cmp_class_f64_e64 s4, v[8:9], 0x1f8
	v_cmp_neq_f64_e32 vcc_lo, v[8:9], v[6:7]
	s_delay_alu instid0(VALU_DEP_2) | instskip(NEXT) | instid1(SALU_CYCLE_1)
	s_or_b32 s4, vcc_lo, s4
	s_and_saveexec_b32 s10, s4
	s_cbranch_execz .LBB56_28
; %bb.27:
	v_add_f64 v[4:5], v[8:9], -v[6:7]
	s_mov_b32 s4, 0x652b82fe
	s_mov_b32 s5, 0x3ff71547
	;; [unrolled: 1-line block ×10, first 2 shown]
	s_delay_alu instid0(VALU_DEP_1) | instskip(SKIP_3) | instid1(VALU_DEP_2)
	v_mul_f64 v[8:9], v[4:5], s[4:5]
	s_mov_b32 s4, 0xfca7ab0c
	s_mov_b32 s5, 0x3e928af3
	v_cmp_nlt_f64_e32 vcc_lo, 0x40900000, v[4:5]
	v_rndne_f64_e32 v[8:9], v[8:9]
	s_delay_alu instid0(VALU_DEP_1) | instskip(SKIP_2) | instid1(VALU_DEP_2)
	v_fma_f64 v[14:15], v[8:9], s[6:7], v[4:5]
	v_cvt_i32_f64_e32 v18, v[8:9]
	s_mov_b32 s7, 0x3fe62e42
	v_fma_f64 v[14:15], v[8:9], s[8:9], v[14:15]
	s_mov_b32 s9, 0x3c7abc9e
	s_delay_alu instid0(VALU_DEP_1) | instskip(SKIP_4) | instid1(VALU_DEP_1)
	v_fma_f64 v[16:17], v[14:15], s[14:15], s[4:5]
	s_mov_b32 s4, 0x623fde64
	s_mov_b32 s5, 0x3ec71dee
	;; [unrolled: 1-line block ×4, first 2 shown]
	v_fma_f64 v[16:17], v[14:15], v[16:17], s[4:5]
	s_mov_b32 s4, 0x7c89e6b0
	s_mov_b32 s5, 0x3efa0199
	s_delay_alu instid0(VALU_DEP_1) | instid1(SALU_CYCLE_1)
	v_fma_f64 v[16:17], v[14:15], v[16:17], s[4:5]
	s_mov_b32 s4, 0x14761f6e
	s_mov_b32 s5, 0x3f2a01a0
	s_delay_alu instid0(VALU_DEP_1) | instid1(SALU_CYCLE_1)
	;; [unrolled: 4-line block ×7, first 2 shown]
	v_fma_f64 v[16:17], v[14:15], v[16:17], s[4:5]
	v_cmp_ngt_f64_e64 s4, 0xc090cc00, v[4:5]
	s_mov_b32 s5, 0x3fe55555
	s_delay_alu instid0(VALU_DEP_2) | instskip(NEXT) | instid1(VALU_DEP_1)
	v_fma_f64 v[16:17], v[14:15], v[16:17], 1.0
	v_fma_f64 v[8:9], v[14:15], v[16:17], 1.0
	s_delay_alu instid0(VALU_DEP_1) | instskip(NEXT) | instid1(VALU_DEP_1)
	v_ldexp_f64 v[8:9], v[8:9], v18
	v_cndmask_b32_e32 v9, 0x7ff00000, v9, vcc_lo
	s_and_b32 vcc_lo, s4, vcc_lo
	s_delay_alu instid0(VALU_DEP_1) | instskip(NEXT) | instid1(VALU_DEP_3)
	v_cndmask_b32_e64 v5, 0, v9, s4
	v_cndmask_b32_e32 v4, 0, v8, vcc_lo
	s_mov_b32 s4, 0x55555555
	s_delay_alu instid0(VALU_DEP_1) | instskip(NEXT) | instid1(VALU_DEP_1)
	v_add_f64 v[8:9], v[4:5], 1.0
	v_frexp_mant_f64_e32 v[14:15], v[8:9]
	v_frexp_exp_i32_f64_e32 v18, v[8:9]
	v_add_f64 v[16:17], v[8:9], -1.0
	s_delay_alu instid0(VALU_DEP_3) | instskip(SKIP_1) | instid1(VALU_DEP_2)
	v_cmp_gt_f64_e32 vcc_lo, s[4:5], v[14:15]
	s_mov_b32 s4, 0x55555780
	v_add_f64 v[14:15], v[16:17], -v[8:9]
	v_add_f64 v[16:17], v[4:5], -v[16:17]
	v_subrev_co_ci_u32_e32 v34, vcc_lo, 0, v18, vcc_lo
	s_delay_alu instid0(VALU_DEP_3) | instskip(SKIP_1) | instid1(VALU_DEP_3)
	v_add_f64 v[14:15], v[14:15], 1.0
	v_cmp_eq_f64_e32 vcc_lo, 0x7ff00000, v[4:5]
	v_sub_nc_u32_e32 v20, 0, v34
	s_delay_alu instid0(VALU_DEP_1) | instskip(NEXT) | instid1(VALU_DEP_4)
	v_ldexp_f64 v[8:9], v[8:9], v20
	v_add_f64 v[14:15], v[16:17], v[14:15]
	s_delay_alu instid0(VALU_DEP_2) | instskip(SKIP_1) | instid1(VALU_DEP_3)
	v_add_f64 v[18:19], v[8:9], 1.0
	v_add_f64 v[24:25], v[8:9], -1.0
	v_ldexp_f64 v[14:15], v[14:15], v20
	s_delay_alu instid0(VALU_DEP_3) | instskip(NEXT) | instid1(VALU_DEP_3)
	v_add_f64 v[16:17], v[18:19], -1.0
	v_add_f64 v[26:27], v[24:25], 1.0
	s_delay_alu instid0(VALU_DEP_2) | instskip(NEXT) | instid1(VALU_DEP_2)
	v_add_f64 v[16:17], v[8:9], -v[16:17]
	v_add_f64 v[8:9], v[8:9], -v[26:27]
	s_delay_alu instid0(VALU_DEP_2) | instskip(NEXT) | instid1(VALU_DEP_2)
	v_add_f64 v[16:17], v[14:15], v[16:17]
	v_add_f64 v[8:9], v[14:15], v[8:9]
	s_delay_alu instid0(VALU_DEP_2) | instskip(NEXT) | instid1(VALU_DEP_2)
	v_add_f64 v[20:21], v[18:19], v[16:17]
	v_add_f64 v[26:27], v[24:25], v[8:9]
	s_delay_alu instid0(VALU_DEP_2) | instskip(SKIP_1) | instid1(VALU_DEP_2)
	v_rcp_f64_e32 v[22:23], v[20:21]
	v_add_f64 v[18:19], v[20:21], -v[18:19]
	v_add_f64 v[24:25], v[26:27], -v[24:25]
	s_delay_alu instid0(VALU_DEP_2) | instskip(SKIP_3) | instid1(VALU_DEP_2)
	v_add_f64 v[16:17], v[16:17], -v[18:19]
	s_waitcnt_depctr 0xfff
	v_fma_f64 v[28:29], -v[20:21], v[22:23], 1.0
	v_add_f64 v[8:9], v[8:9], -v[24:25]
	v_fma_f64 v[22:23], v[28:29], v[22:23], v[22:23]
	s_delay_alu instid0(VALU_DEP_1) | instskip(NEXT) | instid1(VALU_DEP_1)
	v_fma_f64 v[14:15], -v[20:21], v[22:23], 1.0
	v_fma_f64 v[14:15], v[14:15], v[22:23], v[22:23]
	s_delay_alu instid0(VALU_DEP_1) | instskip(NEXT) | instid1(VALU_DEP_1)
	v_mul_f64 v[22:23], v[26:27], v[14:15]
	v_mul_f64 v[28:29], v[20:21], v[22:23]
	s_delay_alu instid0(VALU_DEP_1) | instskip(NEXT) | instid1(VALU_DEP_1)
	v_fma_f64 v[18:19], v[22:23], v[20:21], -v[28:29]
	v_fma_f64 v[18:19], v[22:23], v[16:17], v[18:19]
	s_delay_alu instid0(VALU_DEP_1) | instskip(NEXT) | instid1(VALU_DEP_1)
	v_add_f64 v[30:31], v[28:29], v[18:19]
	v_add_f64 v[32:33], v[26:27], -v[30:31]
	v_add_f64 v[24:25], v[30:31], -v[28:29]
	s_delay_alu instid0(VALU_DEP_2) | instskip(NEXT) | instid1(VALU_DEP_2)
	v_add_f64 v[26:27], v[26:27], -v[32:33]
	v_add_f64 v[18:19], v[24:25], -v[18:19]
	s_delay_alu instid0(VALU_DEP_2) | instskip(NEXT) | instid1(VALU_DEP_1)
	v_add_f64 v[26:27], v[26:27], -v[30:31]
	v_add_f64 v[8:9], v[8:9], v[26:27]
	s_delay_alu instid0(VALU_DEP_1) | instskip(NEXT) | instid1(VALU_DEP_1)
	v_add_f64 v[8:9], v[18:19], v[8:9]
	v_add_f64 v[18:19], v[32:33], v[8:9]
	s_delay_alu instid0(VALU_DEP_1) | instskip(SKIP_1) | instid1(VALU_DEP_2)
	v_mul_f64 v[24:25], v[14:15], v[18:19]
	v_add_f64 v[30:31], v[32:33], -v[18:19]
	v_mul_f64 v[26:27], v[20:21], v[24:25]
	s_delay_alu instid0(VALU_DEP_2) | instskip(NEXT) | instid1(VALU_DEP_2)
	v_add_f64 v[8:9], v[8:9], v[30:31]
	v_fma_f64 v[20:21], v[24:25], v[20:21], -v[26:27]
	s_delay_alu instid0(VALU_DEP_1) | instskip(NEXT) | instid1(VALU_DEP_1)
	v_fma_f64 v[16:17], v[24:25], v[16:17], v[20:21]
	v_add_f64 v[20:21], v[26:27], v[16:17]
	s_delay_alu instid0(VALU_DEP_1) | instskip(SKIP_1) | instid1(VALU_DEP_2)
	v_add_f64 v[28:29], v[18:19], -v[20:21]
	v_add_f64 v[26:27], v[20:21], -v[26:27]
	;; [unrolled: 1-line block ×3, first 2 shown]
	s_delay_alu instid0(VALU_DEP_2) | instskip(NEXT) | instid1(VALU_DEP_2)
	v_add_f64 v[16:17], v[26:27], -v[16:17]
	v_add_f64 v[18:19], v[18:19], -v[20:21]
	s_delay_alu instid0(VALU_DEP_1) | instskip(SKIP_1) | instid1(VALU_DEP_2)
	v_add_f64 v[8:9], v[8:9], v[18:19]
	v_add_f64 v[18:19], v[22:23], v[24:25]
	;; [unrolled: 1-line block ×3, first 2 shown]
	s_delay_alu instid0(VALU_DEP_2) | instskip(NEXT) | instid1(VALU_DEP_2)
	v_add_f64 v[16:17], v[18:19], -v[22:23]
	v_add_f64 v[8:9], v[28:29], v[8:9]
	s_delay_alu instid0(VALU_DEP_2) | instskip(NEXT) | instid1(VALU_DEP_2)
	v_add_f64 v[16:17], v[24:25], -v[16:17]
	v_mul_f64 v[8:9], v[14:15], v[8:9]
	s_delay_alu instid0(VALU_DEP_1) | instskip(NEXT) | instid1(VALU_DEP_1)
	v_add_f64 v[8:9], v[16:17], v[8:9]
	v_add_f64 v[14:15], v[18:19], v[8:9]
	s_delay_alu instid0(VALU_DEP_1) | instskip(NEXT) | instid1(VALU_DEP_1)
	v_mul_f64 v[16:17], v[14:15], v[14:15]
	v_fma_f64 v[20:21], v[16:17], s[18:19], s[14:15]
	s_mov_b32 s14, 0xd7f4df2e
	s_mov_b32 s15, 0x3fc7474d
	v_mul_f64 v[22:23], v[14:15], v[16:17]
	s_delay_alu instid0(VALU_DEP_2)
	v_fma_f64 v[20:21], v[16:17], v[20:21], s[14:15]
	s_mov_b32 s14, 0x16291751
	s_mov_b32 s15, 0x3fcc71c0
	s_delay_alu instid0(VALU_DEP_1) | instid1(SALU_CYCLE_1)
	v_fma_f64 v[20:21], v[16:17], v[20:21], s[14:15]
	s_mov_b32 s14, 0x9b27acf1
	s_mov_b32 s15, 0x3fd24924
	s_delay_alu instid0(VALU_DEP_1) | instid1(SALU_CYCLE_1)
	;; [unrolled: 4-line block ×3, first 2 shown]
	v_fma_f64 v[20:21], v[16:17], v[20:21], s[14:15]
	s_delay_alu instid0(VALU_DEP_1) | instskip(SKIP_2) | instid1(VALU_DEP_3)
	v_fma_f64 v[16:17], v[16:17], v[20:21], s[4:5]
	v_ldexp_f64 v[20:21], v[14:15], 1
	v_add_f64 v[14:15], v[14:15], -v[18:19]
	v_mul_f64 v[16:17], v[22:23], v[16:17]
	v_cvt_f64_i32_e32 v[22:23], v34
	s_delay_alu instid0(VALU_DEP_3) | instskip(NEXT) | instid1(VALU_DEP_3)
	v_add_f64 v[8:9], v[8:9], -v[14:15]
	v_add_f64 v[18:19], v[20:21], v[16:17]
	s_delay_alu instid0(VALU_DEP_3) | instskip(NEXT) | instid1(VALU_DEP_3)
	v_mul_f64 v[24:25], v[22:23], s[6:7]
	v_ldexp_f64 v[8:9], v[8:9], 1
	s_delay_alu instid0(VALU_DEP_3) | instskip(NEXT) | instid1(VALU_DEP_3)
	v_add_f64 v[14:15], v[18:19], -v[20:21]
	v_fma_f64 v[20:21], v[22:23], s[6:7], -v[24:25]
	s_delay_alu instid0(VALU_DEP_2) | instskip(NEXT) | instid1(VALU_DEP_2)
	v_add_f64 v[14:15], v[16:17], -v[14:15]
	v_fma_f64 v[16:17], v[22:23], s[8:9], v[20:21]
	s_delay_alu instid0(VALU_DEP_2) | instskip(NEXT) | instid1(VALU_DEP_2)
	v_add_f64 v[8:9], v[8:9], v[14:15]
	v_add_f64 v[14:15], v[24:25], v[16:17]
	s_delay_alu instid0(VALU_DEP_2) | instskip(NEXT) | instid1(VALU_DEP_2)
	v_add_f64 v[20:21], v[18:19], v[8:9]
	v_add_f64 v[24:25], v[14:15], -v[24:25]
	s_delay_alu instid0(VALU_DEP_2) | instskip(SKIP_1) | instid1(VALU_DEP_3)
	v_add_f64 v[22:23], v[14:15], v[20:21]
	v_add_f64 v[18:19], v[20:21], -v[18:19]
	v_add_f64 v[16:17], v[16:17], -v[24:25]
	s_delay_alu instid0(VALU_DEP_3) | instskip(NEXT) | instid1(VALU_DEP_3)
	v_add_f64 v[26:27], v[22:23], -v[14:15]
	v_add_f64 v[8:9], v[8:9], -v[18:19]
	s_delay_alu instid0(VALU_DEP_2) | instskip(SKIP_1) | instid1(VALU_DEP_3)
	v_add_f64 v[28:29], v[22:23], -v[26:27]
	v_add_f64 v[18:19], v[20:21], -v[26:27]
	v_add_f64 v[20:21], v[16:17], v[8:9]
	s_delay_alu instid0(VALU_DEP_3) | instskip(NEXT) | instid1(VALU_DEP_1)
	v_add_f64 v[14:15], v[14:15], -v[28:29]
	v_add_f64 v[14:15], v[18:19], v[14:15]
	s_delay_alu instid0(VALU_DEP_3) | instskip(NEXT) | instid1(VALU_DEP_2)
	v_add_f64 v[18:19], v[20:21], -v[16:17]
	v_add_f64 v[14:15], v[20:21], v[14:15]
	s_delay_alu instid0(VALU_DEP_2) | instskip(SKIP_1) | instid1(VALU_DEP_3)
	v_add_f64 v[20:21], v[20:21], -v[18:19]
	v_add_f64 v[8:9], v[8:9], -v[18:19]
	v_add_f64 v[24:25], v[22:23], v[14:15]
	s_delay_alu instid0(VALU_DEP_3) | instskip(NEXT) | instid1(VALU_DEP_2)
	v_add_f64 v[16:17], v[16:17], -v[20:21]
	v_add_f64 v[18:19], v[24:25], -v[22:23]
	s_delay_alu instid0(VALU_DEP_2) | instskip(NEXT) | instid1(VALU_DEP_2)
	v_add_f64 v[8:9], v[8:9], v[16:17]
	v_add_f64 v[14:15], v[14:15], -v[18:19]
	s_delay_alu instid0(VALU_DEP_1) | instskip(NEXT) | instid1(VALU_DEP_1)
	v_add_f64 v[8:9], v[8:9], v[14:15]
	v_add_f64 v[8:9], v[24:25], v[8:9]
	s_delay_alu instid0(VALU_DEP_1) | instskip(SKIP_1) | instid1(VALU_DEP_2)
	v_dual_cndmask_b32 v9, v9, v5 :: v_dual_cndmask_b32 v8, v8, v4
	v_cmp_ngt_f64_e32 vcc_lo, -1.0, v[4:5]
	v_cndmask_b32_e32 v9, 0x7ff80000, v9, vcc_lo
	v_cmp_nge_f64_e32 vcc_lo, -1.0, v[4:5]
	s_delay_alu instid0(VALU_DEP_4) | instskip(SKIP_1) | instid1(VALU_DEP_4)
	v_cndmask_b32_e32 v8, 0, v8, vcc_lo
	v_cmp_neq_f64_e32 vcc_lo, -1.0, v[4:5]
	v_cndmask_b32_e32 v9, 0xfff00000, v9, vcc_lo
	s_delay_alu instid0(VALU_DEP_1)
	v_add_f64 v[4:5], v[6:7], v[8:9]
.LBB56_28:
	s_or_b32 exec_lo, exec_lo, s10
	v_max_f64 v[14:15], v[100:101], v[100:101]
	s_delay_alu instid0(VALU_DEP_2) | instskip(SKIP_2) | instid1(VALU_DEP_3)
	v_max_f64 v[6:7], v[4:5], v[4:5]
	v_cmp_u_f64_e32 vcc_lo, v[4:5], v[4:5]
	v_cmp_u_f64_e64 s4, v[100:101], v[100:101]
	v_min_f64 v[8:9], v[6:7], v[14:15]
	v_max_f64 v[6:7], v[6:7], v[14:15]
	s_delay_alu instid0(VALU_DEP_2) | instskip(NEXT) | instid1(VALU_DEP_2)
	v_dual_cndmask_b32 v8, v8, v4 :: v_dual_cndmask_b32 v9, v9, v5
	v_dual_cndmask_b32 v7, v7, v5 :: v_dual_cndmask_b32 v6, v6, v4
	s_delay_alu instid0(VALU_DEP_2) | instskip(NEXT) | instid1(VALU_DEP_3)
	v_cndmask_b32_e64 v8, v8, v100, s4
	v_cndmask_b32_e64 v9, v9, v101, s4
	s_delay_alu instid0(VALU_DEP_3) | instskip(NEXT) | instid1(VALU_DEP_4)
	v_cndmask_b32_e64 v7, v7, v101, s4
	v_cndmask_b32_e64 v6, v6, v100, s4
	s_delay_alu instid0(VALU_DEP_3) | instskip(NEXT) | instid1(VALU_DEP_2)
	v_cmp_class_f64_e64 s5, v[8:9], 0x1f8
	v_cmp_neq_f64_e32 vcc_lo, v[8:9], v[6:7]
	s_delay_alu instid0(VALU_DEP_2) | instskip(NEXT) | instid1(SALU_CYCLE_1)
	s_or_b32 s5, vcc_lo, s5
	s_and_saveexec_b32 s13, s5
	s_cbranch_execz .LBB56_30
; %bb.29:
	v_add_f64 v[4:5], v[8:9], -v[6:7]
	s_mov_b32 s6, 0x652b82fe
	s_mov_b32 s7, 0x3ff71547
	;; [unrolled: 1-line block ×10, first 2 shown]
	s_delay_alu instid0(VALU_DEP_1) | instskip(SKIP_4) | instid1(VALU_DEP_3)
	v_mul_f64 v[8:9], v[4:5], s[6:7]
	s_mov_b32 s7, 0xbfe62e42
	s_mov_b32 s6, 0xfefa39ef
	v_cmp_nlt_f64_e32 vcc_lo, 0x40900000, v[4:5]
	v_cmp_ngt_f64_e64 s5, 0xc090cc00, v[4:5]
	v_rndne_f64_e32 v[8:9], v[8:9]
	s_delay_alu instid0(VALU_DEP_1) | instskip(SKIP_2) | instid1(VALU_DEP_2)
	v_fma_f64 v[16:17], v[8:9], s[6:7], v[4:5]
	v_cvt_i32_f64_e32 v20, v[8:9]
	s_mov_b32 s7, 0x3fe62e42
	v_fma_f64 v[16:17], v[8:9], s[8:9], v[16:17]
	s_mov_b32 s9, 0x3c7abc9e
	s_delay_alu instid0(VALU_DEP_1) | instskip(SKIP_4) | instid1(VALU_DEP_1)
	v_fma_f64 v[18:19], v[16:17], s[14:15], s[10:11]
	s_mov_b32 s10, 0x623fde64
	s_mov_b32 s11, 0x3ec71dee
	;; [unrolled: 1-line block ×4, first 2 shown]
	v_fma_f64 v[18:19], v[16:17], v[18:19], s[10:11]
	s_mov_b32 s10, 0x7c89e6b0
	s_mov_b32 s11, 0x3efa0199
	s_delay_alu instid0(VALU_DEP_1) | instid1(SALU_CYCLE_1)
	v_fma_f64 v[18:19], v[16:17], v[18:19], s[10:11]
	s_mov_b32 s10, 0x14761f6e
	s_mov_b32 s11, 0x3f2a01a0
	s_delay_alu instid0(VALU_DEP_1) | instid1(SALU_CYCLE_1)
	;; [unrolled: 4-line block ×7, first 2 shown]
	v_fma_f64 v[18:19], v[16:17], v[18:19], s[10:11]
	s_mov_b32 s11, 0x3fe55555
	s_mov_b32 s10, 0x55555555
	s_delay_alu instid0(VALU_DEP_1) | instskip(NEXT) | instid1(VALU_DEP_1)
	v_fma_f64 v[18:19], v[16:17], v[18:19], 1.0
	v_fma_f64 v[8:9], v[16:17], v[18:19], 1.0
	s_delay_alu instid0(VALU_DEP_1) | instskip(NEXT) | instid1(VALU_DEP_1)
	v_ldexp_f64 v[8:9], v[8:9], v20
	v_cndmask_b32_e32 v9, 0x7ff00000, v9, vcc_lo
	s_and_b32 vcc_lo, s5, vcc_lo
	s_delay_alu instid0(VALU_DEP_1) | instskip(NEXT) | instid1(VALU_DEP_3)
	v_cndmask_b32_e64 v5, 0, v9, s5
	v_cndmask_b32_e32 v4, 0, v8, vcc_lo
	s_delay_alu instid0(VALU_DEP_1) | instskip(NEXT) | instid1(VALU_DEP_1)
	v_add_f64 v[8:9], v[4:5], 1.0
	v_frexp_mant_f64_e32 v[16:17], v[8:9]
	v_frexp_exp_i32_f64_e32 v20, v[8:9]
	v_add_f64 v[18:19], v[8:9], -1.0
	s_delay_alu instid0(VALU_DEP_3) | instskip(SKIP_1) | instid1(VALU_DEP_2)
	v_cmp_gt_f64_e32 vcc_lo, s[10:11], v[16:17]
	s_mov_b32 s10, 0x55555780
	v_add_f64 v[16:17], v[18:19], -v[8:9]
	v_add_f64 v[18:19], v[4:5], -v[18:19]
	v_subrev_co_ci_u32_e32 v129, vcc_lo, 0, v20, vcc_lo
	s_delay_alu instid0(VALU_DEP_3) | instskip(SKIP_1) | instid1(VALU_DEP_3)
	v_add_f64 v[16:17], v[16:17], 1.0
	v_cmp_eq_f64_e32 vcc_lo, 0x7ff00000, v[4:5]
	v_sub_nc_u32_e32 v22, 0, v129
	s_delay_alu instid0(VALU_DEP_1) | instskip(NEXT) | instid1(VALU_DEP_4)
	v_ldexp_f64 v[8:9], v[8:9], v22
	v_add_f64 v[16:17], v[18:19], v[16:17]
	s_delay_alu instid0(VALU_DEP_2) | instskip(SKIP_1) | instid1(VALU_DEP_3)
	v_add_f64 v[20:21], v[8:9], 1.0
	v_add_f64 v[26:27], v[8:9], -1.0
	v_ldexp_f64 v[16:17], v[16:17], v22
	s_delay_alu instid0(VALU_DEP_3) | instskip(NEXT) | instid1(VALU_DEP_3)
	v_add_f64 v[18:19], v[20:21], -1.0
	v_add_f64 v[28:29], v[26:27], 1.0
	s_delay_alu instid0(VALU_DEP_2) | instskip(NEXT) | instid1(VALU_DEP_2)
	v_add_f64 v[18:19], v[8:9], -v[18:19]
	v_add_f64 v[8:9], v[8:9], -v[28:29]
	s_delay_alu instid0(VALU_DEP_2) | instskip(NEXT) | instid1(VALU_DEP_2)
	v_add_f64 v[18:19], v[16:17], v[18:19]
	v_add_f64 v[8:9], v[16:17], v[8:9]
	s_delay_alu instid0(VALU_DEP_2) | instskip(NEXT) | instid1(VALU_DEP_2)
	v_add_f64 v[22:23], v[20:21], v[18:19]
	v_add_f64 v[28:29], v[26:27], v[8:9]
	s_delay_alu instid0(VALU_DEP_2) | instskip(SKIP_1) | instid1(VALU_DEP_2)
	v_rcp_f64_e32 v[24:25], v[22:23]
	v_add_f64 v[20:21], v[22:23], -v[20:21]
	v_add_f64 v[26:27], v[28:29], -v[26:27]
	s_delay_alu instid0(VALU_DEP_2) | instskip(SKIP_3) | instid1(VALU_DEP_2)
	v_add_f64 v[18:19], v[18:19], -v[20:21]
	s_waitcnt_depctr 0xfff
	v_fma_f64 v[30:31], -v[22:23], v[24:25], 1.0
	v_add_f64 v[8:9], v[8:9], -v[26:27]
	v_fma_f64 v[24:25], v[30:31], v[24:25], v[24:25]
	s_delay_alu instid0(VALU_DEP_1) | instskip(NEXT) | instid1(VALU_DEP_1)
	v_fma_f64 v[16:17], -v[22:23], v[24:25], 1.0
	v_fma_f64 v[16:17], v[16:17], v[24:25], v[24:25]
	s_delay_alu instid0(VALU_DEP_1) | instskip(NEXT) | instid1(VALU_DEP_1)
	v_mul_f64 v[24:25], v[28:29], v[16:17]
	v_mul_f64 v[30:31], v[22:23], v[24:25]
	s_delay_alu instid0(VALU_DEP_1) | instskip(NEXT) | instid1(VALU_DEP_1)
	v_fma_f64 v[20:21], v[24:25], v[22:23], -v[30:31]
	v_fma_f64 v[20:21], v[24:25], v[18:19], v[20:21]
	s_delay_alu instid0(VALU_DEP_1) | instskip(NEXT) | instid1(VALU_DEP_1)
	v_add_f64 v[32:33], v[30:31], v[20:21]
	v_add_f64 v[34:35], v[28:29], -v[32:33]
	v_add_f64 v[26:27], v[32:33], -v[30:31]
	s_delay_alu instid0(VALU_DEP_2) | instskip(NEXT) | instid1(VALU_DEP_2)
	v_add_f64 v[28:29], v[28:29], -v[34:35]
	v_add_f64 v[20:21], v[26:27], -v[20:21]
	s_delay_alu instid0(VALU_DEP_2) | instskip(NEXT) | instid1(VALU_DEP_1)
	v_add_f64 v[28:29], v[28:29], -v[32:33]
	v_add_f64 v[8:9], v[8:9], v[28:29]
	s_delay_alu instid0(VALU_DEP_1) | instskip(NEXT) | instid1(VALU_DEP_1)
	v_add_f64 v[8:9], v[20:21], v[8:9]
	v_add_f64 v[20:21], v[34:35], v[8:9]
	s_delay_alu instid0(VALU_DEP_1) | instskip(SKIP_1) | instid1(VALU_DEP_2)
	v_mul_f64 v[26:27], v[16:17], v[20:21]
	v_add_f64 v[32:33], v[34:35], -v[20:21]
	v_mul_f64 v[28:29], v[22:23], v[26:27]
	s_delay_alu instid0(VALU_DEP_2) | instskip(NEXT) | instid1(VALU_DEP_2)
	v_add_f64 v[8:9], v[8:9], v[32:33]
	v_fma_f64 v[22:23], v[26:27], v[22:23], -v[28:29]
	s_delay_alu instid0(VALU_DEP_1) | instskip(NEXT) | instid1(VALU_DEP_1)
	v_fma_f64 v[18:19], v[26:27], v[18:19], v[22:23]
	v_add_f64 v[22:23], v[28:29], v[18:19]
	s_delay_alu instid0(VALU_DEP_1) | instskip(SKIP_1) | instid1(VALU_DEP_2)
	v_add_f64 v[30:31], v[20:21], -v[22:23]
	v_add_f64 v[28:29], v[22:23], -v[28:29]
	;; [unrolled: 1-line block ×3, first 2 shown]
	s_delay_alu instid0(VALU_DEP_2) | instskip(NEXT) | instid1(VALU_DEP_2)
	v_add_f64 v[18:19], v[28:29], -v[18:19]
	v_add_f64 v[20:21], v[20:21], -v[22:23]
	s_delay_alu instid0(VALU_DEP_1) | instskip(SKIP_1) | instid1(VALU_DEP_2)
	v_add_f64 v[8:9], v[8:9], v[20:21]
	v_add_f64 v[20:21], v[24:25], v[26:27]
	;; [unrolled: 1-line block ×3, first 2 shown]
	s_delay_alu instid0(VALU_DEP_2) | instskip(NEXT) | instid1(VALU_DEP_2)
	v_add_f64 v[18:19], v[20:21], -v[24:25]
	v_add_f64 v[8:9], v[30:31], v[8:9]
	s_delay_alu instid0(VALU_DEP_2) | instskip(NEXT) | instid1(VALU_DEP_2)
	v_add_f64 v[18:19], v[26:27], -v[18:19]
	v_mul_f64 v[8:9], v[16:17], v[8:9]
	s_delay_alu instid0(VALU_DEP_1) | instskip(NEXT) | instid1(VALU_DEP_1)
	v_add_f64 v[8:9], v[18:19], v[8:9]
	v_add_f64 v[16:17], v[20:21], v[8:9]
	s_delay_alu instid0(VALU_DEP_1) | instskip(NEXT) | instid1(VALU_DEP_1)
	v_mul_f64 v[18:19], v[16:17], v[16:17]
	v_fma_f64 v[22:23], v[18:19], s[18:19], s[14:15]
	s_mov_b32 s14, 0xd7f4df2e
	s_mov_b32 s15, 0x3fc7474d
	v_mul_f64 v[24:25], v[16:17], v[18:19]
	s_delay_alu instid0(VALU_DEP_2)
	v_fma_f64 v[22:23], v[18:19], v[22:23], s[14:15]
	s_mov_b32 s14, 0x16291751
	s_mov_b32 s15, 0x3fcc71c0
	s_delay_alu instid0(VALU_DEP_1) | instid1(SALU_CYCLE_1)
	v_fma_f64 v[22:23], v[18:19], v[22:23], s[14:15]
	s_mov_b32 s14, 0x9b27acf1
	s_mov_b32 s15, 0x3fd24924
	s_delay_alu instid0(VALU_DEP_1) | instid1(SALU_CYCLE_1)
	;; [unrolled: 4-line block ×3, first 2 shown]
	v_fma_f64 v[22:23], v[18:19], v[22:23], s[14:15]
	s_delay_alu instid0(VALU_DEP_1) | instskip(SKIP_2) | instid1(VALU_DEP_3)
	v_fma_f64 v[18:19], v[18:19], v[22:23], s[10:11]
	v_ldexp_f64 v[22:23], v[16:17], 1
	v_add_f64 v[16:17], v[16:17], -v[20:21]
	v_mul_f64 v[18:19], v[24:25], v[18:19]
	v_cvt_f64_i32_e32 v[24:25], v129
	s_delay_alu instid0(VALU_DEP_3) | instskip(NEXT) | instid1(VALU_DEP_3)
	v_add_f64 v[8:9], v[8:9], -v[16:17]
	v_add_f64 v[20:21], v[22:23], v[18:19]
	s_delay_alu instid0(VALU_DEP_3) | instskip(NEXT) | instid1(VALU_DEP_3)
	v_mul_f64 v[26:27], v[24:25], s[6:7]
	v_ldexp_f64 v[8:9], v[8:9], 1
	s_delay_alu instid0(VALU_DEP_3) | instskip(NEXT) | instid1(VALU_DEP_3)
	v_add_f64 v[16:17], v[20:21], -v[22:23]
	v_fma_f64 v[22:23], v[24:25], s[6:7], -v[26:27]
	s_delay_alu instid0(VALU_DEP_2) | instskip(NEXT) | instid1(VALU_DEP_2)
	v_add_f64 v[16:17], v[18:19], -v[16:17]
	v_fma_f64 v[18:19], v[24:25], s[8:9], v[22:23]
	s_delay_alu instid0(VALU_DEP_2) | instskip(NEXT) | instid1(VALU_DEP_2)
	v_add_f64 v[8:9], v[8:9], v[16:17]
	v_add_f64 v[16:17], v[26:27], v[18:19]
	s_delay_alu instid0(VALU_DEP_2) | instskip(NEXT) | instid1(VALU_DEP_2)
	v_add_f64 v[22:23], v[20:21], v[8:9]
	v_add_f64 v[26:27], v[16:17], -v[26:27]
	s_delay_alu instid0(VALU_DEP_2) | instskip(SKIP_1) | instid1(VALU_DEP_3)
	v_add_f64 v[24:25], v[16:17], v[22:23]
	v_add_f64 v[20:21], v[22:23], -v[20:21]
	v_add_f64 v[18:19], v[18:19], -v[26:27]
	s_delay_alu instid0(VALU_DEP_3) | instskip(NEXT) | instid1(VALU_DEP_3)
	v_add_f64 v[28:29], v[24:25], -v[16:17]
	v_add_f64 v[8:9], v[8:9], -v[20:21]
	s_delay_alu instid0(VALU_DEP_2) | instskip(SKIP_1) | instid1(VALU_DEP_3)
	v_add_f64 v[30:31], v[24:25], -v[28:29]
	v_add_f64 v[20:21], v[22:23], -v[28:29]
	v_add_f64 v[22:23], v[18:19], v[8:9]
	s_delay_alu instid0(VALU_DEP_3) | instskip(NEXT) | instid1(VALU_DEP_1)
	v_add_f64 v[16:17], v[16:17], -v[30:31]
	v_add_f64 v[16:17], v[20:21], v[16:17]
	s_delay_alu instid0(VALU_DEP_3) | instskip(NEXT) | instid1(VALU_DEP_2)
	v_add_f64 v[20:21], v[22:23], -v[18:19]
	v_add_f64 v[16:17], v[22:23], v[16:17]
	s_delay_alu instid0(VALU_DEP_2) | instskip(SKIP_1) | instid1(VALU_DEP_3)
	v_add_f64 v[22:23], v[22:23], -v[20:21]
	v_add_f64 v[8:9], v[8:9], -v[20:21]
	v_add_f64 v[26:27], v[24:25], v[16:17]
	s_delay_alu instid0(VALU_DEP_3) | instskip(NEXT) | instid1(VALU_DEP_2)
	v_add_f64 v[18:19], v[18:19], -v[22:23]
	v_add_f64 v[20:21], v[26:27], -v[24:25]
	s_delay_alu instid0(VALU_DEP_2) | instskip(NEXT) | instid1(VALU_DEP_2)
	v_add_f64 v[8:9], v[8:9], v[18:19]
	v_add_f64 v[16:17], v[16:17], -v[20:21]
	s_delay_alu instid0(VALU_DEP_1) | instskip(NEXT) | instid1(VALU_DEP_1)
	v_add_f64 v[8:9], v[8:9], v[16:17]
	v_add_f64 v[8:9], v[26:27], v[8:9]
	s_delay_alu instid0(VALU_DEP_1) | instskip(SKIP_1) | instid1(VALU_DEP_2)
	v_dual_cndmask_b32 v9, v9, v5 :: v_dual_cndmask_b32 v8, v8, v4
	v_cmp_ngt_f64_e32 vcc_lo, -1.0, v[4:5]
	v_cndmask_b32_e32 v9, 0x7ff80000, v9, vcc_lo
	v_cmp_nge_f64_e32 vcc_lo, -1.0, v[4:5]
	s_delay_alu instid0(VALU_DEP_4) | instskip(SKIP_1) | instid1(VALU_DEP_4)
	v_cndmask_b32_e32 v8, 0, v8, vcc_lo
	v_cmp_neq_f64_e32 vcc_lo, -1.0, v[4:5]
	v_cndmask_b32_e32 v9, 0xfff00000, v9, vcc_lo
	s_delay_alu instid0(VALU_DEP_1)
	v_add_f64 v[4:5], v[6:7], v[8:9]
.LBB56_30:
	s_or_b32 exec_lo, exec_lo, s13
	v_max_f64 v[16:17], v[102:103], v[102:103]
	s_delay_alu instid0(VALU_DEP_2) | instskip(SKIP_2) | instid1(VALU_DEP_3)
	v_max_f64 v[6:7], v[4:5], v[4:5]
	v_cmp_u_f64_e32 vcc_lo, v[4:5], v[4:5]
	v_cmp_u_f64_e64 s5, v[102:103], v[102:103]
	v_min_f64 v[8:9], v[6:7], v[16:17]
	v_max_f64 v[6:7], v[6:7], v[16:17]
	s_delay_alu instid0(VALU_DEP_2) | instskip(NEXT) | instid1(VALU_DEP_2)
	v_dual_cndmask_b32 v8, v8, v4 :: v_dual_cndmask_b32 v9, v9, v5
	v_dual_cndmask_b32 v7, v7, v5 :: v_dual_cndmask_b32 v6, v6, v4
	s_delay_alu instid0(VALU_DEP_2) | instskip(NEXT) | instid1(VALU_DEP_3)
	v_cndmask_b32_e64 v8, v8, v102, s5
	v_cndmask_b32_e64 v9, v9, v103, s5
	s_delay_alu instid0(VALU_DEP_3) | instskip(NEXT) | instid1(VALU_DEP_4)
	v_cndmask_b32_e64 v7, v7, v103, s5
	v_cndmask_b32_e64 v6, v6, v102, s5
	s_delay_alu instid0(VALU_DEP_3) | instskip(NEXT) | instid1(VALU_DEP_2)
	v_cmp_class_f64_e64 s6, v[8:9], 0x1f8
	v_cmp_neq_f64_e32 vcc_lo, v[8:9], v[6:7]
	s_delay_alu instid0(VALU_DEP_2) | instskip(NEXT) | instid1(SALU_CYCLE_1)
	s_or_b32 s6, vcc_lo, s6
	s_and_saveexec_b32 s13, s6
	s_cbranch_execz .LBB56_32
; %bb.31:
	v_add_f64 v[4:5], v[8:9], -v[6:7]
	s_mov_b32 s6, 0x652b82fe
	s_mov_b32 s7, 0x3ff71547
	;; [unrolled: 1-line block ×10, first 2 shown]
	s_delay_alu instid0(VALU_DEP_1) | instskip(SKIP_3) | instid1(VALU_DEP_2)
	v_mul_f64 v[8:9], v[4:5], s[6:7]
	s_mov_b32 s6, 0xfca7ab0c
	s_mov_b32 s7, 0x3e928af3
	v_cmp_nlt_f64_e32 vcc_lo, 0x40900000, v[4:5]
	v_rndne_f64_e32 v[8:9], v[8:9]
	s_delay_alu instid0(VALU_DEP_1) | instskip(SKIP_2) | instid1(VALU_DEP_2)
	v_fma_f64 v[18:19], v[8:9], s[8:9], v[4:5]
	v_cvt_i32_f64_e32 v22, v[8:9]
	s_mov_b32 s9, 0x3fe62e42
	v_fma_f64 v[18:19], v[8:9], s[10:11], v[18:19]
	s_mov_b32 s11, 0x3c7abc9e
	s_delay_alu instid0(VALU_DEP_1) | instskip(SKIP_4) | instid1(VALU_DEP_1)
	v_fma_f64 v[20:21], v[18:19], s[14:15], s[6:7]
	s_mov_b32 s6, 0x623fde64
	s_mov_b32 s7, 0x3ec71dee
	;; [unrolled: 1-line block ×4, first 2 shown]
	v_fma_f64 v[20:21], v[18:19], v[20:21], s[6:7]
	s_mov_b32 s6, 0x7c89e6b0
	s_mov_b32 s7, 0x3efa0199
	s_delay_alu instid0(VALU_DEP_1) | instid1(SALU_CYCLE_1)
	v_fma_f64 v[20:21], v[18:19], v[20:21], s[6:7]
	s_mov_b32 s6, 0x14761f6e
	s_mov_b32 s7, 0x3f2a01a0
	s_delay_alu instid0(VALU_DEP_1) | instid1(SALU_CYCLE_1)
	;; [unrolled: 4-line block ×7, first 2 shown]
	v_fma_f64 v[20:21], v[18:19], v[20:21], s[6:7]
	v_cmp_ngt_f64_e64 s6, 0xc090cc00, v[4:5]
	s_mov_b32 s7, 0x3fe55555
	s_delay_alu instid0(VALU_DEP_2) | instskip(NEXT) | instid1(VALU_DEP_1)
	v_fma_f64 v[20:21], v[18:19], v[20:21], 1.0
	v_fma_f64 v[8:9], v[18:19], v[20:21], 1.0
	s_delay_alu instid0(VALU_DEP_1) | instskip(NEXT) | instid1(VALU_DEP_1)
	v_ldexp_f64 v[8:9], v[8:9], v22
	v_cndmask_b32_e32 v9, 0x7ff00000, v9, vcc_lo
	s_and_b32 vcc_lo, s6, vcc_lo
	s_delay_alu instid0(VALU_DEP_1) | instskip(NEXT) | instid1(VALU_DEP_3)
	v_cndmask_b32_e64 v5, 0, v9, s6
	v_cndmask_b32_e32 v4, 0, v8, vcc_lo
	s_mov_b32 s6, 0x55555555
	s_delay_alu instid0(VALU_DEP_1) | instskip(NEXT) | instid1(VALU_DEP_1)
	v_add_f64 v[8:9], v[4:5], 1.0
	v_frexp_mant_f64_e32 v[18:19], v[8:9]
	v_frexp_exp_i32_f64_e32 v22, v[8:9]
	v_add_f64 v[20:21], v[8:9], -1.0
	s_delay_alu instid0(VALU_DEP_3) | instskip(SKIP_1) | instid1(VALU_DEP_2)
	v_cmp_gt_f64_e32 vcc_lo, s[6:7], v[18:19]
	s_mov_b32 s6, 0x55555780
	v_add_f64 v[18:19], v[20:21], -v[8:9]
	v_add_f64 v[20:21], v[4:5], -v[20:21]
	v_subrev_co_ci_u32_e32 v133, vcc_lo, 0, v22, vcc_lo
	s_delay_alu instid0(VALU_DEP_3) | instskip(SKIP_1) | instid1(VALU_DEP_3)
	v_add_f64 v[18:19], v[18:19], 1.0
	v_cmp_eq_f64_e32 vcc_lo, 0x7ff00000, v[4:5]
	v_sub_nc_u32_e32 v24, 0, v133
	s_delay_alu instid0(VALU_DEP_1) | instskip(NEXT) | instid1(VALU_DEP_4)
	v_ldexp_f64 v[8:9], v[8:9], v24
	v_add_f64 v[18:19], v[20:21], v[18:19]
	s_delay_alu instid0(VALU_DEP_2) | instskip(SKIP_1) | instid1(VALU_DEP_3)
	v_add_f64 v[22:23], v[8:9], 1.0
	v_add_f64 v[28:29], v[8:9], -1.0
	v_ldexp_f64 v[18:19], v[18:19], v24
	s_delay_alu instid0(VALU_DEP_3) | instskip(NEXT) | instid1(VALU_DEP_3)
	v_add_f64 v[20:21], v[22:23], -1.0
	v_add_f64 v[30:31], v[28:29], 1.0
	s_delay_alu instid0(VALU_DEP_2) | instskip(NEXT) | instid1(VALU_DEP_2)
	v_add_f64 v[20:21], v[8:9], -v[20:21]
	v_add_f64 v[8:9], v[8:9], -v[30:31]
	s_delay_alu instid0(VALU_DEP_2) | instskip(NEXT) | instid1(VALU_DEP_2)
	v_add_f64 v[20:21], v[18:19], v[20:21]
	v_add_f64 v[8:9], v[18:19], v[8:9]
	s_delay_alu instid0(VALU_DEP_2) | instskip(NEXT) | instid1(VALU_DEP_2)
	v_add_f64 v[24:25], v[22:23], v[20:21]
	v_add_f64 v[30:31], v[28:29], v[8:9]
	s_delay_alu instid0(VALU_DEP_2) | instskip(SKIP_1) | instid1(VALU_DEP_2)
	v_rcp_f64_e32 v[26:27], v[24:25]
	v_add_f64 v[22:23], v[24:25], -v[22:23]
	v_add_f64 v[28:29], v[30:31], -v[28:29]
	s_delay_alu instid0(VALU_DEP_2) | instskip(SKIP_3) | instid1(VALU_DEP_2)
	v_add_f64 v[20:21], v[20:21], -v[22:23]
	s_waitcnt_depctr 0xfff
	v_fma_f64 v[32:33], -v[24:25], v[26:27], 1.0
	v_add_f64 v[8:9], v[8:9], -v[28:29]
	v_fma_f64 v[26:27], v[32:33], v[26:27], v[26:27]
	s_delay_alu instid0(VALU_DEP_1) | instskip(NEXT) | instid1(VALU_DEP_1)
	v_fma_f64 v[18:19], -v[24:25], v[26:27], 1.0
	v_fma_f64 v[18:19], v[18:19], v[26:27], v[26:27]
	s_delay_alu instid0(VALU_DEP_1) | instskip(NEXT) | instid1(VALU_DEP_1)
	v_mul_f64 v[26:27], v[30:31], v[18:19]
	v_mul_f64 v[32:33], v[24:25], v[26:27]
	s_delay_alu instid0(VALU_DEP_1) | instskip(NEXT) | instid1(VALU_DEP_1)
	v_fma_f64 v[22:23], v[26:27], v[24:25], -v[32:33]
	v_fma_f64 v[22:23], v[26:27], v[20:21], v[22:23]
	s_delay_alu instid0(VALU_DEP_1) | instskip(NEXT) | instid1(VALU_DEP_1)
	v_add_f64 v[34:35], v[32:33], v[22:23]
	v_add_f64 v[129:130], v[30:31], -v[34:35]
	v_add_f64 v[28:29], v[34:35], -v[32:33]
	s_delay_alu instid0(VALU_DEP_2) | instskip(NEXT) | instid1(VALU_DEP_2)
	v_add_f64 v[30:31], v[30:31], -v[129:130]
	v_add_f64 v[22:23], v[28:29], -v[22:23]
	s_delay_alu instid0(VALU_DEP_2) | instskip(NEXT) | instid1(VALU_DEP_1)
	v_add_f64 v[30:31], v[30:31], -v[34:35]
	v_add_f64 v[8:9], v[8:9], v[30:31]
	s_delay_alu instid0(VALU_DEP_1) | instskip(NEXT) | instid1(VALU_DEP_1)
	v_add_f64 v[8:9], v[22:23], v[8:9]
	v_add_f64 v[22:23], v[129:130], v[8:9]
	s_delay_alu instid0(VALU_DEP_1) | instskip(SKIP_1) | instid1(VALU_DEP_2)
	v_mul_f64 v[28:29], v[18:19], v[22:23]
	v_add_f64 v[34:35], v[129:130], -v[22:23]
	v_mul_f64 v[30:31], v[24:25], v[28:29]
	s_delay_alu instid0(VALU_DEP_2) | instskip(NEXT) | instid1(VALU_DEP_2)
	v_add_f64 v[8:9], v[8:9], v[34:35]
	v_fma_f64 v[24:25], v[28:29], v[24:25], -v[30:31]
	s_delay_alu instid0(VALU_DEP_1) | instskip(NEXT) | instid1(VALU_DEP_1)
	v_fma_f64 v[20:21], v[28:29], v[20:21], v[24:25]
	v_add_f64 v[24:25], v[30:31], v[20:21]
	s_delay_alu instid0(VALU_DEP_1) | instskip(SKIP_1) | instid1(VALU_DEP_2)
	v_add_f64 v[32:33], v[22:23], -v[24:25]
	v_add_f64 v[30:31], v[24:25], -v[30:31]
	;; [unrolled: 1-line block ×3, first 2 shown]
	s_delay_alu instid0(VALU_DEP_2) | instskip(NEXT) | instid1(VALU_DEP_2)
	v_add_f64 v[20:21], v[30:31], -v[20:21]
	v_add_f64 v[22:23], v[22:23], -v[24:25]
	s_delay_alu instid0(VALU_DEP_1) | instskip(SKIP_1) | instid1(VALU_DEP_2)
	v_add_f64 v[8:9], v[8:9], v[22:23]
	v_add_f64 v[22:23], v[26:27], v[28:29]
	;; [unrolled: 1-line block ×3, first 2 shown]
	s_delay_alu instid0(VALU_DEP_2) | instskip(NEXT) | instid1(VALU_DEP_2)
	v_add_f64 v[20:21], v[22:23], -v[26:27]
	v_add_f64 v[8:9], v[32:33], v[8:9]
	s_delay_alu instid0(VALU_DEP_2) | instskip(NEXT) | instid1(VALU_DEP_2)
	v_add_f64 v[20:21], v[28:29], -v[20:21]
	v_mul_f64 v[8:9], v[18:19], v[8:9]
	s_delay_alu instid0(VALU_DEP_1) | instskip(NEXT) | instid1(VALU_DEP_1)
	v_add_f64 v[8:9], v[20:21], v[8:9]
	v_add_f64 v[18:19], v[22:23], v[8:9]
	s_delay_alu instid0(VALU_DEP_1) | instskip(NEXT) | instid1(VALU_DEP_1)
	v_mul_f64 v[20:21], v[18:19], v[18:19]
	v_fma_f64 v[24:25], v[20:21], s[18:19], s[14:15]
	s_mov_b32 s14, 0xd7f4df2e
	s_mov_b32 s15, 0x3fc7474d
	v_mul_f64 v[26:27], v[18:19], v[20:21]
	s_delay_alu instid0(VALU_DEP_2)
	v_fma_f64 v[24:25], v[20:21], v[24:25], s[14:15]
	s_mov_b32 s14, 0x16291751
	s_mov_b32 s15, 0x3fcc71c0
	s_delay_alu instid0(VALU_DEP_1) | instid1(SALU_CYCLE_1)
	v_fma_f64 v[24:25], v[20:21], v[24:25], s[14:15]
	s_mov_b32 s14, 0x9b27acf1
	s_mov_b32 s15, 0x3fd24924
	s_delay_alu instid0(VALU_DEP_1) | instid1(SALU_CYCLE_1)
	;; [unrolled: 4-line block ×3, first 2 shown]
	v_fma_f64 v[24:25], v[20:21], v[24:25], s[14:15]
	s_delay_alu instid0(VALU_DEP_1) | instskip(SKIP_2) | instid1(VALU_DEP_3)
	v_fma_f64 v[20:21], v[20:21], v[24:25], s[6:7]
	v_ldexp_f64 v[24:25], v[18:19], 1
	v_add_f64 v[18:19], v[18:19], -v[22:23]
	v_mul_f64 v[20:21], v[26:27], v[20:21]
	v_cvt_f64_i32_e32 v[26:27], v133
	s_delay_alu instid0(VALU_DEP_3) | instskip(NEXT) | instid1(VALU_DEP_3)
	v_add_f64 v[8:9], v[8:9], -v[18:19]
	v_add_f64 v[22:23], v[24:25], v[20:21]
	s_delay_alu instid0(VALU_DEP_3) | instskip(NEXT) | instid1(VALU_DEP_3)
	v_mul_f64 v[28:29], v[26:27], s[8:9]
	v_ldexp_f64 v[8:9], v[8:9], 1
	s_delay_alu instid0(VALU_DEP_3) | instskip(NEXT) | instid1(VALU_DEP_3)
	v_add_f64 v[18:19], v[22:23], -v[24:25]
	v_fma_f64 v[24:25], v[26:27], s[8:9], -v[28:29]
	s_delay_alu instid0(VALU_DEP_2) | instskip(NEXT) | instid1(VALU_DEP_2)
	v_add_f64 v[18:19], v[20:21], -v[18:19]
	v_fma_f64 v[20:21], v[26:27], s[10:11], v[24:25]
	s_delay_alu instid0(VALU_DEP_2) | instskip(NEXT) | instid1(VALU_DEP_2)
	v_add_f64 v[8:9], v[8:9], v[18:19]
	v_add_f64 v[18:19], v[28:29], v[20:21]
	s_delay_alu instid0(VALU_DEP_2) | instskip(NEXT) | instid1(VALU_DEP_2)
	v_add_f64 v[24:25], v[22:23], v[8:9]
	v_add_f64 v[28:29], v[18:19], -v[28:29]
	s_delay_alu instid0(VALU_DEP_2) | instskip(SKIP_1) | instid1(VALU_DEP_3)
	v_add_f64 v[26:27], v[18:19], v[24:25]
	v_add_f64 v[22:23], v[24:25], -v[22:23]
	v_add_f64 v[20:21], v[20:21], -v[28:29]
	s_delay_alu instid0(VALU_DEP_3) | instskip(NEXT) | instid1(VALU_DEP_3)
	v_add_f64 v[30:31], v[26:27], -v[18:19]
	v_add_f64 v[8:9], v[8:9], -v[22:23]
	s_delay_alu instid0(VALU_DEP_2) | instskip(SKIP_1) | instid1(VALU_DEP_3)
	v_add_f64 v[32:33], v[26:27], -v[30:31]
	v_add_f64 v[22:23], v[24:25], -v[30:31]
	v_add_f64 v[24:25], v[20:21], v[8:9]
	s_delay_alu instid0(VALU_DEP_3) | instskip(NEXT) | instid1(VALU_DEP_1)
	v_add_f64 v[18:19], v[18:19], -v[32:33]
	v_add_f64 v[18:19], v[22:23], v[18:19]
	s_delay_alu instid0(VALU_DEP_3) | instskip(NEXT) | instid1(VALU_DEP_2)
	v_add_f64 v[22:23], v[24:25], -v[20:21]
	v_add_f64 v[18:19], v[24:25], v[18:19]
	s_delay_alu instid0(VALU_DEP_2) | instskip(SKIP_1) | instid1(VALU_DEP_3)
	v_add_f64 v[24:25], v[24:25], -v[22:23]
	v_add_f64 v[8:9], v[8:9], -v[22:23]
	v_add_f64 v[28:29], v[26:27], v[18:19]
	s_delay_alu instid0(VALU_DEP_3) | instskip(NEXT) | instid1(VALU_DEP_2)
	v_add_f64 v[20:21], v[20:21], -v[24:25]
	v_add_f64 v[22:23], v[28:29], -v[26:27]
	s_delay_alu instid0(VALU_DEP_2) | instskip(NEXT) | instid1(VALU_DEP_2)
	v_add_f64 v[8:9], v[8:9], v[20:21]
	v_add_f64 v[18:19], v[18:19], -v[22:23]
	s_delay_alu instid0(VALU_DEP_1) | instskip(NEXT) | instid1(VALU_DEP_1)
	v_add_f64 v[8:9], v[8:9], v[18:19]
	v_add_f64 v[8:9], v[28:29], v[8:9]
	s_delay_alu instid0(VALU_DEP_1) | instskip(SKIP_1) | instid1(VALU_DEP_2)
	v_dual_cndmask_b32 v9, v9, v5 :: v_dual_cndmask_b32 v8, v8, v4
	v_cmp_ngt_f64_e32 vcc_lo, -1.0, v[4:5]
	v_cndmask_b32_e32 v9, 0x7ff80000, v9, vcc_lo
	v_cmp_nge_f64_e32 vcc_lo, -1.0, v[4:5]
	s_delay_alu instid0(VALU_DEP_4) | instskip(SKIP_1) | instid1(VALU_DEP_4)
	v_cndmask_b32_e32 v8, 0, v8, vcc_lo
	v_cmp_neq_f64_e32 vcc_lo, -1.0, v[4:5]
	v_cndmask_b32_e32 v9, 0xfff00000, v9, vcc_lo
	s_delay_alu instid0(VALU_DEP_1)
	v_add_f64 v[4:5], v[6:7], v[8:9]
.LBB56_32:
	s_or_b32 exec_lo, exec_lo, s13
	v_max_f64 v[18:19], v[96:97], v[96:97]
	s_delay_alu instid0(VALU_DEP_2) | instskip(SKIP_2) | instid1(VALU_DEP_3)
	v_max_f64 v[6:7], v[4:5], v[4:5]
	v_cmp_u_f64_e32 vcc_lo, v[4:5], v[4:5]
	v_cmp_u_f64_e64 s6, v[96:97], v[96:97]
	v_min_f64 v[8:9], v[6:7], v[18:19]
	v_max_f64 v[6:7], v[6:7], v[18:19]
	s_delay_alu instid0(VALU_DEP_2) | instskip(NEXT) | instid1(VALU_DEP_2)
	v_dual_cndmask_b32 v8, v8, v4 :: v_dual_cndmask_b32 v9, v9, v5
	v_dual_cndmask_b32 v7, v7, v5 :: v_dual_cndmask_b32 v6, v6, v4
	s_delay_alu instid0(VALU_DEP_2) | instskip(NEXT) | instid1(VALU_DEP_3)
	v_cndmask_b32_e64 v8, v8, v96, s6
	v_cndmask_b32_e64 v9, v9, v97, s6
	s_delay_alu instid0(VALU_DEP_3) | instskip(NEXT) | instid1(VALU_DEP_4)
	v_cndmask_b32_e64 v7, v7, v97, s6
	v_cndmask_b32_e64 v6, v6, v96, s6
	s_delay_alu instid0(VALU_DEP_3) | instskip(NEXT) | instid1(VALU_DEP_2)
	v_cmp_class_f64_e64 s7, v[8:9], 0x1f8
	v_cmp_neq_f64_e32 vcc_lo, v[8:9], v[6:7]
	s_delay_alu instid0(VALU_DEP_2) | instskip(NEXT) | instid1(SALU_CYCLE_1)
	s_or_b32 s7, vcc_lo, s7
	s_and_saveexec_b32 s13, s7
	s_cbranch_execz .LBB56_34
; %bb.33:
	v_add_f64 v[4:5], v[8:9], -v[6:7]
	s_mov_b32 s8, 0x652b82fe
	s_mov_b32 s9, 0x3ff71547
	s_mov_b32 s11, 0xbc7abc9e
	s_mov_b32 s10, 0x3b39803f
	s_mov_b32 s14, 0xfca7ab0c
	s_mov_b32 s18, 0x6a5dcb37
	s_mov_b32 s15, 0x3e928af3
	s_mov_b32 s19, 0x3e5ade15
	s_mov_b32 s20, 0xbf559e2b
	s_mov_b32 s21, 0x3fc3ab76
	s_delay_alu instid0(VALU_DEP_1) | instskip(SKIP_4) | instid1(VALU_DEP_3)
	v_mul_f64 v[8:9], v[4:5], s[8:9]
	s_mov_b32 s9, 0xbfe62e42
	s_mov_b32 s8, 0xfefa39ef
	v_cmp_nlt_f64_e32 vcc_lo, 0x40900000, v[4:5]
	v_cmp_ngt_f64_e64 s7, 0xc090cc00, v[4:5]
	v_rndne_f64_e32 v[8:9], v[8:9]
	s_delay_alu instid0(VALU_DEP_1) | instskip(SKIP_2) | instid1(VALU_DEP_2)
	v_fma_f64 v[20:21], v[8:9], s[8:9], v[4:5]
	v_cvt_i32_f64_e32 v24, v[8:9]
	s_mov_b32 s9, 0x3fe62e42
	v_fma_f64 v[20:21], v[8:9], s[10:11], v[20:21]
	s_mov_b32 s11, 0x3c7abc9e
	s_delay_alu instid0(VALU_DEP_1) | instskip(SKIP_4) | instid1(VALU_DEP_1)
	v_fma_f64 v[22:23], v[20:21], s[18:19], s[14:15]
	s_mov_b32 s14, 0x623fde64
	s_mov_b32 s15, 0x3ec71dee
	;; [unrolled: 1-line block ×4, first 2 shown]
	v_fma_f64 v[22:23], v[20:21], v[22:23], s[14:15]
	s_mov_b32 s14, 0x7c89e6b0
	s_mov_b32 s15, 0x3efa0199
	s_delay_alu instid0(VALU_DEP_1) | instid1(SALU_CYCLE_1)
	v_fma_f64 v[22:23], v[20:21], v[22:23], s[14:15]
	s_mov_b32 s14, 0x14761f6e
	s_mov_b32 s15, 0x3f2a01a0
	s_delay_alu instid0(VALU_DEP_1) | instid1(SALU_CYCLE_1)
	;; [unrolled: 4-line block ×7, first 2 shown]
	v_fma_f64 v[22:23], v[20:21], v[22:23], s[14:15]
	s_mov_b32 s15, 0x3fe55555
	s_mov_b32 s14, 0x55555555
	s_delay_alu instid0(VALU_DEP_1) | instskip(NEXT) | instid1(VALU_DEP_1)
	v_fma_f64 v[22:23], v[20:21], v[22:23], 1.0
	v_fma_f64 v[8:9], v[20:21], v[22:23], 1.0
	s_delay_alu instid0(VALU_DEP_1) | instskip(NEXT) | instid1(VALU_DEP_1)
	v_ldexp_f64 v[8:9], v[8:9], v24
	v_cndmask_b32_e32 v9, 0x7ff00000, v9, vcc_lo
	s_and_b32 vcc_lo, s7, vcc_lo
	s_delay_alu instid0(VALU_DEP_1) | instskip(NEXT) | instid1(VALU_DEP_3)
	v_cndmask_b32_e64 v5, 0, v9, s7
	v_cndmask_b32_e32 v4, 0, v8, vcc_lo
	s_delay_alu instid0(VALU_DEP_1) | instskip(NEXT) | instid1(VALU_DEP_1)
	v_add_f64 v[8:9], v[4:5], 1.0
	v_frexp_mant_f64_e32 v[20:21], v[8:9]
	v_frexp_exp_i32_f64_e32 v24, v[8:9]
	v_add_f64 v[22:23], v[8:9], -1.0
	s_delay_alu instid0(VALU_DEP_3) | instskip(SKIP_1) | instid1(VALU_DEP_2)
	v_cmp_gt_f64_e32 vcc_lo, s[14:15], v[20:21]
	s_mov_b32 s14, 0x55555780
	v_add_f64 v[20:21], v[22:23], -v[8:9]
	v_add_f64 v[22:23], v[4:5], -v[22:23]
	v_subrev_co_ci_u32_e32 v144, vcc_lo, 0, v24, vcc_lo
	s_delay_alu instid0(VALU_DEP_3) | instskip(SKIP_1) | instid1(VALU_DEP_3)
	v_add_f64 v[20:21], v[20:21], 1.0
	v_cmp_eq_f64_e32 vcc_lo, 0x7ff00000, v[4:5]
	v_sub_nc_u32_e32 v26, 0, v144
	s_delay_alu instid0(VALU_DEP_1) | instskip(NEXT) | instid1(VALU_DEP_4)
	v_ldexp_f64 v[8:9], v[8:9], v26
	v_add_f64 v[20:21], v[22:23], v[20:21]
	s_delay_alu instid0(VALU_DEP_2) | instskip(SKIP_1) | instid1(VALU_DEP_3)
	v_add_f64 v[24:25], v[8:9], 1.0
	v_add_f64 v[30:31], v[8:9], -1.0
	v_ldexp_f64 v[20:21], v[20:21], v26
	s_delay_alu instid0(VALU_DEP_3) | instskip(NEXT) | instid1(VALU_DEP_3)
	v_add_f64 v[22:23], v[24:25], -1.0
	v_add_f64 v[32:33], v[30:31], 1.0
	s_delay_alu instid0(VALU_DEP_2) | instskip(NEXT) | instid1(VALU_DEP_2)
	v_add_f64 v[22:23], v[8:9], -v[22:23]
	v_add_f64 v[8:9], v[8:9], -v[32:33]
	s_delay_alu instid0(VALU_DEP_2) | instskip(NEXT) | instid1(VALU_DEP_2)
	v_add_f64 v[22:23], v[20:21], v[22:23]
	v_add_f64 v[8:9], v[20:21], v[8:9]
	s_delay_alu instid0(VALU_DEP_2) | instskip(NEXT) | instid1(VALU_DEP_2)
	v_add_f64 v[26:27], v[24:25], v[22:23]
	v_add_f64 v[32:33], v[30:31], v[8:9]
	s_delay_alu instid0(VALU_DEP_2) | instskip(SKIP_1) | instid1(VALU_DEP_2)
	v_rcp_f64_e32 v[28:29], v[26:27]
	v_add_f64 v[24:25], v[26:27], -v[24:25]
	v_add_f64 v[30:31], v[32:33], -v[30:31]
	s_delay_alu instid0(VALU_DEP_2) | instskip(SKIP_3) | instid1(VALU_DEP_2)
	v_add_f64 v[22:23], v[22:23], -v[24:25]
	s_waitcnt_depctr 0xfff
	v_fma_f64 v[34:35], -v[26:27], v[28:29], 1.0
	v_add_f64 v[8:9], v[8:9], -v[30:31]
	v_fma_f64 v[28:29], v[34:35], v[28:29], v[28:29]
	s_delay_alu instid0(VALU_DEP_1) | instskip(NEXT) | instid1(VALU_DEP_1)
	v_fma_f64 v[20:21], -v[26:27], v[28:29], 1.0
	v_fma_f64 v[20:21], v[20:21], v[28:29], v[28:29]
	s_delay_alu instid0(VALU_DEP_1) | instskip(NEXT) | instid1(VALU_DEP_1)
	v_mul_f64 v[28:29], v[32:33], v[20:21]
	v_mul_f64 v[34:35], v[26:27], v[28:29]
	s_delay_alu instid0(VALU_DEP_1) | instskip(NEXT) | instid1(VALU_DEP_1)
	v_fma_f64 v[24:25], v[28:29], v[26:27], -v[34:35]
	v_fma_f64 v[24:25], v[28:29], v[22:23], v[24:25]
	s_delay_alu instid0(VALU_DEP_1) | instskip(NEXT) | instid1(VALU_DEP_1)
	v_add_f64 v[129:130], v[34:35], v[24:25]
	v_add_f64 v[133:134], v[32:33], -v[129:130]
	v_add_f64 v[30:31], v[129:130], -v[34:35]
	s_delay_alu instid0(VALU_DEP_2) | instskip(NEXT) | instid1(VALU_DEP_2)
	v_add_f64 v[32:33], v[32:33], -v[133:134]
	v_add_f64 v[24:25], v[30:31], -v[24:25]
	s_delay_alu instid0(VALU_DEP_2) | instskip(NEXT) | instid1(VALU_DEP_1)
	v_add_f64 v[32:33], v[32:33], -v[129:130]
	v_add_f64 v[8:9], v[8:9], v[32:33]
	s_delay_alu instid0(VALU_DEP_1) | instskip(NEXT) | instid1(VALU_DEP_1)
	v_add_f64 v[8:9], v[24:25], v[8:9]
	v_add_f64 v[24:25], v[133:134], v[8:9]
	s_delay_alu instid0(VALU_DEP_1) | instskip(SKIP_1) | instid1(VALU_DEP_2)
	v_mul_f64 v[30:31], v[20:21], v[24:25]
	v_add_f64 v[129:130], v[133:134], -v[24:25]
	v_mul_f64 v[32:33], v[26:27], v[30:31]
	s_delay_alu instid0(VALU_DEP_2) | instskip(NEXT) | instid1(VALU_DEP_2)
	v_add_f64 v[8:9], v[8:9], v[129:130]
	v_fma_f64 v[26:27], v[30:31], v[26:27], -v[32:33]
	s_delay_alu instid0(VALU_DEP_1) | instskip(NEXT) | instid1(VALU_DEP_1)
	v_fma_f64 v[22:23], v[30:31], v[22:23], v[26:27]
	v_add_f64 v[26:27], v[32:33], v[22:23]
	s_delay_alu instid0(VALU_DEP_1) | instskip(SKIP_1) | instid1(VALU_DEP_2)
	v_add_f64 v[34:35], v[24:25], -v[26:27]
	v_add_f64 v[32:33], v[26:27], -v[32:33]
	;; [unrolled: 1-line block ×3, first 2 shown]
	s_delay_alu instid0(VALU_DEP_2) | instskip(NEXT) | instid1(VALU_DEP_2)
	v_add_f64 v[22:23], v[32:33], -v[22:23]
	v_add_f64 v[24:25], v[24:25], -v[26:27]
	s_delay_alu instid0(VALU_DEP_1) | instskip(SKIP_1) | instid1(VALU_DEP_2)
	v_add_f64 v[8:9], v[8:9], v[24:25]
	v_add_f64 v[24:25], v[28:29], v[30:31]
	;; [unrolled: 1-line block ×3, first 2 shown]
	s_delay_alu instid0(VALU_DEP_2) | instskip(NEXT) | instid1(VALU_DEP_2)
	v_add_f64 v[22:23], v[24:25], -v[28:29]
	v_add_f64 v[8:9], v[34:35], v[8:9]
	s_delay_alu instid0(VALU_DEP_2) | instskip(NEXT) | instid1(VALU_DEP_2)
	v_add_f64 v[22:23], v[30:31], -v[22:23]
	v_mul_f64 v[8:9], v[20:21], v[8:9]
	s_delay_alu instid0(VALU_DEP_1) | instskip(NEXT) | instid1(VALU_DEP_1)
	v_add_f64 v[8:9], v[22:23], v[8:9]
	v_add_f64 v[20:21], v[24:25], v[8:9]
	s_delay_alu instid0(VALU_DEP_1) | instskip(NEXT) | instid1(VALU_DEP_1)
	v_mul_f64 v[22:23], v[20:21], v[20:21]
	v_fma_f64 v[26:27], v[22:23], s[20:21], s[18:19]
	s_mov_b32 s18, 0xd7f4df2e
	s_mov_b32 s19, 0x3fc7474d
	v_mul_f64 v[28:29], v[20:21], v[22:23]
	s_delay_alu instid0(VALU_DEP_2)
	v_fma_f64 v[26:27], v[22:23], v[26:27], s[18:19]
	s_mov_b32 s18, 0x16291751
	s_mov_b32 s19, 0x3fcc71c0
	s_delay_alu instid0(VALU_DEP_1) | instid1(SALU_CYCLE_1)
	v_fma_f64 v[26:27], v[22:23], v[26:27], s[18:19]
	s_mov_b32 s18, 0x9b27acf1
	s_mov_b32 s19, 0x3fd24924
	s_delay_alu instid0(VALU_DEP_1) | instid1(SALU_CYCLE_1)
	;; [unrolled: 4-line block ×3, first 2 shown]
	v_fma_f64 v[26:27], v[22:23], v[26:27], s[18:19]
	s_delay_alu instid0(VALU_DEP_1) | instskip(SKIP_2) | instid1(VALU_DEP_3)
	v_fma_f64 v[22:23], v[22:23], v[26:27], s[14:15]
	v_ldexp_f64 v[26:27], v[20:21], 1
	v_add_f64 v[20:21], v[20:21], -v[24:25]
	v_mul_f64 v[22:23], v[28:29], v[22:23]
	v_cvt_f64_i32_e32 v[28:29], v144
	s_delay_alu instid0(VALU_DEP_3) | instskip(NEXT) | instid1(VALU_DEP_3)
	v_add_f64 v[8:9], v[8:9], -v[20:21]
	v_add_f64 v[24:25], v[26:27], v[22:23]
	s_delay_alu instid0(VALU_DEP_3) | instskip(NEXT) | instid1(VALU_DEP_3)
	v_mul_f64 v[30:31], v[28:29], s[8:9]
	v_ldexp_f64 v[8:9], v[8:9], 1
	s_delay_alu instid0(VALU_DEP_3) | instskip(NEXT) | instid1(VALU_DEP_3)
	v_add_f64 v[20:21], v[24:25], -v[26:27]
	v_fma_f64 v[26:27], v[28:29], s[8:9], -v[30:31]
	s_delay_alu instid0(VALU_DEP_2) | instskip(NEXT) | instid1(VALU_DEP_2)
	v_add_f64 v[20:21], v[22:23], -v[20:21]
	v_fma_f64 v[22:23], v[28:29], s[10:11], v[26:27]
	s_delay_alu instid0(VALU_DEP_2) | instskip(NEXT) | instid1(VALU_DEP_2)
	v_add_f64 v[8:9], v[8:9], v[20:21]
	v_add_f64 v[20:21], v[30:31], v[22:23]
	s_delay_alu instid0(VALU_DEP_2) | instskip(NEXT) | instid1(VALU_DEP_2)
	v_add_f64 v[26:27], v[24:25], v[8:9]
	v_add_f64 v[30:31], v[20:21], -v[30:31]
	s_delay_alu instid0(VALU_DEP_2) | instskip(SKIP_1) | instid1(VALU_DEP_3)
	v_add_f64 v[28:29], v[20:21], v[26:27]
	v_add_f64 v[24:25], v[26:27], -v[24:25]
	v_add_f64 v[22:23], v[22:23], -v[30:31]
	s_delay_alu instid0(VALU_DEP_3) | instskip(NEXT) | instid1(VALU_DEP_3)
	v_add_f64 v[32:33], v[28:29], -v[20:21]
	v_add_f64 v[8:9], v[8:9], -v[24:25]
	s_delay_alu instid0(VALU_DEP_2) | instskip(SKIP_1) | instid1(VALU_DEP_3)
	v_add_f64 v[34:35], v[28:29], -v[32:33]
	v_add_f64 v[24:25], v[26:27], -v[32:33]
	v_add_f64 v[26:27], v[22:23], v[8:9]
	s_delay_alu instid0(VALU_DEP_3) | instskip(NEXT) | instid1(VALU_DEP_1)
	v_add_f64 v[20:21], v[20:21], -v[34:35]
	v_add_f64 v[20:21], v[24:25], v[20:21]
	s_delay_alu instid0(VALU_DEP_3) | instskip(NEXT) | instid1(VALU_DEP_2)
	v_add_f64 v[24:25], v[26:27], -v[22:23]
	v_add_f64 v[20:21], v[26:27], v[20:21]
	s_delay_alu instid0(VALU_DEP_2) | instskip(SKIP_1) | instid1(VALU_DEP_3)
	v_add_f64 v[26:27], v[26:27], -v[24:25]
	v_add_f64 v[8:9], v[8:9], -v[24:25]
	v_add_f64 v[30:31], v[28:29], v[20:21]
	s_delay_alu instid0(VALU_DEP_3) | instskip(NEXT) | instid1(VALU_DEP_2)
	v_add_f64 v[22:23], v[22:23], -v[26:27]
	v_add_f64 v[24:25], v[30:31], -v[28:29]
	s_delay_alu instid0(VALU_DEP_2) | instskip(NEXT) | instid1(VALU_DEP_2)
	v_add_f64 v[8:9], v[8:9], v[22:23]
	v_add_f64 v[20:21], v[20:21], -v[24:25]
	s_delay_alu instid0(VALU_DEP_1) | instskip(NEXT) | instid1(VALU_DEP_1)
	v_add_f64 v[8:9], v[8:9], v[20:21]
	v_add_f64 v[8:9], v[30:31], v[8:9]
	s_delay_alu instid0(VALU_DEP_1) | instskip(SKIP_1) | instid1(VALU_DEP_2)
	v_dual_cndmask_b32 v9, v9, v5 :: v_dual_cndmask_b32 v8, v8, v4
	v_cmp_ngt_f64_e32 vcc_lo, -1.0, v[4:5]
	v_cndmask_b32_e32 v9, 0x7ff80000, v9, vcc_lo
	v_cmp_nge_f64_e32 vcc_lo, -1.0, v[4:5]
	s_delay_alu instid0(VALU_DEP_4) | instskip(SKIP_1) | instid1(VALU_DEP_4)
	v_cndmask_b32_e32 v8, 0, v8, vcc_lo
	v_cmp_neq_f64_e32 vcc_lo, -1.0, v[4:5]
	v_cndmask_b32_e32 v9, 0xfff00000, v9, vcc_lo
	s_delay_alu instid0(VALU_DEP_1)
	v_add_f64 v[4:5], v[6:7], v[8:9]
.LBB56_34:
	s_or_b32 exec_lo, exec_lo, s13
	v_max_f64 v[20:21], v[98:99], v[98:99]
	s_delay_alu instid0(VALU_DEP_2) | instskip(SKIP_2) | instid1(VALU_DEP_3)
	v_max_f64 v[6:7], v[4:5], v[4:5]
	v_cmp_u_f64_e32 vcc_lo, v[4:5], v[4:5]
	v_cmp_u_f64_e64 s7, v[98:99], v[98:99]
	v_min_f64 v[8:9], v[6:7], v[20:21]
	v_max_f64 v[6:7], v[6:7], v[20:21]
	s_delay_alu instid0(VALU_DEP_2) | instskip(NEXT) | instid1(VALU_DEP_2)
	v_dual_cndmask_b32 v8, v8, v4 :: v_dual_cndmask_b32 v9, v9, v5
	v_dual_cndmask_b32 v7, v7, v5 :: v_dual_cndmask_b32 v6, v6, v4
	s_delay_alu instid0(VALU_DEP_2) | instskip(NEXT) | instid1(VALU_DEP_3)
	v_cndmask_b32_e64 v8, v8, v98, s7
	v_cndmask_b32_e64 v9, v9, v99, s7
	s_delay_alu instid0(VALU_DEP_3) | instskip(NEXT) | instid1(VALU_DEP_4)
	v_cndmask_b32_e64 v7, v7, v99, s7
	v_cndmask_b32_e64 v6, v6, v98, s7
	s_delay_alu instid0(VALU_DEP_3) | instskip(NEXT) | instid1(VALU_DEP_2)
	v_cmp_class_f64_e64 s8, v[8:9], 0x1f8
	v_cmp_neq_f64_e32 vcc_lo, v[8:9], v[6:7]
	s_delay_alu instid0(VALU_DEP_2) | instskip(NEXT) | instid1(SALU_CYCLE_1)
	s_or_b32 s8, vcc_lo, s8
	s_and_saveexec_b32 s13, s8
	s_cbranch_execz .LBB56_36
; %bb.35:
	v_add_f64 v[4:5], v[8:9], -v[6:7]
	s_mov_b32 s8, 0x652b82fe
	s_mov_b32 s9, 0x3ff71547
	;; [unrolled: 1-line block ×10, first 2 shown]
	s_delay_alu instid0(VALU_DEP_1) | instskip(SKIP_3) | instid1(VALU_DEP_2)
	v_mul_f64 v[8:9], v[4:5], s[8:9]
	s_mov_b32 s8, 0xfca7ab0c
	s_mov_b32 s9, 0x3e928af3
	v_cmp_nlt_f64_e32 vcc_lo, 0x40900000, v[4:5]
	v_rndne_f64_e32 v[8:9], v[8:9]
	s_delay_alu instid0(VALU_DEP_1) | instskip(SKIP_2) | instid1(VALU_DEP_2)
	v_fma_f64 v[22:23], v[8:9], s[10:11], v[4:5]
	v_cvt_i32_f64_e32 v26, v[8:9]
	s_mov_b32 s11, 0x3fe62e42
	v_fma_f64 v[22:23], v[8:9], s[14:15], v[22:23]
	s_mov_b32 s15, 0x3c7abc9e
	s_delay_alu instid0(VALU_DEP_1) | instskip(SKIP_4) | instid1(VALU_DEP_1)
	v_fma_f64 v[24:25], v[22:23], s[18:19], s[8:9]
	s_mov_b32 s8, 0x623fde64
	s_mov_b32 s9, 0x3ec71dee
	;; [unrolled: 1-line block ×4, first 2 shown]
	v_fma_f64 v[24:25], v[22:23], v[24:25], s[8:9]
	s_mov_b32 s8, 0x7c89e6b0
	s_mov_b32 s9, 0x3efa0199
	s_delay_alu instid0(VALU_DEP_1) | instid1(SALU_CYCLE_1)
	v_fma_f64 v[24:25], v[22:23], v[24:25], s[8:9]
	s_mov_b32 s8, 0x14761f6e
	s_mov_b32 s9, 0x3f2a01a0
	s_delay_alu instid0(VALU_DEP_1) | instid1(SALU_CYCLE_1)
	;; [unrolled: 4-line block ×7, first 2 shown]
	v_fma_f64 v[24:25], v[22:23], v[24:25], s[8:9]
	v_cmp_ngt_f64_e64 s8, 0xc090cc00, v[4:5]
	s_mov_b32 s9, 0x3fe55555
	s_delay_alu instid0(VALU_DEP_2) | instskip(NEXT) | instid1(VALU_DEP_1)
	v_fma_f64 v[24:25], v[22:23], v[24:25], 1.0
	v_fma_f64 v[8:9], v[22:23], v[24:25], 1.0
	s_delay_alu instid0(VALU_DEP_1) | instskip(NEXT) | instid1(VALU_DEP_1)
	v_ldexp_f64 v[8:9], v[8:9], v26
	v_cndmask_b32_e32 v9, 0x7ff00000, v9, vcc_lo
	s_and_b32 vcc_lo, s8, vcc_lo
	s_delay_alu instid0(VALU_DEP_1) | instskip(NEXT) | instid1(VALU_DEP_3)
	v_cndmask_b32_e64 v5, 0, v9, s8
	v_cndmask_b32_e32 v4, 0, v8, vcc_lo
	s_mov_b32 s8, 0x55555555
	s_delay_alu instid0(VALU_DEP_1) | instskip(NEXT) | instid1(VALU_DEP_1)
	v_add_f64 v[8:9], v[4:5], 1.0
	v_frexp_mant_f64_e32 v[22:23], v[8:9]
	v_frexp_exp_i32_f64_e32 v26, v[8:9]
	v_add_f64 v[24:25], v[8:9], -1.0
	s_delay_alu instid0(VALU_DEP_3) | instskip(SKIP_1) | instid1(VALU_DEP_2)
	v_cmp_gt_f64_e32 vcc_lo, s[8:9], v[22:23]
	s_mov_b32 s8, 0x55555780
	v_add_f64 v[22:23], v[24:25], -v[8:9]
	v_add_f64 v[24:25], v[4:5], -v[24:25]
	v_subrev_co_ci_u32_e32 v146, vcc_lo, 0, v26, vcc_lo
	s_delay_alu instid0(VALU_DEP_3) | instskip(SKIP_1) | instid1(VALU_DEP_3)
	v_add_f64 v[22:23], v[22:23], 1.0
	v_cmp_eq_f64_e32 vcc_lo, 0x7ff00000, v[4:5]
	v_sub_nc_u32_e32 v28, 0, v146
	s_delay_alu instid0(VALU_DEP_1) | instskip(NEXT) | instid1(VALU_DEP_4)
	v_ldexp_f64 v[8:9], v[8:9], v28
	v_add_f64 v[22:23], v[24:25], v[22:23]
	s_delay_alu instid0(VALU_DEP_2) | instskip(SKIP_1) | instid1(VALU_DEP_3)
	v_add_f64 v[26:27], v[8:9], 1.0
	v_add_f64 v[32:33], v[8:9], -1.0
	v_ldexp_f64 v[22:23], v[22:23], v28
	s_delay_alu instid0(VALU_DEP_3) | instskip(NEXT) | instid1(VALU_DEP_3)
	v_add_f64 v[24:25], v[26:27], -1.0
	v_add_f64 v[34:35], v[32:33], 1.0
	s_delay_alu instid0(VALU_DEP_2) | instskip(NEXT) | instid1(VALU_DEP_2)
	v_add_f64 v[24:25], v[8:9], -v[24:25]
	v_add_f64 v[8:9], v[8:9], -v[34:35]
	s_delay_alu instid0(VALU_DEP_2) | instskip(NEXT) | instid1(VALU_DEP_2)
	v_add_f64 v[24:25], v[22:23], v[24:25]
	v_add_f64 v[8:9], v[22:23], v[8:9]
	s_delay_alu instid0(VALU_DEP_2) | instskip(NEXT) | instid1(VALU_DEP_2)
	v_add_f64 v[28:29], v[26:27], v[24:25]
	v_add_f64 v[34:35], v[32:33], v[8:9]
	s_delay_alu instid0(VALU_DEP_2) | instskip(SKIP_1) | instid1(VALU_DEP_2)
	v_rcp_f64_e32 v[30:31], v[28:29]
	v_add_f64 v[26:27], v[28:29], -v[26:27]
	v_add_f64 v[32:33], v[34:35], -v[32:33]
	s_delay_alu instid0(VALU_DEP_2) | instskip(SKIP_3) | instid1(VALU_DEP_2)
	v_add_f64 v[24:25], v[24:25], -v[26:27]
	s_waitcnt_depctr 0xfff
	v_fma_f64 v[129:130], -v[28:29], v[30:31], 1.0
	v_add_f64 v[8:9], v[8:9], -v[32:33]
	v_fma_f64 v[30:31], v[129:130], v[30:31], v[30:31]
	s_delay_alu instid0(VALU_DEP_1) | instskip(NEXT) | instid1(VALU_DEP_1)
	v_fma_f64 v[22:23], -v[28:29], v[30:31], 1.0
	v_fma_f64 v[22:23], v[22:23], v[30:31], v[30:31]
	s_delay_alu instid0(VALU_DEP_1) | instskip(NEXT) | instid1(VALU_DEP_1)
	v_mul_f64 v[30:31], v[34:35], v[22:23]
	v_mul_f64 v[129:130], v[28:29], v[30:31]
	s_delay_alu instid0(VALU_DEP_1) | instskip(NEXT) | instid1(VALU_DEP_1)
	v_fma_f64 v[26:27], v[30:31], v[28:29], -v[129:130]
	v_fma_f64 v[26:27], v[30:31], v[24:25], v[26:27]
	s_delay_alu instid0(VALU_DEP_1) | instskip(NEXT) | instid1(VALU_DEP_1)
	v_add_f64 v[133:134], v[129:130], v[26:27]
	v_add_f64 v[144:145], v[34:35], -v[133:134]
	v_add_f64 v[32:33], v[133:134], -v[129:130]
	s_delay_alu instid0(VALU_DEP_2) | instskip(NEXT) | instid1(VALU_DEP_2)
	v_add_f64 v[34:35], v[34:35], -v[144:145]
	v_add_f64 v[26:27], v[32:33], -v[26:27]
	s_delay_alu instid0(VALU_DEP_2) | instskip(NEXT) | instid1(VALU_DEP_1)
	v_add_f64 v[34:35], v[34:35], -v[133:134]
	v_add_f64 v[8:9], v[8:9], v[34:35]
	s_delay_alu instid0(VALU_DEP_1) | instskip(NEXT) | instid1(VALU_DEP_1)
	v_add_f64 v[8:9], v[26:27], v[8:9]
	v_add_f64 v[26:27], v[144:145], v[8:9]
	s_delay_alu instid0(VALU_DEP_1) | instskip(SKIP_1) | instid1(VALU_DEP_2)
	v_mul_f64 v[32:33], v[22:23], v[26:27]
	v_add_f64 v[133:134], v[144:145], -v[26:27]
	v_mul_f64 v[34:35], v[28:29], v[32:33]
	s_delay_alu instid0(VALU_DEP_2) | instskip(NEXT) | instid1(VALU_DEP_2)
	v_add_f64 v[8:9], v[8:9], v[133:134]
	v_fma_f64 v[28:29], v[32:33], v[28:29], -v[34:35]
	s_delay_alu instid0(VALU_DEP_1) | instskip(NEXT) | instid1(VALU_DEP_1)
	v_fma_f64 v[24:25], v[32:33], v[24:25], v[28:29]
	v_add_f64 v[28:29], v[34:35], v[24:25]
	s_delay_alu instid0(VALU_DEP_1) | instskip(SKIP_1) | instid1(VALU_DEP_2)
	v_add_f64 v[129:130], v[26:27], -v[28:29]
	v_add_f64 v[34:35], v[28:29], -v[34:35]
	v_add_f64 v[26:27], v[26:27], -v[129:130]
	s_delay_alu instid0(VALU_DEP_2) | instskip(NEXT) | instid1(VALU_DEP_2)
	v_add_f64 v[24:25], v[34:35], -v[24:25]
	v_add_f64 v[26:27], v[26:27], -v[28:29]
	s_delay_alu instid0(VALU_DEP_1) | instskip(SKIP_1) | instid1(VALU_DEP_2)
	v_add_f64 v[8:9], v[8:9], v[26:27]
	v_add_f64 v[26:27], v[30:31], v[32:33]
	;; [unrolled: 1-line block ×3, first 2 shown]
	s_delay_alu instid0(VALU_DEP_2) | instskip(NEXT) | instid1(VALU_DEP_2)
	v_add_f64 v[24:25], v[26:27], -v[30:31]
	v_add_f64 v[8:9], v[129:130], v[8:9]
	s_delay_alu instid0(VALU_DEP_2) | instskip(NEXT) | instid1(VALU_DEP_2)
	v_add_f64 v[24:25], v[32:33], -v[24:25]
	v_mul_f64 v[8:9], v[22:23], v[8:9]
	s_delay_alu instid0(VALU_DEP_1) | instskip(NEXT) | instid1(VALU_DEP_1)
	v_add_f64 v[8:9], v[24:25], v[8:9]
	v_add_f64 v[22:23], v[26:27], v[8:9]
	s_delay_alu instid0(VALU_DEP_1) | instskip(NEXT) | instid1(VALU_DEP_1)
	v_mul_f64 v[24:25], v[22:23], v[22:23]
	v_fma_f64 v[28:29], v[24:25], s[20:21], s[18:19]
	s_mov_b32 s18, 0xd7f4df2e
	s_mov_b32 s19, 0x3fc7474d
	v_mul_f64 v[30:31], v[22:23], v[24:25]
	s_delay_alu instid0(VALU_DEP_2)
	v_fma_f64 v[28:29], v[24:25], v[28:29], s[18:19]
	s_mov_b32 s18, 0x16291751
	s_mov_b32 s19, 0x3fcc71c0
	s_delay_alu instid0(VALU_DEP_1) | instid1(SALU_CYCLE_1)
	v_fma_f64 v[28:29], v[24:25], v[28:29], s[18:19]
	s_mov_b32 s18, 0x9b27acf1
	s_mov_b32 s19, 0x3fd24924
	s_delay_alu instid0(VALU_DEP_1) | instid1(SALU_CYCLE_1)
	;; [unrolled: 4-line block ×3, first 2 shown]
	v_fma_f64 v[28:29], v[24:25], v[28:29], s[18:19]
	s_delay_alu instid0(VALU_DEP_1) | instskip(SKIP_2) | instid1(VALU_DEP_3)
	v_fma_f64 v[24:25], v[24:25], v[28:29], s[8:9]
	v_ldexp_f64 v[28:29], v[22:23], 1
	v_add_f64 v[22:23], v[22:23], -v[26:27]
	v_mul_f64 v[24:25], v[30:31], v[24:25]
	v_cvt_f64_i32_e32 v[30:31], v146
	s_delay_alu instid0(VALU_DEP_3) | instskip(NEXT) | instid1(VALU_DEP_3)
	v_add_f64 v[8:9], v[8:9], -v[22:23]
	v_add_f64 v[26:27], v[28:29], v[24:25]
	s_delay_alu instid0(VALU_DEP_3) | instskip(NEXT) | instid1(VALU_DEP_3)
	v_mul_f64 v[32:33], v[30:31], s[10:11]
	v_ldexp_f64 v[8:9], v[8:9], 1
	s_delay_alu instid0(VALU_DEP_3) | instskip(NEXT) | instid1(VALU_DEP_3)
	v_add_f64 v[22:23], v[26:27], -v[28:29]
	v_fma_f64 v[28:29], v[30:31], s[10:11], -v[32:33]
	s_delay_alu instid0(VALU_DEP_2) | instskip(NEXT) | instid1(VALU_DEP_2)
	v_add_f64 v[22:23], v[24:25], -v[22:23]
	v_fma_f64 v[24:25], v[30:31], s[14:15], v[28:29]
	s_delay_alu instid0(VALU_DEP_2) | instskip(NEXT) | instid1(VALU_DEP_2)
	v_add_f64 v[8:9], v[8:9], v[22:23]
	v_add_f64 v[22:23], v[32:33], v[24:25]
	s_delay_alu instid0(VALU_DEP_2) | instskip(NEXT) | instid1(VALU_DEP_2)
	v_add_f64 v[28:29], v[26:27], v[8:9]
	v_add_f64 v[32:33], v[22:23], -v[32:33]
	s_delay_alu instid0(VALU_DEP_2) | instskip(SKIP_1) | instid1(VALU_DEP_3)
	v_add_f64 v[30:31], v[22:23], v[28:29]
	v_add_f64 v[26:27], v[28:29], -v[26:27]
	v_add_f64 v[24:25], v[24:25], -v[32:33]
	s_delay_alu instid0(VALU_DEP_3) | instskip(NEXT) | instid1(VALU_DEP_3)
	v_add_f64 v[34:35], v[30:31], -v[22:23]
	v_add_f64 v[8:9], v[8:9], -v[26:27]
	s_delay_alu instid0(VALU_DEP_2) | instskip(SKIP_1) | instid1(VALU_DEP_3)
	v_add_f64 v[129:130], v[30:31], -v[34:35]
	v_add_f64 v[26:27], v[28:29], -v[34:35]
	v_add_f64 v[28:29], v[24:25], v[8:9]
	s_delay_alu instid0(VALU_DEP_3) | instskip(NEXT) | instid1(VALU_DEP_1)
	v_add_f64 v[22:23], v[22:23], -v[129:130]
	v_add_f64 v[22:23], v[26:27], v[22:23]
	s_delay_alu instid0(VALU_DEP_3) | instskip(NEXT) | instid1(VALU_DEP_2)
	v_add_f64 v[26:27], v[28:29], -v[24:25]
	v_add_f64 v[22:23], v[28:29], v[22:23]
	s_delay_alu instid0(VALU_DEP_2) | instskip(SKIP_1) | instid1(VALU_DEP_3)
	v_add_f64 v[28:29], v[28:29], -v[26:27]
	v_add_f64 v[8:9], v[8:9], -v[26:27]
	v_add_f64 v[32:33], v[30:31], v[22:23]
	s_delay_alu instid0(VALU_DEP_3) | instskip(NEXT) | instid1(VALU_DEP_2)
	v_add_f64 v[24:25], v[24:25], -v[28:29]
	v_add_f64 v[26:27], v[32:33], -v[30:31]
	s_delay_alu instid0(VALU_DEP_2) | instskip(NEXT) | instid1(VALU_DEP_2)
	v_add_f64 v[8:9], v[8:9], v[24:25]
	v_add_f64 v[22:23], v[22:23], -v[26:27]
	s_delay_alu instid0(VALU_DEP_1) | instskip(NEXT) | instid1(VALU_DEP_1)
	v_add_f64 v[8:9], v[8:9], v[22:23]
	v_add_f64 v[8:9], v[32:33], v[8:9]
	s_delay_alu instid0(VALU_DEP_1) | instskip(SKIP_1) | instid1(VALU_DEP_2)
	v_dual_cndmask_b32 v9, v9, v5 :: v_dual_cndmask_b32 v8, v8, v4
	v_cmp_ngt_f64_e32 vcc_lo, -1.0, v[4:5]
	v_cndmask_b32_e32 v9, 0x7ff80000, v9, vcc_lo
	v_cmp_nge_f64_e32 vcc_lo, -1.0, v[4:5]
	s_delay_alu instid0(VALU_DEP_4) | instskip(SKIP_1) | instid1(VALU_DEP_4)
	v_cndmask_b32_e32 v8, 0, v8, vcc_lo
	v_cmp_neq_f64_e32 vcc_lo, -1.0, v[4:5]
	v_cndmask_b32_e32 v9, 0xfff00000, v9, vcc_lo
	s_delay_alu instid0(VALU_DEP_1)
	v_add_f64 v[4:5], v[6:7], v[8:9]
.LBB56_36:
	s_or_b32 exec_lo, exec_lo, s13
	v_max_f64 v[22:23], v[84:85], v[84:85]
	s_delay_alu instid0(VALU_DEP_2) | instskip(SKIP_2) | instid1(VALU_DEP_3)
	v_max_f64 v[6:7], v[4:5], v[4:5]
	v_cmp_u_f64_e32 vcc_lo, v[4:5], v[4:5]
	v_cmp_u_f64_e64 s8, v[84:85], v[84:85]
	v_min_f64 v[8:9], v[6:7], v[22:23]
	v_max_f64 v[6:7], v[6:7], v[22:23]
	s_delay_alu instid0(VALU_DEP_2) | instskip(NEXT) | instid1(VALU_DEP_2)
	v_dual_cndmask_b32 v8, v8, v4 :: v_dual_cndmask_b32 v9, v9, v5
	v_dual_cndmask_b32 v7, v7, v5 :: v_dual_cndmask_b32 v6, v6, v4
	s_delay_alu instid0(VALU_DEP_2) | instskip(NEXT) | instid1(VALU_DEP_3)
	v_cndmask_b32_e64 v8, v8, v84, s8
	v_cndmask_b32_e64 v9, v9, v85, s8
	s_delay_alu instid0(VALU_DEP_3) | instskip(NEXT) | instid1(VALU_DEP_4)
	v_cndmask_b32_e64 v7, v7, v85, s8
	v_cndmask_b32_e64 v6, v6, v84, s8
	s_delay_alu instid0(VALU_DEP_3) | instskip(NEXT) | instid1(VALU_DEP_2)
	v_cmp_class_f64_e64 s9, v[8:9], 0x1f8
	v_cmp_neq_f64_e32 vcc_lo, v[8:9], v[6:7]
	s_delay_alu instid0(VALU_DEP_2) | instskip(NEXT) | instid1(SALU_CYCLE_1)
	s_or_b32 s9, vcc_lo, s9
	s_and_saveexec_b32 s13, s9
	s_cbranch_execz .LBB56_38
; %bb.37:
	v_add_f64 v[4:5], v[8:9], -v[6:7]
	s_mov_b32 s10, 0x652b82fe
	s_mov_b32 s11, 0x3ff71547
	;; [unrolled: 1-line block ×10, first 2 shown]
	s_delay_alu instid0(VALU_DEP_1) | instskip(SKIP_4) | instid1(VALU_DEP_3)
	v_mul_f64 v[8:9], v[4:5], s[10:11]
	s_mov_b32 s11, 0xbfe62e42
	s_mov_b32 s10, 0xfefa39ef
	v_cmp_nlt_f64_e32 vcc_lo, 0x40900000, v[4:5]
	v_cmp_ngt_f64_e64 s9, 0xc090cc00, v[4:5]
	v_rndne_f64_e32 v[8:9], v[8:9]
	s_delay_alu instid0(VALU_DEP_1) | instskip(SKIP_2) | instid1(VALU_DEP_2)
	v_fma_f64 v[24:25], v[8:9], s[10:11], v[4:5]
	v_cvt_i32_f64_e32 v28, v[8:9]
	s_mov_b32 s11, 0x3fe62e42
	v_fma_f64 v[24:25], v[8:9], s[14:15], v[24:25]
	s_mov_b32 s15, 0x3c7abc9e
	s_delay_alu instid0(VALU_DEP_1) | instskip(SKIP_4) | instid1(VALU_DEP_1)
	v_fma_f64 v[26:27], v[24:25], s[20:21], s[18:19]
	s_mov_b32 s18, 0x623fde64
	s_mov_b32 s19, 0x3ec71dee
	;; [unrolled: 1-line block ×4, first 2 shown]
	v_fma_f64 v[26:27], v[24:25], v[26:27], s[18:19]
	s_mov_b32 s18, 0x7c89e6b0
	s_mov_b32 s19, 0x3efa0199
	s_delay_alu instid0(VALU_DEP_1) | instid1(SALU_CYCLE_1)
	v_fma_f64 v[26:27], v[24:25], v[26:27], s[18:19]
	s_mov_b32 s18, 0x14761f6e
	s_mov_b32 s19, 0x3f2a01a0
	s_delay_alu instid0(VALU_DEP_1) | instid1(SALU_CYCLE_1)
	v_fma_f64 v[26:27], v[24:25], v[26:27], s[18:19]
	s_mov_b32 s18, 0x1852b7b0
	s_mov_b32 s19, 0x3f56c16c
	s_delay_alu instid0(VALU_DEP_1) | instid1(SALU_CYCLE_1)
	v_fma_f64 v[26:27], v[24:25], v[26:27], s[18:19]
	s_mov_b32 s18, 0x11122322
	s_mov_b32 s19, 0x3f811111
	s_delay_alu instid0(VALU_DEP_1) | instid1(SALU_CYCLE_1)
	v_fma_f64 v[26:27], v[24:25], v[26:27], s[18:19]
	s_mov_b32 s18, 0x555502a1
	s_mov_b32 s19, 0x3fa55555
	s_delay_alu instid0(VALU_DEP_1) | instid1(SALU_CYCLE_1)
	v_fma_f64 v[26:27], v[24:25], v[26:27], s[18:19]
	s_mov_b32 s18, 0x55555511
	s_mov_b32 s19, 0x3fc55555
	s_delay_alu instid0(VALU_DEP_1) | instid1(SALU_CYCLE_1)
	v_fma_f64 v[26:27], v[24:25], v[26:27], s[18:19]
	s_mov_b32 s18, 11
	s_mov_b32 s19, 0x3fe00000
	s_delay_alu instid0(VALU_DEP_1) | instid1(SALU_CYCLE_1)
	v_fma_f64 v[26:27], v[24:25], v[26:27], s[18:19]
	s_mov_b32 s19, 0x3fe55555
	s_mov_b32 s18, 0x55555555
	s_delay_alu instid0(VALU_DEP_1) | instskip(NEXT) | instid1(VALU_DEP_1)
	v_fma_f64 v[26:27], v[24:25], v[26:27], 1.0
	v_fma_f64 v[8:9], v[24:25], v[26:27], 1.0
	s_delay_alu instid0(VALU_DEP_1) | instskip(NEXT) | instid1(VALU_DEP_1)
	v_ldexp_f64 v[8:9], v[8:9], v28
	v_cndmask_b32_e32 v9, 0x7ff00000, v9, vcc_lo
	s_and_b32 vcc_lo, s9, vcc_lo
	s_delay_alu instid0(VALU_DEP_1) | instskip(NEXT) | instid1(VALU_DEP_3)
	v_cndmask_b32_e64 v5, 0, v9, s9
	v_cndmask_b32_e32 v4, 0, v8, vcc_lo
	s_delay_alu instid0(VALU_DEP_1) | instskip(NEXT) | instid1(VALU_DEP_1)
	v_add_f64 v[8:9], v[4:5], 1.0
	v_frexp_mant_f64_e32 v[24:25], v[8:9]
	v_frexp_exp_i32_f64_e32 v28, v[8:9]
	v_add_f64 v[26:27], v[8:9], -1.0
	s_delay_alu instid0(VALU_DEP_3) | instskip(SKIP_1) | instid1(VALU_DEP_2)
	v_cmp_gt_f64_e32 vcc_lo, s[18:19], v[24:25]
	s_mov_b32 s18, 0x55555780
	v_add_f64 v[24:25], v[26:27], -v[8:9]
	v_add_f64 v[26:27], v[4:5], -v[26:27]
	v_subrev_co_ci_u32_e32 v148, vcc_lo, 0, v28, vcc_lo
	s_delay_alu instid0(VALU_DEP_3) | instskip(SKIP_1) | instid1(VALU_DEP_3)
	v_add_f64 v[24:25], v[24:25], 1.0
	v_cmp_eq_f64_e32 vcc_lo, 0x7ff00000, v[4:5]
	v_sub_nc_u32_e32 v30, 0, v148
	s_delay_alu instid0(VALU_DEP_1) | instskip(NEXT) | instid1(VALU_DEP_4)
	v_ldexp_f64 v[8:9], v[8:9], v30
	v_add_f64 v[24:25], v[26:27], v[24:25]
	s_delay_alu instid0(VALU_DEP_2) | instskip(SKIP_1) | instid1(VALU_DEP_3)
	v_add_f64 v[28:29], v[8:9], 1.0
	v_add_f64 v[34:35], v[8:9], -1.0
	v_ldexp_f64 v[24:25], v[24:25], v30
	s_delay_alu instid0(VALU_DEP_3) | instskip(NEXT) | instid1(VALU_DEP_3)
	v_add_f64 v[26:27], v[28:29], -1.0
	v_add_f64 v[129:130], v[34:35], 1.0
	s_delay_alu instid0(VALU_DEP_2) | instskip(NEXT) | instid1(VALU_DEP_2)
	v_add_f64 v[26:27], v[8:9], -v[26:27]
	v_add_f64 v[8:9], v[8:9], -v[129:130]
	s_delay_alu instid0(VALU_DEP_2) | instskip(NEXT) | instid1(VALU_DEP_2)
	v_add_f64 v[26:27], v[24:25], v[26:27]
	v_add_f64 v[8:9], v[24:25], v[8:9]
	s_delay_alu instid0(VALU_DEP_2) | instskip(NEXT) | instid1(VALU_DEP_2)
	v_add_f64 v[30:31], v[28:29], v[26:27]
	v_add_f64 v[129:130], v[34:35], v[8:9]
	s_delay_alu instid0(VALU_DEP_2) | instskip(SKIP_1) | instid1(VALU_DEP_2)
	v_rcp_f64_e32 v[32:33], v[30:31]
	v_add_f64 v[28:29], v[30:31], -v[28:29]
	v_add_f64 v[34:35], v[129:130], -v[34:35]
	s_delay_alu instid0(VALU_DEP_2) | instskip(SKIP_3) | instid1(VALU_DEP_2)
	v_add_f64 v[26:27], v[26:27], -v[28:29]
	s_waitcnt_depctr 0xfff
	v_fma_f64 v[133:134], -v[30:31], v[32:33], 1.0
	v_add_f64 v[8:9], v[8:9], -v[34:35]
	v_fma_f64 v[32:33], v[133:134], v[32:33], v[32:33]
	s_delay_alu instid0(VALU_DEP_1) | instskip(NEXT) | instid1(VALU_DEP_1)
	v_fma_f64 v[24:25], -v[30:31], v[32:33], 1.0
	v_fma_f64 v[24:25], v[24:25], v[32:33], v[32:33]
	s_delay_alu instid0(VALU_DEP_1) | instskip(NEXT) | instid1(VALU_DEP_1)
	v_mul_f64 v[32:33], v[129:130], v[24:25]
	v_mul_f64 v[133:134], v[30:31], v[32:33]
	s_delay_alu instid0(VALU_DEP_1) | instskip(NEXT) | instid1(VALU_DEP_1)
	v_fma_f64 v[28:29], v[32:33], v[30:31], -v[133:134]
	v_fma_f64 v[28:29], v[32:33], v[26:27], v[28:29]
	s_delay_alu instid0(VALU_DEP_1) | instskip(NEXT) | instid1(VALU_DEP_1)
	v_add_f64 v[144:145], v[133:134], v[28:29]
	v_add_f64 v[146:147], v[129:130], -v[144:145]
	v_add_f64 v[34:35], v[144:145], -v[133:134]
	s_delay_alu instid0(VALU_DEP_2) | instskip(NEXT) | instid1(VALU_DEP_2)
	v_add_f64 v[129:130], v[129:130], -v[146:147]
	v_add_f64 v[28:29], v[34:35], -v[28:29]
	s_delay_alu instid0(VALU_DEP_2) | instskip(NEXT) | instid1(VALU_DEP_1)
	v_add_f64 v[129:130], v[129:130], -v[144:145]
	v_add_f64 v[8:9], v[8:9], v[129:130]
	s_delay_alu instid0(VALU_DEP_1) | instskip(NEXT) | instid1(VALU_DEP_1)
	v_add_f64 v[8:9], v[28:29], v[8:9]
	v_add_f64 v[28:29], v[146:147], v[8:9]
	s_delay_alu instid0(VALU_DEP_1) | instskip(SKIP_1) | instid1(VALU_DEP_2)
	v_mul_f64 v[34:35], v[24:25], v[28:29]
	v_add_f64 v[144:145], v[146:147], -v[28:29]
	v_mul_f64 v[129:130], v[30:31], v[34:35]
	s_delay_alu instid0(VALU_DEP_2) | instskip(NEXT) | instid1(VALU_DEP_2)
	v_add_f64 v[8:9], v[8:9], v[144:145]
	v_fma_f64 v[30:31], v[34:35], v[30:31], -v[129:130]
	s_delay_alu instid0(VALU_DEP_1) | instskip(NEXT) | instid1(VALU_DEP_1)
	v_fma_f64 v[26:27], v[34:35], v[26:27], v[30:31]
	v_add_f64 v[30:31], v[129:130], v[26:27]
	s_delay_alu instid0(VALU_DEP_1) | instskip(SKIP_1) | instid1(VALU_DEP_2)
	v_add_f64 v[133:134], v[28:29], -v[30:31]
	v_add_f64 v[129:130], v[30:31], -v[129:130]
	;; [unrolled: 1-line block ×3, first 2 shown]
	s_delay_alu instid0(VALU_DEP_2) | instskip(NEXT) | instid1(VALU_DEP_2)
	v_add_f64 v[26:27], v[129:130], -v[26:27]
	v_add_f64 v[28:29], v[28:29], -v[30:31]
	s_delay_alu instid0(VALU_DEP_1) | instskip(SKIP_1) | instid1(VALU_DEP_2)
	v_add_f64 v[8:9], v[8:9], v[28:29]
	v_add_f64 v[28:29], v[32:33], v[34:35]
	;; [unrolled: 1-line block ×3, first 2 shown]
	s_delay_alu instid0(VALU_DEP_2) | instskip(NEXT) | instid1(VALU_DEP_2)
	v_add_f64 v[26:27], v[28:29], -v[32:33]
	v_add_f64 v[8:9], v[133:134], v[8:9]
	s_delay_alu instid0(VALU_DEP_2) | instskip(NEXT) | instid1(VALU_DEP_2)
	v_add_f64 v[26:27], v[34:35], -v[26:27]
	v_mul_f64 v[8:9], v[24:25], v[8:9]
	s_delay_alu instid0(VALU_DEP_1) | instskip(NEXT) | instid1(VALU_DEP_1)
	v_add_f64 v[8:9], v[26:27], v[8:9]
	v_add_f64 v[24:25], v[28:29], v[8:9]
	s_delay_alu instid0(VALU_DEP_1) | instskip(NEXT) | instid1(VALU_DEP_1)
	v_mul_f64 v[26:27], v[24:25], v[24:25]
	v_fma_f64 v[30:31], v[26:27], s[24:25], s[20:21]
	s_mov_b32 s20, 0xd7f4df2e
	s_mov_b32 s21, 0x3fc7474d
	v_mul_f64 v[32:33], v[24:25], v[26:27]
	s_delay_alu instid0(VALU_DEP_2)
	v_fma_f64 v[30:31], v[26:27], v[30:31], s[20:21]
	s_mov_b32 s20, 0x16291751
	s_mov_b32 s21, 0x3fcc71c0
	s_delay_alu instid0(VALU_DEP_1) | instid1(SALU_CYCLE_1)
	v_fma_f64 v[30:31], v[26:27], v[30:31], s[20:21]
	s_mov_b32 s20, 0x9b27acf1
	s_mov_b32 s21, 0x3fd24924
	s_delay_alu instid0(VALU_DEP_1) | instid1(SALU_CYCLE_1)
	;; [unrolled: 4-line block ×3, first 2 shown]
	v_fma_f64 v[30:31], v[26:27], v[30:31], s[20:21]
	s_delay_alu instid0(VALU_DEP_1) | instskip(SKIP_2) | instid1(VALU_DEP_3)
	v_fma_f64 v[26:27], v[26:27], v[30:31], s[18:19]
	v_ldexp_f64 v[30:31], v[24:25], 1
	v_add_f64 v[24:25], v[24:25], -v[28:29]
	v_mul_f64 v[26:27], v[32:33], v[26:27]
	v_cvt_f64_i32_e32 v[32:33], v148
	s_delay_alu instid0(VALU_DEP_3) | instskip(NEXT) | instid1(VALU_DEP_3)
	v_add_f64 v[8:9], v[8:9], -v[24:25]
	v_add_f64 v[28:29], v[30:31], v[26:27]
	s_delay_alu instid0(VALU_DEP_3) | instskip(NEXT) | instid1(VALU_DEP_3)
	v_mul_f64 v[34:35], v[32:33], s[10:11]
	v_ldexp_f64 v[8:9], v[8:9], 1
	s_delay_alu instid0(VALU_DEP_3) | instskip(NEXT) | instid1(VALU_DEP_3)
	v_add_f64 v[24:25], v[28:29], -v[30:31]
	v_fma_f64 v[30:31], v[32:33], s[10:11], -v[34:35]
	s_delay_alu instid0(VALU_DEP_2) | instskip(NEXT) | instid1(VALU_DEP_2)
	v_add_f64 v[24:25], v[26:27], -v[24:25]
	v_fma_f64 v[26:27], v[32:33], s[14:15], v[30:31]
	s_delay_alu instid0(VALU_DEP_2) | instskip(NEXT) | instid1(VALU_DEP_2)
	v_add_f64 v[8:9], v[8:9], v[24:25]
	v_add_f64 v[24:25], v[34:35], v[26:27]
	s_delay_alu instid0(VALU_DEP_2) | instskip(NEXT) | instid1(VALU_DEP_2)
	v_add_f64 v[30:31], v[28:29], v[8:9]
	v_add_f64 v[34:35], v[24:25], -v[34:35]
	s_delay_alu instid0(VALU_DEP_2) | instskip(SKIP_1) | instid1(VALU_DEP_3)
	v_add_f64 v[32:33], v[24:25], v[30:31]
	v_add_f64 v[28:29], v[30:31], -v[28:29]
	v_add_f64 v[26:27], v[26:27], -v[34:35]
	s_delay_alu instid0(VALU_DEP_3) | instskip(NEXT) | instid1(VALU_DEP_3)
	v_add_f64 v[129:130], v[32:33], -v[24:25]
	v_add_f64 v[8:9], v[8:9], -v[28:29]
	s_delay_alu instid0(VALU_DEP_2) | instskip(SKIP_1) | instid1(VALU_DEP_3)
	v_add_f64 v[133:134], v[32:33], -v[129:130]
	v_add_f64 v[28:29], v[30:31], -v[129:130]
	v_add_f64 v[30:31], v[26:27], v[8:9]
	s_delay_alu instid0(VALU_DEP_3) | instskip(NEXT) | instid1(VALU_DEP_1)
	v_add_f64 v[24:25], v[24:25], -v[133:134]
	v_add_f64 v[24:25], v[28:29], v[24:25]
	s_delay_alu instid0(VALU_DEP_3) | instskip(NEXT) | instid1(VALU_DEP_2)
	v_add_f64 v[28:29], v[30:31], -v[26:27]
	v_add_f64 v[24:25], v[30:31], v[24:25]
	s_delay_alu instid0(VALU_DEP_2) | instskip(SKIP_1) | instid1(VALU_DEP_3)
	v_add_f64 v[30:31], v[30:31], -v[28:29]
	v_add_f64 v[8:9], v[8:9], -v[28:29]
	v_add_f64 v[34:35], v[32:33], v[24:25]
	s_delay_alu instid0(VALU_DEP_3) | instskip(NEXT) | instid1(VALU_DEP_2)
	v_add_f64 v[26:27], v[26:27], -v[30:31]
	v_add_f64 v[28:29], v[34:35], -v[32:33]
	s_delay_alu instid0(VALU_DEP_2) | instskip(NEXT) | instid1(VALU_DEP_2)
	v_add_f64 v[8:9], v[8:9], v[26:27]
	v_add_f64 v[24:25], v[24:25], -v[28:29]
	s_delay_alu instid0(VALU_DEP_1) | instskip(NEXT) | instid1(VALU_DEP_1)
	v_add_f64 v[8:9], v[8:9], v[24:25]
	v_add_f64 v[8:9], v[34:35], v[8:9]
	s_delay_alu instid0(VALU_DEP_1) | instskip(SKIP_1) | instid1(VALU_DEP_2)
	v_dual_cndmask_b32 v9, v9, v5 :: v_dual_cndmask_b32 v8, v8, v4
	v_cmp_ngt_f64_e32 vcc_lo, -1.0, v[4:5]
	v_cndmask_b32_e32 v9, 0x7ff80000, v9, vcc_lo
	v_cmp_nge_f64_e32 vcc_lo, -1.0, v[4:5]
	s_delay_alu instid0(VALU_DEP_4) | instskip(SKIP_1) | instid1(VALU_DEP_4)
	v_cndmask_b32_e32 v8, 0, v8, vcc_lo
	v_cmp_neq_f64_e32 vcc_lo, -1.0, v[4:5]
	v_cndmask_b32_e32 v9, 0xfff00000, v9, vcc_lo
	s_delay_alu instid0(VALU_DEP_1)
	v_add_f64 v[4:5], v[6:7], v[8:9]
.LBB56_38:
	s_or_b32 exec_lo, exec_lo, s13
	v_max_f64 v[24:25], v[86:87], v[86:87]
	s_delay_alu instid0(VALU_DEP_2) | instskip(SKIP_2) | instid1(VALU_DEP_3)
	v_max_f64 v[6:7], v[4:5], v[4:5]
	v_cmp_u_f64_e32 vcc_lo, v[4:5], v[4:5]
	v_cmp_u_f64_e64 s9, v[86:87], v[86:87]
	v_min_f64 v[8:9], v[6:7], v[24:25]
	v_max_f64 v[6:7], v[6:7], v[24:25]
	s_delay_alu instid0(VALU_DEP_2) | instskip(NEXT) | instid1(VALU_DEP_2)
	v_dual_cndmask_b32 v8, v8, v4 :: v_dual_cndmask_b32 v9, v9, v5
	v_dual_cndmask_b32 v7, v7, v5 :: v_dual_cndmask_b32 v6, v6, v4
	s_delay_alu instid0(VALU_DEP_2) | instskip(NEXT) | instid1(VALU_DEP_3)
	v_cndmask_b32_e64 v8, v8, v86, s9
	v_cndmask_b32_e64 v9, v9, v87, s9
	s_delay_alu instid0(VALU_DEP_3) | instskip(NEXT) | instid1(VALU_DEP_4)
	v_cndmask_b32_e64 v7, v7, v87, s9
	v_cndmask_b32_e64 v6, v6, v86, s9
	s_delay_alu instid0(VALU_DEP_3) | instskip(NEXT) | instid1(VALU_DEP_2)
	v_cmp_class_f64_e64 s10, v[8:9], 0x1f8
	v_cmp_neq_f64_e32 vcc_lo, v[8:9], v[6:7]
	s_delay_alu instid0(VALU_DEP_2) | instskip(NEXT) | instid1(SALU_CYCLE_1)
	s_or_b32 s10, vcc_lo, s10
	s_and_saveexec_b32 s13, s10
	s_cbranch_execz .LBB56_40
; %bb.39:
	v_add_f64 v[4:5], v[8:9], -v[6:7]
	s_mov_b32 s10, 0x652b82fe
	s_mov_b32 s11, 0x3ff71547
	s_mov_b32 s15, 0xbfe62e42
	s_mov_b32 s14, 0xfefa39ef
	s_mov_b32 s19, 0xbc7abc9e
	s_mov_b32 s18, 0x3b39803f
	s_mov_b32 s20, 0x6a5dcb37
	s_mov_b32 s21, 0x3e5ade15
	s_mov_b32 s24, 0xbf559e2b
	s_mov_b32 s25, 0x3fc3ab76
	s_delay_alu instid0(VALU_DEP_1) | instskip(SKIP_3) | instid1(VALU_DEP_2)
	v_mul_f64 v[8:9], v[4:5], s[10:11]
	s_mov_b32 s10, 0xfca7ab0c
	s_mov_b32 s11, 0x3e928af3
	v_cmp_nlt_f64_e32 vcc_lo, 0x40900000, v[4:5]
	v_rndne_f64_e32 v[8:9], v[8:9]
	s_delay_alu instid0(VALU_DEP_1) | instskip(SKIP_2) | instid1(VALU_DEP_2)
	v_fma_f64 v[26:27], v[8:9], s[14:15], v[4:5]
	v_cvt_i32_f64_e32 v30, v[8:9]
	s_mov_b32 s15, 0x3fe62e42
	v_fma_f64 v[26:27], v[8:9], s[18:19], v[26:27]
	s_mov_b32 s19, 0x3c7abc9e
	s_delay_alu instid0(VALU_DEP_1) | instskip(SKIP_4) | instid1(VALU_DEP_1)
	v_fma_f64 v[28:29], v[26:27], s[20:21], s[10:11]
	s_mov_b32 s10, 0x623fde64
	s_mov_b32 s11, 0x3ec71dee
	;; [unrolled: 1-line block ×4, first 2 shown]
	v_fma_f64 v[28:29], v[26:27], v[28:29], s[10:11]
	s_mov_b32 s10, 0x7c89e6b0
	s_mov_b32 s11, 0x3efa0199
	s_delay_alu instid0(VALU_DEP_1) | instid1(SALU_CYCLE_1)
	v_fma_f64 v[28:29], v[26:27], v[28:29], s[10:11]
	s_mov_b32 s10, 0x14761f6e
	s_mov_b32 s11, 0x3f2a01a0
	s_delay_alu instid0(VALU_DEP_1) | instid1(SALU_CYCLE_1)
	;; [unrolled: 4-line block ×7, first 2 shown]
	v_fma_f64 v[28:29], v[26:27], v[28:29], s[10:11]
	v_cmp_ngt_f64_e64 s10, 0xc090cc00, v[4:5]
	s_mov_b32 s11, 0x3fe55555
	s_delay_alu instid0(VALU_DEP_2) | instskip(NEXT) | instid1(VALU_DEP_1)
	v_fma_f64 v[28:29], v[26:27], v[28:29], 1.0
	v_fma_f64 v[8:9], v[26:27], v[28:29], 1.0
	s_delay_alu instid0(VALU_DEP_1) | instskip(NEXT) | instid1(VALU_DEP_1)
	v_ldexp_f64 v[8:9], v[8:9], v30
	v_cndmask_b32_e32 v9, 0x7ff00000, v9, vcc_lo
	s_and_b32 vcc_lo, s10, vcc_lo
	s_delay_alu instid0(VALU_DEP_1) | instskip(NEXT) | instid1(VALU_DEP_3)
	v_cndmask_b32_e64 v5, 0, v9, s10
	v_cndmask_b32_e32 v4, 0, v8, vcc_lo
	s_mov_b32 s10, 0x55555555
	s_delay_alu instid0(VALU_DEP_1) | instskip(NEXT) | instid1(VALU_DEP_1)
	v_add_f64 v[8:9], v[4:5], 1.0
	v_frexp_mant_f64_e32 v[26:27], v[8:9]
	v_frexp_exp_i32_f64_e32 v30, v[8:9]
	v_add_f64 v[28:29], v[8:9], -1.0
	s_delay_alu instid0(VALU_DEP_3) | instskip(SKIP_1) | instid1(VALU_DEP_2)
	v_cmp_gt_f64_e32 vcc_lo, s[10:11], v[26:27]
	s_mov_b32 s10, 0x55555780
	v_add_f64 v[26:27], v[28:29], -v[8:9]
	v_add_f64 v[28:29], v[4:5], -v[28:29]
	v_subrev_co_ci_u32_e32 v150, vcc_lo, 0, v30, vcc_lo
	s_delay_alu instid0(VALU_DEP_3) | instskip(SKIP_1) | instid1(VALU_DEP_3)
	v_add_f64 v[26:27], v[26:27], 1.0
	v_cmp_eq_f64_e32 vcc_lo, 0x7ff00000, v[4:5]
	v_sub_nc_u32_e32 v32, 0, v150
	s_delay_alu instid0(VALU_DEP_1) | instskip(NEXT) | instid1(VALU_DEP_4)
	v_ldexp_f64 v[8:9], v[8:9], v32
	v_add_f64 v[26:27], v[28:29], v[26:27]
	s_delay_alu instid0(VALU_DEP_2) | instskip(SKIP_1) | instid1(VALU_DEP_3)
	v_add_f64 v[30:31], v[8:9], 1.0
	v_add_f64 v[129:130], v[8:9], -1.0
	v_ldexp_f64 v[26:27], v[26:27], v32
	s_delay_alu instid0(VALU_DEP_3) | instskip(NEXT) | instid1(VALU_DEP_3)
	v_add_f64 v[28:29], v[30:31], -1.0
	v_add_f64 v[133:134], v[129:130], 1.0
	s_delay_alu instid0(VALU_DEP_2) | instskip(NEXT) | instid1(VALU_DEP_2)
	v_add_f64 v[28:29], v[8:9], -v[28:29]
	v_add_f64 v[8:9], v[8:9], -v[133:134]
	s_delay_alu instid0(VALU_DEP_2) | instskip(NEXT) | instid1(VALU_DEP_2)
	v_add_f64 v[28:29], v[26:27], v[28:29]
	v_add_f64 v[8:9], v[26:27], v[8:9]
	s_delay_alu instid0(VALU_DEP_2) | instskip(NEXT) | instid1(VALU_DEP_2)
	v_add_f64 v[32:33], v[30:31], v[28:29]
	v_add_f64 v[133:134], v[129:130], v[8:9]
	s_delay_alu instid0(VALU_DEP_2) | instskip(SKIP_1) | instid1(VALU_DEP_2)
	v_rcp_f64_e32 v[34:35], v[32:33]
	v_add_f64 v[30:31], v[32:33], -v[30:31]
	v_add_f64 v[129:130], v[133:134], -v[129:130]
	s_delay_alu instid0(VALU_DEP_2) | instskip(SKIP_3) | instid1(VALU_DEP_2)
	v_add_f64 v[28:29], v[28:29], -v[30:31]
	s_waitcnt_depctr 0xfff
	v_fma_f64 v[144:145], -v[32:33], v[34:35], 1.0
	v_add_f64 v[8:9], v[8:9], -v[129:130]
	v_fma_f64 v[34:35], v[144:145], v[34:35], v[34:35]
	s_delay_alu instid0(VALU_DEP_1) | instskip(NEXT) | instid1(VALU_DEP_1)
	v_fma_f64 v[26:27], -v[32:33], v[34:35], 1.0
	v_fma_f64 v[26:27], v[26:27], v[34:35], v[34:35]
	s_delay_alu instid0(VALU_DEP_1) | instskip(NEXT) | instid1(VALU_DEP_1)
	v_mul_f64 v[34:35], v[133:134], v[26:27]
	v_mul_f64 v[144:145], v[32:33], v[34:35]
	s_delay_alu instid0(VALU_DEP_1) | instskip(NEXT) | instid1(VALU_DEP_1)
	v_fma_f64 v[30:31], v[34:35], v[32:33], -v[144:145]
	v_fma_f64 v[30:31], v[34:35], v[28:29], v[30:31]
	s_delay_alu instid0(VALU_DEP_1) | instskip(NEXT) | instid1(VALU_DEP_1)
	v_add_f64 v[146:147], v[144:145], v[30:31]
	v_add_f64 v[148:149], v[133:134], -v[146:147]
	v_add_f64 v[129:130], v[146:147], -v[144:145]
	s_delay_alu instid0(VALU_DEP_2) | instskip(NEXT) | instid1(VALU_DEP_2)
	v_add_f64 v[133:134], v[133:134], -v[148:149]
	v_add_f64 v[30:31], v[129:130], -v[30:31]
	s_delay_alu instid0(VALU_DEP_2) | instskip(NEXT) | instid1(VALU_DEP_1)
	v_add_f64 v[133:134], v[133:134], -v[146:147]
	v_add_f64 v[8:9], v[8:9], v[133:134]
	s_delay_alu instid0(VALU_DEP_1) | instskip(NEXT) | instid1(VALU_DEP_1)
	v_add_f64 v[8:9], v[30:31], v[8:9]
	v_add_f64 v[30:31], v[148:149], v[8:9]
	s_delay_alu instid0(VALU_DEP_1) | instskip(SKIP_1) | instid1(VALU_DEP_2)
	v_mul_f64 v[129:130], v[26:27], v[30:31]
	v_add_f64 v[146:147], v[148:149], -v[30:31]
	v_mul_f64 v[133:134], v[32:33], v[129:130]
	s_delay_alu instid0(VALU_DEP_2) | instskip(NEXT) | instid1(VALU_DEP_2)
	v_add_f64 v[8:9], v[8:9], v[146:147]
	v_fma_f64 v[32:33], v[129:130], v[32:33], -v[133:134]
	s_delay_alu instid0(VALU_DEP_1) | instskip(NEXT) | instid1(VALU_DEP_1)
	v_fma_f64 v[28:29], v[129:130], v[28:29], v[32:33]
	v_add_f64 v[32:33], v[133:134], v[28:29]
	s_delay_alu instid0(VALU_DEP_1) | instskip(SKIP_1) | instid1(VALU_DEP_2)
	v_add_f64 v[144:145], v[30:31], -v[32:33]
	v_add_f64 v[133:134], v[32:33], -v[133:134]
	;; [unrolled: 1-line block ×3, first 2 shown]
	s_delay_alu instid0(VALU_DEP_2) | instskip(NEXT) | instid1(VALU_DEP_2)
	v_add_f64 v[28:29], v[133:134], -v[28:29]
	v_add_f64 v[30:31], v[30:31], -v[32:33]
	s_delay_alu instid0(VALU_DEP_1) | instskip(SKIP_1) | instid1(VALU_DEP_2)
	v_add_f64 v[8:9], v[8:9], v[30:31]
	v_add_f64 v[30:31], v[34:35], v[129:130]
	;; [unrolled: 1-line block ×3, first 2 shown]
	s_delay_alu instid0(VALU_DEP_2) | instskip(NEXT) | instid1(VALU_DEP_2)
	v_add_f64 v[28:29], v[30:31], -v[34:35]
	v_add_f64 v[8:9], v[144:145], v[8:9]
	s_delay_alu instid0(VALU_DEP_2) | instskip(NEXT) | instid1(VALU_DEP_2)
	v_add_f64 v[28:29], v[129:130], -v[28:29]
	v_mul_f64 v[8:9], v[26:27], v[8:9]
	s_delay_alu instid0(VALU_DEP_1) | instskip(NEXT) | instid1(VALU_DEP_1)
	v_add_f64 v[8:9], v[28:29], v[8:9]
	v_add_f64 v[26:27], v[30:31], v[8:9]
	s_delay_alu instid0(VALU_DEP_1) | instskip(NEXT) | instid1(VALU_DEP_1)
	v_mul_f64 v[28:29], v[26:27], v[26:27]
	v_fma_f64 v[32:33], v[28:29], s[24:25], s[20:21]
	s_mov_b32 s20, 0xd7f4df2e
	s_mov_b32 s21, 0x3fc7474d
	v_mul_f64 v[34:35], v[26:27], v[28:29]
	s_delay_alu instid0(VALU_DEP_2)
	v_fma_f64 v[32:33], v[28:29], v[32:33], s[20:21]
	s_mov_b32 s20, 0x16291751
	s_mov_b32 s21, 0x3fcc71c0
	s_delay_alu instid0(VALU_DEP_1) | instid1(SALU_CYCLE_1)
	v_fma_f64 v[32:33], v[28:29], v[32:33], s[20:21]
	s_mov_b32 s20, 0x9b27acf1
	s_mov_b32 s21, 0x3fd24924
	s_delay_alu instid0(VALU_DEP_1) | instid1(SALU_CYCLE_1)
	;; [unrolled: 4-line block ×3, first 2 shown]
	v_fma_f64 v[32:33], v[28:29], v[32:33], s[20:21]
	s_delay_alu instid0(VALU_DEP_1) | instskip(SKIP_2) | instid1(VALU_DEP_3)
	v_fma_f64 v[28:29], v[28:29], v[32:33], s[10:11]
	v_ldexp_f64 v[32:33], v[26:27], 1
	v_add_f64 v[26:27], v[26:27], -v[30:31]
	v_mul_f64 v[28:29], v[34:35], v[28:29]
	v_cvt_f64_i32_e32 v[34:35], v150
	s_delay_alu instid0(VALU_DEP_3) | instskip(NEXT) | instid1(VALU_DEP_3)
	v_add_f64 v[8:9], v[8:9], -v[26:27]
	v_add_f64 v[30:31], v[32:33], v[28:29]
	s_delay_alu instid0(VALU_DEP_3) | instskip(NEXT) | instid1(VALU_DEP_3)
	v_mul_f64 v[129:130], v[34:35], s[14:15]
	v_ldexp_f64 v[8:9], v[8:9], 1
	s_delay_alu instid0(VALU_DEP_3) | instskip(NEXT) | instid1(VALU_DEP_3)
	v_add_f64 v[26:27], v[30:31], -v[32:33]
	v_fma_f64 v[32:33], v[34:35], s[14:15], -v[129:130]
	s_delay_alu instid0(VALU_DEP_2) | instskip(NEXT) | instid1(VALU_DEP_2)
	v_add_f64 v[26:27], v[28:29], -v[26:27]
	v_fma_f64 v[28:29], v[34:35], s[18:19], v[32:33]
	s_delay_alu instid0(VALU_DEP_2) | instskip(NEXT) | instid1(VALU_DEP_2)
	v_add_f64 v[8:9], v[8:9], v[26:27]
	v_add_f64 v[26:27], v[129:130], v[28:29]
	s_delay_alu instid0(VALU_DEP_2) | instskip(NEXT) | instid1(VALU_DEP_2)
	v_add_f64 v[32:33], v[30:31], v[8:9]
	v_add_f64 v[129:130], v[26:27], -v[129:130]
	s_delay_alu instid0(VALU_DEP_2) | instskip(SKIP_1) | instid1(VALU_DEP_3)
	v_add_f64 v[34:35], v[26:27], v[32:33]
	v_add_f64 v[30:31], v[32:33], -v[30:31]
	v_add_f64 v[28:29], v[28:29], -v[129:130]
	s_delay_alu instid0(VALU_DEP_3) | instskip(NEXT) | instid1(VALU_DEP_3)
	v_add_f64 v[133:134], v[34:35], -v[26:27]
	v_add_f64 v[8:9], v[8:9], -v[30:31]
	s_delay_alu instid0(VALU_DEP_2) | instskip(SKIP_1) | instid1(VALU_DEP_3)
	v_add_f64 v[144:145], v[34:35], -v[133:134]
	v_add_f64 v[30:31], v[32:33], -v[133:134]
	v_add_f64 v[32:33], v[28:29], v[8:9]
	s_delay_alu instid0(VALU_DEP_3) | instskip(NEXT) | instid1(VALU_DEP_1)
	v_add_f64 v[26:27], v[26:27], -v[144:145]
	v_add_f64 v[26:27], v[30:31], v[26:27]
	s_delay_alu instid0(VALU_DEP_3) | instskip(NEXT) | instid1(VALU_DEP_2)
	v_add_f64 v[30:31], v[32:33], -v[28:29]
	v_add_f64 v[26:27], v[32:33], v[26:27]
	s_delay_alu instid0(VALU_DEP_2) | instskip(SKIP_1) | instid1(VALU_DEP_3)
	v_add_f64 v[32:33], v[32:33], -v[30:31]
	v_add_f64 v[8:9], v[8:9], -v[30:31]
	v_add_f64 v[129:130], v[34:35], v[26:27]
	s_delay_alu instid0(VALU_DEP_3) | instskip(NEXT) | instid1(VALU_DEP_2)
	v_add_f64 v[28:29], v[28:29], -v[32:33]
	v_add_f64 v[30:31], v[129:130], -v[34:35]
	s_delay_alu instid0(VALU_DEP_2) | instskip(NEXT) | instid1(VALU_DEP_2)
	v_add_f64 v[8:9], v[8:9], v[28:29]
	v_add_f64 v[26:27], v[26:27], -v[30:31]
	s_delay_alu instid0(VALU_DEP_1) | instskip(NEXT) | instid1(VALU_DEP_1)
	v_add_f64 v[8:9], v[8:9], v[26:27]
	v_add_f64 v[8:9], v[129:130], v[8:9]
	s_delay_alu instid0(VALU_DEP_1) | instskip(SKIP_1) | instid1(VALU_DEP_2)
	v_dual_cndmask_b32 v9, v9, v5 :: v_dual_cndmask_b32 v8, v8, v4
	v_cmp_ngt_f64_e32 vcc_lo, -1.0, v[4:5]
	v_cndmask_b32_e32 v9, 0x7ff80000, v9, vcc_lo
	v_cmp_nge_f64_e32 vcc_lo, -1.0, v[4:5]
	s_delay_alu instid0(VALU_DEP_4) | instskip(SKIP_1) | instid1(VALU_DEP_4)
	v_cndmask_b32_e32 v8, 0, v8, vcc_lo
	v_cmp_neq_f64_e32 vcc_lo, -1.0, v[4:5]
	v_cndmask_b32_e32 v9, 0xfff00000, v9, vcc_lo
	s_delay_alu instid0(VALU_DEP_1)
	v_add_f64 v[4:5], v[6:7], v[8:9]
.LBB56_40:
	s_or_b32 exec_lo, exec_lo, s13
	v_max_f64 v[26:27], v[80:81], v[80:81]
	s_delay_alu instid0(VALU_DEP_2) | instskip(SKIP_2) | instid1(VALU_DEP_3)
	v_max_f64 v[6:7], v[4:5], v[4:5]
	v_cmp_u_f64_e32 vcc_lo, v[4:5], v[4:5]
	v_cmp_u_f64_e64 s10, v[80:81], v[80:81]
	v_min_f64 v[8:9], v[6:7], v[26:27]
	v_max_f64 v[6:7], v[6:7], v[26:27]
	s_delay_alu instid0(VALU_DEP_2) | instskip(NEXT) | instid1(VALU_DEP_2)
	v_dual_cndmask_b32 v8, v8, v4 :: v_dual_cndmask_b32 v9, v9, v5
	v_dual_cndmask_b32 v7, v7, v5 :: v_dual_cndmask_b32 v6, v6, v4
	s_delay_alu instid0(VALU_DEP_2) | instskip(NEXT) | instid1(VALU_DEP_3)
	v_cndmask_b32_e64 v8, v8, v80, s10
	v_cndmask_b32_e64 v9, v9, v81, s10
	s_delay_alu instid0(VALU_DEP_3) | instskip(NEXT) | instid1(VALU_DEP_4)
	v_cndmask_b32_e64 v7, v7, v81, s10
	v_cndmask_b32_e64 v6, v6, v80, s10
	s_delay_alu instid0(VALU_DEP_3) | instskip(NEXT) | instid1(VALU_DEP_2)
	v_cmp_class_f64_e64 s11, v[8:9], 0x1f8
	v_cmp_neq_f64_e32 vcc_lo, v[8:9], v[6:7]
	s_delay_alu instid0(VALU_DEP_2) | instskip(NEXT) | instid1(SALU_CYCLE_1)
	s_or_b32 s11, vcc_lo, s11
	s_and_saveexec_b32 s13, s11
	s_cbranch_execz .LBB56_42
; %bb.41:
	v_add_f64 v[4:5], v[8:9], -v[6:7]
	s_mov_b32 s14, 0x652b82fe
	s_mov_b32 s15, 0x3ff71547
	;; [unrolled: 1-line block ×10, first 2 shown]
	s_delay_alu instid0(VALU_DEP_1) | instskip(SKIP_4) | instid1(VALU_DEP_3)
	v_mul_f64 v[8:9], v[4:5], s[14:15]
	s_mov_b32 s15, 0xbfe62e42
	s_mov_b32 s14, 0xfefa39ef
	v_cmp_nlt_f64_e32 vcc_lo, 0x40900000, v[4:5]
	v_cmp_ngt_f64_e64 s11, 0xc090cc00, v[4:5]
	v_rndne_f64_e32 v[8:9], v[8:9]
	s_delay_alu instid0(VALU_DEP_1) | instskip(SKIP_2) | instid1(VALU_DEP_2)
	v_fma_f64 v[28:29], v[8:9], s[14:15], v[4:5]
	v_cvt_i32_f64_e32 v32, v[8:9]
	s_mov_b32 s15, 0x3fe62e42
	v_fma_f64 v[28:29], v[8:9], s[18:19], v[28:29]
	s_mov_b32 s19, 0x3c7abc9e
	s_delay_alu instid0(VALU_DEP_1) | instskip(SKIP_4) | instid1(VALU_DEP_1)
	v_fma_f64 v[30:31], v[28:29], s[24:25], s[20:21]
	s_mov_b32 s20, 0x623fde64
	s_mov_b32 s21, 0x3ec71dee
	;; [unrolled: 1-line block ×4, first 2 shown]
	v_fma_f64 v[30:31], v[28:29], v[30:31], s[20:21]
	s_mov_b32 s20, 0x7c89e6b0
	s_mov_b32 s21, 0x3efa0199
	s_delay_alu instid0(VALU_DEP_1) | instid1(SALU_CYCLE_1)
	v_fma_f64 v[30:31], v[28:29], v[30:31], s[20:21]
	s_mov_b32 s20, 0x14761f6e
	s_mov_b32 s21, 0x3f2a01a0
	s_delay_alu instid0(VALU_DEP_1) | instid1(SALU_CYCLE_1)
	;; [unrolled: 4-line block ×7, first 2 shown]
	v_fma_f64 v[30:31], v[28:29], v[30:31], s[20:21]
	s_mov_b32 s21, 0x3fe55555
	s_mov_b32 s20, 0x55555555
	s_delay_alu instid0(VALU_DEP_1) | instskip(NEXT) | instid1(VALU_DEP_1)
	v_fma_f64 v[30:31], v[28:29], v[30:31], 1.0
	v_fma_f64 v[8:9], v[28:29], v[30:31], 1.0
	s_delay_alu instid0(VALU_DEP_1) | instskip(NEXT) | instid1(VALU_DEP_1)
	v_ldexp_f64 v[8:9], v[8:9], v32
	v_cndmask_b32_e32 v9, 0x7ff00000, v9, vcc_lo
	s_and_b32 vcc_lo, s11, vcc_lo
	s_delay_alu instid0(VALU_DEP_1) | instskip(NEXT) | instid1(VALU_DEP_3)
	v_cndmask_b32_e64 v5, 0, v9, s11
	v_cndmask_b32_e32 v4, 0, v8, vcc_lo
	s_delay_alu instid0(VALU_DEP_1) | instskip(NEXT) | instid1(VALU_DEP_1)
	v_add_f64 v[8:9], v[4:5], 1.0
	v_frexp_mant_f64_e32 v[28:29], v[8:9]
	v_frexp_exp_i32_f64_e32 v32, v[8:9]
	v_add_f64 v[30:31], v[8:9], -1.0
	s_delay_alu instid0(VALU_DEP_3) | instskip(SKIP_1) | instid1(VALU_DEP_2)
	v_cmp_gt_f64_e32 vcc_lo, s[20:21], v[28:29]
	s_mov_b32 s20, 0x55555780
	v_add_f64 v[28:29], v[30:31], -v[8:9]
	v_add_f64 v[30:31], v[4:5], -v[30:31]
	v_subrev_co_ci_u32_e32 v160, vcc_lo, 0, v32, vcc_lo
	s_delay_alu instid0(VALU_DEP_3) | instskip(SKIP_1) | instid1(VALU_DEP_3)
	v_add_f64 v[28:29], v[28:29], 1.0
	v_cmp_eq_f64_e32 vcc_lo, 0x7ff00000, v[4:5]
	v_sub_nc_u32_e32 v34, 0, v160
	s_delay_alu instid0(VALU_DEP_1) | instskip(NEXT) | instid1(VALU_DEP_4)
	v_ldexp_f64 v[8:9], v[8:9], v34
	v_add_f64 v[28:29], v[30:31], v[28:29]
	s_delay_alu instid0(VALU_DEP_2) | instskip(SKIP_1) | instid1(VALU_DEP_3)
	v_add_f64 v[32:33], v[8:9], 1.0
	v_add_f64 v[133:134], v[8:9], -1.0
	v_ldexp_f64 v[28:29], v[28:29], v34
	s_delay_alu instid0(VALU_DEP_3) | instskip(NEXT) | instid1(VALU_DEP_3)
	v_add_f64 v[30:31], v[32:33], -1.0
	v_add_f64 v[144:145], v[133:134], 1.0
	s_delay_alu instid0(VALU_DEP_2) | instskip(NEXT) | instid1(VALU_DEP_2)
	v_add_f64 v[30:31], v[8:9], -v[30:31]
	v_add_f64 v[8:9], v[8:9], -v[144:145]
	s_delay_alu instid0(VALU_DEP_2) | instskip(NEXT) | instid1(VALU_DEP_2)
	v_add_f64 v[30:31], v[28:29], v[30:31]
	v_add_f64 v[8:9], v[28:29], v[8:9]
	s_delay_alu instid0(VALU_DEP_2) | instskip(NEXT) | instid1(VALU_DEP_2)
	v_add_f64 v[34:35], v[32:33], v[30:31]
	v_add_f64 v[144:145], v[133:134], v[8:9]
	s_delay_alu instid0(VALU_DEP_2) | instskip(SKIP_1) | instid1(VALU_DEP_2)
	v_rcp_f64_e32 v[129:130], v[34:35]
	v_add_f64 v[32:33], v[34:35], -v[32:33]
	v_add_f64 v[133:134], v[144:145], -v[133:134]
	s_delay_alu instid0(VALU_DEP_2) | instskip(SKIP_3) | instid1(VALU_DEP_2)
	v_add_f64 v[30:31], v[30:31], -v[32:33]
	s_waitcnt_depctr 0xfff
	v_fma_f64 v[146:147], -v[34:35], v[129:130], 1.0
	v_add_f64 v[8:9], v[8:9], -v[133:134]
	v_fma_f64 v[129:130], v[146:147], v[129:130], v[129:130]
	s_delay_alu instid0(VALU_DEP_1) | instskip(NEXT) | instid1(VALU_DEP_1)
	v_fma_f64 v[28:29], -v[34:35], v[129:130], 1.0
	v_fma_f64 v[28:29], v[28:29], v[129:130], v[129:130]
	s_delay_alu instid0(VALU_DEP_1) | instskip(NEXT) | instid1(VALU_DEP_1)
	v_mul_f64 v[129:130], v[144:145], v[28:29]
	v_mul_f64 v[146:147], v[34:35], v[129:130]
	s_delay_alu instid0(VALU_DEP_1) | instskip(NEXT) | instid1(VALU_DEP_1)
	v_fma_f64 v[32:33], v[129:130], v[34:35], -v[146:147]
	v_fma_f64 v[32:33], v[129:130], v[30:31], v[32:33]
	s_delay_alu instid0(VALU_DEP_1) | instskip(NEXT) | instid1(VALU_DEP_1)
	v_add_f64 v[148:149], v[146:147], v[32:33]
	v_add_f64 v[150:151], v[144:145], -v[148:149]
	v_add_f64 v[133:134], v[148:149], -v[146:147]
	s_delay_alu instid0(VALU_DEP_2) | instskip(NEXT) | instid1(VALU_DEP_2)
	v_add_f64 v[144:145], v[144:145], -v[150:151]
	v_add_f64 v[32:33], v[133:134], -v[32:33]
	s_delay_alu instid0(VALU_DEP_2) | instskip(NEXT) | instid1(VALU_DEP_1)
	v_add_f64 v[144:145], v[144:145], -v[148:149]
	v_add_f64 v[8:9], v[8:9], v[144:145]
	s_delay_alu instid0(VALU_DEP_1) | instskip(NEXT) | instid1(VALU_DEP_1)
	v_add_f64 v[8:9], v[32:33], v[8:9]
	v_add_f64 v[32:33], v[150:151], v[8:9]
	s_delay_alu instid0(VALU_DEP_1) | instskip(SKIP_1) | instid1(VALU_DEP_2)
	v_mul_f64 v[133:134], v[28:29], v[32:33]
	v_add_f64 v[148:149], v[150:151], -v[32:33]
	v_mul_f64 v[144:145], v[34:35], v[133:134]
	s_delay_alu instid0(VALU_DEP_2) | instskip(NEXT) | instid1(VALU_DEP_2)
	v_add_f64 v[8:9], v[8:9], v[148:149]
	v_fma_f64 v[34:35], v[133:134], v[34:35], -v[144:145]
	s_delay_alu instid0(VALU_DEP_1) | instskip(NEXT) | instid1(VALU_DEP_1)
	v_fma_f64 v[30:31], v[133:134], v[30:31], v[34:35]
	v_add_f64 v[34:35], v[144:145], v[30:31]
	s_delay_alu instid0(VALU_DEP_1) | instskip(SKIP_1) | instid1(VALU_DEP_2)
	v_add_f64 v[146:147], v[32:33], -v[34:35]
	v_add_f64 v[144:145], v[34:35], -v[144:145]
	;; [unrolled: 1-line block ×3, first 2 shown]
	s_delay_alu instid0(VALU_DEP_2) | instskip(NEXT) | instid1(VALU_DEP_2)
	v_add_f64 v[30:31], v[144:145], -v[30:31]
	v_add_f64 v[32:33], v[32:33], -v[34:35]
	s_delay_alu instid0(VALU_DEP_1) | instskip(SKIP_1) | instid1(VALU_DEP_2)
	v_add_f64 v[8:9], v[8:9], v[32:33]
	v_add_f64 v[32:33], v[129:130], v[133:134]
	;; [unrolled: 1-line block ×3, first 2 shown]
	s_delay_alu instid0(VALU_DEP_2) | instskip(NEXT) | instid1(VALU_DEP_2)
	v_add_f64 v[30:31], v[32:33], -v[129:130]
	v_add_f64 v[8:9], v[146:147], v[8:9]
	s_delay_alu instid0(VALU_DEP_2) | instskip(NEXT) | instid1(VALU_DEP_2)
	v_add_f64 v[30:31], v[133:134], -v[30:31]
	v_mul_f64 v[8:9], v[28:29], v[8:9]
	s_delay_alu instid0(VALU_DEP_1) | instskip(NEXT) | instid1(VALU_DEP_1)
	v_add_f64 v[8:9], v[30:31], v[8:9]
	v_add_f64 v[28:29], v[32:33], v[8:9]
	s_delay_alu instid0(VALU_DEP_1) | instskip(NEXT) | instid1(VALU_DEP_1)
	v_mul_f64 v[30:31], v[28:29], v[28:29]
	v_fma_f64 v[34:35], v[30:31], s[26:27], s[24:25]
	s_mov_b32 s24, 0xd7f4df2e
	s_mov_b32 s25, 0x3fc7474d
	v_mul_f64 v[129:130], v[28:29], v[30:31]
	s_delay_alu instid0(VALU_DEP_2)
	v_fma_f64 v[34:35], v[30:31], v[34:35], s[24:25]
	s_mov_b32 s24, 0x16291751
	s_mov_b32 s25, 0x3fcc71c0
	s_delay_alu instid0(VALU_DEP_1) | instid1(SALU_CYCLE_1)
	v_fma_f64 v[34:35], v[30:31], v[34:35], s[24:25]
	s_mov_b32 s24, 0x9b27acf1
	s_mov_b32 s25, 0x3fd24924
	s_delay_alu instid0(VALU_DEP_1) | instid1(SALU_CYCLE_1)
	v_fma_f64 v[34:35], v[30:31], v[34:35], s[24:25]
	s_mov_b32 s24, 0x998ef7b6
	s_mov_b32 s25, 0x3fd99999
	s_delay_alu instid0(VALU_DEP_1) | instid1(SALU_CYCLE_1)
	v_fma_f64 v[34:35], v[30:31], v[34:35], s[24:25]
	s_delay_alu instid0(VALU_DEP_1) | instskip(SKIP_2) | instid1(VALU_DEP_3)
	v_fma_f64 v[30:31], v[30:31], v[34:35], s[20:21]
	v_ldexp_f64 v[34:35], v[28:29], 1
	v_add_f64 v[28:29], v[28:29], -v[32:33]
	v_mul_f64 v[30:31], v[129:130], v[30:31]
	v_cvt_f64_i32_e32 v[129:130], v160
	s_delay_alu instid0(VALU_DEP_3) | instskip(NEXT) | instid1(VALU_DEP_3)
	v_add_f64 v[8:9], v[8:9], -v[28:29]
	v_add_f64 v[32:33], v[34:35], v[30:31]
	s_delay_alu instid0(VALU_DEP_3) | instskip(NEXT) | instid1(VALU_DEP_3)
	v_mul_f64 v[133:134], v[129:130], s[14:15]
	v_ldexp_f64 v[8:9], v[8:9], 1
	s_delay_alu instid0(VALU_DEP_3) | instskip(NEXT) | instid1(VALU_DEP_3)
	v_add_f64 v[28:29], v[32:33], -v[34:35]
	v_fma_f64 v[34:35], v[129:130], s[14:15], -v[133:134]
	s_delay_alu instid0(VALU_DEP_2) | instskip(NEXT) | instid1(VALU_DEP_2)
	v_add_f64 v[28:29], v[30:31], -v[28:29]
	v_fma_f64 v[30:31], v[129:130], s[18:19], v[34:35]
	s_delay_alu instid0(VALU_DEP_2) | instskip(NEXT) | instid1(VALU_DEP_2)
	v_add_f64 v[8:9], v[8:9], v[28:29]
	v_add_f64 v[28:29], v[133:134], v[30:31]
	s_delay_alu instid0(VALU_DEP_2) | instskip(NEXT) | instid1(VALU_DEP_2)
	v_add_f64 v[34:35], v[32:33], v[8:9]
	v_add_f64 v[133:134], v[28:29], -v[133:134]
	s_delay_alu instid0(VALU_DEP_2) | instskip(SKIP_1) | instid1(VALU_DEP_3)
	v_add_f64 v[129:130], v[28:29], v[34:35]
	v_add_f64 v[32:33], v[34:35], -v[32:33]
	v_add_f64 v[30:31], v[30:31], -v[133:134]
	s_delay_alu instid0(VALU_DEP_3) | instskip(NEXT) | instid1(VALU_DEP_3)
	v_add_f64 v[144:145], v[129:130], -v[28:29]
	v_add_f64 v[8:9], v[8:9], -v[32:33]
	s_delay_alu instid0(VALU_DEP_2) | instskip(SKIP_1) | instid1(VALU_DEP_3)
	v_add_f64 v[146:147], v[129:130], -v[144:145]
	v_add_f64 v[32:33], v[34:35], -v[144:145]
	v_add_f64 v[34:35], v[30:31], v[8:9]
	s_delay_alu instid0(VALU_DEP_3) | instskip(NEXT) | instid1(VALU_DEP_1)
	v_add_f64 v[28:29], v[28:29], -v[146:147]
	v_add_f64 v[28:29], v[32:33], v[28:29]
	s_delay_alu instid0(VALU_DEP_3) | instskip(NEXT) | instid1(VALU_DEP_2)
	v_add_f64 v[32:33], v[34:35], -v[30:31]
	v_add_f64 v[28:29], v[34:35], v[28:29]
	s_delay_alu instid0(VALU_DEP_2) | instskip(SKIP_1) | instid1(VALU_DEP_3)
	v_add_f64 v[34:35], v[34:35], -v[32:33]
	v_add_f64 v[8:9], v[8:9], -v[32:33]
	v_add_f64 v[133:134], v[129:130], v[28:29]
	s_delay_alu instid0(VALU_DEP_3) | instskip(NEXT) | instid1(VALU_DEP_2)
	v_add_f64 v[30:31], v[30:31], -v[34:35]
	v_add_f64 v[32:33], v[133:134], -v[129:130]
	s_delay_alu instid0(VALU_DEP_2) | instskip(NEXT) | instid1(VALU_DEP_2)
	v_add_f64 v[8:9], v[8:9], v[30:31]
	v_add_f64 v[28:29], v[28:29], -v[32:33]
	s_delay_alu instid0(VALU_DEP_1) | instskip(NEXT) | instid1(VALU_DEP_1)
	v_add_f64 v[8:9], v[8:9], v[28:29]
	v_add_f64 v[8:9], v[133:134], v[8:9]
	s_delay_alu instid0(VALU_DEP_1) | instskip(SKIP_1) | instid1(VALU_DEP_2)
	v_dual_cndmask_b32 v9, v9, v5 :: v_dual_cndmask_b32 v8, v8, v4
	v_cmp_ngt_f64_e32 vcc_lo, -1.0, v[4:5]
	v_cndmask_b32_e32 v9, 0x7ff80000, v9, vcc_lo
	v_cmp_nge_f64_e32 vcc_lo, -1.0, v[4:5]
	s_delay_alu instid0(VALU_DEP_4) | instskip(SKIP_1) | instid1(VALU_DEP_4)
	v_cndmask_b32_e32 v8, 0, v8, vcc_lo
	v_cmp_neq_f64_e32 vcc_lo, -1.0, v[4:5]
	v_cndmask_b32_e32 v9, 0xfff00000, v9, vcc_lo
	s_delay_alu instid0(VALU_DEP_1)
	v_add_f64 v[4:5], v[6:7], v[8:9]
.LBB56_42:
	s_or_b32 exec_lo, exec_lo, s13
	v_max_f64 v[28:29], v[82:83], v[82:83]
	s_delay_alu instid0(VALU_DEP_2) | instskip(SKIP_2) | instid1(VALU_DEP_3)
	v_max_f64 v[6:7], v[4:5], v[4:5]
	v_cmp_u_f64_e32 vcc_lo, v[4:5], v[4:5]
	v_cmp_u_f64_e64 s11, v[82:83], v[82:83]
	v_min_f64 v[8:9], v[6:7], v[28:29]
	v_max_f64 v[6:7], v[6:7], v[28:29]
	s_delay_alu instid0(VALU_DEP_2) | instskip(NEXT) | instid1(VALU_DEP_2)
	v_dual_cndmask_b32 v8, v8, v4 :: v_dual_cndmask_b32 v9, v9, v5
	v_dual_cndmask_b32 v7, v7, v5 :: v_dual_cndmask_b32 v6, v6, v4
	s_delay_alu instid0(VALU_DEP_2) | instskip(NEXT) | instid1(VALU_DEP_3)
	v_cndmask_b32_e64 v8, v8, v82, s11
	v_cndmask_b32_e64 v9, v9, v83, s11
	s_delay_alu instid0(VALU_DEP_3) | instskip(NEXT) | instid1(VALU_DEP_4)
	v_cndmask_b32_e64 v7, v7, v83, s11
	v_cndmask_b32_e64 v6, v6, v82, s11
	s_delay_alu instid0(VALU_DEP_3) | instskip(NEXT) | instid1(VALU_DEP_2)
	v_cmp_class_f64_e64 s13, v[8:9], 0x1f8
	v_cmp_neq_f64_e32 vcc_lo, v[8:9], v[6:7]
	s_delay_alu instid0(VALU_DEP_2) | instskip(NEXT) | instid1(SALU_CYCLE_1)
	s_or_b32 s13, vcc_lo, s13
	s_and_saveexec_b32 s16, s13
	s_cbranch_execz .LBB56_44
; %bb.43:
	v_add_f64 v[4:5], v[8:9], -v[6:7]
	s_mov_b32 s14, 0x652b82fe
	s_mov_b32 s15, 0x3ff71547
	;; [unrolled: 1-line block ×10, first 2 shown]
	s_delay_alu instid0(VALU_DEP_1) | instskip(SKIP_4) | instid1(VALU_DEP_3)
	v_mul_f64 v[8:9], v[4:5], s[14:15]
	s_mov_b32 s15, 0xbfe62e42
	s_mov_b32 s14, 0xfefa39ef
	v_cmp_nlt_f64_e32 vcc_lo, 0x40900000, v[4:5]
	v_cmp_ngt_f64_e64 s13, 0xc090cc00, v[4:5]
	v_rndne_f64_e32 v[8:9], v[8:9]
	s_delay_alu instid0(VALU_DEP_1) | instskip(SKIP_2) | instid1(VALU_DEP_2)
	v_fma_f64 v[30:31], v[8:9], s[14:15], v[4:5]
	v_cvt_i32_f64_e32 v34, v[8:9]
	s_mov_b32 s15, 0x3fe62e42
	v_fma_f64 v[30:31], v[8:9], s[18:19], v[30:31]
	s_mov_b32 s19, 0x3c7abc9e
	s_delay_alu instid0(VALU_DEP_1) | instskip(SKIP_4) | instid1(VALU_DEP_1)
	v_fma_f64 v[32:33], v[30:31], s[24:25], s[20:21]
	s_mov_b32 s20, 0x623fde64
	s_mov_b32 s21, 0x3ec71dee
	;; [unrolled: 1-line block ×4, first 2 shown]
	v_fma_f64 v[32:33], v[30:31], v[32:33], s[20:21]
	s_mov_b32 s20, 0x7c89e6b0
	s_mov_b32 s21, 0x3efa0199
	s_delay_alu instid0(VALU_DEP_1) | instid1(SALU_CYCLE_1)
	v_fma_f64 v[32:33], v[30:31], v[32:33], s[20:21]
	s_mov_b32 s20, 0x14761f6e
	s_mov_b32 s21, 0x3f2a01a0
	s_delay_alu instid0(VALU_DEP_1) | instid1(SALU_CYCLE_1)
	;; [unrolled: 4-line block ×7, first 2 shown]
	v_fma_f64 v[32:33], v[30:31], v[32:33], s[20:21]
	s_mov_b32 s21, 0x3fe55555
	s_mov_b32 s20, 0x55555555
	s_delay_alu instid0(VALU_DEP_1) | instskip(NEXT) | instid1(VALU_DEP_1)
	v_fma_f64 v[32:33], v[30:31], v[32:33], 1.0
	v_fma_f64 v[8:9], v[30:31], v[32:33], 1.0
	s_delay_alu instid0(VALU_DEP_1) | instskip(NEXT) | instid1(VALU_DEP_1)
	v_ldexp_f64 v[8:9], v[8:9], v34
	v_cndmask_b32_e32 v9, 0x7ff00000, v9, vcc_lo
	s_and_b32 vcc_lo, s13, vcc_lo
	s_delay_alu instid0(VALU_DEP_1) | instskip(NEXT) | instid1(VALU_DEP_3)
	v_cndmask_b32_e64 v5, 0, v9, s13
	v_cndmask_b32_e32 v4, 0, v8, vcc_lo
	s_delay_alu instid0(VALU_DEP_1) | instskip(NEXT) | instid1(VALU_DEP_1)
	v_add_f64 v[8:9], v[4:5], 1.0
	v_frexp_mant_f64_e32 v[30:31], v[8:9]
	v_frexp_exp_i32_f64_e32 v34, v[8:9]
	v_add_f64 v[32:33], v[8:9], -1.0
	s_delay_alu instid0(VALU_DEP_3) | instskip(SKIP_1) | instid1(VALU_DEP_2)
	v_cmp_gt_f64_e32 vcc_lo, s[20:21], v[30:31]
	s_mov_b32 s20, 0x55555780
	v_add_f64 v[30:31], v[32:33], -v[8:9]
	v_add_f64 v[32:33], v[4:5], -v[32:33]
	v_subrev_co_ci_u32_e32 v162, vcc_lo, 0, v34, vcc_lo
	s_delay_alu instid0(VALU_DEP_3) | instskip(SKIP_1) | instid1(VALU_DEP_3)
	v_add_f64 v[30:31], v[30:31], 1.0
	v_cmp_eq_f64_e32 vcc_lo, 0x7ff00000, v[4:5]
	v_sub_nc_u32_e32 v129, 0, v162
	s_delay_alu instid0(VALU_DEP_1) | instskip(NEXT) | instid1(VALU_DEP_4)
	v_ldexp_f64 v[8:9], v[8:9], v129
	v_add_f64 v[30:31], v[32:33], v[30:31]
	s_delay_alu instid0(VALU_DEP_2) | instskip(SKIP_1) | instid1(VALU_DEP_3)
	v_add_f64 v[34:35], v[8:9], 1.0
	v_add_f64 v[144:145], v[8:9], -1.0
	v_ldexp_f64 v[30:31], v[30:31], v129
	s_delay_alu instid0(VALU_DEP_3) | instskip(NEXT) | instid1(VALU_DEP_3)
	v_add_f64 v[32:33], v[34:35], -1.0
	v_add_f64 v[146:147], v[144:145], 1.0
	s_delay_alu instid0(VALU_DEP_2) | instskip(NEXT) | instid1(VALU_DEP_2)
	v_add_f64 v[32:33], v[8:9], -v[32:33]
	v_add_f64 v[8:9], v[8:9], -v[146:147]
	s_delay_alu instid0(VALU_DEP_2) | instskip(NEXT) | instid1(VALU_DEP_2)
	v_add_f64 v[32:33], v[30:31], v[32:33]
	v_add_f64 v[8:9], v[30:31], v[8:9]
	s_delay_alu instid0(VALU_DEP_2) | instskip(NEXT) | instid1(VALU_DEP_2)
	v_add_f64 v[129:130], v[34:35], v[32:33]
	v_add_f64 v[146:147], v[144:145], v[8:9]
	s_delay_alu instid0(VALU_DEP_2) | instskip(SKIP_1) | instid1(VALU_DEP_2)
	v_rcp_f64_e32 v[133:134], v[129:130]
	v_add_f64 v[34:35], v[129:130], -v[34:35]
	v_add_f64 v[144:145], v[146:147], -v[144:145]
	s_delay_alu instid0(VALU_DEP_2) | instskip(SKIP_3) | instid1(VALU_DEP_2)
	v_add_f64 v[32:33], v[32:33], -v[34:35]
	s_waitcnt_depctr 0xfff
	v_fma_f64 v[148:149], -v[129:130], v[133:134], 1.0
	v_add_f64 v[8:9], v[8:9], -v[144:145]
	v_fma_f64 v[133:134], v[148:149], v[133:134], v[133:134]
	s_delay_alu instid0(VALU_DEP_1) | instskip(NEXT) | instid1(VALU_DEP_1)
	v_fma_f64 v[30:31], -v[129:130], v[133:134], 1.0
	v_fma_f64 v[30:31], v[30:31], v[133:134], v[133:134]
	s_delay_alu instid0(VALU_DEP_1) | instskip(NEXT) | instid1(VALU_DEP_1)
	v_mul_f64 v[133:134], v[146:147], v[30:31]
	v_mul_f64 v[148:149], v[129:130], v[133:134]
	s_delay_alu instid0(VALU_DEP_1) | instskip(NEXT) | instid1(VALU_DEP_1)
	v_fma_f64 v[34:35], v[133:134], v[129:130], -v[148:149]
	v_fma_f64 v[34:35], v[133:134], v[32:33], v[34:35]
	s_delay_alu instid0(VALU_DEP_1) | instskip(NEXT) | instid1(VALU_DEP_1)
	v_add_f64 v[150:151], v[148:149], v[34:35]
	v_add_f64 v[160:161], v[146:147], -v[150:151]
	v_add_f64 v[144:145], v[150:151], -v[148:149]
	s_delay_alu instid0(VALU_DEP_2) | instskip(NEXT) | instid1(VALU_DEP_2)
	v_add_f64 v[146:147], v[146:147], -v[160:161]
	v_add_f64 v[34:35], v[144:145], -v[34:35]
	s_delay_alu instid0(VALU_DEP_2) | instskip(NEXT) | instid1(VALU_DEP_1)
	v_add_f64 v[146:147], v[146:147], -v[150:151]
	v_add_f64 v[8:9], v[8:9], v[146:147]
	s_delay_alu instid0(VALU_DEP_1) | instskip(NEXT) | instid1(VALU_DEP_1)
	v_add_f64 v[8:9], v[34:35], v[8:9]
	v_add_f64 v[34:35], v[160:161], v[8:9]
	s_delay_alu instid0(VALU_DEP_1) | instskip(SKIP_1) | instid1(VALU_DEP_2)
	v_mul_f64 v[144:145], v[30:31], v[34:35]
	v_add_f64 v[150:151], v[160:161], -v[34:35]
	v_mul_f64 v[146:147], v[129:130], v[144:145]
	s_delay_alu instid0(VALU_DEP_2) | instskip(NEXT) | instid1(VALU_DEP_2)
	v_add_f64 v[8:9], v[8:9], v[150:151]
	v_fma_f64 v[129:130], v[144:145], v[129:130], -v[146:147]
	s_delay_alu instid0(VALU_DEP_1) | instskip(NEXT) | instid1(VALU_DEP_1)
	v_fma_f64 v[32:33], v[144:145], v[32:33], v[129:130]
	v_add_f64 v[129:130], v[146:147], v[32:33]
	s_delay_alu instid0(VALU_DEP_1) | instskip(SKIP_1) | instid1(VALU_DEP_2)
	v_add_f64 v[148:149], v[34:35], -v[129:130]
	v_add_f64 v[146:147], v[129:130], -v[146:147]
	;; [unrolled: 1-line block ×3, first 2 shown]
	s_delay_alu instid0(VALU_DEP_2) | instskip(NEXT) | instid1(VALU_DEP_2)
	v_add_f64 v[32:33], v[146:147], -v[32:33]
	v_add_f64 v[34:35], v[34:35], -v[129:130]
	s_delay_alu instid0(VALU_DEP_1) | instskip(SKIP_1) | instid1(VALU_DEP_2)
	v_add_f64 v[8:9], v[8:9], v[34:35]
	v_add_f64 v[34:35], v[133:134], v[144:145]
	;; [unrolled: 1-line block ×3, first 2 shown]
	s_delay_alu instid0(VALU_DEP_2) | instskip(NEXT) | instid1(VALU_DEP_2)
	v_add_f64 v[32:33], v[34:35], -v[133:134]
	v_add_f64 v[8:9], v[148:149], v[8:9]
	s_delay_alu instid0(VALU_DEP_2) | instskip(NEXT) | instid1(VALU_DEP_2)
	v_add_f64 v[32:33], v[144:145], -v[32:33]
	v_mul_f64 v[8:9], v[30:31], v[8:9]
	s_delay_alu instid0(VALU_DEP_1) | instskip(NEXT) | instid1(VALU_DEP_1)
	v_add_f64 v[8:9], v[32:33], v[8:9]
	v_add_f64 v[30:31], v[34:35], v[8:9]
	s_delay_alu instid0(VALU_DEP_1) | instskip(NEXT) | instid1(VALU_DEP_1)
	v_mul_f64 v[32:33], v[30:31], v[30:31]
	v_fma_f64 v[129:130], v[32:33], s[26:27], s[24:25]
	s_mov_b32 s24, 0xd7f4df2e
	s_mov_b32 s25, 0x3fc7474d
	v_mul_f64 v[133:134], v[30:31], v[32:33]
	s_delay_alu instid0(VALU_DEP_2)
	v_fma_f64 v[129:130], v[32:33], v[129:130], s[24:25]
	s_mov_b32 s24, 0x16291751
	s_mov_b32 s25, 0x3fcc71c0
	s_delay_alu instid0(VALU_DEP_1) | instid1(SALU_CYCLE_1)
	v_fma_f64 v[129:130], v[32:33], v[129:130], s[24:25]
	s_mov_b32 s24, 0x9b27acf1
	s_mov_b32 s25, 0x3fd24924
	s_delay_alu instid0(VALU_DEP_1) | instid1(SALU_CYCLE_1)
	;; [unrolled: 4-line block ×3, first 2 shown]
	v_fma_f64 v[129:130], v[32:33], v[129:130], s[24:25]
	s_delay_alu instid0(VALU_DEP_1) | instskip(SKIP_2) | instid1(VALU_DEP_3)
	v_fma_f64 v[32:33], v[32:33], v[129:130], s[20:21]
	v_ldexp_f64 v[129:130], v[30:31], 1
	v_add_f64 v[30:31], v[30:31], -v[34:35]
	v_mul_f64 v[32:33], v[133:134], v[32:33]
	v_cvt_f64_i32_e32 v[133:134], v162
	s_delay_alu instid0(VALU_DEP_3) | instskip(NEXT) | instid1(VALU_DEP_3)
	v_add_f64 v[8:9], v[8:9], -v[30:31]
	v_add_f64 v[34:35], v[129:130], v[32:33]
	s_delay_alu instid0(VALU_DEP_3) | instskip(NEXT) | instid1(VALU_DEP_3)
	v_mul_f64 v[144:145], v[133:134], s[14:15]
	v_ldexp_f64 v[8:9], v[8:9], 1
	s_delay_alu instid0(VALU_DEP_3) | instskip(NEXT) | instid1(VALU_DEP_3)
	v_add_f64 v[30:31], v[34:35], -v[129:130]
	v_fma_f64 v[129:130], v[133:134], s[14:15], -v[144:145]
	s_delay_alu instid0(VALU_DEP_2) | instskip(NEXT) | instid1(VALU_DEP_2)
	v_add_f64 v[30:31], v[32:33], -v[30:31]
	v_fma_f64 v[32:33], v[133:134], s[18:19], v[129:130]
	s_delay_alu instid0(VALU_DEP_2) | instskip(NEXT) | instid1(VALU_DEP_2)
	v_add_f64 v[8:9], v[8:9], v[30:31]
	v_add_f64 v[30:31], v[144:145], v[32:33]
	s_delay_alu instid0(VALU_DEP_2) | instskip(NEXT) | instid1(VALU_DEP_2)
	v_add_f64 v[129:130], v[34:35], v[8:9]
	v_add_f64 v[144:145], v[30:31], -v[144:145]
	s_delay_alu instid0(VALU_DEP_2) | instskip(SKIP_1) | instid1(VALU_DEP_3)
	v_add_f64 v[133:134], v[30:31], v[129:130]
	v_add_f64 v[34:35], v[129:130], -v[34:35]
	v_add_f64 v[32:33], v[32:33], -v[144:145]
	s_delay_alu instid0(VALU_DEP_3) | instskip(NEXT) | instid1(VALU_DEP_3)
	v_add_f64 v[146:147], v[133:134], -v[30:31]
	v_add_f64 v[8:9], v[8:9], -v[34:35]
	s_delay_alu instid0(VALU_DEP_2) | instskip(SKIP_1) | instid1(VALU_DEP_3)
	v_add_f64 v[148:149], v[133:134], -v[146:147]
	v_add_f64 v[34:35], v[129:130], -v[146:147]
	v_add_f64 v[129:130], v[32:33], v[8:9]
	s_delay_alu instid0(VALU_DEP_3) | instskip(NEXT) | instid1(VALU_DEP_1)
	v_add_f64 v[30:31], v[30:31], -v[148:149]
	v_add_f64 v[30:31], v[34:35], v[30:31]
	s_delay_alu instid0(VALU_DEP_3) | instskip(NEXT) | instid1(VALU_DEP_2)
	v_add_f64 v[34:35], v[129:130], -v[32:33]
	v_add_f64 v[30:31], v[129:130], v[30:31]
	s_delay_alu instid0(VALU_DEP_2) | instskip(SKIP_1) | instid1(VALU_DEP_3)
	v_add_f64 v[129:130], v[129:130], -v[34:35]
	v_add_f64 v[8:9], v[8:9], -v[34:35]
	v_add_f64 v[144:145], v[133:134], v[30:31]
	s_delay_alu instid0(VALU_DEP_3) | instskip(NEXT) | instid1(VALU_DEP_2)
	v_add_f64 v[32:33], v[32:33], -v[129:130]
	v_add_f64 v[34:35], v[144:145], -v[133:134]
	s_delay_alu instid0(VALU_DEP_2) | instskip(NEXT) | instid1(VALU_DEP_2)
	v_add_f64 v[8:9], v[8:9], v[32:33]
	v_add_f64 v[30:31], v[30:31], -v[34:35]
	s_delay_alu instid0(VALU_DEP_1) | instskip(NEXT) | instid1(VALU_DEP_1)
	v_add_f64 v[8:9], v[8:9], v[30:31]
	v_add_f64 v[8:9], v[144:145], v[8:9]
	s_delay_alu instid0(VALU_DEP_1) | instskip(SKIP_1) | instid1(VALU_DEP_2)
	v_dual_cndmask_b32 v9, v9, v5 :: v_dual_cndmask_b32 v8, v8, v4
	v_cmp_ngt_f64_e32 vcc_lo, -1.0, v[4:5]
	v_cndmask_b32_e32 v9, 0x7ff80000, v9, vcc_lo
	v_cmp_nge_f64_e32 vcc_lo, -1.0, v[4:5]
	s_delay_alu instid0(VALU_DEP_4) | instskip(SKIP_1) | instid1(VALU_DEP_4)
	v_cndmask_b32_e32 v8, 0, v8, vcc_lo
	v_cmp_neq_f64_e32 vcc_lo, -1.0, v[4:5]
	v_cndmask_b32_e32 v9, 0xfff00000, v9, vcc_lo
	s_delay_alu instid0(VALU_DEP_1)
	v_add_f64 v[4:5], v[6:7], v[8:9]
.LBB56_44:
	s_or_b32 exec_lo, exec_lo, s16
	v_max_f64 v[30:31], v[68:69], v[68:69]
	s_delay_alu instid0(VALU_DEP_2) | instskip(SKIP_2) | instid1(VALU_DEP_3)
	v_max_f64 v[6:7], v[4:5], v[4:5]
	v_cmp_u_f64_e32 vcc_lo, v[4:5], v[4:5]
	v_cmp_u_f64_e64 s13, v[68:69], v[68:69]
	v_min_f64 v[8:9], v[6:7], v[30:31]
	v_max_f64 v[6:7], v[6:7], v[30:31]
	s_delay_alu instid0(VALU_DEP_2) | instskip(NEXT) | instid1(VALU_DEP_2)
	v_dual_cndmask_b32 v8, v8, v4 :: v_dual_cndmask_b32 v9, v9, v5
	v_dual_cndmask_b32 v7, v7, v5 :: v_dual_cndmask_b32 v6, v6, v4
	s_delay_alu instid0(VALU_DEP_2) | instskip(NEXT) | instid1(VALU_DEP_3)
	v_cndmask_b32_e64 v8, v8, v68, s13
	v_cndmask_b32_e64 v9, v9, v69, s13
	s_delay_alu instid0(VALU_DEP_3) | instskip(NEXT) | instid1(VALU_DEP_4)
	v_cndmask_b32_e64 v7, v7, v69, s13
	v_cndmask_b32_e64 v6, v6, v68, s13
	s_delay_alu instid0(VALU_DEP_3) | instskip(NEXT) | instid1(VALU_DEP_2)
	v_cmp_class_f64_e64 s14, v[8:9], 0x1f8
	v_cmp_neq_f64_e32 vcc_lo, v[8:9], v[6:7]
	s_delay_alu instid0(VALU_DEP_2) | instskip(NEXT) | instid1(SALU_CYCLE_1)
	s_or_b32 s14, vcc_lo, s14
	s_and_saveexec_b32 s16, s14
	s_cbranch_execz .LBB56_46
; %bb.45:
	v_add_f64 v[4:5], v[8:9], -v[6:7]
	s_mov_b32 s14, 0x652b82fe
	s_mov_b32 s15, 0x3ff71547
	;; [unrolled: 1-line block ×10, first 2 shown]
	s_delay_alu instid0(VALU_DEP_1) | instskip(SKIP_3) | instid1(VALU_DEP_2)
	v_mul_f64 v[8:9], v[4:5], s[14:15]
	s_mov_b32 s14, 0xfca7ab0c
	s_mov_b32 s15, 0x3e928af3
	v_cmp_nlt_f64_e32 vcc_lo, 0x40900000, v[4:5]
	v_rndne_f64_e32 v[8:9], v[8:9]
	s_delay_alu instid0(VALU_DEP_1) | instskip(SKIP_2) | instid1(VALU_DEP_2)
	v_fma_f64 v[32:33], v[8:9], s[18:19], v[4:5]
	v_cvt_i32_f64_e32 v129, v[8:9]
	s_mov_b32 s19, 0x3fe62e42
	v_fma_f64 v[32:33], v[8:9], s[20:21], v[32:33]
	s_mov_b32 s21, 0x3c7abc9e
	s_delay_alu instid0(VALU_DEP_1) | instskip(SKIP_4) | instid1(VALU_DEP_1)
	v_fma_f64 v[34:35], v[32:33], s[24:25], s[14:15]
	s_mov_b32 s14, 0x623fde64
	s_mov_b32 s15, 0x3ec71dee
	;; [unrolled: 1-line block ×4, first 2 shown]
	v_fma_f64 v[34:35], v[32:33], v[34:35], s[14:15]
	s_mov_b32 s14, 0x7c89e6b0
	s_mov_b32 s15, 0x3efa0199
	s_delay_alu instid0(VALU_DEP_1) | instid1(SALU_CYCLE_1)
	v_fma_f64 v[34:35], v[32:33], v[34:35], s[14:15]
	s_mov_b32 s14, 0x14761f6e
	s_mov_b32 s15, 0x3f2a01a0
	s_delay_alu instid0(VALU_DEP_1) | instid1(SALU_CYCLE_1)
	;; [unrolled: 4-line block ×7, first 2 shown]
	v_fma_f64 v[34:35], v[32:33], v[34:35], s[14:15]
	v_cmp_ngt_f64_e64 s14, 0xc090cc00, v[4:5]
	s_mov_b32 s15, 0x3fe55555
	s_delay_alu instid0(VALU_DEP_2) | instskip(NEXT) | instid1(VALU_DEP_1)
	v_fma_f64 v[34:35], v[32:33], v[34:35], 1.0
	v_fma_f64 v[8:9], v[32:33], v[34:35], 1.0
	s_delay_alu instid0(VALU_DEP_1) | instskip(NEXT) | instid1(VALU_DEP_1)
	v_ldexp_f64 v[8:9], v[8:9], v129
	v_cndmask_b32_e32 v9, 0x7ff00000, v9, vcc_lo
	s_and_b32 vcc_lo, s14, vcc_lo
	s_delay_alu instid0(VALU_DEP_1) | instskip(NEXT) | instid1(VALU_DEP_3)
	v_cndmask_b32_e64 v5, 0, v9, s14
	v_cndmask_b32_e32 v4, 0, v8, vcc_lo
	s_mov_b32 s14, 0x55555555
	s_delay_alu instid0(VALU_DEP_1) | instskip(NEXT) | instid1(VALU_DEP_1)
	v_add_f64 v[8:9], v[4:5], 1.0
	v_frexp_mant_f64_e32 v[32:33], v[8:9]
	v_frexp_exp_i32_f64_e32 v129, v[8:9]
	v_add_f64 v[34:35], v[8:9], -1.0
	s_delay_alu instid0(VALU_DEP_3) | instskip(SKIP_1) | instid1(VALU_DEP_2)
	v_cmp_gt_f64_e32 vcc_lo, s[14:15], v[32:33]
	s_mov_b32 s14, 0x55555780
	v_add_f64 v[32:33], v[34:35], -v[8:9]
	v_add_f64 v[34:35], v[4:5], -v[34:35]
	v_subrev_co_ci_u32_e32 v164, vcc_lo, 0, v129, vcc_lo
	s_delay_alu instid0(VALU_DEP_3) | instskip(SKIP_1) | instid1(VALU_DEP_3)
	v_add_f64 v[32:33], v[32:33], 1.0
	v_cmp_eq_f64_e32 vcc_lo, 0x7ff00000, v[4:5]
	v_sub_nc_u32_e32 v133, 0, v164
	s_delay_alu instid0(VALU_DEP_1) | instskip(NEXT) | instid1(VALU_DEP_4)
	v_ldexp_f64 v[8:9], v[8:9], v133
	v_add_f64 v[32:33], v[34:35], v[32:33]
	s_delay_alu instid0(VALU_DEP_2) | instskip(SKIP_1) | instid1(VALU_DEP_3)
	v_add_f64 v[129:130], v[8:9], 1.0
	v_add_f64 v[146:147], v[8:9], -1.0
	v_ldexp_f64 v[32:33], v[32:33], v133
	s_delay_alu instid0(VALU_DEP_3) | instskip(NEXT) | instid1(VALU_DEP_3)
	v_add_f64 v[34:35], v[129:130], -1.0
	v_add_f64 v[148:149], v[146:147], 1.0
	s_delay_alu instid0(VALU_DEP_2) | instskip(NEXT) | instid1(VALU_DEP_2)
	v_add_f64 v[34:35], v[8:9], -v[34:35]
	v_add_f64 v[8:9], v[8:9], -v[148:149]
	s_delay_alu instid0(VALU_DEP_2) | instskip(NEXT) | instid1(VALU_DEP_2)
	v_add_f64 v[34:35], v[32:33], v[34:35]
	v_add_f64 v[8:9], v[32:33], v[8:9]
	s_delay_alu instid0(VALU_DEP_2) | instskip(NEXT) | instid1(VALU_DEP_2)
	v_add_f64 v[133:134], v[129:130], v[34:35]
	v_add_f64 v[148:149], v[146:147], v[8:9]
	s_delay_alu instid0(VALU_DEP_2) | instskip(SKIP_1) | instid1(VALU_DEP_2)
	v_rcp_f64_e32 v[144:145], v[133:134]
	v_add_f64 v[129:130], v[133:134], -v[129:130]
	v_add_f64 v[146:147], v[148:149], -v[146:147]
	s_delay_alu instid0(VALU_DEP_2) | instskip(SKIP_3) | instid1(VALU_DEP_2)
	v_add_f64 v[34:35], v[34:35], -v[129:130]
	s_waitcnt_depctr 0xfff
	v_fma_f64 v[150:151], -v[133:134], v[144:145], 1.0
	v_add_f64 v[8:9], v[8:9], -v[146:147]
	v_fma_f64 v[144:145], v[150:151], v[144:145], v[144:145]
	s_delay_alu instid0(VALU_DEP_1) | instskip(NEXT) | instid1(VALU_DEP_1)
	v_fma_f64 v[32:33], -v[133:134], v[144:145], 1.0
	v_fma_f64 v[32:33], v[32:33], v[144:145], v[144:145]
	s_delay_alu instid0(VALU_DEP_1) | instskip(NEXT) | instid1(VALU_DEP_1)
	v_mul_f64 v[144:145], v[148:149], v[32:33]
	v_mul_f64 v[150:151], v[133:134], v[144:145]
	s_delay_alu instid0(VALU_DEP_1) | instskip(NEXT) | instid1(VALU_DEP_1)
	v_fma_f64 v[129:130], v[144:145], v[133:134], -v[150:151]
	v_fma_f64 v[129:130], v[144:145], v[34:35], v[129:130]
	s_delay_alu instid0(VALU_DEP_1) | instskip(NEXT) | instid1(VALU_DEP_1)
	v_add_f64 v[160:161], v[150:151], v[129:130]
	v_add_f64 v[162:163], v[148:149], -v[160:161]
	v_add_f64 v[146:147], v[160:161], -v[150:151]
	s_delay_alu instid0(VALU_DEP_2) | instskip(NEXT) | instid1(VALU_DEP_2)
	v_add_f64 v[148:149], v[148:149], -v[162:163]
	v_add_f64 v[129:130], v[146:147], -v[129:130]
	s_delay_alu instid0(VALU_DEP_2) | instskip(NEXT) | instid1(VALU_DEP_1)
	v_add_f64 v[148:149], v[148:149], -v[160:161]
	v_add_f64 v[8:9], v[8:9], v[148:149]
	s_delay_alu instid0(VALU_DEP_1) | instskip(NEXT) | instid1(VALU_DEP_1)
	v_add_f64 v[8:9], v[129:130], v[8:9]
	v_add_f64 v[129:130], v[162:163], v[8:9]
	s_delay_alu instid0(VALU_DEP_1) | instskip(SKIP_1) | instid1(VALU_DEP_2)
	v_mul_f64 v[146:147], v[32:33], v[129:130]
	v_add_f64 v[160:161], v[162:163], -v[129:130]
	v_mul_f64 v[148:149], v[133:134], v[146:147]
	s_delay_alu instid0(VALU_DEP_2) | instskip(NEXT) | instid1(VALU_DEP_2)
	v_add_f64 v[8:9], v[8:9], v[160:161]
	v_fma_f64 v[133:134], v[146:147], v[133:134], -v[148:149]
	s_delay_alu instid0(VALU_DEP_1) | instskip(NEXT) | instid1(VALU_DEP_1)
	v_fma_f64 v[34:35], v[146:147], v[34:35], v[133:134]
	v_add_f64 v[133:134], v[148:149], v[34:35]
	s_delay_alu instid0(VALU_DEP_1) | instskip(SKIP_1) | instid1(VALU_DEP_2)
	v_add_f64 v[150:151], v[129:130], -v[133:134]
	v_add_f64 v[148:149], v[133:134], -v[148:149]
	;; [unrolled: 1-line block ×3, first 2 shown]
	s_delay_alu instid0(VALU_DEP_2) | instskip(NEXT) | instid1(VALU_DEP_2)
	v_add_f64 v[34:35], v[148:149], -v[34:35]
	v_add_f64 v[129:130], v[129:130], -v[133:134]
	s_delay_alu instid0(VALU_DEP_1) | instskip(SKIP_1) | instid1(VALU_DEP_2)
	v_add_f64 v[8:9], v[8:9], v[129:130]
	v_add_f64 v[129:130], v[144:145], v[146:147]
	;; [unrolled: 1-line block ×3, first 2 shown]
	s_delay_alu instid0(VALU_DEP_2) | instskip(NEXT) | instid1(VALU_DEP_2)
	v_add_f64 v[34:35], v[129:130], -v[144:145]
	v_add_f64 v[8:9], v[150:151], v[8:9]
	s_delay_alu instid0(VALU_DEP_2) | instskip(NEXT) | instid1(VALU_DEP_2)
	v_add_f64 v[34:35], v[146:147], -v[34:35]
	v_mul_f64 v[8:9], v[32:33], v[8:9]
	s_delay_alu instid0(VALU_DEP_1) | instskip(NEXT) | instid1(VALU_DEP_1)
	v_add_f64 v[8:9], v[34:35], v[8:9]
	v_add_f64 v[32:33], v[129:130], v[8:9]
	s_delay_alu instid0(VALU_DEP_1) | instskip(NEXT) | instid1(VALU_DEP_1)
	v_mul_f64 v[34:35], v[32:33], v[32:33]
	v_fma_f64 v[133:134], v[34:35], s[26:27], s[24:25]
	s_mov_b32 s24, 0xd7f4df2e
	s_mov_b32 s25, 0x3fc7474d
	v_mul_f64 v[144:145], v[32:33], v[34:35]
	s_delay_alu instid0(VALU_DEP_2)
	v_fma_f64 v[133:134], v[34:35], v[133:134], s[24:25]
	s_mov_b32 s24, 0x16291751
	s_mov_b32 s25, 0x3fcc71c0
	s_delay_alu instid0(VALU_DEP_1) | instid1(SALU_CYCLE_1)
	v_fma_f64 v[133:134], v[34:35], v[133:134], s[24:25]
	s_mov_b32 s24, 0x9b27acf1
	s_mov_b32 s25, 0x3fd24924
	s_delay_alu instid0(VALU_DEP_1) | instid1(SALU_CYCLE_1)
	;; [unrolled: 4-line block ×3, first 2 shown]
	v_fma_f64 v[133:134], v[34:35], v[133:134], s[24:25]
	s_delay_alu instid0(VALU_DEP_1) | instskip(SKIP_2) | instid1(VALU_DEP_3)
	v_fma_f64 v[34:35], v[34:35], v[133:134], s[14:15]
	v_ldexp_f64 v[133:134], v[32:33], 1
	v_add_f64 v[32:33], v[32:33], -v[129:130]
	v_mul_f64 v[34:35], v[144:145], v[34:35]
	v_cvt_f64_i32_e32 v[144:145], v164
	s_delay_alu instid0(VALU_DEP_3) | instskip(NEXT) | instid1(VALU_DEP_3)
	v_add_f64 v[8:9], v[8:9], -v[32:33]
	v_add_f64 v[129:130], v[133:134], v[34:35]
	s_delay_alu instid0(VALU_DEP_3) | instskip(NEXT) | instid1(VALU_DEP_3)
	v_mul_f64 v[146:147], v[144:145], s[18:19]
	v_ldexp_f64 v[8:9], v[8:9], 1
	s_delay_alu instid0(VALU_DEP_3) | instskip(NEXT) | instid1(VALU_DEP_3)
	v_add_f64 v[32:33], v[129:130], -v[133:134]
	v_fma_f64 v[133:134], v[144:145], s[18:19], -v[146:147]
	s_delay_alu instid0(VALU_DEP_2) | instskip(NEXT) | instid1(VALU_DEP_2)
	v_add_f64 v[32:33], v[34:35], -v[32:33]
	v_fma_f64 v[34:35], v[144:145], s[20:21], v[133:134]
	s_delay_alu instid0(VALU_DEP_2) | instskip(NEXT) | instid1(VALU_DEP_2)
	v_add_f64 v[8:9], v[8:9], v[32:33]
	v_add_f64 v[32:33], v[146:147], v[34:35]
	s_delay_alu instid0(VALU_DEP_2) | instskip(NEXT) | instid1(VALU_DEP_2)
	v_add_f64 v[133:134], v[129:130], v[8:9]
	v_add_f64 v[146:147], v[32:33], -v[146:147]
	s_delay_alu instid0(VALU_DEP_2) | instskip(SKIP_1) | instid1(VALU_DEP_3)
	v_add_f64 v[144:145], v[32:33], v[133:134]
	v_add_f64 v[129:130], v[133:134], -v[129:130]
	v_add_f64 v[34:35], v[34:35], -v[146:147]
	s_delay_alu instid0(VALU_DEP_3) | instskip(NEXT) | instid1(VALU_DEP_3)
	v_add_f64 v[148:149], v[144:145], -v[32:33]
	v_add_f64 v[8:9], v[8:9], -v[129:130]
	s_delay_alu instid0(VALU_DEP_2) | instskip(SKIP_1) | instid1(VALU_DEP_3)
	v_add_f64 v[150:151], v[144:145], -v[148:149]
	v_add_f64 v[129:130], v[133:134], -v[148:149]
	v_add_f64 v[133:134], v[34:35], v[8:9]
	s_delay_alu instid0(VALU_DEP_3) | instskip(NEXT) | instid1(VALU_DEP_1)
	v_add_f64 v[32:33], v[32:33], -v[150:151]
	v_add_f64 v[32:33], v[129:130], v[32:33]
	s_delay_alu instid0(VALU_DEP_3) | instskip(NEXT) | instid1(VALU_DEP_2)
	v_add_f64 v[129:130], v[133:134], -v[34:35]
	v_add_f64 v[32:33], v[133:134], v[32:33]
	s_delay_alu instid0(VALU_DEP_2) | instskip(SKIP_1) | instid1(VALU_DEP_3)
	v_add_f64 v[133:134], v[133:134], -v[129:130]
	v_add_f64 v[8:9], v[8:9], -v[129:130]
	v_add_f64 v[146:147], v[144:145], v[32:33]
	s_delay_alu instid0(VALU_DEP_3) | instskip(NEXT) | instid1(VALU_DEP_2)
	v_add_f64 v[34:35], v[34:35], -v[133:134]
	v_add_f64 v[129:130], v[146:147], -v[144:145]
	s_delay_alu instid0(VALU_DEP_2) | instskip(NEXT) | instid1(VALU_DEP_2)
	v_add_f64 v[8:9], v[8:9], v[34:35]
	v_add_f64 v[32:33], v[32:33], -v[129:130]
	s_delay_alu instid0(VALU_DEP_1) | instskip(NEXT) | instid1(VALU_DEP_1)
	v_add_f64 v[8:9], v[8:9], v[32:33]
	v_add_f64 v[8:9], v[146:147], v[8:9]
	s_delay_alu instid0(VALU_DEP_1) | instskip(SKIP_1) | instid1(VALU_DEP_2)
	v_dual_cndmask_b32 v9, v9, v5 :: v_dual_cndmask_b32 v8, v8, v4
	v_cmp_ngt_f64_e32 vcc_lo, -1.0, v[4:5]
	v_cndmask_b32_e32 v9, 0x7ff80000, v9, vcc_lo
	v_cmp_nge_f64_e32 vcc_lo, -1.0, v[4:5]
	s_delay_alu instid0(VALU_DEP_4) | instskip(SKIP_1) | instid1(VALU_DEP_4)
	v_cndmask_b32_e32 v8, 0, v8, vcc_lo
	v_cmp_neq_f64_e32 vcc_lo, -1.0, v[4:5]
	v_cndmask_b32_e32 v9, 0xfff00000, v9, vcc_lo
	s_delay_alu instid0(VALU_DEP_1)
	v_add_f64 v[4:5], v[6:7], v[8:9]
.LBB56_46:
	s_or_b32 exec_lo, exec_lo, s16
	v_max_f64 v[32:33], v[70:71], v[70:71]
	s_delay_alu instid0(VALU_DEP_2) | instskip(SKIP_2) | instid1(VALU_DEP_3)
	v_max_f64 v[6:7], v[4:5], v[4:5]
	v_cmp_u_f64_e32 vcc_lo, v[4:5], v[4:5]
	v_cmp_u_f64_e64 s14, v[70:71], v[70:71]
	v_min_f64 v[8:9], v[6:7], v[32:33]
	v_max_f64 v[6:7], v[6:7], v[32:33]
	s_delay_alu instid0(VALU_DEP_2) | instskip(NEXT) | instid1(VALU_DEP_2)
	v_dual_cndmask_b32 v8, v8, v4 :: v_dual_cndmask_b32 v9, v9, v5
	v_dual_cndmask_b32 v7, v7, v5 :: v_dual_cndmask_b32 v6, v6, v4
	s_delay_alu instid0(VALU_DEP_2) | instskip(NEXT) | instid1(VALU_DEP_3)
	v_cndmask_b32_e64 v8, v8, v70, s14
	v_cndmask_b32_e64 v9, v9, v71, s14
	s_delay_alu instid0(VALU_DEP_3) | instskip(NEXT) | instid1(VALU_DEP_4)
	v_cndmask_b32_e64 v7, v7, v71, s14
	v_cndmask_b32_e64 v6, v6, v70, s14
	s_delay_alu instid0(VALU_DEP_3) | instskip(NEXT) | instid1(VALU_DEP_2)
	v_cmp_class_f64_e64 s15, v[8:9], 0x1f8
	v_cmp_neq_f64_e32 vcc_lo, v[8:9], v[6:7]
	s_delay_alu instid0(VALU_DEP_2) | instskip(NEXT) | instid1(SALU_CYCLE_1)
	s_or_b32 s15, vcc_lo, s15
	s_and_saveexec_b32 s16, s15
	s_cbranch_execz .LBB56_48
; %bb.47:
	v_add_f64 v[4:5], v[8:9], -v[6:7]
	s_mov_b32 s18, 0x652b82fe
	s_mov_b32 s19, 0x3ff71547
	;; [unrolled: 1-line block ×10, first 2 shown]
	s_delay_alu instid0(VALU_DEP_1) | instskip(SKIP_4) | instid1(VALU_DEP_3)
	v_mul_f64 v[8:9], v[4:5], s[18:19]
	s_mov_b32 s19, 0xbfe62e42
	s_mov_b32 s18, 0xfefa39ef
	v_cmp_nlt_f64_e32 vcc_lo, 0x40900000, v[4:5]
	v_cmp_ngt_f64_e64 s15, 0xc090cc00, v[4:5]
	v_rndne_f64_e32 v[8:9], v[8:9]
	s_delay_alu instid0(VALU_DEP_1) | instskip(SKIP_2) | instid1(VALU_DEP_2)
	v_fma_f64 v[34:35], v[8:9], s[18:19], v[4:5]
	v_cvt_i32_f64_e32 v133, v[8:9]
	s_mov_b32 s19, 0x3fe62e42
	v_fma_f64 v[34:35], v[8:9], s[20:21], v[34:35]
	s_mov_b32 s21, 0x3c7abc9e
	s_delay_alu instid0(VALU_DEP_1) | instskip(SKIP_4) | instid1(VALU_DEP_1)
	v_fma_f64 v[129:130], v[34:35], s[26:27], s[24:25]
	s_mov_b32 s24, 0x623fde64
	s_mov_b32 s25, 0x3ec71dee
	;; [unrolled: 1-line block ×4, first 2 shown]
	v_fma_f64 v[129:130], v[34:35], v[129:130], s[24:25]
	s_mov_b32 s24, 0x7c89e6b0
	s_mov_b32 s25, 0x3efa0199
	s_delay_alu instid0(VALU_DEP_1) | instid1(SALU_CYCLE_1)
	v_fma_f64 v[129:130], v[34:35], v[129:130], s[24:25]
	s_mov_b32 s24, 0x14761f6e
	s_mov_b32 s25, 0x3f2a01a0
	s_delay_alu instid0(VALU_DEP_1) | instid1(SALU_CYCLE_1)
	;; [unrolled: 4-line block ×7, first 2 shown]
	v_fma_f64 v[129:130], v[34:35], v[129:130], s[24:25]
	s_mov_b32 s25, 0x3fe55555
	s_mov_b32 s24, 0x55555555
	s_delay_alu instid0(VALU_DEP_1) | instskip(NEXT) | instid1(VALU_DEP_1)
	v_fma_f64 v[129:130], v[34:35], v[129:130], 1.0
	v_fma_f64 v[8:9], v[34:35], v[129:130], 1.0
	s_delay_alu instid0(VALU_DEP_1) | instskip(NEXT) | instid1(VALU_DEP_1)
	v_ldexp_f64 v[8:9], v[8:9], v133
	v_cndmask_b32_e32 v9, 0x7ff00000, v9, vcc_lo
	s_and_b32 vcc_lo, s15, vcc_lo
	s_delay_alu instid0(VALU_DEP_1) | instskip(NEXT) | instid1(VALU_DEP_3)
	v_cndmask_b32_e64 v5, 0, v9, s15
	v_cndmask_b32_e32 v4, 0, v8, vcc_lo
	s_delay_alu instid0(VALU_DEP_1) | instskip(NEXT) | instid1(VALU_DEP_1)
	v_add_f64 v[8:9], v[4:5], 1.0
	v_frexp_mant_f64_e32 v[34:35], v[8:9]
	v_frexp_exp_i32_f64_e32 v133, v[8:9]
	v_add_f64 v[129:130], v[8:9], -1.0
	s_delay_alu instid0(VALU_DEP_3) | instskip(SKIP_1) | instid1(VALU_DEP_2)
	v_cmp_gt_f64_e32 vcc_lo, s[24:25], v[34:35]
	s_mov_b32 s24, 0x55555780
	v_add_f64 v[34:35], v[129:130], -v[8:9]
	v_add_f64 v[129:130], v[4:5], -v[129:130]
	v_subrev_co_ci_u32_e32 v166, vcc_lo, 0, v133, vcc_lo
	s_delay_alu instid0(VALU_DEP_3) | instskip(SKIP_1) | instid1(VALU_DEP_3)
	v_add_f64 v[34:35], v[34:35], 1.0
	v_cmp_eq_f64_e32 vcc_lo, 0x7ff00000, v[4:5]
	v_sub_nc_u32_e32 v144, 0, v166
	s_delay_alu instid0(VALU_DEP_1) | instskip(NEXT) | instid1(VALU_DEP_4)
	v_ldexp_f64 v[8:9], v[8:9], v144
	v_add_f64 v[34:35], v[129:130], v[34:35]
	s_delay_alu instid0(VALU_DEP_2) | instskip(SKIP_1) | instid1(VALU_DEP_3)
	v_add_f64 v[133:134], v[8:9], 1.0
	v_add_f64 v[148:149], v[8:9], -1.0
	v_ldexp_f64 v[34:35], v[34:35], v144
	s_delay_alu instid0(VALU_DEP_3) | instskip(NEXT) | instid1(VALU_DEP_3)
	v_add_f64 v[129:130], v[133:134], -1.0
	v_add_f64 v[150:151], v[148:149], 1.0
	s_delay_alu instid0(VALU_DEP_2) | instskip(NEXT) | instid1(VALU_DEP_2)
	v_add_f64 v[129:130], v[8:9], -v[129:130]
	v_add_f64 v[8:9], v[8:9], -v[150:151]
	s_delay_alu instid0(VALU_DEP_2) | instskip(NEXT) | instid1(VALU_DEP_2)
	v_add_f64 v[129:130], v[34:35], v[129:130]
	v_add_f64 v[8:9], v[34:35], v[8:9]
	s_delay_alu instid0(VALU_DEP_2) | instskip(NEXT) | instid1(VALU_DEP_2)
	v_add_f64 v[144:145], v[133:134], v[129:130]
	v_add_f64 v[150:151], v[148:149], v[8:9]
	s_delay_alu instid0(VALU_DEP_2) | instskip(SKIP_1) | instid1(VALU_DEP_2)
	v_rcp_f64_e32 v[146:147], v[144:145]
	v_add_f64 v[133:134], v[144:145], -v[133:134]
	v_add_f64 v[148:149], v[150:151], -v[148:149]
	s_delay_alu instid0(VALU_DEP_2) | instskip(SKIP_3) | instid1(VALU_DEP_2)
	v_add_f64 v[129:130], v[129:130], -v[133:134]
	s_waitcnt_depctr 0xfff
	v_fma_f64 v[160:161], -v[144:145], v[146:147], 1.0
	v_add_f64 v[8:9], v[8:9], -v[148:149]
	v_fma_f64 v[146:147], v[160:161], v[146:147], v[146:147]
	s_delay_alu instid0(VALU_DEP_1) | instskip(NEXT) | instid1(VALU_DEP_1)
	v_fma_f64 v[34:35], -v[144:145], v[146:147], 1.0
	v_fma_f64 v[34:35], v[34:35], v[146:147], v[146:147]
	s_delay_alu instid0(VALU_DEP_1) | instskip(NEXT) | instid1(VALU_DEP_1)
	v_mul_f64 v[146:147], v[150:151], v[34:35]
	v_mul_f64 v[160:161], v[144:145], v[146:147]
	s_delay_alu instid0(VALU_DEP_1) | instskip(NEXT) | instid1(VALU_DEP_1)
	v_fma_f64 v[133:134], v[146:147], v[144:145], -v[160:161]
	v_fma_f64 v[133:134], v[146:147], v[129:130], v[133:134]
	s_delay_alu instid0(VALU_DEP_1) | instskip(NEXT) | instid1(VALU_DEP_1)
	v_add_f64 v[162:163], v[160:161], v[133:134]
	v_add_f64 v[164:165], v[150:151], -v[162:163]
	v_add_f64 v[148:149], v[162:163], -v[160:161]
	s_delay_alu instid0(VALU_DEP_2) | instskip(NEXT) | instid1(VALU_DEP_2)
	v_add_f64 v[150:151], v[150:151], -v[164:165]
	v_add_f64 v[133:134], v[148:149], -v[133:134]
	s_delay_alu instid0(VALU_DEP_2) | instskip(NEXT) | instid1(VALU_DEP_1)
	v_add_f64 v[150:151], v[150:151], -v[162:163]
	v_add_f64 v[8:9], v[8:9], v[150:151]
	s_delay_alu instid0(VALU_DEP_1) | instskip(NEXT) | instid1(VALU_DEP_1)
	v_add_f64 v[8:9], v[133:134], v[8:9]
	v_add_f64 v[133:134], v[164:165], v[8:9]
	s_delay_alu instid0(VALU_DEP_1) | instskip(SKIP_1) | instid1(VALU_DEP_2)
	v_mul_f64 v[148:149], v[34:35], v[133:134]
	v_add_f64 v[162:163], v[164:165], -v[133:134]
	v_mul_f64 v[150:151], v[144:145], v[148:149]
	s_delay_alu instid0(VALU_DEP_2) | instskip(NEXT) | instid1(VALU_DEP_2)
	v_add_f64 v[8:9], v[8:9], v[162:163]
	v_fma_f64 v[144:145], v[148:149], v[144:145], -v[150:151]
	s_delay_alu instid0(VALU_DEP_1) | instskip(NEXT) | instid1(VALU_DEP_1)
	v_fma_f64 v[129:130], v[148:149], v[129:130], v[144:145]
	v_add_f64 v[144:145], v[150:151], v[129:130]
	s_delay_alu instid0(VALU_DEP_1) | instskip(SKIP_1) | instid1(VALU_DEP_2)
	v_add_f64 v[160:161], v[133:134], -v[144:145]
	v_add_f64 v[150:151], v[144:145], -v[150:151]
	;; [unrolled: 1-line block ×3, first 2 shown]
	s_delay_alu instid0(VALU_DEP_2) | instskip(NEXT) | instid1(VALU_DEP_2)
	v_add_f64 v[129:130], v[150:151], -v[129:130]
	v_add_f64 v[133:134], v[133:134], -v[144:145]
	s_delay_alu instid0(VALU_DEP_1) | instskip(SKIP_1) | instid1(VALU_DEP_2)
	v_add_f64 v[8:9], v[8:9], v[133:134]
	v_add_f64 v[133:134], v[146:147], v[148:149]
	;; [unrolled: 1-line block ×3, first 2 shown]
	s_delay_alu instid0(VALU_DEP_2) | instskip(NEXT) | instid1(VALU_DEP_2)
	v_add_f64 v[129:130], v[133:134], -v[146:147]
	v_add_f64 v[8:9], v[160:161], v[8:9]
	s_delay_alu instid0(VALU_DEP_2) | instskip(NEXT) | instid1(VALU_DEP_2)
	v_add_f64 v[129:130], v[148:149], -v[129:130]
	v_mul_f64 v[8:9], v[34:35], v[8:9]
	s_delay_alu instid0(VALU_DEP_1) | instskip(NEXT) | instid1(VALU_DEP_1)
	v_add_f64 v[8:9], v[129:130], v[8:9]
	v_add_f64 v[34:35], v[133:134], v[8:9]
	s_delay_alu instid0(VALU_DEP_1) | instskip(NEXT) | instid1(VALU_DEP_1)
	v_mul_f64 v[129:130], v[34:35], v[34:35]
	v_fma_f64 v[144:145], v[129:130], s[28:29], s[26:27]
	s_mov_b32 s26, 0xd7f4df2e
	s_mov_b32 s27, 0x3fc7474d
	v_mul_f64 v[146:147], v[34:35], v[129:130]
	s_delay_alu instid0(VALU_DEP_2)
	v_fma_f64 v[144:145], v[129:130], v[144:145], s[26:27]
	s_mov_b32 s26, 0x16291751
	s_mov_b32 s27, 0x3fcc71c0
	s_delay_alu instid0(VALU_DEP_1) | instid1(SALU_CYCLE_1)
	v_fma_f64 v[144:145], v[129:130], v[144:145], s[26:27]
	s_mov_b32 s26, 0x9b27acf1
	s_mov_b32 s27, 0x3fd24924
	s_delay_alu instid0(VALU_DEP_1) | instid1(SALU_CYCLE_1)
	;; [unrolled: 4-line block ×3, first 2 shown]
	v_fma_f64 v[144:145], v[129:130], v[144:145], s[26:27]
	s_delay_alu instid0(VALU_DEP_1) | instskip(SKIP_2) | instid1(VALU_DEP_3)
	v_fma_f64 v[129:130], v[129:130], v[144:145], s[24:25]
	v_ldexp_f64 v[144:145], v[34:35], 1
	v_add_f64 v[34:35], v[34:35], -v[133:134]
	v_mul_f64 v[129:130], v[146:147], v[129:130]
	v_cvt_f64_i32_e32 v[146:147], v166
	s_delay_alu instid0(VALU_DEP_3) | instskip(NEXT) | instid1(VALU_DEP_3)
	v_add_f64 v[8:9], v[8:9], -v[34:35]
	v_add_f64 v[133:134], v[144:145], v[129:130]
	s_delay_alu instid0(VALU_DEP_3) | instskip(NEXT) | instid1(VALU_DEP_3)
	v_mul_f64 v[148:149], v[146:147], s[18:19]
	v_ldexp_f64 v[8:9], v[8:9], 1
	s_delay_alu instid0(VALU_DEP_3) | instskip(NEXT) | instid1(VALU_DEP_3)
	v_add_f64 v[34:35], v[133:134], -v[144:145]
	v_fma_f64 v[144:145], v[146:147], s[18:19], -v[148:149]
	s_delay_alu instid0(VALU_DEP_2) | instskip(NEXT) | instid1(VALU_DEP_2)
	v_add_f64 v[34:35], v[129:130], -v[34:35]
	v_fma_f64 v[129:130], v[146:147], s[20:21], v[144:145]
	s_delay_alu instid0(VALU_DEP_2) | instskip(NEXT) | instid1(VALU_DEP_2)
	v_add_f64 v[8:9], v[8:9], v[34:35]
	v_add_f64 v[34:35], v[148:149], v[129:130]
	s_delay_alu instid0(VALU_DEP_2) | instskip(NEXT) | instid1(VALU_DEP_2)
	v_add_f64 v[144:145], v[133:134], v[8:9]
	v_add_f64 v[148:149], v[34:35], -v[148:149]
	s_delay_alu instid0(VALU_DEP_2) | instskip(SKIP_1) | instid1(VALU_DEP_3)
	v_add_f64 v[146:147], v[34:35], v[144:145]
	v_add_f64 v[133:134], v[144:145], -v[133:134]
	v_add_f64 v[129:130], v[129:130], -v[148:149]
	s_delay_alu instid0(VALU_DEP_3) | instskip(NEXT) | instid1(VALU_DEP_3)
	v_add_f64 v[150:151], v[146:147], -v[34:35]
	v_add_f64 v[8:9], v[8:9], -v[133:134]
	s_delay_alu instid0(VALU_DEP_2) | instskip(SKIP_1) | instid1(VALU_DEP_3)
	v_add_f64 v[160:161], v[146:147], -v[150:151]
	v_add_f64 v[133:134], v[144:145], -v[150:151]
	v_add_f64 v[144:145], v[129:130], v[8:9]
	s_delay_alu instid0(VALU_DEP_3) | instskip(NEXT) | instid1(VALU_DEP_1)
	v_add_f64 v[34:35], v[34:35], -v[160:161]
	v_add_f64 v[34:35], v[133:134], v[34:35]
	s_delay_alu instid0(VALU_DEP_3) | instskip(NEXT) | instid1(VALU_DEP_2)
	v_add_f64 v[133:134], v[144:145], -v[129:130]
	v_add_f64 v[34:35], v[144:145], v[34:35]
	s_delay_alu instid0(VALU_DEP_2) | instskip(SKIP_1) | instid1(VALU_DEP_3)
	v_add_f64 v[144:145], v[144:145], -v[133:134]
	v_add_f64 v[8:9], v[8:9], -v[133:134]
	v_add_f64 v[148:149], v[146:147], v[34:35]
	s_delay_alu instid0(VALU_DEP_3) | instskip(NEXT) | instid1(VALU_DEP_2)
	v_add_f64 v[129:130], v[129:130], -v[144:145]
	v_add_f64 v[133:134], v[148:149], -v[146:147]
	s_delay_alu instid0(VALU_DEP_2) | instskip(NEXT) | instid1(VALU_DEP_2)
	v_add_f64 v[8:9], v[8:9], v[129:130]
	v_add_f64 v[34:35], v[34:35], -v[133:134]
	s_delay_alu instid0(VALU_DEP_1) | instskip(NEXT) | instid1(VALU_DEP_1)
	v_add_f64 v[8:9], v[8:9], v[34:35]
	v_add_f64 v[8:9], v[148:149], v[8:9]
	s_delay_alu instid0(VALU_DEP_1) | instskip(SKIP_1) | instid1(VALU_DEP_2)
	v_dual_cndmask_b32 v9, v9, v5 :: v_dual_cndmask_b32 v8, v8, v4
	v_cmp_ngt_f64_e32 vcc_lo, -1.0, v[4:5]
	v_cndmask_b32_e32 v9, 0x7ff80000, v9, vcc_lo
	v_cmp_nge_f64_e32 vcc_lo, -1.0, v[4:5]
	s_delay_alu instid0(VALU_DEP_4) | instskip(SKIP_1) | instid1(VALU_DEP_4)
	v_cndmask_b32_e32 v8, 0, v8, vcc_lo
	v_cmp_neq_f64_e32 vcc_lo, -1.0, v[4:5]
	v_cndmask_b32_e32 v9, 0xfff00000, v9, vcc_lo
	s_delay_alu instid0(VALU_DEP_1)
	v_add_f64 v[4:5], v[6:7], v[8:9]
.LBB56_48:
	s_or_b32 exec_lo, exec_lo, s16
	v_max_f64 v[34:35], v[64:65], v[64:65]
	s_delay_alu instid0(VALU_DEP_2) | instskip(SKIP_2) | instid1(VALU_DEP_3)
	v_max_f64 v[6:7], v[4:5], v[4:5]
	v_cmp_u_f64_e32 vcc_lo, v[4:5], v[4:5]
	v_cmp_u_f64_e64 s15, v[64:65], v[64:65]
	v_min_f64 v[8:9], v[6:7], v[34:35]
	v_max_f64 v[6:7], v[6:7], v[34:35]
	s_delay_alu instid0(VALU_DEP_2) | instskip(NEXT) | instid1(VALU_DEP_2)
	v_dual_cndmask_b32 v8, v8, v4 :: v_dual_cndmask_b32 v9, v9, v5
	v_dual_cndmask_b32 v7, v7, v5 :: v_dual_cndmask_b32 v6, v6, v4
	s_delay_alu instid0(VALU_DEP_2) | instskip(NEXT) | instid1(VALU_DEP_3)
	v_cndmask_b32_e64 v8, v8, v64, s15
	v_cndmask_b32_e64 v9, v9, v65, s15
	s_delay_alu instid0(VALU_DEP_3) | instskip(NEXT) | instid1(VALU_DEP_4)
	v_cndmask_b32_e64 v7, v7, v65, s15
	v_cndmask_b32_e64 v6, v6, v64, s15
	s_delay_alu instid0(VALU_DEP_3) | instskip(NEXT) | instid1(VALU_DEP_2)
	v_cmp_class_f64_e64 s16, v[8:9], 0x1f8
	v_cmp_neq_f64_e32 vcc_lo, v[8:9], v[6:7]
	s_delay_alu instid0(VALU_DEP_2) | instskip(NEXT) | instid1(SALU_CYCLE_1)
	s_or_b32 s16, vcc_lo, s16
	s_and_saveexec_b32 s26, s16
	s_cbranch_execz .LBB56_50
; %bb.49:
	v_add_f64 v[4:5], v[8:9], -v[6:7]
	s_mov_b32 s18, 0x652b82fe
	s_mov_b32 s19, 0x3ff71547
	s_mov_b32 s21, 0xbc7abc9e
	s_mov_b32 s20, 0x3b39803f
	s_mov_b32 s24, 0xfca7ab0c
	s_mov_b32 s28, 0x6a5dcb37
	s_mov_b32 s25, 0x3e928af3
	s_mov_b32 s29, 0x3e5ade15
	s_delay_alu instid0(VALU_DEP_1) | instskip(SKIP_4) | instid1(VALU_DEP_3)
	v_mul_f64 v[8:9], v[4:5], s[18:19]
	s_mov_b32 s19, 0xbfe62e42
	s_mov_b32 s18, 0xfefa39ef
	v_cmp_nlt_f64_e32 vcc_lo, 0x40900000, v[4:5]
	v_cmp_ngt_f64_e64 s16, 0xc090cc00, v[4:5]
	v_rndne_f64_e32 v[8:9], v[8:9]
	s_delay_alu instid0(VALU_DEP_1) | instskip(SKIP_2) | instid1(VALU_DEP_2)
	v_fma_f64 v[129:130], v[8:9], s[18:19], v[4:5]
	v_cvt_i32_f64_e32 v144, v[8:9]
	s_mov_b32 s19, 0x3fe62e42
	v_fma_f64 v[129:130], v[8:9], s[20:21], v[129:130]
	s_mov_b32 s21, 0x3c7abc9e
	s_delay_alu instid0(VALU_DEP_1) | instskip(SKIP_4) | instid1(VALU_DEP_1)
	v_fma_f64 v[133:134], v[129:130], s[28:29], s[24:25]
	s_mov_b32 s24, 0x623fde64
	s_mov_b32 s25, 0x3ec71dee
	;; [unrolled: 1-line block ×4, first 2 shown]
	v_fma_f64 v[133:134], v[129:130], v[133:134], s[24:25]
	s_mov_b32 s24, 0x7c89e6b0
	s_mov_b32 s25, 0x3efa0199
	s_delay_alu instid0(VALU_DEP_1) | instid1(SALU_CYCLE_1)
	v_fma_f64 v[133:134], v[129:130], v[133:134], s[24:25]
	s_mov_b32 s24, 0x14761f6e
	s_mov_b32 s25, 0x3f2a01a0
	s_delay_alu instid0(VALU_DEP_1) | instid1(SALU_CYCLE_1)
	;; [unrolled: 4-line block ×7, first 2 shown]
	v_fma_f64 v[133:134], v[129:130], v[133:134], s[24:25]
	s_mov_b32 s25, 0x3fe55555
	s_mov_b32 s24, 0x55555555
	s_delay_alu instid0(VALU_DEP_1) | instskip(NEXT) | instid1(VALU_DEP_1)
	v_fma_f64 v[133:134], v[129:130], v[133:134], 1.0
	v_fma_f64 v[8:9], v[129:130], v[133:134], 1.0
	s_delay_alu instid0(VALU_DEP_1) | instskip(NEXT) | instid1(VALU_DEP_1)
	v_ldexp_f64 v[8:9], v[8:9], v144
	v_cndmask_b32_e32 v9, 0x7ff00000, v9, vcc_lo
	s_and_b32 vcc_lo, s16, vcc_lo
	s_delay_alu instid0(VALU_DEP_1) | instskip(NEXT) | instid1(VALU_DEP_3)
	v_cndmask_b32_e64 v5, 0, v9, s16
	v_cndmask_b32_e32 v4, 0, v8, vcc_lo
	s_delay_alu instid0(VALU_DEP_1) | instskip(NEXT) | instid1(VALU_DEP_1)
	v_add_f64 v[8:9], v[4:5], 1.0
	v_frexp_mant_f64_e32 v[129:130], v[8:9]
	v_frexp_exp_i32_f64_e32 v144, v[8:9]
	v_add_f64 v[133:134], v[8:9], -1.0
	s_delay_alu instid0(VALU_DEP_3) | instskip(SKIP_1) | instid1(VALU_DEP_2)
	v_cmp_gt_f64_e32 vcc_lo, s[24:25], v[129:130]
	s_mov_b32 s24, 0x55555780
	v_add_f64 v[129:130], v[133:134], -v[8:9]
	v_add_f64 v[133:134], v[4:5], -v[133:134]
	v_subrev_co_ci_u32_e32 v166, vcc_lo, 0, v144, vcc_lo
	s_delay_alu instid0(VALU_DEP_3) | instskip(SKIP_2) | instid1(VALU_DEP_2)
	v_add_f64 v[129:130], v[129:130], 1.0
	s_mov_b32 vcc_lo, 0xbf559e2b
	s_mov_b32 vcc_hi, 0x3fc3ab76
	v_sub_nc_u32_e32 v146, 0, v166
	s_delay_alu instid0(VALU_DEP_1) | instskip(NEXT) | instid1(VALU_DEP_3)
	v_ldexp_f64 v[8:9], v[8:9], v146
	v_add_f64 v[129:130], v[133:134], v[129:130]
	s_delay_alu instid0(VALU_DEP_2) | instskip(SKIP_1) | instid1(VALU_DEP_3)
	v_add_f64 v[144:145], v[8:9], 1.0
	v_add_f64 v[150:151], v[8:9], -1.0
	v_ldexp_f64 v[129:130], v[129:130], v146
	s_delay_alu instid0(VALU_DEP_3) | instskip(NEXT) | instid1(VALU_DEP_3)
	v_add_f64 v[133:134], v[144:145], -1.0
	v_add_f64 v[160:161], v[150:151], 1.0
	s_delay_alu instid0(VALU_DEP_2) | instskip(NEXT) | instid1(VALU_DEP_2)
	v_add_f64 v[133:134], v[8:9], -v[133:134]
	v_add_f64 v[8:9], v[8:9], -v[160:161]
	s_delay_alu instid0(VALU_DEP_2) | instskip(NEXT) | instid1(VALU_DEP_2)
	v_add_f64 v[133:134], v[129:130], v[133:134]
	v_add_f64 v[8:9], v[129:130], v[8:9]
	s_delay_alu instid0(VALU_DEP_2) | instskip(NEXT) | instid1(VALU_DEP_2)
	v_add_f64 v[146:147], v[144:145], v[133:134]
	v_add_f64 v[160:161], v[150:151], v[8:9]
	s_delay_alu instid0(VALU_DEP_2) | instskip(SKIP_1) | instid1(VALU_DEP_2)
	v_rcp_f64_e32 v[148:149], v[146:147]
	v_add_f64 v[144:145], v[146:147], -v[144:145]
	v_add_f64 v[150:151], v[160:161], -v[150:151]
	s_delay_alu instid0(VALU_DEP_2) | instskip(SKIP_3) | instid1(VALU_DEP_2)
	v_add_f64 v[133:134], v[133:134], -v[144:145]
	s_waitcnt_depctr 0xfff
	v_fma_f64 v[162:163], -v[146:147], v[148:149], 1.0
	v_add_f64 v[8:9], v[8:9], -v[150:151]
	v_fma_f64 v[148:149], v[162:163], v[148:149], v[148:149]
	s_delay_alu instid0(VALU_DEP_1) | instskip(NEXT) | instid1(VALU_DEP_1)
	v_fma_f64 v[129:130], -v[146:147], v[148:149], 1.0
	v_fma_f64 v[129:130], v[129:130], v[148:149], v[148:149]
	s_delay_alu instid0(VALU_DEP_1) | instskip(NEXT) | instid1(VALU_DEP_1)
	v_mul_f64 v[148:149], v[160:161], v[129:130]
	v_mul_f64 v[162:163], v[146:147], v[148:149]
	s_delay_alu instid0(VALU_DEP_1) | instskip(NEXT) | instid1(VALU_DEP_1)
	v_fma_f64 v[144:145], v[148:149], v[146:147], -v[162:163]
	v_fma_f64 v[144:145], v[148:149], v[133:134], v[144:145]
	s_delay_alu instid0(VALU_DEP_1) | instskip(NEXT) | instid1(VALU_DEP_1)
	v_add_f64 v[164:165], v[162:163], v[144:145]
	v_add_f64 v[209:210], v[160:161], -v[164:165]
	v_add_f64 v[150:151], v[164:165], -v[162:163]
	s_delay_alu instid0(VALU_DEP_2) | instskip(NEXT) | instid1(VALU_DEP_2)
	v_add_f64 v[160:161], v[160:161], -v[209:210]
	v_add_f64 v[144:145], v[150:151], -v[144:145]
	s_delay_alu instid0(VALU_DEP_2) | instskip(NEXT) | instid1(VALU_DEP_1)
	v_add_f64 v[160:161], v[160:161], -v[164:165]
	v_add_f64 v[8:9], v[8:9], v[160:161]
	s_delay_alu instid0(VALU_DEP_1) | instskip(NEXT) | instid1(VALU_DEP_1)
	v_add_f64 v[8:9], v[144:145], v[8:9]
	v_add_f64 v[144:145], v[209:210], v[8:9]
	s_delay_alu instid0(VALU_DEP_1) | instskip(SKIP_1) | instid1(VALU_DEP_2)
	v_mul_f64 v[150:151], v[129:130], v[144:145]
	v_add_f64 v[164:165], v[209:210], -v[144:145]
	v_mul_f64 v[160:161], v[146:147], v[150:151]
	s_delay_alu instid0(VALU_DEP_2) | instskip(NEXT) | instid1(VALU_DEP_2)
	v_add_f64 v[8:9], v[8:9], v[164:165]
	v_fma_f64 v[146:147], v[150:151], v[146:147], -v[160:161]
	s_delay_alu instid0(VALU_DEP_1) | instskip(NEXT) | instid1(VALU_DEP_1)
	v_fma_f64 v[133:134], v[150:151], v[133:134], v[146:147]
	v_add_f64 v[146:147], v[160:161], v[133:134]
	s_delay_alu instid0(VALU_DEP_1) | instskip(SKIP_1) | instid1(VALU_DEP_2)
	v_add_f64 v[162:163], v[144:145], -v[146:147]
	v_add_f64 v[160:161], v[146:147], -v[160:161]
	;; [unrolled: 1-line block ×3, first 2 shown]
	s_delay_alu instid0(VALU_DEP_2) | instskip(NEXT) | instid1(VALU_DEP_2)
	v_add_f64 v[133:134], v[160:161], -v[133:134]
	v_add_f64 v[144:145], v[144:145], -v[146:147]
	s_delay_alu instid0(VALU_DEP_1) | instskip(SKIP_1) | instid1(VALU_DEP_2)
	v_add_f64 v[8:9], v[8:9], v[144:145]
	v_add_f64 v[144:145], v[148:149], v[150:151]
	;; [unrolled: 1-line block ×3, first 2 shown]
	s_delay_alu instid0(VALU_DEP_2) | instskip(NEXT) | instid1(VALU_DEP_2)
	v_add_f64 v[133:134], v[144:145], -v[148:149]
	v_add_f64 v[8:9], v[162:163], v[8:9]
	s_delay_alu instid0(VALU_DEP_2) | instskip(NEXT) | instid1(VALU_DEP_2)
	v_add_f64 v[133:134], v[150:151], -v[133:134]
	v_mul_f64 v[8:9], v[129:130], v[8:9]
	s_delay_alu instid0(VALU_DEP_1) | instskip(NEXT) | instid1(VALU_DEP_1)
	v_add_f64 v[8:9], v[133:134], v[8:9]
	v_add_f64 v[129:130], v[144:145], v[8:9]
	s_delay_alu instid0(VALU_DEP_1) | instskip(NEXT) | instid1(VALU_DEP_1)
	v_mul_f64 v[133:134], v[129:130], v[129:130]
	v_fma_f64 v[146:147], v[133:134], vcc, s[28:29]
	s_mov_b32 s28, 0xd7f4df2e
	s_mov_b32 s29, 0x3fc7474d
	v_mul_f64 v[148:149], v[129:130], v[133:134]
	v_cmp_eq_f64_e32 vcc_lo, 0x7ff00000, v[4:5]
	s_delay_alu instid0(VALU_DEP_3)
	v_fma_f64 v[146:147], v[133:134], v[146:147], s[28:29]
	s_mov_b32 s28, 0x16291751
	s_mov_b32 s29, 0x3fcc71c0
	s_delay_alu instid0(VALU_DEP_1) | instid1(SALU_CYCLE_1)
	v_fma_f64 v[146:147], v[133:134], v[146:147], s[28:29]
	s_mov_b32 s28, 0x9b27acf1
	s_mov_b32 s29, 0x3fd24924
	s_delay_alu instid0(VALU_DEP_1) | instid1(SALU_CYCLE_1)
	;; [unrolled: 4-line block ×3, first 2 shown]
	v_fma_f64 v[146:147], v[133:134], v[146:147], s[28:29]
	s_delay_alu instid0(VALU_DEP_1) | instskip(SKIP_2) | instid1(VALU_DEP_3)
	v_fma_f64 v[133:134], v[133:134], v[146:147], s[24:25]
	v_ldexp_f64 v[146:147], v[129:130], 1
	v_add_f64 v[129:130], v[129:130], -v[144:145]
	v_mul_f64 v[133:134], v[148:149], v[133:134]
	v_cvt_f64_i32_e32 v[148:149], v166
	s_delay_alu instid0(VALU_DEP_3) | instskip(NEXT) | instid1(VALU_DEP_3)
	v_add_f64 v[8:9], v[8:9], -v[129:130]
	v_add_f64 v[144:145], v[146:147], v[133:134]
	s_delay_alu instid0(VALU_DEP_3) | instskip(NEXT) | instid1(VALU_DEP_3)
	v_mul_f64 v[150:151], v[148:149], s[18:19]
	v_ldexp_f64 v[8:9], v[8:9], 1
	s_delay_alu instid0(VALU_DEP_3) | instskip(NEXT) | instid1(VALU_DEP_3)
	v_add_f64 v[129:130], v[144:145], -v[146:147]
	v_fma_f64 v[146:147], v[148:149], s[18:19], -v[150:151]
	s_delay_alu instid0(VALU_DEP_2) | instskip(NEXT) | instid1(VALU_DEP_2)
	v_add_f64 v[129:130], v[133:134], -v[129:130]
	v_fma_f64 v[133:134], v[148:149], s[20:21], v[146:147]
	s_delay_alu instid0(VALU_DEP_2) | instskip(NEXT) | instid1(VALU_DEP_2)
	v_add_f64 v[8:9], v[8:9], v[129:130]
	v_add_f64 v[129:130], v[150:151], v[133:134]
	s_delay_alu instid0(VALU_DEP_2) | instskip(NEXT) | instid1(VALU_DEP_2)
	v_add_f64 v[146:147], v[144:145], v[8:9]
	v_add_f64 v[150:151], v[129:130], -v[150:151]
	s_delay_alu instid0(VALU_DEP_2) | instskip(SKIP_1) | instid1(VALU_DEP_3)
	v_add_f64 v[148:149], v[129:130], v[146:147]
	v_add_f64 v[144:145], v[146:147], -v[144:145]
	v_add_f64 v[133:134], v[133:134], -v[150:151]
	s_delay_alu instid0(VALU_DEP_3) | instskip(NEXT) | instid1(VALU_DEP_3)
	v_add_f64 v[160:161], v[148:149], -v[129:130]
	v_add_f64 v[8:9], v[8:9], -v[144:145]
	s_delay_alu instid0(VALU_DEP_2) | instskip(SKIP_1) | instid1(VALU_DEP_3)
	v_add_f64 v[162:163], v[148:149], -v[160:161]
	v_add_f64 v[144:145], v[146:147], -v[160:161]
	v_add_f64 v[146:147], v[133:134], v[8:9]
	s_delay_alu instid0(VALU_DEP_3) | instskip(NEXT) | instid1(VALU_DEP_1)
	v_add_f64 v[129:130], v[129:130], -v[162:163]
	v_add_f64 v[129:130], v[144:145], v[129:130]
	s_delay_alu instid0(VALU_DEP_3) | instskip(NEXT) | instid1(VALU_DEP_2)
	v_add_f64 v[144:145], v[146:147], -v[133:134]
	v_add_f64 v[129:130], v[146:147], v[129:130]
	s_delay_alu instid0(VALU_DEP_2) | instskip(SKIP_1) | instid1(VALU_DEP_3)
	v_add_f64 v[146:147], v[146:147], -v[144:145]
	v_add_f64 v[8:9], v[8:9], -v[144:145]
	v_add_f64 v[150:151], v[148:149], v[129:130]
	s_delay_alu instid0(VALU_DEP_3) | instskip(NEXT) | instid1(VALU_DEP_2)
	v_add_f64 v[133:134], v[133:134], -v[146:147]
	v_add_f64 v[144:145], v[150:151], -v[148:149]
	s_delay_alu instid0(VALU_DEP_2) | instskip(NEXT) | instid1(VALU_DEP_2)
	v_add_f64 v[8:9], v[8:9], v[133:134]
	v_add_f64 v[129:130], v[129:130], -v[144:145]
	s_delay_alu instid0(VALU_DEP_1) | instskip(NEXT) | instid1(VALU_DEP_1)
	v_add_f64 v[8:9], v[8:9], v[129:130]
	v_add_f64 v[8:9], v[150:151], v[8:9]
	s_delay_alu instid0(VALU_DEP_1) | instskip(SKIP_1) | instid1(VALU_DEP_2)
	v_dual_cndmask_b32 v9, v9, v5 :: v_dual_cndmask_b32 v8, v8, v4
	v_cmp_ngt_f64_e32 vcc_lo, -1.0, v[4:5]
	v_cndmask_b32_e32 v9, 0x7ff80000, v9, vcc_lo
	v_cmp_nge_f64_e32 vcc_lo, -1.0, v[4:5]
	s_delay_alu instid0(VALU_DEP_4) | instskip(SKIP_1) | instid1(VALU_DEP_4)
	v_cndmask_b32_e32 v8, 0, v8, vcc_lo
	v_cmp_neq_f64_e32 vcc_lo, -1.0, v[4:5]
	v_cndmask_b32_e32 v9, 0xfff00000, v9, vcc_lo
	s_delay_alu instid0(VALU_DEP_1)
	v_add_f64 v[4:5], v[6:7], v[8:9]
.LBB56_50:
	s_or_b32 exec_lo, exec_lo, s26
	v_max_f64 v[129:130], v[66:67], v[66:67]
	s_delay_alu instid0(VALU_DEP_2) | instskip(SKIP_2) | instid1(VALU_DEP_3)
	v_max_f64 v[6:7], v[4:5], v[4:5]
	v_cmp_u_f64_e32 vcc_lo, v[4:5], v[4:5]
	v_cmp_u_f64_e64 s16, v[66:67], v[66:67]
	v_min_f64 v[8:9], v[6:7], v[129:130]
	v_max_f64 v[6:7], v[6:7], v[129:130]
	s_delay_alu instid0(VALU_DEP_2) | instskip(NEXT) | instid1(VALU_DEP_2)
	v_dual_cndmask_b32 v8, v8, v4 :: v_dual_cndmask_b32 v9, v9, v5
	v_dual_cndmask_b32 v7, v7, v5 :: v_dual_cndmask_b32 v6, v6, v4
	s_delay_alu instid0(VALU_DEP_2) | instskip(NEXT) | instid1(VALU_DEP_3)
	v_cndmask_b32_e64 v8, v8, v66, s16
	v_cndmask_b32_e64 v9, v9, v67, s16
	s_delay_alu instid0(VALU_DEP_3) | instskip(NEXT) | instid1(VALU_DEP_4)
	v_cndmask_b32_e64 v7, v7, v67, s16
	v_cndmask_b32_e64 v6, v6, v66, s16
	s_delay_alu instid0(VALU_DEP_3) | instskip(NEXT) | instid1(VALU_DEP_2)
	v_cmp_class_f64_e64 s18, v[8:9], 0x1f8
	v_cmp_neq_f64_e32 vcc_lo, v[8:9], v[6:7]
	s_delay_alu instid0(VALU_DEP_2) | instskip(NEXT) | instid1(SALU_CYCLE_1)
	s_or_b32 s18, vcc_lo, s18
	s_and_saveexec_b32 s26, s18
	s_cbranch_execz .LBB56_52
; %bb.51:
	v_add_f64 v[4:5], v[8:9], -v[6:7]
	s_mov_b32 s18, 0x652b82fe
	s_mov_b32 s19, 0x3ff71547
	;; [unrolled: 1-line block ×8, first 2 shown]
	s_delay_alu instid0(VALU_DEP_1) | instskip(SKIP_3) | instid1(VALU_DEP_2)
	v_mul_f64 v[8:9], v[4:5], s[18:19]
	s_mov_b32 s18, 0xfca7ab0c
	s_mov_b32 s19, 0x3e928af3
	v_cmp_nlt_f64_e32 vcc_lo, 0x40900000, v[4:5]
	v_rndne_f64_e32 v[8:9], v[8:9]
	s_delay_alu instid0(VALU_DEP_1) | instskip(SKIP_2) | instid1(VALU_DEP_2)
	v_fma_f64 v[133:134], v[8:9], s[20:21], v[4:5]
	v_cvt_i32_f64_e32 v146, v[8:9]
	s_mov_b32 s21, 0x3fe62e42
	v_fma_f64 v[133:134], v[8:9], s[24:25], v[133:134]
	s_mov_b32 s25, 0x3c7abc9e
	s_delay_alu instid0(VALU_DEP_1) | instskip(SKIP_4) | instid1(VALU_DEP_1)
	v_fma_f64 v[144:145], v[133:134], s[28:29], s[18:19]
	s_mov_b32 s18, 0x623fde64
	s_mov_b32 s19, 0x3ec71dee
	;; [unrolled: 1-line block ×4, first 2 shown]
	v_fma_f64 v[144:145], v[133:134], v[144:145], s[18:19]
	s_mov_b32 s18, 0x7c89e6b0
	s_mov_b32 s19, 0x3efa0199
	s_delay_alu instid0(VALU_DEP_1) | instid1(SALU_CYCLE_1)
	v_fma_f64 v[144:145], v[133:134], v[144:145], s[18:19]
	s_mov_b32 s18, 0x14761f6e
	s_mov_b32 s19, 0x3f2a01a0
	s_delay_alu instid0(VALU_DEP_1) | instid1(SALU_CYCLE_1)
	;; [unrolled: 4-line block ×7, first 2 shown]
	v_fma_f64 v[144:145], v[133:134], v[144:145], s[18:19]
	v_cmp_ngt_f64_e64 s18, 0xc090cc00, v[4:5]
	s_mov_b32 s19, 0x3fe55555
	s_delay_alu instid0(VALU_DEP_2) | instskip(NEXT) | instid1(VALU_DEP_1)
	v_fma_f64 v[144:145], v[133:134], v[144:145], 1.0
	v_fma_f64 v[8:9], v[133:134], v[144:145], 1.0
	s_delay_alu instid0(VALU_DEP_1) | instskip(NEXT) | instid1(VALU_DEP_1)
	v_ldexp_f64 v[8:9], v[8:9], v146
	v_cndmask_b32_e32 v9, 0x7ff00000, v9, vcc_lo
	s_and_b32 vcc_lo, s18, vcc_lo
	s_delay_alu instid0(VALU_DEP_1) | instskip(NEXT) | instid1(VALU_DEP_3)
	v_cndmask_b32_e64 v5, 0, v9, s18
	v_cndmask_b32_e32 v4, 0, v8, vcc_lo
	s_mov_b32 s18, 0x55555555
	s_delay_alu instid0(VALU_DEP_1) | instskip(NEXT) | instid1(VALU_DEP_1)
	v_add_f64 v[8:9], v[4:5], 1.0
	v_frexp_mant_f64_e32 v[133:134], v[8:9]
	v_frexp_exp_i32_f64_e32 v146, v[8:9]
	v_add_f64 v[144:145], v[8:9], -1.0
	s_delay_alu instid0(VALU_DEP_3) | instskip(SKIP_1) | instid1(VALU_DEP_2)
	v_cmp_gt_f64_e32 vcc_lo, s[18:19], v[133:134]
	s_mov_b32 s18, 0x55555780
	v_add_f64 v[133:134], v[144:145], -v[8:9]
	v_add_f64 v[144:145], v[4:5], -v[144:145]
	v_subrev_co_ci_u32_e32 v166, vcc_lo, 0, v146, vcc_lo
	s_delay_alu instid0(VALU_DEP_3) | instskip(SKIP_2) | instid1(VALU_DEP_2)
	v_add_f64 v[133:134], v[133:134], 1.0
	s_mov_b32 vcc_lo, 0xbf559e2b
	s_mov_b32 vcc_hi, 0x3fc3ab76
	v_sub_nc_u32_e32 v148, 0, v166
	s_delay_alu instid0(VALU_DEP_1) | instskip(NEXT) | instid1(VALU_DEP_3)
	v_ldexp_f64 v[8:9], v[8:9], v148
	v_add_f64 v[133:134], v[144:145], v[133:134]
	s_delay_alu instid0(VALU_DEP_2) | instskip(SKIP_1) | instid1(VALU_DEP_3)
	v_add_f64 v[146:147], v[8:9], 1.0
	v_add_f64 v[160:161], v[8:9], -1.0
	v_ldexp_f64 v[133:134], v[133:134], v148
	s_delay_alu instid0(VALU_DEP_3) | instskip(NEXT) | instid1(VALU_DEP_3)
	v_add_f64 v[144:145], v[146:147], -1.0
	v_add_f64 v[162:163], v[160:161], 1.0
	s_delay_alu instid0(VALU_DEP_2) | instskip(NEXT) | instid1(VALU_DEP_2)
	v_add_f64 v[144:145], v[8:9], -v[144:145]
	v_add_f64 v[8:9], v[8:9], -v[162:163]
	s_delay_alu instid0(VALU_DEP_2) | instskip(NEXT) | instid1(VALU_DEP_2)
	v_add_f64 v[144:145], v[133:134], v[144:145]
	v_add_f64 v[8:9], v[133:134], v[8:9]
	s_delay_alu instid0(VALU_DEP_2) | instskip(NEXT) | instid1(VALU_DEP_2)
	v_add_f64 v[148:149], v[146:147], v[144:145]
	v_add_f64 v[162:163], v[160:161], v[8:9]
	s_delay_alu instid0(VALU_DEP_2) | instskip(SKIP_1) | instid1(VALU_DEP_2)
	v_rcp_f64_e32 v[150:151], v[148:149]
	v_add_f64 v[146:147], v[148:149], -v[146:147]
	v_add_f64 v[160:161], v[162:163], -v[160:161]
	s_delay_alu instid0(VALU_DEP_2) | instskip(SKIP_3) | instid1(VALU_DEP_2)
	v_add_f64 v[144:145], v[144:145], -v[146:147]
	s_waitcnt_depctr 0xfff
	v_fma_f64 v[164:165], -v[148:149], v[150:151], 1.0
	v_add_f64 v[8:9], v[8:9], -v[160:161]
	v_fma_f64 v[150:151], v[164:165], v[150:151], v[150:151]
	s_delay_alu instid0(VALU_DEP_1) | instskip(NEXT) | instid1(VALU_DEP_1)
	v_fma_f64 v[133:134], -v[148:149], v[150:151], 1.0
	v_fma_f64 v[133:134], v[133:134], v[150:151], v[150:151]
	s_delay_alu instid0(VALU_DEP_1) | instskip(NEXT) | instid1(VALU_DEP_1)
	v_mul_f64 v[150:151], v[162:163], v[133:134]
	v_mul_f64 v[164:165], v[148:149], v[150:151]
	s_delay_alu instid0(VALU_DEP_1) | instskip(NEXT) | instid1(VALU_DEP_1)
	v_fma_f64 v[146:147], v[150:151], v[148:149], -v[164:165]
	v_fma_f64 v[146:147], v[150:151], v[144:145], v[146:147]
	s_delay_alu instid0(VALU_DEP_1) | instskip(NEXT) | instid1(VALU_DEP_1)
	v_add_f64 v[209:210], v[164:165], v[146:147]
	v_add_f64 v[211:212], v[162:163], -v[209:210]
	v_add_f64 v[160:161], v[209:210], -v[164:165]
	s_delay_alu instid0(VALU_DEP_2) | instskip(NEXT) | instid1(VALU_DEP_2)
	v_add_f64 v[162:163], v[162:163], -v[211:212]
	v_add_f64 v[146:147], v[160:161], -v[146:147]
	s_delay_alu instid0(VALU_DEP_2) | instskip(NEXT) | instid1(VALU_DEP_1)
	v_add_f64 v[162:163], v[162:163], -v[209:210]
	v_add_f64 v[8:9], v[8:9], v[162:163]
	s_delay_alu instid0(VALU_DEP_1) | instskip(NEXT) | instid1(VALU_DEP_1)
	v_add_f64 v[8:9], v[146:147], v[8:9]
	v_add_f64 v[146:147], v[211:212], v[8:9]
	s_delay_alu instid0(VALU_DEP_1) | instskip(SKIP_1) | instid1(VALU_DEP_2)
	v_mul_f64 v[160:161], v[133:134], v[146:147]
	v_add_f64 v[209:210], v[211:212], -v[146:147]
	v_mul_f64 v[162:163], v[148:149], v[160:161]
	s_delay_alu instid0(VALU_DEP_2) | instskip(NEXT) | instid1(VALU_DEP_2)
	v_add_f64 v[8:9], v[8:9], v[209:210]
	v_fma_f64 v[148:149], v[160:161], v[148:149], -v[162:163]
	s_delay_alu instid0(VALU_DEP_1) | instskip(NEXT) | instid1(VALU_DEP_1)
	v_fma_f64 v[144:145], v[160:161], v[144:145], v[148:149]
	v_add_f64 v[148:149], v[162:163], v[144:145]
	s_delay_alu instid0(VALU_DEP_1) | instskip(SKIP_1) | instid1(VALU_DEP_2)
	v_add_f64 v[164:165], v[146:147], -v[148:149]
	v_add_f64 v[162:163], v[148:149], -v[162:163]
	;; [unrolled: 1-line block ×3, first 2 shown]
	s_delay_alu instid0(VALU_DEP_2) | instskip(NEXT) | instid1(VALU_DEP_2)
	v_add_f64 v[144:145], v[162:163], -v[144:145]
	v_add_f64 v[146:147], v[146:147], -v[148:149]
	s_delay_alu instid0(VALU_DEP_1) | instskip(SKIP_1) | instid1(VALU_DEP_2)
	v_add_f64 v[8:9], v[8:9], v[146:147]
	v_add_f64 v[146:147], v[150:151], v[160:161]
	;; [unrolled: 1-line block ×3, first 2 shown]
	s_delay_alu instid0(VALU_DEP_2) | instskip(NEXT) | instid1(VALU_DEP_2)
	v_add_f64 v[144:145], v[146:147], -v[150:151]
	v_add_f64 v[8:9], v[164:165], v[8:9]
	s_delay_alu instid0(VALU_DEP_2) | instskip(NEXT) | instid1(VALU_DEP_2)
	v_add_f64 v[144:145], v[160:161], -v[144:145]
	v_mul_f64 v[8:9], v[133:134], v[8:9]
	s_delay_alu instid0(VALU_DEP_1) | instskip(NEXT) | instid1(VALU_DEP_1)
	v_add_f64 v[8:9], v[144:145], v[8:9]
	v_add_f64 v[133:134], v[146:147], v[8:9]
	s_delay_alu instid0(VALU_DEP_1) | instskip(NEXT) | instid1(VALU_DEP_1)
	v_mul_f64 v[144:145], v[133:134], v[133:134]
	v_fma_f64 v[148:149], v[144:145], vcc, s[28:29]
	s_mov_b32 s28, 0xd7f4df2e
	s_mov_b32 s29, 0x3fc7474d
	v_mul_f64 v[150:151], v[133:134], v[144:145]
	v_cmp_eq_f64_e32 vcc_lo, 0x7ff00000, v[4:5]
	s_delay_alu instid0(VALU_DEP_3)
	v_fma_f64 v[148:149], v[144:145], v[148:149], s[28:29]
	s_mov_b32 s28, 0x16291751
	s_mov_b32 s29, 0x3fcc71c0
	s_delay_alu instid0(VALU_DEP_1) | instid1(SALU_CYCLE_1)
	v_fma_f64 v[148:149], v[144:145], v[148:149], s[28:29]
	s_mov_b32 s28, 0x9b27acf1
	s_mov_b32 s29, 0x3fd24924
	s_delay_alu instid0(VALU_DEP_1) | instid1(SALU_CYCLE_1)
	;; [unrolled: 4-line block ×3, first 2 shown]
	v_fma_f64 v[148:149], v[144:145], v[148:149], s[28:29]
	s_delay_alu instid0(VALU_DEP_1) | instskip(SKIP_2) | instid1(VALU_DEP_3)
	v_fma_f64 v[144:145], v[144:145], v[148:149], s[18:19]
	v_ldexp_f64 v[148:149], v[133:134], 1
	v_add_f64 v[133:134], v[133:134], -v[146:147]
	v_mul_f64 v[144:145], v[150:151], v[144:145]
	v_cvt_f64_i32_e32 v[150:151], v166
	s_delay_alu instid0(VALU_DEP_3) | instskip(NEXT) | instid1(VALU_DEP_3)
	v_add_f64 v[8:9], v[8:9], -v[133:134]
	v_add_f64 v[146:147], v[148:149], v[144:145]
	s_delay_alu instid0(VALU_DEP_3) | instskip(NEXT) | instid1(VALU_DEP_3)
	v_mul_f64 v[160:161], v[150:151], s[20:21]
	v_ldexp_f64 v[8:9], v[8:9], 1
	s_delay_alu instid0(VALU_DEP_3) | instskip(NEXT) | instid1(VALU_DEP_3)
	v_add_f64 v[133:134], v[146:147], -v[148:149]
	v_fma_f64 v[148:149], v[150:151], s[20:21], -v[160:161]
	s_delay_alu instid0(VALU_DEP_2) | instskip(NEXT) | instid1(VALU_DEP_2)
	v_add_f64 v[133:134], v[144:145], -v[133:134]
	v_fma_f64 v[144:145], v[150:151], s[24:25], v[148:149]
	s_delay_alu instid0(VALU_DEP_2) | instskip(NEXT) | instid1(VALU_DEP_2)
	v_add_f64 v[8:9], v[8:9], v[133:134]
	v_add_f64 v[133:134], v[160:161], v[144:145]
	s_delay_alu instid0(VALU_DEP_2) | instskip(NEXT) | instid1(VALU_DEP_2)
	v_add_f64 v[148:149], v[146:147], v[8:9]
	v_add_f64 v[160:161], v[133:134], -v[160:161]
	s_delay_alu instid0(VALU_DEP_2) | instskip(SKIP_1) | instid1(VALU_DEP_3)
	v_add_f64 v[150:151], v[133:134], v[148:149]
	v_add_f64 v[146:147], v[148:149], -v[146:147]
	v_add_f64 v[144:145], v[144:145], -v[160:161]
	s_delay_alu instid0(VALU_DEP_3) | instskip(NEXT) | instid1(VALU_DEP_3)
	v_add_f64 v[162:163], v[150:151], -v[133:134]
	v_add_f64 v[8:9], v[8:9], -v[146:147]
	s_delay_alu instid0(VALU_DEP_2) | instskip(SKIP_1) | instid1(VALU_DEP_3)
	v_add_f64 v[164:165], v[150:151], -v[162:163]
	v_add_f64 v[146:147], v[148:149], -v[162:163]
	v_add_f64 v[148:149], v[144:145], v[8:9]
	s_delay_alu instid0(VALU_DEP_3) | instskip(NEXT) | instid1(VALU_DEP_1)
	v_add_f64 v[133:134], v[133:134], -v[164:165]
	v_add_f64 v[133:134], v[146:147], v[133:134]
	s_delay_alu instid0(VALU_DEP_3) | instskip(NEXT) | instid1(VALU_DEP_2)
	v_add_f64 v[146:147], v[148:149], -v[144:145]
	v_add_f64 v[133:134], v[148:149], v[133:134]
	s_delay_alu instid0(VALU_DEP_2) | instskip(SKIP_1) | instid1(VALU_DEP_3)
	v_add_f64 v[148:149], v[148:149], -v[146:147]
	v_add_f64 v[8:9], v[8:9], -v[146:147]
	v_add_f64 v[160:161], v[150:151], v[133:134]
	s_delay_alu instid0(VALU_DEP_3) | instskip(NEXT) | instid1(VALU_DEP_2)
	v_add_f64 v[144:145], v[144:145], -v[148:149]
	v_add_f64 v[146:147], v[160:161], -v[150:151]
	s_delay_alu instid0(VALU_DEP_2) | instskip(NEXT) | instid1(VALU_DEP_2)
	v_add_f64 v[8:9], v[8:9], v[144:145]
	v_add_f64 v[133:134], v[133:134], -v[146:147]
	s_delay_alu instid0(VALU_DEP_1) | instskip(NEXT) | instid1(VALU_DEP_1)
	v_add_f64 v[8:9], v[8:9], v[133:134]
	v_add_f64 v[8:9], v[160:161], v[8:9]
	s_delay_alu instid0(VALU_DEP_1) | instskip(SKIP_1) | instid1(VALU_DEP_2)
	v_dual_cndmask_b32 v9, v9, v5 :: v_dual_cndmask_b32 v8, v8, v4
	v_cmp_ngt_f64_e32 vcc_lo, -1.0, v[4:5]
	v_cndmask_b32_e32 v9, 0x7ff80000, v9, vcc_lo
	v_cmp_nge_f64_e32 vcc_lo, -1.0, v[4:5]
	s_delay_alu instid0(VALU_DEP_4) | instskip(SKIP_1) | instid1(VALU_DEP_4)
	v_cndmask_b32_e32 v8, 0, v8, vcc_lo
	v_cmp_neq_f64_e32 vcc_lo, -1.0, v[4:5]
	v_cndmask_b32_e32 v9, 0xfff00000, v9, vcc_lo
	s_delay_alu instid0(VALU_DEP_1)
	v_add_f64 v[4:5], v[6:7], v[8:9]
.LBB56_52:
	s_or_b32 exec_lo, exec_lo, s26
	v_mbcnt_lo_u32_b32 v209, -1, 0
	s_delay_alu instid0(VALU_DEP_2) | instskip(NEXT) | instid1(VALU_DEP_3)
	v_mov_b32_dpp v6, v4 row_shr:1 row_mask:0xf bank_mask:0xf
	v_mov_b32_dpp v7, v5 row_shr:1 row_mask:0xf bank_mask:0xf
	v_mov_b32_e32 v9, v5
	s_mov_b32 s26, exec_lo
	v_dual_mov_b32 v8, v4 :: v_dual_and_b32 v133, 15, v209
	s_delay_alu instid0(VALU_DEP_1)
	v_cmpx_ne_u32_e32 0, v133
	s_cbranch_execz .LBB56_56
; %bb.53:
	v_max_f64 v[8:9], v[6:7], v[6:7]
	v_max_f64 v[144:145], v[4:5], v[4:5]
	v_cmp_u_f64_e32 vcc_lo, v[6:7], v[6:7]
	v_cmp_u_f64_e64 s18, v[4:5], v[4:5]
	s_delay_alu instid0(VALU_DEP_3) | instskip(SKIP_1) | instid1(VALU_DEP_1)
	v_min_f64 v[146:147], v[8:9], v[144:145]
	v_max_f64 v[8:9], v[8:9], v[144:145]
	v_dual_cndmask_b32 v134, v146, v6 :: v_dual_cndmask_b32 v145, v9, v7
	s_delay_alu instid0(VALU_DEP_3) | instskip(NEXT) | instid1(VALU_DEP_3)
	v_cndmask_b32_e32 v144, v147, v7, vcc_lo
	v_cndmask_b32_e32 v146, v8, v6, vcc_lo
	s_delay_alu instid0(VALU_DEP_3) | instskip(NEXT) | instid1(VALU_DEP_3)
	v_cndmask_b32_e64 v8, v134, v4, s18
	v_cndmask_b32_e64 v9, v144, v5, s18
	;; [unrolled: 1-line block ×3, first 2 shown]
	s_delay_alu instid0(VALU_DEP_4) | instskip(NEXT) | instid1(VALU_DEP_3)
	v_cndmask_b32_e64 v4, v146, v4, s18
	v_cmp_class_f64_e64 s18, v[8:9], 0x1f8
	s_delay_alu instid0(VALU_DEP_2) | instskip(NEXT) | instid1(VALU_DEP_2)
	v_cmp_neq_f64_e32 vcc_lo, v[8:9], v[4:5]
	s_or_b32 s18, vcc_lo, s18
	s_delay_alu instid0(SALU_CYCLE_1)
	s_and_saveexec_b32 s27, s18
	s_cbranch_execz .LBB56_55
; %bb.54:
	v_add_f64 v[6:7], v[8:9], -v[4:5]
	s_mov_b32 s18, 0x652b82fe
	s_mov_b32 s19, 0x3ff71547
	;; [unrolled: 1-line block ×8, first 2 shown]
	s_delay_alu instid0(VALU_DEP_1) | instskip(SKIP_3) | instid1(VALU_DEP_2)
	v_mul_f64 v[8:9], v[6:7], s[18:19]
	s_mov_b32 s18, 0xfca7ab0c
	s_mov_b32 s19, 0x3e928af3
	v_cmp_nlt_f64_e32 vcc_lo, 0x40900000, v[6:7]
	v_rndne_f64_e32 v[8:9], v[8:9]
	s_delay_alu instid0(VALU_DEP_1) | instskip(SKIP_2) | instid1(VALU_DEP_2)
	v_fma_f64 v[144:145], v[8:9], s[20:21], v[6:7]
	v_cvt_i32_f64_e32 v134, v[8:9]
	s_mov_b32 s21, 0x3fe62e42
	v_fma_f64 v[144:145], v[8:9], s[24:25], v[144:145]
	s_mov_b32 s25, 0x3c7abc9e
	s_delay_alu instid0(VALU_DEP_1) | instskip(SKIP_4) | instid1(VALU_DEP_1)
	v_fma_f64 v[146:147], v[144:145], s[28:29], s[18:19]
	s_mov_b32 s18, 0x623fde64
	s_mov_b32 s19, 0x3ec71dee
	s_mov_b32 s28, 0x6b47b09a
	s_mov_b32 s29, 0x3fc38538
	v_fma_f64 v[146:147], v[144:145], v[146:147], s[18:19]
	s_mov_b32 s18, 0x7c89e6b0
	s_mov_b32 s19, 0x3efa0199
	s_delay_alu instid0(VALU_DEP_1) | instid1(SALU_CYCLE_1)
	v_fma_f64 v[146:147], v[144:145], v[146:147], s[18:19]
	s_mov_b32 s18, 0x14761f6e
	s_mov_b32 s19, 0x3f2a01a0
	s_delay_alu instid0(VALU_DEP_1) | instid1(SALU_CYCLE_1)
	;; [unrolled: 4-line block ×7, first 2 shown]
	v_fma_f64 v[146:147], v[144:145], v[146:147], s[18:19]
	v_cmp_ngt_f64_e64 s18, 0xc090cc00, v[6:7]
	s_mov_b32 s19, 0x3fe55555
	s_delay_alu instid0(VALU_DEP_2) | instskip(NEXT) | instid1(VALU_DEP_1)
	v_fma_f64 v[146:147], v[144:145], v[146:147], 1.0
	v_fma_f64 v[8:9], v[144:145], v[146:147], 1.0
	s_delay_alu instid0(VALU_DEP_1) | instskip(NEXT) | instid1(VALU_DEP_1)
	v_ldexp_f64 v[8:9], v[8:9], v134
	v_cndmask_b32_e32 v9, 0x7ff00000, v9, vcc_lo
	s_and_b32 vcc_lo, s18, vcc_lo
	s_delay_alu instid0(VALU_DEP_1) | instskip(NEXT) | instid1(VALU_DEP_3)
	v_cndmask_b32_e64 v7, 0, v9, s18
	v_cndmask_b32_e32 v6, 0, v8, vcc_lo
	s_mov_b32 s18, 0x55555555
	s_delay_alu instid0(VALU_DEP_1) | instskip(NEXT) | instid1(VALU_DEP_1)
	v_add_f64 v[8:9], v[6:7], 1.0
	v_frexp_mant_f64_e32 v[144:145], v[8:9]
	v_frexp_exp_i32_f64_e32 v134, v[8:9]
	v_add_f64 v[146:147], v[8:9], -1.0
	s_delay_alu instid0(VALU_DEP_3) | instskip(SKIP_1) | instid1(VALU_DEP_2)
	v_cmp_gt_f64_e32 vcc_lo, s[18:19], v[144:145]
	s_mov_b32 s18, 0x55555780
	v_add_f64 v[144:145], v[146:147], -v[8:9]
	v_add_f64 v[146:147], v[6:7], -v[146:147]
	v_subrev_co_ci_u32_e32 v134, vcc_lo, 0, v134, vcc_lo
	s_delay_alu instid0(VALU_DEP_3) | instskip(SKIP_2) | instid1(VALU_DEP_2)
	v_add_f64 v[144:145], v[144:145], 1.0
	s_mov_b32 vcc_lo, 0xbf559e2b
	s_mov_b32 vcc_hi, 0x3fc3ab76
	v_sub_nc_u32_e32 v150, 0, v134
	s_delay_alu instid0(VALU_DEP_1) | instskip(NEXT) | instid1(VALU_DEP_3)
	v_ldexp_f64 v[8:9], v[8:9], v150
	v_add_f64 v[144:145], v[146:147], v[144:145]
	s_delay_alu instid0(VALU_DEP_2) | instskip(SKIP_1) | instid1(VALU_DEP_3)
	v_add_f64 v[148:149], v[8:9], 1.0
	v_add_f64 v[162:163], v[8:9], -1.0
	v_ldexp_f64 v[144:145], v[144:145], v150
	s_delay_alu instid0(VALU_DEP_3) | instskip(NEXT) | instid1(VALU_DEP_3)
	v_add_f64 v[146:147], v[148:149], -1.0
	v_add_f64 v[164:165], v[162:163], 1.0
	s_delay_alu instid0(VALU_DEP_2) | instskip(NEXT) | instid1(VALU_DEP_2)
	v_add_f64 v[146:147], v[8:9], -v[146:147]
	v_add_f64 v[8:9], v[8:9], -v[164:165]
	s_delay_alu instid0(VALU_DEP_2) | instskip(NEXT) | instid1(VALU_DEP_2)
	v_add_f64 v[146:147], v[144:145], v[146:147]
	v_add_f64 v[8:9], v[144:145], v[8:9]
	s_delay_alu instid0(VALU_DEP_2) | instskip(NEXT) | instid1(VALU_DEP_2)
	v_add_f64 v[150:151], v[148:149], v[146:147]
	v_add_f64 v[164:165], v[162:163], v[8:9]
	s_delay_alu instid0(VALU_DEP_2) | instskip(SKIP_1) | instid1(VALU_DEP_2)
	v_rcp_f64_e32 v[160:161], v[150:151]
	v_add_f64 v[148:149], v[150:151], -v[148:149]
	v_add_f64 v[162:163], v[164:165], -v[162:163]
	s_delay_alu instid0(VALU_DEP_2) | instskip(SKIP_3) | instid1(VALU_DEP_2)
	v_add_f64 v[146:147], v[146:147], -v[148:149]
	s_waitcnt_depctr 0xfff
	v_fma_f64 v[210:211], -v[150:151], v[160:161], 1.0
	v_add_f64 v[8:9], v[8:9], -v[162:163]
	v_fma_f64 v[160:161], v[210:211], v[160:161], v[160:161]
	s_delay_alu instid0(VALU_DEP_1) | instskip(NEXT) | instid1(VALU_DEP_1)
	v_fma_f64 v[144:145], -v[150:151], v[160:161], 1.0
	v_fma_f64 v[144:145], v[144:145], v[160:161], v[160:161]
	s_delay_alu instid0(VALU_DEP_1) | instskip(NEXT) | instid1(VALU_DEP_1)
	v_mul_f64 v[160:161], v[164:165], v[144:145]
	v_mul_f64 v[210:211], v[150:151], v[160:161]
	s_delay_alu instid0(VALU_DEP_1) | instskip(NEXT) | instid1(VALU_DEP_1)
	v_fma_f64 v[148:149], v[160:161], v[150:151], -v[210:211]
	v_fma_f64 v[148:149], v[160:161], v[146:147], v[148:149]
	s_delay_alu instid0(VALU_DEP_1) | instskip(NEXT) | instid1(VALU_DEP_1)
	v_add_f64 v[212:213], v[210:211], v[148:149]
	v_add_f64 v[214:215], v[164:165], -v[212:213]
	v_add_f64 v[162:163], v[212:213], -v[210:211]
	s_delay_alu instid0(VALU_DEP_2) | instskip(NEXT) | instid1(VALU_DEP_2)
	v_add_f64 v[164:165], v[164:165], -v[214:215]
	v_add_f64 v[148:149], v[162:163], -v[148:149]
	s_delay_alu instid0(VALU_DEP_2) | instskip(NEXT) | instid1(VALU_DEP_1)
	v_add_f64 v[164:165], v[164:165], -v[212:213]
	v_add_f64 v[8:9], v[8:9], v[164:165]
	s_delay_alu instid0(VALU_DEP_1) | instskip(NEXT) | instid1(VALU_DEP_1)
	v_add_f64 v[8:9], v[148:149], v[8:9]
	v_add_f64 v[148:149], v[214:215], v[8:9]
	s_delay_alu instid0(VALU_DEP_1) | instskip(SKIP_1) | instid1(VALU_DEP_2)
	v_mul_f64 v[162:163], v[144:145], v[148:149]
	v_add_f64 v[212:213], v[214:215], -v[148:149]
	v_mul_f64 v[164:165], v[150:151], v[162:163]
	s_delay_alu instid0(VALU_DEP_2) | instskip(NEXT) | instid1(VALU_DEP_2)
	v_add_f64 v[8:9], v[8:9], v[212:213]
	v_fma_f64 v[150:151], v[162:163], v[150:151], -v[164:165]
	s_delay_alu instid0(VALU_DEP_1) | instskip(NEXT) | instid1(VALU_DEP_1)
	v_fma_f64 v[146:147], v[162:163], v[146:147], v[150:151]
	v_add_f64 v[150:151], v[164:165], v[146:147]
	s_delay_alu instid0(VALU_DEP_1) | instskip(SKIP_1) | instid1(VALU_DEP_2)
	v_add_f64 v[210:211], v[148:149], -v[150:151]
	v_add_f64 v[164:165], v[150:151], -v[164:165]
	;; [unrolled: 1-line block ×3, first 2 shown]
	s_delay_alu instid0(VALU_DEP_2) | instskip(NEXT) | instid1(VALU_DEP_2)
	v_add_f64 v[146:147], v[164:165], -v[146:147]
	v_add_f64 v[148:149], v[148:149], -v[150:151]
	s_delay_alu instid0(VALU_DEP_1) | instskip(SKIP_1) | instid1(VALU_DEP_2)
	v_add_f64 v[8:9], v[8:9], v[148:149]
	v_add_f64 v[148:149], v[160:161], v[162:163]
	;; [unrolled: 1-line block ×3, first 2 shown]
	s_delay_alu instid0(VALU_DEP_2) | instskip(NEXT) | instid1(VALU_DEP_2)
	v_add_f64 v[146:147], v[148:149], -v[160:161]
	v_add_f64 v[8:9], v[210:211], v[8:9]
	s_delay_alu instid0(VALU_DEP_2) | instskip(NEXT) | instid1(VALU_DEP_2)
	v_add_f64 v[146:147], v[162:163], -v[146:147]
	v_mul_f64 v[8:9], v[144:145], v[8:9]
	s_delay_alu instid0(VALU_DEP_1) | instskip(NEXT) | instid1(VALU_DEP_1)
	v_add_f64 v[8:9], v[146:147], v[8:9]
	v_add_f64 v[144:145], v[148:149], v[8:9]
	s_delay_alu instid0(VALU_DEP_1) | instskip(NEXT) | instid1(VALU_DEP_1)
	v_mul_f64 v[146:147], v[144:145], v[144:145]
	v_fma_f64 v[150:151], v[146:147], vcc, s[28:29]
	s_mov_b32 s28, 0xd7f4df2e
	s_mov_b32 s29, 0x3fc7474d
	v_mul_f64 v[160:161], v[144:145], v[146:147]
	v_cmp_eq_f64_e32 vcc_lo, 0x7ff00000, v[6:7]
	s_delay_alu instid0(VALU_DEP_3)
	v_fma_f64 v[150:151], v[146:147], v[150:151], s[28:29]
	s_mov_b32 s28, 0x16291751
	s_mov_b32 s29, 0x3fcc71c0
	s_delay_alu instid0(VALU_DEP_1) | instid1(SALU_CYCLE_1)
	v_fma_f64 v[150:151], v[146:147], v[150:151], s[28:29]
	s_mov_b32 s28, 0x9b27acf1
	s_mov_b32 s29, 0x3fd24924
	s_delay_alu instid0(VALU_DEP_1) | instid1(SALU_CYCLE_1)
	;; [unrolled: 4-line block ×3, first 2 shown]
	v_fma_f64 v[150:151], v[146:147], v[150:151], s[28:29]
	s_delay_alu instid0(VALU_DEP_1) | instskip(SKIP_2) | instid1(VALU_DEP_3)
	v_fma_f64 v[146:147], v[146:147], v[150:151], s[18:19]
	v_ldexp_f64 v[150:151], v[144:145], 1
	v_add_f64 v[144:145], v[144:145], -v[148:149]
	v_mul_f64 v[146:147], v[160:161], v[146:147]
	v_cvt_f64_i32_e32 v[160:161], v134
	s_delay_alu instid0(VALU_DEP_3) | instskip(NEXT) | instid1(VALU_DEP_3)
	v_add_f64 v[8:9], v[8:9], -v[144:145]
	v_add_f64 v[148:149], v[150:151], v[146:147]
	s_delay_alu instid0(VALU_DEP_3) | instskip(NEXT) | instid1(VALU_DEP_3)
	v_mul_f64 v[162:163], v[160:161], s[20:21]
	v_ldexp_f64 v[8:9], v[8:9], 1
	s_delay_alu instid0(VALU_DEP_3) | instskip(NEXT) | instid1(VALU_DEP_3)
	v_add_f64 v[144:145], v[148:149], -v[150:151]
	v_fma_f64 v[150:151], v[160:161], s[20:21], -v[162:163]
	s_delay_alu instid0(VALU_DEP_2) | instskip(NEXT) | instid1(VALU_DEP_2)
	v_add_f64 v[144:145], v[146:147], -v[144:145]
	v_fma_f64 v[146:147], v[160:161], s[24:25], v[150:151]
	s_delay_alu instid0(VALU_DEP_2) | instskip(NEXT) | instid1(VALU_DEP_2)
	v_add_f64 v[8:9], v[8:9], v[144:145]
	v_add_f64 v[144:145], v[162:163], v[146:147]
	s_delay_alu instid0(VALU_DEP_2) | instskip(NEXT) | instid1(VALU_DEP_2)
	v_add_f64 v[150:151], v[148:149], v[8:9]
	v_add_f64 v[162:163], v[144:145], -v[162:163]
	s_delay_alu instid0(VALU_DEP_2) | instskip(SKIP_1) | instid1(VALU_DEP_3)
	v_add_f64 v[160:161], v[144:145], v[150:151]
	v_add_f64 v[148:149], v[150:151], -v[148:149]
	v_add_f64 v[146:147], v[146:147], -v[162:163]
	s_delay_alu instid0(VALU_DEP_3) | instskip(NEXT) | instid1(VALU_DEP_3)
	v_add_f64 v[164:165], v[160:161], -v[144:145]
	v_add_f64 v[8:9], v[8:9], -v[148:149]
	s_delay_alu instid0(VALU_DEP_2) | instskip(SKIP_1) | instid1(VALU_DEP_3)
	v_add_f64 v[210:211], v[160:161], -v[164:165]
	v_add_f64 v[148:149], v[150:151], -v[164:165]
	v_add_f64 v[150:151], v[146:147], v[8:9]
	s_delay_alu instid0(VALU_DEP_3) | instskip(NEXT) | instid1(VALU_DEP_1)
	v_add_f64 v[144:145], v[144:145], -v[210:211]
	v_add_f64 v[144:145], v[148:149], v[144:145]
	s_delay_alu instid0(VALU_DEP_3) | instskip(NEXT) | instid1(VALU_DEP_2)
	v_add_f64 v[148:149], v[150:151], -v[146:147]
	v_add_f64 v[144:145], v[150:151], v[144:145]
	s_delay_alu instid0(VALU_DEP_2) | instskip(SKIP_1) | instid1(VALU_DEP_3)
	v_add_f64 v[150:151], v[150:151], -v[148:149]
	v_add_f64 v[8:9], v[8:9], -v[148:149]
	v_add_f64 v[162:163], v[160:161], v[144:145]
	s_delay_alu instid0(VALU_DEP_3) | instskip(NEXT) | instid1(VALU_DEP_2)
	v_add_f64 v[146:147], v[146:147], -v[150:151]
	v_add_f64 v[148:149], v[162:163], -v[160:161]
	s_delay_alu instid0(VALU_DEP_2) | instskip(NEXT) | instid1(VALU_DEP_2)
	v_add_f64 v[8:9], v[8:9], v[146:147]
	v_add_f64 v[144:145], v[144:145], -v[148:149]
	s_delay_alu instid0(VALU_DEP_1) | instskip(NEXT) | instid1(VALU_DEP_1)
	v_add_f64 v[8:9], v[8:9], v[144:145]
	v_add_f64 v[8:9], v[162:163], v[8:9]
	s_delay_alu instid0(VALU_DEP_1) | instskip(SKIP_1) | instid1(VALU_DEP_2)
	v_dual_cndmask_b32 v9, v9, v7 :: v_dual_cndmask_b32 v8, v8, v6
	v_cmp_ngt_f64_e32 vcc_lo, -1.0, v[6:7]
	v_cndmask_b32_e32 v9, 0x7ff80000, v9, vcc_lo
	v_cmp_nge_f64_e32 vcc_lo, -1.0, v[6:7]
	s_delay_alu instid0(VALU_DEP_4) | instskip(SKIP_1) | instid1(VALU_DEP_4)
	v_cndmask_b32_e32 v8, 0, v8, vcc_lo
	v_cmp_neq_f64_e32 vcc_lo, -1.0, v[6:7]
	v_cndmask_b32_e32 v9, 0xfff00000, v9, vcc_lo
	s_delay_alu instid0(VALU_DEP_1)
	v_add_f64 v[6:7], v[4:5], v[8:9]
.LBB56_55:
	s_or_b32 exec_lo, exec_lo, s27
	s_delay_alu instid0(VALU_DEP_1)
	v_dual_mov_b32 v8, v6 :: v_dual_mov_b32 v9, v7
	v_dual_mov_b32 v4, v6 :: v_dual_mov_b32 v5, v7
.LBB56_56:
	s_or_b32 exec_lo, exec_lo, s26
	s_delay_alu instid0(VALU_DEP_2) | instskip(NEXT) | instid1(VALU_DEP_3)
	v_mov_b32_dpp v6, v8 row_shr:2 row_mask:0xf bank_mask:0xf
	v_mov_b32_dpp v7, v9 row_shr:2 row_mask:0xf bank_mask:0xf
	s_mov_b32 s26, exec_lo
	v_cmpx_lt_u32_e32 1, v133
	s_cbranch_execz .LBB56_60
; %bb.57:
	s_delay_alu instid0(VALU_DEP_2) | instskip(SKIP_3) | instid1(VALU_DEP_3)
	v_max_f64 v[8:9], v[6:7], v[6:7]
	v_max_f64 v[144:145], v[4:5], v[4:5]
	v_cmp_u_f64_e32 vcc_lo, v[6:7], v[6:7]
	v_cmp_u_f64_e64 s18, v[4:5], v[4:5]
	v_min_f64 v[146:147], v[8:9], v[144:145]
	v_max_f64 v[8:9], v[8:9], v[144:145]
	s_delay_alu instid0(VALU_DEP_1) | instskip(NEXT) | instid1(VALU_DEP_3)
	v_dual_cndmask_b32 v134, v146, v6 :: v_dual_cndmask_b32 v145, v9, v7
	v_cndmask_b32_e32 v144, v147, v7, vcc_lo
	s_delay_alu instid0(VALU_DEP_3) | instskip(NEXT) | instid1(VALU_DEP_3)
	v_cndmask_b32_e32 v146, v8, v6, vcc_lo
	v_cndmask_b32_e64 v8, v134, v4, s18
	s_delay_alu instid0(VALU_DEP_3) | instskip(SKIP_1) | instid1(VALU_DEP_4)
	v_cndmask_b32_e64 v9, v144, v5, s18
	v_cndmask_b32_e64 v5, v145, v5, s18
	;; [unrolled: 1-line block ×3, first 2 shown]
	s_delay_alu instid0(VALU_DEP_3) | instskip(NEXT) | instid1(VALU_DEP_2)
	v_cmp_class_f64_e64 s18, v[8:9], 0x1f8
	v_cmp_neq_f64_e32 vcc_lo, v[8:9], v[4:5]
	s_delay_alu instid0(VALU_DEP_2) | instskip(NEXT) | instid1(SALU_CYCLE_1)
	s_or_b32 s18, vcc_lo, s18
	s_and_saveexec_b32 s27, s18
	s_cbranch_execz .LBB56_59
; %bb.58:
	v_add_f64 v[6:7], v[8:9], -v[4:5]
	s_mov_b32 s18, 0x652b82fe
	s_mov_b32 s19, 0x3ff71547
	;; [unrolled: 1-line block ×8, first 2 shown]
	s_delay_alu instid0(VALU_DEP_1) | instskip(SKIP_3) | instid1(VALU_DEP_2)
	v_mul_f64 v[8:9], v[6:7], s[18:19]
	s_mov_b32 s18, 0xfca7ab0c
	s_mov_b32 s19, 0x3e928af3
	v_cmp_nlt_f64_e32 vcc_lo, 0x40900000, v[6:7]
	v_rndne_f64_e32 v[8:9], v[8:9]
	s_delay_alu instid0(VALU_DEP_1) | instskip(SKIP_2) | instid1(VALU_DEP_2)
	v_fma_f64 v[144:145], v[8:9], s[20:21], v[6:7]
	v_cvt_i32_f64_e32 v134, v[8:9]
	s_mov_b32 s21, 0x3fe62e42
	v_fma_f64 v[144:145], v[8:9], s[24:25], v[144:145]
	s_mov_b32 s25, 0x3c7abc9e
	s_delay_alu instid0(VALU_DEP_1) | instskip(SKIP_4) | instid1(VALU_DEP_1)
	v_fma_f64 v[146:147], v[144:145], s[28:29], s[18:19]
	s_mov_b32 s18, 0x623fde64
	s_mov_b32 s19, 0x3ec71dee
	;; [unrolled: 1-line block ×4, first 2 shown]
	v_fma_f64 v[146:147], v[144:145], v[146:147], s[18:19]
	s_mov_b32 s18, 0x7c89e6b0
	s_mov_b32 s19, 0x3efa0199
	s_delay_alu instid0(VALU_DEP_1) | instid1(SALU_CYCLE_1)
	v_fma_f64 v[146:147], v[144:145], v[146:147], s[18:19]
	s_mov_b32 s18, 0x14761f6e
	s_mov_b32 s19, 0x3f2a01a0
	s_delay_alu instid0(VALU_DEP_1) | instid1(SALU_CYCLE_1)
	v_fma_f64 v[146:147], v[144:145], v[146:147], s[18:19]
	s_mov_b32 s18, 0x1852b7b0
	s_mov_b32 s19, 0x3f56c16c
	s_delay_alu instid0(VALU_DEP_1) | instid1(SALU_CYCLE_1)
	v_fma_f64 v[146:147], v[144:145], v[146:147], s[18:19]
	s_mov_b32 s18, 0x11122322
	s_mov_b32 s19, 0x3f811111
	s_delay_alu instid0(VALU_DEP_1) | instid1(SALU_CYCLE_1)
	v_fma_f64 v[146:147], v[144:145], v[146:147], s[18:19]
	s_mov_b32 s18, 0x555502a1
	s_mov_b32 s19, 0x3fa55555
	s_delay_alu instid0(VALU_DEP_1) | instid1(SALU_CYCLE_1)
	v_fma_f64 v[146:147], v[144:145], v[146:147], s[18:19]
	s_mov_b32 s18, 0x55555511
	s_mov_b32 s19, 0x3fc55555
	s_delay_alu instid0(VALU_DEP_1) | instid1(SALU_CYCLE_1)
	v_fma_f64 v[146:147], v[144:145], v[146:147], s[18:19]
	s_mov_b32 s18, 11
	s_mov_b32 s19, 0x3fe00000
	s_delay_alu instid0(VALU_DEP_1) | instid1(SALU_CYCLE_1)
	v_fma_f64 v[146:147], v[144:145], v[146:147], s[18:19]
	v_cmp_ngt_f64_e64 s18, 0xc090cc00, v[6:7]
	s_mov_b32 s19, 0x3fe55555
	s_delay_alu instid0(VALU_DEP_2) | instskip(NEXT) | instid1(VALU_DEP_1)
	v_fma_f64 v[146:147], v[144:145], v[146:147], 1.0
	v_fma_f64 v[8:9], v[144:145], v[146:147], 1.0
	s_delay_alu instid0(VALU_DEP_1) | instskip(NEXT) | instid1(VALU_DEP_1)
	v_ldexp_f64 v[8:9], v[8:9], v134
	v_cndmask_b32_e32 v9, 0x7ff00000, v9, vcc_lo
	s_and_b32 vcc_lo, s18, vcc_lo
	s_delay_alu instid0(VALU_DEP_1) | instskip(NEXT) | instid1(VALU_DEP_3)
	v_cndmask_b32_e64 v7, 0, v9, s18
	v_cndmask_b32_e32 v6, 0, v8, vcc_lo
	s_mov_b32 s18, 0x55555555
	s_delay_alu instid0(VALU_DEP_1) | instskip(NEXT) | instid1(VALU_DEP_1)
	v_add_f64 v[8:9], v[6:7], 1.0
	v_frexp_mant_f64_e32 v[144:145], v[8:9]
	v_frexp_exp_i32_f64_e32 v134, v[8:9]
	v_add_f64 v[146:147], v[8:9], -1.0
	s_delay_alu instid0(VALU_DEP_3) | instskip(SKIP_1) | instid1(VALU_DEP_2)
	v_cmp_gt_f64_e32 vcc_lo, s[18:19], v[144:145]
	s_mov_b32 s18, 0x55555780
	v_add_f64 v[144:145], v[146:147], -v[8:9]
	v_add_f64 v[146:147], v[6:7], -v[146:147]
	v_subrev_co_ci_u32_e32 v134, vcc_lo, 0, v134, vcc_lo
	s_delay_alu instid0(VALU_DEP_3) | instskip(SKIP_2) | instid1(VALU_DEP_2)
	v_add_f64 v[144:145], v[144:145], 1.0
	s_mov_b32 vcc_lo, 0xbf559e2b
	s_mov_b32 vcc_hi, 0x3fc3ab76
	v_sub_nc_u32_e32 v150, 0, v134
	s_delay_alu instid0(VALU_DEP_1) | instskip(NEXT) | instid1(VALU_DEP_3)
	v_ldexp_f64 v[8:9], v[8:9], v150
	v_add_f64 v[144:145], v[146:147], v[144:145]
	s_delay_alu instid0(VALU_DEP_2) | instskip(SKIP_1) | instid1(VALU_DEP_3)
	v_add_f64 v[148:149], v[8:9], 1.0
	v_add_f64 v[162:163], v[8:9], -1.0
	v_ldexp_f64 v[144:145], v[144:145], v150
	s_delay_alu instid0(VALU_DEP_3) | instskip(NEXT) | instid1(VALU_DEP_3)
	v_add_f64 v[146:147], v[148:149], -1.0
	v_add_f64 v[164:165], v[162:163], 1.0
	s_delay_alu instid0(VALU_DEP_2) | instskip(NEXT) | instid1(VALU_DEP_2)
	v_add_f64 v[146:147], v[8:9], -v[146:147]
	v_add_f64 v[8:9], v[8:9], -v[164:165]
	s_delay_alu instid0(VALU_DEP_2) | instskip(NEXT) | instid1(VALU_DEP_2)
	v_add_f64 v[146:147], v[144:145], v[146:147]
	v_add_f64 v[8:9], v[144:145], v[8:9]
	s_delay_alu instid0(VALU_DEP_2) | instskip(NEXT) | instid1(VALU_DEP_2)
	v_add_f64 v[150:151], v[148:149], v[146:147]
	v_add_f64 v[164:165], v[162:163], v[8:9]
	s_delay_alu instid0(VALU_DEP_2) | instskip(SKIP_1) | instid1(VALU_DEP_2)
	v_rcp_f64_e32 v[160:161], v[150:151]
	v_add_f64 v[148:149], v[150:151], -v[148:149]
	v_add_f64 v[162:163], v[164:165], -v[162:163]
	s_delay_alu instid0(VALU_DEP_2) | instskip(SKIP_3) | instid1(VALU_DEP_2)
	v_add_f64 v[146:147], v[146:147], -v[148:149]
	s_waitcnt_depctr 0xfff
	v_fma_f64 v[210:211], -v[150:151], v[160:161], 1.0
	v_add_f64 v[8:9], v[8:9], -v[162:163]
	v_fma_f64 v[160:161], v[210:211], v[160:161], v[160:161]
	s_delay_alu instid0(VALU_DEP_1) | instskip(NEXT) | instid1(VALU_DEP_1)
	v_fma_f64 v[144:145], -v[150:151], v[160:161], 1.0
	v_fma_f64 v[144:145], v[144:145], v[160:161], v[160:161]
	s_delay_alu instid0(VALU_DEP_1) | instskip(NEXT) | instid1(VALU_DEP_1)
	v_mul_f64 v[160:161], v[164:165], v[144:145]
	v_mul_f64 v[210:211], v[150:151], v[160:161]
	s_delay_alu instid0(VALU_DEP_1) | instskip(NEXT) | instid1(VALU_DEP_1)
	v_fma_f64 v[148:149], v[160:161], v[150:151], -v[210:211]
	v_fma_f64 v[148:149], v[160:161], v[146:147], v[148:149]
	s_delay_alu instid0(VALU_DEP_1) | instskip(NEXT) | instid1(VALU_DEP_1)
	v_add_f64 v[212:213], v[210:211], v[148:149]
	v_add_f64 v[214:215], v[164:165], -v[212:213]
	v_add_f64 v[162:163], v[212:213], -v[210:211]
	s_delay_alu instid0(VALU_DEP_2) | instskip(NEXT) | instid1(VALU_DEP_2)
	v_add_f64 v[164:165], v[164:165], -v[214:215]
	v_add_f64 v[148:149], v[162:163], -v[148:149]
	s_delay_alu instid0(VALU_DEP_2) | instskip(NEXT) | instid1(VALU_DEP_1)
	v_add_f64 v[164:165], v[164:165], -v[212:213]
	v_add_f64 v[8:9], v[8:9], v[164:165]
	s_delay_alu instid0(VALU_DEP_1) | instskip(NEXT) | instid1(VALU_DEP_1)
	v_add_f64 v[8:9], v[148:149], v[8:9]
	v_add_f64 v[148:149], v[214:215], v[8:9]
	s_delay_alu instid0(VALU_DEP_1) | instskip(SKIP_1) | instid1(VALU_DEP_2)
	v_mul_f64 v[162:163], v[144:145], v[148:149]
	v_add_f64 v[212:213], v[214:215], -v[148:149]
	v_mul_f64 v[164:165], v[150:151], v[162:163]
	s_delay_alu instid0(VALU_DEP_2) | instskip(NEXT) | instid1(VALU_DEP_2)
	v_add_f64 v[8:9], v[8:9], v[212:213]
	v_fma_f64 v[150:151], v[162:163], v[150:151], -v[164:165]
	s_delay_alu instid0(VALU_DEP_1) | instskip(NEXT) | instid1(VALU_DEP_1)
	v_fma_f64 v[146:147], v[162:163], v[146:147], v[150:151]
	v_add_f64 v[150:151], v[164:165], v[146:147]
	s_delay_alu instid0(VALU_DEP_1) | instskip(SKIP_1) | instid1(VALU_DEP_2)
	v_add_f64 v[210:211], v[148:149], -v[150:151]
	v_add_f64 v[164:165], v[150:151], -v[164:165]
	;; [unrolled: 1-line block ×3, first 2 shown]
	s_delay_alu instid0(VALU_DEP_2) | instskip(NEXT) | instid1(VALU_DEP_2)
	v_add_f64 v[146:147], v[164:165], -v[146:147]
	v_add_f64 v[148:149], v[148:149], -v[150:151]
	s_delay_alu instid0(VALU_DEP_1) | instskip(SKIP_1) | instid1(VALU_DEP_2)
	v_add_f64 v[8:9], v[8:9], v[148:149]
	v_add_f64 v[148:149], v[160:161], v[162:163]
	;; [unrolled: 1-line block ×3, first 2 shown]
	s_delay_alu instid0(VALU_DEP_2) | instskip(NEXT) | instid1(VALU_DEP_2)
	v_add_f64 v[146:147], v[148:149], -v[160:161]
	v_add_f64 v[8:9], v[210:211], v[8:9]
	s_delay_alu instid0(VALU_DEP_2) | instskip(NEXT) | instid1(VALU_DEP_2)
	v_add_f64 v[146:147], v[162:163], -v[146:147]
	v_mul_f64 v[8:9], v[144:145], v[8:9]
	s_delay_alu instid0(VALU_DEP_1) | instskip(NEXT) | instid1(VALU_DEP_1)
	v_add_f64 v[8:9], v[146:147], v[8:9]
	v_add_f64 v[144:145], v[148:149], v[8:9]
	s_delay_alu instid0(VALU_DEP_1) | instskip(NEXT) | instid1(VALU_DEP_1)
	v_mul_f64 v[146:147], v[144:145], v[144:145]
	v_fma_f64 v[150:151], v[146:147], vcc, s[28:29]
	s_mov_b32 s28, 0xd7f4df2e
	s_mov_b32 s29, 0x3fc7474d
	v_mul_f64 v[160:161], v[144:145], v[146:147]
	v_cmp_eq_f64_e32 vcc_lo, 0x7ff00000, v[6:7]
	s_delay_alu instid0(VALU_DEP_3)
	v_fma_f64 v[150:151], v[146:147], v[150:151], s[28:29]
	s_mov_b32 s28, 0x16291751
	s_mov_b32 s29, 0x3fcc71c0
	s_delay_alu instid0(VALU_DEP_1) | instid1(SALU_CYCLE_1)
	v_fma_f64 v[150:151], v[146:147], v[150:151], s[28:29]
	s_mov_b32 s28, 0x9b27acf1
	s_mov_b32 s29, 0x3fd24924
	s_delay_alu instid0(VALU_DEP_1) | instid1(SALU_CYCLE_1)
	;; [unrolled: 4-line block ×3, first 2 shown]
	v_fma_f64 v[150:151], v[146:147], v[150:151], s[28:29]
	s_delay_alu instid0(VALU_DEP_1) | instskip(SKIP_2) | instid1(VALU_DEP_3)
	v_fma_f64 v[146:147], v[146:147], v[150:151], s[18:19]
	v_ldexp_f64 v[150:151], v[144:145], 1
	v_add_f64 v[144:145], v[144:145], -v[148:149]
	v_mul_f64 v[146:147], v[160:161], v[146:147]
	v_cvt_f64_i32_e32 v[160:161], v134
	s_delay_alu instid0(VALU_DEP_3) | instskip(NEXT) | instid1(VALU_DEP_3)
	v_add_f64 v[8:9], v[8:9], -v[144:145]
	v_add_f64 v[148:149], v[150:151], v[146:147]
	s_delay_alu instid0(VALU_DEP_3) | instskip(NEXT) | instid1(VALU_DEP_3)
	v_mul_f64 v[162:163], v[160:161], s[20:21]
	v_ldexp_f64 v[8:9], v[8:9], 1
	s_delay_alu instid0(VALU_DEP_3) | instskip(NEXT) | instid1(VALU_DEP_3)
	v_add_f64 v[144:145], v[148:149], -v[150:151]
	v_fma_f64 v[150:151], v[160:161], s[20:21], -v[162:163]
	s_delay_alu instid0(VALU_DEP_2) | instskip(NEXT) | instid1(VALU_DEP_2)
	v_add_f64 v[144:145], v[146:147], -v[144:145]
	v_fma_f64 v[146:147], v[160:161], s[24:25], v[150:151]
	s_delay_alu instid0(VALU_DEP_2) | instskip(NEXT) | instid1(VALU_DEP_2)
	v_add_f64 v[8:9], v[8:9], v[144:145]
	v_add_f64 v[144:145], v[162:163], v[146:147]
	s_delay_alu instid0(VALU_DEP_2) | instskip(NEXT) | instid1(VALU_DEP_2)
	v_add_f64 v[150:151], v[148:149], v[8:9]
	v_add_f64 v[162:163], v[144:145], -v[162:163]
	s_delay_alu instid0(VALU_DEP_2) | instskip(SKIP_1) | instid1(VALU_DEP_3)
	v_add_f64 v[160:161], v[144:145], v[150:151]
	v_add_f64 v[148:149], v[150:151], -v[148:149]
	v_add_f64 v[146:147], v[146:147], -v[162:163]
	s_delay_alu instid0(VALU_DEP_3) | instskip(NEXT) | instid1(VALU_DEP_3)
	v_add_f64 v[164:165], v[160:161], -v[144:145]
	v_add_f64 v[8:9], v[8:9], -v[148:149]
	s_delay_alu instid0(VALU_DEP_2) | instskip(SKIP_1) | instid1(VALU_DEP_3)
	v_add_f64 v[210:211], v[160:161], -v[164:165]
	v_add_f64 v[148:149], v[150:151], -v[164:165]
	v_add_f64 v[150:151], v[146:147], v[8:9]
	s_delay_alu instid0(VALU_DEP_3) | instskip(NEXT) | instid1(VALU_DEP_1)
	v_add_f64 v[144:145], v[144:145], -v[210:211]
	v_add_f64 v[144:145], v[148:149], v[144:145]
	s_delay_alu instid0(VALU_DEP_3) | instskip(NEXT) | instid1(VALU_DEP_2)
	v_add_f64 v[148:149], v[150:151], -v[146:147]
	v_add_f64 v[144:145], v[150:151], v[144:145]
	s_delay_alu instid0(VALU_DEP_2) | instskip(SKIP_1) | instid1(VALU_DEP_3)
	v_add_f64 v[150:151], v[150:151], -v[148:149]
	v_add_f64 v[8:9], v[8:9], -v[148:149]
	v_add_f64 v[162:163], v[160:161], v[144:145]
	s_delay_alu instid0(VALU_DEP_3) | instskip(NEXT) | instid1(VALU_DEP_2)
	v_add_f64 v[146:147], v[146:147], -v[150:151]
	v_add_f64 v[148:149], v[162:163], -v[160:161]
	s_delay_alu instid0(VALU_DEP_2) | instskip(NEXT) | instid1(VALU_DEP_2)
	v_add_f64 v[8:9], v[8:9], v[146:147]
	v_add_f64 v[144:145], v[144:145], -v[148:149]
	s_delay_alu instid0(VALU_DEP_1) | instskip(NEXT) | instid1(VALU_DEP_1)
	v_add_f64 v[8:9], v[8:9], v[144:145]
	v_add_f64 v[8:9], v[162:163], v[8:9]
	s_delay_alu instid0(VALU_DEP_1) | instskip(SKIP_1) | instid1(VALU_DEP_2)
	v_dual_cndmask_b32 v9, v9, v7 :: v_dual_cndmask_b32 v8, v8, v6
	v_cmp_ngt_f64_e32 vcc_lo, -1.0, v[6:7]
	v_cndmask_b32_e32 v9, 0x7ff80000, v9, vcc_lo
	v_cmp_nge_f64_e32 vcc_lo, -1.0, v[6:7]
	s_delay_alu instid0(VALU_DEP_4) | instskip(SKIP_1) | instid1(VALU_DEP_4)
	v_cndmask_b32_e32 v8, 0, v8, vcc_lo
	v_cmp_neq_f64_e32 vcc_lo, -1.0, v[6:7]
	v_cndmask_b32_e32 v9, 0xfff00000, v9, vcc_lo
	s_delay_alu instid0(VALU_DEP_1)
	v_add_f64 v[6:7], v[4:5], v[8:9]
.LBB56_59:
	s_or_b32 exec_lo, exec_lo, s27
	s_delay_alu instid0(VALU_DEP_1)
	v_dual_mov_b32 v4, v6 :: v_dual_mov_b32 v5, v7
	v_dual_mov_b32 v8, v6 :: v_dual_mov_b32 v9, v7
.LBB56_60:
	s_or_b32 exec_lo, exec_lo, s26
	s_delay_alu instid0(VALU_DEP_1) | instskip(NEXT) | instid1(VALU_DEP_2)
	v_mov_b32_dpp v6, v8 row_shr:4 row_mask:0xf bank_mask:0xf
	v_mov_b32_dpp v7, v9 row_shr:4 row_mask:0xf bank_mask:0xf
	s_mov_b32 s26, exec_lo
	v_cmpx_lt_u32_e32 3, v133
	s_cbranch_execz .LBB56_64
; %bb.61:
	s_delay_alu instid0(VALU_DEP_2) | instskip(SKIP_3) | instid1(VALU_DEP_3)
	v_max_f64 v[8:9], v[6:7], v[6:7]
	v_max_f64 v[144:145], v[4:5], v[4:5]
	v_cmp_u_f64_e32 vcc_lo, v[6:7], v[6:7]
	v_cmp_u_f64_e64 s18, v[4:5], v[4:5]
	v_min_f64 v[146:147], v[8:9], v[144:145]
	v_max_f64 v[8:9], v[8:9], v[144:145]
	s_delay_alu instid0(VALU_DEP_1) | instskip(NEXT) | instid1(VALU_DEP_3)
	v_dual_cndmask_b32 v134, v146, v6 :: v_dual_cndmask_b32 v145, v9, v7
	v_cndmask_b32_e32 v144, v147, v7, vcc_lo
	s_delay_alu instid0(VALU_DEP_3) | instskip(NEXT) | instid1(VALU_DEP_3)
	v_cndmask_b32_e32 v146, v8, v6, vcc_lo
	v_cndmask_b32_e64 v8, v134, v4, s18
	s_delay_alu instid0(VALU_DEP_3) | instskip(SKIP_1) | instid1(VALU_DEP_4)
	v_cndmask_b32_e64 v9, v144, v5, s18
	v_cndmask_b32_e64 v5, v145, v5, s18
	v_cndmask_b32_e64 v4, v146, v4, s18
	s_delay_alu instid0(VALU_DEP_3) | instskip(NEXT) | instid1(VALU_DEP_2)
	v_cmp_class_f64_e64 s18, v[8:9], 0x1f8
	v_cmp_neq_f64_e32 vcc_lo, v[8:9], v[4:5]
	s_delay_alu instid0(VALU_DEP_2) | instskip(NEXT) | instid1(SALU_CYCLE_1)
	s_or_b32 s18, vcc_lo, s18
	s_and_saveexec_b32 s27, s18
	s_cbranch_execz .LBB56_63
; %bb.62:
	v_add_f64 v[6:7], v[8:9], -v[4:5]
	s_mov_b32 s18, 0x652b82fe
	s_mov_b32 s19, 0x3ff71547
	;; [unrolled: 1-line block ×8, first 2 shown]
	s_delay_alu instid0(VALU_DEP_1) | instskip(SKIP_3) | instid1(VALU_DEP_2)
	v_mul_f64 v[8:9], v[6:7], s[18:19]
	s_mov_b32 s18, 0xfca7ab0c
	s_mov_b32 s19, 0x3e928af3
	v_cmp_nlt_f64_e32 vcc_lo, 0x40900000, v[6:7]
	v_rndne_f64_e32 v[8:9], v[8:9]
	s_delay_alu instid0(VALU_DEP_1) | instskip(SKIP_2) | instid1(VALU_DEP_2)
	v_fma_f64 v[144:145], v[8:9], s[20:21], v[6:7]
	v_cvt_i32_f64_e32 v134, v[8:9]
	s_mov_b32 s21, 0x3fe62e42
	v_fma_f64 v[144:145], v[8:9], s[24:25], v[144:145]
	s_mov_b32 s25, 0x3c7abc9e
	s_delay_alu instid0(VALU_DEP_1) | instskip(SKIP_4) | instid1(VALU_DEP_1)
	v_fma_f64 v[146:147], v[144:145], s[28:29], s[18:19]
	s_mov_b32 s18, 0x623fde64
	s_mov_b32 s19, 0x3ec71dee
	;; [unrolled: 1-line block ×4, first 2 shown]
	v_fma_f64 v[146:147], v[144:145], v[146:147], s[18:19]
	s_mov_b32 s18, 0x7c89e6b0
	s_mov_b32 s19, 0x3efa0199
	s_delay_alu instid0(VALU_DEP_1) | instid1(SALU_CYCLE_1)
	v_fma_f64 v[146:147], v[144:145], v[146:147], s[18:19]
	s_mov_b32 s18, 0x14761f6e
	s_mov_b32 s19, 0x3f2a01a0
	s_delay_alu instid0(VALU_DEP_1) | instid1(SALU_CYCLE_1)
	;; [unrolled: 4-line block ×7, first 2 shown]
	v_fma_f64 v[146:147], v[144:145], v[146:147], s[18:19]
	v_cmp_ngt_f64_e64 s18, 0xc090cc00, v[6:7]
	s_mov_b32 s19, 0x3fe55555
	s_delay_alu instid0(VALU_DEP_2) | instskip(NEXT) | instid1(VALU_DEP_1)
	v_fma_f64 v[146:147], v[144:145], v[146:147], 1.0
	v_fma_f64 v[8:9], v[144:145], v[146:147], 1.0
	s_delay_alu instid0(VALU_DEP_1) | instskip(NEXT) | instid1(VALU_DEP_1)
	v_ldexp_f64 v[8:9], v[8:9], v134
	v_cndmask_b32_e32 v9, 0x7ff00000, v9, vcc_lo
	s_and_b32 vcc_lo, s18, vcc_lo
	s_delay_alu instid0(VALU_DEP_1) | instskip(NEXT) | instid1(VALU_DEP_3)
	v_cndmask_b32_e64 v7, 0, v9, s18
	v_cndmask_b32_e32 v6, 0, v8, vcc_lo
	s_mov_b32 s18, 0x55555555
	s_delay_alu instid0(VALU_DEP_1) | instskip(NEXT) | instid1(VALU_DEP_1)
	v_add_f64 v[8:9], v[6:7], 1.0
	v_frexp_mant_f64_e32 v[144:145], v[8:9]
	v_frexp_exp_i32_f64_e32 v134, v[8:9]
	v_add_f64 v[146:147], v[8:9], -1.0
	s_delay_alu instid0(VALU_DEP_3) | instskip(SKIP_1) | instid1(VALU_DEP_2)
	v_cmp_gt_f64_e32 vcc_lo, s[18:19], v[144:145]
	s_mov_b32 s18, 0x55555780
	v_add_f64 v[144:145], v[146:147], -v[8:9]
	v_add_f64 v[146:147], v[6:7], -v[146:147]
	v_subrev_co_ci_u32_e32 v134, vcc_lo, 0, v134, vcc_lo
	s_delay_alu instid0(VALU_DEP_3) | instskip(SKIP_2) | instid1(VALU_DEP_2)
	v_add_f64 v[144:145], v[144:145], 1.0
	s_mov_b32 vcc_lo, 0xbf559e2b
	s_mov_b32 vcc_hi, 0x3fc3ab76
	v_sub_nc_u32_e32 v150, 0, v134
	s_delay_alu instid0(VALU_DEP_1) | instskip(NEXT) | instid1(VALU_DEP_3)
	v_ldexp_f64 v[8:9], v[8:9], v150
	v_add_f64 v[144:145], v[146:147], v[144:145]
	s_delay_alu instid0(VALU_DEP_2) | instskip(SKIP_1) | instid1(VALU_DEP_3)
	v_add_f64 v[148:149], v[8:9], 1.0
	v_add_f64 v[162:163], v[8:9], -1.0
	v_ldexp_f64 v[144:145], v[144:145], v150
	s_delay_alu instid0(VALU_DEP_3) | instskip(NEXT) | instid1(VALU_DEP_3)
	v_add_f64 v[146:147], v[148:149], -1.0
	v_add_f64 v[164:165], v[162:163], 1.0
	s_delay_alu instid0(VALU_DEP_2) | instskip(NEXT) | instid1(VALU_DEP_2)
	v_add_f64 v[146:147], v[8:9], -v[146:147]
	v_add_f64 v[8:9], v[8:9], -v[164:165]
	s_delay_alu instid0(VALU_DEP_2) | instskip(NEXT) | instid1(VALU_DEP_2)
	v_add_f64 v[146:147], v[144:145], v[146:147]
	v_add_f64 v[8:9], v[144:145], v[8:9]
	s_delay_alu instid0(VALU_DEP_2) | instskip(NEXT) | instid1(VALU_DEP_2)
	v_add_f64 v[150:151], v[148:149], v[146:147]
	v_add_f64 v[164:165], v[162:163], v[8:9]
	s_delay_alu instid0(VALU_DEP_2) | instskip(SKIP_1) | instid1(VALU_DEP_2)
	v_rcp_f64_e32 v[160:161], v[150:151]
	v_add_f64 v[148:149], v[150:151], -v[148:149]
	v_add_f64 v[162:163], v[164:165], -v[162:163]
	s_delay_alu instid0(VALU_DEP_2) | instskip(SKIP_3) | instid1(VALU_DEP_2)
	v_add_f64 v[146:147], v[146:147], -v[148:149]
	s_waitcnt_depctr 0xfff
	v_fma_f64 v[210:211], -v[150:151], v[160:161], 1.0
	v_add_f64 v[8:9], v[8:9], -v[162:163]
	v_fma_f64 v[160:161], v[210:211], v[160:161], v[160:161]
	s_delay_alu instid0(VALU_DEP_1) | instskip(NEXT) | instid1(VALU_DEP_1)
	v_fma_f64 v[144:145], -v[150:151], v[160:161], 1.0
	v_fma_f64 v[144:145], v[144:145], v[160:161], v[160:161]
	s_delay_alu instid0(VALU_DEP_1) | instskip(NEXT) | instid1(VALU_DEP_1)
	v_mul_f64 v[160:161], v[164:165], v[144:145]
	v_mul_f64 v[210:211], v[150:151], v[160:161]
	s_delay_alu instid0(VALU_DEP_1) | instskip(NEXT) | instid1(VALU_DEP_1)
	v_fma_f64 v[148:149], v[160:161], v[150:151], -v[210:211]
	v_fma_f64 v[148:149], v[160:161], v[146:147], v[148:149]
	s_delay_alu instid0(VALU_DEP_1) | instskip(NEXT) | instid1(VALU_DEP_1)
	v_add_f64 v[212:213], v[210:211], v[148:149]
	v_add_f64 v[214:215], v[164:165], -v[212:213]
	v_add_f64 v[162:163], v[212:213], -v[210:211]
	s_delay_alu instid0(VALU_DEP_2) | instskip(NEXT) | instid1(VALU_DEP_2)
	v_add_f64 v[164:165], v[164:165], -v[214:215]
	v_add_f64 v[148:149], v[162:163], -v[148:149]
	s_delay_alu instid0(VALU_DEP_2) | instskip(NEXT) | instid1(VALU_DEP_1)
	v_add_f64 v[164:165], v[164:165], -v[212:213]
	v_add_f64 v[8:9], v[8:9], v[164:165]
	s_delay_alu instid0(VALU_DEP_1) | instskip(NEXT) | instid1(VALU_DEP_1)
	v_add_f64 v[8:9], v[148:149], v[8:9]
	v_add_f64 v[148:149], v[214:215], v[8:9]
	s_delay_alu instid0(VALU_DEP_1) | instskip(SKIP_1) | instid1(VALU_DEP_2)
	v_mul_f64 v[162:163], v[144:145], v[148:149]
	v_add_f64 v[212:213], v[214:215], -v[148:149]
	v_mul_f64 v[164:165], v[150:151], v[162:163]
	s_delay_alu instid0(VALU_DEP_2) | instskip(NEXT) | instid1(VALU_DEP_2)
	v_add_f64 v[8:9], v[8:9], v[212:213]
	v_fma_f64 v[150:151], v[162:163], v[150:151], -v[164:165]
	s_delay_alu instid0(VALU_DEP_1) | instskip(NEXT) | instid1(VALU_DEP_1)
	v_fma_f64 v[146:147], v[162:163], v[146:147], v[150:151]
	v_add_f64 v[150:151], v[164:165], v[146:147]
	s_delay_alu instid0(VALU_DEP_1) | instskip(SKIP_1) | instid1(VALU_DEP_2)
	v_add_f64 v[210:211], v[148:149], -v[150:151]
	v_add_f64 v[164:165], v[150:151], -v[164:165]
	;; [unrolled: 1-line block ×3, first 2 shown]
	s_delay_alu instid0(VALU_DEP_2) | instskip(NEXT) | instid1(VALU_DEP_2)
	v_add_f64 v[146:147], v[164:165], -v[146:147]
	v_add_f64 v[148:149], v[148:149], -v[150:151]
	s_delay_alu instid0(VALU_DEP_1) | instskip(SKIP_1) | instid1(VALU_DEP_2)
	v_add_f64 v[8:9], v[8:9], v[148:149]
	v_add_f64 v[148:149], v[160:161], v[162:163]
	;; [unrolled: 1-line block ×3, first 2 shown]
	s_delay_alu instid0(VALU_DEP_2) | instskip(NEXT) | instid1(VALU_DEP_2)
	v_add_f64 v[146:147], v[148:149], -v[160:161]
	v_add_f64 v[8:9], v[210:211], v[8:9]
	s_delay_alu instid0(VALU_DEP_2) | instskip(NEXT) | instid1(VALU_DEP_2)
	v_add_f64 v[146:147], v[162:163], -v[146:147]
	v_mul_f64 v[8:9], v[144:145], v[8:9]
	s_delay_alu instid0(VALU_DEP_1) | instskip(NEXT) | instid1(VALU_DEP_1)
	v_add_f64 v[8:9], v[146:147], v[8:9]
	v_add_f64 v[144:145], v[148:149], v[8:9]
	s_delay_alu instid0(VALU_DEP_1) | instskip(NEXT) | instid1(VALU_DEP_1)
	v_mul_f64 v[146:147], v[144:145], v[144:145]
	v_fma_f64 v[150:151], v[146:147], vcc, s[28:29]
	s_mov_b32 s28, 0xd7f4df2e
	s_mov_b32 s29, 0x3fc7474d
	v_mul_f64 v[160:161], v[144:145], v[146:147]
	v_cmp_eq_f64_e32 vcc_lo, 0x7ff00000, v[6:7]
	s_delay_alu instid0(VALU_DEP_3)
	v_fma_f64 v[150:151], v[146:147], v[150:151], s[28:29]
	s_mov_b32 s28, 0x16291751
	s_mov_b32 s29, 0x3fcc71c0
	s_delay_alu instid0(VALU_DEP_1) | instid1(SALU_CYCLE_1)
	v_fma_f64 v[150:151], v[146:147], v[150:151], s[28:29]
	s_mov_b32 s28, 0x9b27acf1
	s_mov_b32 s29, 0x3fd24924
	s_delay_alu instid0(VALU_DEP_1) | instid1(SALU_CYCLE_1)
	;; [unrolled: 4-line block ×3, first 2 shown]
	v_fma_f64 v[150:151], v[146:147], v[150:151], s[28:29]
	s_delay_alu instid0(VALU_DEP_1) | instskip(SKIP_2) | instid1(VALU_DEP_3)
	v_fma_f64 v[146:147], v[146:147], v[150:151], s[18:19]
	v_ldexp_f64 v[150:151], v[144:145], 1
	v_add_f64 v[144:145], v[144:145], -v[148:149]
	v_mul_f64 v[146:147], v[160:161], v[146:147]
	v_cvt_f64_i32_e32 v[160:161], v134
	s_delay_alu instid0(VALU_DEP_3) | instskip(NEXT) | instid1(VALU_DEP_3)
	v_add_f64 v[8:9], v[8:9], -v[144:145]
	v_add_f64 v[148:149], v[150:151], v[146:147]
	s_delay_alu instid0(VALU_DEP_3) | instskip(NEXT) | instid1(VALU_DEP_3)
	v_mul_f64 v[162:163], v[160:161], s[20:21]
	v_ldexp_f64 v[8:9], v[8:9], 1
	s_delay_alu instid0(VALU_DEP_3) | instskip(NEXT) | instid1(VALU_DEP_3)
	v_add_f64 v[144:145], v[148:149], -v[150:151]
	v_fma_f64 v[150:151], v[160:161], s[20:21], -v[162:163]
	s_delay_alu instid0(VALU_DEP_2) | instskip(NEXT) | instid1(VALU_DEP_2)
	v_add_f64 v[144:145], v[146:147], -v[144:145]
	v_fma_f64 v[146:147], v[160:161], s[24:25], v[150:151]
	s_delay_alu instid0(VALU_DEP_2) | instskip(NEXT) | instid1(VALU_DEP_2)
	v_add_f64 v[8:9], v[8:9], v[144:145]
	v_add_f64 v[144:145], v[162:163], v[146:147]
	s_delay_alu instid0(VALU_DEP_2) | instskip(NEXT) | instid1(VALU_DEP_2)
	v_add_f64 v[150:151], v[148:149], v[8:9]
	v_add_f64 v[162:163], v[144:145], -v[162:163]
	s_delay_alu instid0(VALU_DEP_2) | instskip(SKIP_1) | instid1(VALU_DEP_3)
	v_add_f64 v[160:161], v[144:145], v[150:151]
	v_add_f64 v[148:149], v[150:151], -v[148:149]
	v_add_f64 v[146:147], v[146:147], -v[162:163]
	s_delay_alu instid0(VALU_DEP_3) | instskip(NEXT) | instid1(VALU_DEP_3)
	v_add_f64 v[164:165], v[160:161], -v[144:145]
	v_add_f64 v[8:9], v[8:9], -v[148:149]
	s_delay_alu instid0(VALU_DEP_2) | instskip(SKIP_1) | instid1(VALU_DEP_3)
	v_add_f64 v[210:211], v[160:161], -v[164:165]
	v_add_f64 v[148:149], v[150:151], -v[164:165]
	v_add_f64 v[150:151], v[146:147], v[8:9]
	s_delay_alu instid0(VALU_DEP_3) | instskip(NEXT) | instid1(VALU_DEP_1)
	v_add_f64 v[144:145], v[144:145], -v[210:211]
	v_add_f64 v[144:145], v[148:149], v[144:145]
	s_delay_alu instid0(VALU_DEP_3) | instskip(NEXT) | instid1(VALU_DEP_2)
	v_add_f64 v[148:149], v[150:151], -v[146:147]
	v_add_f64 v[144:145], v[150:151], v[144:145]
	s_delay_alu instid0(VALU_DEP_2) | instskip(SKIP_1) | instid1(VALU_DEP_3)
	v_add_f64 v[150:151], v[150:151], -v[148:149]
	v_add_f64 v[8:9], v[8:9], -v[148:149]
	v_add_f64 v[162:163], v[160:161], v[144:145]
	s_delay_alu instid0(VALU_DEP_3) | instskip(NEXT) | instid1(VALU_DEP_2)
	v_add_f64 v[146:147], v[146:147], -v[150:151]
	v_add_f64 v[148:149], v[162:163], -v[160:161]
	s_delay_alu instid0(VALU_DEP_2) | instskip(NEXT) | instid1(VALU_DEP_2)
	v_add_f64 v[8:9], v[8:9], v[146:147]
	v_add_f64 v[144:145], v[144:145], -v[148:149]
	s_delay_alu instid0(VALU_DEP_1) | instskip(NEXT) | instid1(VALU_DEP_1)
	v_add_f64 v[8:9], v[8:9], v[144:145]
	v_add_f64 v[8:9], v[162:163], v[8:9]
	s_delay_alu instid0(VALU_DEP_1) | instskip(SKIP_1) | instid1(VALU_DEP_2)
	v_dual_cndmask_b32 v9, v9, v7 :: v_dual_cndmask_b32 v8, v8, v6
	v_cmp_ngt_f64_e32 vcc_lo, -1.0, v[6:7]
	v_cndmask_b32_e32 v9, 0x7ff80000, v9, vcc_lo
	v_cmp_nge_f64_e32 vcc_lo, -1.0, v[6:7]
	s_delay_alu instid0(VALU_DEP_4) | instskip(SKIP_1) | instid1(VALU_DEP_4)
	v_cndmask_b32_e32 v8, 0, v8, vcc_lo
	v_cmp_neq_f64_e32 vcc_lo, -1.0, v[6:7]
	v_cndmask_b32_e32 v9, 0xfff00000, v9, vcc_lo
	s_delay_alu instid0(VALU_DEP_1)
	v_add_f64 v[6:7], v[4:5], v[8:9]
.LBB56_63:
	s_or_b32 exec_lo, exec_lo, s27
	s_delay_alu instid0(VALU_DEP_1)
	v_dual_mov_b32 v4, v6 :: v_dual_mov_b32 v5, v7
	v_dual_mov_b32 v8, v6 :: v_dual_mov_b32 v9, v7
.LBB56_64:
	s_or_b32 exec_lo, exec_lo, s26
	s_delay_alu instid0(VALU_DEP_1) | instskip(NEXT) | instid1(VALU_DEP_2)
	v_mov_b32_dpp v6, v8 row_shr:8 row_mask:0xf bank_mask:0xf
	v_mov_b32_dpp v7, v9 row_shr:8 row_mask:0xf bank_mask:0xf
	s_mov_b32 s26, exec_lo
	v_cmpx_lt_u32_e32 7, v133
	s_cbranch_execz .LBB56_68
; %bb.65:
	s_delay_alu instid0(VALU_DEP_2) | instskip(SKIP_3) | instid1(VALU_DEP_3)
	v_max_f64 v[8:9], v[6:7], v[6:7]
	v_max_f64 v[133:134], v[4:5], v[4:5]
	v_cmp_u_f64_e32 vcc_lo, v[6:7], v[6:7]
	v_cmp_u_f64_e64 s18, v[4:5], v[4:5]
	v_min_f64 v[144:145], v[8:9], v[133:134]
	v_max_f64 v[8:9], v[8:9], v[133:134]
	s_delay_alu instid0(VALU_DEP_2) | instskip(NEXT) | instid1(VALU_DEP_2)
	v_dual_cndmask_b32 v133, v144, v6 :: v_dual_cndmask_b32 v134, v145, v7
	v_dual_cndmask_b32 v144, v9, v7 :: v_dual_cndmask_b32 v145, v8, v6
	s_delay_alu instid0(VALU_DEP_2) | instskip(NEXT) | instid1(VALU_DEP_3)
	v_cndmask_b32_e64 v8, v133, v4, s18
	v_cndmask_b32_e64 v9, v134, v5, s18
	s_delay_alu instid0(VALU_DEP_3) | instskip(NEXT) | instid1(VALU_DEP_4)
	v_cndmask_b32_e64 v5, v144, v5, s18
	v_cndmask_b32_e64 v4, v145, v4, s18
	s_delay_alu instid0(VALU_DEP_3) | instskip(NEXT) | instid1(VALU_DEP_2)
	v_cmp_class_f64_e64 s18, v[8:9], 0x1f8
	v_cmp_neq_f64_e32 vcc_lo, v[8:9], v[4:5]
	s_delay_alu instid0(VALU_DEP_2) | instskip(NEXT) | instid1(SALU_CYCLE_1)
	s_or_b32 s18, vcc_lo, s18
	s_and_saveexec_b32 s27, s18
	s_cbranch_execz .LBB56_67
; %bb.66:
	v_add_f64 v[6:7], v[8:9], -v[4:5]
	s_mov_b32 s18, 0x652b82fe
	s_mov_b32 s19, 0x3ff71547
	;; [unrolled: 1-line block ×8, first 2 shown]
	s_delay_alu instid0(VALU_DEP_1) | instskip(SKIP_3) | instid1(VALU_DEP_2)
	v_mul_f64 v[8:9], v[6:7], s[18:19]
	s_mov_b32 s18, 0xfca7ab0c
	s_mov_b32 s19, 0x3e928af3
	v_cmp_nlt_f64_e32 vcc_lo, 0x40900000, v[6:7]
	v_rndne_f64_e32 v[8:9], v[8:9]
	s_delay_alu instid0(VALU_DEP_1) | instskip(SKIP_2) | instid1(VALU_DEP_2)
	v_fma_f64 v[133:134], v[8:9], s[20:21], v[6:7]
	v_cvt_i32_f64_e32 v146, v[8:9]
	s_mov_b32 s21, 0x3fe62e42
	v_fma_f64 v[133:134], v[8:9], s[24:25], v[133:134]
	s_mov_b32 s25, 0x3c7abc9e
	s_delay_alu instid0(VALU_DEP_1) | instskip(SKIP_4) | instid1(VALU_DEP_1)
	v_fma_f64 v[144:145], v[133:134], s[28:29], s[18:19]
	s_mov_b32 s18, 0x623fde64
	s_mov_b32 s19, 0x3ec71dee
	;; [unrolled: 1-line block ×4, first 2 shown]
	v_fma_f64 v[144:145], v[133:134], v[144:145], s[18:19]
	s_mov_b32 s18, 0x7c89e6b0
	s_mov_b32 s19, 0x3efa0199
	s_delay_alu instid0(VALU_DEP_1) | instid1(SALU_CYCLE_1)
	v_fma_f64 v[144:145], v[133:134], v[144:145], s[18:19]
	s_mov_b32 s18, 0x14761f6e
	s_mov_b32 s19, 0x3f2a01a0
	s_delay_alu instid0(VALU_DEP_1) | instid1(SALU_CYCLE_1)
	;; [unrolled: 4-line block ×7, first 2 shown]
	v_fma_f64 v[144:145], v[133:134], v[144:145], s[18:19]
	v_cmp_ngt_f64_e64 s18, 0xc090cc00, v[6:7]
	s_mov_b32 s19, 0x3fe55555
	s_delay_alu instid0(VALU_DEP_2) | instskip(NEXT) | instid1(VALU_DEP_1)
	v_fma_f64 v[144:145], v[133:134], v[144:145], 1.0
	v_fma_f64 v[8:9], v[133:134], v[144:145], 1.0
	s_delay_alu instid0(VALU_DEP_1) | instskip(NEXT) | instid1(VALU_DEP_1)
	v_ldexp_f64 v[8:9], v[8:9], v146
	v_cndmask_b32_e32 v9, 0x7ff00000, v9, vcc_lo
	s_and_b32 vcc_lo, s18, vcc_lo
	s_delay_alu instid0(VALU_DEP_1) | instskip(NEXT) | instid1(VALU_DEP_3)
	v_cndmask_b32_e64 v7, 0, v9, s18
	v_cndmask_b32_e32 v6, 0, v8, vcc_lo
	s_mov_b32 s18, 0x55555555
	s_delay_alu instid0(VALU_DEP_1) | instskip(NEXT) | instid1(VALU_DEP_1)
	v_add_f64 v[8:9], v[6:7], 1.0
	v_frexp_mant_f64_e32 v[133:134], v[8:9]
	v_frexp_exp_i32_f64_e32 v146, v[8:9]
	v_add_f64 v[144:145], v[8:9], -1.0
	s_delay_alu instid0(VALU_DEP_3) | instskip(SKIP_1) | instid1(VALU_DEP_2)
	v_cmp_gt_f64_e32 vcc_lo, s[18:19], v[133:134]
	s_mov_b32 s18, 0x55555780
	v_add_f64 v[133:134], v[144:145], -v[8:9]
	v_add_f64 v[144:145], v[6:7], -v[144:145]
	v_subrev_co_ci_u32_e32 v166, vcc_lo, 0, v146, vcc_lo
	s_delay_alu instid0(VALU_DEP_3) | instskip(SKIP_2) | instid1(VALU_DEP_2)
	v_add_f64 v[133:134], v[133:134], 1.0
	s_mov_b32 vcc_lo, 0xbf559e2b
	s_mov_b32 vcc_hi, 0x3fc3ab76
	v_sub_nc_u32_e32 v148, 0, v166
	s_delay_alu instid0(VALU_DEP_1) | instskip(NEXT) | instid1(VALU_DEP_3)
	v_ldexp_f64 v[8:9], v[8:9], v148
	v_add_f64 v[133:134], v[144:145], v[133:134]
	s_delay_alu instid0(VALU_DEP_2) | instskip(SKIP_1) | instid1(VALU_DEP_3)
	v_add_f64 v[146:147], v[8:9], 1.0
	v_add_f64 v[160:161], v[8:9], -1.0
	v_ldexp_f64 v[133:134], v[133:134], v148
	s_delay_alu instid0(VALU_DEP_3) | instskip(NEXT) | instid1(VALU_DEP_3)
	v_add_f64 v[144:145], v[146:147], -1.0
	v_add_f64 v[162:163], v[160:161], 1.0
	s_delay_alu instid0(VALU_DEP_2) | instskip(NEXT) | instid1(VALU_DEP_2)
	v_add_f64 v[144:145], v[8:9], -v[144:145]
	v_add_f64 v[8:9], v[8:9], -v[162:163]
	s_delay_alu instid0(VALU_DEP_2) | instskip(NEXT) | instid1(VALU_DEP_2)
	v_add_f64 v[144:145], v[133:134], v[144:145]
	v_add_f64 v[8:9], v[133:134], v[8:9]
	s_delay_alu instid0(VALU_DEP_2) | instskip(NEXT) | instid1(VALU_DEP_2)
	v_add_f64 v[148:149], v[146:147], v[144:145]
	v_add_f64 v[162:163], v[160:161], v[8:9]
	s_delay_alu instid0(VALU_DEP_2) | instskip(SKIP_1) | instid1(VALU_DEP_2)
	v_rcp_f64_e32 v[150:151], v[148:149]
	v_add_f64 v[146:147], v[148:149], -v[146:147]
	v_add_f64 v[160:161], v[162:163], -v[160:161]
	s_delay_alu instid0(VALU_DEP_2) | instskip(SKIP_3) | instid1(VALU_DEP_2)
	v_add_f64 v[144:145], v[144:145], -v[146:147]
	s_waitcnt_depctr 0xfff
	v_fma_f64 v[164:165], -v[148:149], v[150:151], 1.0
	v_add_f64 v[8:9], v[8:9], -v[160:161]
	v_fma_f64 v[150:151], v[164:165], v[150:151], v[150:151]
	s_delay_alu instid0(VALU_DEP_1) | instskip(NEXT) | instid1(VALU_DEP_1)
	v_fma_f64 v[133:134], -v[148:149], v[150:151], 1.0
	v_fma_f64 v[133:134], v[133:134], v[150:151], v[150:151]
	s_delay_alu instid0(VALU_DEP_1) | instskip(NEXT) | instid1(VALU_DEP_1)
	v_mul_f64 v[150:151], v[162:163], v[133:134]
	v_mul_f64 v[164:165], v[148:149], v[150:151]
	s_delay_alu instid0(VALU_DEP_1) | instskip(NEXT) | instid1(VALU_DEP_1)
	v_fma_f64 v[146:147], v[150:151], v[148:149], -v[164:165]
	v_fma_f64 v[146:147], v[150:151], v[144:145], v[146:147]
	s_delay_alu instid0(VALU_DEP_1) | instskip(NEXT) | instid1(VALU_DEP_1)
	v_add_f64 v[210:211], v[164:165], v[146:147]
	v_add_f64 v[212:213], v[162:163], -v[210:211]
	v_add_f64 v[160:161], v[210:211], -v[164:165]
	s_delay_alu instid0(VALU_DEP_2) | instskip(NEXT) | instid1(VALU_DEP_2)
	v_add_f64 v[162:163], v[162:163], -v[212:213]
	v_add_f64 v[146:147], v[160:161], -v[146:147]
	s_delay_alu instid0(VALU_DEP_2) | instskip(NEXT) | instid1(VALU_DEP_1)
	v_add_f64 v[162:163], v[162:163], -v[210:211]
	v_add_f64 v[8:9], v[8:9], v[162:163]
	s_delay_alu instid0(VALU_DEP_1) | instskip(NEXT) | instid1(VALU_DEP_1)
	v_add_f64 v[8:9], v[146:147], v[8:9]
	v_add_f64 v[146:147], v[212:213], v[8:9]
	s_delay_alu instid0(VALU_DEP_1) | instskip(SKIP_1) | instid1(VALU_DEP_2)
	v_mul_f64 v[160:161], v[133:134], v[146:147]
	v_add_f64 v[210:211], v[212:213], -v[146:147]
	v_mul_f64 v[162:163], v[148:149], v[160:161]
	s_delay_alu instid0(VALU_DEP_2) | instskip(NEXT) | instid1(VALU_DEP_2)
	v_add_f64 v[8:9], v[8:9], v[210:211]
	v_fma_f64 v[148:149], v[160:161], v[148:149], -v[162:163]
	s_delay_alu instid0(VALU_DEP_1) | instskip(NEXT) | instid1(VALU_DEP_1)
	v_fma_f64 v[144:145], v[160:161], v[144:145], v[148:149]
	v_add_f64 v[148:149], v[162:163], v[144:145]
	s_delay_alu instid0(VALU_DEP_1) | instskip(SKIP_1) | instid1(VALU_DEP_2)
	v_add_f64 v[164:165], v[146:147], -v[148:149]
	v_add_f64 v[162:163], v[148:149], -v[162:163]
	;; [unrolled: 1-line block ×3, first 2 shown]
	s_delay_alu instid0(VALU_DEP_2) | instskip(NEXT) | instid1(VALU_DEP_2)
	v_add_f64 v[144:145], v[162:163], -v[144:145]
	v_add_f64 v[146:147], v[146:147], -v[148:149]
	s_delay_alu instid0(VALU_DEP_1) | instskip(SKIP_1) | instid1(VALU_DEP_2)
	v_add_f64 v[8:9], v[8:9], v[146:147]
	v_add_f64 v[146:147], v[150:151], v[160:161]
	;; [unrolled: 1-line block ×3, first 2 shown]
	s_delay_alu instid0(VALU_DEP_2) | instskip(NEXT) | instid1(VALU_DEP_2)
	v_add_f64 v[144:145], v[146:147], -v[150:151]
	v_add_f64 v[8:9], v[164:165], v[8:9]
	s_delay_alu instid0(VALU_DEP_2) | instskip(NEXT) | instid1(VALU_DEP_2)
	v_add_f64 v[144:145], v[160:161], -v[144:145]
	v_mul_f64 v[8:9], v[133:134], v[8:9]
	s_delay_alu instid0(VALU_DEP_1) | instskip(NEXT) | instid1(VALU_DEP_1)
	v_add_f64 v[8:9], v[144:145], v[8:9]
	v_add_f64 v[133:134], v[146:147], v[8:9]
	s_delay_alu instid0(VALU_DEP_1) | instskip(NEXT) | instid1(VALU_DEP_1)
	v_mul_f64 v[144:145], v[133:134], v[133:134]
	v_fma_f64 v[148:149], v[144:145], vcc, s[28:29]
	s_mov_b32 s28, 0xd7f4df2e
	s_mov_b32 s29, 0x3fc7474d
	v_mul_f64 v[150:151], v[133:134], v[144:145]
	v_cmp_eq_f64_e32 vcc_lo, 0x7ff00000, v[6:7]
	s_delay_alu instid0(VALU_DEP_3)
	v_fma_f64 v[148:149], v[144:145], v[148:149], s[28:29]
	s_mov_b32 s28, 0x16291751
	s_mov_b32 s29, 0x3fcc71c0
	s_delay_alu instid0(VALU_DEP_1) | instid1(SALU_CYCLE_1)
	v_fma_f64 v[148:149], v[144:145], v[148:149], s[28:29]
	s_mov_b32 s28, 0x9b27acf1
	s_mov_b32 s29, 0x3fd24924
	s_delay_alu instid0(VALU_DEP_1) | instid1(SALU_CYCLE_1)
	;; [unrolled: 4-line block ×3, first 2 shown]
	v_fma_f64 v[148:149], v[144:145], v[148:149], s[28:29]
	s_delay_alu instid0(VALU_DEP_1) | instskip(SKIP_2) | instid1(VALU_DEP_3)
	v_fma_f64 v[144:145], v[144:145], v[148:149], s[18:19]
	v_ldexp_f64 v[148:149], v[133:134], 1
	v_add_f64 v[133:134], v[133:134], -v[146:147]
	v_mul_f64 v[144:145], v[150:151], v[144:145]
	v_cvt_f64_i32_e32 v[150:151], v166
	s_delay_alu instid0(VALU_DEP_3) | instskip(NEXT) | instid1(VALU_DEP_3)
	v_add_f64 v[8:9], v[8:9], -v[133:134]
	v_add_f64 v[146:147], v[148:149], v[144:145]
	s_delay_alu instid0(VALU_DEP_3) | instskip(NEXT) | instid1(VALU_DEP_3)
	v_mul_f64 v[160:161], v[150:151], s[20:21]
	v_ldexp_f64 v[8:9], v[8:9], 1
	s_delay_alu instid0(VALU_DEP_3) | instskip(NEXT) | instid1(VALU_DEP_3)
	v_add_f64 v[133:134], v[146:147], -v[148:149]
	v_fma_f64 v[148:149], v[150:151], s[20:21], -v[160:161]
	s_delay_alu instid0(VALU_DEP_2) | instskip(NEXT) | instid1(VALU_DEP_2)
	v_add_f64 v[133:134], v[144:145], -v[133:134]
	v_fma_f64 v[144:145], v[150:151], s[24:25], v[148:149]
	s_delay_alu instid0(VALU_DEP_2) | instskip(NEXT) | instid1(VALU_DEP_2)
	v_add_f64 v[8:9], v[8:9], v[133:134]
	v_add_f64 v[133:134], v[160:161], v[144:145]
	s_delay_alu instid0(VALU_DEP_2) | instskip(NEXT) | instid1(VALU_DEP_2)
	v_add_f64 v[148:149], v[146:147], v[8:9]
	v_add_f64 v[160:161], v[133:134], -v[160:161]
	s_delay_alu instid0(VALU_DEP_2) | instskip(SKIP_1) | instid1(VALU_DEP_3)
	v_add_f64 v[150:151], v[133:134], v[148:149]
	v_add_f64 v[146:147], v[148:149], -v[146:147]
	v_add_f64 v[144:145], v[144:145], -v[160:161]
	s_delay_alu instid0(VALU_DEP_3) | instskip(NEXT) | instid1(VALU_DEP_3)
	v_add_f64 v[162:163], v[150:151], -v[133:134]
	v_add_f64 v[8:9], v[8:9], -v[146:147]
	s_delay_alu instid0(VALU_DEP_2) | instskip(SKIP_1) | instid1(VALU_DEP_3)
	v_add_f64 v[164:165], v[150:151], -v[162:163]
	v_add_f64 v[146:147], v[148:149], -v[162:163]
	v_add_f64 v[148:149], v[144:145], v[8:9]
	s_delay_alu instid0(VALU_DEP_3) | instskip(NEXT) | instid1(VALU_DEP_1)
	v_add_f64 v[133:134], v[133:134], -v[164:165]
	v_add_f64 v[133:134], v[146:147], v[133:134]
	s_delay_alu instid0(VALU_DEP_3) | instskip(NEXT) | instid1(VALU_DEP_2)
	v_add_f64 v[146:147], v[148:149], -v[144:145]
	v_add_f64 v[133:134], v[148:149], v[133:134]
	s_delay_alu instid0(VALU_DEP_2) | instskip(SKIP_1) | instid1(VALU_DEP_3)
	v_add_f64 v[148:149], v[148:149], -v[146:147]
	v_add_f64 v[8:9], v[8:9], -v[146:147]
	v_add_f64 v[160:161], v[150:151], v[133:134]
	s_delay_alu instid0(VALU_DEP_3) | instskip(NEXT) | instid1(VALU_DEP_2)
	v_add_f64 v[144:145], v[144:145], -v[148:149]
	v_add_f64 v[146:147], v[160:161], -v[150:151]
	s_delay_alu instid0(VALU_DEP_2) | instskip(NEXT) | instid1(VALU_DEP_2)
	v_add_f64 v[8:9], v[8:9], v[144:145]
	v_add_f64 v[133:134], v[133:134], -v[146:147]
	s_delay_alu instid0(VALU_DEP_1) | instskip(NEXT) | instid1(VALU_DEP_1)
	v_add_f64 v[8:9], v[8:9], v[133:134]
	v_add_f64 v[8:9], v[160:161], v[8:9]
	s_delay_alu instid0(VALU_DEP_1) | instskip(SKIP_1) | instid1(VALU_DEP_2)
	v_dual_cndmask_b32 v9, v9, v7 :: v_dual_cndmask_b32 v8, v8, v6
	v_cmp_ngt_f64_e32 vcc_lo, -1.0, v[6:7]
	v_cndmask_b32_e32 v9, 0x7ff80000, v9, vcc_lo
	v_cmp_nge_f64_e32 vcc_lo, -1.0, v[6:7]
	s_delay_alu instid0(VALU_DEP_4) | instskip(SKIP_1) | instid1(VALU_DEP_4)
	v_cndmask_b32_e32 v8, 0, v8, vcc_lo
	v_cmp_neq_f64_e32 vcc_lo, -1.0, v[6:7]
	v_cndmask_b32_e32 v9, 0xfff00000, v9, vcc_lo
	s_delay_alu instid0(VALU_DEP_1)
	v_add_f64 v[6:7], v[4:5], v[8:9]
.LBB56_67:
	s_or_b32 exec_lo, exec_lo, s27
	s_delay_alu instid0(VALU_DEP_1)
	v_dual_mov_b32 v8, v6 :: v_dual_mov_b32 v9, v7
	v_dual_mov_b32 v4, v6 :: v_dual_mov_b32 v5, v7
.LBB56_68:
	s_or_b32 exec_lo, exec_lo, s26
	ds_swizzle_b32 v6, v8 offset:swizzle(BROADCAST,32,15)
	ds_swizzle_b32 v7, v9 offset:swizzle(BROADCAST,32,15)
	v_and_b32_e32 v8, 16, v209
	s_mov_b32 s26, exec_lo
	s_delay_alu instid0(VALU_DEP_1)
	v_cmpx_ne_u32_e32 0, v8
	s_cbranch_execz .LBB56_72
; %bb.69:
	s_waitcnt lgkmcnt(0)
	v_max_f64 v[8:9], v[6:7], v[6:7]
	v_max_f64 v[133:134], v[4:5], v[4:5]
	v_cmp_u_f64_e32 vcc_lo, v[6:7], v[6:7]
	v_cmp_u_f64_e64 s18, v[4:5], v[4:5]
	s_delay_alu instid0(VALU_DEP_3) | instskip(SKIP_1) | instid1(VALU_DEP_2)
	v_min_f64 v[144:145], v[8:9], v[133:134]
	v_max_f64 v[8:9], v[8:9], v[133:134]
	v_dual_cndmask_b32 v133, v144, v6 :: v_dual_cndmask_b32 v134, v145, v7
	s_delay_alu instid0(VALU_DEP_2) | instskip(NEXT) | instid1(VALU_DEP_2)
	v_dual_cndmask_b32 v144, v9, v7 :: v_dual_cndmask_b32 v145, v8, v6
	v_cndmask_b32_e64 v8, v133, v4, s18
	s_delay_alu instid0(VALU_DEP_3) | instskip(NEXT) | instid1(VALU_DEP_3)
	v_cndmask_b32_e64 v9, v134, v5, s18
	v_cndmask_b32_e64 v5, v144, v5, s18
	s_delay_alu instid0(VALU_DEP_4) | instskip(NEXT) | instid1(VALU_DEP_3)
	v_cndmask_b32_e64 v4, v145, v4, s18
	v_cmp_class_f64_e64 s18, v[8:9], 0x1f8
	s_delay_alu instid0(VALU_DEP_2) | instskip(NEXT) | instid1(VALU_DEP_2)
	v_cmp_neq_f64_e32 vcc_lo, v[8:9], v[4:5]
	s_or_b32 s18, vcc_lo, s18
	s_delay_alu instid0(SALU_CYCLE_1)
	s_and_saveexec_b32 s27, s18
	s_cbranch_execz .LBB56_71
; %bb.70:
	v_add_f64 v[6:7], v[8:9], -v[4:5]
	s_mov_b32 s18, 0x652b82fe
	s_mov_b32 s19, 0x3ff71547
	;; [unrolled: 1-line block ×8, first 2 shown]
	s_delay_alu instid0(VALU_DEP_1) | instskip(SKIP_3) | instid1(VALU_DEP_2)
	v_mul_f64 v[8:9], v[6:7], s[18:19]
	s_mov_b32 s18, 0xfca7ab0c
	s_mov_b32 s19, 0x3e928af3
	v_cmp_nlt_f64_e32 vcc_lo, 0x40900000, v[6:7]
	v_rndne_f64_e32 v[8:9], v[8:9]
	s_delay_alu instid0(VALU_DEP_1) | instskip(SKIP_2) | instid1(VALU_DEP_2)
	v_fma_f64 v[133:134], v[8:9], s[20:21], v[6:7]
	v_cvt_i32_f64_e32 v146, v[8:9]
	s_mov_b32 s21, 0x3fe62e42
	v_fma_f64 v[133:134], v[8:9], s[24:25], v[133:134]
	s_mov_b32 s25, 0x3c7abc9e
	s_delay_alu instid0(VALU_DEP_1) | instskip(SKIP_4) | instid1(VALU_DEP_1)
	v_fma_f64 v[144:145], v[133:134], s[28:29], s[18:19]
	s_mov_b32 s18, 0x623fde64
	s_mov_b32 s19, 0x3ec71dee
	;; [unrolled: 1-line block ×4, first 2 shown]
	v_fma_f64 v[144:145], v[133:134], v[144:145], s[18:19]
	s_mov_b32 s18, 0x7c89e6b0
	s_mov_b32 s19, 0x3efa0199
	s_delay_alu instid0(VALU_DEP_1) | instid1(SALU_CYCLE_1)
	v_fma_f64 v[144:145], v[133:134], v[144:145], s[18:19]
	s_mov_b32 s18, 0x14761f6e
	s_mov_b32 s19, 0x3f2a01a0
	s_delay_alu instid0(VALU_DEP_1) | instid1(SALU_CYCLE_1)
	;; [unrolled: 4-line block ×7, first 2 shown]
	v_fma_f64 v[144:145], v[133:134], v[144:145], s[18:19]
	v_cmp_ngt_f64_e64 s18, 0xc090cc00, v[6:7]
	s_mov_b32 s19, 0x3fe55555
	s_delay_alu instid0(VALU_DEP_2) | instskip(NEXT) | instid1(VALU_DEP_1)
	v_fma_f64 v[144:145], v[133:134], v[144:145], 1.0
	v_fma_f64 v[8:9], v[133:134], v[144:145], 1.0
	s_delay_alu instid0(VALU_DEP_1) | instskip(NEXT) | instid1(VALU_DEP_1)
	v_ldexp_f64 v[8:9], v[8:9], v146
	v_cndmask_b32_e32 v9, 0x7ff00000, v9, vcc_lo
	s_and_b32 vcc_lo, s18, vcc_lo
	s_delay_alu instid0(VALU_DEP_1) | instskip(NEXT) | instid1(VALU_DEP_3)
	v_cndmask_b32_e64 v7, 0, v9, s18
	v_cndmask_b32_e32 v6, 0, v8, vcc_lo
	s_mov_b32 s18, 0x55555555
	s_delay_alu instid0(VALU_DEP_1) | instskip(NEXT) | instid1(VALU_DEP_1)
	v_add_f64 v[8:9], v[6:7], 1.0
	v_frexp_mant_f64_e32 v[133:134], v[8:9]
	v_frexp_exp_i32_f64_e32 v146, v[8:9]
	v_add_f64 v[144:145], v[8:9], -1.0
	s_delay_alu instid0(VALU_DEP_3) | instskip(SKIP_1) | instid1(VALU_DEP_2)
	v_cmp_gt_f64_e32 vcc_lo, s[18:19], v[133:134]
	s_mov_b32 s18, 0x55555780
	v_add_f64 v[133:134], v[144:145], -v[8:9]
	v_add_f64 v[144:145], v[6:7], -v[144:145]
	v_subrev_co_ci_u32_e32 v166, vcc_lo, 0, v146, vcc_lo
	s_delay_alu instid0(VALU_DEP_3) | instskip(SKIP_2) | instid1(VALU_DEP_2)
	v_add_f64 v[133:134], v[133:134], 1.0
	s_mov_b32 vcc_lo, 0xbf559e2b
	s_mov_b32 vcc_hi, 0x3fc3ab76
	v_sub_nc_u32_e32 v148, 0, v166
	s_delay_alu instid0(VALU_DEP_1) | instskip(NEXT) | instid1(VALU_DEP_3)
	v_ldexp_f64 v[8:9], v[8:9], v148
	v_add_f64 v[133:134], v[144:145], v[133:134]
	s_delay_alu instid0(VALU_DEP_2) | instskip(SKIP_1) | instid1(VALU_DEP_3)
	v_add_f64 v[146:147], v[8:9], 1.0
	v_add_f64 v[160:161], v[8:9], -1.0
	v_ldexp_f64 v[133:134], v[133:134], v148
	s_delay_alu instid0(VALU_DEP_3) | instskip(NEXT) | instid1(VALU_DEP_3)
	v_add_f64 v[144:145], v[146:147], -1.0
	v_add_f64 v[162:163], v[160:161], 1.0
	s_delay_alu instid0(VALU_DEP_2) | instskip(NEXT) | instid1(VALU_DEP_2)
	v_add_f64 v[144:145], v[8:9], -v[144:145]
	v_add_f64 v[8:9], v[8:9], -v[162:163]
	s_delay_alu instid0(VALU_DEP_2) | instskip(NEXT) | instid1(VALU_DEP_2)
	v_add_f64 v[144:145], v[133:134], v[144:145]
	v_add_f64 v[8:9], v[133:134], v[8:9]
	s_delay_alu instid0(VALU_DEP_2) | instskip(NEXT) | instid1(VALU_DEP_2)
	v_add_f64 v[148:149], v[146:147], v[144:145]
	v_add_f64 v[162:163], v[160:161], v[8:9]
	s_delay_alu instid0(VALU_DEP_2) | instskip(SKIP_1) | instid1(VALU_DEP_2)
	v_rcp_f64_e32 v[150:151], v[148:149]
	v_add_f64 v[146:147], v[148:149], -v[146:147]
	v_add_f64 v[160:161], v[162:163], -v[160:161]
	s_delay_alu instid0(VALU_DEP_2) | instskip(SKIP_3) | instid1(VALU_DEP_2)
	v_add_f64 v[144:145], v[144:145], -v[146:147]
	s_waitcnt_depctr 0xfff
	v_fma_f64 v[164:165], -v[148:149], v[150:151], 1.0
	v_add_f64 v[8:9], v[8:9], -v[160:161]
	v_fma_f64 v[150:151], v[164:165], v[150:151], v[150:151]
	s_delay_alu instid0(VALU_DEP_1) | instskip(NEXT) | instid1(VALU_DEP_1)
	v_fma_f64 v[133:134], -v[148:149], v[150:151], 1.0
	v_fma_f64 v[133:134], v[133:134], v[150:151], v[150:151]
	s_delay_alu instid0(VALU_DEP_1) | instskip(NEXT) | instid1(VALU_DEP_1)
	v_mul_f64 v[150:151], v[162:163], v[133:134]
	v_mul_f64 v[164:165], v[148:149], v[150:151]
	s_delay_alu instid0(VALU_DEP_1) | instskip(NEXT) | instid1(VALU_DEP_1)
	v_fma_f64 v[146:147], v[150:151], v[148:149], -v[164:165]
	v_fma_f64 v[146:147], v[150:151], v[144:145], v[146:147]
	s_delay_alu instid0(VALU_DEP_1) | instskip(NEXT) | instid1(VALU_DEP_1)
	v_add_f64 v[210:211], v[164:165], v[146:147]
	v_add_f64 v[212:213], v[162:163], -v[210:211]
	v_add_f64 v[160:161], v[210:211], -v[164:165]
	s_delay_alu instid0(VALU_DEP_2) | instskip(NEXT) | instid1(VALU_DEP_2)
	v_add_f64 v[162:163], v[162:163], -v[212:213]
	v_add_f64 v[146:147], v[160:161], -v[146:147]
	s_delay_alu instid0(VALU_DEP_2) | instskip(NEXT) | instid1(VALU_DEP_1)
	v_add_f64 v[162:163], v[162:163], -v[210:211]
	v_add_f64 v[8:9], v[8:9], v[162:163]
	s_delay_alu instid0(VALU_DEP_1) | instskip(NEXT) | instid1(VALU_DEP_1)
	v_add_f64 v[8:9], v[146:147], v[8:9]
	v_add_f64 v[146:147], v[212:213], v[8:9]
	s_delay_alu instid0(VALU_DEP_1) | instskip(SKIP_1) | instid1(VALU_DEP_2)
	v_mul_f64 v[160:161], v[133:134], v[146:147]
	v_add_f64 v[210:211], v[212:213], -v[146:147]
	v_mul_f64 v[162:163], v[148:149], v[160:161]
	s_delay_alu instid0(VALU_DEP_2) | instskip(NEXT) | instid1(VALU_DEP_2)
	v_add_f64 v[8:9], v[8:9], v[210:211]
	v_fma_f64 v[148:149], v[160:161], v[148:149], -v[162:163]
	s_delay_alu instid0(VALU_DEP_1) | instskip(NEXT) | instid1(VALU_DEP_1)
	v_fma_f64 v[144:145], v[160:161], v[144:145], v[148:149]
	v_add_f64 v[148:149], v[162:163], v[144:145]
	s_delay_alu instid0(VALU_DEP_1) | instskip(SKIP_1) | instid1(VALU_DEP_2)
	v_add_f64 v[164:165], v[146:147], -v[148:149]
	v_add_f64 v[162:163], v[148:149], -v[162:163]
	;; [unrolled: 1-line block ×3, first 2 shown]
	s_delay_alu instid0(VALU_DEP_2) | instskip(NEXT) | instid1(VALU_DEP_2)
	v_add_f64 v[144:145], v[162:163], -v[144:145]
	v_add_f64 v[146:147], v[146:147], -v[148:149]
	s_delay_alu instid0(VALU_DEP_1) | instskip(SKIP_1) | instid1(VALU_DEP_2)
	v_add_f64 v[8:9], v[8:9], v[146:147]
	v_add_f64 v[146:147], v[150:151], v[160:161]
	;; [unrolled: 1-line block ×3, first 2 shown]
	s_delay_alu instid0(VALU_DEP_2) | instskip(NEXT) | instid1(VALU_DEP_2)
	v_add_f64 v[144:145], v[146:147], -v[150:151]
	v_add_f64 v[8:9], v[164:165], v[8:9]
	s_delay_alu instid0(VALU_DEP_2) | instskip(NEXT) | instid1(VALU_DEP_2)
	v_add_f64 v[144:145], v[160:161], -v[144:145]
	v_mul_f64 v[8:9], v[133:134], v[8:9]
	s_delay_alu instid0(VALU_DEP_1) | instskip(NEXT) | instid1(VALU_DEP_1)
	v_add_f64 v[8:9], v[144:145], v[8:9]
	v_add_f64 v[133:134], v[146:147], v[8:9]
	s_delay_alu instid0(VALU_DEP_1) | instskip(NEXT) | instid1(VALU_DEP_1)
	v_mul_f64 v[144:145], v[133:134], v[133:134]
	v_fma_f64 v[148:149], v[144:145], vcc, s[28:29]
	s_mov_b32 s28, 0xd7f4df2e
	s_mov_b32 s29, 0x3fc7474d
	v_mul_f64 v[150:151], v[133:134], v[144:145]
	v_cmp_eq_f64_e32 vcc_lo, 0x7ff00000, v[6:7]
	s_delay_alu instid0(VALU_DEP_3)
	v_fma_f64 v[148:149], v[144:145], v[148:149], s[28:29]
	s_mov_b32 s28, 0x16291751
	s_mov_b32 s29, 0x3fcc71c0
	s_delay_alu instid0(VALU_DEP_1) | instid1(SALU_CYCLE_1)
	v_fma_f64 v[148:149], v[144:145], v[148:149], s[28:29]
	s_mov_b32 s28, 0x9b27acf1
	s_mov_b32 s29, 0x3fd24924
	s_delay_alu instid0(VALU_DEP_1) | instid1(SALU_CYCLE_1)
	;; [unrolled: 4-line block ×3, first 2 shown]
	v_fma_f64 v[148:149], v[144:145], v[148:149], s[28:29]
	s_delay_alu instid0(VALU_DEP_1) | instskip(SKIP_2) | instid1(VALU_DEP_3)
	v_fma_f64 v[144:145], v[144:145], v[148:149], s[18:19]
	v_ldexp_f64 v[148:149], v[133:134], 1
	v_add_f64 v[133:134], v[133:134], -v[146:147]
	v_mul_f64 v[144:145], v[150:151], v[144:145]
	v_cvt_f64_i32_e32 v[150:151], v166
	s_delay_alu instid0(VALU_DEP_3) | instskip(NEXT) | instid1(VALU_DEP_3)
	v_add_f64 v[8:9], v[8:9], -v[133:134]
	v_add_f64 v[146:147], v[148:149], v[144:145]
	s_delay_alu instid0(VALU_DEP_3) | instskip(NEXT) | instid1(VALU_DEP_3)
	v_mul_f64 v[160:161], v[150:151], s[20:21]
	v_ldexp_f64 v[8:9], v[8:9], 1
	s_delay_alu instid0(VALU_DEP_3) | instskip(NEXT) | instid1(VALU_DEP_3)
	v_add_f64 v[133:134], v[146:147], -v[148:149]
	v_fma_f64 v[148:149], v[150:151], s[20:21], -v[160:161]
	s_delay_alu instid0(VALU_DEP_2) | instskip(NEXT) | instid1(VALU_DEP_2)
	v_add_f64 v[133:134], v[144:145], -v[133:134]
	v_fma_f64 v[144:145], v[150:151], s[24:25], v[148:149]
	s_delay_alu instid0(VALU_DEP_2) | instskip(NEXT) | instid1(VALU_DEP_2)
	v_add_f64 v[8:9], v[8:9], v[133:134]
	v_add_f64 v[133:134], v[160:161], v[144:145]
	s_delay_alu instid0(VALU_DEP_2) | instskip(NEXT) | instid1(VALU_DEP_2)
	v_add_f64 v[148:149], v[146:147], v[8:9]
	v_add_f64 v[160:161], v[133:134], -v[160:161]
	s_delay_alu instid0(VALU_DEP_2) | instskip(SKIP_1) | instid1(VALU_DEP_3)
	v_add_f64 v[150:151], v[133:134], v[148:149]
	v_add_f64 v[146:147], v[148:149], -v[146:147]
	v_add_f64 v[144:145], v[144:145], -v[160:161]
	s_delay_alu instid0(VALU_DEP_3) | instskip(NEXT) | instid1(VALU_DEP_3)
	v_add_f64 v[162:163], v[150:151], -v[133:134]
	v_add_f64 v[8:9], v[8:9], -v[146:147]
	s_delay_alu instid0(VALU_DEP_2) | instskip(SKIP_1) | instid1(VALU_DEP_3)
	v_add_f64 v[164:165], v[150:151], -v[162:163]
	v_add_f64 v[146:147], v[148:149], -v[162:163]
	v_add_f64 v[148:149], v[144:145], v[8:9]
	s_delay_alu instid0(VALU_DEP_3) | instskip(NEXT) | instid1(VALU_DEP_1)
	v_add_f64 v[133:134], v[133:134], -v[164:165]
	v_add_f64 v[133:134], v[146:147], v[133:134]
	s_delay_alu instid0(VALU_DEP_3) | instskip(NEXT) | instid1(VALU_DEP_2)
	v_add_f64 v[146:147], v[148:149], -v[144:145]
	v_add_f64 v[133:134], v[148:149], v[133:134]
	s_delay_alu instid0(VALU_DEP_2) | instskip(SKIP_1) | instid1(VALU_DEP_3)
	v_add_f64 v[148:149], v[148:149], -v[146:147]
	v_add_f64 v[8:9], v[8:9], -v[146:147]
	v_add_f64 v[160:161], v[150:151], v[133:134]
	s_delay_alu instid0(VALU_DEP_3) | instskip(NEXT) | instid1(VALU_DEP_2)
	v_add_f64 v[144:145], v[144:145], -v[148:149]
	v_add_f64 v[146:147], v[160:161], -v[150:151]
	s_delay_alu instid0(VALU_DEP_2) | instskip(NEXT) | instid1(VALU_DEP_2)
	v_add_f64 v[8:9], v[8:9], v[144:145]
	v_add_f64 v[133:134], v[133:134], -v[146:147]
	s_delay_alu instid0(VALU_DEP_1) | instskip(NEXT) | instid1(VALU_DEP_1)
	v_add_f64 v[8:9], v[8:9], v[133:134]
	v_add_f64 v[8:9], v[160:161], v[8:9]
	s_delay_alu instid0(VALU_DEP_1) | instskip(SKIP_1) | instid1(VALU_DEP_2)
	v_dual_cndmask_b32 v9, v9, v7 :: v_dual_cndmask_b32 v8, v8, v6
	v_cmp_ngt_f64_e32 vcc_lo, -1.0, v[6:7]
	v_cndmask_b32_e32 v9, 0x7ff80000, v9, vcc_lo
	v_cmp_nge_f64_e32 vcc_lo, -1.0, v[6:7]
	s_delay_alu instid0(VALU_DEP_4) | instskip(SKIP_1) | instid1(VALU_DEP_4)
	v_cndmask_b32_e32 v8, 0, v8, vcc_lo
	v_cmp_neq_f64_e32 vcc_lo, -1.0, v[6:7]
	v_cndmask_b32_e32 v9, 0xfff00000, v9, vcc_lo
	s_delay_alu instid0(VALU_DEP_1)
	v_add_f64 v[6:7], v[4:5], v[8:9]
.LBB56_71:
	s_or_b32 exec_lo, exec_lo, s27
	s_delay_alu instid0(VALU_DEP_1)
	v_dual_mov_b32 v4, v6 :: v_dual_mov_b32 v5, v7
.LBB56_72:
	s_or_b32 exec_lo, exec_lo, s26
	s_waitcnt lgkmcnt(1)
	v_and_b32_e32 v6, 0x3e0, v128
	v_lshrrev_b32_e32 v144, 5, v128
	s_mov_b32 s18, exec_lo
	s_delay_alu instid0(VALU_DEP_2) | instskip(NEXT) | instid1(VALU_DEP_1)
	v_min_u32_e32 v6, 0xe0, v6
	v_or_b32_e32 v6, 31, v6
	s_delay_alu instid0(VALU_DEP_1)
	v_cmpx_eq_u32_e64 v6, v128
	s_cbranch_execz .LBB56_74
; %bb.73:
	v_lshlrev_b32_e32 v6, 3, v144
	ds_store_b64 v6, v[4:5]
.LBB56_74:
	s_or_b32 exec_lo, exec_lo, s18
	s_delay_alu instid0(SALU_CYCLE_1)
	s_mov_b32 s26, exec_lo
	s_waitcnt lgkmcnt(0)
	s_barrier
	buffer_gl0_inv
	v_cmpx_gt_u32_e32 8, v128
	s_cbranch_execz .LBB56_88
; %bb.75:
	ds_load_b64 v[6:7], v195
	v_and_b32_e32 v145, 7, v209
	s_mov_b32 s27, exec_lo
	s_waitcnt lgkmcnt(0)
	v_mov_b32_e32 v134, v7
	v_mov_b32_dpp v8, v6 row_shr:1 row_mask:0xf bank_mask:0xf
	v_mov_b32_dpp v9, v7 row_shr:1 row_mask:0xf bank_mask:0xf
	v_mov_b32_e32 v133, v6
	v_cmpx_ne_u32_e32 0, v145
	s_cbranch_execz .LBB56_79
; %bb.76:
	s_delay_alu instid0(VALU_DEP_3) | instskip(SKIP_3) | instid1(VALU_DEP_3)
	v_max_f64 v[133:134], v[8:9], v[8:9]
	v_max_f64 v[146:147], v[6:7], v[6:7]
	v_cmp_u_f64_e32 vcc_lo, v[8:9], v[8:9]
	v_cmp_u_f64_e64 s18, v[6:7], v[6:7]
	v_min_f64 v[148:149], v[133:134], v[146:147]
	v_max_f64 v[133:134], v[133:134], v[146:147]
	s_delay_alu instid0(VALU_DEP_2) | instskip(NEXT) | instid1(VALU_DEP_2)
	v_dual_cndmask_b32 v146, v148, v8 :: v_dual_cndmask_b32 v147, v149, v9
	v_dual_cndmask_b32 v148, v134, v9 :: v_dual_cndmask_b32 v149, v133, v8
	s_delay_alu instid0(VALU_DEP_2) | instskip(NEXT) | instid1(VALU_DEP_3)
	v_cndmask_b32_e64 v133, v146, v6, s18
	v_cndmask_b32_e64 v134, v147, v7, s18
	s_delay_alu instid0(VALU_DEP_3) | instskip(NEXT) | instid1(VALU_DEP_4)
	v_cndmask_b32_e64 v7, v148, v7, s18
	v_cndmask_b32_e64 v6, v149, v6, s18
	s_delay_alu instid0(VALU_DEP_3) | instskip(NEXT) | instid1(VALU_DEP_2)
	v_cmp_class_f64_e64 s18, v[133:134], 0x1f8
	v_cmp_neq_f64_e32 vcc_lo, v[133:134], v[6:7]
	s_delay_alu instid0(VALU_DEP_2) | instskip(NEXT) | instid1(SALU_CYCLE_1)
	s_or_b32 s18, vcc_lo, s18
	s_and_saveexec_b32 s28, s18
	s_cbranch_execz .LBB56_78
; %bb.77:
	v_add_f64 v[8:9], v[133:134], -v[6:7]
	s_mov_b32 s18, 0x652b82fe
	s_mov_b32 s19, 0x3ff71547
	;; [unrolled: 1-line block ×6, first 2 shown]
	s_mov_b32 vcc_lo, 0x6a5dcb37
	s_mov_b32 vcc_hi, 0x3e5ade15
	s_mov_b32 s30, 0xbf559e2b
	s_mov_b32 s31, 0x3fc3ab76
	s_delay_alu instid0(VALU_DEP_1) | instskip(SKIP_2) | instid1(VALU_DEP_1)
	v_mul_f64 v[133:134], v[8:9], s[18:19]
	s_mov_b32 s18, 0xfca7ab0c
	s_mov_b32 s19, 0x3e928af3
	v_rndne_f64_e32 v[133:134], v[133:134]
	s_delay_alu instid0(VALU_DEP_1) | instskip(SKIP_2) | instid1(VALU_DEP_2)
	v_fma_f64 v[146:147], v[133:134], s[20:21], v[8:9]
	v_cvt_i32_f64_e32 v150, v[133:134]
	s_mov_b32 s21, 0x3fe62e42
	v_fma_f64 v[146:147], v[133:134], s[24:25], v[146:147]
	s_mov_b32 s25, 0x3c7abc9e
	s_delay_alu instid0(VALU_DEP_1) | instskip(SKIP_3) | instid1(VALU_DEP_2)
	v_fma_f64 v[148:149], v[146:147], vcc, s[18:19]
	s_mov_b32 s18, 0x623fde64
	s_mov_b32 s19, 0x3ec71dee
	v_cmp_nlt_f64_e32 vcc_lo, 0x40900000, v[8:9]
	v_fma_f64 v[148:149], v[146:147], v[148:149], s[18:19]
	s_mov_b32 s18, 0x7c89e6b0
	s_mov_b32 s19, 0x3efa0199
	s_delay_alu instid0(VALU_DEP_1) | instid1(SALU_CYCLE_1)
	v_fma_f64 v[148:149], v[146:147], v[148:149], s[18:19]
	s_mov_b32 s18, 0x14761f6e
	s_mov_b32 s19, 0x3f2a01a0
	s_delay_alu instid0(VALU_DEP_1) | instid1(SALU_CYCLE_1)
	v_fma_f64 v[148:149], v[146:147], v[148:149], s[18:19]
	s_mov_b32 s18, 0x1852b7b0
	s_mov_b32 s19, 0x3f56c16c
	s_delay_alu instid0(VALU_DEP_1) | instid1(SALU_CYCLE_1)
	v_fma_f64 v[148:149], v[146:147], v[148:149], s[18:19]
	s_mov_b32 s18, 0x11122322
	s_mov_b32 s19, 0x3f811111
	s_delay_alu instid0(VALU_DEP_1) | instid1(SALU_CYCLE_1)
	v_fma_f64 v[148:149], v[146:147], v[148:149], s[18:19]
	s_mov_b32 s18, 0x555502a1
	s_mov_b32 s19, 0x3fa55555
	s_delay_alu instid0(VALU_DEP_1) | instid1(SALU_CYCLE_1)
	v_fma_f64 v[148:149], v[146:147], v[148:149], s[18:19]
	s_mov_b32 s18, 0x55555511
	s_mov_b32 s19, 0x3fc55555
	s_delay_alu instid0(VALU_DEP_1) | instid1(SALU_CYCLE_1)
	v_fma_f64 v[148:149], v[146:147], v[148:149], s[18:19]
	s_mov_b32 s18, 11
	s_mov_b32 s19, 0x3fe00000
	s_delay_alu instid0(VALU_DEP_1) | instid1(SALU_CYCLE_1)
	v_fma_f64 v[148:149], v[146:147], v[148:149], s[18:19]
	v_cmp_ngt_f64_e64 s18, 0xc090cc00, v[8:9]
	s_mov_b32 s19, 0x3fe55555
	s_delay_alu instid0(VALU_DEP_2) | instskip(NEXT) | instid1(VALU_DEP_1)
	v_fma_f64 v[148:149], v[146:147], v[148:149], 1.0
	v_fma_f64 v[133:134], v[146:147], v[148:149], 1.0
	s_delay_alu instid0(VALU_DEP_1) | instskip(NEXT) | instid1(VALU_DEP_1)
	v_ldexp_f64 v[133:134], v[133:134], v150
	v_cndmask_b32_e32 v134, 0x7ff00000, v134, vcc_lo
	s_and_b32 vcc_lo, s18, vcc_lo
	s_delay_alu instid0(VALU_DEP_2) | instskip(NEXT) | instid1(VALU_DEP_2)
	v_cndmask_b32_e32 v8, 0, v133, vcc_lo
	v_cndmask_b32_e64 v9, 0, v134, s18
	s_mov_b32 s18, 0x55555555
	s_delay_alu instid0(VALU_DEP_1) | instskip(NEXT) | instid1(VALU_DEP_1)
	v_add_f64 v[133:134], v[8:9], 1.0
	v_frexp_mant_f64_e32 v[146:147], v[133:134]
	v_frexp_exp_i32_f64_e32 v150, v[133:134]
	v_add_f64 v[148:149], v[133:134], -1.0
	s_delay_alu instid0(VALU_DEP_3) | instskip(SKIP_1) | instid1(VALU_DEP_2)
	v_cmp_gt_f64_e32 vcc_lo, s[18:19], v[146:147]
	s_mov_b32 s18, 0x55555780
	v_add_f64 v[146:147], v[148:149], -v[133:134]
	v_add_f64 v[148:149], v[8:9], -v[148:149]
	v_subrev_co_ci_u32_e32 v166, vcc_lo, 0, v150, vcc_lo
	s_delay_alu instid0(VALU_DEP_3) | instskip(SKIP_2) | instid1(VALU_DEP_2)
	v_add_f64 v[146:147], v[146:147], 1.0
	s_mov_b32 vcc_lo, 0x6b47b09a
	s_mov_b32 vcc_hi, 0x3fc38538
	v_sub_nc_u32_e32 v160, 0, v166
	s_delay_alu instid0(VALU_DEP_1) | instskip(NEXT) | instid1(VALU_DEP_3)
	v_ldexp_f64 v[133:134], v[133:134], v160
	v_add_f64 v[146:147], v[148:149], v[146:147]
	s_delay_alu instid0(VALU_DEP_2) | instskip(SKIP_1) | instid1(VALU_DEP_3)
	v_add_f64 v[150:151], v[133:134], 1.0
	v_add_f64 v[164:165], v[133:134], -1.0
	v_ldexp_f64 v[146:147], v[146:147], v160
	s_delay_alu instid0(VALU_DEP_3) | instskip(NEXT) | instid1(VALU_DEP_3)
	v_add_f64 v[148:149], v[150:151], -1.0
	v_add_f64 v[210:211], v[164:165], 1.0
	s_delay_alu instid0(VALU_DEP_2) | instskip(NEXT) | instid1(VALU_DEP_2)
	v_add_f64 v[148:149], v[133:134], -v[148:149]
	v_add_f64 v[133:134], v[133:134], -v[210:211]
	s_delay_alu instid0(VALU_DEP_2) | instskip(NEXT) | instid1(VALU_DEP_2)
	v_add_f64 v[148:149], v[146:147], v[148:149]
	v_add_f64 v[133:134], v[146:147], v[133:134]
	s_delay_alu instid0(VALU_DEP_2) | instskip(NEXT) | instid1(VALU_DEP_2)
	v_add_f64 v[160:161], v[150:151], v[148:149]
	v_add_f64 v[210:211], v[164:165], v[133:134]
	s_delay_alu instid0(VALU_DEP_2) | instskip(SKIP_1) | instid1(VALU_DEP_2)
	v_rcp_f64_e32 v[162:163], v[160:161]
	v_add_f64 v[150:151], v[160:161], -v[150:151]
	v_add_f64 v[164:165], v[210:211], -v[164:165]
	s_delay_alu instid0(VALU_DEP_2) | instskip(SKIP_3) | instid1(VALU_DEP_2)
	v_add_f64 v[148:149], v[148:149], -v[150:151]
	s_waitcnt_depctr 0xfff
	v_fma_f64 v[212:213], -v[160:161], v[162:163], 1.0
	v_add_f64 v[133:134], v[133:134], -v[164:165]
	v_fma_f64 v[162:163], v[212:213], v[162:163], v[162:163]
	s_delay_alu instid0(VALU_DEP_1) | instskip(NEXT) | instid1(VALU_DEP_1)
	v_fma_f64 v[146:147], -v[160:161], v[162:163], 1.0
	v_fma_f64 v[146:147], v[146:147], v[162:163], v[162:163]
	s_delay_alu instid0(VALU_DEP_1) | instskip(NEXT) | instid1(VALU_DEP_1)
	v_mul_f64 v[162:163], v[210:211], v[146:147]
	v_mul_f64 v[212:213], v[160:161], v[162:163]
	s_delay_alu instid0(VALU_DEP_1) | instskip(NEXT) | instid1(VALU_DEP_1)
	v_fma_f64 v[150:151], v[162:163], v[160:161], -v[212:213]
	v_fma_f64 v[150:151], v[162:163], v[148:149], v[150:151]
	s_delay_alu instid0(VALU_DEP_1) | instskip(NEXT) | instid1(VALU_DEP_1)
	v_add_f64 v[214:215], v[212:213], v[150:151]
	v_add_f64 v[224:225], v[210:211], -v[214:215]
	v_add_f64 v[164:165], v[214:215], -v[212:213]
	s_delay_alu instid0(VALU_DEP_2) | instskip(NEXT) | instid1(VALU_DEP_2)
	v_add_f64 v[210:211], v[210:211], -v[224:225]
	v_add_f64 v[150:151], v[164:165], -v[150:151]
	s_delay_alu instid0(VALU_DEP_2) | instskip(NEXT) | instid1(VALU_DEP_1)
	v_add_f64 v[210:211], v[210:211], -v[214:215]
	v_add_f64 v[133:134], v[133:134], v[210:211]
	s_delay_alu instid0(VALU_DEP_1) | instskip(NEXT) | instid1(VALU_DEP_1)
	v_add_f64 v[133:134], v[150:151], v[133:134]
	v_add_f64 v[150:151], v[224:225], v[133:134]
	s_delay_alu instid0(VALU_DEP_1) | instskip(SKIP_1) | instid1(VALU_DEP_2)
	v_mul_f64 v[164:165], v[146:147], v[150:151]
	v_add_f64 v[214:215], v[224:225], -v[150:151]
	v_mul_f64 v[210:211], v[160:161], v[164:165]
	s_delay_alu instid0(VALU_DEP_2) | instskip(NEXT) | instid1(VALU_DEP_2)
	v_add_f64 v[133:134], v[133:134], v[214:215]
	v_fma_f64 v[160:161], v[164:165], v[160:161], -v[210:211]
	s_delay_alu instid0(VALU_DEP_1) | instskip(NEXT) | instid1(VALU_DEP_1)
	v_fma_f64 v[148:149], v[164:165], v[148:149], v[160:161]
	v_add_f64 v[160:161], v[210:211], v[148:149]
	s_delay_alu instid0(VALU_DEP_1) | instskip(SKIP_1) | instid1(VALU_DEP_2)
	v_add_f64 v[212:213], v[150:151], -v[160:161]
	v_add_f64 v[210:211], v[160:161], -v[210:211]
	;; [unrolled: 1-line block ×3, first 2 shown]
	s_delay_alu instid0(VALU_DEP_2) | instskip(NEXT) | instid1(VALU_DEP_2)
	v_add_f64 v[148:149], v[210:211], -v[148:149]
	v_add_f64 v[150:151], v[150:151], -v[160:161]
	s_delay_alu instid0(VALU_DEP_1) | instskip(SKIP_1) | instid1(VALU_DEP_2)
	v_add_f64 v[133:134], v[133:134], v[150:151]
	v_add_f64 v[150:151], v[162:163], v[164:165]
	;; [unrolled: 1-line block ×3, first 2 shown]
	s_delay_alu instid0(VALU_DEP_2) | instskip(NEXT) | instid1(VALU_DEP_2)
	v_add_f64 v[148:149], v[150:151], -v[162:163]
	v_add_f64 v[133:134], v[212:213], v[133:134]
	s_delay_alu instid0(VALU_DEP_2) | instskip(NEXT) | instid1(VALU_DEP_2)
	v_add_f64 v[148:149], v[164:165], -v[148:149]
	v_mul_f64 v[133:134], v[146:147], v[133:134]
	s_delay_alu instid0(VALU_DEP_1) | instskip(NEXT) | instid1(VALU_DEP_1)
	v_add_f64 v[133:134], v[148:149], v[133:134]
	v_add_f64 v[146:147], v[150:151], v[133:134]
	s_delay_alu instid0(VALU_DEP_1) | instskip(NEXT) | instid1(VALU_DEP_1)
	v_mul_f64 v[148:149], v[146:147], v[146:147]
	v_fma_f64 v[160:161], v[148:149], s[30:31], vcc
	s_mov_b32 vcc_lo, 0xd7f4df2e
	s_mov_b32 vcc_hi, 0x3fc7474d
	v_mul_f64 v[162:163], v[146:147], v[148:149]
	s_delay_alu instid0(VALU_DEP_2)
	v_fma_f64 v[160:161], v[148:149], v[160:161], vcc
	s_mov_b32 vcc_lo, 0x16291751
	s_mov_b32 vcc_hi, 0x3fcc71c0
	s_delay_alu instid0(VALU_DEP_1) | instid1(SALU_CYCLE_1)
	v_fma_f64 v[160:161], v[148:149], v[160:161], vcc
	s_mov_b32 vcc_lo, 0x9b27acf1
	s_mov_b32 vcc_hi, 0x3fd24924
	s_delay_alu instid0(VALU_DEP_1) | instid1(SALU_CYCLE_1)
	;; [unrolled: 4-line block ×3, first 2 shown]
	v_fma_f64 v[160:161], v[148:149], v[160:161], vcc
	v_cmp_eq_f64_e32 vcc_lo, 0x7ff00000, v[8:9]
	s_delay_alu instid0(VALU_DEP_2) | instskip(SKIP_2) | instid1(VALU_DEP_3)
	v_fma_f64 v[148:149], v[148:149], v[160:161], s[18:19]
	v_ldexp_f64 v[160:161], v[146:147], 1
	v_add_f64 v[146:147], v[146:147], -v[150:151]
	v_mul_f64 v[148:149], v[162:163], v[148:149]
	v_cvt_f64_i32_e32 v[162:163], v166
	s_delay_alu instid0(VALU_DEP_3) | instskip(NEXT) | instid1(VALU_DEP_3)
	v_add_f64 v[133:134], v[133:134], -v[146:147]
	v_add_f64 v[150:151], v[160:161], v[148:149]
	s_delay_alu instid0(VALU_DEP_3) | instskip(NEXT) | instid1(VALU_DEP_3)
	v_mul_f64 v[164:165], v[162:163], s[20:21]
	v_ldexp_f64 v[133:134], v[133:134], 1
	s_delay_alu instid0(VALU_DEP_3) | instskip(NEXT) | instid1(VALU_DEP_3)
	v_add_f64 v[146:147], v[150:151], -v[160:161]
	v_fma_f64 v[160:161], v[162:163], s[20:21], -v[164:165]
	s_delay_alu instid0(VALU_DEP_2) | instskip(NEXT) | instid1(VALU_DEP_2)
	v_add_f64 v[146:147], v[148:149], -v[146:147]
	v_fma_f64 v[148:149], v[162:163], s[24:25], v[160:161]
	s_delay_alu instid0(VALU_DEP_2) | instskip(NEXT) | instid1(VALU_DEP_2)
	v_add_f64 v[133:134], v[133:134], v[146:147]
	v_add_f64 v[146:147], v[164:165], v[148:149]
	s_delay_alu instid0(VALU_DEP_2) | instskip(NEXT) | instid1(VALU_DEP_2)
	v_add_f64 v[160:161], v[150:151], v[133:134]
	v_add_f64 v[164:165], v[146:147], -v[164:165]
	s_delay_alu instid0(VALU_DEP_2) | instskip(SKIP_1) | instid1(VALU_DEP_3)
	v_add_f64 v[162:163], v[146:147], v[160:161]
	v_add_f64 v[150:151], v[160:161], -v[150:151]
	v_add_f64 v[148:149], v[148:149], -v[164:165]
	s_delay_alu instid0(VALU_DEP_3) | instskip(NEXT) | instid1(VALU_DEP_3)
	v_add_f64 v[210:211], v[162:163], -v[146:147]
	v_add_f64 v[133:134], v[133:134], -v[150:151]
	s_delay_alu instid0(VALU_DEP_2) | instskip(SKIP_1) | instid1(VALU_DEP_3)
	v_add_f64 v[212:213], v[162:163], -v[210:211]
	v_add_f64 v[150:151], v[160:161], -v[210:211]
	v_add_f64 v[160:161], v[148:149], v[133:134]
	s_delay_alu instid0(VALU_DEP_3) | instskip(NEXT) | instid1(VALU_DEP_1)
	v_add_f64 v[146:147], v[146:147], -v[212:213]
	v_add_f64 v[146:147], v[150:151], v[146:147]
	s_delay_alu instid0(VALU_DEP_3) | instskip(NEXT) | instid1(VALU_DEP_2)
	v_add_f64 v[150:151], v[160:161], -v[148:149]
	v_add_f64 v[146:147], v[160:161], v[146:147]
	s_delay_alu instid0(VALU_DEP_2) | instskip(SKIP_1) | instid1(VALU_DEP_3)
	v_add_f64 v[160:161], v[160:161], -v[150:151]
	v_add_f64 v[133:134], v[133:134], -v[150:151]
	v_add_f64 v[164:165], v[162:163], v[146:147]
	s_delay_alu instid0(VALU_DEP_3) | instskip(NEXT) | instid1(VALU_DEP_2)
	v_add_f64 v[148:149], v[148:149], -v[160:161]
	v_add_f64 v[150:151], v[164:165], -v[162:163]
	s_delay_alu instid0(VALU_DEP_2) | instskip(NEXT) | instid1(VALU_DEP_2)
	v_add_f64 v[133:134], v[133:134], v[148:149]
	v_add_f64 v[146:147], v[146:147], -v[150:151]
	s_delay_alu instid0(VALU_DEP_1) | instskip(NEXT) | instid1(VALU_DEP_1)
	v_add_f64 v[133:134], v[133:134], v[146:147]
	v_add_f64 v[133:134], v[164:165], v[133:134]
	s_delay_alu instid0(VALU_DEP_1) | instskip(SKIP_1) | instid1(VALU_DEP_2)
	v_dual_cndmask_b32 v133, v133, v8 :: v_dual_cndmask_b32 v134, v134, v9
	v_cmp_ngt_f64_e32 vcc_lo, -1.0, v[8:9]
	v_cndmask_b32_e32 v134, 0x7ff80000, v134, vcc_lo
	v_cmp_nge_f64_e32 vcc_lo, -1.0, v[8:9]
	s_delay_alu instid0(VALU_DEP_4) | instskip(SKIP_1) | instid1(VALU_DEP_4)
	v_cndmask_b32_e32 v133, 0, v133, vcc_lo
	v_cmp_neq_f64_e32 vcc_lo, -1.0, v[8:9]
	v_cndmask_b32_e32 v134, 0xfff00000, v134, vcc_lo
	s_delay_alu instid0(VALU_DEP_1)
	v_add_f64 v[8:9], v[6:7], v[133:134]
.LBB56_78:
	s_or_b32 exec_lo, exec_lo, s28
	s_delay_alu instid0(VALU_DEP_1)
	v_dual_mov_b32 v133, v8 :: v_dual_mov_b32 v134, v9
	v_dual_mov_b32 v6, v8 :: v_dual_mov_b32 v7, v9
.LBB56_79:
	s_or_b32 exec_lo, exec_lo, s27
	s_delay_alu instid0(VALU_DEP_2) | instskip(NEXT) | instid1(VALU_DEP_3)
	v_mov_b32_dpp v8, v133 row_shr:2 row_mask:0xf bank_mask:0xf
	v_mov_b32_dpp v9, v134 row_shr:2 row_mask:0xf bank_mask:0xf
	s_mov_b32 s27, exec_lo
	v_cmpx_lt_u32_e32 1, v145
	s_cbranch_execz .LBB56_83
; %bb.80:
	s_delay_alu instid0(VALU_DEP_2) | instskip(SKIP_3) | instid1(VALU_DEP_3)
	v_max_f64 v[133:134], v[8:9], v[8:9]
	v_max_f64 v[146:147], v[6:7], v[6:7]
	v_cmp_u_f64_e32 vcc_lo, v[8:9], v[8:9]
	v_cmp_u_f64_e64 s18, v[6:7], v[6:7]
	v_min_f64 v[148:149], v[133:134], v[146:147]
	v_max_f64 v[133:134], v[133:134], v[146:147]
	s_delay_alu instid0(VALU_DEP_2) | instskip(NEXT) | instid1(VALU_DEP_2)
	v_dual_cndmask_b32 v146, v148, v8 :: v_dual_cndmask_b32 v147, v149, v9
	v_dual_cndmask_b32 v148, v134, v9 :: v_dual_cndmask_b32 v149, v133, v8
	s_delay_alu instid0(VALU_DEP_2) | instskip(NEXT) | instid1(VALU_DEP_3)
	v_cndmask_b32_e64 v133, v146, v6, s18
	v_cndmask_b32_e64 v134, v147, v7, s18
	s_delay_alu instid0(VALU_DEP_3) | instskip(NEXT) | instid1(VALU_DEP_4)
	v_cndmask_b32_e64 v7, v148, v7, s18
	v_cndmask_b32_e64 v6, v149, v6, s18
	s_delay_alu instid0(VALU_DEP_3) | instskip(NEXT) | instid1(VALU_DEP_2)
	v_cmp_class_f64_e64 s18, v[133:134], 0x1f8
	v_cmp_neq_f64_e32 vcc_lo, v[133:134], v[6:7]
	s_delay_alu instid0(VALU_DEP_2) | instskip(NEXT) | instid1(SALU_CYCLE_1)
	s_or_b32 s18, vcc_lo, s18
	s_and_saveexec_b32 s28, s18
	s_cbranch_execz .LBB56_82
; %bb.81:
	v_add_f64 v[8:9], v[133:134], -v[6:7]
	s_mov_b32 s18, 0x652b82fe
	s_mov_b32 s19, 0x3ff71547
	;; [unrolled: 1-line block ×6, first 2 shown]
	s_mov_b32 vcc_lo, 0x6a5dcb37
	s_mov_b32 vcc_hi, 0x3e5ade15
	s_mov_b32 s30, 0xbf559e2b
	s_mov_b32 s31, 0x3fc3ab76
	s_delay_alu instid0(VALU_DEP_1) | instskip(SKIP_2) | instid1(VALU_DEP_1)
	v_mul_f64 v[133:134], v[8:9], s[18:19]
	s_mov_b32 s18, 0xfca7ab0c
	s_mov_b32 s19, 0x3e928af3
	v_rndne_f64_e32 v[133:134], v[133:134]
	s_delay_alu instid0(VALU_DEP_1) | instskip(SKIP_2) | instid1(VALU_DEP_2)
	v_fma_f64 v[146:147], v[133:134], s[20:21], v[8:9]
	v_cvt_i32_f64_e32 v150, v[133:134]
	s_mov_b32 s21, 0x3fe62e42
	v_fma_f64 v[146:147], v[133:134], s[24:25], v[146:147]
	s_mov_b32 s25, 0x3c7abc9e
	s_delay_alu instid0(VALU_DEP_1) | instskip(SKIP_3) | instid1(VALU_DEP_2)
	v_fma_f64 v[148:149], v[146:147], vcc, s[18:19]
	s_mov_b32 s18, 0x623fde64
	s_mov_b32 s19, 0x3ec71dee
	v_cmp_nlt_f64_e32 vcc_lo, 0x40900000, v[8:9]
	v_fma_f64 v[148:149], v[146:147], v[148:149], s[18:19]
	s_mov_b32 s18, 0x7c89e6b0
	s_mov_b32 s19, 0x3efa0199
	s_delay_alu instid0(VALU_DEP_1) | instid1(SALU_CYCLE_1)
	v_fma_f64 v[148:149], v[146:147], v[148:149], s[18:19]
	s_mov_b32 s18, 0x14761f6e
	s_mov_b32 s19, 0x3f2a01a0
	s_delay_alu instid0(VALU_DEP_1) | instid1(SALU_CYCLE_1)
	;; [unrolled: 4-line block ×7, first 2 shown]
	v_fma_f64 v[148:149], v[146:147], v[148:149], s[18:19]
	v_cmp_ngt_f64_e64 s18, 0xc090cc00, v[8:9]
	s_mov_b32 s19, 0x3fe55555
	s_delay_alu instid0(VALU_DEP_2) | instskip(NEXT) | instid1(VALU_DEP_1)
	v_fma_f64 v[148:149], v[146:147], v[148:149], 1.0
	v_fma_f64 v[133:134], v[146:147], v[148:149], 1.0
	s_delay_alu instid0(VALU_DEP_1) | instskip(NEXT) | instid1(VALU_DEP_1)
	v_ldexp_f64 v[133:134], v[133:134], v150
	v_cndmask_b32_e32 v134, 0x7ff00000, v134, vcc_lo
	s_and_b32 vcc_lo, s18, vcc_lo
	s_delay_alu instid0(VALU_DEP_2) | instskip(NEXT) | instid1(VALU_DEP_2)
	v_cndmask_b32_e32 v8, 0, v133, vcc_lo
	v_cndmask_b32_e64 v9, 0, v134, s18
	s_mov_b32 s18, 0x55555555
	s_delay_alu instid0(VALU_DEP_1) | instskip(NEXT) | instid1(VALU_DEP_1)
	v_add_f64 v[133:134], v[8:9], 1.0
	v_frexp_mant_f64_e32 v[146:147], v[133:134]
	v_frexp_exp_i32_f64_e32 v150, v[133:134]
	v_add_f64 v[148:149], v[133:134], -1.0
	s_delay_alu instid0(VALU_DEP_3) | instskip(SKIP_1) | instid1(VALU_DEP_2)
	v_cmp_gt_f64_e32 vcc_lo, s[18:19], v[146:147]
	s_mov_b32 s18, 0x55555780
	v_add_f64 v[146:147], v[148:149], -v[133:134]
	v_add_f64 v[148:149], v[8:9], -v[148:149]
	v_subrev_co_ci_u32_e32 v166, vcc_lo, 0, v150, vcc_lo
	s_delay_alu instid0(VALU_DEP_3) | instskip(SKIP_2) | instid1(VALU_DEP_2)
	v_add_f64 v[146:147], v[146:147], 1.0
	s_mov_b32 vcc_lo, 0x6b47b09a
	s_mov_b32 vcc_hi, 0x3fc38538
	v_sub_nc_u32_e32 v160, 0, v166
	s_delay_alu instid0(VALU_DEP_1) | instskip(NEXT) | instid1(VALU_DEP_3)
	v_ldexp_f64 v[133:134], v[133:134], v160
	v_add_f64 v[146:147], v[148:149], v[146:147]
	s_delay_alu instid0(VALU_DEP_2) | instskip(SKIP_1) | instid1(VALU_DEP_3)
	v_add_f64 v[150:151], v[133:134], 1.0
	v_add_f64 v[164:165], v[133:134], -1.0
	v_ldexp_f64 v[146:147], v[146:147], v160
	s_delay_alu instid0(VALU_DEP_3) | instskip(NEXT) | instid1(VALU_DEP_3)
	v_add_f64 v[148:149], v[150:151], -1.0
	v_add_f64 v[210:211], v[164:165], 1.0
	s_delay_alu instid0(VALU_DEP_2) | instskip(NEXT) | instid1(VALU_DEP_2)
	v_add_f64 v[148:149], v[133:134], -v[148:149]
	v_add_f64 v[133:134], v[133:134], -v[210:211]
	s_delay_alu instid0(VALU_DEP_2) | instskip(NEXT) | instid1(VALU_DEP_2)
	v_add_f64 v[148:149], v[146:147], v[148:149]
	v_add_f64 v[133:134], v[146:147], v[133:134]
	s_delay_alu instid0(VALU_DEP_2) | instskip(NEXT) | instid1(VALU_DEP_2)
	v_add_f64 v[160:161], v[150:151], v[148:149]
	v_add_f64 v[210:211], v[164:165], v[133:134]
	s_delay_alu instid0(VALU_DEP_2) | instskip(SKIP_1) | instid1(VALU_DEP_2)
	v_rcp_f64_e32 v[162:163], v[160:161]
	v_add_f64 v[150:151], v[160:161], -v[150:151]
	v_add_f64 v[164:165], v[210:211], -v[164:165]
	s_delay_alu instid0(VALU_DEP_2) | instskip(SKIP_3) | instid1(VALU_DEP_2)
	v_add_f64 v[148:149], v[148:149], -v[150:151]
	s_waitcnt_depctr 0xfff
	v_fma_f64 v[212:213], -v[160:161], v[162:163], 1.0
	v_add_f64 v[133:134], v[133:134], -v[164:165]
	v_fma_f64 v[162:163], v[212:213], v[162:163], v[162:163]
	s_delay_alu instid0(VALU_DEP_1) | instskip(NEXT) | instid1(VALU_DEP_1)
	v_fma_f64 v[146:147], -v[160:161], v[162:163], 1.0
	v_fma_f64 v[146:147], v[146:147], v[162:163], v[162:163]
	s_delay_alu instid0(VALU_DEP_1) | instskip(NEXT) | instid1(VALU_DEP_1)
	v_mul_f64 v[162:163], v[210:211], v[146:147]
	v_mul_f64 v[212:213], v[160:161], v[162:163]
	s_delay_alu instid0(VALU_DEP_1) | instskip(NEXT) | instid1(VALU_DEP_1)
	v_fma_f64 v[150:151], v[162:163], v[160:161], -v[212:213]
	v_fma_f64 v[150:151], v[162:163], v[148:149], v[150:151]
	s_delay_alu instid0(VALU_DEP_1) | instskip(NEXT) | instid1(VALU_DEP_1)
	v_add_f64 v[214:215], v[212:213], v[150:151]
	v_add_f64 v[224:225], v[210:211], -v[214:215]
	v_add_f64 v[164:165], v[214:215], -v[212:213]
	s_delay_alu instid0(VALU_DEP_2) | instskip(NEXT) | instid1(VALU_DEP_2)
	v_add_f64 v[210:211], v[210:211], -v[224:225]
	v_add_f64 v[150:151], v[164:165], -v[150:151]
	s_delay_alu instid0(VALU_DEP_2) | instskip(NEXT) | instid1(VALU_DEP_1)
	v_add_f64 v[210:211], v[210:211], -v[214:215]
	v_add_f64 v[133:134], v[133:134], v[210:211]
	s_delay_alu instid0(VALU_DEP_1) | instskip(NEXT) | instid1(VALU_DEP_1)
	v_add_f64 v[133:134], v[150:151], v[133:134]
	v_add_f64 v[150:151], v[224:225], v[133:134]
	s_delay_alu instid0(VALU_DEP_1) | instskip(SKIP_1) | instid1(VALU_DEP_2)
	v_mul_f64 v[164:165], v[146:147], v[150:151]
	v_add_f64 v[214:215], v[224:225], -v[150:151]
	v_mul_f64 v[210:211], v[160:161], v[164:165]
	s_delay_alu instid0(VALU_DEP_2) | instskip(NEXT) | instid1(VALU_DEP_2)
	v_add_f64 v[133:134], v[133:134], v[214:215]
	v_fma_f64 v[160:161], v[164:165], v[160:161], -v[210:211]
	s_delay_alu instid0(VALU_DEP_1) | instskip(NEXT) | instid1(VALU_DEP_1)
	v_fma_f64 v[148:149], v[164:165], v[148:149], v[160:161]
	v_add_f64 v[160:161], v[210:211], v[148:149]
	s_delay_alu instid0(VALU_DEP_1) | instskip(SKIP_1) | instid1(VALU_DEP_2)
	v_add_f64 v[212:213], v[150:151], -v[160:161]
	v_add_f64 v[210:211], v[160:161], -v[210:211]
	v_add_f64 v[150:151], v[150:151], -v[212:213]
	s_delay_alu instid0(VALU_DEP_2) | instskip(NEXT) | instid1(VALU_DEP_2)
	v_add_f64 v[148:149], v[210:211], -v[148:149]
	v_add_f64 v[150:151], v[150:151], -v[160:161]
	s_delay_alu instid0(VALU_DEP_1) | instskip(SKIP_1) | instid1(VALU_DEP_2)
	v_add_f64 v[133:134], v[133:134], v[150:151]
	v_add_f64 v[150:151], v[162:163], v[164:165]
	;; [unrolled: 1-line block ×3, first 2 shown]
	s_delay_alu instid0(VALU_DEP_2) | instskip(NEXT) | instid1(VALU_DEP_2)
	v_add_f64 v[148:149], v[150:151], -v[162:163]
	v_add_f64 v[133:134], v[212:213], v[133:134]
	s_delay_alu instid0(VALU_DEP_2) | instskip(NEXT) | instid1(VALU_DEP_2)
	v_add_f64 v[148:149], v[164:165], -v[148:149]
	v_mul_f64 v[133:134], v[146:147], v[133:134]
	s_delay_alu instid0(VALU_DEP_1) | instskip(NEXT) | instid1(VALU_DEP_1)
	v_add_f64 v[133:134], v[148:149], v[133:134]
	v_add_f64 v[146:147], v[150:151], v[133:134]
	s_delay_alu instid0(VALU_DEP_1) | instskip(NEXT) | instid1(VALU_DEP_1)
	v_mul_f64 v[148:149], v[146:147], v[146:147]
	v_fma_f64 v[160:161], v[148:149], s[30:31], vcc
	s_mov_b32 vcc_lo, 0xd7f4df2e
	s_mov_b32 vcc_hi, 0x3fc7474d
	v_mul_f64 v[162:163], v[146:147], v[148:149]
	s_delay_alu instid0(VALU_DEP_2)
	v_fma_f64 v[160:161], v[148:149], v[160:161], vcc
	s_mov_b32 vcc_lo, 0x16291751
	s_mov_b32 vcc_hi, 0x3fcc71c0
	s_delay_alu instid0(VALU_DEP_1) | instid1(SALU_CYCLE_1)
	v_fma_f64 v[160:161], v[148:149], v[160:161], vcc
	s_mov_b32 vcc_lo, 0x9b27acf1
	s_mov_b32 vcc_hi, 0x3fd24924
	s_delay_alu instid0(VALU_DEP_1) | instid1(SALU_CYCLE_1)
	;; [unrolled: 4-line block ×3, first 2 shown]
	v_fma_f64 v[160:161], v[148:149], v[160:161], vcc
	v_cmp_eq_f64_e32 vcc_lo, 0x7ff00000, v[8:9]
	s_delay_alu instid0(VALU_DEP_2) | instskip(SKIP_2) | instid1(VALU_DEP_3)
	v_fma_f64 v[148:149], v[148:149], v[160:161], s[18:19]
	v_ldexp_f64 v[160:161], v[146:147], 1
	v_add_f64 v[146:147], v[146:147], -v[150:151]
	v_mul_f64 v[148:149], v[162:163], v[148:149]
	v_cvt_f64_i32_e32 v[162:163], v166
	s_delay_alu instid0(VALU_DEP_3) | instskip(NEXT) | instid1(VALU_DEP_3)
	v_add_f64 v[133:134], v[133:134], -v[146:147]
	v_add_f64 v[150:151], v[160:161], v[148:149]
	s_delay_alu instid0(VALU_DEP_3) | instskip(NEXT) | instid1(VALU_DEP_3)
	v_mul_f64 v[164:165], v[162:163], s[20:21]
	v_ldexp_f64 v[133:134], v[133:134], 1
	s_delay_alu instid0(VALU_DEP_3) | instskip(NEXT) | instid1(VALU_DEP_3)
	v_add_f64 v[146:147], v[150:151], -v[160:161]
	v_fma_f64 v[160:161], v[162:163], s[20:21], -v[164:165]
	s_delay_alu instid0(VALU_DEP_2) | instskip(NEXT) | instid1(VALU_DEP_2)
	v_add_f64 v[146:147], v[148:149], -v[146:147]
	v_fma_f64 v[148:149], v[162:163], s[24:25], v[160:161]
	s_delay_alu instid0(VALU_DEP_2) | instskip(NEXT) | instid1(VALU_DEP_2)
	v_add_f64 v[133:134], v[133:134], v[146:147]
	v_add_f64 v[146:147], v[164:165], v[148:149]
	s_delay_alu instid0(VALU_DEP_2) | instskip(NEXT) | instid1(VALU_DEP_2)
	v_add_f64 v[160:161], v[150:151], v[133:134]
	v_add_f64 v[164:165], v[146:147], -v[164:165]
	s_delay_alu instid0(VALU_DEP_2) | instskip(SKIP_1) | instid1(VALU_DEP_3)
	v_add_f64 v[162:163], v[146:147], v[160:161]
	v_add_f64 v[150:151], v[160:161], -v[150:151]
	v_add_f64 v[148:149], v[148:149], -v[164:165]
	s_delay_alu instid0(VALU_DEP_3) | instskip(NEXT) | instid1(VALU_DEP_3)
	v_add_f64 v[210:211], v[162:163], -v[146:147]
	v_add_f64 v[133:134], v[133:134], -v[150:151]
	s_delay_alu instid0(VALU_DEP_2) | instskip(SKIP_1) | instid1(VALU_DEP_3)
	v_add_f64 v[212:213], v[162:163], -v[210:211]
	v_add_f64 v[150:151], v[160:161], -v[210:211]
	v_add_f64 v[160:161], v[148:149], v[133:134]
	s_delay_alu instid0(VALU_DEP_3) | instskip(NEXT) | instid1(VALU_DEP_1)
	v_add_f64 v[146:147], v[146:147], -v[212:213]
	v_add_f64 v[146:147], v[150:151], v[146:147]
	s_delay_alu instid0(VALU_DEP_3) | instskip(NEXT) | instid1(VALU_DEP_2)
	v_add_f64 v[150:151], v[160:161], -v[148:149]
	v_add_f64 v[146:147], v[160:161], v[146:147]
	s_delay_alu instid0(VALU_DEP_2) | instskip(SKIP_1) | instid1(VALU_DEP_3)
	v_add_f64 v[160:161], v[160:161], -v[150:151]
	v_add_f64 v[133:134], v[133:134], -v[150:151]
	v_add_f64 v[164:165], v[162:163], v[146:147]
	s_delay_alu instid0(VALU_DEP_3) | instskip(NEXT) | instid1(VALU_DEP_2)
	v_add_f64 v[148:149], v[148:149], -v[160:161]
	v_add_f64 v[150:151], v[164:165], -v[162:163]
	s_delay_alu instid0(VALU_DEP_2) | instskip(NEXT) | instid1(VALU_DEP_2)
	v_add_f64 v[133:134], v[133:134], v[148:149]
	v_add_f64 v[146:147], v[146:147], -v[150:151]
	s_delay_alu instid0(VALU_DEP_1) | instskip(NEXT) | instid1(VALU_DEP_1)
	v_add_f64 v[133:134], v[133:134], v[146:147]
	v_add_f64 v[133:134], v[164:165], v[133:134]
	s_delay_alu instid0(VALU_DEP_1) | instskip(SKIP_1) | instid1(VALU_DEP_2)
	v_dual_cndmask_b32 v133, v133, v8 :: v_dual_cndmask_b32 v134, v134, v9
	v_cmp_ngt_f64_e32 vcc_lo, -1.0, v[8:9]
	v_cndmask_b32_e32 v134, 0x7ff80000, v134, vcc_lo
	v_cmp_nge_f64_e32 vcc_lo, -1.0, v[8:9]
	s_delay_alu instid0(VALU_DEP_4) | instskip(SKIP_1) | instid1(VALU_DEP_4)
	v_cndmask_b32_e32 v133, 0, v133, vcc_lo
	v_cmp_neq_f64_e32 vcc_lo, -1.0, v[8:9]
	v_cndmask_b32_e32 v134, 0xfff00000, v134, vcc_lo
	s_delay_alu instid0(VALU_DEP_1)
	v_add_f64 v[8:9], v[6:7], v[133:134]
.LBB56_82:
	s_or_b32 exec_lo, exec_lo, s28
	s_delay_alu instid0(VALU_DEP_1)
	v_dual_mov_b32 v133, v8 :: v_dual_mov_b32 v134, v9
	v_dual_mov_b32 v6, v8 :: v_dual_mov_b32 v7, v9
.LBB56_83:
	s_or_b32 exec_lo, exec_lo, s27
	s_delay_alu instid0(VALU_DEP_2) | instskip(NEXT) | instid1(VALU_DEP_3)
	v_mov_b32_dpp v8, v133 row_shr:4 row_mask:0xf bank_mask:0xf
	v_mov_b32_dpp v9, v134 row_shr:4 row_mask:0xf bank_mask:0xf
	s_mov_b32 s27, exec_lo
	v_cmpx_lt_u32_e32 3, v145
	s_cbranch_execz .LBB56_87
; %bb.84:
	s_delay_alu instid0(VALU_DEP_2) | instskip(SKIP_3) | instid1(VALU_DEP_3)
	v_max_f64 v[133:134], v[8:9], v[8:9]
	v_max_f64 v[145:146], v[6:7], v[6:7]
	v_cmp_u_f64_e32 vcc_lo, v[8:9], v[8:9]
	v_cmp_u_f64_e64 s18, v[6:7], v[6:7]
	v_min_f64 v[147:148], v[133:134], v[145:146]
	v_max_f64 v[133:134], v[133:134], v[145:146]
	s_delay_alu instid0(VALU_DEP_2) | instskip(NEXT) | instid1(VALU_DEP_2)
	v_dual_cndmask_b32 v145, v147, v8 :: v_dual_cndmask_b32 v146, v148, v9
	v_dual_cndmask_b32 v147, v134, v9 :: v_dual_cndmask_b32 v148, v133, v8
	s_delay_alu instid0(VALU_DEP_2) | instskip(NEXT) | instid1(VALU_DEP_3)
	v_cndmask_b32_e64 v133, v145, v6, s18
	v_cndmask_b32_e64 v134, v146, v7, s18
	s_delay_alu instid0(VALU_DEP_3) | instskip(NEXT) | instid1(VALU_DEP_4)
	v_cndmask_b32_e64 v7, v147, v7, s18
	v_cndmask_b32_e64 v6, v148, v6, s18
	s_delay_alu instid0(VALU_DEP_3) | instskip(NEXT) | instid1(VALU_DEP_2)
	v_cmp_class_f64_e64 s18, v[133:134], 0x1f8
	v_cmp_neq_f64_e32 vcc_lo, v[133:134], v[6:7]
	s_delay_alu instid0(VALU_DEP_2) | instskip(NEXT) | instid1(SALU_CYCLE_1)
	s_or_b32 s18, vcc_lo, s18
	s_and_saveexec_b32 s28, s18
	s_cbranch_execz .LBB56_86
; %bb.85:
	v_add_f64 v[8:9], v[133:134], -v[6:7]
	s_mov_b32 s18, 0x652b82fe
	s_mov_b32 s19, 0x3ff71547
	;; [unrolled: 1-line block ×6, first 2 shown]
	s_mov_b32 vcc_lo, 0x6a5dcb37
	s_mov_b32 vcc_hi, 0x3e5ade15
	s_mov_b32 s30, 0xbf559e2b
	s_mov_b32 s31, 0x3fc3ab76
	s_delay_alu instid0(VALU_DEP_1) | instskip(SKIP_2) | instid1(VALU_DEP_1)
	v_mul_f64 v[133:134], v[8:9], s[18:19]
	s_mov_b32 s18, 0xfca7ab0c
	s_mov_b32 s19, 0x3e928af3
	v_rndne_f64_e32 v[133:134], v[133:134]
	s_delay_alu instid0(VALU_DEP_1) | instskip(SKIP_2) | instid1(VALU_DEP_2)
	v_fma_f64 v[145:146], v[133:134], s[20:21], v[8:9]
	v_cvt_i32_f64_e32 v149, v[133:134]
	s_mov_b32 s21, 0x3fe62e42
	v_fma_f64 v[145:146], v[133:134], s[24:25], v[145:146]
	s_mov_b32 s25, 0x3c7abc9e
	s_delay_alu instid0(VALU_DEP_1) | instskip(SKIP_3) | instid1(VALU_DEP_2)
	v_fma_f64 v[147:148], v[145:146], vcc, s[18:19]
	s_mov_b32 s18, 0x623fde64
	s_mov_b32 s19, 0x3ec71dee
	v_cmp_nlt_f64_e32 vcc_lo, 0x40900000, v[8:9]
	v_fma_f64 v[147:148], v[145:146], v[147:148], s[18:19]
	s_mov_b32 s18, 0x7c89e6b0
	s_mov_b32 s19, 0x3efa0199
	s_delay_alu instid0(VALU_DEP_1) | instid1(SALU_CYCLE_1)
	v_fma_f64 v[147:148], v[145:146], v[147:148], s[18:19]
	s_mov_b32 s18, 0x14761f6e
	s_mov_b32 s19, 0x3f2a01a0
	s_delay_alu instid0(VALU_DEP_1) | instid1(SALU_CYCLE_1)
	;; [unrolled: 4-line block ×7, first 2 shown]
	v_fma_f64 v[147:148], v[145:146], v[147:148], s[18:19]
	v_cmp_ngt_f64_e64 s18, 0xc090cc00, v[8:9]
	s_mov_b32 s19, 0x3fe55555
	s_delay_alu instid0(VALU_DEP_2) | instskip(NEXT) | instid1(VALU_DEP_1)
	v_fma_f64 v[147:148], v[145:146], v[147:148], 1.0
	v_fma_f64 v[133:134], v[145:146], v[147:148], 1.0
	s_delay_alu instid0(VALU_DEP_1) | instskip(NEXT) | instid1(VALU_DEP_1)
	v_ldexp_f64 v[133:134], v[133:134], v149
	v_cndmask_b32_e32 v134, 0x7ff00000, v134, vcc_lo
	s_and_b32 vcc_lo, s18, vcc_lo
	s_delay_alu instid0(VALU_DEP_2) | instskip(NEXT) | instid1(VALU_DEP_2)
	v_cndmask_b32_e32 v8, 0, v133, vcc_lo
	v_cndmask_b32_e64 v9, 0, v134, s18
	s_mov_b32 s18, 0x55555555
	s_delay_alu instid0(VALU_DEP_1) | instskip(NEXT) | instid1(VALU_DEP_1)
	v_add_f64 v[133:134], v[8:9], 1.0
	v_frexp_mant_f64_e32 v[145:146], v[133:134]
	v_frexp_exp_i32_f64_e32 v149, v[133:134]
	v_add_f64 v[147:148], v[133:134], -1.0
	s_delay_alu instid0(VALU_DEP_3) | instskip(SKIP_1) | instid1(VALU_DEP_2)
	v_cmp_gt_f64_e32 vcc_lo, s[18:19], v[145:146]
	s_mov_b32 s18, 0x55555780
	v_add_f64 v[145:146], v[147:148], -v[133:134]
	v_add_f64 v[147:148], v[8:9], -v[147:148]
	v_subrev_co_ci_u32_e32 v151, vcc_lo, 0, v149, vcc_lo
	s_delay_alu instid0(VALU_DEP_3) | instskip(SKIP_2) | instid1(VALU_DEP_2)
	v_add_f64 v[145:146], v[145:146], 1.0
	s_mov_b32 vcc_lo, 0x6b47b09a
	s_mov_b32 vcc_hi, 0x3fc38538
	v_sub_nc_u32_e32 v160, 0, v151
	s_delay_alu instid0(VALU_DEP_1) | instskip(NEXT) | instid1(VALU_DEP_3)
	v_ldexp_f64 v[133:134], v[133:134], v160
	v_add_f64 v[145:146], v[147:148], v[145:146]
	s_delay_alu instid0(VALU_DEP_2) | instskip(SKIP_1) | instid1(VALU_DEP_3)
	v_add_f64 v[149:150], v[133:134], 1.0
	v_add_f64 v[164:165], v[133:134], -1.0
	v_ldexp_f64 v[145:146], v[145:146], v160
	s_delay_alu instid0(VALU_DEP_3) | instskip(NEXT) | instid1(VALU_DEP_3)
	v_add_f64 v[147:148], v[149:150], -1.0
	v_add_f64 v[210:211], v[164:165], 1.0
	s_delay_alu instid0(VALU_DEP_2) | instskip(NEXT) | instid1(VALU_DEP_2)
	v_add_f64 v[147:148], v[133:134], -v[147:148]
	v_add_f64 v[133:134], v[133:134], -v[210:211]
	s_delay_alu instid0(VALU_DEP_2) | instskip(NEXT) | instid1(VALU_DEP_2)
	v_add_f64 v[147:148], v[145:146], v[147:148]
	v_add_f64 v[133:134], v[145:146], v[133:134]
	s_delay_alu instid0(VALU_DEP_2) | instskip(NEXT) | instid1(VALU_DEP_2)
	v_add_f64 v[160:161], v[149:150], v[147:148]
	v_add_f64 v[210:211], v[164:165], v[133:134]
	s_delay_alu instid0(VALU_DEP_2) | instskip(SKIP_1) | instid1(VALU_DEP_2)
	v_rcp_f64_e32 v[162:163], v[160:161]
	v_add_f64 v[149:150], v[160:161], -v[149:150]
	v_add_f64 v[164:165], v[210:211], -v[164:165]
	s_delay_alu instid0(VALU_DEP_2) | instskip(SKIP_3) | instid1(VALU_DEP_2)
	v_add_f64 v[147:148], v[147:148], -v[149:150]
	s_waitcnt_depctr 0xfff
	v_fma_f64 v[212:213], -v[160:161], v[162:163], 1.0
	v_add_f64 v[133:134], v[133:134], -v[164:165]
	v_fma_f64 v[162:163], v[212:213], v[162:163], v[162:163]
	s_delay_alu instid0(VALU_DEP_1) | instskip(NEXT) | instid1(VALU_DEP_1)
	v_fma_f64 v[145:146], -v[160:161], v[162:163], 1.0
	v_fma_f64 v[145:146], v[145:146], v[162:163], v[162:163]
	s_delay_alu instid0(VALU_DEP_1) | instskip(NEXT) | instid1(VALU_DEP_1)
	v_mul_f64 v[162:163], v[210:211], v[145:146]
	v_mul_f64 v[212:213], v[160:161], v[162:163]
	s_delay_alu instid0(VALU_DEP_1) | instskip(NEXT) | instid1(VALU_DEP_1)
	v_fma_f64 v[149:150], v[162:163], v[160:161], -v[212:213]
	v_fma_f64 v[149:150], v[162:163], v[147:148], v[149:150]
	s_delay_alu instid0(VALU_DEP_1) | instskip(NEXT) | instid1(VALU_DEP_1)
	v_add_f64 v[214:215], v[212:213], v[149:150]
	v_add_f64 v[224:225], v[210:211], -v[214:215]
	v_add_f64 v[164:165], v[214:215], -v[212:213]
	s_delay_alu instid0(VALU_DEP_2) | instskip(NEXT) | instid1(VALU_DEP_2)
	v_add_f64 v[210:211], v[210:211], -v[224:225]
	v_add_f64 v[149:150], v[164:165], -v[149:150]
	s_delay_alu instid0(VALU_DEP_2) | instskip(NEXT) | instid1(VALU_DEP_1)
	v_add_f64 v[210:211], v[210:211], -v[214:215]
	v_add_f64 v[133:134], v[133:134], v[210:211]
	s_delay_alu instid0(VALU_DEP_1) | instskip(NEXT) | instid1(VALU_DEP_1)
	v_add_f64 v[133:134], v[149:150], v[133:134]
	v_add_f64 v[149:150], v[224:225], v[133:134]
	s_delay_alu instid0(VALU_DEP_1) | instskip(SKIP_1) | instid1(VALU_DEP_2)
	v_mul_f64 v[164:165], v[145:146], v[149:150]
	v_add_f64 v[214:215], v[224:225], -v[149:150]
	v_mul_f64 v[210:211], v[160:161], v[164:165]
	s_delay_alu instid0(VALU_DEP_2) | instskip(NEXT) | instid1(VALU_DEP_2)
	v_add_f64 v[133:134], v[133:134], v[214:215]
	v_fma_f64 v[160:161], v[164:165], v[160:161], -v[210:211]
	s_delay_alu instid0(VALU_DEP_1) | instskip(NEXT) | instid1(VALU_DEP_1)
	v_fma_f64 v[147:148], v[164:165], v[147:148], v[160:161]
	v_add_f64 v[160:161], v[210:211], v[147:148]
	s_delay_alu instid0(VALU_DEP_1) | instskip(SKIP_1) | instid1(VALU_DEP_2)
	v_add_f64 v[212:213], v[149:150], -v[160:161]
	v_add_f64 v[210:211], v[160:161], -v[210:211]
	;; [unrolled: 1-line block ×3, first 2 shown]
	s_delay_alu instid0(VALU_DEP_2) | instskip(NEXT) | instid1(VALU_DEP_2)
	v_add_f64 v[147:148], v[210:211], -v[147:148]
	v_add_f64 v[149:150], v[149:150], -v[160:161]
	s_delay_alu instid0(VALU_DEP_1) | instskip(SKIP_1) | instid1(VALU_DEP_2)
	v_add_f64 v[133:134], v[133:134], v[149:150]
	v_add_f64 v[149:150], v[162:163], v[164:165]
	v_add_f64 v[133:134], v[147:148], v[133:134]
	s_delay_alu instid0(VALU_DEP_2) | instskip(NEXT) | instid1(VALU_DEP_2)
	v_add_f64 v[147:148], v[149:150], -v[162:163]
	v_add_f64 v[133:134], v[212:213], v[133:134]
	s_delay_alu instid0(VALU_DEP_2) | instskip(NEXT) | instid1(VALU_DEP_2)
	v_add_f64 v[147:148], v[164:165], -v[147:148]
	v_mul_f64 v[133:134], v[145:146], v[133:134]
	s_delay_alu instid0(VALU_DEP_1) | instskip(NEXT) | instid1(VALU_DEP_1)
	v_add_f64 v[133:134], v[147:148], v[133:134]
	v_add_f64 v[145:146], v[149:150], v[133:134]
	s_delay_alu instid0(VALU_DEP_1) | instskip(NEXT) | instid1(VALU_DEP_1)
	v_mul_f64 v[147:148], v[145:146], v[145:146]
	v_fma_f64 v[160:161], v[147:148], s[30:31], vcc
	s_mov_b32 vcc_lo, 0xd7f4df2e
	s_mov_b32 vcc_hi, 0x3fc7474d
	v_mul_f64 v[162:163], v[145:146], v[147:148]
	s_delay_alu instid0(VALU_DEP_2)
	v_fma_f64 v[160:161], v[147:148], v[160:161], vcc
	s_mov_b32 vcc_lo, 0x16291751
	s_mov_b32 vcc_hi, 0x3fcc71c0
	s_delay_alu instid0(VALU_DEP_1) | instid1(SALU_CYCLE_1)
	v_fma_f64 v[160:161], v[147:148], v[160:161], vcc
	s_mov_b32 vcc_lo, 0x9b27acf1
	s_mov_b32 vcc_hi, 0x3fd24924
	s_delay_alu instid0(VALU_DEP_1) | instid1(SALU_CYCLE_1)
	;; [unrolled: 4-line block ×3, first 2 shown]
	v_fma_f64 v[160:161], v[147:148], v[160:161], vcc
	v_cmp_eq_f64_e32 vcc_lo, 0x7ff00000, v[8:9]
	s_delay_alu instid0(VALU_DEP_2) | instskip(SKIP_2) | instid1(VALU_DEP_3)
	v_fma_f64 v[147:148], v[147:148], v[160:161], s[18:19]
	v_ldexp_f64 v[160:161], v[145:146], 1
	v_add_f64 v[145:146], v[145:146], -v[149:150]
	v_mul_f64 v[147:148], v[162:163], v[147:148]
	v_cvt_f64_i32_e32 v[162:163], v151
	s_delay_alu instid0(VALU_DEP_3) | instskip(NEXT) | instid1(VALU_DEP_3)
	v_add_f64 v[133:134], v[133:134], -v[145:146]
	v_add_f64 v[149:150], v[160:161], v[147:148]
	s_delay_alu instid0(VALU_DEP_3) | instskip(NEXT) | instid1(VALU_DEP_3)
	v_mul_f64 v[164:165], v[162:163], s[20:21]
	v_ldexp_f64 v[133:134], v[133:134], 1
	s_delay_alu instid0(VALU_DEP_3) | instskip(NEXT) | instid1(VALU_DEP_3)
	v_add_f64 v[145:146], v[149:150], -v[160:161]
	v_fma_f64 v[160:161], v[162:163], s[20:21], -v[164:165]
	s_delay_alu instid0(VALU_DEP_2) | instskip(NEXT) | instid1(VALU_DEP_2)
	v_add_f64 v[145:146], v[147:148], -v[145:146]
	v_fma_f64 v[147:148], v[162:163], s[24:25], v[160:161]
	s_delay_alu instid0(VALU_DEP_2) | instskip(NEXT) | instid1(VALU_DEP_2)
	v_add_f64 v[133:134], v[133:134], v[145:146]
	v_add_f64 v[145:146], v[164:165], v[147:148]
	s_delay_alu instid0(VALU_DEP_2) | instskip(NEXT) | instid1(VALU_DEP_2)
	v_add_f64 v[160:161], v[149:150], v[133:134]
	v_add_f64 v[164:165], v[145:146], -v[164:165]
	s_delay_alu instid0(VALU_DEP_2) | instskip(SKIP_1) | instid1(VALU_DEP_3)
	v_add_f64 v[162:163], v[145:146], v[160:161]
	v_add_f64 v[149:150], v[160:161], -v[149:150]
	v_add_f64 v[147:148], v[147:148], -v[164:165]
	s_delay_alu instid0(VALU_DEP_3) | instskip(NEXT) | instid1(VALU_DEP_3)
	v_add_f64 v[210:211], v[162:163], -v[145:146]
	v_add_f64 v[133:134], v[133:134], -v[149:150]
	s_delay_alu instid0(VALU_DEP_2) | instskip(SKIP_1) | instid1(VALU_DEP_3)
	v_add_f64 v[212:213], v[162:163], -v[210:211]
	v_add_f64 v[149:150], v[160:161], -v[210:211]
	v_add_f64 v[160:161], v[147:148], v[133:134]
	s_delay_alu instid0(VALU_DEP_3) | instskip(NEXT) | instid1(VALU_DEP_1)
	v_add_f64 v[145:146], v[145:146], -v[212:213]
	v_add_f64 v[145:146], v[149:150], v[145:146]
	s_delay_alu instid0(VALU_DEP_3) | instskip(NEXT) | instid1(VALU_DEP_2)
	v_add_f64 v[149:150], v[160:161], -v[147:148]
	v_add_f64 v[145:146], v[160:161], v[145:146]
	s_delay_alu instid0(VALU_DEP_2) | instskip(SKIP_1) | instid1(VALU_DEP_3)
	v_add_f64 v[160:161], v[160:161], -v[149:150]
	v_add_f64 v[133:134], v[133:134], -v[149:150]
	v_add_f64 v[164:165], v[162:163], v[145:146]
	s_delay_alu instid0(VALU_DEP_3) | instskip(NEXT) | instid1(VALU_DEP_2)
	v_add_f64 v[147:148], v[147:148], -v[160:161]
	v_add_f64 v[149:150], v[164:165], -v[162:163]
	s_delay_alu instid0(VALU_DEP_2) | instskip(NEXT) | instid1(VALU_DEP_2)
	v_add_f64 v[133:134], v[133:134], v[147:148]
	v_add_f64 v[145:146], v[145:146], -v[149:150]
	s_delay_alu instid0(VALU_DEP_1) | instskip(NEXT) | instid1(VALU_DEP_1)
	v_add_f64 v[133:134], v[133:134], v[145:146]
	v_add_f64 v[133:134], v[164:165], v[133:134]
	s_delay_alu instid0(VALU_DEP_1) | instskip(SKIP_1) | instid1(VALU_DEP_2)
	v_dual_cndmask_b32 v133, v133, v8 :: v_dual_cndmask_b32 v134, v134, v9
	v_cmp_ngt_f64_e32 vcc_lo, -1.0, v[8:9]
	v_cndmask_b32_e32 v134, 0x7ff80000, v134, vcc_lo
	v_cmp_nge_f64_e32 vcc_lo, -1.0, v[8:9]
	s_delay_alu instid0(VALU_DEP_4) | instskip(SKIP_1) | instid1(VALU_DEP_4)
	v_cndmask_b32_e32 v133, 0, v133, vcc_lo
	v_cmp_neq_f64_e32 vcc_lo, -1.0, v[8:9]
	v_cndmask_b32_e32 v134, 0xfff00000, v134, vcc_lo
	s_delay_alu instid0(VALU_DEP_1)
	v_add_f64 v[8:9], v[6:7], v[133:134]
.LBB56_86:
	s_or_b32 exec_lo, exec_lo, s28
	s_delay_alu instid0(VALU_DEP_1)
	v_dual_mov_b32 v6, v8 :: v_dual_mov_b32 v7, v9
.LBB56_87:
	s_or_b32 exec_lo, exec_lo, s27
	ds_store_b64 v195, v[6:7]
.LBB56_88:
	s_or_b32 exec_lo, exec_lo, s26
	v_cmp_gt_u32_e32 vcc_lo, 32, v128
	s_mov_b32 s26, exec_lo
	s_waitcnt lgkmcnt(0)
	s_barrier
	buffer_gl0_inv
                                        ; implicit-def: $vgpr133_vgpr134
	v_cmpx_lt_u32_e32 31, v128
	s_cbranch_execz .LBB56_92
; %bb.89:
	v_lshl_add_u32 v6, v144, 3, -8
	v_cmp_u_f64_e64 s19, v[4:5], v[4:5]
	ds_load_b64 v[133:134], v6
	v_max_f64 v[6:7], v[4:5], v[4:5]
	s_waitcnt lgkmcnt(0)
	v_max_f64 v[8:9], v[133:134], v[133:134]
	v_cmp_u_f64_e64 s18, v[133:134], v[133:134]
	s_delay_alu instid0(VALU_DEP_2) | instskip(SKIP_1) | instid1(VALU_DEP_2)
	v_min_f64 v[144:145], v[8:9], v[6:7]
	v_max_f64 v[6:7], v[8:9], v[6:7]
	v_cndmask_b32_e64 v8, v144, v133, s18
	s_delay_alu instid0(VALU_DEP_3) | instskip(NEXT) | instid1(VALU_DEP_3)
	v_cndmask_b32_e64 v9, v145, v134, s18
	v_cndmask_b32_e64 v7, v7, v134, s18
	s_delay_alu instid0(VALU_DEP_4) | instskip(NEXT) | instid1(VALU_DEP_4)
	v_cndmask_b32_e64 v6, v6, v133, s18
	v_cndmask_b32_e64 v8, v8, v4, s19
	s_delay_alu instid0(VALU_DEP_4) | instskip(NEXT) | instid1(VALU_DEP_4)
	v_cndmask_b32_e64 v9, v9, v5, s19
	v_cndmask_b32_e64 v7, v7, v5, s19
	s_delay_alu instid0(VALU_DEP_4) | instskip(SKIP_1) | instid1(VALU_DEP_4)
	v_cndmask_b32_e64 v6, v6, v4, s19
	v_dual_mov_b32 v4, v133 :: v_dual_mov_b32 v5, v134
	v_cmp_class_f64_e64 s19, v[8:9], 0x1f8
	s_delay_alu instid0(VALU_DEP_3) | instskip(NEXT) | instid1(VALU_DEP_1)
	v_cmp_neq_f64_e64 s18, v[8:9], v[6:7]
	s_or_b32 s18, s18, s19
	s_delay_alu instid0(SALU_CYCLE_1)
	s_and_saveexec_b32 s27, s18
	s_cbranch_execz .LBB56_91
; %bb.90:
	v_add_f64 v[4:5], v[8:9], -v[6:7]
	s_mov_b32 s18, 0x652b82fe
	s_mov_b32 s19, 0x3ff71547
	;; [unrolled: 1-line block ×10, first 2 shown]
	s_delay_alu instid0(VALU_DEP_1) | instskip(SKIP_2) | instid1(VALU_DEP_1)
	v_mul_f64 v[8:9], v[4:5], s[18:19]
	s_mov_b32 s18, 0xfca7ab0c
	s_mov_b32 s19, 0x3e928af3
	v_rndne_f64_e32 v[8:9], v[8:9]
	s_delay_alu instid0(VALU_DEP_1) | instskip(SKIP_2) | instid1(VALU_DEP_2)
	v_fma_f64 v[144:145], v[8:9], s[20:21], v[4:5]
	v_cvt_i32_f64_e32 v148, v[8:9]
	s_mov_b32 s21, 0x3fe62e42
	v_fma_f64 v[144:145], v[8:9], s[24:25], v[144:145]
	s_mov_b32 s25, 0x3c7abc9e
	s_delay_alu instid0(VALU_DEP_1) | instskip(SKIP_4) | instid1(VALU_DEP_1)
	v_fma_f64 v[146:147], v[144:145], s[28:29], s[18:19]
	s_mov_b32 s18, 0x623fde64
	s_mov_b32 s19, 0x3ec71dee
	;; [unrolled: 1-line block ×4, first 2 shown]
	v_fma_f64 v[146:147], v[144:145], v[146:147], s[18:19]
	s_mov_b32 s18, 0x7c89e6b0
	s_mov_b32 s19, 0x3efa0199
	s_delay_alu instid0(VALU_DEP_1) | instid1(SALU_CYCLE_1)
	v_fma_f64 v[146:147], v[144:145], v[146:147], s[18:19]
	s_mov_b32 s18, 0x14761f6e
	s_mov_b32 s19, 0x3f2a01a0
	s_delay_alu instid0(VALU_DEP_1) | instid1(SALU_CYCLE_1)
	;; [unrolled: 4-line block ×7, first 2 shown]
	v_fma_f64 v[146:147], v[144:145], v[146:147], s[18:19]
	v_cmp_nlt_f64_e64 s18, 0x40900000, v[4:5]
	v_cmp_ngt_f64_e64 s19, 0xc090cc00, v[4:5]
	s_delay_alu instid0(VALU_DEP_3) | instskip(NEXT) | instid1(VALU_DEP_1)
	v_fma_f64 v[146:147], v[144:145], v[146:147], 1.0
	v_fma_f64 v[8:9], v[144:145], v[146:147], 1.0
	s_delay_alu instid0(VALU_DEP_1) | instskip(NEXT) | instid1(VALU_DEP_1)
	v_ldexp_f64 v[8:9], v[8:9], v148
	v_cndmask_b32_e64 v9, 0x7ff00000, v9, s18
	s_and_b32 s18, s19, s18
	s_delay_alu instid0(VALU_DEP_2) | instid1(SALU_CYCLE_1)
	v_cndmask_b32_e64 v4, 0, v8, s18
	s_mov_b32 s18, 0x55555555
	s_delay_alu instid0(VALU_DEP_2) | instskip(SKIP_1) | instid1(VALU_DEP_1)
	v_cndmask_b32_e64 v5, 0, v9, s19
	s_mov_b32 s19, 0x3fe55555
	v_add_f64 v[8:9], v[4:5], 1.0
	s_delay_alu instid0(VALU_DEP_1) | instskip(SKIP_2) | instid1(VALU_DEP_3)
	v_frexp_mant_f64_e32 v[144:145], v[8:9]
	v_frexp_exp_i32_f64_e32 v148, v[8:9]
	v_add_f64 v[146:147], v[8:9], -1.0
	v_cmp_gt_f64_e64 s18, s[18:19], v[144:145]
	s_delay_alu instid0(VALU_DEP_2) | instskip(SKIP_1) | instid1(VALU_DEP_3)
	v_add_f64 v[144:145], v[146:147], -v[8:9]
	v_add_f64 v[146:147], v[4:5], -v[146:147]
	v_subrev_co_ci_u32_e64 v166, s18, 0, v148, s18
	s_delay_alu instid0(VALU_DEP_3) | instskip(SKIP_1) | instid1(VALU_DEP_2)
	v_add_f64 v[144:145], v[144:145], 1.0
	s_mov_b32 s18, 0x55555780
	v_sub_nc_u32_e32 v150, 0, v166
	s_delay_alu instid0(VALU_DEP_1) | instskip(NEXT) | instid1(VALU_DEP_3)
	v_ldexp_f64 v[8:9], v[8:9], v150
	v_add_f64 v[144:145], v[146:147], v[144:145]
	s_delay_alu instid0(VALU_DEP_2) | instskip(SKIP_1) | instid1(VALU_DEP_3)
	v_add_f64 v[148:149], v[8:9], 1.0
	v_add_f64 v[162:163], v[8:9], -1.0
	v_ldexp_f64 v[144:145], v[144:145], v150
	s_delay_alu instid0(VALU_DEP_3) | instskip(NEXT) | instid1(VALU_DEP_3)
	v_add_f64 v[146:147], v[148:149], -1.0
	v_add_f64 v[164:165], v[162:163], 1.0
	s_delay_alu instid0(VALU_DEP_2) | instskip(NEXT) | instid1(VALU_DEP_2)
	v_add_f64 v[146:147], v[8:9], -v[146:147]
	v_add_f64 v[8:9], v[8:9], -v[164:165]
	s_delay_alu instid0(VALU_DEP_2) | instskip(NEXT) | instid1(VALU_DEP_2)
	v_add_f64 v[146:147], v[144:145], v[146:147]
	v_add_f64 v[8:9], v[144:145], v[8:9]
	s_delay_alu instid0(VALU_DEP_2) | instskip(NEXT) | instid1(VALU_DEP_2)
	v_add_f64 v[150:151], v[148:149], v[146:147]
	v_add_f64 v[164:165], v[162:163], v[8:9]
	s_delay_alu instid0(VALU_DEP_2) | instskip(SKIP_1) | instid1(VALU_DEP_2)
	v_rcp_f64_e32 v[160:161], v[150:151]
	v_add_f64 v[148:149], v[150:151], -v[148:149]
	v_add_f64 v[162:163], v[164:165], -v[162:163]
	s_delay_alu instid0(VALU_DEP_2) | instskip(SKIP_3) | instid1(VALU_DEP_2)
	v_add_f64 v[146:147], v[146:147], -v[148:149]
	s_waitcnt_depctr 0xfff
	v_fma_f64 v[210:211], -v[150:151], v[160:161], 1.0
	v_add_f64 v[8:9], v[8:9], -v[162:163]
	v_fma_f64 v[160:161], v[210:211], v[160:161], v[160:161]
	s_delay_alu instid0(VALU_DEP_1) | instskip(NEXT) | instid1(VALU_DEP_1)
	v_fma_f64 v[144:145], -v[150:151], v[160:161], 1.0
	v_fma_f64 v[144:145], v[144:145], v[160:161], v[160:161]
	s_delay_alu instid0(VALU_DEP_1) | instskip(NEXT) | instid1(VALU_DEP_1)
	v_mul_f64 v[160:161], v[164:165], v[144:145]
	v_mul_f64 v[210:211], v[150:151], v[160:161]
	s_delay_alu instid0(VALU_DEP_1) | instskip(NEXT) | instid1(VALU_DEP_1)
	v_fma_f64 v[148:149], v[160:161], v[150:151], -v[210:211]
	v_fma_f64 v[148:149], v[160:161], v[146:147], v[148:149]
	s_delay_alu instid0(VALU_DEP_1) | instskip(NEXT) | instid1(VALU_DEP_1)
	v_add_f64 v[212:213], v[210:211], v[148:149]
	v_add_f64 v[214:215], v[164:165], -v[212:213]
	v_add_f64 v[162:163], v[212:213], -v[210:211]
	s_delay_alu instid0(VALU_DEP_2) | instskip(NEXT) | instid1(VALU_DEP_2)
	v_add_f64 v[164:165], v[164:165], -v[214:215]
	v_add_f64 v[148:149], v[162:163], -v[148:149]
	s_delay_alu instid0(VALU_DEP_2) | instskip(NEXT) | instid1(VALU_DEP_1)
	v_add_f64 v[164:165], v[164:165], -v[212:213]
	v_add_f64 v[8:9], v[8:9], v[164:165]
	s_delay_alu instid0(VALU_DEP_1) | instskip(NEXT) | instid1(VALU_DEP_1)
	v_add_f64 v[8:9], v[148:149], v[8:9]
	v_add_f64 v[148:149], v[214:215], v[8:9]
	s_delay_alu instid0(VALU_DEP_1) | instskip(SKIP_1) | instid1(VALU_DEP_2)
	v_mul_f64 v[162:163], v[144:145], v[148:149]
	v_add_f64 v[212:213], v[214:215], -v[148:149]
	v_mul_f64 v[164:165], v[150:151], v[162:163]
	s_delay_alu instid0(VALU_DEP_2) | instskip(NEXT) | instid1(VALU_DEP_2)
	v_add_f64 v[8:9], v[8:9], v[212:213]
	v_fma_f64 v[150:151], v[162:163], v[150:151], -v[164:165]
	s_delay_alu instid0(VALU_DEP_1) | instskip(NEXT) | instid1(VALU_DEP_1)
	v_fma_f64 v[146:147], v[162:163], v[146:147], v[150:151]
	v_add_f64 v[150:151], v[164:165], v[146:147]
	s_delay_alu instid0(VALU_DEP_1) | instskip(SKIP_1) | instid1(VALU_DEP_2)
	v_add_f64 v[210:211], v[148:149], -v[150:151]
	v_add_f64 v[164:165], v[150:151], -v[164:165]
	v_add_f64 v[148:149], v[148:149], -v[210:211]
	s_delay_alu instid0(VALU_DEP_2) | instskip(NEXT) | instid1(VALU_DEP_2)
	v_add_f64 v[146:147], v[164:165], -v[146:147]
	v_add_f64 v[148:149], v[148:149], -v[150:151]
	s_delay_alu instid0(VALU_DEP_1) | instskip(SKIP_1) | instid1(VALU_DEP_2)
	v_add_f64 v[8:9], v[8:9], v[148:149]
	v_add_f64 v[148:149], v[160:161], v[162:163]
	;; [unrolled: 1-line block ×3, first 2 shown]
	s_delay_alu instid0(VALU_DEP_2) | instskip(NEXT) | instid1(VALU_DEP_2)
	v_add_f64 v[146:147], v[148:149], -v[160:161]
	v_add_f64 v[8:9], v[210:211], v[8:9]
	s_delay_alu instid0(VALU_DEP_2) | instskip(NEXT) | instid1(VALU_DEP_2)
	v_add_f64 v[146:147], v[162:163], -v[146:147]
	v_mul_f64 v[8:9], v[144:145], v[8:9]
	s_delay_alu instid0(VALU_DEP_1) | instskip(NEXT) | instid1(VALU_DEP_1)
	v_add_f64 v[8:9], v[146:147], v[8:9]
	v_add_f64 v[144:145], v[148:149], v[8:9]
	s_delay_alu instid0(VALU_DEP_1) | instskip(NEXT) | instid1(VALU_DEP_1)
	v_mul_f64 v[146:147], v[144:145], v[144:145]
	v_fma_f64 v[150:151], v[146:147], s[30:31], s[28:29]
	s_mov_b32 s28, 0xd7f4df2e
	s_mov_b32 s29, 0x3fc7474d
	v_mul_f64 v[160:161], v[144:145], v[146:147]
	s_delay_alu instid0(VALU_DEP_2)
	v_fma_f64 v[150:151], v[146:147], v[150:151], s[28:29]
	s_mov_b32 s28, 0x16291751
	s_mov_b32 s29, 0x3fcc71c0
	s_delay_alu instid0(VALU_DEP_1) | instid1(SALU_CYCLE_1)
	v_fma_f64 v[150:151], v[146:147], v[150:151], s[28:29]
	s_mov_b32 s28, 0x9b27acf1
	s_mov_b32 s29, 0x3fd24924
	s_delay_alu instid0(VALU_DEP_1) | instid1(SALU_CYCLE_1)
	;; [unrolled: 4-line block ×3, first 2 shown]
	v_fma_f64 v[150:151], v[146:147], v[150:151], s[28:29]
	s_delay_alu instid0(VALU_DEP_1) | instskip(SKIP_3) | instid1(VALU_DEP_4)
	v_fma_f64 v[146:147], v[146:147], v[150:151], s[18:19]
	v_ldexp_f64 v[150:151], v[144:145], 1
	v_add_f64 v[144:145], v[144:145], -v[148:149]
	v_cmp_eq_f64_e64 s18, 0x7ff00000, v[4:5]
	v_mul_f64 v[146:147], v[160:161], v[146:147]
	v_cvt_f64_i32_e32 v[160:161], v166
	s_delay_alu instid0(VALU_DEP_4) | instskip(NEXT) | instid1(VALU_DEP_3)
	v_add_f64 v[8:9], v[8:9], -v[144:145]
	v_add_f64 v[148:149], v[150:151], v[146:147]
	s_delay_alu instid0(VALU_DEP_3) | instskip(NEXT) | instid1(VALU_DEP_3)
	v_mul_f64 v[162:163], v[160:161], s[20:21]
	v_ldexp_f64 v[8:9], v[8:9], 1
	s_delay_alu instid0(VALU_DEP_3) | instskip(NEXT) | instid1(VALU_DEP_3)
	v_add_f64 v[144:145], v[148:149], -v[150:151]
	v_fma_f64 v[150:151], v[160:161], s[20:21], -v[162:163]
	s_delay_alu instid0(VALU_DEP_2) | instskip(NEXT) | instid1(VALU_DEP_2)
	v_add_f64 v[144:145], v[146:147], -v[144:145]
	v_fma_f64 v[146:147], v[160:161], s[24:25], v[150:151]
	s_delay_alu instid0(VALU_DEP_2) | instskip(NEXT) | instid1(VALU_DEP_2)
	v_add_f64 v[8:9], v[8:9], v[144:145]
	v_add_f64 v[144:145], v[162:163], v[146:147]
	s_delay_alu instid0(VALU_DEP_2) | instskip(NEXT) | instid1(VALU_DEP_2)
	v_add_f64 v[150:151], v[148:149], v[8:9]
	v_add_f64 v[162:163], v[144:145], -v[162:163]
	s_delay_alu instid0(VALU_DEP_2) | instskip(SKIP_1) | instid1(VALU_DEP_3)
	v_add_f64 v[160:161], v[144:145], v[150:151]
	v_add_f64 v[148:149], v[150:151], -v[148:149]
	v_add_f64 v[146:147], v[146:147], -v[162:163]
	s_delay_alu instid0(VALU_DEP_3) | instskip(NEXT) | instid1(VALU_DEP_3)
	v_add_f64 v[164:165], v[160:161], -v[144:145]
	v_add_f64 v[8:9], v[8:9], -v[148:149]
	s_delay_alu instid0(VALU_DEP_2) | instskip(SKIP_1) | instid1(VALU_DEP_3)
	v_add_f64 v[210:211], v[160:161], -v[164:165]
	v_add_f64 v[148:149], v[150:151], -v[164:165]
	v_add_f64 v[150:151], v[146:147], v[8:9]
	s_delay_alu instid0(VALU_DEP_3) | instskip(NEXT) | instid1(VALU_DEP_1)
	v_add_f64 v[144:145], v[144:145], -v[210:211]
	v_add_f64 v[144:145], v[148:149], v[144:145]
	s_delay_alu instid0(VALU_DEP_3) | instskip(NEXT) | instid1(VALU_DEP_2)
	v_add_f64 v[148:149], v[150:151], -v[146:147]
	v_add_f64 v[144:145], v[150:151], v[144:145]
	s_delay_alu instid0(VALU_DEP_2) | instskip(SKIP_1) | instid1(VALU_DEP_3)
	v_add_f64 v[150:151], v[150:151], -v[148:149]
	v_add_f64 v[8:9], v[8:9], -v[148:149]
	v_add_f64 v[162:163], v[160:161], v[144:145]
	s_delay_alu instid0(VALU_DEP_3) | instskip(NEXT) | instid1(VALU_DEP_2)
	v_add_f64 v[146:147], v[146:147], -v[150:151]
	v_add_f64 v[148:149], v[162:163], -v[160:161]
	s_delay_alu instid0(VALU_DEP_2) | instskip(NEXT) | instid1(VALU_DEP_2)
	v_add_f64 v[8:9], v[8:9], v[146:147]
	v_add_f64 v[144:145], v[144:145], -v[148:149]
	s_delay_alu instid0(VALU_DEP_1) | instskip(NEXT) | instid1(VALU_DEP_1)
	v_add_f64 v[8:9], v[8:9], v[144:145]
	v_add_f64 v[8:9], v[162:163], v[8:9]
	s_delay_alu instid0(VALU_DEP_1) | instskip(NEXT) | instid1(VALU_DEP_2)
	v_cndmask_b32_e64 v8, v8, v4, s18
	v_cndmask_b32_e64 v9, v9, v5, s18
	v_cmp_ngt_f64_e64 s18, -1.0, v[4:5]
	s_delay_alu instid0(VALU_DEP_1) | instskip(SKIP_1) | instid1(VALU_DEP_1)
	v_cndmask_b32_e64 v9, 0x7ff80000, v9, s18
	v_cmp_nge_f64_e64 s18, -1.0, v[4:5]
	v_cndmask_b32_e64 v8, 0, v8, s18
	v_cmp_neq_f64_e64 s18, -1.0, v[4:5]
	s_delay_alu instid0(VALU_DEP_1) | instskip(NEXT) | instid1(VALU_DEP_1)
	v_cndmask_b32_e64 v9, 0xfff00000, v9, s18
	v_add_f64 v[4:5], v[6:7], v[8:9]
.LBB56_91:
	s_or_b32 exec_lo, exec_lo, s27
.LBB56_92:
	s_delay_alu instid0(SALU_CYCLE_1) | instskip(SKIP_1) | instid1(VALU_DEP_1)
	s_or_b32 exec_lo, exec_lo, s26
	v_add_nc_u32_e32 v6, -1, v209
	v_cmp_gt_i32_e64 s18, 0, v6
	s_delay_alu instid0(VALU_DEP_1) | instskip(SKIP_1) | instid1(VALU_DEP_2)
	v_cndmask_b32_e64 v6, v6, v209, s18
	v_cmp_eq_u32_e64 s18, 0, v209
	v_lshlrev_b32_e32 v6, 2, v6
	ds_bpermute_b32 v210, v6, v4
	ds_bpermute_b32 v211, v6, v5
	s_and_saveexec_b32 s72, vcc_lo
	s_cbranch_execz .LBB56_221
; %bb.93:
	v_mov_b32_e32 v8, 0
	ds_load_b64 v[4:5], v8 offset:56
	s_and_saveexec_b32 s19, s18
	s_cbranch_execz .LBB56_102
; %bb.94:
	s_add_i32 s20, s12, 32
	s_mov_b32 s21, 0
	s_delay_alu instid0(SALU_CYCLE_1) | instskip(NEXT) | instid1(SALU_CYCLE_1)
	s_lshl_b64 s[20:21], s[20:21], 4
	v_add_co_u32 v144, vcc_lo, v116, s20
	v_add_co_ci_u32_e32 v145, vcc_lo, s21, v117, vcc_lo
	s_mov_b64 s[20:21], src_shared_base
	s_mov_b32 s20, exec_lo
	s_delay_alu instid0(VALU_DEP_1)
	v_cmpx_ne_u32_e64 s21, v145
	s_xor_b32 s20, exec_lo, s20
	s_cbranch_execz .LBB56_100
; %bb.95:
	s_mov_b64 s[24:25], src_private_base
	s_mov_b32 s21, exec_lo
	v_cmpx_ne_u32_e64 s25, v145
	s_xor_b32 s21, exec_lo, s21
	s_cbranch_execz .LBB56_97
; %bb.96:
	v_dual_mov_b32 v6, 1 :: v_dual_mov_b32 v7, 0
	s_waitcnt lgkmcnt(0)
	;;#ASMSTART
	global_store_dwordx4 v[144:145], v[4:7] off	
s_waitcnt vmcnt(0)
	;;#ASMEND
                                        ; implicit-def: $vgpr144_vgpr145
.LBB56_97:
	s_and_not1_saveexec_b32 s21, s21
	s_cbranch_execz .LBB56_99
; %bb.98:
	v_dual_mov_b32 v6, 1 :: v_dual_mov_b32 v7, 0
	s_waitcnt lgkmcnt(0)
	;;#ASMSTART
	flat_store_dwordx4 v[144:145], v[4:7] 	
s_waitcnt vmcnt(0)
	;;#ASMEND
.LBB56_99:
	s_or_b32 exec_lo, exec_lo, s21
                                        ; implicit-def: $vgpr144_vgpr145
.LBB56_100:
	s_and_not1_saveexec_b32 s20, s20
	s_cbranch_execz .LBB56_102
; %bb.101:
	v_cmp_ne_u64_e32 vcc_lo, 0, v[144:145]
	v_dual_mov_b32 v7, 0 :: v_dual_mov_b32 v6, 1
	v_cndmask_b32_e32 v9, -1, v144, vcc_lo
	s_waitcnt lgkmcnt(0)
	;;#ASMSTART
	ds_write_b128 v9, v[4:7] 	
s_waitcnt lgkmcnt(0)
	;;#ASMEND
.LBB56_102:
	s_or_b32 exec_lo, exec_lo, s19
	v_xad_u32 v144, v209, -1, s12
	s_mov_b64 s[20:21], src_shared_base
                                        ; implicit-def: $vgpr149_vgpr150
                                        ; implicit-def: $vgpr160_vgpr161
                                        ; implicit-def: $vgpr150_vgpr151
                                        ; implicit-def: $vgpr161_vgpr162
                                        ; implicit-def: $vgpr163_vgpr164
                                        ; implicit-def: $vgpr147_vgpr148
	s_delay_alu instid0(VALU_DEP_1) | instskip(NEXT) | instid1(VALU_DEP_1)
	v_add_nc_u32_e32 v7, 32, v144
	v_lshlrev_b64 v[6:7], 4, v[7:8]
                                        ; implicit-def: $vgpr8
	s_delay_alu instid0(VALU_DEP_1) | instskip(NEXT) | instid1(VALU_DEP_2)
	v_add_co_u32 v145, vcc_lo, v116, v6
	v_add_co_ci_u32_e32 v146, vcc_lo, v117, v7, vcc_lo
	s_delay_alu instid0(VALU_DEP_1) | instskip(SKIP_1) | instid1(SALU_CYCLE_1)
	v_cmp_ne_u32_e32 vcc_lo, s21, v146
	s_and_saveexec_b32 s19, vcc_lo
	s_xor_b32 s20, exec_lo, s19
	s_cbranch_execz .LBB56_108
; %bb.103:
	s_mov_b64 s[24:25], src_private_base
                                        ; implicit-def: $vgpr149_vgpr150
                                        ; implicit-def: $vgpr160_vgpr161
                                        ; implicit-def: $vgpr8
                                        ; implicit-def: $vgpr150_vgpr151
	s_delay_alu instid0(SALU_CYCLE_1) | instskip(NEXT) | instid1(VALU_DEP_1)
	v_cmp_ne_u32_e64 s19, s25, v146
                                        ; implicit-def: $vgpr161_vgpr162
                                        ; implicit-def: $vgpr163_vgpr164
                                        ; implicit-def: $vgpr147_vgpr148
	s_and_saveexec_b32 s21, s19
	s_delay_alu instid0(SALU_CYCLE_1)
	s_xor_b32 s19, exec_lo, s21
	s_cbranch_execz .LBB56_105
; %bb.104:
	;;#ASMSTART
	global_load_dwordx4 v[6:9], v[145:146] off glc	
s_waitcnt vmcnt(0)
	;;#ASMEND
	v_lshrrev_b64 v[147:148], 8, v[6:7]
	v_lshlrev_b64 v[148:149], 24, v[8:9]
	v_lshlrev_b64 v[149:150], 16, v[8:9]
	;; [unrolled: 1-line block ×3, first 2 shown]
	v_lshrrev_b32_e32 v151, 8, v7
	v_lshrrev_b32_e32 v150, 16, v7
	;; [unrolled: 1-line block ×3, first 2 shown]
	v_lshrrev_b64 v[163:164], 16, v[6:7]
	v_lshrrev_b64 v[161:162], 24, v[6:7]
	v_or_b32_e32 v160, v151, v148
	v_or_b32_e32 v150, v150, v149
	;; [unrolled: 1-line block ×3, first 2 shown]
.LBB56_105:
	s_and_not1_saveexec_b32 s19, s19
	s_cbranch_execz .LBB56_107
; %bb.106:
	;;#ASMSTART
	flat_load_dwordx4 v[6:9], v[145:146] glc	
s_waitcnt vmcnt(0)
	;;#ASMEND
	v_lshrrev_b64 v[147:148], 8, v[6:7]
	v_lshlrev_b64 v[148:149], 24, v[8:9]
	v_lshlrev_b64 v[149:150], 16, v[8:9]
	;; [unrolled: 1-line block ×3, first 2 shown]
	v_lshrrev_b32_e32 v151, 8, v7
	v_lshrrev_b32_e32 v150, 16, v7
	;; [unrolled: 1-line block ×3, first 2 shown]
	v_lshrrev_b64 v[163:164], 16, v[6:7]
	v_lshrrev_b64 v[161:162], 24, v[6:7]
	v_or_b32_e32 v160, v151, v148
	v_or_b32_e32 v150, v150, v149
	;; [unrolled: 1-line block ×3, first 2 shown]
.LBB56_107:
	s_or_b32 exec_lo, exec_lo, s19
.LBB56_108:
	s_and_not1_saveexec_b32 s20, s20
	s_cbranch_execz .LBB56_110
; %bb.109:
	v_cmp_ne_u64_e64 s19, 0, v[145:146]
	s_delay_alu instid0(VALU_DEP_1) | instskip(SKIP_1) | instid1(VALU_DEP_1)
	v_cndmask_b32_e64 v6, -1, v145, s19
	;;#ASMSTART
	ds_read_b128 v[6:9], v6 	
s_waitcnt lgkmcnt(0)
	;;#ASMEND
	v_lshrrev_b64 v[147:148], 8, v[6:7]
	v_lshlrev_b64 v[148:149], 24, v[8:9]
	v_lshlrev_b64 v[149:150], 16, v[8:9]
	;; [unrolled: 1-line block ×3, first 2 shown]
	v_lshrrev_b32_e32 v151, 8, v7
	v_lshrrev_b32_e32 v150, 16, v7
	;; [unrolled: 1-line block ×3, first 2 shown]
	v_lshrrev_b64 v[163:164], 16, v[6:7]
	v_lshrrev_b64 v[161:162], 24, v[6:7]
	v_or_b32_e32 v160, v151, v148
	v_or_b32_e32 v150, v150, v149
	v_or_b32_e32 v149, v9, v165
.LBB56_110:
	s_or_b32 exec_lo, exec_lo, s20
	v_lshlrev_b32_e32 v9, 8, v147
	v_lshlrev_b32_e32 v147, 16, v163
	;; [unrolled: 1-line block ×4, first 2 shown]
	v_and_b32_e32 v7, 0xff, v7
	v_perm_b32 v6, v9, v6, 0xc0c0500
	v_and_b32_e32 v9, 0xff0000, v147
	v_lshlrev_b32_e32 v147, 16, v150
	v_and_b32_e32 v150, 0xff00, v151
	s_mov_b32 s24, 0
	s_mov_b32 s21, exec_lo
	v_or3_b32 v6, v6, v9, v148
	v_lshlrev_b32_e32 v9, 24, v149
	v_and_b32_e32 v147, 0xff0000, v147
	v_or3_b32 v7, 0, v7, v150
	v_and_b32_e32 v149, 0xff, v8
	v_or3_b32 v6, v6, 0, 0
	s_delay_alu instid0(VALU_DEP_3) | instskip(NEXT) | instid1(VALU_DEP_2)
	v_or3_b32 v148, v7, v147, v9
	v_or3_b32 v147, v6, 0, 0
	s_delay_alu instid0(VALU_DEP_4)
	v_cmpx_eq_u16_e64 0, v149
	s_cbranch_execz .LBB56_140
; %bb.111:
	v_cmp_ne_u64_e64 s20, 0, v[145:146]
	s_mov_b64 s[26:27], src_private_base
	s_mov_b32 s25, 1
	v_cmp_ne_u32_e64 s19, s27, v146
	s_delay_alu instid0(VALU_DEP_2)
	v_cndmask_b32_e64 v165, -1, v145, s20
	s_branch .LBB56_113
.LBB56_112:                             ;   in Loop: Header=BB56_113 Depth=1
	s_or_b32 exec_lo, exec_lo, s20
	v_and_b32_e32 v9, 0xff, v8
	s_cmp_lt_u32 s25, 32
	s_cselect_b32 s26, -1, 0
	s_delay_alu instid0(SALU_CYCLE_1) | instskip(NEXT) | instid1(VALU_DEP_1)
	s_cmp_lg_u32 s26, 0
	v_cmp_ne_u16_e64 s20, 0, v9
	s_addc_u32 s25, s25, 0
	s_delay_alu instid0(VALU_DEP_1) | instskip(NEXT) | instid1(SALU_CYCLE_1)
	s_or_b32 s24, s20, s24
	s_and_not1_b32 exec_lo, exec_lo, s24
	s_cbranch_execz .LBB56_139
.LBB56_113:                             ; =>This Loop Header: Depth=1
                                        ;     Child Loop BB56_114 Depth 2
	s_max_u32 s20, s25, 1
.LBB56_114:                             ;   Parent Loop BB56_113 Depth=1
                                        ; =>  This Inner Loop Header: Depth=2
	s_delay_alu instid0(SALU_CYCLE_1)
	s_add_i32 s20, s20, -1
	s_sleep 1
	s_cmp_eq_u32 s20, 0
	s_cbranch_scc0 .LBB56_114
; %bb.115:                              ;   in Loop: Header=BB56_113 Depth=1
                                        ; implicit-def: $vgpr149_vgpr150
                                        ; implicit-def: $vgpr162_vgpr163
                                        ; implicit-def: $vgpr8
                                        ; implicit-def: $vgpr160_vgpr161
                                        ; implicit-def: $vgpr147_vgpr148
                                        ; implicit-def: $vgpr150_vgpr151
                                        ; implicit-def: $vgpr163_vgpr164
	s_and_saveexec_b32 s20, vcc_lo
	s_delay_alu instid0(SALU_CYCLE_1)
	s_xor_b32 s20, exec_lo, s20
	s_cbranch_execz .LBB56_121
; %bb.116:                              ;   in Loop: Header=BB56_113 Depth=1
                                        ; implicit-def: $vgpr149_vgpr150
                                        ; implicit-def: $vgpr162_vgpr163
                                        ; implicit-def: $vgpr8
                                        ; implicit-def: $vgpr160_vgpr161
                                        ; implicit-def: $vgpr147_vgpr148
                                        ; implicit-def: $vgpr150_vgpr151
                                        ; implicit-def: $vgpr163_vgpr164
	s_and_saveexec_b32 s26, s19
	s_delay_alu instid0(SALU_CYCLE_1)
	s_xor_b32 s26, exec_lo, s26
	s_cbranch_execz .LBB56_118
; %bb.117:                              ;   in Loop: Header=BB56_113 Depth=1
	;;#ASMSTART
	global_load_dwordx4 v[6:9], v[145:146] off glc	
s_waitcnt vmcnt(0)
	;;#ASMEND
	v_lshrrev_b64 v[147:148], 8, v[6:7]
	v_lshlrev_b64 v[148:149], 24, v[8:9]
	v_lshlrev_b64 v[149:150], 16, v[8:9]
	v_lshlrev_b64 v[212:213], 8, v[8:9]
	v_lshrrev_b32_e32 v151, 8, v7
	v_lshrrev_b32_e32 v150, 16, v7
	;; [unrolled: 1-line block ×3, first 2 shown]
	v_lshrrev_b64 v[163:164], 16, v[6:7]
	v_lshrrev_b64 v[160:161], 24, v[6:7]
	v_or_b32_e32 v162, v151, v148
	v_or_b32_e32 v150, v150, v149
	;; [unrolled: 1-line block ×3, first 2 shown]
.LBB56_118:                             ;   in Loop: Header=BB56_113 Depth=1
	s_and_not1_saveexec_b32 s26, s26
	s_cbranch_execz .LBB56_120
; %bb.119:                              ;   in Loop: Header=BB56_113 Depth=1
	;;#ASMSTART
	flat_load_dwordx4 v[6:9], v[145:146] glc	
s_waitcnt vmcnt(0)
	;;#ASMEND
	v_lshrrev_b64 v[147:148], 8, v[6:7]
	v_lshlrev_b64 v[148:149], 24, v[8:9]
	v_lshlrev_b64 v[149:150], 16, v[8:9]
	;; [unrolled: 1-line block ×3, first 2 shown]
	v_lshrrev_b32_e32 v151, 8, v7
	v_lshrrev_b32_e32 v150, 16, v7
	;; [unrolled: 1-line block ×3, first 2 shown]
	v_lshrrev_b64 v[163:164], 16, v[6:7]
	v_lshrrev_b64 v[160:161], 24, v[6:7]
	v_or_b32_e32 v162, v151, v148
	v_or_b32_e32 v150, v150, v149
	;; [unrolled: 1-line block ×3, first 2 shown]
.LBB56_120:                             ;   in Loop: Header=BB56_113 Depth=1
	s_or_b32 exec_lo, exec_lo, s26
.LBB56_121:                             ;   in Loop: Header=BB56_113 Depth=1
	s_and_not1_saveexec_b32 s20, s20
	s_cbranch_execz .LBB56_112
; %bb.122:                              ;   in Loop: Header=BB56_113 Depth=1
	;;#ASMSTART
	ds_read_b128 v[6:9], v165 	
s_waitcnt lgkmcnt(0)
	;;#ASMEND
	v_lshrrev_b64 v[147:148], 8, v[6:7]
	v_lshlrev_b64 v[148:149], 24, v[8:9]
	v_lshlrev_b64 v[149:150], 16, v[8:9]
	;; [unrolled: 1-line block ×3, first 2 shown]
	v_lshrrev_b32_e32 v151, 8, v7
	v_lshrrev_b32_e32 v150, 16, v7
	;; [unrolled: 1-line block ×3, first 2 shown]
	v_lshrrev_b64 v[163:164], 16, v[6:7]
	v_lshrrev_b64 v[160:161], 24, v[6:7]
	v_or_b32_e32 v162, v151, v148
	v_or_b32_e32 v150, v150, v149
	;; [unrolled: 1-line block ×3, first 2 shown]
	s_branch .LBB56_112
.LBB56_123:
                                        ; implicit-def: $vgpr4_vgpr5_vgpr6_vgpr7_vgpr8_vgpr9_vgpr10_vgpr11_vgpr12_vgpr13_vgpr14_vgpr15_vgpr16_vgpr17_vgpr18_vgpr19_vgpr20_vgpr21_vgpr22_vgpr23_vgpr24_vgpr25_vgpr26_vgpr27_vgpr28_vgpr29_vgpr30_vgpr31_vgpr32_vgpr33_vgpr34_vgpr35
	s_cbranch_execnz .LBB56_258
; %bb.473:
	s_getpc_b64 s[74:75]
.Lpost_getpc2:
	s_add_u32 s74, s74, (.LBB56_377-.Lpost_getpc2)&4294967295
	s_addc_u32 s75, s75, (.LBB56_377-.Lpost_getpc2)>>32
	s_setpc_b64 s[74:75]
.LBB56_124:
	v_add_co_u32 v32, vcc_lo, v30, v195
	v_add_co_ci_u32_e32 v33, vcc_lo, 0, v31, vcc_lo
	flat_load_b64 v[32:33], v[32:33]
	s_or_b32 exec_lo, exec_lo, s2
	s_delay_alu instid0(SALU_CYCLE_1)
	s_mov_b32 s2, exec_lo
	v_cmpx_lt_u32_e64 v199, v181
	s_cbranch_execz .LBB56_5
.LBB56_125:
	v_add_co_u32 v16, vcc_lo, v30, v195
	v_add_co_ci_u32_e32 v17, vcc_lo, 0, v31, vcc_lo
	flat_load_b64 v[16:17], v[16:17] offset:2048
	s_or_b32 exec_lo, exec_lo, s2
	s_delay_alu instid0(SALU_CYCLE_1)
	s_mov_b32 s2, exec_lo
	v_cmpx_lt_u32_e64 v198, v181
	s_cbranch_execz .LBB56_6
.LBB56_126:
	v_lshlrev_b32_e32 v26, 3, v198
	s_delay_alu instid0(VALU_DEP_1) | instskip(SKIP_3) | instid1(SALU_CYCLE_1)
	v_add_co_u32 v26, vcc_lo, v30, v26
	v_add_co_ci_u32_e32 v27, vcc_lo, 0, v31, vcc_lo
	flat_load_b64 v[26:27], v[26:27]
	s_or_b32 exec_lo, exec_lo, s2
	s_mov_b32 s2, exec_lo
	v_cmpx_lt_u32_e64 v197, v181
	s_cbranch_execz .LBB56_7
.LBB56_127:
	v_lshlrev_b32_e32 v28, 3, v197
	s_delay_alu instid0(VALU_DEP_1) | instskip(SKIP_3) | instid1(SALU_CYCLE_1)
	v_add_co_u32 v28, vcc_lo, v30, v28
	v_add_co_ci_u32_e32 v29, vcc_lo, 0, v31, vcc_lo
	flat_load_b64 v[28:29], v[28:29]
	s_or_b32 exec_lo, exec_lo, s2
	s_mov_b32 s2, exec_lo
	v_cmpx_lt_u32_e64 v196, v181
	s_cbranch_execz .LBB56_8
.LBB56_128:
	v_lshlrev_b32_e32 v18, 3, v196
	s_delay_alu instid0(VALU_DEP_1) | instskip(SKIP_3) | instid1(SALU_CYCLE_1)
	v_add_co_u32 v18, vcc_lo, v30, v18
	v_add_co_ci_u32_e32 v19, vcc_lo, 0, v31, vcc_lo
	flat_load_b64 v[18:19], v[18:19]
	s_or_b32 exec_lo, exec_lo, s2
	s_mov_b32 s2, exec_lo
	v_cmpx_lt_u32_e64 v194, v181
	s_cbranch_execz .LBB56_9
.LBB56_129:
	v_lshlrev_b32_e32 v20, 3, v194
	s_delay_alu instid0(VALU_DEP_1) | instskip(SKIP_3) | instid1(SALU_CYCLE_1)
	v_add_co_u32 v20, vcc_lo, v30, v20
	v_add_co_ci_u32_e32 v21, vcc_lo, 0, v31, vcc_lo
	flat_load_b64 v[20:21], v[20:21]
	s_or_b32 exec_lo, exec_lo, s2
	s_mov_b32 s2, exec_lo
	v_cmpx_lt_u32_e64 v193, v181
	s_cbranch_execz .LBB56_10
.LBB56_130:
	v_lshlrev_b32_e32 v22, 3, v193
	s_delay_alu instid0(VALU_DEP_1) | instskip(SKIP_3) | instid1(SALU_CYCLE_1)
	v_add_co_u32 v22, vcc_lo, v30, v22
	v_add_co_ci_u32_e32 v23, vcc_lo, 0, v31, vcc_lo
	flat_load_b64 v[22:23], v[22:23]
	s_or_b32 exec_lo, exec_lo, s2
	s_mov_b32 s2, exec_lo
	v_cmpx_lt_u32_e64 v192, v181
	s_cbranch_execz .LBB56_11
.LBB56_131:
	v_lshlrev_b32_e32 v24, 3, v192
	s_delay_alu instid0(VALU_DEP_1) | instskip(SKIP_3) | instid1(SALU_CYCLE_1)
	v_add_co_u32 v24, vcc_lo, v30, v24
	v_add_co_ci_u32_e32 v25, vcc_lo, 0, v31, vcc_lo
	flat_load_b64 v[24:25], v[24:25]
	s_or_b32 exec_lo, exec_lo, s2
	s_mov_b32 s2, exec_lo
	v_cmpx_lt_u32_e64 v183, v181
	s_cbranch_execz .LBB56_12
.LBB56_132:
	v_lshlrev_b32_e32 v0, 3, v183
	s_delay_alu instid0(VALU_DEP_1) | instskip(SKIP_3) | instid1(SALU_CYCLE_1)
	v_add_co_u32 v0, vcc_lo, v30, v0
	v_add_co_ci_u32_e32 v1, vcc_lo, 0, v31, vcc_lo
	flat_load_b64 v[0:1], v[0:1]
	s_or_b32 exec_lo, exec_lo, s2
	s_mov_b32 s2, exec_lo
	v_cmpx_lt_u32_e64 v180, v181
	s_cbranch_execz .LBB56_13
.LBB56_133:
	v_lshlrev_b32_e32 v2, 3, v180
	s_delay_alu instid0(VALU_DEP_1) | instskip(SKIP_3) | instid1(SALU_CYCLE_1)
	v_add_co_u32 v2, vcc_lo, v30, v2
	v_add_co_ci_u32_e32 v3, vcc_lo, 0, v31, vcc_lo
	flat_load_b64 v[2:3], v[2:3]
	s_or_b32 exec_lo, exec_lo, s2
	s_mov_b32 s2, exec_lo
	v_cmpx_lt_u32_e64 v179, v181
	s_cbranch_execz .LBB56_14
.LBB56_134:
	v_lshlrev_b32_e32 v4, 3, v179
	s_delay_alu instid0(VALU_DEP_1) | instskip(SKIP_3) | instid1(SALU_CYCLE_1)
	v_add_co_u32 v4, vcc_lo, v30, v4
	v_add_co_ci_u32_e32 v5, vcc_lo, 0, v31, vcc_lo
	flat_load_b64 v[4:5], v[4:5]
	s_or_b32 exec_lo, exec_lo, s2
	s_mov_b32 s2, exec_lo
	v_cmpx_lt_u32_e64 v178, v181
	s_cbranch_execz .LBB56_15
.LBB56_135:
	v_lshlrev_b32_e32 v6, 3, v178
	s_delay_alu instid0(VALU_DEP_1) | instskip(SKIP_3) | instid1(SALU_CYCLE_1)
	v_add_co_u32 v6, vcc_lo, v30, v6
	v_add_co_ci_u32_e32 v7, vcc_lo, 0, v31, vcc_lo
	flat_load_b64 v[6:7], v[6:7]
	s_or_b32 exec_lo, exec_lo, s2
	s_mov_b32 s2, exec_lo
	v_cmpx_lt_u32_e64 v177, v181
	s_cbranch_execz .LBB56_16
.LBB56_136:
	v_lshlrev_b32_e32 v8, 3, v177
	s_delay_alu instid0(VALU_DEP_1) | instskip(SKIP_3) | instid1(SALU_CYCLE_1)
	v_add_co_u32 v8, vcc_lo, v30, v8
	v_add_co_ci_u32_e32 v9, vcc_lo, 0, v31, vcc_lo
	flat_load_b64 v[8:9], v[8:9]
	s_or_b32 exec_lo, exec_lo, s2
	s_mov_b32 s2, exec_lo
	v_cmpx_lt_u32_e64 v176, v181
	s_cbranch_execz .LBB56_17
.LBB56_137:
	v_lshlrev_b32_e32 v10, 3, v176
	s_delay_alu instid0(VALU_DEP_1) | instskip(SKIP_3) | instid1(SALU_CYCLE_1)
	v_add_co_u32 v10, vcc_lo, v30, v10
	v_add_co_ci_u32_e32 v11, vcc_lo, 0, v31, vcc_lo
	flat_load_b64 v[10:11], v[10:11]
	s_or_b32 exec_lo, exec_lo, s2
	s_mov_b32 s2, exec_lo
	v_cmpx_lt_u32_e64 v167, v181
	s_cbranch_execz .LBB56_18
.LBB56_138:
	v_lshlrev_b32_e32 v12, 3, v167
	s_delay_alu instid0(VALU_DEP_1) | instskip(SKIP_3) | instid1(SALU_CYCLE_1)
	v_add_co_u32 v12, vcc_lo, v30, v12
	v_add_co_ci_u32_e32 v13, vcc_lo, 0, v31, vcc_lo
	flat_load_b64 v[12:13], v[12:13]
	s_or_b32 exec_lo, exec_lo, s2
	s_mov_b32 s2, exec_lo
	v_cmpx_lt_u32_e64 v135, v181
	s_cbranch_execnz .LBB56_19
	s_branch .LBB56_20
.LBB56_139:
	s_or_b32 exec_lo, exec_lo, s24
	v_lshlrev_b32_e32 v9, 8, v147
	v_lshlrev_b32_e32 v145, 16, v163
	v_lshlrev_b32_e32 v146, 8, v162
	v_and_b32_e32 v7, 0xff, v7
	v_lshlrev_b32_e32 v147, 16, v150
	v_perm_b32 v6, v9, v6, 0xc0c0500
	v_and_b32_e32 v9, 0xff0000, v145
	v_lshlrev_b32_e32 v145, 24, v160
	v_and_b32_e32 v146, 0xff00, v146
	s_delay_alu instid0(VALU_DEP_2) | instskip(NEXT) | instid1(VALU_DEP_2)
	v_or3_b32 v6, v6, v9, v145
	v_or3_b32 v7, 0, v7, v146
	v_and_b32_e32 v9, 0xff0000, v147
	v_lshlrev_b32_e32 v145, 24, v149
	s_delay_alu instid0(VALU_DEP_4) | instskip(NEXT) | instid1(VALU_DEP_2)
	v_or3_b32 v6, v6, 0, 0
	v_or3_b32 v148, v7, v9, v145
	s_delay_alu instid0(VALU_DEP_2)
	v_or3_b32 v147, v6, 0, 0
.LBB56_140:
	s_or_b32 exec_lo, exec_lo, s21
	v_cmp_ne_u32_e32 vcc_lo, 31, v209
	v_and_b32_e32 v7, 0xff, v8
	v_lshlrev_b32_e64 v213, v209, -1
	s_mov_b32 s28, exec_lo
	v_add_co_ci_u32_e32 v6, vcc_lo, 0, v209, vcc_lo
	s_delay_alu instid0(VALU_DEP_3) | instskip(NEXT) | instid1(VALU_DEP_2)
	v_cmp_eq_u16_e32 vcc_lo, 2, v7
	v_lshlrev_b32_e32 v212, 2, v6
	v_and_or_b32 v6, vcc_lo, v213, 0x80000000
	s_delay_alu instid0(VALU_DEP_1)
	v_ctz_i32_b32_e32 v9, v6
	v_dual_mov_b32 v6, v147 :: v_dual_mov_b32 v7, v148
	ds_bpermute_b32 v145, v212, v147
	ds_bpermute_b32 v146, v212, v148
	v_cmpx_lt_u32_e64 v209, v9
	s_cbranch_execz .LBB56_144
; %bb.141:
	s_waitcnt lgkmcnt(0)
	v_max_f64 v[6:7], v[145:146], v[145:146]
	v_max_f64 v[149:150], v[147:148], v[147:148]
	v_cmp_u_f64_e32 vcc_lo, v[145:146], v[145:146]
	v_cmp_u_f64_e64 s19, v[147:148], v[147:148]
	s_delay_alu instid0(VALU_DEP_3) | instskip(SKIP_1) | instid1(VALU_DEP_2)
	v_min_f64 v[160:161], v[6:7], v[149:150]
	v_max_f64 v[6:7], v[6:7], v[149:150]
	v_dual_cndmask_b32 v149, v160, v145 :: v_dual_cndmask_b32 v150, v161, v146
	s_delay_alu instid0(VALU_DEP_2) | instskip(NEXT) | instid1(VALU_DEP_2)
	v_dual_cndmask_b32 v7, v7, v146 :: v_dual_cndmask_b32 v6, v6, v145
	v_cndmask_b32_e64 v149, v149, v147, s19
	s_delay_alu instid0(VALU_DEP_3) | instskip(NEXT) | instid1(VALU_DEP_3)
	v_cndmask_b32_e64 v150, v150, v148, s19
	v_cndmask_b32_e64 v7, v7, v148, s19
	s_delay_alu instid0(VALU_DEP_4) | instskip(NEXT) | instid1(VALU_DEP_3)
	v_cndmask_b32_e64 v6, v6, v147, s19
	v_cmp_class_f64_e64 s19, v[149:150], 0x1f8
	s_delay_alu instid0(VALU_DEP_2) | instskip(NEXT) | instid1(VALU_DEP_2)
	v_cmp_neq_f64_e32 vcc_lo, v[149:150], v[6:7]
	s_or_b32 s19, vcc_lo, s19
	s_delay_alu instid0(SALU_CYCLE_1)
	s_and_saveexec_b32 s29, s19
	s_cbranch_execz .LBB56_143
; %bb.142:
	v_add_f64 v[145:146], v[149:150], -v[6:7]
	s_mov_b32 s20, 0x652b82fe
	s_mov_b32 s21, 0x3ff71547
	s_mov_b32 s25, 0xbc7abc9e
	s_mov_b32 s24, 0x3b39803f
	s_mov_b32 s26, 0xfca7ab0c
	s_mov_b32 vcc_lo, 0x6a5dcb37
	s_mov_b32 s27, 0x3e928af3
	s_mov_b32 vcc_hi, 0x3e5ade15
	s_mov_b32 s30, 0xbf559e2b
	s_mov_b32 s31, 0x3fc3ab76
	s_delay_alu instid0(VALU_DEP_1) | instskip(SKIP_3) | instid1(VALU_DEP_2)
	v_mul_f64 v[147:148], v[145:146], s[20:21]
	s_mov_b32 s21, 0xbfe62e42
	s_mov_b32 s20, 0xfefa39ef
	v_cmp_ngt_f64_e64 s19, 0xc090cc00, v[145:146]
	v_rndne_f64_e32 v[147:148], v[147:148]
	s_delay_alu instid0(VALU_DEP_1) | instskip(SKIP_2) | instid1(VALU_DEP_2)
	v_fma_f64 v[149:150], v[147:148], s[20:21], v[145:146]
	v_cvt_i32_f64_e32 v151, v[147:148]
	s_mov_b32 s21, 0x3fe62e42
	v_fma_f64 v[149:150], v[147:148], s[24:25], v[149:150]
	s_mov_b32 s25, 0x3c7abc9e
	s_delay_alu instid0(VALU_DEP_1) | instskip(SKIP_3) | instid1(VALU_DEP_2)
	v_fma_f64 v[160:161], v[149:150], vcc, s[26:27]
	s_mov_b32 s26, 0x623fde64
	s_mov_b32 s27, 0x3ec71dee
	v_cmp_nlt_f64_e32 vcc_lo, 0x40900000, v[145:146]
	v_fma_f64 v[160:161], v[149:150], v[160:161], s[26:27]
	s_mov_b32 s26, 0x7c89e6b0
	s_mov_b32 s27, 0x3efa0199
	s_delay_alu instid0(VALU_DEP_1) | instid1(SALU_CYCLE_1)
	v_fma_f64 v[160:161], v[149:150], v[160:161], s[26:27]
	s_mov_b32 s26, 0x14761f6e
	s_mov_b32 s27, 0x3f2a01a0
	s_delay_alu instid0(VALU_DEP_1) | instid1(SALU_CYCLE_1)
	v_fma_f64 v[160:161], v[149:150], v[160:161], s[26:27]
	s_mov_b32 s26, 0x1852b7b0
	s_mov_b32 s27, 0x3f56c16c
	s_delay_alu instid0(VALU_DEP_1) | instid1(SALU_CYCLE_1)
	v_fma_f64 v[160:161], v[149:150], v[160:161], s[26:27]
	s_mov_b32 s26, 0x11122322
	s_mov_b32 s27, 0x3f811111
	s_delay_alu instid0(VALU_DEP_1) | instid1(SALU_CYCLE_1)
	v_fma_f64 v[160:161], v[149:150], v[160:161], s[26:27]
	s_mov_b32 s26, 0x555502a1
	s_mov_b32 s27, 0x3fa55555
	s_delay_alu instid0(VALU_DEP_1) | instid1(SALU_CYCLE_1)
	v_fma_f64 v[160:161], v[149:150], v[160:161], s[26:27]
	s_mov_b32 s26, 0x55555511
	s_mov_b32 s27, 0x3fc55555
	s_delay_alu instid0(VALU_DEP_1) | instid1(SALU_CYCLE_1)
	v_fma_f64 v[160:161], v[149:150], v[160:161], s[26:27]
	s_mov_b32 s26, 11
	s_mov_b32 s27, 0x3fe00000
	s_delay_alu instid0(VALU_DEP_1) | instid1(SALU_CYCLE_1)
	v_fma_f64 v[160:161], v[149:150], v[160:161], s[26:27]
	s_mov_b32 s27, 0x3fe55555
	s_mov_b32 s26, 0x55555555
	s_delay_alu instid0(VALU_DEP_1) | instskip(NEXT) | instid1(VALU_DEP_1)
	v_fma_f64 v[160:161], v[149:150], v[160:161], 1.0
	v_fma_f64 v[147:148], v[149:150], v[160:161], 1.0
	s_delay_alu instid0(VALU_DEP_1) | instskip(NEXT) | instid1(VALU_DEP_1)
	v_ldexp_f64 v[147:148], v[147:148], v151
	v_cndmask_b32_e32 v148, 0x7ff00000, v148, vcc_lo
	s_and_b32 vcc_lo, s19, vcc_lo
	s_delay_alu instid0(VALU_DEP_1) | instskip(NEXT) | instid1(VALU_DEP_3)
	v_cndmask_b32_e64 v146, 0, v148, s19
	v_cndmask_b32_e32 v145, 0, v147, vcc_lo
	s_delay_alu instid0(VALU_DEP_1) | instskip(NEXT) | instid1(VALU_DEP_1)
	v_add_f64 v[147:148], v[145:146], 1.0
	v_frexp_mant_f64_e32 v[149:150], v[147:148]
	v_frexp_exp_i32_f64_e32 v151, v[147:148]
	v_add_f64 v[160:161], v[147:148], -1.0
	s_delay_alu instid0(VALU_DEP_3) | instskip(SKIP_1) | instid1(VALU_DEP_2)
	v_cmp_gt_f64_e32 vcc_lo, s[26:27], v[149:150]
	s_mov_b32 s26, 0x55555780
	v_add_f64 v[149:150], v[160:161], -v[147:148]
	v_add_f64 v[160:161], v[145:146], -v[160:161]
	v_subrev_co_ci_u32_e32 v151, vcc_lo, 0, v151, vcc_lo
	s_delay_alu instid0(VALU_DEP_3) | instskip(SKIP_2) | instid1(VALU_DEP_2)
	v_add_f64 v[149:150], v[149:150], 1.0
	s_mov_b32 vcc_lo, 0x6b47b09a
	s_mov_b32 vcc_hi, 0x3fc38538
	v_sub_nc_u32_e32 v164, 0, v151
	s_delay_alu instid0(VALU_DEP_1) | instskip(NEXT) | instid1(VALU_DEP_3)
	v_ldexp_f64 v[147:148], v[147:148], v164
	v_add_f64 v[149:150], v[160:161], v[149:150]
	s_delay_alu instid0(VALU_DEP_2) | instskip(SKIP_1) | instid1(VALU_DEP_3)
	v_add_f64 v[162:163], v[147:148], 1.0
	v_add_f64 v[224:225], v[147:148], -1.0
	v_ldexp_f64 v[149:150], v[149:150], v164
	s_delay_alu instid0(VALU_DEP_3) | instskip(NEXT) | instid1(VALU_DEP_3)
	v_add_f64 v[160:161], v[162:163], -1.0
	v_add_f64 v[226:227], v[224:225], 1.0
	s_delay_alu instid0(VALU_DEP_2) | instskip(NEXT) | instid1(VALU_DEP_2)
	v_add_f64 v[160:161], v[147:148], -v[160:161]
	v_add_f64 v[147:148], v[147:148], -v[226:227]
	s_delay_alu instid0(VALU_DEP_2) | instskip(NEXT) | instid1(VALU_DEP_2)
	v_add_f64 v[160:161], v[149:150], v[160:161]
	v_add_f64 v[147:148], v[149:150], v[147:148]
	s_delay_alu instid0(VALU_DEP_2) | instskip(NEXT) | instid1(VALU_DEP_2)
	v_add_f64 v[164:165], v[162:163], v[160:161]
	v_add_f64 v[226:227], v[224:225], v[147:148]
	s_delay_alu instid0(VALU_DEP_2) | instskip(SKIP_1) | instid1(VALU_DEP_2)
	v_rcp_f64_e32 v[214:215], v[164:165]
	v_add_f64 v[162:163], v[164:165], -v[162:163]
	v_add_f64 v[224:225], v[226:227], -v[224:225]
	s_delay_alu instid0(VALU_DEP_2) | instskip(SKIP_3) | instid1(VALU_DEP_2)
	v_add_f64 v[160:161], v[160:161], -v[162:163]
	s_waitcnt_depctr 0xfff
	v_fma_f64 v[228:229], -v[164:165], v[214:215], 1.0
	v_add_f64 v[147:148], v[147:148], -v[224:225]
	v_fma_f64 v[214:215], v[228:229], v[214:215], v[214:215]
	s_delay_alu instid0(VALU_DEP_1) | instskip(NEXT) | instid1(VALU_DEP_1)
	v_fma_f64 v[149:150], -v[164:165], v[214:215], 1.0
	v_fma_f64 v[149:150], v[149:150], v[214:215], v[214:215]
	s_delay_alu instid0(VALU_DEP_1) | instskip(NEXT) | instid1(VALU_DEP_1)
	v_mul_f64 v[214:215], v[226:227], v[149:150]
	v_mul_f64 v[228:229], v[164:165], v[214:215]
	s_delay_alu instid0(VALU_DEP_1) | instskip(NEXT) | instid1(VALU_DEP_1)
	v_fma_f64 v[162:163], v[214:215], v[164:165], -v[228:229]
	v_fma_f64 v[162:163], v[214:215], v[160:161], v[162:163]
	s_delay_alu instid0(VALU_DEP_1) | instskip(NEXT) | instid1(VALU_DEP_1)
	v_add_f64 v[230:231], v[228:229], v[162:163]
	v_add_f64 v[240:241], v[226:227], -v[230:231]
	v_add_f64 v[224:225], v[230:231], -v[228:229]
	s_delay_alu instid0(VALU_DEP_2) | instskip(NEXT) | instid1(VALU_DEP_2)
	v_add_f64 v[226:227], v[226:227], -v[240:241]
	v_add_f64 v[162:163], v[224:225], -v[162:163]
	s_delay_alu instid0(VALU_DEP_2) | instskip(NEXT) | instid1(VALU_DEP_1)
	v_add_f64 v[226:227], v[226:227], -v[230:231]
	v_add_f64 v[147:148], v[147:148], v[226:227]
	s_delay_alu instid0(VALU_DEP_1) | instskip(NEXT) | instid1(VALU_DEP_1)
	v_add_f64 v[147:148], v[162:163], v[147:148]
	v_add_f64 v[162:163], v[240:241], v[147:148]
	s_delay_alu instid0(VALU_DEP_1) | instskip(SKIP_1) | instid1(VALU_DEP_2)
	v_mul_f64 v[224:225], v[149:150], v[162:163]
	v_add_f64 v[230:231], v[240:241], -v[162:163]
	v_mul_f64 v[226:227], v[164:165], v[224:225]
	s_delay_alu instid0(VALU_DEP_2) | instskip(NEXT) | instid1(VALU_DEP_2)
	v_add_f64 v[147:148], v[147:148], v[230:231]
	v_fma_f64 v[164:165], v[224:225], v[164:165], -v[226:227]
	s_delay_alu instid0(VALU_DEP_1) | instskip(NEXT) | instid1(VALU_DEP_1)
	v_fma_f64 v[160:161], v[224:225], v[160:161], v[164:165]
	v_add_f64 v[164:165], v[226:227], v[160:161]
	s_delay_alu instid0(VALU_DEP_1) | instskip(SKIP_1) | instid1(VALU_DEP_2)
	v_add_f64 v[228:229], v[162:163], -v[164:165]
	v_add_f64 v[226:227], v[164:165], -v[226:227]
	;; [unrolled: 1-line block ×3, first 2 shown]
	s_delay_alu instid0(VALU_DEP_2) | instskip(NEXT) | instid1(VALU_DEP_2)
	v_add_f64 v[160:161], v[226:227], -v[160:161]
	v_add_f64 v[162:163], v[162:163], -v[164:165]
	s_delay_alu instid0(VALU_DEP_1) | instskip(SKIP_1) | instid1(VALU_DEP_2)
	v_add_f64 v[147:148], v[147:148], v[162:163]
	v_add_f64 v[162:163], v[214:215], v[224:225]
	;; [unrolled: 1-line block ×3, first 2 shown]
	s_delay_alu instid0(VALU_DEP_2) | instskip(NEXT) | instid1(VALU_DEP_2)
	v_add_f64 v[160:161], v[162:163], -v[214:215]
	v_add_f64 v[147:148], v[228:229], v[147:148]
	s_delay_alu instid0(VALU_DEP_2) | instskip(NEXT) | instid1(VALU_DEP_2)
	v_add_f64 v[160:161], v[224:225], -v[160:161]
	v_mul_f64 v[147:148], v[149:150], v[147:148]
	s_delay_alu instid0(VALU_DEP_1) | instskip(NEXT) | instid1(VALU_DEP_1)
	v_add_f64 v[147:148], v[160:161], v[147:148]
	v_add_f64 v[149:150], v[162:163], v[147:148]
	s_delay_alu instid0(VALU_DEP_1) | instskip(NEXT) | instid1(VALU_DEP_1)
	v_mul_f64 v[160:161], v[149:150], v[149:150]
	v_fma_f64 v[164:165], v[160:161], s[30:31], vcc
	s_mov_b32 vcc_lo, 0xd7f4df2e
	s_mov_b32 vcc_hi, 0x3fc7474d
	v_mul_f64 v[214:215], v[149:150], v[160:161]
	s_delay_alu instid0(VALU_DEP_2)
	v_fma_f64 v[164:165], v[160:161], v[164:165], vcc
	s_mov_b32 vcc_lo, 0x16291751
	s_mov_b32 vcc_hi, 0x3fcc71c0
	s_delay_alu instid0(VALU_DEP_1) | instid1(SALU_CYCLE_1)
	v_fma_f64 v[164:165], v[160:161], v[164:165], vcc
	s_mov_b32 vcc_lo, 0x9b27acf1
	s_mov_b32 vcc_hi, 0x3fd24924
	s_delay_alu instid0(VALU_DEP_1) | instid1(SALU_CYCLE_1)
	;; [unrolled: 4-line block ×3, first 2 shown]
	v_fma_f64 v[164:165], v[160:161], v[164:165], vcc
	v_cmp_eq_f64_e32 vcc_lo, 0x7ff00000, v[145:146]
	s_delay_alu instid0(VALU_DEP_2) | instskip(SKIP_2) | instid1(VALU_DEP_3)
	v_fma_f64 v[160:161], v[160:161], v[164:165], s[26:27]
	v_ldexp_f64 v[164:165], v[149:150], 1
	v_add_f64 v[149:150], v[149:150], -v[162:163]
	v_mul_f64 v[160:161], v[214:215], v[160:161]
	v_cvt_f64_i32_e32 v[214:215], v151
	s_delay_alu instid0(VALU_DEP_3) | instskip(NEXT) | instid1(VALU_DEP_3)
	v_add_f64 v[147:148], v[147:148], -v[149:150]
	v_add_f64 v[162:163], v[164:165], v[160:161]
	s_delay_alu instid0(VALU_DEP_3) | instskip(NEXT) | instid1(VALU_DEP_3)
	v_mul_f64 v[224:225], v[214:215], s[20:21]
	v_ldexp_f64 v[147:148], v[147:148], 1
	s_delay_alu instid0(VALU_DEP_3) | instskip(NEXT) | instid1(VALU_DEP_3)
	v_add_f64 v[149:150], v[162:163], -v[164:165]
	v_fma_f64 v[164:165], v[214:215], s[20:21], -v[224:225]
	s_delay_alu instid0(VALU_DEP_2) | instskip(NEXT) | instid1(VALU_DEP_2)
	v_add_f64 v[149:150], v[160:161], -v[149:150]
	v_fma_f64 v[160:161], v[214:215], s[24:25], v[164:165]
	s_delay_alu instid0(VALU_DEP_2) | instskip(NEXT) | instid1(VALU_DEP_2)
	v_add_f64 v[147:148], v[147:148], v[149:150]
	v_add_f64 v[149:150], v[224:225], v[160:161]
	s_delay_alu instid0(VALU_DEP_2) | instskip(NEXT) | instid1(VALU_DEP_2)
	v_add_f64 v[164:165], v[162:163], v[147:148]
	v_add_f64 v[224:225], v[149:150], -v[224:225]
	s_delay_alu instid0(VALU_DEP_2) | instskip(SKIP_1) | instid1(VALU_DEP_3)
	v_add_f64 v[214:215], v[149:150], v[164:165]
	v_add_f64 v[162:163], v[164:165], -v[162:163]
	v_add_f64 v[160:161], v[160:161], -v[224:225]
	s_delay_alu instid0(VALU_DEP_3) | instskip(NEXT) | instid1(VALU_DEP_3)
	v_add_f64 v[226:227], v[214:215], -v[149:150]
	v_add_f64 v[147:148], v[147:148], -v[162:163]
	s_delay_alu instid0(VALU_DEP_2) | instskip(SKIP_1) | instid1(VALU_DEP_3)
	v_add_f64 v[228:229], v[214:215], -v[226:227]
	v_add_f64 v[162:163], v[164:165], -v[226:227]
	v_add_f64 v[164:165], v[160:161], v[147:148]
	s_delay_alu instid0(VALU_DEP_3) | instskip(NEXT) | instid1(VALU_DEP_1)
	v_add_f64 v[149:150], v[149:150], -v[228:229]
	v_add_f64 v[149:150], v[162:163], v[149:150]
	s_delay_alu instid0(VALU_DEP_3) | instskip(NEXT) | instid1(VALU_DEP_2)
	v_add_f64 v[162:163], v[164:165], -v[160:161]
	v_add_f64 v[149:150], v[164:165], v[149:150]
	s_delay_alu instid0(VALU_DEP_2) | instskip(SKIP_1) | instid1(VALU_DEP_3)
	v_add_f64 v[164:165], v[164:165], -v[162:163]
	v_add_f64 v[147:148], v[147:148], -v[162:163]
	v_add_f64 v[224:225], v[214:215], v[149:150]
	s_delay_alu instid0(VALU_DEP_3) | instskip(NEXT) | instid1(VALU_DEP_2)
	v_add_f64 v[160:161], v[160:161], -v[164:165]
	v_add_f64 v[162:163], v[224:225], -v[214:215]
	s_delay_alu instid0(VALU_DEP_2) | instskip(NEXT) | instid1(VALU_DEP_2)
	v_add_f64 v[147:148], v[147:148], v[160:161]
	v_add_f64 v[149:150], v[149:150], -v[162:163]
	s_delay_alu instid0(VALU_DEP_1) | instskip(NEXT) | instid1(VALU_DEP_1)
	v_add_f64 v[147:148], v[147:148], v[149:150]
	v_add_f64 v[147:148], v[224:225], v[147:148]
	s_delay_alu instid0(VALU_DEP_1) | instskip(SKIP_1) | instid1(VALU_DEP_2)
	v_dual_cndmask_b32 v148, v148, v146 :: v_dual_cndmask_b32 v147, v147, v145
	v_cmp_ngt_f64_e32 vcc_lo, -1.0, v[145:146]
	v_cndmask_b32_e32 v148, 0x7ff80000, v148, vcc_lo
	v_cmp_nge_f64_e32 vcc_lo, -1.0, v[145:146]
	s_delay_alu instid0(VALU_DEP_4) | instskip(SKIP_1) | instid1(VALU_DEP_4)
	v_cndmask_b32_e32 v147, 0, v147, vcc_lo
	v_cmp_neq_f64_e32 vcc_lo, -1.0, v[145:146]
	v_cndmask_b32_e32 v148, 0xfff00000, v148, vcc_lo
	s_delay_alu instid0(VALU_DEP_1)
	v_add_f64 v[145:146], v[6:7], v[147:148]
.LBB56_143:
	s_or_b32 exec_lo, exec_lo, s29
	s_delay_alu instid0(VALU_DEP_1)
	v_dual_mov_b32 v147, v145 :: v_dual_mov_b32 v148, v146
	v_dual_mov_b32 v6, v145 :: v_dual_mov_b32 v7, v146
.LBB56_144:
	s_or_b32 exec_lo, exec_lo, s28
	v_cmp_gt_u32_e32 vcc_lo, 30, v209
	v_add_nc_u32_e32 v215, 2, v209
	s_mov_b32 s28, exec_lo
	s_waitcnt lgkmcnt(1)
	v_cndmask_b32_e64 v145, 0, 1, vcc_lo
	s_delay_alu instid0(VALU_DEP_1) | instskip(NEXT) | instid1(VALU_DEP_1)
	v_lshlrev_b32_e32 v145, 1, v145
	v_add_lshl_u32 v214, v145, v209, 2
	ds_bpermute_b32 v145, v214, v147
	s_waitcnt lgkmcnt(1)
	ds_bpermute_b32 v146, v214, v148
	v_cmpx_le_u32_e64 v215, v9
	s_cbranch_execz .LBB56_148
; %bb.145:
	s_waitcnt lgkmcnt(0)
	v_max_f64 v[147:148], v[145:146], v[145:146]
	v_max_f64 v[149:150], v[6:7], v[6:7]
	v_cmp_u_f64_e32 vcc_lo, v[145:146], v[145:146]
	v_cmp_u_f64_e64 s19, v[6:7], v[6:7]
	s_delay_alu instid0(VALU_DEP_3) | instskip(SKIP_1) | instid1(VALU_DEP_2)
	v_min_f64 v[160:161], v[147:148], v[149:150]
	v_max_f64 v[147:148], v[147:148], v[149:150]
	v_dual_cndmask_b32 v149, v160, v145 :: v_dual_cndmask_b32 v150, v161, v146
	s_delay_alu instid0(VALU_DEP_2) | instskip(NEXT) | instid1(VALU_DEP_2)
	v_dual_cndmask_b32 v151, v148, v146 :: v_dual_cndmask_b32 v160, v147, v145
	v_cndmask_b32_e64 v147, v149, v6, s19
	s_delay_alu instid0(VALU_DEP_3) | instskip(NEXT) | instid1(VALU_DEP_3)
	v_cndmask_b32_e64 v148, v150, v7, s19
	v_cndmask_b32_e64 v7, v151, v7, s19
	s_delay_alu instid0(VALU_DEP_4) | instskip(NEXT) | instid1(VALU_DEP_3)
	v_cndmask_b32_e64 v6, v160, v6, s19
	v_cmp_class_f64_e64 s19, v[147:148], 0x1f8
	s_delay_alu instid0(VALU_DEP_2) | instskip(NEXT) | instid1(VALU_DEP_2)
	v_cmp_neq_f64_e32 vcc_lo, v[147:148], v[6:7]
	s_or_b32 s19, vcc_lo, s19
	s_delay_alu instid0(SALU_CYCLE_1)
	s_and_saveexec_b32 s29, s19
	s_cbranch_execz .LBB56_147
; %bb.146:
	v_add_f64 v[145:146], v[147:148], -v[6:7]
	s_mov_b32 s20, 0x652b82fe
	s_mov_b32 s21, 0x3ff71547
	;; [unrolled: 1-line block ×5, first 2 shown]
	s_mov_b32 vcc_lo, 0x6a5dcb37
	s_mov_b32 s27, 0x3e928af3
	s_mov_b32 vcc_hi, 0x3e5ade15
	s_mov_b32 s30, 0xbf559e2b
	s_mov_b32 s31, 0x3fc3ab76
	s_delay_alu instid0(VALU_DEP_1) | instskip(SKIP_3) | instid1(VALU_DEP_2)
	v_mul_f64 v[147:148], v[145:146], s[20:21]
	s_mov_b32 s21, 0xbfe62e42
	s_mov_b32 s20, 0xfefa39ef
	v_cmp_ngt_f64_e64 s19, 0xc090cc00, v[145:146]
	v_rndne_f64_e32 v[147:148], v[147:148]
	s_delay_alu instid0(VALU_DEP_1) | instskip(SKIP_2) | instid1(VALU_DEP_2)
	v_fma_f64 v[149:150], v[147:148], s[20:21], v[145:146]
	v_cvt_i32_f64_e32 v151, v[147:148]
	s_mov_b32 s21, 0x3fe62e42
	v_fma_f64 v[149:150], v[147:148], s[24:25], v[149:150]
	s_mov_b32 s25, 0x3c7abc9e
	s_delay_alu instid0(VALU_DEP_1) | instskip(SKIP_3) | instid1(VALU_DEP_2)
	v_fma_f64 v[160:161], v[149:150], vcc, s[26:27]
	s_mov_b32 s26, 0x623fde64
	s_mov_b32 s27, 0x3ec71dee
	v_cmp_nlt_f64_e32 vcc_lo, 0x40900000, v[145:146]
	v_fma_f64 v[160:161], v[149:150], v[160:161], s[26:27]
	s_mov_b32 s26, 0x7c89e6b0
	s_mov_b32 s27, 0x3efa0199
	s_delay_alu instid0(VALU_DEP_1) | instid1(SALU_CYCLE_1)
	v_fma_f64 v[160:161], v[149:150], v[160:161], s[26:27]
	s_mov_b32 s26, 0x14761f6e
	s_mov_b32 s27, 0x3f2a01a0
	s_delay_alu instid0(VALU_DEP_1) | instid1(SALU_CYCLE_1)
	;; [unrolled: 4-line block ×7, first 2 shown]
	v_fma_f64 v[160:161], v[149:150], v[160:161], s[26:27]
	s_mov_b32 s27, 0x3fe55555
	s_mov_b32 s26, 0x55555555
	s_delay_alu instid0(VALU_DEP_1) | instskip(NEXT) | instid1(VALU_DEP_1)
	v_fma_f64 v[160:161], v[149:150], v[160:161], 1.0
	v_fma_f64 v[147:148], v[149:150], v[160:161], 1.0
	s_delay_alu instid0(VALU_DEP_1) | instskip(NEXT) | instid1(VALU_DEP_1)
	v_ldexp_f64 v[147:148], v[147:148], v151
	v_cndmask_b32_e32 v148, 0x7ff00000, v148, vcc_lo
	s_and_b32 vcc_lo, s19, vcc_lo
	s_delay_alu instid0(VALU_DEP_1) | instskip(NEXT) | instid1(VALU_DEP_3)
	v_cndmask_b32_e64 v146, 0, v148, s19
	v_cndmask_b32_e32 v145, 0, v147, vcc_lo
	s_delay_alu instid0(VALU_DEP_1) | instskip(NEXT) | instid1(VALU_DEP_1)
	v_add_f64 v[147:148], v[145:146], 1.0
	v_frexp_mant_f64_e32 v[149:150], v[147:148]
	v_frexp_exp_i32_f64_e32 v151, v[147:148]
	v_add_f64 v[160:161], v[147:148], -1.0
	s_delay_alu instid0(VALU_DEP_3) | instskip(SKIP_1) | instid1(VALU_DEP_2)
	v_cmp_gt_f64_e32 vcc_lo, s[26:27], v[149:150]
	s_mov_b32 s26, 0x55555780
	v_add_f64 v[149:150], v[160:161], -v[147:148]
	v_add_f64 v[160:161], v[145:146], -v[160:161]
	v_subrev_co_ci_u32_e32 v151, vcc_lo, 0, v151, vcc_lo
	s_delay_alu instid0(VALU_DEP_3) | instskip(SKIP_2) | instid1(VALU_DEP_2)
	v_add_f64 v[149:150], v[149:150], 1.0
	s_mov_b32 vcc_lo, 0x6b47b09a
	s_mov_b32 vcc_hi, 0x3fc38538
	v_sub_nc_u32_e32 v164, 0, v151
	s_delay_alu instid0(VALU_DEP_1) | instskip(NEXT) | instid1(VALU_DEP_3)
	v_ldexp_f64 v[147:148], v[147:148], v164
	v_add_f64 v[149:150], v[160:161], v[149:150]
	s_delay_alu instid0(VALU_DEP_2) | instskip(SKIP_1) | instid1(VALU_DEP_3)
	v_add_f64 v[162:163], v[147:148], 1.0
	v_add_f64 v[226:227], v[147:148], -1.0
	v_ldexp_f64 v[149:150], v[149:150], v164
	s_delay_alu instid0(VALU_DEP_3) | instskip(NEXT) | instid1(VALU_DEP_3)
	v_add_f64 v[160:161], v[162:163], -1.0
	v_add_f64 v[228:229], v[226:227], 1.0
	s_delay_alu instid0(VALU_DEP_2) | instskip(NEXT) | instid1(VALU_DEP_2)
	v_add_f64 v[160:161], v[147:148], -v[160:161]
	v_add_f64 v[147:148], v[147:148], -v[228:229]
	s_delay_alu instid0(VALU_DEP_2) | instskip(NEXT) | instid1(VALU_DEP_2)
	v_add_f64 v[160:161], v[149:150], v[160:161]
	v_add_f64 v[147:148], v[149:150], v[147:148]
	s_delay_alu instid0(VALU_DEP_2) | instskip(NEXT) | instid1(VALU_DEP_2)
	v_add_f64 v[164:165], v[162:163], v[160:161]
	v_add_f64 v[228:229], v[226:227], v[147:148]
	s_delay_alu instid0(VALU_DEP_2) | instskip(SKIP_1) | instid1(VALU_DEP_2)
	v_rcp_f64_e32 v[224:225], v[164:165]
	v_add_f64 v[162:163], v[164:165], -v[162:163]
	v_add_f64 v[226:227], v[228:229], -v[226:227]
	s_delay_alu instid0(VALU_DEP_2) | instskip(SKIP_3) | instid1(VALU_DEP_2)
	v_add_f64 v[160:161], v[160:161], -v[162:163]
	s_waitcnt_depctr 0xfff
	v_fma_f64 v[230:231], -v[164:165], v[224:225], 1.0
	v_add_f64 v[147:148], v[147:148], -v[226:227]
	v_fma_f64 v[224:225], v[230:231], v[224:225], v[224:225]
	s_delay_alu instid0(VALU_DEP_1) | instskip(NEXT) | instid1(VALU_DEP_1)
	v_fma_f64 v[149:150], -v[164:165], v[224:225], 1.0
	v_fma_f64 v[149:150], v[149:150], v[224:225], v[224:225]
	s_delay_alu instid0(VALU_DEP_1) | instskip(NEXT) | instid1(VALU_DEP_1)
	v_mul_f64 v[224:225], v[228:229], v[149:150]
	v_mul_f64 v[230:231], v[164:165], v[224:225]
	s_delay_alu instid0(VALU_DEP_1) | instskip(NEXT) | instid1(VALU_DEP_1)
	v_fma_f64 v[162:163], v[224:225], v[164:165], -v[230:231]
	v_fma_f64 v[162:163], v[224:225], v[160:161], v[162:163]
	s_delay_alu instid0(VALU_DEP_1) | instskip(NEXT) | instid1(VALU_DEP_1)
	v_add_f64 v[240:241], v[230:231], v[162:163]
	v_add_f64 v[242:243], v[228:229], -v[240:241]
	v_add_f64 v[226:227], v[240:241], -v[230:231]
	s_delay_alu instid0(VALU_DEP_2) | instskip(NEXT) | instid1(VALU_DEP_2)
	v_add_f64 v[228:229], v[228:229], -v[242:243]
	v_add_f64 v[162:163], v[226:227], -v[162:163]
	s_delay_alu instid0(VALU_DEP_2) | instskip(NEXT) | instid1(VALU_DEP_1)
	v_add_f64 v[228:229], v[228:229], -v[240:241]
	v_add_f64 v[147:148], v[147:148], v[228:229]
	s_delay_alu instid0(VALU_DEP_1) | instskip(NEXT) | instid1(VALU_DEP_1)
	v_add_f64 v[147:148], v[162:163], v[147:148]
	v_add_f64 v[162:163], v[242:243], v[147:148]
	s_delay_alu instid0(VALU_DEP_1) | instskip(SKIP_1) | instid1(VALU_DEP_2)
	v_mul_f64 v[226:227], v[149:150], v[162:163]
	v_add_f64 v[240:241], v[242:243], -v[162:163]
	v_mul_f64 v[228:229], v[164:165], v[226:227]
	s_delay_alu instid0(VALU_DEP_2) | instskip(NEXT) | instid1(VALU_DEP_2)
	v_add_f64 v[147:148], v[147:148], v[240:241]
	v_fma_f64 v[164:165], v[226:227], v[164:165], -v[228:229]
	s_delay_alu instid0(VALU_DEP_1) | instskip(NEXT) | instid1(VALU_DEP_1)
	v_fma_f64 v[160:161], v[226:227], v[160:161], v[164:165]
	v_add_f64 v[164:165], v[228:229], v[160:161]
	s_delay_alu instid0(VALU_DEP_1) | instskip(SKIP_1) | instid1(VALU_DEP_2)
	v_add_f64 v[230:231], v[162:163], -v[164:165]
	v_add_f64 v[228:229], v[164:165], -v[228:229]
	;; [unrolled: 1-line block ×3, first 2 shown]
	s_delay_alu instid0(VALU_DEP_2) | instskip(NEXT) | instid1(VALU_DEP_2)
	v_add_f64 v[160:161], v[228:229], -v[160:161]
	v_add_f64 v[162:163], v[162:163], -v[164:165]
	s_delay_alu instid0(VALU_DEP_1) | instskip(SKIP_1) | instid1(VALU_DEP_2)
	v_add_f64 v[147:148], v[147:148], v[162:163]
	v_add_f64 v[162:163], v[224:225], v[226:227]
	;; [unrolled: 1-line block ×3, first 2 shown]
	s_delay_alu instid0(VALU_DEP_2) | instskip(NEXT) | instid1(VALU_DEP_2)
	v_add_f64 v[160:161], v[162:163], -v[224:225]
	v_add_f64 v[147:148], v[230:231], v[147:148]
	s_delay_alu instid0(VALU_DEP_2) | instskip(NEXT) | instid1(VALU_DEP_2)
	v_add_f64 v[160:161], v[226:227], -v[160:161]
	v_mul_f64 v[147:148], v[149:150], v[147:148]
	s_delay_alu instid0(VALU_DEP_1) | instskip(NEXT) | instid1(VALU_DEP_1)
	v_add_f64 v[147:148], v[160:161], v[147:148]
	v_add_f64 v[149:150], v[162:163], v[147:148]
	s_delay_alu instid0(VALU_DEP_1) | instskip(NEXT) | instid1(VALU_DEP_1)
	v_mul_f64 v[160:161], v[149:150], v[149:150]
	v_fma_f64 v[164:165], v[160:161], s[30:31], vcc
	s_mov_b32 vcc_lo, 0xd7f4df2e
	s_mov_b32 vcc_hi, 0x3fc7474d
	v_mul_f64 v[224:225], v[149:150], v[160:161]
	s_delay_alu instid0(VALU_DEP_2)
	v_fma_f64 v[164:165], v[160:161], v[164:165], vcc
	s_mov_b32 vcc_lo, 0x16291751
	s_mov_b32 vcc_hi, 0x3fcc71c0
	s_delay_alu instid0(VALU_DEP_1) | instid1(SALU_CYCLE_1)
	v_fma_f64 v[164:165], v[160:161], v[164:165], vcc
	s_mov_b32 vcc_lo, 0x9b27acf1
	s_mov_b32 vcc_hi, 0x3fd24924
	s_delay_alu instid0(VALU_DEP_1) | instid1(SALU_CYCLE_1)
	;; [unrolled: 4-line block ×3, first 2 shown]
	v_fma_f64 v[164:165], v[160:161], v[164:165], vcc
	v_cmp_eq_f64_e32 vcc_lo, 0x7ff00000, v[145:146]
	s_delay_alu instid0(VALU_DEP_2) | instskip(SKIP_2) | instid1(VALU_DEP_3)
	v_fma_f64 v[160:161], v[160:161], v[164:165], s[26:27]
	v_ldexp_f64 v[164:165], v[149:150], 1
	v_add_f64 v[149:150], v[149:150], -v[162:163]
	v_mul_f64 v[160:161], v[224:225], v[160:161]
	v_cvt_f64_i32_e32 v[224:225], v151
	s_delay_alu instid0(VALU_DEP_3) | instskip(NEXT) | instid1(VALU_DEP_3)
	v_add_f64 v[147:148], v[147:148], -v[149:150]
	v_add_f64 v[162:163], v[164:165], v[160:161]
	s_delay_alu instid0(VALU_DEP_3) | instskip(NEXT) | instid1(VALU_DEP_3)
	v_mul_f64 v[226:227], v[224:225], s[20:21]
	v_ldexp_f64 v[147:148], v[147:148], 1
	s_delay_alu instid0(VALU_DEP_3) | instskip(NEXT) | instid1(VALU_DEP_3)
	v_add_f64 v[149:150], v[162:163], -v[164:165]
	v_fma_f64 v[164:165], v[224:225], s[20:21], -v[226:227]
	s_delay_alu instid0(VALU_DEP_2) | instskip(NEXT) | instid1(VALU_DEP_2)
	v_add_f64 v[149:150], v[160:161], -v[149:150]
	v_fma_f64 v[160:161], v[224:225], s[24:25], v[164:165]
	s_delay_alu instid0(VALU_DEP_2) | instskip(NEXT) | instid1(VALU_DEP_2)
	v_add_f64 v[147:148], v[147:148], v[149:150]
	v_add_f64 v[149:150], v[226:227], v[160:161]
	s_delay_alu instid0(VALU_DEP_2) | instskip(NEXT) | instid1(VALU_DEP_2)
	v_add_f64 v[164:165], v[162:163], v[147:148]
	v_add_f64 v[226:227], v[149:150], -v[226:227]
	s_delay_alu instid0(VALU_DEP_2) | instskip(SKIP_1) | instid1(VALU_DEP_3)
	v_add_f64 v[224:225], v[149:150], v[164:165]
	v_add_f64 v[162:163], v[164:165], -v[162:163]
	v_add_f64 v[160:161], v[160:161], -v[226:227]
	s_delay_alu instid0(VALU_DEP_3) | instskip(NEXT) | instid1(VALU_DEP_3)
	v_add_f64 v[228:229], v[224:225], -v[149:150]
	v_add_f64 v[147:148], v[147:148], -v[162:163]
	s_delay_alu instid0(VALU_DEP_2) | instskip(SKIP_1) | instid1(VALU_DEP_3)
	v_add_f64 v[230:231], v[224:225], -v[228:229]
	v_add_f64 v[162:163], v[164:165], -v[228:229]
	v_add_f64 v[164:165], v[160:161], v[147:148]
	s_delay_alu instid0(VALU_DEP_3) | instskip(NEXT) | instid1(VALU_DEP_1)
	v_add_f64 v[149:150], v[149:150], -v[230:231]
	v_add_f64 v[149:150], v[162:163], v[149:150]
	s_delay_alu instid0(VALU_DEP_3) | instskip(NEXT) | instid1(VALU_DEP_2)
	v_add_f64 v[162:163], v[164:165], -v[160:161]
	v_add_f64 v[149:150], v[164:165], v[149:150]
	s_delay_alu instid0(VALU_DEP_2) | instskip(SKIP_1) | instid1(VALU_DEP_3)
	v_add_f64 v[164:165], v[164:165], -v[162:163]
	v_add_f64 v[147:148], v[147:148], -v[162:163]
	v_add_f64 v[226:227], v[224:225], v[149:150]
	s_delay_alu instid0(VALU_DEP_3) | instskip(NEXT) | instid1(VALU_DEP_2)
	v_add_f64 v[160:161], v[160:161], -v[164:165]
	v_add_f64 v[162:163], v[226:227], -v[224:225]
	s_delay_alu instid0(VALU_DEP_2) | instskip(NEXT) | instid1(VALU_DEP_2)
	v_add_f64 v[147:148], v[147:148], v[160:161]
	v_add_f64 v[149:150], v[149:150], -v[162:163]
	s_delay_alu instid0(VALU_DEP_1) | instskip(NEXT) | instid1(VALU_DEP_1)
	v_add_f64 v[147:148], v[147:148], v[149:150]
	v_add_f64 v[147:148], v[226:227], v[147:148]
	s_delay_alu instid0(VALU_DEP_1) | instskip(SKIP_1) | instid1(VALU_DEP_2)
	v_dual_cndmask_b32 v148, v148, v146 :: v_dual_cndmask_b32 v147, v147, v145
	v_cmp_ngt_f64_e32 vcc_lo, -1.0, v[145:146]
	v_cndmask_b32_e32 v148, 0x7ff80000, v148, vcc_lo
	v_cmp_nge_f64_e32 vcc_lo, -1.0, v[145:146]
	s_delay_alu instid0(VALU_DEP_4) | instskip(SKIP_1) | instid1(VALU_DEP_4)
	v_cndmask_b32_e32 v147, 0, v147, vcc_lo
	v_cmp_neq_f64_e32 vcc_lo, -1.0, v[145:146]
	v_cndmask_b32_e32 v148, 0xfff00000, v148, vcc_lo
	s_delay_alu instid0(VALU_DEP_1)
	v_add_f64 v[145:146], v[6:7], v[147:148]
.LBB56_147:
	s_or_b32 exec_lo, exec_lo, s29
	s_delay_alu instid0(VALU_DEP_1)
	v_dual_mov_b32 v147, v145 :: v_dual_mov_b32 v148, v146
	v_dual_mov_b32 v6, v145 :: v_dual_mov_b32 v7, v146
.LBB56_148:
	s_or_b32 exec_lo, exec_lo, s28
	v_cmp_gt_u32_e32 vcc_lo, 28, v209
	v_add_nc_u32_e32 v225, 4, v209
	s_mov_b32 s28, exec_lo
	s_waitcnt lgkmcnt(1)
	v_cndmask_b32_e64 v145, 0, 1, vcc_lo
	s_delay_alu instid0(VALU_DEP_1) | instskip(NEXT) | instid1(VALU_DEP_1)
	v_lshlrev_b32_e32 v145, 2, v145
	v_add_lshl_u32 v224, v145, v209, 2
	ds_bpermute_b32 v145, v224, v147
	s_waitcnt lgkmcnt(1)
	ds_bpermute_b32 v146, v224, v148
	v_cmpx_le_u32_e64 v225, v9
	s_cbranch_execz .LBB56_152
; %bb.149:
	s_waitcnt lgkmcnt(0)
	v_max_f64 v[147:148], v[145:146], v[145:146]
	v_max_f64 v[149:150], v[6:7], v[6:7]
	v_cmp_u_f64_e32 vcc_lo, v[145:146], v[145:146]
	v_cmp_u_f64_e64 s19, v[6:7], v[6:7]
	s_delay_alu instid0(VALU_DEP_3) | instskip(SKIP_1) | instid1(VALU_DEP_2)
	v_min_f64 v[160:161], v[147:148], v[149:150]
	v_max_f64 v[147:148], v[147:148], v[149:150]
	v_dual_cndmask_b32 v149, v160, v145 :: v_dual_cndmask_b32 v150, v161, v146
	s_delay_alu instid0(VALU_DEP_2) | instskip(NEXT) | instid1(VALU_DEP_2)
	v_dual_cndmask_b32 v151, v148, v146 :: v_dual_cndmask_b32 v160, v147, v145
	v_cndmask_b32_e64 v147, v149, v6, s19
	s_delay_alu instid0(VALU_DEP_3) | instskip(NEXT) | instid1(VALU_DEP_3)
	v_cndmask_b32_e64 v148, v150, v7, s19
	v_cndmask_b32_e64 v7, v151, v7, s19
	s_delay_alu instid0(VALU_DEP_4) | instskip(NEXT) | instid1(VALU_DEP_3)
	v_cndmask_b32_e64 v6, v160, v6, s19
	v_cmp_class_f64_e64 s19, v[147:148], 0x1f8
	s_delay_alu instid0(VALU_DEP_2) | instskip(NEXT) | instid1(VALU_DEP_2)
	v_cmp_neq_f64_e32 vcc_lo, v[147:148], v[6:7]
	s_or_b32 s19, vcc_lo, s19
	s_delay_alu instid0(SALU_CYCLE_1)
	s_and_saveexec_b32 s29, s19
	s_cbranch_execz .LBB56_151
; %bb.150:
	v_add_f64 v[145:146], v[147:148], -v[6:7]
	s_mov_b32 s20, 0x652b82fe
	s_mov_b32 s21, 0x3ff71547
	;; [unrolled: 1-line block ×5, first 2 shown]
	s_mov_b32 vcc_lo, 0x6a5dcb37
	s_mov_b32 s27, 0x3e928af3
	s_mov_b32 vcc_hi, 0x3e5ade15
	s_mov_b32 s30, 0xbf559e2b
	s_mov_b32 s31, 0x3fc3ab76
	s_delay_alu instid0(VALU_DEP_1) | instskip(SKIP_3) | instid1(VALU_DEP_2)
	v_mul_f64 v[147:148], v[145:146], s[20:21]
	s_mov_b32 s21, 0xbfe62e42
	s_mov_b32 s20, 0xfefa39ef
	v_cmp_ngt_f64_e64 s19, 0xc090cc00, v[145:146]
	v_rndne_f64_e32 v[147:148], v[147:148]
	s_delay_alu instid0(VALU_DEP_1) | instskip(SKIP_2) | instid1(VALU_DEP_2)
	v_fma_f64 v[149:150], v[147:148], s[20:21], v[145:146]
	v_cvt_i32_f64_e32 v151, v[147:148]
	s_mov_b32 s21, 0x3fe62e42
	v_fma_f64 v[149:150], v[147:148], s[24:25], v[149:150]
	s_mov_b32 s25, 0x3c7abc9e
	s_delay_alu instid0(VALU_DEP_1) | instskip(SKIP_3) | instid1(VALU_DEP_2)
	v_fma_f64 v[160:161], v[149:150], vcc, s[26:27]
	s_mov_b32 s26, 0x623fde64
	s_mov_b32 s27, 0x3ec71dee
	v_cmp_nlt_f64_e32 vcc_lo, 0x40900000, v[145:146]
	v_fma_f64 v[160:161], v[149:150], v[160:161], s[26:27]
	s_mov_b32 s26, 0x7c89e6b0
	s_mov_b32 s27, 0x3efa0199
	s_delay_alu instid0(VALU_DEP_1) | instid1(SALU_CYCLE_1)
	v_fma_f64 v[160:161], v[149:150], v[160:161], s[26:27]
	s_mov_b32 s26, 0x14761f6e
	s_mov_b32 s27, 0x3f2a01a0
	s_delay_alu instid0(VALU_DEP_1) | instid1(SALU_CYCLE_1)
	;; [unrolled: 4-line block ×7, first 2 shown]
	v_fma_f64 v[160:161], v[149:150], v[160:161], s[26:27]
	s_mov_b32 s27, 0x3fe55555
	s_mov_b32 s26, 0x55555555
	s_delay_alu instid0(VALU_DEP_1) | instskip(NEXT) | instid1(VALU_DEP_1)
	v_fma_f64 v[160:161], v[149:150], v[160:161], 1.0
	v_fma_f64 v[147:148], v[149:150], v[160:161], 1.0
	s_delay_alu instid0(VALU_DEP_1) | instskip(NEXT) | instid1(VALU_DEP_1)
	v_ldexp_f64 v[147:148], v[147:148], v151
	v_cndmask_b32_e32 v148, 0x7ff00000, v148, vcc_lo
	s_and_b32 vcc_lo, s19, vcc_lo
	s_delay_alu instid0(VALU_DEP_1) | instskip(NEXT) | instid1(VALU_DEP_3)
	v_cndmask_b32_e64 v146, 0, v148, s19
	v_cndmask_b32_e32 v145, 0, v147, vcc_lo
	s_delay_alu instid0(VALU_DEP_1) | instskip(NEXT) | instid1(VALU_DEP_1)
	v_add_f64 v[147:148], v[145:146], 1.0
	v_frexp_mant_f64_e32 v[149:150], v[147:148]
	v_frexp_exp_i32_f64_e32 v151, v[147:148]
	v_add_f64 v[160:161], v[147:148], -1.0
	s_delay_alu instid0(VALU_DEP_3) | instskip(SKIP_1) | instid1(VALU_DEP_2)
	v_cmp_gt_f64_e32 vcc_lo, s[26:27], v[149:150]
	s_mov_b32 s26, 0x55555780
	v_add_f64 v[149:150], v[160:161], -v[147:148]
	v_add_f64 v[160:161], v[145:146], -v[160:161]
	v_subrev_co_ci_u32_e32 v151, vcc_lo, 0, v151, vcc_lo
	s_delay_alu instid0(VALU_DEP_3) | instskip(SKIP_2) | instid1(VALU_DEP_2)
	v_add_f64 v[149:150], v[149:150], 1.0
	s_mov_b32 vcc_lo, 0x6b47b09a
	s_mov_b32 vcc_hi, 0x3fc38538
	v_sub_nc_u32_e32 v164, 0, v151
	s_delay_alu instid0(VALU_DEP_1) | instskip(NEXT) | instid1(VALU_DEP_3)
	v_ldexp_f64 v[147:148], v[147:148], v164
	v_add_f64 v[149:150], v[160:161], v[149:150]
	s_delay_alu instid0(VALU_DEP_2) | instskip(SKIP_1) | instid1(VALU_DEP_3)
	v_add_f64 v[162:163], v[147:148], 1.0
	v_add_f64 v[228:229], v[147:148], -1.0
	v_ldexp_f64 v[149:150], v[149:150], v164
	s_delay_alu instid0(VALU_DEP_3) | instskip(NEXT) | instid1(VALU_DEP_3)
	v_add_f64 v[160:161], v[162:163], -1.0
	v_add_f64 v[230:231], v[228:229], 1.0
	s_delay_alu instid0(VALU_DEP_2) | instskip(NEXT) | instid1(VALU_DEP_2)
	v_add_f64 v[160:161], v[147:148], -v[160:161]
	v_add_f64 v[147:148], v[147:148], -v[230:231]
	s_delay_alu instid0(VALU_DEP_2) | instskip(NEXT) | instid1(VALU_DEP_2)
	v_add_f64 v[160:161], v[149:150], v[160:161]
	v_add_f64 v[147:148], v[149:150], v[147:148]
	s_delay_alu instid0(VALU_DEP_2) | instskip(NEXT) | instid1(VALU_DEP_2)
	v_add_f64 v[164:165], v[162:163], v[160:161]
	v_add_f64 v[230:231], v[228:229], v[147:148]
	s_delay_alu instid0(VALU_DEP_2) | instskip(SKIP_1) | instid1(VALU_DEP_2)
	v_rcp_f64_e32 v[226:227], v[164:165]
	v_add_f64 v[162:163], v[164:165], -v[162:163]
	v_add_f64 v[228:229], v[230:231], -v[228:229]
	s_delay_alu instid0(VALU_DEP_2) | instskip(SKIP_3) | instid1(VALU_DEP_2)
	v_add_f64 v[160:161], v[160:161], -v[162:163]
	s_waitcnt_depctr 0xfff
	v_fma_f64 v[240:241], -v[164:165], v[226:227], 1.0
	v_add_f64 v[147:148], v[147:148], -v[228:229]
	v_fma_f64 v[226:227], v[240:241], v[226:227], v[226:227]
	s_delay_alu instid0(VALU_DEP_1) | instskip(NEXT) | instid1(VALU_DEP_1)
	v_fma_f64 v[149:150], -v[164:165], v[226:227], 1.0
	v_fma_f64 v[149:150], v[149:150], v[226:227], v[226:227]
	s_delay_alu instid0(VALU_DEP_1) | instskip(NEXT) | instid1(VALU_DEP_1)
	v_mul_f64 v[226:227], v[230:231], v[149:150]
	v_mul_f64 v[240:241], v[164:165], v[226:227]
	s_delay_alu instid0(VALU_DEP_1) | instskip(NEXT) | instid1(VALU_DEP_1)
	v_fma_f64 v[162:163], v[226:227], v[164:165], -v[240:241]
	v_fma_f64 v[162:163], v[226:227], v[160:161], v[162:163]
	s_delay_alu instid0(VALU_DEP_1) | instskip(NEXT) | instid1(VALU_DEP_1)
	v_add_f64 v[242:243], v[240:241], v[162:163]
	v_add_f64 v[244:245], v[230:231], -v[242:243]
	v_add_f64 v[228:229], v[242:243], -v[240:241]
	s_delay_alu instid0(VALU_DEP_2) | instskip(NEXT) | instid1(VALU_DEP_2)
	v_add_f64 v[230:231], v[230:231], -v[244:245]
	v_add_f64 v[162:163], v[228:229], -v[162:163]
	s_delay_alu instid0(VALU_DEP_2) | instskip(NEXT) | instid1(VALU_DEP_1)
	v_add_f64 v[230:231], v[230:231], -v[242:243]
	v_add_f64 v[147:148], v[147:148], v[230:231]
	s_delay_alu instid0(VALU_DEP_1) | instskip(NEXT) | instid1(VALU_DEP_1)
	v_add_f64 v[147:148], v[162:163], v[147:148]
	v_add_f64 v[162:163], v[244:245], v[147:148]
	s_delay_alu instid0(VALU_DEP_1) | instskip(SKIP_1) | instid1(VALU_DEP_2)
	v_mul_f64 v[228:229], v[149:150], v[162:163]
	v_add_f64 v[242:243], v[244:245], -v[162:163]
	v_mul_f64 v[230:231], v[164:165], v[228:229]
	s_delay_alu instid0(VALU_DEP_2) | instskip(NEXT) | instid1(VALU_DEP_2)
	v_add_f64 v[147:148], v[147:148], v[242:243]
	v_fma_f64 v[164:165], v[228:229], v[164:165], -v[230:231]
	s_delay_alu instid0(VALU_DEP_1) | instskip(NEXT) | instid1(VALU_DEP_1)
	v_fma_f64 v[160:161], v[228:229], v[160:161], v[164:165]
	v_add_f64 v[164:165], v[230:231], v[160:161]
	s_delay_alu instid0(VALU_DEP_1) | instskip(SKIP_1) | instid1(VALU_DEP_2)
	v_add_f64 v[240:241], v[162:163], -v[164:165]
	v_add_f64 v[230:231], v[164:165], -v[230:231]
	;; [unrolled: 1-line block ×3, first 2 shown]
	s_delay_alu instid0(VALU_DEP_2) | instskip(NEXT) | instid1(VALU_DEP_2)
	v_add_f64 v[160:161], v[230:231], -v[160:161]
	v_add_f64 v[162:163], v[162:163], -v[164:165]
	s_delay_alu instid0(VALU_DEP_1) | instskip(SKIP_1) | instid1(VALU_DEP_2)
	v_add_f64 v[147:148], v[147:148], v[162:163]
	v_add_f64 v[162:163], v[226:227], v[228:229]
	;; [unrolled: 1-line block ×3, first 2 shown]
	s_delay_alu instid0(VALU_DEP_2) | instskip(NEXT) | instid1(VALU_DEP_2)
	v_add_f64 v[160:161], v[162:163], -v[226:227]
	v_add_f64 v[147:148], v[240:241], v[147:148]
	s_delay_alu instid0(VALU_DEP_2) | instskip(NEXT) | instid1(VALU_DEP_2)
	v_add_f64 v[160:161], v[228:229], -v[160:161]
	v_mul_f64 v[147:148], v[149:150], v[147:148]
	s_delay_alu instid0(VALU_DEP_1) | instskip(NEXT) | instid1(VALU_DEP_1)
	v_add_f64 v[147:148], v[160:161], v[147:148]
	v_add_f64 v[149:150], v[162:163], v[147:148]
	s_delay_alu instid0(VALU_DEP_1) | instskip(NEXT) | instid1(VALU_DEP_1)
	v_mul_f64 v[160:161], v[149:150], v[149:150]
	v_fma_f64 v[164:165], v[160:161], s[30:31], vcc
	s_mov_b32 vcc_lo, 0xd7f4df2e
	s_mov_b32 vcc_hi, 0x3fc7474d
	v_mul_f64 v[226:227], v[149:150], v[160:161]
	s_delay_alu instid0(VALU_DEP_2)
	v_fma_f64 v[164:165], v[160:161], v[164:165], vcc
	s_mov_b32 vcc_lo, 0x16291751
	s_mov_b32 vcc_hi, 0x3fcc71c0
	s_delay_alu instid0(VALU_DEP_1) | instid1(SALU_CYCLE_1)
	v_fma_f64 v[164:165], v[160:161], v[164:165], vcc
	s_mov_b32 vcc_lo, 0x9b27acf1
	s_mov_b32 vcc_hi, 0x3fd24924
	s_delay_alu instid0(VALU_DEP_1) | instid1(SALU_CYCLE_1)
	;; [unrolled: 4-line block ×3, first 2 shown]
	v_fma_f64 v[164:165], v[160:161], v[164:165], vcc
	v_cmp_eq_f64_e32 vcc_lo, 0x7ff00000, v[145:146]
	s_delay_alu instid0(VALU_DEP_2) | instskip(SKIP_2) | instid1(VALU_DEP_3)
	v_fma_f64 v[160:161], v[160:161], v[164:165], s[26:27]
	v_ldexp_f64 v[164:165], v[149:150], 1
	v_add_f64 v[149:150], v[149:150], -v[162:163]
	v_mul_f64 v[160:161], v[226:227], v[160:161]
	v_cvt_f64_i32_e32 v[226:227], v151
	s_delay_alu instid0(VALU_DEP_3) | instskip(NEXT) | instid1(VALU_DEP_3)
	v_add_f64 v[147:148], v[147:148], -v[149:150]
	v_add_f64 v[162:163], v[164:165], v[160:161]
	s_delay_alu instid0(VALU_DEP_3) | instskip(NEXT) | instid1(VALU_DEP_3)
	v_mul_f64 v[228:229], v[226:227], s[20:21]
	v_ldexp_f64 v[147:148], v[147:148], 1
	s_delay_alu instid0(VALU_DEP_3) | instskip(NEXT) | instid1(VALU_DEP_3)
	v_add_f64 v[149:150], v[162:163], -v[164:165]
	v_fma_f64 v[164:165], v[226:227], s[20:21], -v[228:229]
	s_delay_alu instid0(VALU_DEP_2) | instskip(NEXT) | instid1(VALU_DEP_2)
	v_add_f64 v[149:150], v[160:161], -v[149:150]
	v_fma_f64 v[160:161], v[226:227], s[24:25], v[164:165]
	s_delay_alu instid0(VALU_DEP_2) | instskip(NEXT) | instid1(VALU_DEP_2)
	v_add_f64 v[147:148], v[147:148], v[149:150]
	v_add_f64 v[149:150], v[228:229], v[160:161]
	s_delay_alu instid0(VALU_DEP_2) | instskip(NEXT) | instid1(VALU_DEP_2)
	v_add_f64 v[164:165], v[162:163], v[147:148]
	v_add_f64 v[228:229], v[149:150], -v[228:229]
	s_delay_alu instid0(VALU_DEP_2) | instskip(SKIP_1) | instid1(VALU_DEP_3)
	v_add_f64 v[226:227], v[149:150], v[164:165]
	v_add_f64 v[162:163], v[164:165], -v[162:163]
	v_add_f64 v[160:161], v[160:161], -v[228:229]
	s_delay_alu instid0(VALU_DEP_3) | instskip(NEXT) | instid1(VALU_DEP_3)
	v_add_f64 v[230:231], v[226:227], -v[149:150]
	v_add_f64 v[147:148], v[147:148], -v[162:163]
	s_delay_alu instid0(VALU_DEP_2) | instskip(SKIP_1) | instid1(VALU_DEP_3)
	v_add_f64 v[240:241], v[226:227], -v[230:231]
	v_add_f64 v[162:163], v[164:165], -v[230:231]
	v_add_f64 v[164:165], v[160:161], v[147:148]
	s_delay_alu instid0(VALU_DEP_3) | instskip(NEXT) | instid1(VALU_DEP_1)
	v_add_f64 v[149:150], v[149:150], -v[240:241]
	v_add_f64 v[149:150], v[162:163], v[149:150]
	s_delay_alu instid0(VALU_DEP_3) | instskip(NEXT) | instid1(VALU_DEP_2)
	v_add_f64 v[162:163], v[164:165], -v[160:161]
	v_add_f64 v[149:150], v[164:165], v[149:150]
	s_delay_alu instid0(VALU_DEP_2) | instskip(SKIP_1) | instid1(VALU_DEP_3)
	v_add_f64 v[164:165], v[164:165], -v[162:163]
	v_add_f64 v[147:148], v[147:148], -v[162:163]
	v_add_f64 v[228:229], v[226:227], v[149:150]
	s_delay_alu instid0(VALU_DEP_3) | instskip(NEXT) | instid1(VALU_DEP_2)
	v_add_f64 v[160:161], v[160:161], -v[164:165]
	v_add_f64 v[162:163], v[228:229], -v[226:227]
	s_delay_alu instid0(VALU_DEP_2) | instskip(NEXT) | instid1(VALU_DEP_2)
	v_add_f64 v[147:148], v[147:148], v[160:161]
	v_add_f64 v[149:150], v[149:150], -v[162:163]
	s_delay_alu instid0(VALU_DEP_1) | instskip(NEXT) | instid1(VALU_DEP_1)
	v_add_f64 v[147:148], v[147:148], v[149:150]
	v_add_f64 v[147:148], v[228:229], v[147:148]
	s_delay_alu instid0(VALU_DEP_1) | instskip(SKIP_1) | instid1(VALU_DEP_2)
	v_dual_cndmask_b32 v148, v148, v146 :: v_dual_cndmask_b32 v147, v147, v145
	v_cmp_ngt_f64_e32 vcc_lo, -1.0, v[145:146]
	v_cndmask_b32_e32 v148, 0x7ff80000, v148, vcc_lo
	v_cmp_nge_f64_e32 vcc_lo, -1.0, v[145:146]
	s_delay_alu instid0(VALU_DEP_4) | instskip(SKIP_1) | instid1(VALU_DEP_4)
	v_cndmask_b32_e32 v147, 0, v147, vcc_lo
	v_cmp_neq_f64_e32 vcc_lo, -1.0, v[145:146]
	v_cndmask_b32_e32 v148, 0xfff00000, v148, vcc_lo
	s_delay_alu instid0(VALU_DEP_1)
	v_add_f64 v[145:146], v[6:7], v[147:148]
.LBB56_151:
	s_or_b32 exec_lo, exec_lo, s29
	s_delay_alu instid0(VALU_DEP_1)
	v_dual_mov_b32 v147, v145 :: v_dual_mov_b32 v148, v146
	v_dual_mov_b32 v6, v145 :: v_dual_mov_b32 v7, v146
.LBB56_152:
	s_or_b32 exec_lo, exec_lo, s28
	v_cmp_gt_u32_e32 vcc_lo, 24, v209
	v_add_nc_u32_e32 v227, 8, v209
	s_mov_b32 s28, exec_lo
	s_waitcnt lgkmcnt(1)
	v_cndmask_b32_e64 v145, 0, 1, vcc_lo
	s_delay_alu instid0(VALU_DEP_1) | instskip(NEXT) | instid1(VALU_DEP_1)
	v_lshlrev_b32_e32 v145, 3, v145
	v_add_lshl_u32 v226, v145, v209, 2
	ds_bpermute_b32 v145, v226, v147
	s_waitcnt lgkmcnt(1)
	ds_bpermute_b32 v146, v226, v148
	v_cmpx_le_u32_e64 v227, v9
	s_cbranch_execz .LBB56_156
; %bb.153:
	s_waitcnt lgkmcnt(0)
	v_max_f64 v[147:148], v[145:146], v[145:146]
	v_max_f64 v[149:150], v[6:7], v[6:7]
	v_cmp_u_f64_e32 vcc_lo, v[145:146], v[145:146]
	v_cmp_u_f64_e64 s19, v[6:7], v[6:7]
	s_delay_alu instid0(VALU_DEP_3) | instskip(SKIP_1) | instid1(VALU_DEP_2)
	v_min_f64 v[160:161], v[147:148], v[149:150]
	v_max_f64 v[147:148], v[147:148], v[149:150]
	v_dual_cndmask_b32 v149, v160, v145 :: v_dual_cndmask_b32 v150, v161, v146
	s_delay_alu instid0(VALU_DEP_2) | instskip(NEXT) | instid1(VALU_DEP_2)
	v_dual_cndmask_b32 v151, v148, v146 :: v_dual_cndmask_b32 v160, v147, v145
	v_cndmask_b32_e64 v147, v149, v6, s19
	s_delay_alu instid0(VALU_DEP_3) | instskip(NEXT) | instid1(VALU_DEP_3)
	v_cndmask_b32_e64 v148, v150, v7, s19
	v_cndmask_b32_e64 v7, v151, v7, s19
	s_delay_alu instid0(VALU_DEP_4) | instskip(NEXT) | instid1(VALU_DEP_3)
	v_cndmask_b32_e64 v6, v160, v6, s19
	v_cmp_class_f64_e64 s19, v[147:148], 0x1f8
	s_delay_alu instid0(VALU_DEP_2) | instskip(NEXT) | instid1(VALU_DEP_2)
	v_cmp_neq_f64_e32 vcc_lo, v[147:148], v[6:7]
	s_or_b32 s19, vcc_lo, s19
	s_delay_alu instid0(SALU_CYCLE_1)
	s_and_saveexec_b32 s29, s19
	s_cbranch_execz .LBB56_155
; %bb.154:
	v_add_f64 v[145:146], v[147:148], -v[6:7]
	s_mov_b32 s20, 0x652b82fe
	s_mov_b32 s21, 0x3ff71547
	;; [unrolled: 1-line block ×5, first 2 shown]
	s_mov_b32 vcc_lo, 0x6a5dcb37
	s_mov_b32 s27, 0x3e928af3
	s_mov_b32 vcc_hi, 0x3e5ade15
	s_mov_b32 s30, 0xbf559e2b
	s_mov_b32 s31, 0x3fc3ab76
	s_delay_alu instid0(VALU_DEP_1) | instskip(SKIP_3) | instid1(VALU_DEP_2)
	v_mul_f64 v[147:148], v[145:146], s[20:21]
	s_mov_b32 s21, 0xbfe62e42
	s_mov_b32 s20, 0xfefa39ef
	v_cmp_ngt_f64_e64 s19, 0xc090cc00, v[145:146]
	v_rndne_f64_e32 v[147:148], v[147:148]
	s_delay_alu instid0(VALU_DEP_1) | instskip(SKIP_1) | instid1(VALU_DEP_1)
	v_fma_f64 v[149:150], v[147:148], s[20:21], v[145:146]
	s_mov_b32 s21, 0x3fe62e42
	v_fma_f64 v[149:150], v[147:148], s[24:25], v[149:150]
	v_cvt_i32_f64_e32 v147, v[147:148]
	s_mov_b32 s25, 0x3c7abc9e
	s_delay_alu instid0(VALU_DEP_2) | instskip(SKIP_3) | instid1(VALU_DEP_2)
	v_fma_f64 v[160:161], v[149:150], vcc, s[26:27]
	s_mov_b32 s26, 0x623fde64
	s_mov_b32 s27, 0x3ec71dee
	v_cmp_nlt_f64_e32 vcc_lo, 0x40900000, v[145:146]
	v_fma_f64 v[160:161], v[149:150], v[160:161], s[26:27]
	s_mov_b32 s26, 0x7c89e6b0
	s_mov_b32 s27, 0x3efa0199
	s_delay_alu instid0(VALU_DEP_1) | instid1(SALU_CYCLE_1)
	v_fma_f64 v[160:161], v[149:150], v[160:161], s[26:27]
	s_mov_b32 s26, 0x14761f6e
	s_mov_b32 s27, 0x3f2a01a0
	s_delay_alu instid0(VALU_DEP_1) | instid1(SALU_CYCLE_1)
	;; [unrolled: 4-line block ×7, first 2 shown]
	v_fma_f64 v[160:161], v[149:150], v[160:161], s[26:27]
	s_mov_b32 s27, 0x3fe55555
	s_mov_b32 s26, 0x55555555
	s_delay_alu instid0(VALU_DEP_1) | instskip(NEXT) | instid1(VALU_DEP_1)
	v_fma_f64 v[160:161], v[149:150], v[160:161], 1.0
	v_fma_f64 v[149:150], v[149:150], v[160:161], 1.0
	s_delay_alu instid0(VALU_DEP_1) | instskip(NEXT) | instid1(VALU_DEP_1)
	v_ldexp_f64 v[147:148], v[149:150], v147
	v_cndmask_b32_e32 v148, 0x7ff00000, v148, vcc_lo
	s_and_b32 vcc_lo, s19, vcc_lo
	s_delay_alu instid0(VALU_DEP_1) | instskip(NEXT) | instid1(VALU_DEP_3)
	v_cndmask_b32_e64 v146, 0, v148, s19
	v_cndmask_b32_e32 v145, 0, v147, vcc_lo
	s_delay_alu instid0(VALU_DEP_1) | instskip(NEXT) | instid1(VALU_DEP_1)
	v_add_f64 v[147:148], v[145:146], 1.0
	v_add_f64 v[149:150], v[147:148], -1.0
	v_frexp_exp_i32_f64_e32 v151, v[147:148]
	s_delay_alu instid0(VALU_DEP_2) | instskip(SKIP_1) | instid1(VALU_DEP_2)
	v_add_f64 v[160:161], v[149:150], -v[147:148]
	v_add_f64 v[149:150], v[145:146], -v[149:150]
	v_add_f64 v[160:161], v[160:161], 1.0
	s_delay_alu instid0(VALU_DEP_1) | instskip(SKIP_1) | instid1(VALU_DEP_1)
	v_add_f64 v[149:150], v[149:150], v[160:161]
	v_frexp_mant_f64_e32 v[160:161], v[147:148]
	v_cmp_gt_f64_e32 vcc_lo, s[26:27], v[160:161]
	s_mov_b32 s26, 0x55555780
	v_subrev_co_ci_u32_e32 v151, vcc_lo, 0, v151, vcc_lo
	s_mov_b32 vcc_lo, 0x6b47b09a
	s_mov_b32 vcc_hi, 0x3fc38538
	s_delay_alu instid0(VALU_DEP_1) | instskip(NEXT) | instid1(VALU_DEP_1)
	v_sub_nc_u32_e32 v160, 0, v151
	v_ldexp_f64 v[147:148], v[147:148], v160
	v_ldexp_f64 v[149:150], v[149:150], v160
	s_delay_alu instid0(VALU_DEP_2) | instskip(NEXT) | instid1(VALU_DEP_1)
	v_add_f64 v[160:161], v[147:148], -1.0
	v_add_f64 v[162:163], v[160:161], 1.0
	s_delay_alu instid0(VALU_DEP_1) | instskip(NEXT) | instid1(VALU_DEP_1)
	v_add_f64 v[162:163], v[147:148], -v[162:163]
	v_add_f64 v[162:163], v[149:150], v[162:163]
	s_delay_alu instid0(VALU_DEP_1) | instskip(NEXT) | instid1(VALU_DEP_1)
	v_add_f64 v[164:165], v[160:161], v[162:163]
	v_add_f64 v[160:161], v[164:165], -v[160:161]
	s_delay_alu instid0(VALU_DEP_1) | instskip(SKIP_1) | instid1(VALU_DEP_1)
	v_add_f64 v[160:161], v[162:163], -v[160:161]
	v_add_f64 v[162:163], v[147:148], 1.0
	v_add_f64 v[228:229], v[162:163], -1.0
	s_delay_alu instid0(VALU_DEP_1) | instskip(NEXT) | instid1(VALU_DEP_1)
	v_add_f64 v[147:148], v[147:148], -v[228:229]
	v_add_f64 v[147:148], v[149:150], v[147:148]
	s_delay_alu instid0(VALU_DEP_1) | instskip(NEXT) | instid1(VALU_DEP_1)
	v_add_f64 v[149:150], v[162:163], v[147:148]
	v_add_f64 v[162:163], v[149:150], -v[162:163]
	s_delay_alu instid0(VALU_DEP_1) | instskip(SKIP_3) | instid1(VALU_DEP_1)
	v_add_f64 v[147:148], v[147:148], -v[162:163]
	v_rcp_f64_e32 v[162:163], v[149:150]
	s_waitcnt_depctr 0xfff
	v_fma_f64 v[228:229], -v[149:150], v[162:163], 1.0
	v_fma_f64 v[162:163], v[228:229], v[162:163], v[162:163]
	s_delay_alu instid0(VALU_DEP_1) | instskip(NEXT) | instid1(VALU_DEP_1)
	v_fma_f64 v[228:229], -v[149:150], v[162:163], 1.0
	v_fma_f64 v[162:163], v[228:229], v[162:163], v[162:163]
	s_delay_alu instid0(VALU_DEP_1) | instskip(NEXT) | instid1(VALU_DEP_1)
	v_mul_f64 v[228:229], v[164:165], v[162:163]
	v_mul_f64 v[230:231], v[149:150], v[228:229]
	s_delay_alu instid0(VALU_DEP_1) | instskip(NEXT) | instid1(VALU_DEP_1)
	v_fma_f64 v[240:241], v[228:229], v[149:150], -v[230:231]
	v_fma_f64 v[240:241], v[228:229], v[147:148], v[240:241]
	s_delay_alu instid0(VALU_DEP_1) | instskip(NEXT) | instid1(VALU_DEP_1)
	v_add_f64 v[242:243], v[230:231], v[240:241]
	v_add_f64 v[244:245], v[164:165], -v[242:243]
	v_add_f64 v[230:231], v[242:243], -v[230:231]
	s_delay_alu instid0(VALU_DEP_2) | instskip(NEXT) | instid1(VALU_DEP_1)
	v_add_f64 v[164:165], v[164:165], -v[244:245]
	v_add_f64 v[164:165], v[164:165], -v[242:243]
	s_delay_alu instid0(VALU_DEP_1) | instskip(NEXT) | instid1(VALU_DEP_4)
	v_add_f64 v[160:161], v[160:161], v[164:165]
	v_add_f64 v[164:165], v[230:231], -v[240:241]
	s_delay_alu instid0(VALU_DEP_1) | instskip(NEXT) | instid1(VALU_DEP_1)
	v_add_f64 v[160:161], v[164:165], v[160:161]
	v_add_f64 v[164:165], v[244:245], v[160:161]
	s_delay_alu instid0(VALU_DEP_1) | instskip(NEXT) | instid1(VALU_DEP_1)
	v_add_f64 v[230:231], v[244:245], -v[164:165]
	v_add_f64 v[160:161], v[160:161], v[230:231]
	v_mul_f64 v[230:231], v[162:163], v[164:165]
	s_delay_alu instid0(VALU_DEP_1) | instskip(NEXT) | instid1(VALU_DEP_1)
	v_mul_f64 v[240:241], v[149:150], v[230:231]
	v_fma_f64 v[149:150], v[230:231], v[149:150], -v[240:241]
	s_delay_alu instid0(VALU_DEP_1) | instskip(NEXT) | instid1(VALU_DEP_1)
	v_fma_f64 v[147:148], v[230:231], v[147:148], v[149:150]
	v_add_f64 v[149:150], v[240:241], v[147:148]
	s_delay_alu instid0(VALU_DEP_1) | instskip(SKIP_1) | instid1(VALU_DEP_2)
	v_add_f64 v[242:243], v[164:165], -v[149:150]
	v_add_f64 v[240:241], v[149:150], -v[240:241]
	;; [unrolled: 1-line block ×3, first 2 shown]
	s_delay_alu instid0(VALU_DEP_2) | instskip(NEXT) | instid1(VALU_DEP_2)
	v_add_f64 v[147:148], v[240:241], -v[147:148]
	v_add_f64 v[149:150], v[164:165], -v[149:150]
	v_cvt_f64_i32_e32 v[164:165], v151
	s_delay_alu instid0(VALU_DEP_2) | instskip(NEXT) | instid1(VALU_DEP_1)
	v_add_f64 v[149:150], v[160:161], v[149:150]
	v_add_f64 v[147:148], v[147:148], v[149:150]
	;; [unrolled: 1-line block ×3, first 2 shown]
	s_delay_alu instid0(VALU_DEP_2) | instskip(NEXT) | instid1(VALU_DEP_2)
	v_add_f64 v[147:148], v[242:243], v[147:148]
	v_add_f64 v[160:161], v[149:150], -v[228:229]
	v_mul_f64 v[228:229], v[164:165], s[20:21]
	s_delay_alu instid0(VALU_DEP_3) | instskip(NEXT) | instid1(VALU_DEP_3)
	v_mul_f64 v[147:148], v[162:163], v[147:148]
	v_add_f64 v[160:161], v[230:231], -v[160:161]
	s_delay_alu instid0(VALU_DEP_3) | instskip(NEXT) | instid1(VALU_DEP_2)
	v_fma_f64 v[230:231], v[164:165], s[20:21], -v[228:229]
	v_add_f64 v[147:148], v[160:161], v[147:148]
	s_delay_alu instid0(VALU_DEP_2) | instskip(NEXT) | instid1(VALU_DEP_2)
	v_fma_f64 v[164:165], v[164:165], s[24:25], v[230:231]
	v_add_f64 v[160:161], v[149:150], v[147:148]
	s_delay_alu instid0(VALU_DEP_2) | instskip(NEXT) | instid1(VALU_DEP_2)
	v_add_f64 v[230:231], v[228:229], v[164:165]
	v_add_f64 v[149:150], v[160:161], -v[149:150]
	s_delay_alu instid0(VALU_DEP_2) | instskip(NEXT) | instid1(VALU_DEP_2)
	v_add_f64 v[228:229], v[230:231], -v[228:229]
	v_add_f64 v[147:148], v[147:148], -v[149:150]
	v_mul_f64 v[149:150], v[160:161], v[160:161]
	s_delay_alu instid0(VALU_DEP_3) | instskip(SKIP_1) | instid1(VALU_DEP_4)
	v_add_f64 v[164:165], v[164:165], -v[228:229]
	v_ldexp_f64 v[228:229], v[160:161], 1
	v_ldexp_f64 v[147:148], v[147:148], 1
	s_delay_alu instid0(VALU_DEP_4)
	v_fma_f64 v[162:163], v[149:150], s[30:31], vcc
	s_mov_b32 vcc_lo, 0xd7f4df2e
	s_mov_b32 vcc_hi, 0x3fc7474d
	s_delay_alu instid0(VALU_DEP_1) | instid1(SALU_CYCLE_1)
	v_fma_f64 v[162:163], v[149:150], v[162:163], vcc
	s_mov_b32 vcc_lo, 0x16291751
	s_mov_b32 vcc_hi, 0x3fcc71c0
	s_delay_alu instid0(VALU_DEP_1) | instid1(SALU_CYCLE_1)
	;; [unrolled: 4-line block ×4, first 2 shown]
	v_fma_f64 v[162:163], v[149:150], v[162:163], vcc
	v_cmp_eq_f64_e32 vcc_lo, 0x7ff00000, v[145:146]
	s_delay_alu instid0(VALU_DEP_2) | instskip(SKIP_1) | instid1(VALU_DEP_1)
	v_fma_f64 v[162:163], v[149:150], v[162:163], s[26:27]
	v_mul_f64 v[149:150], v[160:161], v[149:150]
	v_mul_f64 v[149:150], v[149:150], v[162:163]
	s_delay_alu instid0(VALU_DEP_1) | instskip(NEXT) | instid1(VALU_DEP_1)
	v_add_f64 v[160:161], v[228:229], v[149:150]
	v_add_f64 v[162:163], v[160:161], -v[228:229]
	s_delay_alu instid0(VALU_DEP_1) | instskip(NEXT) | instid1(VALU_DEP_1)
	v_add_f64 v[149:150], v[149:150], -v[162:163]
	v_add_f64 v[147:148], v[147:148], v[149:150]
	s_delay_alu instid0(VALU_DEP_1) | instskip(NEXT) | instid1(VALU_DEP_1)
	v_add_f64 v[149:150], v[160:161], v[147:148]
	v_add_f64 v[160:161], v[149:150], -v[160:161]
	s_delay_alu instid0(VALU_DEP_1) | instskip(SKIP_1) | instid1(VALU_DEP_1)
	v_add_f64 v[147:148], v[147:148], -v[160:161]
	v_add_f64 v[160:161], v[230:231], v[149:150]
	v_add_f64 v[162:163], v[160:161], -v[230:231]
	s_delay_alu instid0(VALU_DEP_1) | instskip(SKIP_2) | instid1(VALU_DEP_3)
	v_add_f64 v[228:229], v[160:161], -v[162:163]
	v_add_f64 v[149:150], v[149:150], -v[162:163]
	v_add_f64 v[162:163], v[164:165], v[147:148]
	v_add_f64 v[228:229], v[230:231], -v[228:229]
	s_delay_alu instid0(VALU_DEP_1) | instskip(NEXT) | instid1(VALU_DEP_3)
	v_add_f64 v[149:150], v[149:150], v[228:229]
	v_add_f64 v[228:229], v[162:163], -v[164:165]
	s_delay_alu instid0(VALU_DEP_2) | instskip(NEXT) | instid1(VALU_DEP_2)
	v_add_f64 v[149:150], v[162:163], v[149:150]
	v_add_f64 v[230:231], v[162:163], -v[228:229]
	v_add_f64 v[147:148], v[147:148], -v[228:229]
	s_delay_alu instid0(VALU_DEP_3) | instskip(NEXT) | instid1(VALU_DEP_3)
	v_add_f64 v[162:163], v[160:161], v[149:150]
	v_add_f64 v[164:165], v[164:165], -v[230:231]
	s_delay_alu instid0(VALU_DEP_2) | instskip(NEXT) | instid1(VALU_DEP_2)
	v_add_f64 v[160:161], v[162:163], -v[160:161]
	v_add_f64 v[147:148], v[147:148], v[164:165]
	s_delay_alu instid0(VALU_DEP_2) | instskip(NEXT) | instid1(VALU_DEP_1)
	v_add_f64 v[149:150], v[149:150], -v[160:161]
	v_add_f64 v[147:148], v[147:148], v[149:150]
	s_delay_alu instid0(VALU_DEP_1) | instskip(NEXT) | instid1(VALU_DEP_1)
	v_add_f64 v[147:148], v[162:163], v[147:148]
	v_dual_cndmask_b32 v148, v148, v146 :: v_dual_cndmask_b32 v147, v147, v145
	v_cmp_ngt_f64_e32 vcc_lo, -1.0, v[145:146]
	s_delay_alu instid0(VALU_DEP_2) | instskip(SKIP_1) | instid1(VALU_DEP_4)
	v_cndmask_b32_e32 v148, 0x7ff80000, v148, vcc_lo
	v_cmp_nge_f64_e32 vcc_lo, -1.0, v[145:146]
	v_cndmask_b32_e32 v147, 0, v147, vcc_lo
	v_cmp_neq_f64_e32 vcc_lo, -1.0, v[145:146]
	s_delay_alu instid0(VALU_DEP_4) | instskip(NEXT) | instid1(VALU_DEP_1)
	v_cndmask_b32_e32 v148, 0xfff00000, v148, vcc_lo
	v_add_f64 v[145:146], v[6:7], v[147:148]
.LBB56_155:
	s_or_b32 exec_lo, exec_lo, s29
	s_delay_alu instid0(VALU_DEP_1)
	v_dual_mov_b32 v147, v145 :: v_dual_mov_b32 v148, v146
	v_dual_mov_b32 v6, v145 :: v_dual_mov_b32 v7, v146
.LBB56_156:
	s_or_b32 exec_lo, exec_lo, s28
	v_cmp_gt_u32_e32 vcc_lo, 16, v209
	v_add_nc_u32_e32 v229, 16, v209
	s_mov_b32 s28, exec_lo
	s_waitcnt lgkmcnt(1)
	v_cndmask_b32_e64 v145, 0, 1, vcc_lo
	s_delay_alu instid0(VALU_DEP_1) | instskip(NEXT) | instid1(VALU_DEP_1)
	v_lshlrev_b32_e32 v145, 4, v145
	v_add_lshl_u32 v228, v145, v209, 2
	ds_bpermute_b32 v145, v228, v147
	s_waitcnt lgkmcnt(1)
	ds_bpermute_b32 v146, v228, v148
	v_cmpx_le_u32_e64 v229, v9
	s_cbranch_execz .LBB56_160
; %bb.157:
	s_waitcnt lgkmcnt(0)
	v_max_f64 v[147:148], v[145:146], v[145:146]
	v_max_f64 v[149:150], v[6:7], v[6:7]
	v_cmp_u_f64_e32 vcc_lo, v[145:146], v[145:146]
	v_cmp_u_f64_e64 s19, v[6:7], v[6:7]
	s_delay_alu instid0(VALU_DEP_3) | instskip(SKIP_1) | instid1(VALU_DEP_2)
	v_min_f64 v[160:161], v[147:148], v[149:150]
	v_max_f64 v[147:148], v[147:148], v[149:150]
	v_cndmask_b32_e32 v9, v160, v145, vcc_lo
	s_delay_alu instid0(VALU_DEP_3) | instskip(NEXT) | instid1(VALU_DEP_3)
	v_cndmask_b32_e32 v149, v161, v146, vcc_lo
	v_dual_cndmask_b32 v150, v148, v146 :: v_dual_cndmask_b32 v151, v147, v145
	s_delay_alu instid0(VALU_DEP_3) | instskip(NEXT) | instid1(VALU_DEP_3)
	v_cndmask_b32_e64 v147, v9, v6, s19
	v_cndmask_b32_e64 v148, v149, v7, s19
	s_delay_alu instid0(VALU_DEP_3) | instskip(NEXT) | instid1(VALU_DEP_4)
	v_cndmask_b32_e64 v7, v150, v7, s19
	v_cndmask_b32_e64 v6, v151, v6, s19
	s_delay_alu instid0(VALU_DEP_3) | instskip(NEXT) | instid1(VALU_DEP_2)
	v_cmp_class_f64_e64 s19, v[147:148], 0x1f8
	v_cmp_neq_f64_e32 vcc_lo, v[147:148], v[6:7]
	s_delay_alu instid0(VALU_DEP_2) | instskip(NEXT) | instid1(SALU_CYCLE_1)
	s_or_b32 s19, vcc_lo, s19
	s_and_saveexec_b32 s29, s19
	s_cbranch_execz .LBB56_159
; %bb.158:
	v_add_f64 v[145:146], v[147:148], -v[6:7]
	s_mov_b32 s20, 0x652b82fe
	s_mov_b32 s21, 0x3ff71547
	s_mov_b32 s25, 0xbc7abc9e
	s_mov_b32 s24, 0x3b39803f
	s_mov_b32 s26, 0xfca7ab0c
	s_mov_b32 vcc_lo, 0x6a5dcb37
	s_mov_b32 s27, 0x3e928af3
	s_mov_b32 vcc_hi, 0x3e5ade15
	s_mov_b32 s30, 0xbf559e2b
	s_mov_b32 s31, 0x3fc3ab76
	s_delay_alu instid0(VALU_DEP_1) | instskip(SKIP_3) | instid1(VALU_DEP_2)
	v_mul_f64 v[147:148], v[145:146], s[20:21]
	s_mov_b32 s21, 0xbfe62e42
	s_mov_b32 s20, 0xfefa39ef
	v_cmp_ngt_f64_e64 s19, 0xc090cc00, v[145:146]
	v_rndne_f64_e32 v[147:148], v[147:148]
	s_delay_alu instid0(VALU_DEP_1) | instskip(SKIP_2) | instid1(VALU_DEP_2)
	v_fma_f64 v[149:150], v[147:148], s[20:21], v[145:146]
	v_cvt_i32_f64_e32 v9, v[147:148]
	s_mov_b32 s21, 0x3fe62e42
	v_fma_f64 v[149:150], v[147:148], s[24:25], v[149:150]
	s_mov_b32 s25, 0x3c7abc9e
	s_delay_alu instid0(VALU_DEP_1) | instskip(SKIP_3) | instid1(VALU_DEP_2)
	v_fma_f64 v[160:161], v[149:150], vcc, s[26:27]
	s_mov_b32 s26, 0x623fde64
	s_mov_b32 s27, 0x3ec71dee
	v_cmp_nlt_f64_e32 vcc_lo, 0x40900000, v[145:146]
	v_fma_f64 v[160:161], v[149:150], v[160:161], s[26:27]
	s_mov_b32 s26, 0x7c89e6b0
	s_mov_b32 s27, 0x3efa0199
	s_delay_alu instid0(VALU_DEP_1) | instid1(SALU_CYCLE_1)
	v_fma_f64 v[160:161], v[149:150], v[160:161], s[26:27]
	s_mov_b32 s26, 0x14761f6e
	s_mov_b32 s27, 0x3f2a01a0
	s_delay_alu instid0(VALU_DEP_1) | instid1(SALU_CYCLE_1)
	;; [unrolled: 4-line block ×7, first 2 shown]
	v_fma_f64 v[160:161], v[149:150], v[160:161], s[26:27]
	s_mov_b32 s27, 0x3fe55555
	s_mov_b32 s26, 0x55555555
	s_delay_alu instid0(VALU_DEP_1) | instskip(NEXT) | instid1(VALU_DEP_1)
	v_fma_f64 v[160:161], v[149:150], v[160:161], 1.0
	v_fma_f64 v[149:150], v[149:150], v[160:161], 1.0
	s_delay_alu instid0(VALU_DEP_1) | instskip(NEXT) | instid1(VALU_DEP_1)
	v_ldexp_f64 v[147:148], v[149:150], v9
	v_cndmask_b32_e32 v9, 0x7ff00000, v148, vcc_lo
	s_and_b32 vcc_lo, s19, vcc_lo
	s_delay_alu instid0(VALU_DEP_2) | instskip(NEXT) | instid1(VALU_DEP_2)
	v_cndmask_b32_e32 v145, 0, v147, vcc_lo
	v_cndmask_b32_e64 v146, 0, v9, s19
	s_delay_alu instid0(VALU_DEP_1) | instskip(NEXT) | instid1(VALU_DEP_1)
	v_add_f64 v[147:148], v[145:146], 1.0
	v_add_f64 v[149:150], v[147:148], -1.0
	v_frexp_exp_i32_f64_e32 v9, v[147:148]
	s_delay_alu instid0(VALU_DEP_2) | instskip(SKIP_1) | instid1(VALU_DEP_2)
	v_add_f64 v[160:161], v[149:150], -v[147:148]
	v_add_f64 v[149:150], v[145:146], -v[149:150]
	v_add_f64 v[160:161], v[160:161], 1.0
	s_delay_alu instid0(VALU_DEP_1) | instskip(SKIP_1) | instid1(VALU_DEP_1)
	v_add_f64 v[149:150], v[149:150], v[160:161]
	v_frexp_mant_f64_e32 v[160:161], v[147:148]
	v_cmp_gt_f64_e32 vcc_lo, s[26:27], v[160:161]
	s_mov_b32 s26, 0x55555780
	v_subrev_co_ci_u32_e32 v9, vcc_lo, 0, v9, vcc_lo
	s_mov_b32 vcc_lo, 0x6b47b09a
	s_mov_b32 vcc_hi, 0x3fc38538
	s_delay_alu instid0(VALU_DEP_1) | instskip(NEXT) | instid1(VALU_DEP_1)
	v_sub_nc_u32_e32 v151, 0, v9
	v_ldexp_f64 v[147:148], v[147:148], v151
	v_ldexp_f64 v[149:150], v[149:150], v151
	s_delay_alu instid0(VALU_DEP_2) | instskip(NEXT) | instid1(VALU_DEP_1)
	v_add_f64 v[160:161], v[147:148], -1.0
	v_add_f64 v[162:163], v[160:161], 1.0
	s_delay_alu instid0(VALU_DEP_1) | instskip(NEXT) | instid1(VALU_DEP_1)
	v_add_f64 v[162:163], v[147:148], -v[162:163]
	v_add_f64 v[162:163], v[149:150], v[162:163]
	s_delay_alu instid0(VALU_DEP_1) | instskip(NEXT) | instid1(VALU_DEP_1)
	v_add_f64 v[164:165], v[160:161], v[162:163]
	v_add_f64 v[160:161], v[164:165], -v[160:161]
	s_delay_alu instid0(VALU_DEP_1) | instskip(SKIP_1) | instid1(VALU_DEP_1)
	v_add_f64 v[160:161], v[162:163], -v[160:161]
	v_add_f64 v[162:163], v[147:148], 1.0
	v_add_f64 v[230:231], v[162:163], -1.0
	s_delay_alu instid0(VALU_DEP_1) | instskip(NEXT) | instid1(VALU_DEP_1)
	v_add_f64 v[147:148], v[147:148], -v[230:231]
	v_add_f64 v[147:148], v[149:150], v[147:148]
	s_delay_alu instid0(VALU_DEP_1) | instskip(NEXT) | instid1(VALU_DEP_1)
	v_add_f64 v[149:150], v[162:163], v[147:148]
	v_add_f64 v[162:163], v[149:150], -v[162:163]
	s_delay_alu instid0(VALU_DEP_1) | instskip(SKIP_3) | instid1(VALU_DEP_1)
	v_add_f64 v[147:148], v[147:148], -v[162:163]
	v_rcp_f64_e32 v[162:163], v[149:150]
	s_waitcnt_depctr 0xfff
	v_fma_f64 v[230:231], -v[149:150], v[162:163], 1.0
	v_fma_f64 v[162:163], v[230:231], v[162:163], v[162:163]
	s_delay_alu instid0(VALU_DEP_1) | instskip(NEXT) | instid1(VALU_DEP_1)
	v_fma_f64 v[230:231], -v[149:150], v[162:163], 1.0
	v_fma_f64 v[162:163], v[230:231], v[162:163], v[162:163]
	s_delay_alu instid0(VALU_DEP_1) | instskip(NEXT) | instid1(VALU_DEP_1)
	v_mul_f64 v[230:231], v[164:165], v[162:163]
	v_mul_f64 v[240:241], v[149:150], v[230:231]
	s_delay_alu instid0(VALU_DEP_1) | instskip(NEXT) | instid1(VALU_DEP_1)
	v_fma_f64 v[242:243], v[230:231], v[149:150], -v[240:241]
	v_fma_f64 v[242:243], v[230:231], v[147:148], v[242:243]
	s_delay_alu instid0(VALU_DEP_1) | instskip(NEXT) | instid1(VALU_DEP_1)
	v_add_f64 v[244:245], v[240:241], v[242:243]
	v_add_f64 v[246:247], v[164:165], -v[244:245]
	v_add_f64 v[240:241], v[244:245], -v[240:241]
	s_delay_alu instid0(VALU_DEP_2) | instskip(NEXT) | instid1(VALU_DEP_1)
	v_add_f64 v[164:165], v[164:165], -v[246:247]
	v_add_f64 v[164:165], v[164:165], -v[244:245]
	s_delay_alu instid0(VALU_DEP_1) | instskip(NEXT) | instid1(VALU_DEP_4)
	v_add_f64 v[160:161], v[160:161], v[164:165]
	v_add_f64 v[164:165], v[240:241], -v[242:243]
	s_delay_alu instid0(VALU_DEP_1) | instskip(NEXT) | instid1(VALU_DEP_1)
	v_add_f64 v[160:161], v[164:165], v[160:161]
	v_add_f64 v[164:165], v[246:247], v[160:161]
	s_delay_alu instid0(VALU_DEP_1) | instskip(NEXT) | instid1(VALU_DEP_1)
	v_add_f64 v[240:241], v[246:247], -v[164:165]
	v_add_f64 v[160:161], v[160:161], v[240:241]
	v_mul_f64 v[240:241], v[162:163], v[164:165]
	s_delay_alu instid0(VALU_DEP_1) | instskip(NEXT) | instid1(VALU_DEP_1)
	v_mul_f64 v[242:243], v[149:150], v[240:241]
	v_fma_f64 v[149:150], v[240:241], v[149:150], -v[242:243]
	s_delay_alu instid0(VALU_DEP_1) | instskip(NEXT) | instid1(VALU_DEP_1)
	v_fma_f64 v[147:148], v[240:241], v[147:148], v[149:150]
	v_add_f64 v[149:150], v[242:243], v[147:148]
	s_delay_alu instid0(VALU_DEP_1) | instskip(SKIP_1) | instid1(VALU_DEP_2)
	v_add_f64 v[244:245], v[164:165], -v[149:150]
	v_add_f64 v[242:243], v[149:150], -v[242:243]
	;; [unrolled: 1-line block ×3, first 2 shown]
	s_delay_alu instid0(VALU_DEP_2) | instskip(NEXT) | instid1(VALU_DEP_2)
	v_add_f64 v[147:148], v[242:243], -v[147:148]
	v_add_f64 v[149:150], v[164:165], -v[149:150]
	v_cvt_f64_i32_e32 v[164:165], v9
	s_delay_alu instid0(VALU_DEP_2) | instskip(NEXT) | instid1(VALU_DEP_1)
	v_add_f64 v[149:150], v[160:161], v[149:150]
	v_add_f64 v[147:148], v[147:148], v[149:150]
	;; [unrolled: 1-line block ×3, first 2 shown]
	s_delay_alu instid0(VALU_DEP_2) | instskip(NEXT) | instid1(VALU_DEP_2)
	v_add_f64 v[147:148], v[244:245], v[147:148]
	v_add_f64 v[160:161], v[149:150], -v[230:231]
	v_mul_f64 v[230:231], v[164:165], s[20:21]
	s_delay_alu instid0(VALU_DEP_3) | instskip(NEXT) | instid1(VALU_DEP_3)
	v_mul_f64 v[147:148], v[162:163], v[147:148]
	v_add_f64 v[160:161], v[240:241], -v[160:161]
	s_delay_alu instid0(VALU_DEP_3) | instskip(NEXT) | instid1(VALU_DEP_2)
	v_fma_f64 v[240:241], v[164:165], s[20:21], -v[230:231]
	v_add_f64 v[147:148], v[160:161], v[147:148]
	s_delay_alu instid0(VALU_DEP_2) | instskip(NEXT) | instid1(VALU_DEP_2)
	v_fma_f64 v[164:165], v[164:165], s[24:25], v[240:241]
	v_add_f64 v[160:161], v[149:150], v[147:148]
	s_delay_alu instid0(VALU_DEP_2) | instskip(NEXT) | instid1(VALU_DEP_2)
	v_add_f64 v[240:241], v[230:231], v[164:165]
	v_add_f64 v[149:150], v[160:161], -v[149:150]
	s_delay_alu instid0(VALU_DEP_2) | instskip(NEXT) | instid1(VALU_DEP_2)
	v_add_f64 v[230:231], v[240:241], -v[230:231]
	v_add_f64 v[147:148], v[147:148], -v[149:150]
	v_mul_f64 v[149:150], v[160:161], v[160:161]
	s_delay_alu instid0(VALU_DEP_3) | instskip(SKIP_1) | instid1(VALU_DEP_4)
	v_add_f64 v[164:165], v[164:165], -v[230:231]
	v_ldexp_f64 v[230:231], v[160:161], 1
	v_ldexp_f64 v[147:148], v[147:148], 1
	s_delay_alu instid0(VALU_DEP_4)
	v_fma_f64 v[162:163], v[149:150], s[30:31], vcc
	s_mov_b32 vcc_lo, 0xd7f4df2e
	s_mov_b32 vcc_hi, 0x3fc7474d
	s_delay_alu instid0(VALU_DEP_1) | instid1(SALU_CYCLE_1)
	v_fma_f64 v[162:163], v[149:150], v[162:163], vcc
	s_mov_b32 vcc_lo, 0x16291751
	s_mov_b32 vcc_hi, 0x3fcc71c0
	s_delay_alu instid0(VALU_DEP_1) | instid1(SALU_CYCLE_1)
	;; [unrolled: 4-line block ×4, first 2 shown]
	v_fma_f64 v[162:163], v[149:150], v[162:163], vcc
	v_cmp_eq_f64_e32 vcc_lo, 0x7ff00000, v[145:146]
	s_delay_alu instid0(VALU_DEP_2) | instskip(SKIP_1) | instid1(VALU_DEP_1)
	v_fma_f64 v[162:163], v[149:150], v[162:163], s[26:27]
	v_mul_f64 v[149:150], v[160:161], v[149:150]
	v_mul_f64 v[149:150], v[149:150], v[162:163]
	s_delay_alu instid0(VALU_DEP_1) | instskip(NEXT) | instid1(VALU_DEP_1)
	v_add_f64 v[160:161], v[230:231], v[149:150]
	v_add_f64 v[162:163], v[160:161], -v[230:231]
	s_delay_alu instid0(VALU_DEP_1) | instskip(NEXT) | instid1(VALU_DEP_1)
	v_add_f64 v[149:150], v[149:150], -v[162:163]
	v_add_f64 v[147:148], v[147:148], v[149:150]
	s_delay_alu instid0(VALU_DEP_1) | instskip(NEXT) | instid1(VALU_DEP_1)
	v_add_f64 v[149:150], v[160:161], v[147:148]
	v_add_f64 v[160:161], v[149:150], -v[160:161]
	s_delay_alu instid0(VALU_DEP_1) | instskip(SKIP_1) | instid1(VALU_DEP_1)
	v_add_f64 v[147:148], v[147:148], -v[160:161]
	v_add_f64 v[160:161], v[240:241], v[149:150]
	v_add_f64 v[162:163], v[160:161], -v[240:241]
	s_delay_alu instid0(VALU_DEP_1) | instskip(SKIP_2) | instid1(VALU_DEP_3)
	v_add_f64 v[230:231], v[160:161], -v[162:163]
	v_add_f64 v[149:150], v[149:150], -v[162:163]
	v_add_f64 v[162:163], v[164:165], v[147:148]
	v_add_f64 v[230:231], v[240:241], -v[230:231]
	s_delay_alu instid0(VALU_DEP_1) | instskip(NEXT) | instid1(VALU_DEP_3)
	v_add_f64 v[149:150], v[149:150], v[230:231]
	v_add_f64 v[230:231], v[162:163], -v[164:165]
	s_delay_alu instid0(VALU_DEP_2) | instskip(NEXT) | instid1(VALU_DEP_2)
	v_add_f64 v[149:150], v[162:163], v[149:150]
	v_add_f64 v[240:241], v[162:163], -v[230:231]
	v_add_f64 v[147:148], v[147:148], -v[230:231]
	s_delay_alu instid0(VALU_DEP_3) | instskip(NEXT) | instid1(VALU_DEP_3)
	v_add_f64 v[162:163], v[160:161], v[149:150]
	v_add_f64 v[164:165], v[164:165], -v[240:241]
	s_delay_alu instid0(VALU_DEP_2) | instskip(NEXT) | instid1(VALU_DEP_2)
	v_add_f64 v[160:161], v[162:163], -v[160:161]
	v_add_f64 v[147:148], v[147:148], v[164:165]
	s_delay_alu instid0(VALU_DEP_2) | instskip(NEXT) | instid1(VALU_DEP_1)
	v_add_f64 v[149:150], v[149:150], -v[160:161]
	v_add_f64 v[147:148], v[147:148], v[149:150]
	s_delay_alu instid0(VALU_DEP_1) | instskip(NEXT) | instid1(VALU_DEP_1)
	v_add_f64 v[147:148], v[162:163], v[147:148]
	v_cndmask_b32_e32 v9, v147, v145, vcc_lo
	s_delay_alu instid0(VALU_DEP_2) | instskip(SKIP_1) | instid1(VALU_DEP_2)
	v_cndmask_b32_e32 v147, v148, v146, vcc_lo
	v_cmp_ngt_f64_e32 vcc_lo, -1.0, v[145:146]
	v_cndmask_b32_e32 v148, 0x7ff80000, v147, vcc_lo
	v_cmp_nge_f64_e32 vcc_lo, -1.0, v[145:146]
	v_cndmask_b32_e32 v147, 0, v9, vcc_lo
	v_cmp_neq_f64_e32 vcc_lo, -1.0, v[145:146]
	s_delay_alu instid0(VALU_DEP_4) | instskip(NEXT) | instid1(VALU_DEP_1)
	v_cndmask_b32_e32 v148, 0xfff00000, v148, vcc_lo
	v_add_f64 v[145:146], v[6:7], v[147:148]
.LBB56_159:
	s_or_b32 exec_lo, exec_lo, s29
	s_delay_alu instid0(VALU_DEP_1)
	v_dual_mov_b32 v6, v145 :: v_dual_mov_b32 v7, v146
.LBB56_160:
	s_or_b32 exec_lo, exec_lo, s28
	s_waitcnt lgkmcnt(1)
	v_mov_b32_e32 v145, 0
	s_mov_b32 s24, 0x652b82fe
	s_mov_b32 s26, 0xfefa39ef
	;; [unrolled: 1-line block ×20, first 2 shown]
	s_mov_b64 s[20:21], src_shared_base
	s_mov_b32 s25, 0x3ff71547
	s_mov_b32 s27, 0xbfe62e42
	;; [unrolled: 1-line block ×20, first 2 shown]
	s_mov_b64 vcc, src_private_base
	s_mov_b32 s66, 0x55555780
	s_mov_b32 s69, 0x3fe62e42
	;; [unrolled: 1-line block ×3, first 2 shown]
	s_branch .LBB56_162
.LBB56_161:                             ;   in Loop: Header=BB56_162 Depth=1
	s_or_b32 exec_lo, exec_lo, s20
	v_subrev_nc_u32_e32 v144, 32, v144
.LBB56_162:                             ; =>This Loop Header: Depth=1
                                        ;     Child Loop BB56_174 Depth 2
                                        ;       Child Loop BB56_175 Depth 3
	s_waitcnt lgkmcnt(0)
	s_delay_alu instid0(VALU_DEP_2) | instskip(NEXT) | instid1(VALU_DEP_3)
	v_dual_mov_b32 v147, v7 :: v_dual_and_b32 v8, 0xff, v8
	v_mov_b32_e32 v146, v6
	s_delay_alu instid0(VALU_DEP_2) | instskip(SKIP_2) | instid1(VALU_DEP_1)
	v_cmp_ne_u16_e32 vcc_lo, 2, v8
	v_cndmask_b32_e64 v8, 0, 1, vcc_lo
	;;#ASMSTART
	;;#ASMEND
	v_cmp_ne_u32_e32 vcc_lo, 0, v8
	s_cmp_lg_u32 vcc_lo, exec_lo
	s_cbranch_scc1 .LBB56_184
; %bb.163:                              ;   in Loop: Header=BB56_162 Depth=1
	v_lshlrev_b64 v[6:7], 4, v[144:145]
                                        ; implicit-def: $vgpr160_vgpr161
                                        ; implicit-def: $vgpr161_vgpr162
                                        ; implicit-def: $vgpr162_vgpr163
                                        ; implicit-def: $vgpr8
                                        ; implicit-def: $vgpr163_vgpr164
                                        ; implicit-def: $vgpr165_vgpr166
                                        ; implicit-def: $vgpr150_vgpr151
	s_delay_alu instid0(VALU_DEP_1) | instskip(NEXT) | instid1(VALU_DEP_2)
	v_add_co_u32 v148, vcc_lo, v116, v6
	v_add_co_ci_u32_e32 v149, vcc_lo, v117, v7, vcc_lo
	s_delay_alu instid0(VALU_DEP_1) | instskip(SKIP_1) | instid1(SALU_CYCLE_1)
	v_cmp_ne_u32_e32 vcc_lo, s21, v149
	s_and_saveexec_b32 s19, vcc_lo
	s_xor_b32 s20, exec_lo, s19
	s_cbranch_execz .LBB56_169
; %bb.164:                              ;   in Loop: Header=BB56_162 Depth=1
	v_cmp_ne_u32_e64 s19, vcc_hi, v149
                                        ; implicit-def: $vgpr160_vgpr161
                                        ; implicit-def: $vgpr161_vgpr162
                                        ; implicit-def: $vgpr162_vgpr163
                                        ; implicit-def: $vgpr8
                                        ; implicit-def: $vgpr163_vgpr164
                                        ; implicit-def: $vgpr165_vgpr166
                                        ; implicit-def: $vgpr150_vgpr151
	s_delay_alu instid0(VALU_DEP_1) | instskip(NEXT) | instid1(SALU_CYCLE_1)
	s_and_saveexec_b32 s67, s19
	s_xor_b32 s19, exec_lo, s67
	s_cbranch_execz .LBB56_166
; %bb.165:                              ;   in Loop: Header=BB56_162 Depth=1
	;;#ASMSTART
	global_load_dwordx4 v[6:9], v[148:149] off glc	
s_waitcnt vmcnt(0)
	;;#ASMEND
	v_lshlrev_b64 v[160:161], 24, v[8:9]
	v_lshrrev_b64 v[150:151], 8, v[6:7]
	v_lshlrev_b64 v[161:162], 16, v[8:9]
	v_lshlrev_b64 v[230:231], 8, v[8:9]
	v_lshrrev_b32_e32 v151, 8, v7
	v_lshrrev_b32_e32 v240, 16, v7
	;; [unrolled: 1-line block ×3, first 2 shown]
	v_lshrrev_b64 v[165:166], 16, v[6:7]
	v_lshrrev_b64 v[163:164], 24, v[6:7]
	v_or_b32_e32 v162, v151, v160
	v_or_b32_e32 v161, v240, v161
	;; [unrolled: 1-line block ×3, first 2 shown]
.LBB56_166:                             ;   in Loop: Header=BB56_162 Depth=1
	s_and_not1_saveexec_b32 s19, s19
	s_cbranch_execz .LBB56_168
; %bb.167:                              ;   in Loop: Header=BB56_162 Depth=1
	;;#ASMSTART
	flat_load_dwordx4 v[6:9], v[148:149] glc	
s_waitcnt vmcnt(0)
	;;#ASMEND
	v_lshlrev_b64 v[160:161], 24, v[8:9]
	v_lshrrev_b64 v[150:151], 8, v[6:7]
	v_lshlrev_b64 v[161:162], 16, v[8:9]
	v_lshlrev_b64 v[230:231], 8, v[8:9]
	v_lshrrev_b32_e32 v151, 8, v7
	v_lshrrev_b32_e32 v240, 16, v7
	;; [unrolled: 1-line block ×3, first 2 shown]
	v_lshrrev_b64 v[165:166], 16, v[6:7]
	v_lshrrev_b64 v[163:164], 24, v[6:7]
	v_or_b32_e32 v162, v151, v160
	v_or_b32_e32 v161, v240, v161
	;; [unrolled: 1-line block ×3, first 2 shown]
.LBB56_168:                             ;   in Loop: Header=BB56_162 Depth=1
	s_or_b32 exec_lo, exec_lo, s19
.LBB56_169:                             ;   in Loop: Header=BB56_162 Depth=1
	s_and_not1_saveexec_b32 s20, s20
	s_cbranch_execz .LBB56_171
; %bb.170:                              ;   in Loop: Header=BB56_162 Depth=1
	v_cmp_ne_u64_e64 s19, 0, v[148:149]
	s_delay_alu instid0(VALU_DEP_1) | instskip(SKIP_2) | instid1(VALU_DEP_2)
	v_cndmask_b32_e64 v6, -1, v148, s19
	;;#ASMSTART
	ds_read_b128 v[6:9], v6 	
s_waitcnt lgkmcnt(0)
	;;#ASMEND
	v_lshlrev_b64 v[160:161], 24, v[8:9]
	v_lshrrev_b64 v[150:151], 8, v[6:7]
	v_lshlrev_b64 v[161:162], 16, v[8:9]
	v_lshlrev_b64 v[230:231], 8, v[8:9]
	v_lshrrev_b32_e32 v151, 8, v7
	v_lshrrev_b32_e32 v240, 16, v7
	;; [unrolled: 1-line block ×3, first 2 shown]
	v_lshrrev_b64 v[165:166], 16, v[6:7]
	v_lshrrev_b64 v[163:164], 24, v[6:7]
	v_or_b32_e32 v162, v151, v160
	v_or_b32_e32 v161, v240, v161
	;; [unrolled: 1-line block ×3, first 2 shown]
.LBB56_171:                             ;   in Loop: Header=BB56_162 Depth=1
	s_or_b32 exec_lo, exec_lo, s20
	v_lshlrev_b32_e32 v9, 8, v150
	v_lshlrev_b32_e32 v150, 16, v165
	;; [unrolled: 1-line block ×4, first 2 shown]
	v_and_b32_e32 v7, 0xff, v7
	v_perm_b32 v6, v9, v6, 0xc0c0500
	v_and_b32_e32 v9, 0xff0000, v150
	v_lshlrev_b32_e32 v150, 16, v161
	v_and_b32_e32 v161, 0xff00, v162
	s_mov_b32 s67, exec_lo
	s_delay_alu instid0(VALU_DEP_3)
	v_or3_b32 v6, v6, v9, v151
	v_lshlrev_b32_e32 v9, 24, v160
	v_and_b32_e32 v150, 0xff0000, v150
	v_or3_b32 v7, 0, v7, v161
	v_and_b32_e32 v160, 0xff, v8
	v_or3_b32 v6, v6, 0, 0
	s_delay_alu instid0(VALU_DEP_3) | instskip(NEXT) | instid1(VALU_DEP_2)
	v_or3_b32 v151, v7, v150, v9
	v_or3_b32 v150, v6, 0, 0
	s_delay_alu instid0(VALU_DEP_4)
	v_cmpx_eq_u16_e64 0, v160
	s_cbranch_execz .LBB56_186
; %bb.172:                              ;   in Loop: Header=BB56_162 Depth=1
	v_cmp_ne_u64_e64 s20, 0, v[148:149]
	v_cmp_ne_u32_e64 s19, vcc_hi, v149
	s_mov_b32 s70, 1
	s_mov_b32 s68, 0
	s_delay_alu instid0(VALU_DEP_2)
	v_cndmask_b32_e64 v230, -1, v148, s20
	s_branch .LBB56_174
.LBB56_173:                             ;   in Loop: Header=BB56_174 Depth=2
	s_or_b32 exec_lo, exec_lo, s20
	v_and_b32_e32 v9, 0xff, v8
	s_cmp_lt_u32 s70, 32
	s_cselect_b32 s73, -1, 0
	s_delay_alu instid0(SALU_CYCLE_1) | instskip(NEXT) | instid1(VALU_DEP_1)
	s_cmp_lg_u32 s73, 0
	v_cmp_ne_u16_e64 s20, 0, v9
	s_addc_u32 s70, s70, 0
	s_delay_alu instid0(VALU_DEP_1) | instskip(NEXT) | instid1(SALU_CYCLE_1)
	s_or_b32 s68, s20, s68
	s_and_not1_b32 exec_lo, exec_lo, s68
	s_cbranch_execz .LBB56_185
.LBB56_174:                             ;   Parent Loop BB56_162 Depth=1
                                        ; =>  This Loop Header: Depth=2
                                        ;       Child Loop BB56_175 Depth 3
	s_max_u32 s20, s70, 1
.LBB56_175:                             ;   Parent Loop BB56_162 Depth=1
                                        ;     Parent Loop BB56_174 Depth=2
                                        ; =>    This Inner Loop Header: Depth=3
	s_delay_alu instid0(SALU_CYCLE_1)
	s_add_i32 s20, s20, -1
	s_sleep 1
	s_cmp_eq_u32 s20, 0
	s_cbranch_scc0 .LBB56_175
; %bb.176:                              ;   in Loop: Header=BB56_174 Depth=2
                                        ; implicit-def: $vgpr160_vgpr161
                                        ; implicit-def: $vgpr164_vgpr165
                                        ; implicit-def: $vgpr8
                                        ; implicit-def: $vgpr150_vgpr151
                                        ; implicit-def: $vgpr161_vgpr162
                                        ; implicit-def: $vgpr165_vgpr166
                                        ; implicit-def: $vgpr162_vgpr163
	s_and_saveexec_b32 s20, vcc_lo
	s_delay_alu instid0(SALU_CYCLE_1)
	s_xor_b32 s20, exec_lo, s20
	s_cbranch_execz .LBB56_182
; %bb.177:                              ;   in Loop: Header=BB56_174 Depth=2
                                        ; implicit-def: $vgpr160_vgpr161
                                        ; implicit-def: $vgpr164_vgpr165
                                        ; implicit-def: $vgpr8
                                        ; implicit-def: $vgpr150_vgpr151
                                        ; implicit-def: $vgpr161_vgpr162
                                        ; implicit-def: $vgpr165_vgpr166
                                        ; implicit-def: $vgpr162_vgpr163
	s_and_saveexec_b32 s73, s19
	s_delay_alu instid0(SALU_CYCLE_1)
	s_xor_b32 s73, exec_lo, s73
	s_cbranch_execz .LBB56_179
; %bb.178:                              ;   in Loop: Header=BB56_174 Depth=2
	;;#ASMSTART
	global_load_dwordx4 v[6:9], v[148:149] off glc	
s_waitcnt vmcnt(0)
	;;#ASMEND
	v_lshlrev_b64 v[160:161], 24, v[8:9]
	v_lshrrev_b64 v[150:151], 8, v[6:7]
	v_lshlrev_b64 v[161:162], 16, v[8:9]
	v_lshlrev_b64 v[240:241], 8, v[8:9]
	v_lshrrev_b32_e32 v151, 8, v7
	v_lshrrev_b32_e32 v231, 16, v7
	;; [unrolled: 1-line block ×3, first 2 shown]
	v_lshrrev_b64 v[165:166], 16, v[6:7]
	v_lshrrev_b64 v[162:163], 24, v[6:7]
	v_or_b32_e32 v164, v151, v160
	v_or_b32_e32 v161, v231, v161
	;; [unrolled: 1-line block ×3, first 2 shown]
.LBB56_179:                             ;   in Loop: Header=BB56_174 Depth=2
	s_and_not1_saveexec_b32 s73, s73
	s_cbranch_execz .LBB56_181
; %bb.180:                              ;   in Loop: Header=BB56_174 Depth=2
	;;#ASMSTART
	flat_load_dwordx4 v[6:9], v[148:149] glc	
s_waitcnt vmcnt(0)
	;;#ASMEND
	v_lshlrev_b64 v[160:161], 24, v[8:9]
	v_lshrrev_b64 v[150:151], 8, v[6:7]
	v_lshlrev_b64 v[161:162], 16, v[8:9]
	v_lshlrev_b64 v[240:241], 8, v[8:9]
	v_lshrrev_b32_e32 v151, 8, v7
	v_lshrrev_b32_e32 v231, 16, v7
	;; [unrolled: 1-line block ×3, first 2 shown]
	v_lshrrev_b64 v[165:166], 16, v[6:7]
	v_lshrrev_b64 v[162:163], 24, v[6:7]
	v_or_b32_e32 v164, v151, v160
	v_or_b32_e32 v161, v231, v161
	;; [unrolled: 1-line block ×3, first 2 shown]
.LBB56_181:                             ;   in Loop: Header=BB56_174 Depth=2
	s_or_b32 exec_lo, exec_lo, s73
.LBB56_182:                             ;   in Loop: Header=BB56_174 Depth=2
	s_and_not1_saveexec_b32 s20, s20
	s_cbranch_execz .LBB56_173
; %bb.183:                              ;   in Loop: Header=BB56_174 Depth=2
	;;#ASMSTART
	ds_read_b128 v[6:9], v230 	
s_waitcnt lgkmcnt(0)
	;;#ASMEND
	v_lshlrev_b64 v[160:161], 24, v[8:9]
	v_lshrrev_b64 v[150:151], 8, v[6:7]
	v_lshlrev_b64 v[161:162], 16, v[8:9]
	v_lshlrev_b64 v[240:241], 8, v[8:9]
	v_lshrrev_b32_e32 v151, 8, v7
	v_lshrrev_b32_e32 v231, 16, v7
	v_lshrrev_b32_e32 v9, 24, v7
	v_lshrrev_b64 v[165:166], 16, v[6:7]
	v_lshrrev_b64 v[162:163], 24, v[6:7]
	v_or_b32_e32 v164, v151, v160
	v_or_b32_e32 v161, v231, v161
	;; [unrolled: 1-line block ×3, first 2 shown]
	s_branch .LBB56_173
.LBB56_184:                             ;   in Loop: Header=BB56_162 Depth=1
                                        ; implicit-def: $vgpr6_vgpr7
                                        ; implicit-def: $vgpr8
	s_cbranch_execz .LBB56_162
	s_branch .LBB56_208
.LBB56_185:                             ;   in Loop: Header=BB56_162 Depth=1
	s_or_b32 exec_lo, exec_lo, s68
	v_lshlrev_b32_e32 v9, 8, v150
	v_lshlrev_b32_e32 v148, 16, v165
	;; [unrolled: 1-line block ×3, first 2 shown]
	v_and_b32_e32 v7, 0xff, v7
	v_lshlrev_b32_e32 v150, 16, v161
	v_perm_b32 v6, v9, v6, 0xc0c0500
	v_and_b32_e32 v9, 0xff0000, v148
	v_lshlrev_b32_e32 v148, 24, v162
	v_and_b32_e32 v149, 0xff00, v149
	s_delay_alu instid0(VALU_DEP_2) | instskip(NEXT) | instid1(VALU_DEP_2)
	v_or3_b32 v6, v6, v9, v148
	v_or3_b32 v7, 0, v7, v149
	v_and_b32_e32 v9, 0xff0000, v150
	v_lshlrev_b32_e32 v148, 24, v160
	s_delay_alu instid0(VALU_DEP_4) | instskip(NEXT) | instid1(VALU_DEP_2)
	v_or3_b32 v6, v6, 0, 0
	v_or3_b32 v151, v7, v9, v148
	s_delay_alu instid0(VALU_DEP_2)
	v_or3_b32 v150, v6, 0, 0
.LBB56_186:                             ;   in Loop: Header=BB56_162 Depth=1
	s_or_b32 exec_lo, exec_lo, s67
	v_and_b32_e32 v6, 0xff, v8
	ds_bpermute_b32 v148, v212, v150
	ds_bpermute_b32 v149, v212, v151
	s_mov_b32 s20, exec_lo
	v_cmp_eq_u16_e32 vcc_lo, 2, v6
	v_and_or_b32 v6, vcc_lo, v213, 0x80000000
	s_delay_alu instid0(VALU_DEP_1) | instskip(SKIP_1) | instid1(VALU_DEP_2)
	v_ctz_i32_b32_e32 v9, v6
	v_dual_mov_b32 v6, v150 :: v_dual_mov_b32 v7, v151
	v_cmpx_lt_u32_e64 v209, v9
	s_cbranch_execz .LBB56_190
; %bb.187:                              ;   in Loop: Header=BB56_162 Depth=1
	s_waitcnt lgkmcnt(0)
	v_max_f64 v[6:7], v[148:149], v[148:149]
	v_max_f64 v[160:161], v[150:151], v[150:151]
	v_cmp_u_f64_e32 vcc_lo, v[148:149], v[148:149]
	v_cmp_u_f64_e64 s19, v[150:151], v[150:151]
	s_delay_alu instid0(VALU_DEP_3) | instskip(SKIP_1) | instid1(VALU_DEP_2)
	v_min_f64 v[162:163], v[6:7], v[160:161]
	v_max_f64 v[6:7], v[6:7], v[160:161]
	v_dual_cndmask_b32 v160, v162, v148 :: v_dual_cndmask_b32 v161, v163, v149
	s_delay_alu instid0(VALU_DEP_2) | instskip(NEXT) | instid1(VALU_DEP_2)
	v_dual_cndmask_b32 v7, v7, v149 :: v_dual_cndmask_b32 v6, v6, v148
	v_cndmask_b32_e64 v160, v160, v150, s19
	s_delay_alu instid0(VALU_DEP_3) | instskip(NEXT) | instid1(VALU_DEP_3)
	v_cndmask_b32_e64 v161, v161, v151, s19
	v_cndmask_b32_e64 v7, v7, v151, s19
	s_delay_alu instid0(VALU_DEP_4) | instskip(NEXT) | instid1(VALU_DEP_3)
	v_cndmask_b32_e64 v6, v6, v150, s19
	v_cmp_class_f64_e64 s19, v[160:161], 0x1f8
	s_delay_alu instid0(VALU_DEP_2) | instskip(NEXT) | instid1(VALU_DEP_2)
	v_cmp_neq_f64_e32 vcc_lo, v[160:161], v[6:7]
	s_or_b32 s19, vcc_lo, s19
	s_delay_alu instid0(SALU_CYCLE_1)
	s_and_saveexec_b32 s73, s19
	s_cbranch_execz .LBB56_189
; %bb.188:                              ;   in Loop: Header=BB56_162 Depth=1
	v_add_f64 v[148:149], v[160:161], -v[6:7]
	s_mov_b32 s67, s53
	s_mov_b32 s68, s26
	;; [unrolled: 1-line block ×3, first 2 shown]
	s_delay_alu instid0(VALU_DEP_1) | instskip(SKIP_2) | instid1(VALU_DEP_3)
	v_mul_f64 v[150:151], v[148:149], s[24:25]
	v_cmp_nlt_f64_e32 vcc_lo, 0x40900000, v[148:149]
	v_cmp_ngt_f64_e64 s19, 0xc090cc00, v[148:149]
	v_rndne_f64_e32 v[150:151], v[150:151]
	s_delay_alu instid0(VALU_DEP_1) | instskip(SKIP_1) | instid1(VALU_DEP_2)
	v_fma_f64 v[160:161], v[150:151], s[26:27], v[148:149]
	v_cvt_i32_f64_e32 v164, v[150:151]
	v_fma_f64 v[160:161], v[150:151], s[28:29], v[160:161]
	s_delay_alu instid0(VALU_DEP_1) | instskip(NEXT) | instid1(VALU_DEP_1)
	v_fma_f64 v[162:163], v[160:161], s[34:35], s[30:31]
	v_fma_f64 v[162:163], v[160:161], v[162:163], s[36:37]
	s_delay_alu instid0(VALU_DEP_1) | instskip(NEXT) | instid1(VALU_DEP_1)
	v_fma_f64 v[162:163], v[160:161], v[162:163], s[38:39]
	;; [unrolled: 3-line block ×5, first 2 shown]
	v_fma_f64 v[162:163], v[160:161], v[162:163], 1.0
	s_delay_alu instid0(VALU_DEP_1) | instskip(NEXT) | instid1(VALU_DEP_1)
	v_fma_f64 v[150:151], v[160:161], v[162:163], 1.0
	v_ldexp_f64 v[150:151], v[150:151], v164
	s_delay_alu instid0(VALU_DEP_1) | instskip(SKIP_1) | instid1(VALU_DEP_1)
	v_cndmask_b32_e32 v151, 0x7ff00000, v151, vcc_lo
	s_and_b32 vcc_lo, s19, vcc_lo
	v_cndmask_b32_e64 v149, 0, v151, s19
	s_delay_alu instid0(VALU_DEP_3) | instskip(NEXT) | instid1(VALU_DEP_1)
	v_cndmask_b32_e32 v148, 0, v150, vcc_lo
	v_add_f64 v[150:151], v[148:149], 1.0
	s_delay_alu instid0(VALU_DEP_1) | instskip(SKIP_2) | instid1(VALU_DEP_3)
	v_frexp_mant_f64_e32 v[160:161], v[150:151]
	v_frexp_exp_i32_f64_e32 v164, v[150:151]
	v_add_f64 v[162:163], v[150:151], -1.0
	v_cmp_gt_f64_e32 vcc_lo, s[52:53], v[160:161]
	s_delay_alu instid0(VALU_DEP_2) | instskip(SKIP_2) | instid1(VALU_DEP_3)
	v_add_f64 v[160:161], v[162:163], -v[150:151]
	v_add_f64 v[162:163], v[148:149], -v[162:163]
	v_subrev_co_ci_u32_e32 v166, vcc_lo, 0, v164, vcc_lo
	v_add_f64 v[160:161], v[160:161], 1.0
	v_cmp_eq_f64_e32 vcc_lo, 0x7ff00000, v[148:149]
	s_delay_alu instid0(VALU_DEP_3) | instskip(NEXT) | instid1(VALU_DEP_1)
	v_sub_nc_u32_e32 v230, 0, v166
	v_ldexp_f64 v[150:151], v[150:151], v230
	s_delay_alu instid0(VALU_DEP_4) | instskip(NEXT) | instid1(VALU_DEP_2)
	v_add_f64 v[160:161], v[162:163], v[160:161]
	v_add_f64 v[164:165], v[150:151], 1.0
	v_add_f64 v[242:243], v[150:151], -1.0
	s_delay_alu instid0(VALU_DEP_3) | instskip(NEXT) | instid1(VALU_DEP_3)
	v_ldexp_f64 v[160:161], v[160:161], v230
	v_add_f64 v[162:163], v[164:165], -1.0
	s_delay_alu instid0(VALU_DEP_3) | instskip(NEXT) | instid1(VALU_DEP_2)
	v_add_f64 v[244:245], v[242:243], 1.0
	v_add_f64 v[162:163], v[150:151], -v[162:163]
	s_delay_alu instid0(VALU_DEP_2) | instskip(NEXT) | instid1(VALU_DEP_2)
	v_add_f64 v[150:151], v[150:151], -v[244:245]
	v_add_f64 v[162:163], v[160:161], v[162:163]
	s_delay_alu instid0(VALU_DEP_2) | instskip(NEXT) | instid1(VALU_DEP_2)
	v_add_f64 v[150:151], v[160:161], v[150:151]
	v_add_f64 v[230:231], v[164:165], v[162:163]
	s_delay_alu instid0(VALU_DEP_2) | instskip(NEXT) | instid1(VALU_DEP_2)
	v_add_f64 v[244:245], v[242:243], v[150:151]
	v_rcp_f64_e32 v[240:241], v[230:231]
	v_add_f64 v[164:165], v[230:231], -v[164:165]
	s_delay_alu instid0(VALU_DEP_2) | instskip(NEXT) | instid1(VALU_DEP_2)
	v_add_f64 v[242:243], v[244:245], -v[242:243]
	v_add_f64 v[162:163], v[162:163], -v[164:165]
	s_waitcnt_depctr 0xfff
	v_fma_f64 v[246:247], -v[230:231], v[240:241], 1.0
	v_add_f64 v[150:151], v[150:151], -v[242:243]
	s_delay_alu instid0(VALU_DEP_2) | instskip(NEXT) | instid1(VALU_DEP_1)
	v_fma_f64 v[240:241], v[246:247], v[240:241], v[240:241]
	v_fma_f64 v[160:161], -v[230:231], v[240:241], 1.0
	s_delay_alu instid0(VALU_DEP_1) | instskip(NEXT) | instid1(VALU_DEP_1)
	v_fma_f64 v[160:161], v[160:161], v[240:241], v[240:241]
	v_mul_f64 v[240:241], v[244:245], v[160:161]
	s_delay_alu instid0(VALU_DEP_1) | instskip(NEXT) | instid1(VALU_DEP_1)
	v_mul_f64 v[246:247], v[230:231], v[240:241]
	v_fma_f64 v[164:165], v[240:241], v[230:231], -v[246:247]
	s_delay_alu instid0(VALU_DEP_1) | instskip(NEXT) | instid1(VALU_DEP_1)
	v_fma_f64 v[164:165], v[240:241], v[162:163], v[164:165]
	v_add_f64 v[40:41], v[246:247], v[164:165]
	s_delay_alu instid0(VALU_DEP_1) | instskip(SKIP_1) | instid1(VALU_DEP_2)
	v_add_f64 v[42:43], v[244:245], -v[40:41]
	v_add_f64 v[242:243], v[40:41], -v[246:247]
	;; [unrolled: 1-line block ×3, first 2 shown]
	s_delay_alu instid0(VALU_DEP_2) | instskip(NEXT) | instid1(VALU_DEP_2)
	v_add_f64 v[164:165], v[242:243], -v[164:165]
	v_add_f64 v[244:245], v[244:245], -v[40:41]
	s_delay_alu instid0(VALU_DEP_1) | instskip(NEXT) | instid1(VALU_DEP_1)
	v_add_f64 v[150:151], v[150:151], v[244:245]
	v_add_f64 v[150:151], v[164:165], v[150:151]
	s_delay_alu instid0(VALU_DEP_1) | instskip(NEXT) | instid1(VALU_DEP_1)
	v_add_f64 v[164:165], v[42:43], v[150:151]
	v_mul_f64 v[242:243], v[160:161], v[164:165]
	v_add_f64 v[40:41], v[42:43], -v[164:165]
	s_delay_alu instid0(VALU_DEP_2) | instskip(NEXT) | instid1(VALU_DEP_2)
	v_mul_f64 v[244:245], v[230:231], v[242:243]
	v_add_f64 v[150:151], v[150:151], v[40:41]
	s_delay_alu instid0(VALU_DEP_2) | instskip(NEXT) | instid1(VALU_DEP_1)
	v_fma_f64 v[230:231], v[242:243], v[230:231], -v[244:245]
	v_fma_f64 v[162:163], v[242:243], v[162:163], v[230:231]
	s_delay_alu instid0(VALU_DEP_1) | instskip(NEXT) | instid1(VALU_DEP_1)
	v_add_f64 v[230:231], v[244:245], v[162:163]
	v_add_f64 v[246:247], v[164:165], -v[230:231]
	v_add_f64 v[244:245], v[230:231], -v[244:245]
	s_delay_alu instid0(VALU_DEP_2) | instskip(NEXT) | instid1(VALU_DEP_2)
	v_add_f64 v[164:165], v[164:165], -v[246:247]
	v_add_f64 v[162:163], v[244:245], -v[162:163]
	s_delay_alu instid0(VALU_DEP_2) | instskip(NEXT) | instid1(VALU_DEP_1)
	v_add_f64 v[164:165], v[164:165], -v[230:231]
	v_add_f64 v[150:151], v[150:151], v[164:165]
	v_add_f64 v[164:165], v[240:241], v[242:243]
	s_delay_alu instid0(VALU_DEP_2) | instskip(NEXT) | instid1(VALU_DEP_2)
	v_add_f64 v[150:151], v[162:163], v[150:151]
	v_add_f64 v[162:163], v[164:165], -v[240:241]
	s_delay_alu instid0(VALU_DEP_2) | instskip(NEXT) | instid1(VALU_DEP_2)
	v_add_f64 v[150:151], v[246:247], v[150:151]
	v_add_f64 v[162:163], v[242:243], -v[162:163]
	s_delay_alu instid0(VALU_DEP_2) | instskip(NEXT) | instid1(VALU_DEP_1)
	v_mul_f64 v[150:151], v[160:161], v[150:151]
	v_add_f64 v[150:151], v[162:163], v[150:151]
	s_delay_alu instid0(VALU_DEP_1) | instskip(NEXT) | instid1(VALU_DEP_1)
	v_add_f64 v[160:161], v[164:165], v[150:151]
	v_mul_f64 v[162:163], v[160:161], v[160:161]
	s_delay_alu instid0(VALU_DEP_1) | instskip(SKIP_1) | instid1(VALU_DEP_2)
	v_fma_f64 v[230:231], v[162:163], s[56:57], s[54:55]
	v_mul_f64 v[240:241], v[160:161], v[162:163]
	v_fma_f64 v[230:231], v[162:163], v[230:231], s[58:59]
	s_delay_alu instid0(VALU_DEP_1) | instskip(NEXT) | instid1(VALU_DEP_1)
	v_fma_f64 v[230:231], v[162:163], v[230:231], s[60:61]
	v_fma_f64 v[230:231], v[162:163], v[230:231], s[62:63]
	s_delay_alu instid0(VALU_DEP_1) | instskip(NEXT) | instid1(VALU_DEP_1)
	v_fma_f64 v[230:231], v[162:163], v[230:231], s[64:65]
	v_fma_f64 v[162:163], v[162:163], v[230:231], s[66:67]
	v_ldexp_f64 v[230:231], v[160:161], 1
	v_add_f64 v[160:161], v[160:161], -v[164:165]
	s_delay_alu instid0(VALU_DEP_3) | instskip(SKIP_1) | instid1(VALU_DEP_3)
	v_mul_f64 v[162:163], v[240:241], v[162:163]
	v_cvt_f64_i32_e32 v[240:241], v166
	v_add_f64 v[150:151], v[150:151], -v[160:161]
	s_delay_alu instid0(VALU_DEP_3) | instskip(NEXT) | instid1(VALU_DEP_3)
	v_add_f64 v[164:165], v[230:231], v[162:163]
	v_mul_f64 v[242:243], v[240:241], s[68:69]
	s_delay_alu instid0(VALU_DEP_3) | instskip(NEXT) | instid1(VALU_DEP_3)
	v_ldexp_f64 v[150:151], v[150:151], 1
	v_add_f64 v[160:161], v[164:165], -v[230:231]
	s_delay_alu instid0(VALU_DEP_3) | instskip(NEXT) | instid1(VALU_DEP_2)
	v_fma_f64 v[230:231], v[240:241], s[68:69], -v[242:243]
	v_add_f64 v[160:161], v[162:163], -v[160:161]
	s_delay_alu instid0(VALU_DEP_2) | instskip(NEXT) | instid1(VALU_DEP_2)
	v_fma_f64 v[162:163], v[240:241], s[70:71], v[230:231]
	v_add_f64 v[150:151], v[150:151], v[160:161]
	s_delay_alu instid0(VALU_DEP_2) | instskip(NEXT) | instid1(VALU_DEP_2)
	v_add_f64 v[160:161], v[242:243], v[162:163]
	v_add_f64 v[230:231], v[164:165], v[150:151]
	s_delay_alu instid0(VALU_DEP_2) | instskip(NEXT) | instid1(VALU_DEP_2)
	v_add_f64 v[242:243], v[160:161], -v[242:243]
	v_add_f64 v[240:241], v[160:161], v[230:231]
	v_add_f64 v[164:165], v[230:231], -v[164:165]
	s_delay_alu instid0(VALU_DEP_3) | instskip(NEXT) | instid1(VALU_DEP_3)
	v_add_f64 v[162:163], v[162:163], -v[242:243]
	v_add_f64 v[244:245], v[240:241], -v[160:161]
	s_delay_alu instid0(VALU_DEP_3) | instskip(NEXT) | instid1(VALU_DEP_2)
	v_add_f64 v[150:151], v[150:151], -v[164:165]
	v_add_f64 v[246:247], v[240:241], -v[244:245]
	;; [unrolled: 1-line block ×3, first 2 shown]
	s_delay_alu instid0(VALU_DEP_3) | instskip(NEXT) | instid1(VALU_DEP_3)
	v_add_f64 v[230:231], v[162:163], v[150:151]
	v_add_f64 v[160:161], v[160:161], -v[246:247]
	s_delay_alu instid0(VALU_DEP_1) | instskip(NEXT) | instid1(VALU_DEP_3)
	v_add_f64 v[160:161], v[164:165], v[160:161]
	v_add_f64 v[164:165], v[230:231], -v[162:163]
	s_delay_alu instid0(VALU_DEP_2) | instskip(NEXT) | instid1(VALU_DEP_2)
	v_add_f64 v[160:161], v[230:231], v[160:161]
	v_add_f64 v[230:231], v[230:231], -v[164:165]
	v_add_f64 v[150:151], v[150:151], -v[164:165]
	s_delay_alu instid0(VALU_DEP_3) | instskip(NEXT) | instid1(VALU_DEP_3)
	v_add_f64 v[242:243], v[240:241], v[160:161]
	v_add_f64 v[162:163], v[162:163], -v[230:231]
	s_delay_alu instid0(VALU_DEP_2) | instskip(NEXT) | instid1(VALU_DEP_2)
	v_add_f64 v[164:165], v[242:243], -v[240:241]
	v_add_f64 v[150:151], v[150:151], v[162:163]
	s_delay_alu instid0(VALU_DEP_2) | instskip(NEXT) | instid1(VALU_DEP_1)
	v_add_f64 v[160:161], v[160:161], -v[164:165]
	v_add_f64 v[150:151], v[150:151], v[160:161]
	s_delay_alu instid0(VALU_DEP_1) | instskip(NEXT) | instid1(VALU_DEP_1)
	v_add_f64 v[150:151], v[242:243], v[150:151]
	v_dual_cndmask_b32 v151, v151, v149 :: v_dual_cndmask_b32 v150, v150, v148
	v_cmp_ngt_f64_e32 vcc_lo, -1.0, v[148:149]
	s_delay_alu instid0(VALU_DEP_2) | instskip(SKIP_1) | instid1(VALU_DEP_4)
	v_cndmask_b32_e32 v151, 0x7ff80000, v151, vcc_lo
	v_cmp_nge_f64_e32 vcc_lo, -1.0, v[148:149]
	v_cndmask_b32_e32 v150, 0, v150, vcc_lo
	v_cmp_neq_f64_e32 vcc_lo, -1.0, v[148:149]
	s_delay_alu instid0(VALU_DEP_4) | instskip(NEXT) | instid1(VALU_DEP_1)
	v_cndmask_b32_e32 v151, 0xfff00000, v151, vcc_lo
	v_add_f64 v[148:149], v[6:7], v[150:151]
.LBB56_189:                             ;   in Loop: Header=BB56_162 Depth=1
	s_or_b32 exec_lo, exec_lo, s73
	s_delay_alu instid0(VALU_DEP_1)
	v_dual_mov_b32 v150, v148 :: v_dual_mov_b32 v151, v149
	v_dual_mov_b32 v6, v148 :: v_dual_mov_b32 v7, v149
.LBB56_190:                             ;   in Loop: Header=BB56_162 Depth=1
	s_or_b32 exec_lo, exec_lo, s20
	s_waitcnt lgkmcnt(1)
	ds_bpermute_b32 v148, v214, v150
	s_waitcnt lgkmcnt(1)
	ds_bpermute_b32 v149, v214, v151
	s_mov_b32 s20, exec_lo
	v_cmpx_le_u32_e64 v215, v9
	s_cbranch_execz .LBB56_194
; %bb.191:                              ;   in Loop: Header=BB56_162 Depth=1
	s_waitcnt lgkmcnt(0)
	v_max_f64 v[150:151], v[148:149], v[148:149]
	v_max_f64 v[160:161], v[6:7], v[6:7]
	v_cmp_u_f64_e32 vcc_lo, v[148:149], v[148:149]
	v_cmp_u_f64_e64 s19, v[6:7], v[6:7]
	s_delay_alu instid0(VALU_DEP_3) | instskip(SKIP_1) | instid1(VALU_DEP_2)
	v_min_f64 v[162:163], v[150:151], v[160:161]
	v_max_f64 v[150:151], v[150:151], v[160:161]
	v_dual_cndmask_b32 v160, v162, v148 :: v_dual_cndmask_b32 v161, v163, v149
	s_delay_alu instid0(VALU_DEP_2) | instskip(NEXT) | instid1(VALU_DEP_2)
	v_dual_cndmask_b32 v162, v151, v149 :: v_dual_cndmask_b32 v163, v150, v148
	v_cndmask_b32_e64 v150, v160, v6, s19
	s_delay_alu instid0(VALU_DEP_3) | instskip(NEXT) | instid1(VALU_DEP_3)
	v_cndmask_b32_e64 v151, v161, v7, s19
	v_cndmask_b32_e64 v7, v162, v7, s19
	s_delay_alu instid0(VALU_DEP_4) | instskip(NEXT) | instid1(VALU_DEP_3)
	v_cndmask_b32_e64 v6, v163, v6, s19
	v_cmp_class_f64_e64 s19, v[150:151], 0x1f8
	s_delay_alu instid0(VALU_DEP_2) | instskip(NEXT) | instid1(VALU_DEP_2)
	v_cmp_neq_f64_e32 vcc_lo, v[150:151], v[6:7]
	s_or_b32 s19, vcc_lo, s19
	s_delay_alu instid0(SALU_CYCLE_1)
	s_and_saveexec_b32 s73, s19
	s_cbranch_execz .LBB56_193
; %bb.192:                              ;   in Loop: Header=BB56_162 Depth=1
	v_add_f64 v[148:149], v[150:151], -v[6:7]
	s_mov_b32 s67, s53
	s_mov_b32 s68, s26
	;; [unrolled: 1-line block ×3, first 2 shown]
	s_delay_alu instid0(VALU_DEP_1) | instskip(SKIP_2) | instid1(VALU_DEP_3)
	v_mul_f64 v[150:151], v[148:149], s[24:25]
	v_cmp_nlt_f64_e32 vcc_lo, 0x40900000, v[148:149]
	v_cmp_ngt_f64_e64 s19, 0xc090cc00, v[148:149]
	v_rndne_f64_e32 v[150:151], v[150:151]
	s_delay_alu instid0(VALU_DEP_1) | instskip(SKIP_1) | instid1(VALU_DEP_2)
	v_fma_f64 v[160:161], v[150:151], s[26:27], v[148:149]
	v_cvt_i32_f64_e32 v164, v[150:151]
	v_fma_f64 v[160:161], v[150:151], s[28:29], v[160:161]
	s_delay_alu instid0(VALU_DEP_1) | instskip(NEXT) | instid1(VALU_DEP_1)
	v_fma_f64 v[162:163], v[160:161], s[34:35], s[30:31]
	v_fma_f64 v[162:163], v[160:161], v[162:163], s[36:37]
	s_delay_alu instid0(VALU_DEP_1) | instskip(NEXT) | instid1(VALU_DEP_1)
	v_fma_f64 v[162:163], v[160:161], v[162:163], s[38:39]
	;; [unrolled: 3-line block ×5, first 2 shown]
	v_fma_f64 v[162:163], v[160:161], v[162:163], 1.0
	s_delay_alu instid0(VALU_DEP_1) | instskip(NEXT) | instid1(VALU_DEP_1)
	v_fma_f64 v[150:151], v[160:161], v[162:163], 1.0
	v_ldexp_f64 v[150:151], v[150:151], v164
	s_delay_alu instid0(VALU_DEP_1) | instskip(SKIP_1) | instid1(VALU_DEP_1)
	v_cndmask_b32_e32 v151, 0x7ff00000, v151, vcc_lo
	s_and_b32 vcc_lo, s19, vcc_lo
	v_cndmask_b32_e64 v149, 0, v151, s19
	s_delay_alu instid0(VALU_DEP_3) | instskip(NEXT) | instid1(VALU_DEP_1)
	v_cndmask_b32_e32 v148, 0, v150, vcc_lo
	v_add_f64 v[150:151], v[148:149], 1.0
	s_delay_alu instid0(VALU_DEP_1) | instskip(SKIP_2) | instid1(VALU_DEP_3)
	v_frexp_mant_f64_e32 v[160:161], v[150:151]
	v_frexp_exp_i32_f64_e32 v164, v[150:151]
	v_add_f64 v[162:163], v[150:151], -1.0
	v_cmp_gt_f64_e32 vcc_lo, s[52:53], v[160:161]
	s_delay_alu instid0(VALU_DEP_2) | instskip(SKIP_2) | instid1(VALU_DEP_3)
	v_add_f64 v[160:161], v[162:163], -v[150:151]
	v_add_f64 v[162:163], v[148:149], -v[162:163]
	v_subrev_co_ci_u32_e32 v166, vcc_lo, 0, v164, vcc_lo
	v_add_f64 v[160:161], v[160:161], 1.0
	v_cmp_eq_f64_e32 vcc_lo, 0x7ff00000, v[148:149]
	s_delay_alu instid0(VALU_DEP_3) | instskip(NEXT) | instid1(VALU_DEP_1)
	v_sub_nc_u32_e32 v230, 0, v166
	v_ldexp_f64 v[150:151], v[150:151], v230
	s_delay_alu instid0(VALU_DEP_4) | instskip(NEXT) | instid1(VALU_DEP_2)
	v_add_f64 v[160:161], v[162:163], v[160:161]
	v_add_f64 v[164:165], v[150:151], 1.0
	v_add_f64 v[242:243], v[150:151], -1.0
	s_delay_alu instid0(VALU_DEP_3) | instskip(NEXT) | instid1(VALU_DEP_3)
	v_ldexp_f64 v[160:161], v[160:161], v230
	v_add_f64 v[162:163], v[164:165], -1.0
	s_delay_alu instid0(VALU_DEP_3) | instskip(NEXT) | instid1(VALU_DEP_2)
	v_add_f64 v[244:245], v[242:243], 1.0
	v_add_f64 v[162:163], v[150:151], -v[162:163]
	s_delay_alu instid0(VALU_DEP_2) | instskip(NEXT) | instid1(VALU_DEP_2)
	v_add_f64 v[150:151], v[150:151], -v[244:245]
	v_add_f64 v[162:163], v[160:161], v[162:163]
	s_delay_alu instid0(VALU_DEP_2) | instskip(NEXT) | instid1(VALU_DEP_2)
	v_add_f64 v[150:151], v[160:161], v[150:151]
	v_add_f64 v[230:231], v[164:165], v[162:163]
	s_delay_alu instid0(VALU_DEP_2) | instskip(NEXT) | instid1(VALU_DEP_2)
	v_add_f64 v[244:245], v[242:243], v[150:151]
	v_rcp_f64_e32 v[240:241], v[230:231]
	v_add_f64 v[164:165], v[230:231], -v[164:165]
	s_delay_alu instid0(VALU_DEP_2) | instskip(NEXT) | instid1(VALU_DEP_2)
	v_add_f64 v[242:243], v[244:245], -v[242:243]
	v_add_f64 v[162:163], v[162:163], -v[164:165]
	s_waitcnt_depctr 0xfff
	v_fma_f64 v[246:247], -v[230:231], v[240:241], 1.0
	v_add_f64 v[150:151], v[150:151], -v[242:243]
	s_delay_alu instid0(VALU_DEP_2) | instskip(NEXT) | instid1(VALU_DEP_1)
	v_fma_f64 v[240:241], v[246:247], v[240:241], v[240:241]
	v_fma_f64 v[160:161], -v[230:231], v[240:241], 1.0
	s_delay_alu instid0(VALU_DEP_1) | instskip(NEXT) | instid1(VALU_DEP_1)
	v_fma_f64 v[160:161], v[160:161], v[240:241], v[240:241]
	v_mul_f64 v[240:241], v[244:245], v[160:161]
	s_delay_alu instid0(VALU_DEP_1) | instskip(NEXT) | instid1(VALU_DEP_1)
	v_mul_f64 v[246:247], v[230:231], v[240:241]
	v_fma_f64 v[164:165], v[240:241], v[230:231], -v[246:247]
	s_delay_alu instid0(VALU_DEP_1) | instskip(NEXT) | instid1(VALU_DEP_1)
	v_fma_f64 v[164:165], v[240:241], v[162:163], v[164:165]
	v_add_f64 v[40:41], v[246:247], v[164:165]
	s_delay_alu instid0(VALU_DEP_1) | instskip(SKIP_1) | instid1(VALU_DEP_2)
	v_add_f64 v[42:43], v[244:245], -v[40:41]
	v_add_f64 v[242:243], v[40:41], -v[246:247]
	;; [unrolled: 1-line block ×3, first 2 shown]
	s_delay_alu instid0(VALU_DEP_2) | instskip(NEXT) | instid1(VALU_DEP_2)
	v_add_f64 v[164:165], v[242:243], -v[164:165]
	v_add_f64 v[244:245], v[244:245], -v[40:41]
	s_delay_alu instid0(VALU_DEP_1) | instskip(NEXT) | instid1(VALU_DEP_1)
	v_add_f64 v[150:151], v[150:151], v[244:245]
	v_add_f64 v[150:151], v[164:165], v[150:151]
	s_delay_alu instid0(VALU_DEP_1) | instskip(NEXT) | instid1(VALU_DEP_1)
	v_add_f64 v[164:165], v[42:43], v[150:151]
	v_mul_f64 v[242:243], v[160:161], v[164:165]
	v_add_f64 v[40:41], v[42:43], -v[164:165]
	s_delay_alu instid0(VALU_DEP_2) | instskip(NEXT) | instid1(VALU_DEP_2)
	v_mul_f64 v[244:245], v[230:231], v[242:243]
	v_add_f64 v[150:151], v[150:151], v[40:41]
	s_delay_alu instid0(VALU_DEP_2) | instskip(NEXT) | instid1(VALU_DEP_1)
	v_fma_f64 v[230:231], v[242:243], v[230:231], -v[244:245]
	v_fma_f64 v[162:163], v[242:243], v[162:163], v[230:231]
	s_delay_alu instid0(VALU_DEP_1) | instskip(NEXT) | instid1(VALU_DEP_1)
	v_add_f64 v[230:231], v[244:245], v[162:163]
	v_add_f64 v[246:247], v[164:165], -v[230:231]
	v_add_f64 v[244:245], v[230:231], -v[244:245]
	s_delay_alu instid0(VALU_DEP_2) | instskip(NEXT) | instid1(VALU_DEP_2)
	v_add_f64 v[164:165], v[164:165], -v[246:247]
	v_add_f64 v[162:163], v[244:245], -v[162:163]
	s_delay_alu instid0(VALU_DEP_2) | instskip(NEXT) | instid1(VALU_DEP_1)
	v_add_f64 v[164:165], v[164:165], -v[230:231]
	v_add_f64 v[150:151], v[150:151], v[164:165]
	v_add_f64 v[164:165], v[240:241], v[242:243]
	s_delay_alu instid0(VALU_DEP_2) | instskip(NEXT) | instid1(VALU_DEP_2)
	v_add_f64 v[150:151], v[162:163], v[150:151]
	v_add_f64 v[162:163], v[164:165], -v[240:241]
	s_delay_alu instid0(VALU_DEP_2) | instskip(NEXT) | instid1(VALU_DEP_2)
	v_add_f64 v[150:151], v[246:247], v[150:151]
	v_add_f64 v[162:163], v[242:243], -v[162:163]
	s_delay_alu instid0(VALU_DEP_2) | instskip(NEXT) | instid1(VALU_DEP_1)
	v_mul_f64 v[150:151], v[160:161], v[150:151]
	v_add_f64 v[150:151], v[162:163], v[150:151]
	s_delay_alu instid0(VALU_DEP_1) | instskip(NEXT) | instid1(VALU_DEP_1)
	v_add_f64 v[160:161], v[164:165], v[150:151]
	v_mul_f64 v[162:163], v[160:161], v[160:161]
	s_delay_alu instid0(VALU_DEP_1) | instskip(SKIP_1) | instid1(VALU_DEP_2)
	v_fma_f64 v[230:231], v[162:163], s[56:57], s[54:55]
	v_mul_f64 v[240:241], v[160:161], v[162:163]
	v_fma_f64 v[230:231], v[162:163], v[230:231], s[58:59]
	s_delay_alu instid0(VALU_DEP_1) | instskip(NEXT) | instid1(VALU_DEP_1)
	v_fma_f64 v[230:231], v[162:163], v[230:231], s[60:61]
	v_fma_f64 v[230:231], v[162:163], v[230:231], s[62:63]
	s_delay_alu instid0(VALU_DEP_1) | instskip(NEXT) | instid1(VALU_DEP_1)
	v_fma_f64 v[230:231], v[162:163], v[230:231], s[64:65]
	v_fma_f64 v[162:163], v[162:163], v[230:231], s[66:67]
	v_ldexp_f64 v[230:231], v[160:161], 1
	v_add_f64 v[160:161], v[160:161], -v[164:165]
	s_delay_alu instid0(VALU_DEP_3) | instskip(SKIP_1) | instid1(VALU_DEP_3)
	v_mul_f64 v[162:163], v[240:241], v[162:163]
	v_cvt_f64_i32_e32 v[240:241], v166
	v_add_f64 v[150:151], v[150:151], -v[160:161]
	s_delay_alu instid0(VALU_DEP_3) | instskip(NEXT) | instid1(VALU_DEP_3)
	v_add_f64 v[164:165], v[230:231], v[162:163]
	v_mul_f64 v[242:243], v[240:241], s[68:69]
	s_delay_alu instid0(VALU_DEP_3) | instskip(NEXT) | instid1(VALU_DEP_3)
	v_ldexp_f64 v[150:151], v[150:151], 1
	v_add_f64 v[160:161], v[164:165], -v[230:231]
	s_delay_alu instid0(VALU_DEP_3) | instskip(NEXT) | instid1(VALU_DEP_2)
	v_fma_f64 v[230:231], v[240:241], s[68:69], -v[242:243]
	v_add_f64 v[160:161], v[162:163], -v[160:161]
	s_delay_alu instid0(VALU_DEP_2) | instskip(NEXT) | instid1(VALU_DEP_2)
	v_fma_f64 v[162:163], v[240:241], s[70:71], v[230:231]
	v_add_f64 v[150:151], v[150:151], v[160:161]
	s_delay_alu instid0(VALU_DEP_2) | instskip(NEXT) | instid1(VALU_DEP_2)
	v_add_f64 v[160:161], v[242:243], v[162:163]
	v_add_f64 v[230:231], v[164:165], v[150:151]
	s_delay_alu instid0(VALU_DEP_2) | instskip(NEXT) | instid1(VALU_DEP_2)
	v_add_f64 v[242:243], v[160:161], -v[242:243]
	v_add_f64 v[240:241], v[160:161], v[230:231]
	v_add_f64 v[164:165], v[230:231], -v[164:165]
	s_delay_alu instid0(VALU_DEP_3) | instskip(NEXT) | instid1(VALU_DEP_3)
	v_add_f64 v[162:163], v[162:163], -v[242:243]
	v_add_f64 v[244:245], v[240:241], -v[160:161]
	s_delay_alu instid0(VALU_DEP_3) | instskip(NEXT) | instid1(VALU_DEP_2)
	v_add_f64 v[150:151], v[150:151], -v[164:165]
	v_add_f64 v[246:247], v[240:241], -v[244:245]
	;; [unrolled: 1-line block ×3, first 2 shown]
	s_delay_alu instid0(VALU_DEP_3) | instskip(NEXT) | instid1(VALU_DEP_3)
	v_add_f64 v[230:231], v[162:163], v[150:151]
	v_add_f64 v[160:161], v[160:161], -v[246:247]
	s_delay_alu instid0(VALU_DEP_1) | instskip(NEXT) | instid1(VALU_DEP_3)
	v_add_f64 v[160:161], v[164:165], v[160:161]
	v_add_f64 v[164:165], v[230:231], -v[162:163]
	s_delay_alu instid0(VALU_DEP_2) | instskip(NEXT) | instid1(VALU_DEP_2)
	v_add_f64 v[160:161], v[230:231], v[160:161]
	v_add_f64 v[230:231], v[230:231], -v[164:165]
	v_add_f64 v[150:151], v[150:151], -v[164:165]
	s_delay_alu instid0(VALU_DEP_3) | instskip(NEXT) | instid1(VALU_DEP_3)
	v_add_f64 v[242:243], v[240:241], v[160:161]
	v_add_f64 v[162:163], v[162:163], -v[230:231]
	s_delay_alu instid0(VALU_DEP_2) | instskip(NEXT) | instid1(VALU_DEP_2)
	v_add_f64 v[164:165], v[242:243], -v[240:241]
	v_add_f64 v[150:151], v[150:151], v[162:163]
	s_delay_alu instid0(VALU_DEP_2) | instskip(NEXT) | instid1(VALU_DEP_1)
	v_add_f64 v[160:161], v[160:161], -v[164:165]
	v_add_f64 v[150:151], v[150:151], v[160:161]
	s_delay_alu instid0(VALU_DEP_1) | instskip(NEXT) | instid1(VALU_DEP_1)
	v_add_f64 v[150:151], v[242:243], v[150:151]
	v_dual_cndmask_b32 v151, v151, v149 :: v_dual_cndmask_b32 v150, v150, v148
	v_cmp_ngt_f64_e32 vcc_lo, -1.0, v[148:149]
	s_delay_alu instid0(VALU_DEP_2) | instskip(SKIP_1) | instid1(VALU_DEP_4)
	v_cndmask_b32_e32 v151, 0x7ff80000, v151, vcc_lo
	v_cmp_nge_f64_e32 vcc_lo, -1.0, v[148:149]
	v_cndmask_b32_e32 v150, 0, v150, vcc_lo
	v_cmp_neq_f64_e32 vcc_lo, -1.0, v[148:149]
	s_delay_alu instid0(VALU_DEP_4) | instskip(NEXT) | instid1(VALU_DEP_1)
	v_cndmask_b32_e32 v151, 0xfff00000, v151, vcc_lo
	v_add_f64 v[148:149], v[6:7], v[150:151]
.LBB56_193:                             ;   in Loop: Header=BB56_162 Depth=1
	s_or_b32 exec_lo, exec_lo, s73
	s_delay_alu instid0(VALU_DEP_1)
	v_dual_mov_b32 v150, v148 :: v_dual_mov_b32 v151, v149
	v_dual_mov_b32 v6, v148 :: v_dual_mov_b32 v7, v149
.LBB56_194:                             ;   in Loop: Header=BB56_162 Depth=1
	s_or_b32 exec_lo, exec_lo, s20
	s_waitcnt lgkmcnt(1)
	ds_bpermute_b32 v148, v224, v150
	s_waitcnt lgkmcnt(1)
	ds_bpermute_b32 v149, v224, v151
	s_mov_b32 s20, exec_lo
	v_cmpx_le_u32_e64 v225, v9
	s_cbranch_execz .LBB56_198
; %bb.195:                              ;   in Loop: Header=BB56_162 Depth=1
	s_waitcnt lgkmcnt(0)
	v_max_f64 v[150:151], v[148:149], v[148:149]
	v_max_f64 v[160:161], v[6:7], v[6:7]
	v_cmp_u_f64_e32 vcc_lo, v[148:149], v[148:149]
	v_cmp_u_f64_e64 s19, v[6:7], v[6:7]
	s_delay_alu instid0(VALU_DEP_3) | instskip(SKIP_1) | instid1(VALU_DEP_2)
	v_min_f64 v[162:163], v[150:151], v[160:161]
	v_max_f64 v[150:151], v[150:151], v[160:161]
	v_dual_cndmask_b32 v160, v162, v148 :: v_dual_cndmask_b32 v161, v163, v149
	s_delay_alu instid0(VALU_DEP_2) | instskip(NEXT) | instid1(VALU_DEP_2)
	v_dual_cndmask_b32 v162, v151, v149 :: v_dual_cndmask_b32 v163, v150, v148
	v_cndmask_b32_e64 v150, v160, v6, s19
	s_delay_alu instid0(VALU_DEP_3) | instskip(NEXT) | instid1(VALU_DEP_3)
	v_cndmask_b32_e64 v151, v161, v7, s19
	v_cndmask_b32_e64 v7, v162, v7, s19
	s_delay_alu instid0(VALU_DEP_4) | instskip(NEXT) | instid1(VALU_DEP_3)
	v_cndmask_b32_e64 v6, v163, v6, s19
	v_cmp_class_f64_e64 s19, v[150:151], 0x1f8
	s_delay_alu instid0(VALU_DEP_2) | instskip(NEXT) | instid1(VALU_DEP_2)
	v_cmp_neq_f64_e32 vcc_lo, v[150:151], v[6:7]
	s_or_b32 s19, vcc_lo, s19
	s_delay_alu instid0(SALU_CYCLE_1)
	s_and_saveexec_b32 s73, s19
	s_cbranch_execz .LBB56_197
; %bb.196:                              ;   in Loop: Header=BB56_162 Depth=1
	v_add_f64 v[148:149], v[150:151], -v[6:7]
	s_mov_b32 s67, s53
	s_mov_b32 s68, s26
	;; [unrolled: 1-line block ×3, first 2 shown]
	s_delay_alu instid0(VALU_DEP_1) | instskip(SKIP_2) | instid1(VALU_DEP_3)
	v_mul_f64 v[150:151], v[148:149], s[24:25]
	v_cmp_nlt_f64_e32 vcc_lo, 0x40900000, v[148:149]
	v_cmp_ngt_f64_e64 s19, 0xc090cc00, v[148:149]
	v_rndne_f64_e32 v[150:151], v[150:151]
	s_delay_alu instid0(VALU_DEP_1) | instskip(SKIP_1) | instid1(VALU_DEP_2)
	v_fma_f64 v[160:161], v[150:151], s[26:27], v[148:149]
	v_cvt_i32_f64_e32 v164, v[150:151]
	v_fma_f64 v[160:161], v[150:151], s[28:29], v[160:161]
	s_delay_alu instid0(VALU_DEP_1) | instskip(NEXT) | instid1(VALU_DEP_1)
	v_fma_f64 v[162:163], v[160:161], s[34:35], s[30:31]
	v_fma_f64 v[162:163], v[160:161], v[162:163], s[36:37]
	s_delay_alu instid0(VALU_DEP_1) | instskip(NEXT) | instid1(VALU_DEP_1)
	v_fma_f64 v[162:163], v[160:161], v[162:163], s[38:39]
	;; [unrolled: 3-line block ×5, first 2 shown]
	v_fma_f64 v[162:163], v[160:161], v[162:163], 1.0
	s_delay_alu instid0(VALU_DEP_1) | instskip(NEXT) | instid1(VALU_DEP_1)
	v_fma_f64 v[150:151], v[160:161], v[162:163], 1.0
	v_ldexp_f64 v[150:151], v[150:151], v164
	s_delay_alu instid0(VALU_DEP_1) | instskip(SKIP_1) | instid1(VALU_DEP_1)
	v_cndmask_b32_e32 v151, 0x7ff00000, v151, vcc_lo
	s_and_b32 vcc_lo, s19, vcc_lo
	v_cndmask_b32_e64 v149, 0, v151, s19
	s_delay_alu instid0(VALU_DEP_3) | instskip(NEXT) | instid1(VALU_DEP_1)
	v_cndmask_b32_e32 v148, 0, v150, vcc_lo
	v_add_f64 v[150:151], v[148:149], 1.0
	s_delay_alu instid0(VALU_DEP_1) | instskip(SKIP_2) | instid1(VALU_DEP_3)
	v_frexp_mant_f64_e32 v[160:161], v[150:151]
	v_frexp_exp_i32_f64_e32 v164, v[150:151]
	v_add_f64 v[162:163], v[150:151], -1.0
	v_cmp_gt_f64_e32 vcc_lo, s[52:53], v[160:161]
	s_delay_alu instid0(VALU_DEP_2) | instskip(SKIP_2) | instid1(VALU_DEP_3)
	v_add_f64 v[160:161], v[162:163], -v[150:151]
	v_add_f64 v[162:163], v[148:149], -v[162:163]
	v_subrev_co_ci_u32_e32 v166, vcc_lo, 0, v164, vcc_lo
	v_add_f64 v[160:161], v[160:161], 1.0
	v_cmp_eq_f64_e32 vcc_lo, 0x7ff00000, v[148:149]
	s_delay_alu instid0(VALU_DEP_3) | instskip(NEXT) | instid1(VALU_DEP_1)
	v_sub_nc_u32_e32 v230, 0, v166
	v_ldexp_f64 v[150:151], v[150:151], v230
	s_delay_alu instid0(VALU_DEP_4) | instskip(NEXT) | instid1(VALU_DEP_2)
	v_add_f64 v[160:161], v[162:163], v[160:161]
	v_add_f64 v[164:165], v[150:151], 1.0
	v_add_f64 v[242:243], v[150:151], -1.0
	s_delay_alu instid0(VALU_DEP_3) | instskip(NEXT) | instid1(VALU_DEP_3)
	v_ldexp_f64 v[160:161], v[160:161], v230
	v_add_f64 v[162:163], v[164:165], -1.0
	s_delay_alu instid0(VALU_DEP_3) | instskip(NEXT) | instid1(VALU_DEP_2)
	v_add_f64 v[244:245], v[242:243], 1.0
	v_add_f64 v[162:163], v[150:151], -v[162:163]
	s_delay_alu instid0(VALU_DEP_2) | instskip(NEXT) | instid1(VALU_DEP_2)
	v_add_f64 v[150:151], v[150:151], -v[244:245]
	v_add_f64 v[162:163], v[160:161], v[162:163]
	s_delay_alu instid0(VALU_DEP_2) | instskip(NEXT) | instid1(VALU_DEP_2)
	v_add_f64 v[150:151], v[160:161], v[150:151]
	v_add_f64 v[230:231], v[164:165], v[162:163]
	s_delay_alu instid0(VALU_DEP_2) | instskip(NEXT) | instid1(VALU_DEP_2)
	v_add_f64 v[244:245], v[242:243], v[150:151]
	v_rcp_f64_e32 v[240:241], v[230:231]
	v_add_f64 v[164:165], v[230:231], -v[164:165]
	s_delay_alu instid0(VALU_DEP_2) | instskip(NEXT) | instid1(VALU_DEP_2)
	v_add_f64 v[242:243], v[244:245], -v[242:243]
	v_add_f64 v[162:163], v[162:163], -v[164:165]
	s_waitcnt_depctr 0xfff
	v_fma_f64 v[246:247], -v[230:231], v[240:241], 1.0
	v_add_f64 v[150:151], v[150:151], -v[242:243]
	s_delay_alu instid0(VALU_DEP_2) | instskip(NEXT) | instid1(VALU_DEP_1)
	v_fma_f64 v[240:241], v[246:247], v[240:241], v[240:241]
	v_fma_f64 v[160:161], -v[230:231], v[240:241], 1.0
	s_delay_alu instid0(VALU_DEP_1) | instskip(NEXT) | instid1(VALU_DEP_1)
	v_fma_f64 v[160:161], v[160:161], v[240:241], v[240:241]
	v_mul_f64 v[240:241], v[244:245], v[160:161]
	s_delay_alu instid0(VALU_DEP_1) | instskip(NEXT) | instid1(VALU_DEP_1)
	v_mul_f64 v[246:247], v[230:231], v[240:241]
	v_fma_f64 v[164:165], v[240:241], v[230:231], -v[246:247]
	s_delay_alu instid0(VALU_DEP_1) | instskip(NEXT) | instid1(VALU_DEP_1)
	v_fma_f64 v[164:165], v[240:241], v[162:163], v[164:165]
	v_add_f64 v[40:41], v[246:247], v[164:165]
	s_delay_alu instid0(VALU_DEP_1) | instskip(SKIP_1) | instid1(VALU_DEP_2)
	v_add_f64 v[42:43], v[244:245], -v[40:41]
	v_add_f64 v[242:243], v[40:41], -v[246:247]
	;; [unrolled: 1-line block ×3, first 2 shown]
	s_delay_alu instid0(VALU_DEP_2) | instskip(NEXT) | instid1(VALU_DEP_2)
	v_add_f64 v[164:165], v[242:243], -v[164:165]
	v_add_f64 v[244:245], v[244:245], -v[40:41]
	s_delay_alu instid0(VALU_DEP_1) | instskip(NEXT) | instid1(VALU_DEP_1)
	v_add_f64 v[150:151], v[150:151], v[244:245]
	v_add_f64 v[150:151], v[164:165], v[150:151]
	s_delay_alu instid0(VALU_DEP_1) | instskip(NEXT) | instid1(VALU_DEP_1)
	v_add_f64 v[164:165], v[42:43], v[150:151]
	v_mul_f64 v[242:243], v[160:161], v[164:165]
	v_add_f64 v[40:41], v[42:43], -v[164:165]
	s_delay_alu instid0(VALU_DEP_2) | instskip(NEXT) | instid1(VALU_DEP_2)
	v_mul_f64 v[244:245], v[230:231], v[242:243]
	v_add_f64 v[150:151], v[150:151], v[40:41]
	s_delay_alu instid0(VALU_DEP_2) | instskip(NEXT) | instid1(VALU_DEP_1)
	v_fma_f64 v[230:231], v[242:243], v[230:231], -v[244:245]
	v_fma_f64 v[162:163], v[242:243], v[162:163], v[230:231]
	s_delay_alu instid0(VALU_DEP_1) | instskip(NEXT) | instid1(VALU_DEP_1)
	v_add_f64 v[230:231], v[244:245], v[162:163]
	v_add_f64 v[246:247], v[164:165], -v[230:231]
	v_add_f64 v[244:245], v[230:231], -v[244:245]
	s_delay_alu instid0(VALU_DEP_2) | instskip(NEXT) | instid1(VALU_DEP_2)
	v_add_f64 v[164:165], v[164:165], -v[246:247]
	v_add_f64 v[162:163], v[244:245], -v[162:163]
	s_delay_alu instid0(VALU_DEP_2) | instskip(NEXT) | instid1(VALU_DEP_1)
	v_add_f64 v[164:165], v[164:165], -v[230:231]
	v_add_f64 v[150:151], v[150:151], v[164:165]
	v_add_f64 v[164:165], v[240:241], v[242:243]
	s_delay_alu instid0(VALU_DEP_2) | instskip(NEXT) | instid1(VALU_DEP_2)
	v_add_f64 v[150:151], v[162:163], v[150:151]
	v_add_f64 v[162:163], v[164:165], -v[240:241]
	s_delay_alu instid0(VALU_DEP_2) | instskip(NEXT) | instid1(VALU_DEP_2)
	v_add_f64 v[150:151], v[246:247], v[150:151]
	v_add_f64 v[162:163], v[242:243], -v[162:163]
	s_delay_alu instid0(VALU_DEP_2) | instskip(NEXT) | instid1(VALU_DEP_1)
	v_mul_f64 v[150:151], v[160:161], v[150:151]
	v_add_f64 v[150:151], v[162:163], v[150:151]
	s_delay_alu instid0(VALU_DEP_1) | instskip(NEXT) | instid1(VALU_DEP_1)
	v_add_f64 v[160:161], v[164:165], v[150:151]
	v_mul_f64 v[162:163], v[160:161], v[160:161]
	s_delay_alu instid0(VALU_DEP_1) | instskip(SKIP_1) | instid1(VALU_DEP_2)
	v_fma_f64 v[230:231], v[162:163], s[56:57], s[54:55]
	v_mul_f64 v[240:241], v[160:161], v[162:163]
	v_fma_f64 v[230:231], v[162:163], v[230:231], s[58:59]
	s_delay_alu instid0(VALU_DEP_1) | instskip(NEXT) | instid1(VALU_DEP_1)
	v_fma_f64 v[230:231], v[162:163], v[230:231], s[60:61]
	v_fma_f64 v[230:231], v[162:163], v[230:231], s[62:63]
	s_delay_alu instid0(VALU_DEP_1) | instskip(NEXT) | instid1(VALU_DEP_1)
	v_fma_f64 v[230:231], v[162:163], v[230:231], s[64:65]
	v_fma_f64 v[162:163], v[162:163], v[230:231], s[66:67]
	v_ldexp_f64 v[230:231], v[160:161], 1
	v_add_f64 v[160:161], v[160:161], -v[164:165]
	s_delay_alu instid0(VALU_DEP_3) | instskip(SKIP_1) | instid1(VALU_DEP_3)
	v_mul_f64 v[162:163], v[240:241], v[162:163]
	v_cvt_f64_i32_e32 v[240:241], v166
	v_add_f64 v[150:151], v[150:151], -v[160:161]
	s_delay_alu instid0(VALU_DEP_3) | instskip(NEXT) | instid1(VALU_DEP_3)
	v_add_f64 v[164:165], v[230:231], v[162:163]
	v_mul_f64 v[242:243], v[240:241], s[68:69]
	s_delay_alu instid0(VALU_DEP_3) | instskip(NEXT) | instid1(VALU_DEP_3)
	v_ldexp_f64 v[150:151], v[150:151], 1
	v_add_f64 v[160:161], v[164:165], -v[230:231]
	s_delay_alu instid0(VALU_DEP_3) | instskip(NEXT) | instid1(VALU_DEP_2)
	v_fma_f64 v[230:231], v[240:241], s[68:69], -v[242:243]
	v_add_f64 v[160:161], v[162:163], -v[160:161]
	s_delay_alu instid0(VALU_DEP_2) | instskip(NEXT) | instid1(VALU_DEP_2)
	v_fma_f64 v[162:163], v[240:241], s[70:71], v[230:231]
	v_add_f64 v[150:151], v[150:151], v[160:161]
	s_delay_alu instid0(VALU_DEP_2) | instskip(NEXT) | instid1(VALU_DEP_2)
	v_add_f64 v[160:161], v[242:243], v[162:163]
	v_add_f64 v[230:231], v[164:165], v[150:151]
	s_delay_alu instid0(VALU_DEP_2) | instskip(NEXT) | instid1(VALU_DEP_2)
	v_add_f64 v[242:243], v[160:161], -v[242:243]
	v_add_f64 v[240:241], v[160:161], v[230:231]
	v_add_f64 v[164:165], v[230:231], -v[164:165]
	s_delay_alu instid0(VALU_DEP_3) | instskip(NEXT) | instid1(VALU_DEP_3)
	v_add_f64 v[162:163], v[162:163], -v[242:243]
	v_add_f64 v[244:245], v[240:241], -v[160:161]
	s_delay_alu instid0(VALU_DEP_3) | instskip(NEXT) | instid1(VALU_DEP_2)
	v_add_f64 v[150:151], v[150:151], -v[164:165]
	v_add_f64 v[246:247], v[240:241], -v[244:245]
	;; [unrolled: 1-line block ×3, first 2 shown]
	s_delay_alu instid0(VALU_DEP_3) | instskip(NEXT) | instid1(VALU_DEP_3)
	v_add_f64 v[230:231], v[162:163], v[150:151]
	v_add_f64 v[160:161], v[160:161], -v[246:247]
	s_delay_alu instid0(VALU_DEP_1) | instskip(NEXT) | instid1(VALU_DEP_3)
	v_add_f64 v[160:161], v[164:165], v[160:161]
	v_add_f64 v[164:165], v[230:231], -v[162:163]
	s_delay_alu instid0(VALU_DEP_2) | instskip(NEXT) | instid1(VALU_DEP_2)
	v_add_f64 v[160:161], v[230:231], v[160:161]
	v_add_f64 v[230:231], v[230:231], -v[164:165]
	v_add_f64 v[150:151], v[150:151], -v[164:165]
	s_delay_alu instid0(VALU_DEP_3) | instskip(NEXT) | instid1(VALU_DEP_3)
	v_add_f64 v[242:243], v[240:241], v[160:161]
	v_add_f64 v[162:163], v[162:163], -v[230:231]
	s_delay_alu instid0(VALU_DEP_2) | instskip(NEXT) | instid1(VALU_DEP_2)
	v_add_f64 v[164:165], v[242:243], -v[240:241]
	v_add_f64 v[150:151], v[150:151], v[162:163]
	s_delay_alu instid0(VALU_DEP_2) | instskip(NEXT) | instid1(VALU_DEP_1)
	v_add_f64 v[160:161], v[160:161], -v[164:165]
	v_add_f64 v[150:151], v[150:151], v[160:161]
	s_delay_alu instid0(VALU_DEP_1) | instskip(NEXT) | instid1(VALU_DEP_1)
	v_add_f64 v[150:151], v[242:243], v[150:151]
	v_dual_cndmask_b32 v151, v151, v149 :: v_dual_cndmask_b32 v150, v150, v148
	v_cmp_ngt_f64_e32 vcc_lo, -1.0, v[148:149]
	s_delay_alu instid0(VALU_DEP_2) | instskip(SKIP_1) | instid1(VALU_DEP_4)
	v_cndmask_b32_e32 v151, 0x7ff80000, v151, vcc_lo
	v_cmp_nge_f64_e32 vcc_lo, -1.0, v[148:149]
	v_cndmask_b32_e32 v150, 0, v150, vcc_lo
	v_cmp_neq_f64_e32 vcc_lo, -1.0, v[148:149]
	s_delay_alu instid0(VALU_DEP_4) | instskip(NEXT) | instid1(VALU_DEP_1)
	v_cndmask_b32_e32 v151, 0xfff00000, v151, vcc_lo
	v_add_f64 v[148:149], v[6:7], v[150:151]
.LBB56_197:                             ;   in Loop: Header=BB56_162 Depth=1
	s_or_b32 exec_lo, exec_lo, s73
	s_delay_alu instid0(VALU_DEP_1)
	v_dual_mov_b32 v150, v148 :: v_dual_mov_b32 v151, v149
	v_dual_mov_b32 v6, v148 :: v_dual_mov_b32 v7, v149
.LBB56_198:                             ;   in Loop: Header=BB56_162 Depth=1
	s_or_b32 exec_lo, exec_lo, s20
	s_waitcnt lgkmcnt(1)
	ds_bpermute_b32 v148, v226, v150
	s_waitcnt lgkmcnt(1)
	ds_bpermute_b32 v149, v226, v151
	s_mov_b32 s20, exec_lo
	v_cmpx_le_u32_e64 v227, v9
	s_cbranch_execz .LBB56_202
; %bb.199:                              ;   in Loop: Header=BB56_162 Depth=1
	s_waitcnt lgkmcnt(0)
	v_max_f64 v[150:151], v[148:149], v[148:149]
	v_max_f64 v[160:161], v[6:7], v[6:7]
	v_cmp_u_f64_e32 vcc_lo, v[148:149], v[148:149]
	v_cmp_u_f64_e64 s19, v[6:7], v[6:7]
	s_delay_alu instid0(VALU_DEP_3) | instskip(SKIP_1) | instid1(VALU_DEP_2)
	v_min_f64 v[162:163], v[150:151], v[160:161]
	v_max_f64 v[150:151], v[150:151], v[160:161]
	v_dual_cndmask_b32 v160, v162, v148 :: v_dual_cndmask_b32 v161, v163, v149
	s_delay_alu instid0(VALU_DEP_2) | instskip(NEXT) | instid1(VALU_DEP_2)
	v_dual_cndmask_b32 v162, v151, v149 :: v_dual_cndmask_b32 v163, v150, v148
	v_cndmask_b32_e64 v150, v160, v6, s19
	s_delay_alu instid0(VALU_DEP_3) | instskip(NEXT) | instid1(VALU_DEP_3)
	v_cndmask_b32_e64 v151, v161, v7, s19
	v_cndmask_b32_e64 v7, v162, v7, s19
	s_delay_alu instid0(VALU_DEP_4) | instskip(NEXT) | instid1(VALU_DEP_3)
	v_cndmask_b32_e64 v6, v163, v6, s19
	v_cmp_class_f64_e64 s19, v[150:151], 0x1f8
	s_delay_alu instid0(VALU_DEP_2) | instskip(NEXT) | instid1(VALU_DEP_2)
	v_cmp_neq_f64_e32 vcc_lo, v[150:151], v[6:7]
	s_or_b32 s19, vcc_lo, s19
	s_delay_alu instid0(SALU_CYCLE_1)
	s_and_saveexec_b32 s73, s19
	s_cbranch_execz .LBB56_201
; %bb.200:                              ;   in Loop: Header=BB56_162 Depth=1
	v_add_f64 v[148:149], v[150:151], -v[6:7]
	s_mov_b32 s67, s53
	s_mov_b32 s68, s26
	;; [unrolled: 1-line block ×3, first 2 shown]
	s_delay_alu instid0(VALU_DEP_1) | instskip(SKIP_2) | instid1(VALU_DEP_3)
	v_mul_f64 v[150:151], v[148:149], s[24:25]
	v_cmp_nlt_f64_e32 vcc_lo, 0x40900000, v[148:149]
	v_cmp_ngt_f64_e64 s19, 0xc090cc00, v[148:149]
	v_rndne_f64_e32 v[150:151], v[150:151]
	s_delay_alu instid0(VALU_DEP_1) | instskip(SKIP_1) | instid1(VALU_DEP_2)
	v_fma_f64 v[160:161], v[150:151], s[26:27], v[148:149]
	v_cvt_i32_f64_e32 v164, v[150:151]
	v_fma_f64 v[160:161], v[150:151], s[28:29], v[160:161]
	s_delay_alu instid0(VALU_DEP_1) | instskip(NEXT) | instid1(VALU_DEP_1)
	v_fma_f64 v[162:163], v[160:161], s[34:35], s[30:31]
	v_fma_f64 v[162:163], v[160:161], v[162:163], s[36:37]
	s_delay_alu instid0(VALU_DEP_1) | instskip(NEXT) | instid1(VALU_DEP_1)
	v_fma_f64 v[162:163], v[160:161], v[162:163], s[38:39]
	;; [unrolled: 3-line block ×5, first 2 shown]
	v_fma_f64 v[162:163], v[160:161], v[162:163], 1.0
	s_delay_alu instid0(VALU_DEP_1) | instskip(NEXT) | instid1(VALU_DEP_1)
	v_fma_f64 v[150:151], v[160:161], v[162:163], 1.0
	v_ldexp_f64 v[150:151], v[150:151], v164
	s_delay_alu instid0(VALU_DEP_1) | instskip(SKIP_1) | instid1(VALU_DEP_1)
	v_cndmask_b32_e32 v151, 0x7ff00000, v151, vcc_lo
	s_and_b32 vcc_lo, s19, vcc_lo
	v_cndmask_b32_e64 v149, 0, v151, s19
	s_delay_alu instid0(VALU_DEP_3) | instskip(NEXT) | instid1(VALU_DEP_1)
	v_cndmask_b32_e32 v148, 0, v150, vcc_lo
	v_add_f64 v[150:151], v[148:149], 1.0
	s_delay_alu instid0(VALU_DEP_1) | instskip(SKIP_2) | instid1(VALU_DEP_3)
	v_frexp_mant_f64_e32 v[160:161], v[150:151]
	v_frexp_exp_i32_f64_e32 v164, v[150:151]
	v_add_f64 v[162:163], v[150:151], -1.0
	v_cmp_gt_f64_e32 vcc_lo, s[52:53], v[160:161]
	s_delay_alu instid0(VALU_DEP_2) | instskip(SKIP_2) | instid1(VALU_DEP_3)
	v_add_f64 v[160:161], v[162:163], -v[150:151]
	v_add_f64 v[162:163], v[148:149], -v[162:163]
	v_subrev_co_ci_u32_e32 v166, vcc_lo, 0, v164, vcc_lo
	v_add_f64 v[160:161], v[160:161], 1.0
	v_cmp_eq_f64_e32 vcc_lo, 0x7ff00000, v[148:149]
	s_delay_alu instid0(VALU_DEP_3) | instskip(NEXT) | instid1(VALU_DEP_1)
	v_sub_nc_u32_e32 v230, 0, v166
	v_ldexp_f64 v[150:151], v[150:151], v230
	s_delay_alu instid0(VALU_DEP_4) | instskip(NEXT) | instid1(VALU_DEP_2)
	v_add_f64 v[160:161], v[162:163], v[160:161]
	v_add_f64 v[164:165], v[150:151], 1.0
	v_add_f64 v[242:243], v[150:151], -1.0
	s_delay_alu instid0(VALU_DEP_3) | instskip(NEXT) | instid1(VALU_DEP_3)
	v_ldexp_f64 v[160:161], v[160:161], v230
	v_add_f64 v[162:163], v[164:165], -1.0
	s_delay_alu instid0(VALU_DEP_3) | instskip(NEXT) | instid1(VALU_DEP_2)
	v_add_f64 v[244:245], v[242:243], 1.0
	v_add_f64 v[162:163], v[150:151], -v[162:163]
	s_delay_alu instid0(VALU_DEP_2) | instskip(NEXT) | instid1(VALU_DEP_2)
	v_add_f64 v[150:151], v[150:151], -v[244:245]
	v_add_f64 v[162:163], v[160:161], v[162:163]
	s_delay_alu instid0(VALU_DEP_2) | instskip(NEXT) | instid1(VALU_DEP_2)
	v_add_f64 v[150:151], v[160:161], v[150:151]
	v_add_f64 v[230:231], v[164:165], v[162:163]
	s_delay_alu instid0(VALU_DEP_2) | instskip(NEXT) | instid1(VALU_DEP_2)
	v_add_f64 v[244:245], v[242:243], v[150:151]
	v_rcp_f64_e32 v[240:241], v[230:231]
	v_add_f64 v[164:165], v[230:231], -v[164:165]
	s_delay_alu instid0(VALU_DEP_2) | instskip(NEXT) | instid1(VALU_DEP_2)
	v_add_f64 v[242:243], v[244:245], -v[242:243]
	v_add_f64 v[162:163], v[162:163], -v[164:165]
	s_waitcnt_depctr 0xfff
	v_fma_f64 v[246:247], -v[230:231], v[240:241], 1.0
	v_add_f64 v[150:151], v[150:151], -v[242:243]
	s_delay_alu instid0(VALU_DEP_2) | instskip(NEXT) | instid1(VALU_DEP_1)
	v_fma_f64 v[240:241], v[246:247], v[240:241], v[240:241]
	v_fma_f64 v[160:161], -v[230:231], v[240:241], 1.0
	s_delay_alu instid0(VALU_DEP_1) | instskip(NEXT) | instid1(VALU_DEP_1)
	v_fma_f64 v[160:161], v[160:161], v[240:241], v[240:241]
	v_mul_f64 v[240:241], v[244:245], v[160:161]
	s_delay_alu instid0(VALU_DEP_1) | instskip(NEXT) | instid1(VALU_DEP_1)
	v_mul_f64 v[246:247], v[230:231], v[240:241]
	v_fma_f64 v[164:165], v[240:241], v[230:231], -v[246:247]
	s_delay_alu instid0(VALU_DEP_1) | instskip(NEXT) | instid1(VALU_DEP_1)
	v_fma_f64 v[164:165], v[240:241], v[162:163], v[164:165]
	v_add_f64 v[40:41], v[246:247], v[164:165]
	s_delay_alu instid0(VALU_DEP_1) | instskip(SKIP_1) | instid1(VALU_DEP_2)
	v_add_f64 v[42:43], v[244:245], -v[40:41]
	v_add_f64 v[242:243], v[40:41], -v[246:247]
	;; [unrolled: 1-line block ×3, first 2 shown]
	s_delay_alu instid0(VALU_DEP_2) | instskip(NEXT) | instid1(VALU_DEP_2)
	v_add_f64 v[164:165], v[242:243], -v[164:165]
	v_add_f64 v[244:245], v[244:245], -v[40:41]
	s_delay_alu instid0(VALU_DEP_1) | instskip(NEXT) | instid1(VALU_DEP_1)
	v_add_f64 v[150:151], v[150:151], v[244:245]
	v_add_f64 v[150:151], v[164:165], v[150:151]
	s_delay_alu instid0(VALU_DEP_1) | instskip(NEXT) | instid1(VALU_DEP_1)
	v_add_f64 v[164:165], v[42:43], v[150:151]
	v_mul_f64 v[242:243], v[160:161], v[164:165]
	v_add_f64 v[40:41], v[42:43], -v[164:165]
	s_delay_alu instid0(VALU_DEP_2) | instskip(NEXT) | instid1(VALU_DEP_2)
	v_mul_f64 v[244:245], v[230:231], v[242:243]
	v_add_f64 v[150:151], v[150:151], v[40:41]
	s_delay_alu instid0(VALU_DEP_2) | instskip(NEXT) | instid1(VALU_DEP_1)
	v_fma_f64 v[230:231], v[242:243], v[230:231], -v[244:245]
	v_fma_f64 v[162:163], v[242:243], v[162:163], v[230:231]
	s_delay_alu instid0(VALU_DEP_1) | instskip(NEXT) | instid1(VALU_DEP_1)
	v_add_f64 v[230:231], v[244:245], v[162:163]
	v_add_f64 v[246:247], v[164:165], -v[230:231]
	v_add_f64 v[244:245], v[230:231], -v[244:245]
	s_delay_alu instid0(VALU_DEP_2) | instskip(NEXT) | instid1(VALU_DEP_2)
	v_add_f64 v[164:165], v[164:165], -v[246:247]
	v_add_f64 v[162:163], v[244:245], -v[162:163]
	s_delay_alu instid0(VALU_DEP_2) | instskip(NEXT) | instid1(VALU_DEP_1)
	v_add_f64 v[164:165], v[164:165], -v[230:231]
	v_add_f64 v[150:151], v[150:151], v[164:165]
	v_add_f64 v[164:165], v[240:241], v[242:243]
	s_delay_alu instid0(VALU_DEP_2) | instskip(NEXT) | instid1(VALU_DEP_2)
	v_add_f64 v[150:151], v[162:163], v[150:151]
	v_add_f64 v[162:163], v[164:165], -v[240:241]
	s_delay_alu instid0(VALU_DEP_2) | instskip(NEXT) | instid1(VALU_DEP_2)
	v_add_f64 v[150:151], v[246:247], v[150:151]
	v_add_f64 v[162:163], v[242:243], -v[162:163]
	s_delay_alu instid0(VALU_DEP_2) | instskip(NEXT) | instid1(VALU_DEP_1)
	v_mul_f64 v[150:151], v[160:161], v[150:151]
	v_add_f64 v[150:151], v[162:163], v[150:151]
	s_delay_alu instid0(VALU_DEP_1) | instskip(NEXT) | instid1(VALU_DEP_1)
	v_add_f64 v[160:161], v[164:165], v[150:151]
	v_mul_f64 v[162:163], v[160:161], v[160:161]
	s_delay_alu instid0(VALU_DEP_1) | instskip(SKIP_1) | instid1(VALU_DEP_2)
	v_fma_f64 v[230:231], v[162:163], s[56:57], s[54:55]
	v_mul_f64 v[240:241], v[160:161], v[162:163]
	v_fma_f64 v[230:231], v[162:163], v[230:231], s[58:59]
	s_delay_alu instid0(VALU_DEP_1) | instskip(NEXT) | instid1(VALU_DEP_1)
	v_fma_f64 v[230:231], v[162:163], v[230:231], s[60:61]
	v_fma_f64 v[230:231], v[162:163], v[230:231], s[62:63]
	s_delay_alu instid0(VALU_DEP_1) | instskip(NEXT) | instid1(VALU_DEP_1)
	v_fma_f64 v[230:231], v[162:163], v[230:231], s[64:65]
	v_fma_f64 v[162:163], v[162:163], v[230:231], s[66:67]
	v_ldexp_f64 v[230:231], v[160:161], 1
	v_add_f64 v[160:161], v[160:161], -v[164:165]
	s_delay_alu instid0(VALU_DEP_3) | instskip(SKIP_1) | instid1(VALU_DEP_3)
	v_mul_f64 v[162:163], v[240:241], v[162:163]
	v_cvt_f64_i32_e32 v[240:241], v166
	v_add_f64 v[150:151], v[150:151], -v[160:161]
	s_delay_alu instid0(VALU_DEP_3) | instskip(NEXT) | instid1(VALU_DEP_3)
	v_add_f64 v[164:165], v[230:231], v[162:163]
	v_mul_f64 v[242:243], v[240:241], s[68:69]
	s_delay_alu instid0(VALU_DEP_3) | instskip(NEXT) | instid1(VALU_DEP_3)
	v_ldexp_f64 v[150:151], v[150:151], 1
	v_add_f64 v[160:161], v[164:165], -v[230:231]
	s_delay_alu instid0(VALU_DEP_3) | instskip(NEXT) | instid1(VALU_DEP_2)
	v_fma_f64 v[230:231], v[240:241], s[68:69], -v[242:243]
	v_add_f64 v[160:161], v[162:163], -v[160:161]
	s_delay_alu instid0(VALU_DEP_2) | instskip(NEXT) | instid1(VALU_DEP_2)
	v_fma_f64 v[162:163], v[240:241], s[70:71], v[230:231]
	v_add_f64 v[150:151], v[150:151], v[160:161]
	s_delay_alu instid0(VALU_DEP_2) | instskip(NEXT) | instid1(VALU_DEP_2)
	v_add_f64 v[160:161], v[242:243], v[162:163]
	v_add_f64 v[230:231], v[164:165], v[150:151]
	s_delay_alu instid0(VALU_DEP_2) | instskip(NEXT) | instid1(VALU_DEP_2)
	v_add_f64 v[242:243], v[160:161], -v[242:243]
	v_add_f64 v[240:241], v[160:161], v[230:231]
	v_add_f64 v[164:165], v[230:231], -v[164:165]
	s_delay_alu instid0(VALU_DEP_3) | instskip(NEXT) | instid1(VALU_DEP_3)
	v_add_f64 v[162:163], v[162:163], -v[242:243]
	v_add_f64 v[244:245], v[240:241], -v[160:161]
	s_delay_alu instid0(VALU_DEP_3) | instskip(NEXT) | instid1(VALU_DEP_2)
	v_add_f64 v[150:151], v[150:151], -v[164:165]
	v_add_f64 v[246:247], v[240:241], -v[244:245]
	;; [unrolled: 1-line block ×3, first 2 shown]
	s_delay_alu instid0(VALU_DEP_3) | instskip(NEXT) | instid1(VALU_DEP_3)
	v_add_f64 v[230:231], v[162:163], v[150:151]
	v_add_f64 v[160:161], v[160:161], -v[246:247]
	s_delay_alu instid0(VALU_DEP_1) | instskip(NEXT) | instid1(VALU_DEP_3)
	v_add_f64 v[160:161], v[164:165], v[160:161]
	v_add_f64 v[164:165], v[230:231], -v[162:163]
	s_delay_alu instid0(VALU_DEP_2) | instskip(NEXT) | instid1(VALU_DEP_2)
	v_add_f64 v[160:161], v[230:231], v[160:161]
	v_add_f64 v[230:231], v[230:231], -v[164:165]
	v_add_f64 v[150:151], v[150:151], -v[164:165]
	s_delay_alu instid0(VALU_DEP_3) | instskip(NEXT) | instid1(VALU_DEP_3)
	v_add_f64 v[242:243], v[240:241], v[160:161]
	v_add_f64 v[162:163], v[162:163], -v[230:231]
	s_delay_alu instid0(VALU_DEP_2) | instskip(NEXT) | instid1(VALU_DEP_2)
	v_add_f64 v[164:165], v[242:243], -v[240:241]
	v_add_f64 v[150:151], v[150:151], v[162:163]
	s_delay_alu instid0(VALU_DEP_2) | instskip(NEXT) | instid1(VALU_DEP_1)
	v_add_f64 v[160:161], v[160:161], -v[164:165]
	v_add_f64 v[150:151], v[150:151], v[160:161]
	s_delay_alu instid0(VALU_DEP_1) | instskip(NEXT) | instid1(VALU_DEP_1)
	v_add_f64 v[150:151], v[242:243], v[150:151]
	v_dual_cndmask_b32 v151, v151, v149 :: v_dual_cndmask_b32 v150, v150, v148
	v_cmp_ngt_f64_e32 vcc_lo, -1.0, v[148:149]
	s_delay_alu instid0(VALU_DEP_2) | instskip(SKIP_1) | instid1(VALU_DEP_4)
	v_cndmask_b32_e32 v151, 0x7ff80000, v151, vcc_lo
	v_cmp_nge_f64_e32 vcc_lo, -1.0, v[148:149]
	v_cndmask_b32_e32 v150, 0, v150, vcc_lo
	v_cmp_neq_f64_e32 vcc_lo, -1.0, v[148:149]
	s_delay_alu instid0(VALU_DEP_4) | instskip(NEXT) | instid1(VALU_DEP_1)
	v_cndmask_b32_e32 v151, 0xfff00000, v151, vcc_lo
	v_add_f64 v[148:149], v[6:7], v[150:151]
.LBB56_201:                             ;   in Loop: Header=BB56_162 Depth=1
	s_or_b32 exec_lo, exec_lo, s73
	s_delay_alu instid0(VALU_DEP_1)
	v_dual_mov_b32 v150, v148 :: v_dual_mov_b32 v151, v149
	v_dual_mov_b32 v6, v148 :: v_dual_mov_b32 v7, v149
.LBB56_202:                             ;   in Loop: Header=BB56_162 Depth=1
	s_or_b32 exec_lo, exec_lo, s20
	s_waitcnt lgkmcnt(1)
	ds_bpermute_b32 v148, v228, v150
	s_waitcnt lgkmcnt(1)
	ds_bpermute_b32 v149, v228, v151
	s_mov_b32 s20, exec_lo
	v_cmpx_le_u32_e64 v229, v9
	s_cbranch_execz .LBB56_206
; %bb.203:                              ;   in Loop: Header=BB56_162 Depth=1
	s_waitcnt lgkmcnt(0)
	v_max_f64 v[150:151], v[148:149], v[148:149]
	v_max_f64 v[160:161], v[6:7], v[6:7]
	v_cmp_u_f64_e32 vcc_lo, v[148:149], v[148:149]
	v_cmp_u_f64_e64 s19, v[6:7], v[6:7]
	s_delay_alu instid0(VALU_DEP_3) | instskip(SKIP_1) | instid1(VALU_DEP_2)
	v_min_f64 v[162:163], v[150:151], v[160:161]
	v_max_f64 v[150:151], v[150:151], v[160:161]
	v_dual_cndmask_b32 v9, v162, v148 :: v_dual_cndmask_b32 v160, v163, v149
	s_delay_alu instid0(VALU_DEP_2) | instskip(NEXT) | instid1(VALU_DEP_2)
	v_dual_cndmask_b32 v161, v151, v149 :: v_dual_cndmask_b32 v162, v150, v148
	v_cndmask_b32_e64 v150, v9, v6, s19
	s_delay_alu instid0(VALU_DEP_3) | instskip(NEXT) | instid1(VALU_DEP_3)
	v_cndmask_b32_e64 v151, v160, v7, s19
	v_cndmask_b32_e64 v7, v161, v7, s19
	s_delay_alu instid0(VALU_DEP_4) | instskip(NEXT) | instid1(VALU_DEP_3)
	v_cndmask_b32_e64 v6, v162, v6, s19
	v_cmp_class_f64_e64 s19, v[150:151], 0x1f8
	s_delay_alu instid0(VALU_DEP_2) | instskip(NEXT) | instid1(VALU_DEP_2)
	v_cmp_neq_f64_e32 vcc_lo, v[150:151], v[6:7]
	s_or_b32 s19, vcc_lo, s19
	s_delay_alu instid0(SALU_CYCLE_1)
	s_and_saveexec_b32 s73, s19
	s_cbranch_execz .LBB56_205
; %bb.204:                              ;   in Loop: Header=BB56_162 Depth=1
	v_add_f64 v[148:149], v[150:151], -v[6:7]
	s_mov_b32 s67, s53
	s_mov_b32 s68, s26
	;; [unrolled: 1-line block ×3, first 2 shown]
	s_delay_alu instid0(VALU_DEP_1) | instskip(SKIP_2) | instid1(VALU_DEP_3)
	v_mul_f64 v[150:151], v[148:149], s[24:25]
	v_cmp_nlt_f64_e32 vcc_lo, 0x40900000, v[148:149]
	v_cmp_ngt_f64_e64 s19, 0xc090cc00, v[148:149]
	v_rndne_f64_e32 v[150:151], v[150:151]
	s_delay_alu instid0(VALU_DEP_1) | instskip(SKIP_1) | instid1(VALU_DEP_2)
	v_fma_f64 v[160:161], v[150:151], s[26:27], v[148:149]
	v_cvt_i32_f64_e32 v9, v[150:151]
	v_fma_f64 v[160:161], v[150:151], s[28:29], v[160:161]
	s_delay_alu instid0(VALU_DEP_1) | instskip(NEXT) | instid1(VALU_DEP_1)
	v_fma_f64 v[162:163], v[160:161], s[34:35], s[30:31]
	v_fma_f64 v[162:163], v[160:161], v[162:163], s[36:37]
	s_delay_alu instid0(VALU_DEP_1) | instskip(NEXT) | instid1(VALU_DEP_1)
	v_fma_f64 v[162:163], v[160:161], v[162:163], s[38:39]
	;; [unrolled: 3-line block ×5, first 2 shown]
	v_fma_f64 v[162:163], v[160:161], v[162:163], 1.0
	s_delay_alu instid0(VALU_DEP_1) | instskip(NEXT) | instid1(VALU_DEP_1)
	v_fma_f64 v[150:151], v[160:161], v[162:163], 1.0
	v_ldexp_f64 v[150:151], v[150:151], v9
	s_delay_alu instid0(VALU_DEP_1) | instskip(SKIP_1) | instid1(VALU_DEP_2)
	v_cndmask_b32_e32 v9, 0x7ff00000, v151, vcc_lo
	s_and_b32 vcc_lo, s19, vcc_lo
	v_cndmask_b32_e32 v148, 0, v150, vcc_lo
	s_delay_alu instid0(VALU_DEP_2) | instskip(NEXT) | instid1(VALU_DEP_1)
	v_cndmask_b32_e64 v149, 0, v9, s19
	v_add_f64 v[150:151], v[148:149], 1.0
	s_delay_alu instid0(VALU_DEP_1) | instskip(SKIP_2) | instid1(VALU_DEP_3)
	v_frexp_mant_f64_e32 v[160:161], v[150:151]
	v_frexp_exp_i32_f64_e32 v9, v[150:151]
	v_add_f64 v[162:163], v[150:151], -1.0
	v_cmp_gt_f64_e32 vcc_lo, s[52:53], v[160:161]
	s_delay_alu instid0(VALU_DEP_2) | instskip(SKIP_2) | instid1(VALU_DEP_3)
	v_add_f64 v[160:161], v[162:163], -v[150:151]
	v_add_f64 v[162:163], v[148:149], -v[162:163]
	v_subrev_co_ci_u32_e32 v9, vcc_lo, 0, v9, vcc_lo
	v_add_f64 v[160:161], v[160:161], 1.0
	v_cmp_eq_f64_e32 vcc_lo, 0x7ff00000, v[148:149]
	s_delay_alu instid0(VALU_DEP_3) | instskip(NEXT) | instid1(VALU_DEP_1)
	v_sub_nc_u32_e32 v166, 0, v9
	v_ldexp_f64 v[150:151], v[150:151], v166
	s_delay_alu instid0(VALU_DEP_4) | instskip(NEXT) | instid1(VALU_DEP_2)
	v_add_f64 v[160:161], v[162:163], v[160:161]
	v_add_f64 v[164:165], v[150:151], 1.0
	v_add_f64 v[242:243], v[150:151], -1.0
	s_delay_alu instid0(VALU_DEP_3) | instskip(NEXT) | instid1(VALU_DEP_3)
	v_ldexp_f64 v[160:161], v[160:161], v166
	v_add_f64 v[162:163], v[164:165], -1.0
	s_delay_alu instid0(VALU_DEP_3) | instskip(NEXT) | instid1(VALU_DEP_2)
	v_add_f64 v[244:245], v[242:243], 1.0
	v_add_f64 v[162:163], v[150:151], -v[162:163]
	s_delay_alu instid0(VALU_DEP_2) | instskip(NEXT) | instid1(VALU_DEP_2)
	v_add_f64 v[150:151], v[150:151], -v[244:245]
	v_add_f64 v[162:163], v[160:161], v[162:163]
	s_delay_alu instid0(VALU_DEP_2) | instskip(NEXT) | instid1(VALU_DEP_2)
	v_add_f64 v[150:151], v[160:161], v[150:151]
	v_add_f64 v[230:231], v[164:165], v[162:163]
	s_delay_alu instid0(VALU_DEP_2) | instskip(NEXT) | instid1(VALU_DEP_2)
	v_add_f64 v[244:245], v[242:243], v[150:151]
	v_rcp_f64_e32 v[240:241], v[230:231]
	v_add_f64 v[164:165], v[230:231], -v[164:165]
	s_delay_alu instid0(VALU_DEP_2) | instskip(NEXT) | instid1(VALU_DEP_2)
	v_add_f64 v[242:243], v[244:245], -v[242:243]
	v_add_f64 v[162:163], v[162:163], -v[164:165]
	s_waitcnt_depctr 0xfff
	v_fma_f64 v[246:247], -v[230:231], v[240:241], 1.0
	v_add_f64 v[150:151], v[150:151], -v[242:243]
	s_delay_alu instid0(VALU_DEP_2) | instskip(NEXT) | instid1(VALU_DEP_1)
	v_fma_f64 v[240:241], v[246:247], v[240:241], v[240:241]
	v_fma_f64 v[160:161], -v[230:231], v[240:241], 1.0
	s_delay_alu instid0(VALU_DEP_1) | instskip(NEXT) | instid1(VALU_DEP_1)
	v_fma_f64 v[160:161], v[160:161], v[240:241], v[240:241]
	v_mul_f64 v[240:241], v[244:245], v[160:161]
	s_delay_alu instid0(VALU_DEP_1) | instskip(NEXT) | instid1(VALU_DEP_1)
	v_mul_f64 v[246:247], v[230:231], v[240:241]
	v_fma_f64 v[164:165], v[240:241], v[230:231], -v[246:247]
	s_delay_alu instid0(VALU_DEP_1) | instskip(NEXT) | instid1(VALU_DEP_1)
	v_fma_f64 v[164:165], v[240:241], v[162:163], v[164:165]
	v_add_f64 v[40:41], v[246:247], v[164:165]
	s_delay_alu instid0(VALU_DEP_1) | instskip(SKIP_1) | instid1(VALU_DEP_2)
	v_add_f64 v[42:43], v[244:245], -v[40:41]
	v_add_f64 v[242:243], v[40:41], -v[246:247]
	;; [unrolled: 1-line block ×3, first 2 shown]
	s_delay_alu instid0(VALU_DEP_2) | instskip(NEXT) | instid1(VALU_DEP_2)
	v_add_f64 v[164:165], v[242:243], -v[164:165]
	v_add_f64 v[244:245], v[244:245], -v[40:41]
	s_delay_alu instid0(VALU_DEP_1) | instskip(NEXT) | instid1(VALU_DEP_1)
	v_add_f64 v[150:151], v[150:151], v[244:245]
	v_add_f64 v[150:151], v[164:165], v[150:151]
	s_delay_alu instid0(VALU_DEP_1) | instskip(NEXT) | instid1(VALU_DEP_1)
	v_add_f64 v[164:165], v[42:43], v[150:151]
	v_mul_f64 v[242:243], v[160:161], v[164:165]
	v_add_f64 v[40:41], v[42:43], -v[164:165]
	s_delay_alu instid0(VALU_DEP_2) | instskip(NEXT) | instid1(VALU_DEP_2)
	v_mul_f64 v[244:245], v[230:231], v[242:243]
	v_add_f64 v[150:151], v[150:151], v[40:41]
	s_delay_alu instid0(VALU_DEP_2) | instskip(NEXT) | instid1(VALU_DEP_1)
	v_fma_f64 v[230:231], v[242:243], v[230:231], -v[244:245]
	v_fma_f64 v[162:163], v[242:243], v[162:163], v[230:231]
	s_delay_alu instid0(VALU_DEP_1) | instskip(NEXT) | instid1(VALU_DEP_1)
	v_add_f64 v[230:231], v[244:245], v[162:163]
	v_add_f64 v[246:247], v[164:165], -v[230:231]
	v_add_f64 v[244:245], v[230:231], -v[244:245]
	s_delay_alu instid0(VALU_DEP_2) | instskip(NEXT) | instid1(VALU_DEP_2)
	v_add_f64 v[164:165], v[164:165], -v[246:247]
	v_add_f64 v[162:163], v[244:245], -v[162:163]
	s_delay_alu instid0(VALU_DEP_2) | instskip(NEXT) | instid1(VALU_DEP_1)
	v_add_f64 v[164:165], v[164:165], -v[230:231]
	v_add_f64 v[150:151], v[150:151], v[164:165]
	v_add_f64 v[164:165], v[240:241], v[242:243]
	s_delay_alu instid0(VALU_DEP_2) | instskip(NEXT) | instid1(VALU_DEP_2)
	v_add_f64 v[150:151], v[162:163], v[150:151]
	v_add_f64 v[162:163], v[164:165], -v[240:241]
	s_delay_alu instid0(VALU_DEP_2) | instskip(NEXT) | instid1(VALU_DEP_2)
	v_add_f64 v[150:151], v[246:247], v[150:151]
	v_add_f64 v[162:163], v[242:243], -v[162:163]
	s_delay_alu instid0(VALU_DEP_2) | instskip(NEXT) | instid1(VALU_DEP_1)
	v_mul_f64 v[150:151], v[160:161], v[150:151]
	v_add_f64 v[150:151], v[162:163], v[150:151]
	s_delay_alu instid0(VALU_DEP_1) | instskip(NEXT) | instid1(VALU_DEP_1)
	v_add_f64 v[160:161], v[164:165], v[150:151]
	v_mul_f64 v[162:163], v[160:161], v[160:161]
	s_delay_alu instid0(VALU_DEP_1) | instskip(SKIP_1) | instid1(VALU_DEP_2)
	v_fma_f64 v[230:231], v[162:163], s[56:57], s[54:55]
	v_mul_f64 v[240:241], v[160:161], v[162:163]
	v_fma_f64 v[230:231], v[162:163], v[230:231], s[58:59]
	s_delay_alu instid0(VALU_DEP_1) | instskip(NEXT) | instid1(VALU_DEP_1)
	v_fma_f64 v[230:231], v[162:163], v[230:231], s[60:61]
	v_fma_f64 v[230:231], v[162:163], v[230:231], s[62:63]
	s_delay_alu instid0(VALU_DEP_1) | instskip(NEXT) | instid1(VALU_DEP_1)
	v_fma_f64 v[230:231], v[162:163], v[230:231], s[64:65]
	v_fma_f64 v[162:163], v[162:163], v[230:231], s[66:67]
	v_ldexp_f64 v[230:231], v[160:161], 1
	v_add_f64 v[160:161], v[160:161], -v[164:165]
	s_delay_alu instid0(VALU_DEP_3) | instskip(SKIP_1) | instid1(VALU_DEP_3)
	v_mul_f64 v[162:163], v[240:241], v[162:163]
	v_cvt_f64_i32_e32 v[240:241], v9
	v_add_f64 v[150:151], v[150:151], -v[160:161]
	s_delay_alu instid0(VALU_DEP_3) | instskip(NEXT) | instid1(VALU_DEP_3)
	v_add_f64 v[164:165], v[230:231], v[162:163]
	v_mul_f64 v[242:243], v[240:241], s[68:69]
	s_delay_alu instid0(VALU_DEP_3) | instskip(NEXT) | instid1(VALU_DEP_3)
	v_ldexp_f64 v[150:151], v[150:151], 1
	v_add_f64 v[160:161], v[164:165], -v[230:231]
	s_delay_alu instid0(VALU_DEP_3) | instskip(NEXT) | instid1(VALU_DEP_2)
	v_fma_f64 v[230:231], v[240:241], s[68:69], -v[242:243]
	v_add_f64 v[160:161], v[162:163], -v[160:161]
	s_delay_alu instid0(VALU_DEP_2) | instskip(NEXT) | instid1(VALU_DEP_2)
	v_fma_f64 v[162:163], v[240:241], s[70:71], v[230:231]
	v_add_f64 v[150:151], v[150:151], v[160:161]
	s_delay_alu instid0(VALU_DEP_2) | instskip(NEXT) | instid1(VALU_DEP_2)
	v_add_f64 v[160:161], v[242:243], v[162:163]
	v_add_f64 v[230:231], v[164:165], v[150:151]
	s_delay_alu instid0(VALU_DEP_2) | instskip(NEXT) | instid1(VALU_DEP_2)
	v_add_f64 v[242:243], v[160:161], -v[242:243]
	v_add_f64 v[240:241], v[160:161], v[230:231]
	v_add_f64 v[164:165], v[230:231], -v[164:165]
	s_delay_alu instid0(VALU_DEP_3) | instskip(NEXT) | instid1(VALU_DEP_3)
	v_add_f64 v[162:163], v[162:163], -v[242:243]
	v_add_f64 v[244:245], v[240:241], -v[160:161]
	s_delay_alu instid0(VALU_DEP_3) | instskip(NEXT) | instid1(VALU_DEP_2)
	v_add_f64 v[150:151], v[150:151], -v[164:165]
	v_add_f64 v[246:247], v[240:241], -v[244:245]
	;; [unrolled: 1-line block ×3, first 2 shown]
	s_delay_alu instid0(VALU_DEP_3) | instskip(NEXT) | instid1(VALU_DEP_3)
	v_add_f64 v[230:231], v[162:163], v[150:151]
	v_add_f64 v[160:161], v[160:161], -v[246:247]
	s_delay_alu instid0(VALU_DEP_1) | instskip(NEXT) | instid1(VALU_DEP_3)
	v_add_f64 v[160:161], v[164:165], v[160:161]
	v_add_f64 v[164:165], v[230:231], -v[162:163]
	s_delay_alu instid0(VALU_DEP_2) | instskip(NEXT) | instid1(VALU_DEP_2)
	v_add_f64 v[160:161], v[230:231], v[160:161]
	v_add_f64 v[230:231], v[230:231], -v[164:165]
	v_add_f64 v[150:151], v[150:151], -v[164:165]
	s_delay_alu instid0(VALU_DEP_3) | instskip(NEXT) | instid1(VALU_DEP_3)
	v_add_f64 v[242:243], v[240:241], v[160:161]
	v_add_f64 v[162:163], v[162:163], -v[230:231]
	s_delay_alu instid0(VALU_DEP_2) | instskip(NEXT) | instid1(VALU_DEP_2)
	v_add_f64 v[164:165], v[242:243], -v[240:241]
	v_add_f64 v[150:151], v[150:151], v[162:163]
	s_delay_alu instid0(VALU_DEP_2) | instskip(NEXT) | instid1(VALU_DEP_1)
	v_add_f64 v[160:161], v[160:161], -v[164:165]
	v_add_f64 v[150:151], v[150:151], v[160:161]
	s_delay_alu instid0(VALU_DEP_1) | instskip(NEXT) | instid1(VALU_DEP_1)
	v_add_f64 v[150:151], v[242:243], v[150:151]
	v_dual_cndmask_b32 v9, v150, v148 :: v_dual_cndmask_b32 v150, v151, v149
	v_cmp_ngt_f64_e32 vcc_lo, -1.0, v[148:149]
	s_delay_alu instid0(VALU_DEP_2) | instskip(SKIP_1) | instid1(VALU_DEP_4)
	v_cndmask_b32_e32 v151, 0x7ff80000, v150, vcc_lo
	v_cmp_nge_f64_e32 vcc_lo, -1.0, v[148:149]
	v_cndmask_b32_e32 v150, 0, v9, vcc_lo
	v_cmp_neq_f64_e32 vcc_lo, -1.0, v[148:149]
	s_delay_alu instid0(VALU_DEP_4) | instskip(NEXT) | instid1(VALU_DEP_1)
	v_cndmask_b32_e32 v151, 0xfff00000, v151, vcc_lo
	v_add_f64 v[148:149], v[6:7], v[150:151]
.LBB56_205:                             ;   in Loop: Header=BB56_162 Depth=1
	s_or_b32 exec_lo, exec_lo, s73
	s_delay_alu instid0(VALU_DEP_1)
	v_dual_mov_b32 v6, v148 :: v_dual_mov_b32 v7, v149
.LBB56_206:                             ;   in Loop: Header=BB56_162 Depth=1
	s_or_b32 exec_lo, exec_lo, s20
	s_waitcnt lgkmcnt(0)
	v_max_f64 v[148:149], v[146:147], v[146:147]
	s_delay_alu instid0(VALU_DEP_2) | instskip(SKIP_2) | instid1(VALU_DEP_3)
	v_max_f64 v[150:151], v[6:7], v[6:7]
	v_cmp_u_f64_e32 vcc_lo, v[6:7], v[6:7]
	v_cmp_u_f64_e64 s19, v[146:147], v[146:147]
	v_min_f64 v[160:161], v[150:151], v[148:149]
	v_max_f64 v[148:149], v[150:151], v[148:149]
	s_delay_alu instid0(VALU_DEP_2) | instskip(NEXT) | instid1(VALU_DEP_2)
	v_dual_cndmask_b32 v9, v160, v6 :: v_dual_cndmask_b32 v150, v161, v7
	v_dual_cndmask_b32 v149, v149, v7 :: v_dual_cndmask_b32 v148, v148, v6
	s_delay_alu instid0(VALU_DEP_2) | instskip(NEXT) | instid1(VALU_DEP_3)
	v_cndmask_b32_e64 v151, v150, v147, s19
	v_cndmask_b32_e64 v150, v9, v146, s19
	s_delay_alu instid0(VALU_DEP_3) | instskip(NEXT) | instid1(VALU_DEP_4)
	v_cndmask_b32_e64 v149, v149, v147, s19
	v_cndmask_b32_e64 v148, v148, v146, s19
	s_delay_alu instid0(VALU_DEP_3) | instskip(NEXT) | instid1(VALU_DEP_2)
	v_cmp_class_f64_e64 s19, v[150:151], 0x1f8
	v_cmp_neq_f64_e32 vcc_lo, v[150:151], v[148:149]
	s_delay_alu instid0(VALU_DEP_2) | instskip(NEXT) | instid1(SALU_CYCLE_1)
	s_or_b32 s19, vcc_lo, s19
	s_and_saveexec_b32 s20, s19
	s_delay_alu instid0(SALU_CYCLE_1)
	s_xor_b32 s20, exec_lo, s20
	s_cbranch_execz .LBB56_161
; %bb.207:                              ;   in Loop: Header=BB56_162 Depth=1
	v_add_f64 v[6:7], v[150:151], -v[148:149]
	s_mov_b32 s67, s53
	s_mov_b32 s68, s26
	;; [unrolled: 1-line block ×3, first 2 shown]
	s_delay_alu instid0(VALU_DEP_1) | instskip(SKIP_2) | instid1(VALU_DEP_3)
	v_mul_f64 v[150:151], v[6:7], s[24:25]
	v_cmp_nlt_f64_e32 vcc_lo, 0x40900000, v[6:7]
	v_cmp_ngt_f64_e64 s19, 0xc090cc00, v[6:7]
	v_rndne_f64_e32 v[150:151], v[150:151]
	s_delay_alu instid0(VALU_DEP_1) | instskip(SKIP_1) | instid1(VALU_DEP_2)
	v_fma_f64 v[160:161], v[150:151], s[26:27], v[6:7]
	v_cvt_i32_f64_e32 v9, v[150:151]
	v_fma_f64 v[160:161], v[150:151], s[28:29], v[160:161]
	s_delay_alu instid0(VALU_DEP_1) | instskip(NEXT) | instid1(VALU_DEP_1)
	v_fma_f64 v[162:163], v[160:161], s[34:35], s[30:31]
	v_fma_f64 v[162:163], v[160:161], v[162:163], s[36:37]
	s_delay_alu instid0(VALU_DEP_1) | instskip(NEXT) | instid1(VALU_DEP_1)
	v_fma_f64 v[162:163], v[160:161], v[162:163], s[38:39]
	;; [unrolled: 3-line block ×5, first 2 shown]
	v_fma_f64 v[162:163], v[160:161], v[162:163], 1.0
	s_delay_alu instid0(VALU_DEP_1) | instskip(NEXT) | instid1(VALU_DEP_1)
	v_fma_f64 v[150:151], v[160:161], v[162:163], 1.0
	v_ldexp_f64 v[150:151], v[150:151], v9
	s_delay_alu instid0(VALU_DEP_1) | instskip(SKIP_1) | instid1(VALU_DEP_2)
	v_cndmask_b32_e32 v9, 0x7ff00000, v151, vcc_lo
	s_and_b32 vcc_lo, s19, vcc_lo
	v_cndmask_b32_e32 v6, 0, v150, vcc_lo
	s_delay_alu instid0(VALU_DEP_2) | instskip(NEXT) | instid1(VALU_DEP_1)
	v_cndmask_b32_e64 v7, 0, v9, s19
	v_add_f64 v[150:151], v[6:7], 1.0
	s_delay_alu instid0(VALU_DEP_1) | instskip(SKIP_2) | instid1(VALU_DEP_3)
	v_frexp_mant_f64_e32 v[160:161], v[150:151]
	v_frexp_exp_i32_f64_e32 v9, v[150:151]
	v_add_f64 v[162:163], v[150:151], -1.0
	v_cmp_gt_f64_e32 vcc_lo, s[52:53], v[160:161]
	s_delay_alu instid0(VALU_DEP_2) | instskip(SKIP_2) | instid1(VALU_DEP_3)
	v_add_f64 v[160:161], v[162:163], -v[150:151]
	v_add_f64 v[162:163], v[6:7], -v[162:163]
	v_subrev_co_ci_u32_e32 v9, vcc_lo, 0, v9, vcc_lo
	v_add_f64 v[160:161], v[160:161], 1.0
	v_cmp_eq_f64_e32 vcc_lo, 0x7ff00000, v[6:7]
	s_delay_alu instid0(VALU_DEP_3) | instskip(NEXT) | instid1(VALU_DEP_1)
	v_sub_nc_u32_e32 v166, 0, v9
	v_ldexp_f64 v[150:151], v[150:151], v166
	s_delay_alu instid0(VALU_DEP_4) | instskip(NEXT) | instid1(VALU_DEP_2)
	v_add_f64 v[160:161], v[162:163], v[160:161]
	v_add_f64 v[164:165], v[150:151], 1.0
	v_add_f64 v[242:243], v[150:151], -1.0
	s_delay_alu instid0(VALU_DEP_3) | instskip(NEXT) | instid1(VALU_DEP_3)
	v_ldexp_f64 v[160:161], v[160:161], v166
	v_add_f64 v[162:163], v[164:165], -1.0
	s_delay_alu instid0(VALU_DEP_3) | instskip(NEXT) | instid1(VALU_DEP_2)
	v_add_f64 v[244:245], v[242:243], 1.0
	v_add_f64 v[162:163], v[150:151], -v[162:163]
	s_delay_alu instid0(VALU_DEP_2) | instskip(NEXT) | instid1(VALU_DEP_2)
	v_add_f64 v[150:151], v[150:151], -v[244:245]
	v_add_f64 v[162:163], v[160:161], v[162:163]
	s_delay_alu instid0(VALU_DEP_2) | instskip(NEXT) | instid1(VALU_DEP_2)
	v_add_f64 v[150:151], v[160:161], v[150:151]
	v_add_f64 v[230:231], v[164:165], v[162:163]
	s_delay_alu instid0(VALU_DEP_2) | instskip(NEXT) | instid1(VALU_DEP_2)
	v_add_f64 v[244:245], v[242:243], v[150:151]
	v_rcp_f64_e32 v[240:241], v[230:231]
	v_add_f64 v[164:165], v[230:231], -v[164:165]
	s_delay_alu instid0(VALU_DEP_2) | instskip(NEXT) | instid1(VALU_DEP_2)
	v_add_f64 v[242:243], v[244:245], -v[242:243]
	v_add_f64 v[162:163], v[162:163], -v[164:165]
	s_waitcnt_depctr 0xfff
	v_fma_f64 v[246:247], -v[230:231], v[240:241], 1.0
	v_add_f64 v[150:151], v[150:151], -v[242:243]
	s_delay_alu instid0(VALU_DEP_2) | instskip(NEXT) | instid1(VALU_DEP_1)
	v_fma_f64 v[240:241], v[246:247], v[240:241], v[240:241]
	v_fma_f64 v[160:161], -v[230:231], v[240:241], 1.0
	s_delay_alu instid0(VALU_DEP_1) | instskip(NEXT) | instid1(VALU_DEP_1)
	v_fma_f64 v[160:161], v[160:161], v[240:241], v[240:241]
	v_mul_f64 v[240:241], v[244:245], v[160:161]
	s_delay_alu instid0(VALU_DEP_1) | instskip(NEXT) | instid1(VALU_DEP_1)
	v_mul_f64 v[246:247], v[230:231], v[240:241]
	v_fma_f64 v[164:165], v[240:241], v[230:231], -v[246:247]
	s_delay_alu instid0(VALU_DEP_1) | instskip(NEXT) | instid1(VALU_DEP_1)
	v_fma_f64 v[164:165], v[240:241], v[162:163], v[164:165]
	v_add_f64 v[40:41], v[246:247], v[164:165]
	s_delay_alu instid0(VALU_DEP_1) | instskip(SKIP_1) | instid1(VALU_DEP_2)
	v_add_f64 v[42:43], v[244:245], -v[40:41]
	v_add_f64 v[242:243], v[40:41], -v[246:247]
	v_add_f64 v[244:245], v[244:245], -v[42:43]
	s_delay_alu instid0(VALU_DEP_2) | instskip(NEXT) | instid1(VALU_DEP_2)
	v_add_f64 v[164:165], v[242:243], -v[164:165]
	v_add_f64 v[244:245], v[244:245], -v[40:41]
	s_delay_alu instid0(VALU_DEP_1) | instskip(NEXT) | instid1(VALU_DEP_1)
	v_add_f64 v[150:151], v[150:151], v[244:245]
	v_add_f64 v[150:151], v[164:165], v[150:151]
	s_delay_alu instid0(VALU_DEP_1) | instskip(NEXT) | instid1(VALU_DEP_1)
	v_add_f64 v[164:165], v[42:43], v[150:151]
	v_mul_f64 v[242:243], v[160:161], v[164:165]
	v_add_f64 v[40:41], v[42:43], -v[164:165]
	s_delay_alu instid0(VALU_DEP_2) | instskip(NEXT) | instid1(VALU_DEP_2)
	v_mul_f64 v[244:245], v[230:231], v[242:243]
	v_add_f64 v[150:151], v[150:151], v[40:41]
	s_delay_alu instid0(VALU_DEP_2) | instskip(NEXT) | instid1(VALU_DEP_1)
	v_fma_f64 v[230:231], v[242:243], v[230:231], -v[244:245]
	v_fma_f64 v[162:163], v[242:243], v[162:163], v[230:231]
	s_delay_alu instid0(VALU_DEP_1) | instskip(NEXT) | instid1(VALU_DEP_1)
	v_add_f64 v[230:231], v[244:245], v[162:163]
	v_add_f64 v[246:247], v[164:165], -v[230:231]
	v_add_f64 v[244:245], v[230:231], -v[244:245]
	s_delay_alu instid0(VALU_DEP_2) | instskip(NEXT) | instid1(VALU_DEP_2)
	v_add_f64 v[164:165], v[164:165], -v[246:247]
	v_add_f64 v[162:163], v[244:245], -v[162:163]
	s_delay_alu instid0(VALU_DEP_2) | instskip(NEXT) | instid1(VALU_DEP_1)
	v_add_f64 v[164:165], v[164:165], -v[230:231]
	v_add_f64 v[150:151], v[150:151], v[164:165]
	v_add_f64 v[164:165], v[240:241], v[242:243]
	s_delay_alu instid0(VALU_DEP_2) | instskip(NEXT) | instid1(VALU_DEP_2)
	v_add_f64 v[150:151], v[162:163], v[150:151]
	v_add_f64 v[162:163], v[164:165], -v[240:241]
	s_delay_alu instid0(VALU_DEP_2) | instskip(NEXT) | instid1(VALU_DEP_2)
	v_add_f64 v[150:151], v[246:247], v[150:151]
	v_add_f64 v[162:163], v[242:243], -v[162:163]
	s_delay_alu instid0(VALU_DEP_2) | instskip(NEXT) | instid1(VALU_DEP_1)
	v_mul_f64 v[150:151], v[160:161], v[150:151]
	v_add_f64 v[150:151], v[162:163], v[150:151]
	s_delay_alu instid0(VALU_DEP_1) | instskip(NEXT) | instid1(VALU_DEP_1)
	v_add_f64 v[160:161], v[164:165], v[150:151]
	v_mul_f64 v[162:163], v[160:161], v[160:161]
	s_delay_alu instid0(VALU_DEP_1) | instskip(SKIP_1) | instid1(VALU_DEP_2)
	v_fma_f64 v[230:231], v[162:163], s[56:57], s[54:55]
	v_mul_f64 v[240:241], v[160:161], v[162:163]
	v_fma_f64 v[230:231], v[162:163], v[230:231], s[58:59]
	s_delay_alu instid0(VALU_DEP_1) | instskip(NEXT) | instid1(VALU_DEP_1)
	v_fma_f64 v[230:231], v[162:163], v[230:231], s[60:61]
	v_fma_f64 v[230:231], v[162:163], v[230:231], s[62:63]
	s_delay_alu instid0(VALU_DEP_1) | instskip(NEXT) | instid1(VALU_DEP_1)
	v_fma_f64 v[230:231], v[162:163], v[230:231], s[64:65]
	v_fma_f64 v[162:163], v[162:163], v[230:231], s[66:67]
	v_ldexp_f64 v[230:231], v[160:161], 1
	v_add_f64 v[160:161], v[160:161], -v[164:165]
	s_delay_alu instid0(VALU_DEP_3) | instskip(SKIP_1) | instid1(VALU_DEP_3)
	v_mul_f64 v[162:163], v[240:241], v[162:163]
	v_cvt_f64_i32_e32 v[240:241], v9
	v_add_f64 v[150:151], v[150:151], -v[160:161]
	s_delay_alu instid0(VALU_DEP_3) | instskip(NEXT) | instid1(VALU_DEP_3)
	v_add_f64 v[164:165], v[230:231], v[162:163]
	v_mul_f64 v[242:243], v[240:241], s[68:69]
	s_delay_alu instid0(VALU_DEP_3) | instskip(NEXT) | instid1(VALU_DEP_3)
	v_ldexp_f64 v[150:151], v[150:151], 1
	v_add_f64 v[160:161], v[164:165], -v[230:231]
	s_delay_alu instid0(VALU_DEP_3) | instskip(NEXT) | instid1(VALU_DEP_2)
	v_fma_f64 v[230:231], v[240:241], s[68:69], -v[242:243]
	v_add_f64 v[160:161], v[162:163], -v[160:161]
	s_delay_alu instid0(VALU_DEP_2) | instskip(NEXT) | instid1(VALU_DEP_2)
	v_fma_f64 v[162:163], v[240:241], s[70:71], v[230:231]
	v_add_f64 v[150:151], v[150:151], v[160:161]
	s_delay_alu instid0(VALU_DEP_2) | instskip(NEXT) | instid1(VALU_DEP_2)
	v_add_f64 v[160:161], v[242:243], v[162:163]
	v_add_f64 v[230:231], v[164:165], v[150:151]
	s_delay_alu instid0(VALU_DEP_2) | instskip(NEXT) | instid1(VALU_DEP_2)
	v_add_f64 v[242:243], v[160:161], -v[242:243]
	v_add_f64 v[240:241], v[160:161], v[230:231]
	v_add_f64 v[164:165], v[230:231], -v[164:165]
	s_delay_alu instid0(VALU_DEP_3) | instskip(NEXT) | instid1(VALU_DEP_3)
	v_add_f64 v[162:163], v[162:163], -v[242:243]
	v_add_f64 v[244:245], v[240:241], -v[160:161]
	s_delay_alu instid0(VALU_DEP_3) | instskip(NEXT) | instid1(VALU_DEP_2)
	v_add_f64 v[150:151], v[150:151], -v[164:165]
	v_add_f64 v[246:247], v[240:241], -v[244:245]
	;; [unrolled: 1-line block ×3, first 2 shown]
	s_delay_alu instid0(VALU_DEP_3) | instskip(NEXT) | instid1(VALU_DEP_3)
	v_add_f64 v[230:231], v[162:163], v[150:151]
	v_add_f64 v[160:161], v[160:161], -v[246:247]
	s_delay_alu instid0(VALU_DEP_1) | instskip(NEXT) | instid1(VALU_DEP_3)
	v_add_f64 v[160:161], v[164:165], v[160:161]
	v_add_f64 v[164:165], v[230:231], -v[162:163]
	s_delay_alu instid0(VALU_DEP_2) | instskip(NEXT) | instid1(VALU_DEP_2)
	v_add_f64 v[160:161], v[230:231], v[160:161]
	v_add_f64 v[230:231], v[230:231], -v[164:165]
	v_add_f64 v[150:151], v[150:151], -v[164:165]
	s_delay_alu instid0(VALU_DEP_3) | instskip(NEXT) | instid1(VALU_DEP_3)
	v_add_f64 v[242:243], v[240:241], v[160:161]
	v_add_f64 v[162:163], v[162:163], -v[230:231]
	s_delay_alu instid0(VALU_DEP_2) | instskip(NEXT) | instid1(VALU_DEP_2)
	v_add_f64 v[164:165], v[242:243], -v[240:241]
	v_add_f64 v[150:151], v[150:151], v[162:163]
	s_delay_alu instid0(VALU_DEP_2) | instskip(NEXT) | instid1(VALU_DEP_1)
	v_add_f64 v[160:161], v[160:161], -v[164:165]
	v_add_f64 v[150:151], v[150:151], v[160:161]
	s_delay_alu instid0(VALU_DEP_1) | instskip(NEXT) | instid1(VALU_DEP_1)
	v_add_f64 v[150:151], v[242:243], v[150:151]
	v_dual_cndmask_b32 v9, v150, v6 :: v_dual_cndmask_b32 v150, v151, v7
	v_cmp_ngt_f64_e32 vcc_lo, -1.0, v[6:7]
	s_delay_alu instid0(VALU_DEP_2) | instskip(SKIP_1) | instid1(VALU_DEP_4)
	v_cndmask_b32_e32 v151, 0x7ff80000, v150, vcc_lo
	v_cmp_nge_f64_e32 vcc_lo, -1.0, v[6:7]
	v_cndmask_b32_e32 v150, 0, v9, vcc_lo
	v_cmp_neq_f64_e32 vcc_lo, -1.0, v[6:7]
	s_delay_alu instid0(VALU_DEP_4) | instskip(NEXT) | instid1(VALU_DEP_1)
	v_cndmask_b32_e32 v151, 0xfff00000, v151, vcc_lo
	v_add_f64 v[6:7], v[148:149], v[150:151]
	s_branch .LBB56_161
.LBB56_208:
	s_and_saveexec_b32 s28, s18
	s_cbranch_execz .LBB56_219
; %bb.209:
	v_max_f64 v[6:7], v[4:5], v[4:5]
	v_max_f64 v[8:9], v[146:147], v[146:147]
	v_cmp_u_f64_e32 vcc_lo, v[146:147], v[146:147]
	v_cmp_u_f64_e64 s19, v[4:5], v[4:5]
	s_delay_alu instid0(VALU_DEP_3) | instskip(SKIP_1) | instid1(VALU_DEP_2)
	v_min_f64 v[144:145], v[8:9], v[6:7]
	v_max_f64 v[6:7], v[8:9], v[6:7]
	v_dual_cndmask_b32 v8, v144, v146 :: v_dual_cndmask_b32 v9, v145, v147
	s_delay_alu instid0(VALU_DEP_2) | instskip(NEXT) | instid1(VALU_DEP_2)
	v_dual_cndmask_b32 v7, v7, v147 :: v_dual_cndmask_b32 v6, v6, v146
	v_cndmask_b32_e64 v8, v8, v4, s19
	s_delay_alu instid0(VALU_DEP_3) | instskip(NEXT) | instid1(VALU_DEP_3)
	v_cndmask_b32_e64 v9, v9, v5, s19
	v_cndmask_b32_e64 v7, v7, v5, s19
	s_delay_alu instid0(VALU_DEP_4) | instskip(SKIP_1) | instid1(VALU_DEP_4)
	v_cndmask_b32_e64 v6, v6, v4, s19
	v_dual_mov_b32 v4, v146 :: v_dual_mov_b32 v5, v147
	v_cmp_class_f64_e64 s19, v[8:9], 0x1f8
	s_delay_alu instid0(VALU_DEP_3) | instskip(NEXT) | instid1(VALU_DEP_2)
	v_cmp_neq_f64_e32 vcc_lo, v[8:9], v[6:7]
	s_or_b32 s19, vcc_lo, s19
	s_delay_alu instid0(SALU_CYCLE_1)
	s_and_saveexec_b32 s29, s19
	s_cbranch_execz .LBB56_211
; %bb.210:
	v_add_f64 v[4:5], v[8:9], -v[6:7]
	s_mov_b32 s20, 0x652b82fe
	s_mov_b32 s21, 0x3ff71547
	;; [unrolled: 1-line block ×5, first 2 shown]
	s_mov_b32 vcc_lo, 0x6a5dcb37
	s_mov_b32 s27, 0x3e928af3
	s_mov_b32 vcc_hi, 0x3e5ade15
	s_mov_b32 s30, 0xbf559e2b
	s_mov_b32 s31, 0x3fc3ab76
	s_delay_alu instid0(VALU_DEP_1) | instskip(SKIP_3) | instid1(VALU_DEP_2)
	v_mul_f64 v[8:9], v[4:5], s[20:21]
	s_mov_b32 s21, 0xbfe62e42
	s_mov_b32 s20, 0xfefa39ef
	v_cmp_ngt_f64_e64 s19, 0xc090cc00, v[4:5]
	v_rndne_f64_e32 v[8:9], v[8:9]
	s_delay_alu instid0(VALU_DEP_1) | instskip(SKIP_2) | instid1(VALU_DEP_2)
	v_fma_f64 v[144:145], v[8:9], s[20:21], v[4:5]
	v_cvt_i32_f64_e32 v150, v[8:9]
	s_mov_b32 s21, 0x3fe62e42
	v_fma_f64 v[144:145], v[8:9], s[24:25], v[144:145]
	s_mov_b32 s25, 0x3c7abc9e
	s_delay_alu instid0(VALU_DEP_1) | instskip(SKIP_3) | instid1(VALU_DEP_2)
	v_fma_f64 v[148:149], v[144:145], vcc, s[26:27]
	s_mov_b32 s26, 0x623fde64
	s_mov_b32 s27, 0x3ec71dee
	v_cmp_nlt_f64_e32 vcc_lo, 0x40900000, v[4:5]
	v_fma_f64 v[148:149], v[144:145], v[148:149], s[26:27]
	s_mov_b32 s26, 0x7c89e6b0
	s_mov_b32 s27, 0x3efa0199
	s_delay_alu instid0(VALU_DEP_1) | instid1(SALU_CYCLE_1)
	v_fma_f64 v[148:149], v[144:145], v[148:149], s[26:27]
	s_mov_b32 s26, 0x14761f6e
	s_mov_b32 s27, 0x3f2a01a0
	s_delay_alu instid0(VALU_DEP_1) | instid1(SALU_CYCLE_1)
	;; [unrolled: 4-line block ×7, first 2 shown]
	v_fma_f64 v[148:149], v[144:145], v[148:149], s[26:27]
	s_mov_b32 s27, 0x3fe55555
	s_mov_b32 s26, 0x55555555
	s_delay_alu instid0(VALU_DEP_1) | instskip(NEXT) | instid1(VALU_DEP_1)
	v_fma_f64 v[148:149], v[144:145], v[148:149], 1.0
	v_fma_f64 v[8:9], v[144:145], v[148:149], 1.0
	s_delay_alu instid0(VALU_DEP_1) | instskip(NEXT) | instid1(VALU_DEP_1)
	v_ldexp_f64 v[8:9], v[8:9], v150
	v_cndmask_b32_e32 v9, 0x7ff00000, v9, vcc_lo
	s_and_b32 vcc_lo, s19, vcc_lo
	s_delay_alu instid0(VALU_DEP_1) | instskip(NEXT) | instid1(VALU_DEP_3)
	v_cndmask_b32_e64 v5, 0, v9, s19
	v_cndmask_b32_e32 v4, 0, v8, vcc_lo
	s_delay_alu instid0(VALU_DEP_1) | instskip(NEXT) | instid1(VALU_DEP_1)
	v_add_f64 v[8:9], v[4:5], 1.0
	v_frexp_mant_f64_e32 v[144:145], v[8:9]
	v_frexp_exp_i32_f64_e32 v150, v[8:9]
	v_add_f64 v[148:149], v[8:9], -1.0
	s_delay_alu instid0(VALU_DEP_3) | instskip(SKIP_1) | instid1(VALU_DEP_2)
	v_cmp_gt_f64_e32 vcc_lo, s[26:27], v[144:145]
	s_mov_b32 s26, 0x55555780
	v_add_f64 v[144:145], v[148:149], -v[8:9]
	v_add_f64 v[148:149], v[4:5], -v[148:149]
	v_subrev_co_ci_u32_e32 v166, vcc_lo, 0, v150, vcc_lo
	s_delay_alu instid0(VALU_DEP_3) | instskip(SKIP_2) | instid1(VALU_DEP_2)
	v_add_f64 v[144:145], v[144:145], 1.0
	s_mov_b32 vcc_lo, 0x6b47b09a
	s_mov_b32 vcc_hi, 0x3fc38538
	v_sub_nc_u32_e32 v160, 0, v166
	s_delay_alu instid0(VALU_DEP_1) | instskip(NEXT) | instid1(VALU_DEP_3)
	v_ldexp_f64 v[8:9], v[8:9], v160
	v_add_f64 v[144:145], v[148:149], v[144:145]
	s_delay_alu instid0(VALU_DEP_2) | instskip(SKIP_1) | instid1(VALU_DEP_3)
	v_add_f64 v[150:151], v[8:9], 1.0
	v_add_f64 v[164:165], v[8:9], -1.0
	v_ldexp_f64 v[144:145], v[144:145], v160
	s_delay_alu instid0(VALU_DEP_3) | instskip(NEXT) | instid1(VALU_DEP_3)
	v_add_f64 v[148:149], v[150:151], -1.0
	v_add_f64 v[212:213], v[164:165], 1.0
	s_delay_alu instid0(VALU_DEP_2) | instskip(NEXT) | instid1(VALU_DEP_2)
	v_add_f64 v[148:149], v[8:9], -v[148:149]
	v_add_f64 v[8:9], v[8:9], -v[212:213]
	s_delay_alu instid0(VALU_DEP_2) | instskip(NEXT) | instid1(VALU_DEP_2)
	v_add_f64 v[148:149], v[144:145], v[148:149]
	v_add_f64 v[8:9], v[144:145], v[8:9]
	s_delay_alu instid0(VALU_DEP_2) | instskip(NEXT) | instid1(VALU_DEP_2)
	v_add_f64 v[160:161], v[150:151], v[148:149]
	v_add_f64 v[212:213], v[164:165], v[8:9]
	s_delay_alu instid0(VALU_DEP_2) | instskip(SKIP_1) | instid1(VALU_DEP_2)
	v_rcp_f64_e32 v[162:163], v[160:161]
	v_add_f64 v[150:151], v[160:161], -v[150:151]
	v_add_f64 v[164:165], v[212:213], -v[164:165]
	s_delay_alu instid0(VALU_DEP_2) | instskip(SKIP_3) | instid1(VALU_DEP_2)
	v_add_f64 v[148:149], v[148:149], -v[150:151]
	s_waitcnt_depctr 0xfff
	v_fma_f64 v[214:215], -v[160:161], v[162:163], 1.0
	v_add_f64 v[8:9], v[8:9], -v[164:165]
	v_fma_f64 v[162:163], v[214:215], v[162:163], v[162:163]
	s_delay_alu instid0(VALU_DEP_1) | instskip(NEXT) | instid1(VALU_DEP_1)
	v_fma_f64 v[144:145], -v[160:161], v[162:163], 1.0
	v_fma_f64 v[144:145], v[144:145], v[162:163], v[162:163]
	s_delay_alu instid0(VALU_DEP_1) | instskip(NEXT) | instid1(VALU_DEP_1)
	v_mul_f64 v[162:163], v[212:213], v[144:145]
	v_mul_f64 v[214:215], v[160:161], v[162:163]
	s_delay_alu instid0(VALU_DEP_1) | instskip(NEXT) | instid1(VALU_DEP_1)
	v_fma_f64 v[150:151], v[162:163], v[160:161], -v[214:215]
	v_fma_f64 v[150:151], v[162:163], v[148:149], v[150:151]
	s_delay_alu instid0(VALU_DEP_1) | instskip(NEXT) | instid1(VALU_DEP_1)
	v_add_f64 v[224:225], v[214:215], v[150:151]
	v_add_f64 v[226:227], v[212:213], -v[224:225]
	v_add_f64 v[164:165], v[224:225], -v[214:215]
	s_delay_alu instid0(VALU_DEP_2) | instskip(NEXT) | instid1(VALU_DEP_2)
	v_add_f64 v[212:213], v[212:213], -v[226:227]
	v_add_f64 v[150:151], v[164:165], -v[150:151]
	s_delay_alu instid0(VALU_DEP_2) | instskip(NEXT) | instid1(VALU_DEP_1)
	v_add_f64 v[212:213], v[212:213], -v[224:225]
	v_add_f64 v[8:9], v[8:9], v[212:213]
	s_delay_alu instid0(VALU_DEP_1) | instskip(NEXT) | instid1(VALU_DEP_1)
	v_add_f64 v[8:9], v[150:151], v[8:9]
	v_add_f64 v[150:151], v[226:227], v[8:9]
	s_delay_alu instid0(VALU_DEP_1) | instskip(SKIP_1) | instid1(VALU_DEP_2)
	v_mul_f64 v[164:165], v[144:145], v[150:151]
	v_add_f64 v[224:225], v[226:227], -v[150:151]
	v_mul_f64 v[212:213], v[160:161], v[164:165]
	s_delay_alu instid0(VALU_DEP_2) | instskip(NEXT) | instid1(VALU_DEP_2)
	v_add_f64 v[8:9], v[8:9], v[224:225]
	v_fma_f64 v[160:161], v[164:165], v[160:161], -v[212:213]
	s_delay_alu instid0(VALU_DEP_1) | instskip(NEXT) | instid1(VALU_DEP_1)
	v_fma_f64 v[148:149], v[164:165], v[148:149], v[160:161]
	v_add_f64 v[160:161], v[212:213], v[148:149]
	s_delay_alu instid0(VALU_DEP_1) | instskip(SKIP_1) | instid1(VALU_DEP_2)
	v_add_f64 v[214:215], v[150:151], -v[160:161]
	v_add_f64 v[212:213], v[160:161], -v[212:213]
	;; [unrolled: 1-line block ×3, first 2 shown]
	s_delay_alu instid0(VALU_DEP_2) | instskip(NEXT) | instid1(VALU_DEP_2)
	v_add_f64 v[148:149], v[212:213], -v[148:149]
	v_add_f64 v[150:151], v[150:151], -v[160:161]
	s_delay_alu instid0(VALU_DEP_1) | instskip(SKIP_1) | instid1(VALU_DEP_2)
	v_add_f64 v[8:9], v[8:9], v[150:151]
	v_add_f64 v[150:151], v[162:163], v[164:165]
	;; [unrolled: 1-line block ×3, first 2 shown]
	s_delay_alu instid0(VALU_DEP_2) | instskip(NEXT) | instid1(VALU_DEP_2)
	v_add_f64 v[148:149], v[150:151], -v[162:163]
	v_add_f64 v[8:9], v[214:215], v[8:9]
	s_delay_alu instid0(VALU_DEP_2) | instskip(NEXT) | instid1(VALU_DEP_2)
	v_add_f64 v[148:149], v[164:165], -v[148:149]
	v_mul_f64 v[8:9], v[144:145], v[8:9]
	s_delay_alu instid0(VALU_DEP_1) | instskip(NEXT) | instid1(VALU_DEP_1)
	v_add_f64 v[8:9], v[148:149], v[8:9]
	v_add_f64 v[144:145], v[150:151], v[8:9]
	s_delay_alu instid0(VALU_DEP_1) | instskip(NEXT) | instid1(VALU_DEP_1)
	v_mul_f64 v[148:149], v[144:145], v[144:145]
	v_fma_f64 v[160:161], v[148:149], s[30:31], vcc
	s_mov_b32 vcc_lo, 0xd7f4df2e
	s_mov_b32 vcc_hi, 0x3fc7474d
	v_mul_f64 v[162:163], v[144:145], v[148:149]
	s_delay_alu instid0(VALU_DEP_2)
	v_fma_f64 v[160:161], v[148:149], v[160:161], vcc
	s_mov_b32 vcc_lo, 0x16291751
	s_mov_b32 vcc_hi, 0x3fcc71c0
	s_delay_alu instid0(VALU_DEP_1) | instid1(SALU_CYCLE_1)
	v_fma_f64 v[160:161], v[148:149], v[160:161], vcc
	s_mov_b32 vcc_lo, 0x9b27acf1
	s_mov_b32 vcc_hi, 0x3fd24924
	s_delay_alu instid0(VALU_DEP_1) | instid1(SALU_CYCLE_1)
	;; [unrolled: 4-line block ×3, first 2 shown]
	v_fma_f64 v[160:161], v[148:149], v[160:161], vcc
	v_cmp_eq_f64_e32 vcc_lo, 0x7ff00000, v[4:5]
	s_delay_alu instid0(VALU_DEP_2) | instskip(SKIP_2) | instid1(VALU_DEP_3)
	v_fma_f64 v[148:149], v[148:149], v[160:161], s[26:27]
	v_ldexp_f64 v[160:161], v[144:145], 1
	v_add_f64 v[144:145], v[144:145], -v[150:151]
	v_mul_f64 v[148:149], v[162:163], v[148:149]
	v_cvt_f64_i32_e32 v[162:163], v166
	s_delay_alu instid0(VALU_DEP_3) | instskip(NEXT) | instid1(VALU_DEP_3)
	v_add_f64 v[8:9], v[8:9], -v[144:145]
	v_add_f64 v[150:151], v[160:161], v[148:149]
	s_delay_alu instid0(VALU_DEP_3) | instskip(NEXT) | instid1(VALU_DEP_3)
	v_mul_f64 v[164:165], v[162:163], s[20:21]
	v_ldexp_f64 v[8:9], v[8:9], 1
	s_delay_alu instid0(VALU_DEP_3) | instskip(NEXT) | instid1(VALU_DEP_3)
	v_add_f64 v[144:145], v[150:151], -v[160:161]
	v_fma_f64 v[160:161], v[162:163], s[20:21], -v[164:165]
	s_delay_alu instid0(VALU_DEP_2) | instskip(NEXT) | instid1(VALU_DEP_2)
	v_add_f64 v[144:145], v[148:149], -v[144:145]
	v_fma_f64 v[148:149], v[162:163], s[24:25], v[160:161]
	s_delay_alu instid0(VALU_DEP_2) | instskip(NEXT) | instid1(VALU_DEP_2)
	v_add_f64 v[8:9], v[8:9], v[144:145]
	v_add_f64 v[144:145], v[164:165], v[148:149]
	s_delay_alu instid0(VALU_DEP_2) | instskip(NEXT) | instid1(VALU_DEP_2)
	v_add_f64 v[160:161], v[150:151], v[8:9]
	v_add_f64 v[164:165], v[144:145], -v[164:165]
	s_delay_alu instid0(VALU_DEP_2) | instskip(SKIP_1) | instid1(VALU_DEP_3)
	v_add_f64 v[162:163], v[144:145], v[160:161]
	v_add_f64 v[150:151], v[160:161], -v[150:151]
	v_add_f64 v[148:149], v[148:149], -v[164:165]
	s_delay_alu instid0(VALU_DEP_3) | instskip(NEXT) | instid1(VALU_DEP_3)
	v_add_f64 v[212:213], v[162:163], -v[144:145]
	v_add_f64 v[8:9], v[8:9], -v[150:151]
	s_delay_alu instid0(VALU_DEP_2) | instskip(SKIP_1) | instid1(VALU_DEP_3)
	v_add_f64 v[214:215], v[162:163], -v[212:213]
	v_add_f64 v[150:151], v[160:161], -v[212:213]
	v_add_f64 v[160:161], v[148:149], v[8:9]
	s_delay_alu instid0(VALU_DEP_3) | instskip(NEXT) | instid1(VALU_DEP_1)
	v_add_f64 v[144:145], v[144:145], -v[214:215]
	v_add_f64 v[144:145], v[150:151], v[144:145]
	s_delay_alu instid0(VALU_DEP_3) | instskip(NEXT) | instid1(VALU_DEP_2)
	v_add_f64 v[150:151], v[160:161], -v[148:149]
	v_add_f64 v[144:145], v[160:161], v[144:145]
	s_delay_alu instid0(VALU_DEP_2) | instskip(SKIP_1) | instid1(VALU_DEP_3)
	v_add_f64 v[160:161], v[160:161], -v[150:151]
	v_add_f64 v[8:9], v[8:9], -v[150:151]
	v_add_f64 v[164:165], v[162:163], v[144:145]
	s_delay_alu instid0(VALU_DEP_3) | instskip(NEXT) | instid1(VALU_DEP_2)
	v_add_f64 v[148:149], v[148:149], -v[160:161]
	v_add_f64 v[150:151], v[164:165], -v[162:163]
	s_delay_alu instid0(VALU_DEP_2) | instskip(NEXT) | instid1(VALU_DEP_2)
	v_add_f64 v[8:9], v[8:9], v[148:149]
	v_add_f64 v[144:145], v[144:145], -v[150:151]
	s_delay_alu instid0(VALU_DEP_1) | instskip(NEXT) | instid1(VALU_DEP_1)
	v_add_f64 v[8:9], v[8:9], v[144:145]
	v_add_f64 v[8:9], v[164:165], v[8:9]
	s_delay_alu instid0(VALU_DEP_1) | instskip(SKIP_1) | instid1(VALU_DEP_2)
	v_dual_cndmask_b32 v9, v9, v5 :: v_dual_cndmask_b32 v8, v8, v4
	v_cmp_ngt_f64_e32 vcc_lo, -1.0, v[4:5]
	v_cndmask_b32_e32 v9, 0x7ff80000, v9, vcc_lo
	v_cmp_nge_f64_e32 vcc_lo, -1.0, v[4:5]
	s_delay_alu instid0(VALU_DEP_4) | instskip(SKIP_1) | instid1(VALU_DEP_4)
	v_cndmask_b32_e32 v8, 0, v8, vcc_lo
	v_cmp_neq_f64_e32 vcc_lo, -1.0, v[4:5]
	v_cndmask_b32_e32 v9, 0xfff00000, v9, vcc_lo
	s_delay_alu instid0(VALU_DEP_1)
	v_add_f64 v[4:5], v[6:7], v[8:9]
.LBB56_211:
	s_or_b32 exec_lo, exec_lo, s29
	s_add_i32 s20, s12, 32
	s_mov_b32 s21, 0
	s_mov_b32 s12, exec_lo
	s_lshl_b64 s[20:21], s[20:21], 4
	s_delay_alu instid0(SALU_CYCLE_1)
	v_add_co_u32 v8, vcc_lo, v116, s20
	v_add_co_ci_u32_e32 v9, vcc_lo, s21, v117, vcc_lo
	s_mov_b64 s[20:21], src_shared_base
	s_delay_alu instid0(VALU_DEP_1) | instid1(SALU_CYCLE_1)
	v_cmpx_ne_u32_e64 s21, v9
	s_xor_b32 s12, exec_lo, s12
	s_cbranch_execz .LBB56_217
; %bb.212:
	s_mov_b64 s[20:21], src_private_base
	s_mov_b32 s19, exec_lo
	v_cmpx_ne_u32_e64 s21, v9
	s_xor_b32 s19, exec_lo, s19
	s_cbranch_execz .LBB56_214
; %bb.213:
	v_dual_mov_b32 v7, 0 :: v_dual_mov_b32 v6, 2
	;;#ASMSTART
	global_store_dwordx4 v[8:9], v[4:7] off	
s_waitcnt vmcnt(0)
	;;#ASMEND
                                        ; implicit-def: $vgpr4_vgpr5
                                        ; implicit-def: $vgpr8_vgpr9
.LBB56_214:
	s_and_not1_saveexec_b32 s19, s19
	s_cbranch_execz .LBB56_216
; %bb.215:
	v_dual_mov_b32 v7, 0 :: v_dual_mov_b32 v6, 2
	;;#ASMSTART
	flat_store_dwordx4 v[8:9], v[4:7] 	
s_waitcnt vmcnt(0)
	;;#ASMEND
.LBB56_216:
	s_or_b32 exec_lo, exec_lo, s19
                                        ; implicit-def: $vgpr8_vgpr9
                                        ; implicit-def: $vgpr4_vgpr5
.LBB56_217:
	s_and_not1_saveexec_b32 s12, s12
	s_cbranch_execz .LBB56_219
; %bb.218:
	v_cmp_ne_u64_e32 vcc_lo, 0, v[8:9]
	v_dual_mov_b32 v6, 2 :: v_dual_mov_b32 v7, 0
	v_cndmask_b32_e32 v8, -1, v8, vcc_lo
	;;#ASMSTART
	ds_write_b128 v8, v[4:7] 	
s_waitcnt lgkmcnt(0)
	;;#ASMEND
.LBB56_219:
	s_or_b32 exec_lo, exec_lo, s28
	v_cmp_eq_u32_e32 vcc_lo, 0, v128
	s_and_b32 exec_lo, exec_lo, vcc_lo
	s_cbranch_execz .LBB56_221
; %bb.220:
	v_mov_b32_e32 v4, 0
	ds_store_b64 v4, v[146:147] offset:56
.LBB56_221:
	s_or_b32 exec_lo, exec_lo, s72
	v_dual_mov_b32 v4, 0 :: v_dual_mov_b32 v9, v1
	s_waitcnt lgkmcnt(0)
	s_barrier
	buffer_gl0_inv
	ds_load_b64 v[4:5], v4 offset:56
	v_mov_b32_e32 v8, v0
	s_mov_b32 s26, exec_lo
	v_cmpx_ne_u32_e32 0, v128
	s_cbranch_execz .LBB56_225
; %bb.222:
	v_cndmask_b32_e64 v9, v211, v134, s18
	v_cndmask_b32_e64 v8, v210, v133, s18
	s_delay_alu instid0(VALU_DEP_1) | instskip(SKIP_1) | instid1(VALU_DEP_2)
	v_max_f64 v[6:7], v[8:9], v[8:9]
	v_cmp_u_f64_e32 vcc_lo, v[8:9], v[8:9]
	v_min_f64 v[133:134], v[6:7], v[131:132]
	v_max_f64 v[6:7], v[6:7], v[131:132]
	s_delay_alu instid0(VALU_DEP_2) | instskip(NEXT) | instid1(VALU_DEP_2)
	v_dual_cndmask_b32 v131, v133, v8 :: v_dual_cndmask_b32 v132, v134, v9
	v_dual_cndmask_b32 v7, v7, v9 :: v_dual_cndmask_b32 v6, v6, v8
	s_delay_alu instid0(VALU_DEP_2) | instskip(NEXT) | instid1(VALU_DEP_3)
	v_cndmask_b32_e64 v131, v131, v0, s17
	v_cndmask_b32_e64 v132, v132, v1, s17
	s_delay_alu instid0(VALU_DEP_3) | instskip(NEXT) | instid1(VALU_DEP_4)
	v_cndmask_b32_e64 v7, v7, v1, s17
	v_cndmask_b32_e64 v6, v6, v0, s17
	s_delay_alu instid0(VALU_DEP_3) | instskip(NEXT) | instid1(VALU_DEP_2)
	v_cmp_class_f64_e64 s12, v[131:132], 0x1f8
	v_cmp_neq_f64_e32 vcc_lo, v[131:132], v[6:7]
	s_delay_alu instid0(VALU_DEP_2) | instskip(NEXT) | instid1(SALU_CYCLE_1)
	s_or_b32 s12, vcc_lo, s12
	s_and_saveexec_b32 s17, s12
	s_cbranch_execz .LBB56_224
; %bb.223:
	v_add_f64 v[8:9], v[131:132], -v[6:7]
	s_mov_b32 s18, 0x652b82fe
	s_mov_b32 s19, 0x3ff71547
	;; [unrolled: 1-line block ×8, first 2 shown]
	s_delay_alu instid0(VALU_DEP_1) | instskip(SKIP_4) | instid1(VALU_DEP_3)
	v_mul_f64 v[131:132], v[8:9], s[18:19]
	s_mov_b32 s19, 0xbfe62e42
	s_mov_b32 s18, 0xfefa39ef
	v_cmp_nlt_f64_e32 vcc_lo, 0x40900000, v[8:9]
	v_cmp_ngt_f64_e64 s12, 0xc090cc00, v[8:9]
	v_rndne_f64_e32 v[131:132], v[131:132]
	s_delay_alu instid0(VALU_DEP_1) | instskip(SKIP_2) | instid1(VALU_DEP_2)
	v_fma_f64 v[133:134], v[131:132], s[18:19], v[8:9]
	v_cvt_i32_f64_e32 v146, v[131:132]
	s_mov_b32 s19, 0x3fe62e42
	v_fma_f64 v[133:134], v[131:132], s[20:21], v[133:134]
	s_mov_b32 s21, 0x3c7abc9e
	s_delay_alu instid0(VALU_DEP_1) | instskip(SKIP_4) | instid1(VALU_DEP_1)
	v_fma_f64 v[144:145], v[133:134], s[28:29], s[24:25]
	s_mov_b32 s24, 0x623fde64
	s_mov_b32 s25, 0x3ec71dee
	;; [unrolled: 1-line block ×4, first 2 shown]
	v_fma_f64 v[144:145], v[133:134], v[144:145], s[24:25]
	s_mov_b32 s24, 0x7c89e6b0
	s_mov_b32 s25, 0x3efa0199
	s_delay_alu instid0(VALU_DEP_1) | instid1(SALU_CYCLE_1)
	v_fma_f64 v[144:145], v[133:134], v[144:145], s[24:25]
	s_mov_b32 s24, 0x14761f6e
	s_mov_b32 s25, 0x3f2a01a0
	s_delay_alu instid0(VALU_DEP_1) | instid1(SALU_CYCLE_1)
	;; [unrolled: 4-line block ×7, first 2 shown]
	v_fma_f64 v[144:145], v[133:134], v[144:145], s[24:25]
	s_mov_b32 s25, 0x3fe55555
	s_mov_b32 s24, 0x55555555
	s_delay_alu instid0(VALU_DEP_1) | instskip(NEXT) | instid1(VALU_DEP_1)
	v_fma_f64 v[144:145], v[133:134], v[144:145], 1.0
	v_fma_f64 v[131:132], v[133:134], v[144:145], 1.0
	s_delay_alu instid0(VALU_DEP_1) | instskip(NEXT) | instid1(VALU_DEP_1)
	v_ldexp_f64 v[131:132], v[131:132], v146
	v_cndmask_b32_e32 v132, 0x7ff00000, v132, vcc_lo
	s_and_b32 vcc_lo, s12, vcc_lo
	s_delay_alu instid0(VALU_DEP_2) | instskip(NEXT) | instid1(VALU_DEP_2)
	v_cndmask_b32_e32 v8, 0, v131, vcc_lo
	v_cndmask_b32_e64 v9, 0, v132, s12
	s_delay_alu instid0(VALU_DEP_1) | instskip(NEXT) | instid1(VALU_DEP_1)
	v_add_f64 v[131:132], v[8:9], 1.0
	v_frexp_mant_f64_e32 v[133:134], v[131:132]
	v_frexp_exp_i32_f64_e32 v146, v[131:132]
	v_add_f64 v[144:145], v[131:132], -1.0
	s_delay_alu instid0(VALU_DEP_3) | instskip(SKIP_1) | instid1(VALU_DEP_2)
	v_cmp_gt_f64_e32 vcc_lo, s[24:25], v[133:134]
	s_mov_b32 s24, 0x55555780
	v_add_f64 v[133:134], v[144:145], -v[131:132]
	v_add_f64 v[144:145], v[8:9], -v[144:145]
	v_subrev_co_ci_u32_e32 v166, vcc_lo, 0, v146, vcc_lo
	s_delay_alu instid0(VALU_DEP_3) | instskip(SKIP_2) | instid1(VALU_DEP_2)
	v_add_f64 v[133:134], v[133:134], 1.0
	s_mov_b32 vcc_lo, 0xbf559e2b
	s_mov_b32 vcc_hi, 0x3fc3ab76
	v_sub_nc_u32_e32 v148, 0, v166
	s_delay_alu instid0(VALU_DEP_1) | instskip(NEXT) | instid1(VALU_DEP_3)
	v_ldexp_f64 v[131:132], v[131:132], v148
	v_add_f64 v[133:134], v[144:145], v[133:134]
	s_delay_alu instid0(VALU_DEP_2) | instskip(SKIP_1) | instid1(VALU_DEP_3)
	v_add_f64 v[146:147], v[131:132], 1.0
	v_add_f64 v[160:161], v[131:132], -1.0
	v_ldexp_f64 v[133:134], v[133:134], v148
	s_delay_alu instid0(VALU_DEP_3) | instskip(NEXT) | instid1(VALU_DEP_3)
	v_add_f64 v[144:145], v[146:147], -1.0
	v_add_f64 v[162:163], v[160:161], 1.0
	s_delay_alu instid0(VALU_DEP_2) | instskip(NEXT) | instid1(VALU_DEP_2)
	v_add_f64 v[144:145], v[131:132], -v[144:145]
	v_add_f64 v[131:132], v[131:132], -v[162:163]
	s_delay_alu instid0(VALU_DEP_2) | instskip(NEXT) | instid1(VALU_DEP_2)
	v_add_f64 v[144:145], v[133:134], v[144:145]
	v_add_f64 v[131:132], v[133:134], v[131:132]
	s_delay_alu instid0(VALU_DEP_2) | instskip(NEXT) | instid1(VALU_DEP_2)
	v_add_f64 v[148:149], v[146:147], v[144:145]
	v_add_f64 v[162:163], v[160:161], v[131:132]
	s_delay_alu instid0(VALU_DEP_2) | instskip(SKIP_1) | instid1(VALU_DEP_2)
	v_rcp_f64_e32 v[150:151], v[148:149]
	v_add_f64 v[146:147], v[148:149], -v[146:147]
	v_add_f64 v[160:161], v[162:163], -v[160:161]
	s_delay_alu instid0(VALU_DEP_2) | instskip(SKIP_3) | instid1(VALU_DEP_2)
	v_add_f64 v[144:145], v[144:145], -v[146:147]
	s_waitcnt_depctr 0xfff
	v_fma_f64 v[164:165], -v[148:149], v[150:151], 1.0
	v_add_f64 v[131:132], v[131:132], -v[160:161]
	v_fma_f64 v[150:151], v[164:165], v[150:151], v[150:151]
	s_delay_alu instid0(VALU_DEP_1) | instskip(NEXT) | instid1(VALU_DEP_1)
	v_fma_f64 v[133:134], -v[148:149], v[150:151], 1.0
	v_fma_f64 v[133:134], v[133:134], v[150:151], v[150:151]
	s_delay_alu instid0(VALU_DEP_1) | instskip(NEXT) | instid1(VALU_DEP_1)
	v_mul_f64 v[150:151], v[162:163], v[133:134]
	v_mul_f64 v[164:165], v[148:149], v[150:151]
	s_delay_alu instid0(VALU_DEP_1) | instskip(NEXT) | instid1(VALU_DEP_1)
	v_fma_f64 v[146:147], v[150:151], v[148:149], -v[164:165]
	v_fma_f64 v[146:147], v[150:151], v[144:145], v[146:147]
	s_delay_alu instid0(VALU_DEP_1) | instskip(NEXT) | instid1(VALU_DEP_1)
	v_add_f64 v[209:210], v[164:165], v[146:147]
	v_add_f64 v[211:212], v[162:163], -v[209:210]
	v_add_f64 v[160:161], v[209:210], -v[164:165]
	s_delay_alu instid0(VALU_DEP_2) | instskip(NEXT) | instid1(VALU_DEP_2)
	v_add_f64 v[162:163], v[162:163], -v[211:212]
	v_add_f64 v[146:147], v[160:161], -v[146:147]
	s_delay_alu instid0(VALU_DEP_2) | instskip(NEXT) | instid1(VALU_DEP_1)
	v_add_f64 v[162:163], v[162:163], -v[209:210]
	v_add_f64 v[131:132], v[131:132], v[162:163]
	s_delay_alu instid0(VALU_DEP_1) | instskip(NEXT) | instid1(VALU_DEP_1)
	v_add_f64 v[131:132], v[146:147], v[131:132]
	v_add_f64 v[146:147], v[211:212], v[131:132]
	s_delay_alu instid0(VALU_DEP_1) | instskip(SKIP_1) | instid1(VALU_DEP_2)
	v_mul_f64 v[160:161], v[133:134], v[146:147]
	v_add_f64 v[209:210], v[211:212], -v[146:147]
	v_mul_f64 v[162:163], v[148:149], v[160:161]
	s_delay_alu instid0(VALU_DEP_2) | instskip(NEXT) | instid1(VALU_DEP_2)
	v_add_f64 v[131:132], v[131:132], v[209:210]
	v_fma_f64 v[148:149], v[160:161], v[148:149], -v[162:163]
	s_delay_alu instid0(VALU_DEP_1) | instskip(NEXT) | instid1(VALU_DEP_1)
	v_fma_f64 v[144:145], v[160:161], v[144:145], v[148:149]
	v_add_f64 v[148:149], v[162:163], v[144:145]
	s_delay_alu instid0(VALU_DEP_1) | instskip(SKIP_1) | instid1(VALU_DEP_2)
	v_add_f64 v[164:165], v[146:147], -v[148:149]
	v_add_f64 v[162:163], v[148:149], -v[162:163]
	;; [unrolled: 1-line block ×3, first 2 shown]
	s_delay_alu instid0(VALU_DEP_2) | instskip(NEXT) | instid1(VALU_DEP_2)
	v_add_f64 v[144:145], v[162:163], -v[144:145]
	v_add_f64 v[146:147], v[146:147], -v[148:149]
	s_delay_alu instid0(VALU_DEP_1) | instskip(SKIP_1) | instid1(VALU_DEP_2)
	v_add_f64 v[131:132], v[131:132], v[146:147]
	v_add_f64 v[146:147], v[150:151], v[160:161]
	;; [unrolled: 1-line block ×3, first 2 shown]
	s_delay_alu instid0(VALU_DEP_2) | instskip(NEXT) | instid1(VALU_DEP_2)
	v_add_f64 v[144:145], v[146:147], -v[150:151]
	v_add_f64 v[131:132], v[164:165], v[131:132]
	s_delay_alu instid0(VALU_DEP_2) | instskip(NEXT) | instid1(VALU_DEP_2)
	v_add_f64 v[144:145], v[160:161], -v[144:145]
	v_mul_f64 v[131:132], v[133:134], v[131:132]
	s_delay_alu instid0(VALU_DEP_1) | instskip(NEXT) | instid1(VALU_DEP_1)
	v_add_f64 v[131:132], v[144:145], v[131:132]
	v_add_f64 v[133:134], v[146:147], v[131:132]
	s_delay_alu instid0(VALU_DEP_1) | instskip(NEXT) | instid1(VALU_DEP_1)
	v_mul_f64 v[144:145], v[133:134], v[133:134]
	v_fma_f64 v[148:149], v[144:145], vcc, s[28:29]
	s_mov_b32 s28, 0xd7f4df2e
	s_mov_b32 s29, 0x3fc7474d
	v_mul_f64 v[150:151], v[133:134], v[144:145]
	v_cmp_eq_f64_e32 vcc_lo, 0x7ff00000, v[8:9]
	s_delay_alu instid0(VALU_DEP_3)
	v_fma_f64 v[148:149], v[144:145], v[148:149], s[28:29]
	s_mov_b32 s28, 0x16291751
	s_mov_b32 s29, 0x3fcc71c0
	s_delay_alu instid0(VALU_DEP_1) | instid1(SALU_CYCLE_1)
	v_fma_f64 v[148:149], v[144:145], v[148:149], s[28:29]
	s_mov_b32 s28, 0x9b27acf1
	s_mov_b32 s29, 0x3fd24924
	s_delay_alu instid0(VALU_DEP_1) | instid1(SALU_CYCLE_1)
	;; [unrolled: 4-line block ×3, first 2 shown]
	v_fma_f64 v[148:149], v[144:145], v[148:149], s[28:29]
	s_delay_alu instid0(VALU_DEP_1) | instskip(SKIP_2) | instid1(VALU_DEP_3)
	v_fma_f64 v[144:145], v[144:145], v[148:149], s[24:25]
	v_ldexp_f64 v[148:149], v[133:134], 1
	v_add_f64 v[133:134], v[133:134], -v[146:147]
	v_mul_f64 v[144:145], v[150:151], v[144:145]
	v_cvt_f64_i32_e32 v[150:151], v166
	s_delay_alu instid0(VALU_DEP_3) | instskip(NEXT) | instid1(VALU_DEP_3)
	v_add_f64 v[131:132], v[131:132], -v[133:134]
	v_add_f64 v[146:147], v[148:149], v[144:145]
	s_delay_alu instid0(VALU_DEP_3) | instskip(NEXT) | instid1(VALU_DEP_3)
	v_mul_f64 v[160:161], v[150:151], s[18:19]
	v_ldexp_f64 v[131:132], v[131:132], 1
	s_delay_alu instid0(VALU_DEP_3) | instskip(NEXT) | instid1(VALU_DEP_3)
	v_add_f64 v[133:134], v[146:147], -v[148:149]
	v_fma_f64 v[148:149], v[150:151], s[18:19], -v[160:161]
	s_delay_alu instid0(VALU_DEP_2) | instskip(NEXT) | instid1(VALU_DEP_2)
	v_add_f64 v[133:134], v[144:145], -v[133:134]
	v_fma_f64 v[144:145], v[150:151], s[20:21], v[148:149]
	s_delay_alu instid0(VALU_DEP_2) | instskip(NEXT) | instid1(VALU_DEP_2)
	v_add_f64 v[131:132], v[131:132], v[133:134]
	v_add_f64 v[133:134], v[160:161], v[144:145]
	s_delay_alu instid0(VALU_DEP_2) | instskip(NEXT) | instid1(VALU_DEP_2)
	v_add_f64 v[148:149], v[146:147], v[131:132]
	v_add_f64 v[160:161], v[133:134], -v[160:161]
	s_delay_alu instid0(VALU_DEP_2) | instskip(SKIP_1) | instid1(VALU_DEP_3)
	v_add_f64 v[150:151], v[133:134], v[148:149]
	v_add_f64 v[146:147], v[148:149], -v[146:147]
	v_add_f64 v[144:145], v[144:145], -v[160:161]
	s_delay_alu instid0(VALU_DEP_3) | instskip(NEXT) | instid1(VALU_DEP_3)
	v_add_f64 v[162:163], v[150:151], -v[133:134]
	v_add_f64 v[131:132], v[131:132], -v[146:147]
	s_delay_alu instid0(VALU_DEP_2) | instskip(SKIP_1) | instid1(VALU_DEP_3)
	v_add_f64 v[164:165], v[150:151], -v[162:163]
	v_add_f64 v[146:147], v[148:149], -v[162:163]
	v_add_f64 v[148:149], v[144:145], v[131:132]
	s_delay_alu instid0(VALU_DEP_3) | instskip(NEXT) | instid1(VALU_DEP_1)
	v_add_f64 v[133:134], v[133:134], -v[164:165]
	v_add_f64 v[133:134], v[146:147], v[133:134]
	s_delay_alu instid0(VALU_DEP_3) | instskip(NEXT) | instid1(VALU_DEP_2)
	v_add_f64 v[146:147], v[148:149], -v[144:145]
	v_add_f64 v[133:134], v[148:149], v[133:134]
	s_delay_alu instid0(VALU_DEP_2) | instskip(SKIP_1) | instid1(VALU_DEP_3)
	v_add_f64 v[148:149], v[148:149], -v[146:147]
	v_add_f64 v[131:132], v[131:132], -v[146:147]
	v_add_f64 v[160:161], v[150:151], v[133:134]
	s_delay_alu instid0(VALU_DEP_3) | instskip(NEXT) | instid1(VALU_DEP_2)
	v_add_f64 v[144:145], v[144:145], -v[148:149]
	v_add_f64 v[146:147], v[160:161], -v[150:151]
	s_delay_alu instid0(VALU_DEP_2) | instskip(NEXT) | instid1(VALU_DEP_2)
	v_add_f64 v[131:132], v[131:132], v[144:145]
	v_add_f64 v[133:134], v[133:134], -v[146:147]
	s_delay_alu instid0(VALU_DEP_1) | instskip(NEXT) | instid1(VALU_DEP_1)
	v_add_f64 v[131:132], v[131:132], v[133:134]
	v_add_f64 v[131:132], v[160:161], v[131:132]
	s_delay_alu instid0(VALU_DEP_1) | instskip(SKIP_1) | instid1(VALU_DEP_2)
	v_dual_cndmask_b32 v131, v131, v8 :: v_dual_cndmask_b32 v132, v132, v9
	v_cmp_ngt_f64_e32 vcc_lo, -1.0, v[8:9]
	v_cndmask_b32_e32 v132, 0x7ff80000, v132, vcc_lo
	v_cmp_nge_f64_e32 vcc_lo, -1.0, v[8:9]
	s_delay_alu instid0(VALU_DEP_4) | instskip(SKIP_1) | instid1(VALU_DEP_4)
	v_cndmask_b32_e32 v131, 0, v131, vcc_lo
	v_cmp_neq_f64_e32 vcc_lo, -1.0, v[8:9]
	v_cndmask_b32_e32 v132, 0xfff00000, v132, vcc_lo
	s_delay_alu instid0(VALU_DEP_1)
	v_add_f64 v[8:9], v[6:7], v[131:132]
.LBB56_224:
	s_or_b32 exec_lo, exec_lo, s17
.LBB56_225:
	s_delay_alu instid0(SALU_CYCLE_1) | instskip(NEXT) | instid1(VALU_DEP_1)
	s_or_b32 exec_lo, exec_lo, s26
	v_max_f64 v[6:7], v[8:9], v[8:9]
	s_waitcnt lgkmcnt(0)
	v_max_f64 v[131:132], v[4:5], v[4:5]
	v_cmp_u_f64_e32 vcc_lo, v[4:5], v[4:5]
	v_cmp_u_f64_e64 s12, v[8:9], v[8:9]
	s_delay_alu instid0(VALU_DEP_3) | instskip(SKIP_1) | instid1(VALU_DEP_2)
	v_min_f64 v[133:134], v[131:132], v[6:7]
	v_max_f64 v[6:7], v[131:132], v[6:7]
	v_dual_cndmask_b32 v131, v133, v4 :: v_dual_cndmask_b32 v132, v134, v5
	s_delay_alu instid0(VALU_DEP_2) | instskip(NEXT) | instid1(VALU_DEP_2)
	v_dual_cndmask_b32 v7, v7, v5 :: v_dual_cndmask_b32 v6, v6, v4
	v_cndmask_b32_e64 v131, v131, v8, s12
	s_delay_alu instid0(VALU_DEP_3) | instskip(NEXT) | instid1(VALU_DEP_3)
	v_cndmask_b32_e64 v132, v132, v9, s12
	v_cndmask_b32_e64 v7, v7, v9, s12
	s_delay_alu instid0(VALU_DEP_4) | instskip(NEXT) | instid1(VALU_DEP_3)
	v_cndmask_b32_e64 v6, v6, v8, s12
	v_cmp_class_f64_e64 s12, v[131:132], 0x1f8
	s_delay_alu instid0(VALU_DEP_2) | instskip(NEXT) | instid1(VALU_DEP_2)
	v_cmp_neq_f64_e32 vcc_lo, v[131:132], v[6:7]
	s_or_b32 s12, vcc_lo, s12
	s_delay_alu instid0(SALU_CYCLE_1)
	s_and_saveexec_b32 s17, s12
	s_cbranch_execz .LBB56_227
; %bb.226:
	v_add_f64 v[4:5], v[131:132], -v[6:7]
	s_mov_b32 s18, 0x652b82fe
	s_mov_b32 s19, 0x3ff71547
	;; [unrolled: 1-line block ×10, first 2 shown]
	s_delay_alu instid0(VALU_DEP_1) | instskip(SKIP_4) | instid1(VALU_DEP_3)
	v_mul_f64 v[8:9], v[4:5], s[18:19]
	s_mov_b32 s19, 0xbfe62e42
	s_mov_b32 s18, 0xfefa39ef
	v_cmp_nlt_f64_e32 vcc_lo, 0x40900000, v[4:5]
	v_cmp_ngt_f64_e64 s12, 0xc090cc00, v[4:5]
	v_rndne_f64_e32 v[8:9], v[8:9]
	s_delay_alu instid0(VALU_DEP_1) | instskip(SKIP_2) | instid1(VALU_DEP_2)
	v_fma_f64 v[131:132], v[8:9], s[18:19], v[4:5]
	v_cvt_i32_f64_e32 v144, v[8:9]
	s_mov_b32 s19, 0x3fe62e42
	v_fma_f64 v[131:132], v[8:9], s[20:21], v[131:132]
	s_mov_b32 s21, 0x3c7abc9e
	s_delay_alu instid0(VALU_DEP_1) | instskip(SKIP_4) | instid1(VALU_DEP_1)
	v_fma_f64 v[133:134], v[131:132], s[26:27], s[24:25]
	s_mov_b32 s24, 0x623fde64
	s_mov_b32 s25, 0x3ec71dee
	s_mov_b32 s26, 0x6b47b09a
	s_mov_b32 s27, 0x3fc38538
	v_fma_f64 v[133:134], v[131:132], v[133:134], s[24:25]
	s_mov_b32 s24, 0x7c89e6b0
	s_mov_b32 s25, 0x3efa0199
	s_delay_alu instid0(VALU_DEP_1) | instid1(SALU_CYCLE_1)
	v_fma_f64 v[133:134], v[131:132], v[133:134], s[24:25]
	s_mov_b32 s24, 0x14761f6e
	s_mov_b32 s25, 0x3f2a01a0
	s_delay_alu instid0(VALU_DEP_1) | instid1(SALU_CYCLE_1)
	;; [unrolled: 4-line block ×7, first 2 shown]
	v_fma_f64 v[133:134], v[131:132], v[133:134], s[24:25]
	s_mov_b32 s25, 0x3fe55555
	s_mov_b32 s24, 0x55555555
	s_delay_alu instid0(VALU_DEP_1) | instskip(NEXT) | instid1(VALU_DEP_1)
	v_fma_f64 v[133:134], v[131:132], v[133:134], 1.0
	v_fma_f64 v[8:9], v[131:132], v[133:134], 1.0
	s_delay_alu instid0(VALU_DEP_1) | instskip(NEXT) | instid1(VALU_DEP_1)
	v_ldexp_f64 v[8:9], v[8:9], v144
	v_cndmask_b32_e32 v9, 0x7ff00000, v9, vcc_lo
	s_and_b32 vcc_lo, s12, vcc_lo
	s_delay_alu instid0(VALU_DEP_1) | instskip(NEXT) | instid1(VALU_DEP_3)
	v_cndmask_b32_e64 v5, 0, v9, s12
	v_cndmask_b32_e32 v4, 0, v8, vcc_lo
	s_delay_alu instid0(VALU_DEP_1) | instskip(NEXT) | instid1(VALU_DEP_1)
	v_add_f64 v[8:9], v[4:5], 1.0
	v_frexp_mant_f64_e32 v[131:132], v[8:9]
	v_frexp_exp_i32_f64_e32 v144, v[8:9]
	v_add_f64 v[133:134], v[8:9], -1.0
	s_delay_alu instid0(VALU_DEP_3) | instskip(SKIP_1) | instid1(VALU_DEP_2)
	v_cmp_gt_f64_e32 vcc_lo, s[24:25], v[131:132]
	s_mov_b32 s24, 0x55555780
	v_add_f64 v[131:132], v[133:134], -v[8:9]
	v_add_f64 v[133:134], v[4:5], -v[133:134]
	v_subrev_co_ci_u32_e32 v166, vcc_lo, 0, v144, vcc_lo
	s_delay_alu instid0(VALU_DEP_3) | instskip(SKIP_1) | instid1(VALU_DEP_3)
	v_add_f64 v[131:132], v[131:132], 1.0
	v_cmp_eq_f64_e32 vcc_lo, 0x7ff00000, v[4:5]
	v_sub_nc_u32_e32 v146, 0, v166
	s_delay_alu instid0(VALU_DEP_1) | instskip(NEXT) | instid1(VALU_DEP_4)
	v_ldexp_f64 v[8:9], v[8:9], v146
	v_add_f64 v[131:132], v[133:134], v[131:132]
	s_delay_alu instid0(VALU_DEP_2) | instskip(SKIP_1) | instid1(VALU_DEP_3)
	v_add_f64 v[144:145], v[8:9], 1.0
	v_add_f64 v[150:151], v[8:9], -1.0
	v_ldexp_f64 v[131:132], v[131:132], v146
	s_delay_alu instid0(VALU_DEP_3) | instskip(NEXT) | instid1(VALU_DEP_3)
	v_add_f64 v[133:134], v[144:145], -1.0
	v_add_f64 v[160:161], v[150:151], 1.0
	s_delay_alu instid0(VALU_DEP_2) | instskip(NEXT) | instid1(VALU_DEP_2)
	v_add_f64 v[133:134], v[8:9], -v[133:134]
	v_add_f64 v[8:9], v[8:9], -v[160:161]
	s_delay_alu instid0(VALU_DEP_2) | instskip(NEXT) | instid1(VALU_DEP_2)
	v_add_f64 v[133:134], v[131:132], v[133:134]
	v_add_f64 v[8:9], v[131:132], v[8:9]
	s_delay_alu instid0(VALU_DEP_2) | instskip(NEXT) | instid1(VALU_DEP_2)
	v_add_f64 v[146:147], v[144:145], v[133:134]
	v_add_f64 v[160:161], v[150:151], v[8:9]
	s_delay_alu instid0(VALU_DEP_2) | instskip(SKIP_1) | instid1(VALU_DEP_2)
	v_rcp_f64_e32 v[148:149], v[146:147]
	v_add_f64 v[144:145], v[146:147], -v[144:145]
	v_add_f64 v[150:151], v[160:161], -v[150:151]
	s_delay_alu instid0(VALU_DEP_2) | instskip(SKIP_3) | instid1(VALU_DEP_2)
	v_add_f64 v[133:134], v[133:134], -v[144:145]
	s_waitcnt_depctr 0xfff
	v_fma_f64 v[162:163], -v[146:147], v[148:149], 1.0
	v_add_f64 v[8:9], v[8:9], -v[150:151]
	v_fma_f64 v[148:149], v[162:163], v[148:149], v[148:149]
	s_delay_alu instid0(VALU_DEP_1) | instskip(NEXT) | instid1(VALU_DEP_1)
	v_fma_f64 v[131:132], -v[146:147], v[148:149], 1.0
	v_fma_f64 v[131:132], v[131:132], v[148:149], v[148:149]
	s_delay_alu instid0(VALU_DEP_1) | instskip(NEXT) | instid1(VALU_DEP_1)
	v_mul_f64 v[148:149], v[160:161], v[131:132]
	v_mul_f64 v[162:163], v[146:147], v[148:149]
	s_delay_alu instid0(VALU_DEP_1) | instskip(NEXT) | instid1(VALU_DEP_1)
	v_fma_f64 v[144:145], v[148:149], v[146:147], -v[162:163]
	v_fma_f64 v[144:145], v[148:149], v[133:134], v[144:145]
	s_delay_alu instid0(VALU_DEP_1) | instskip(NEXT) | instid1(VALU_DEP_1)
	v_add_f64 v[164:165], v[162:163], v[144:145]
	v_add_f64 v[209:210], v[160:161], -v[164:165]
	v_add_f64 v[150:151], v[164:165], -v[162:163]
	s_delay_alu instid0(VALU_DEP_2) | instskip(NEXT) | instid1(VALU_DEP_2)
	v_add_f64 v[160:161], v[160:161], -v[209:210]
	v_add_f64 v[144:145], v[150:151], -v[144:145]
	s_delay_alu instid0(VALU_DEP_2) | instskip(NEXT) | instid1(VALU_DEP_1)
	v_add_f64 v[160:161], v[160:161], -v[164:165]
	v_add_f64 v[8:9], v[8:9], v[160:161]
	s_delay_alu instid0(VALU_DEP_1) | instskip(NEXT) | instid1(VALU_DEP_1)
	v_add_f64 v[8:9], v[144:145], v[8:9]
	v_add_f64 v[144:145], v[209:210], v[8:9]
	s_delay_alu instid0(VALU_DEP_1) | instskip(SKIP_1) | instid1(VALU_DEP_2)
	v_mul_f64 v[150:151], v[131:132], v[144:145]
	v_add_f64 v[164:165], v[209:210], -v[144:145]
	v_mul_f64 v[160:161], v[146:147], v[150:151]
	s_delay_alu instid0(VALU_DEP_2) | instskip(NEXT) | instid1(VALU_DEP_2)
	v_add_f64 v[8:9], v[8:9], v[164:165]
	v_fma_f64 v[146:147], v[150:151], v[146:147], -v[160:161]
	s_delay_alu instid0(VALU_DEP_1) | instskip(NEXT) | instid1(VALU_DEP_1)
	v_fma_f64 v[133:134], v[150:151], v[133:134], v[146:147]
	v_add_f64 v[146:147], v[160:161], v[133:134]
	s_delay_alu instid0(VALU_DEP_1) | instskip(SKIP_1) | instid1(VALU_DEP_2)
	v_add_f64 v[162:163], v[144:145], -v[146:147]
	v_add_f64 v[160:161], v[146:147], -v[160:161]
	;; [unrolled: 1-line block ×3, first 2 shown]
	s_delay_alu instid0(VALU_DEP_2) | instskip(NEXT) | instid1(VALU_DEP_2)
	v_add_f64 v[133:134], v[160:161], -v[133:134]
	v_add_f64 v[144:145], v[144:145], -v[146:147]
	s_delay_alu instid0(VALU_DEP_1) | instskip(SKIP_1) | instid1(VALU_DEP_2)
	v_add_f64 v[8:9], v[8:9], v[144:145]
	v_add_f64 v[144:145], v[148:149], v[150:151]
	;; [unrolled: 1-line block ×3, first 2 shown]
	s_delay_alu instid0(VALU_DEP_2) | instskip(NEXT) | instid1(VALU_DEP_2)
	v_add_f64 v[133:134], v[144:145], -v[148:149]
	v_add_f64 v[8:9], v[162:163], v[8:9]
	s_delay_alu instid0(VALU_DEP_2) | instskip(NEXT) | instid1(VALU_DEP_2)
	v_add_f64 v[133:134], v[150:151], -v[133:134]
	v_mul_f64 v[8:9], v[131:132], v[8:9]
	s_delay_alu instid0(VALU_DEP_1) | instskip(NEXT) | instid1(VALU_DEP_1)
	v_add_f64 v[8:9], v[133:134], v[8:9]
	v_add_f64 v[131:132], v[144:145], v[8:9]
	s_delay_alu instid0(VALU_DEP_1) | instskip(NEXT) | instid1(VALU_DEP_1)
	v_mul_f64 v[133:134], v[131:132], v[131:132]
	v_fma_f64 v[146:147], v[133:134], s[28:29], s[26:27]
	s_mov_b32 s26, 0xd7f4df2e
	s_mov_b32 s27, 0x3fc7474d
	v_mul_f64 v[148:149], v[131:132], v[133:134]
	s_delay_alu instid0(VALU_DEP_2)
	v_fma_f64 v[146:147], v[133:134], v[146:147], s[26:27]
	s_mov_b32 s26, 0x16291751
	s_mov_b32 s27, 0x3fcc71c0
	s_delay_alu instid0(VALU_DEP_1) | instid1(SALU_CYCLE_1)
	v_fma_f64 v[146:147], v[133:134], v[146:147], s[26:27]
	s_mov_b32 s26, 0x9b27acf1
	s_mov_b32 s27, 0x3fd24924
	s_delay_alu instid0(VALU_DEP_1) | instid1(SALU_CYCLE_1)
	;; [unrolled: 4-line block ×3, first 2 shown]
	v_fma_f64 v[146:147], v[133:134], v[146:147], s[26:27]
	s_delay_alu instid0(VALU_DEP_1) | instskip(SKIP_2) | instid1(VALU_DEP_3)
	v_fma_f64 v[133:134], v[133:134], v[146:147], s[24:25]
	v_ldexp_f64 v[146:147], v[131:132], 1
	v_add_f64 v[131:132], v[131:132], -v[144:145]
	v_mul_f64 v[133:134], v[148:149], v[133:134]
	v_cvt_f64_i32_e32 v[148:149], v166
	s_delay_alu instid0(VALU_DEP_3) | instskip(NEXT) | instid1(VALU_DEP_3)
	v_add_f64 v[8:9], v[8:9], -v[131:132]
	v_add_f64 v[144:145], v[146:147], v[133:134]
	s_delay_alu instid0(VALU_DEP_3) | instskip(NEXT) | instid1(VALU_DEP_3)
	v_mul_f64 v[150:151], v[148:149], s[18:19]
	v_ldexp_f64 v[8:9], v[8:9], 1
	s_delay_alu instid0(VALU_DEP_3) | instskip(NEXT) | instid1(VALU_DEP_3)
	v_add_f64 v[131:132], v[144:145], -v[146:147]
	v_fma_f64 v[146:147], v[148:149], s[18:19], -v[150:151]
	s_delay_alu instid0(VALU_DEP_2) | instskip(NEXT) | instid1(VALU_DEP_2)
	v_add_f64 v[131:132], v[133:134], -v[131:132]
	v_fma_f64 v[133:134], v[148:149], s[20:21], v[146:147]
	s_delay_alu instid0(VALU_DEP_2) | instskip(NEXT) | instid1(VALU_DEP_2)
	v_add_f64 v[8:9], v[8:9], v[131:132]
	v_add_f64 v[131:132], v[150:151], v[133:134]
	s_delay_alu instid0(VALU_DEP_2) | instskip(NEXT) | instid1(VALU_DEP_2)
	v_add_f64 v[146:147], v[144:145], v[8:9]
	v_add_f64 v[150:151], v[131:132], -v[150:151]
	s_delay_alu instid0(VALU_DEP_2) | instskip(SKIP_1) | instid1(VALU_DEP_3)
	v_add_f64 v[148:149], v[131:132], v[146:147]
	v_add_f64 v[144:145], v[146:147], -v[144:145]
	v_add_f64 v[133:134], v[133:134], -v[150:151]
	s_delay_alu instid0(VALU_DEP_3) | instskip(NEXT) | instid1(VALU_DEP_3)
	v_add_f64 v[160:161], v[148:149], -v[131:132]
	v_add_f64 v[8:9], v[8:9], -v[144:145]
	s_delay_alu instid0(VALU_DEP_2) | instskip(SKIP_1) | instid1(VALU_DEP_3)
	v_add_f64 v[162:163], v[148:149], -v[160:161]
	v_add_f64 v[144:145], v[146:147], -v[160:161]
	v_add_f64 v[146:147], v[133:134], v[8:9]
	s_delay_alu instid0(VALU_DEP_3) | instskip(NEXT) | instid1(VALU_DEP_1)
	v_add_f64 v[131:132], v[131:132], -v[162:163]
	v_add_f64 v[131:132], v[144:145], v[131:132]
	s_delay_alu instid0(VALU_DEP_3) | instskip(NEXT) | instid1(VALU_DEP_2)
	v_add_f64 v[144:145], v[146:147], -v[133:134]
	v_add_f64 v[131:132], v[146:147], v[131:132]
	s_delay_alu instid0(VALU_DEP_2) | instskip(SKIP_1) | instid1(VALU_DEP_3)
	v_add_f64 v[146:147], v[146:147], -v[144:145]
	v_add_f64 v[8:9], v[8:9], -v[144:145]
	v_add_f64 v[150:151], v[148:149], v[131:132]
	s_delay_alu instid0(VALU_DEP_3) | instskip(NEXT) | instid1(VALU_DEP_2)
	v_add_f64 v[133:134], v[133:134], -v[146:147]
	v_add_f64 v[144:145], v[150:151], -v[148:149]
	s_delay_alu instid0(VALU_DEP_2) | instskip(NEXT) | instid1(VALU_DEP_2)
	v_add_f64 v[8:9], v[8:9], v[133:134]
	v_add_f64 v[131:132], v[131:132], -v[144:145]
	s_delay_alu instid0(VALU_DEP_1) | instskip(NEXT) | instid1(VALU_DEP_1)
	v_add_f64 v[8:9], v[8:9], v[131:132]
	v_add_f64 v[8:9], v[150:151], v[8:9]
	s_delay_alu instid0(VALU_DEP_1) | instskip(SKIP_1) | instid1(VALU_DEP_2)
	v_dual_cndmask_b32 v9, v9, v5 :: v_dual_cndmask_b32 v8, v8, v4
	v_cmp_ngt_f64_e32 vcc_lo, -1.0, v[4:5]
	v_cndmask_b32_e32 v9, 0x7ff80000, v9, vcc_lo
	v_cmp_nge_f64_e32 vcc_lo, -1.0, v[4:5]
	s_delay_alu instid0(VALU_DEP_4) | instskip(SKIP_1) | instid1(VALU_DEP_4)
	v_cndmask_b32_e32 v8, 0, v8, vcc_lo
	v_cmp_neq_f64_e32 vcc_lo, -1.0, v[4:5]
	v_cndmask_b32_e32 v9, 0xfff00000, v9, vcc_lo
	s_delay_alu instid0(VALU_DEP_1)
	v_add_f64 v[4:5], v[6:7], v[8:9]
.LBB56_227:
	s_or_b32 exec_lo, exec_lo, s17
	s_delay_alu instid0(VALU_DEP_1) | instskip(SKIP_1) | instid1(VALU_DEP_2)
	v_max_f64 v[6:7], v[4:5], v[4:5]
	v_cmp_u_f64_e32 vcc_lo, v[4:5], v[4:5]
	v_min_f64 v[8:9], v[6:7], v[54:55]
	v_max_f64 v[6:7], v[6:7], v[54:55]
	s_delay_alu instid0(VALU_DEP_2) | instskip(NEXT) | instid1(VALU_DEP_2)
	v_dual_cndmask_b32 v8, v8, v4 :: v_dual_cndmask_b32 v9, v9, v5
	v_dual_cndmask_b32 v7, v7, v5 :: v_dual_cndmask_b32 v6, v6, v4
	s_delay_alu instid0(VALU_DEP_2) | instskip(NEXT) | instid1(VALU_DEP_3)
	v_cndmask_b32_e64 v131, v8, v2, s1
	v_cndmask_b32_e64 v132, v9, v3, s1
	s_delay_alu instid0(VALU_DEP_3) | instskip(NEXT) | instid1(VALU_DEP_4)
	v_cndmask_b32_e64 v9, v7, v3, s1
	v_cndmask_b32_e64 v8, v6, v2, s1
	v_dual_mov_b32 v7, v5 :: v_dual_mov_b32 v6, v4
	s_delay_alu instid0(VALU_DEP_4) | instskip(NEXT) | instid1(VALU_DEP_3)
	v_cmp_class_f64_e64 s1, v[131:132], 0x1f8
	v_cmp_neq_f64_e32 vcc_lo, v[131:132], v[8:9]
	s_delay_alu instid0(VALU_DEP_2) | instskip(NEXT) | instid1(SALU_CYCLE_1)
	s_or_b32 s1, vcc_lo, s1
	s_and_saveexec_b32 s12, s1
	s_cbranch_execz .LBB56_229
; %bb.228:
	v_add_f64 v[6:7], v[131:132], -v[8:9]
	s_mov_b32 s18, 0x652b82fe
	s_mov_b32 s19, 0x3ff71547
	;; [unrolled: 1-line block ×10, first 2 shown]
	s_delay_alu instid0(VALU_DEP_1) | instskip(SKIP_4) | instid1(VALU_DEP_3)
	v_mul_f64 v[131:132], v[6:7], s[18:19]
	s_mov_b32 s19, 0xbfe62e42
	s_mov_b32 s18, 0xfefa39ef
	v_cmp_nlt_f64_e32 vcc_lo, 0x40900000, v[6:7]
	v_cmp_ngt_f64_e64 s1, 0xc090cc00, v[6:7]
	v_rndne_f64_e32 v[131:132], v[131:132]
	s_delay_alu instid0(VALU_DEP_1) | instskip(SKIP_2) | instid1(VALU_DEP_2)
	v_fma_f64 v[133:134], v[131:132], s[18:19], v[6:7]
	v_cvt_i32_f64_e32 v146, v[131:132]
	s_mov_b32 s19, 0x3fe62e42
	v_fma_f64 v[133:134], v[131:132], s[20:21], v[133:134]
	s_mov_b32 s21, 0x3c7abc9e
	s_delay_alu instid0(VALU_DEP_1) | instskip(SKIP_4) | instid1(VALU_DEP_1)
	v_fma_f64 v[144:145], v[133:134], s[26:27], s[24:25]
	s_mov_b32 s24, 0x623fde64
	s_mov_b32 s25, 0x3ec71dee
	;; [unrolled: 1-line block ×4, first 2 shown]
	v_fma_f64 v[144:145], v[133:134], v[144:145], s[24:25]
	s_mov_b32 s24, 0x7c89e6b0
	s_mov_b32 s25, 0x3efa0199
	s_delay_alu instid0(VALU_DEP_1) | instid1(SALU_CYCLE_1)
	v_fma_f64 v[144:145], v[133:134], v[144:145], s[24:25]
	s_mov_b32 s24, 0x14761f6e
	s_mov_b32 s25, 0x3f2a01a0
	s_delay_alu instid0(VALU_DEP_1) | instid1(SALU_CYCLE_1)
	v_fma_f64 v[144:145], v[133:134], v[144:145], s[24:25]
	s_mov_b32 s24, 0x1852b7b0
	s_mov_b32 s25, 0x3f56c16c
	s_delay_alu instid0(VALU_DEP_1) | instid1(SALU_CYCLE_1)
	v_fma_f64 v[144:145], v[133:134], v[144:145], s[24:25]
	s_mov_b32 s24, 0x11122322
	s_mov_b32 s25, 0x3f811111
	s_delay_alu instid0(VALU_DEP_1) | instid1(SALU_CYCLE_1)
	v_fma_f64 v[144:145], v[133:134], v[144:145], s[24:25]
	s_mov_b32 s24, 0x555502a1
	s_mov_b32 s25, 0x3fa55555
	s_delay_alu instid0(VALU_DEP_1) | instid1(SALU_CYCLE_1)
	v_fma_f64 v[144:145], v[133:134], v[144:145], s[24:25]
	s_mov_b32 s24, 0x55555511
	s_mov_b32 s25, 0x3fc55555
	s_delay_alu instid0(VALU_DEP_1) | instid1(SALU_CYCLE_1)
	v_fma_f64 v[144:145], v[133:134], v[144:145], s[24:25]
	s_mov_b32 s24, 11
	s_mov_b32 s25, 0x3fe00000
	s_delay_alu instid0(VALU_DEP_1) | instid1(SALU_CYCLE_1)
	v_fma_f64 v[144:145], v[133:134], v[144:145], s[24:25]
	s_mov_b32 s25, 0x3fe55555
	s_mov_b32 s24, 0x55555555
	s_delay_alu instid0(VALU_DEP_1) | instskip(NEXT) | instid1(VALU_DEP_1)
	v_fma_f64 v[144:145], v[133:134], v[144:145], 1.0
	v_fma_f64 v[131:132], v[133:134], v[144:145], 1.0
	s_delay_alu instid0(VALU_DEP_1) | instskip(NEXT) | instid1(VALU_DEP_1)
	v_ldexp_f64 v[131:132], v[131:132], v146
	v_cndmask_b32_e32 v132, 0x7ff00000, v132, vcc_lo
	s_and_b32 vcc_lo, s1, vcc_lo
	s_delay_alu instid0(VALU_DEP_2) | instskip(NEXT) | instid1(VALU_DEP_2)
	v_cndmask_b32_e32 v6, 0, v131, vcc_lo
	v_cndmask_b32_e64 v7, 0, v132, s1
	s_delay_alu instid0(VALU_DEP_1) | instskip(NEXT) | instid1(VALU_DEP_1)
	v_add_f64 v[131:132], v[6:7], 1.0
	v_frexp_mant_f64_e32 v[133:134], v[131:132]
	v_frexp_exp_i32_f64_e32 v146, v[131:132]
	v_add_f64 v[144:145], v[131:132], -1.0
	s_delay_alu instid0(VALU_DEP_3) | instskip(SKIP_1) | instid1(VALU_DEP_2)
	v_cmp_gt_f64_e32 vcc_lo, s[24:25], v[133:134]
	s_mov_b32 s24, 0x55555780
	v_add_f64 v[133:134], v[144:145], -v[131:132]
	v_add_f64 v[144:145], v[6:7], -v[144:145]
	v_subrev_co_ci_u32_e32 v166, vcc_lo, 0, v146, vcc_lo
	s_delay_alu instid0(VALU_DEP_3) | instskip(SKIP_1) | instid1(VALU_DEP_3)
	v_add_f64 v[133:134], v[133:134], 1.0
	v_cmp_eq_f64_e32 vcc_lo, 0x7ff00000, v[6:7]
	v_sub_nc_u32_e32 v148, 0, v166
	s_delay_alu instid0(VALU_DEP_1) | instskip(NEXT) | instid1(VALU_DEP_4)
	v_ldexp_f64 v[131:132], v[131:132], v148
	v_add_f64 v[133:134], v[144:145], v[133:134]
	s_delay_alu instid0(VALU_DEP_2) | instskip(SKIP_1) | instid1(VALU_DEP_3)
	v_add_f64 v[146:147], v[131:132], 1.0
	v_add_f64 v[160:161], v[131:132], -1.0
	v_ldexp_f64 v[133:134], v[133:134], v148
	s_delay_alu instid0(VALU_DEP_3) | instskip(NEXT) | instid1(VALU_DEP_3)
	v_add_f64 v[144:145], v[146:147], -1.0
	v_add_f64 v[162:163], v[160:161], 1.0
	s_delay_alu instid0(VALU_DEP_2) | instskip(NEXT) | instid1(VALU_DEP_2)
	v_add_f64 v[144:145], v[131:132], -v[144:145]
	v_add_f64 v[131:132], v[131:132], -v[162:163]
	s_delay_alu instid0(VALU_DEP_2) | instskip(NEXT) | instid1(VALU_DEP_2)
	v_add_f64 v[144:145], v[133:134], v[144:145]
	v_add_f64 v[131:132], v[133:134], v[131:132]
	s_delay_alu instid0(VALU_DEP_2) | instskip(NEXT) | instid1(VALU_DEP_2)
	v_add_f64 v[148:149], v[146:147], v[144:145]
	v_add_f64 v[162:163], v[160:161], v[131:132]
	s_delay_alu instid0(VALU_DEP_2) | instskip(SKIP_1) | instid1(VALU_DEP_2)
	v_rcp_f64_e32 v[150:151], v[148:149]
	v_add_f64 v[146:147], v[148:149], -v[146:147]
	v_add_f64 v[160:161], v[162:163], -v[160:161]
	s_delay_alu instid0(VALU_DEP_2) | instskip(SKIP_3) | instid1(VALU_DEP_2)
	v_add_f64 v[144:145], v[144:145], -v[146:147]
	s_waitcnt_depctr 0xfff
	v_fma_f64 v[164:165], -v[148:149], v[150:151], 1.0
	v_add_f64 v[131:132], v[131:132], -v[160:161]
	v_fma_f64 v[150:151], v[164:165], v[150:151], v[150:151]
	s_delay_alu instid0(VALU_DEP_1) | instskip(NEXT) | instid1(VALU_DEP_1)
	v_fma_f64 v[133:134], -v[148:149], v[150:151], 1.0
	v_fma_f64 v[133:134], v[133:134], v[150:151], v[150:151]
	s_delay_alu instid0(VALU_DEP_1) | instskip(NEXT) | instid1(VALU_DEP_1)
	v_mul_f64 v[150:151], v[162:163], v[133:134]
	v_mul_f64 v[164:165], v[148:149], v[150:151]
	s_delay_alu instid0(VALU_DEP_1) | instskip(NEXT) | instid1(VALU_DEP_1)
	v_fma_f64 v[146:147], v[150:151], v[148:149], -v[164:165]
	v_fma_f64 v[146:147], v[150:151], v[144:145], v[146:147]
	s_delay_alu instid0(VALU_DEP_1) | instskip(NEXT) | instid1(VALU_DEP_1)
	v_add_f64 v[209:210], v[164:165], v[146:147]
	v_add_f64 v[211:212], v[162:163], -v[209:210]
	v_add_f64 v[160:161], v[209:210], -v[164:165]
	s_delay_alu instid0(VALU_DEP_2) | instskip(NEXT) | instid1(VALU_DEP_2)
	v_add_f64 v[162:163], v[162:163], -v[211:212]
	v_add_f64 v[146:147], v[160:161], -v[146:147]
	s_delay_alu instid0(VALU_DEP_2) | instskip(NEXT) | instid1(VALU_DEP_1)
	v_add_f64 v[162:163], v[162:163], -v[209:210]
	v_add_f64 v[131:132], v[131:132], v[162:163]
	s_delay_alu instid0(VALU_DEP_1) | instskip(NEXT) | instid1(VALU_DEP_1)
	v_add_f64 v[131:132], v[146:147], v[131:132]
	v_add_f64 v[146:147], v[211:212], v[131:132]
	s_delay_alu instid0(VALU_DEP_1) | instskip(SKIP_1) | instid1(VALU_DEP_2)
	v_mul_f64 v[160:161], v[133:134], v[146:147]
	v_add_f64 v[209:210], v[211:212], -v[146:147]
	v_mul_f64 v[162:163], v[148:149], v[160:161]
	s_delay_alu instid0(VALU_DEP_2) | instskip(NEXT) | instid1(VALU_DEP_2)
	v_add_f64 v[131:132], v[131:132], v[209:210]
	v_fma_f64 v[148:149], v[160:161], v[148:149], -v[162:163]
	s_delay_alu instid0(VALU_DEP_1) | instskip(NEXT) | instid1(VALU_DEP_1)
	v_fma_f64 v[144:145], v[160:161], v[144:145], v[148:149]
	v_add_f64 v[148:149], v[162:163], v[144:145]
	s_delay_alu instid0(VALU_DEP_1) | instskip(SKIP_1) | instid1(VALU_DEP_2)
	v_add_f64 v[164:165], v[146:147], -v[148:149]
	v_add_f64 v[162:163], v[148:149], -v[162:163]
	;; [unrolled: 1-line block ×3, first 2 shown]
	s_delay_alu instid0(VALU_DEP_2) | instskip(NEXT) | instid1(VALU_DEP_2)
	v_add_f64 v[144:145], v[162:163], -v[144:145]
	v_add_f64 v[146:147], v[146:147], -v[148:149]
	s_delay_alu instid0(VALU_DEP_1) | instskip(SKIP_1) | instid1(VALU_DEP_2)
	v_add_f64 v[131:132], v[131:132], v[146:147]
	v_add_f64 v[146:147], v[150:151], v[160:161]
	;; [unrolled: 1-line block ×3, first 2 shown]
	s_delay_alu instid0(VALU_DEP_2) | instskip(NEXT) | instid1(VALU_DEP_2)
	v_add_f64 v[144:145], v[146:147], -v[150:151]
	v_add_f64 v[131:132], v[164:165], v[131:132]
	s_delay_alu instid0(VALU_DEP_2) | instskip(NEXT) | instid1(VALU_DEP_2)
	v_add_f64 v[144:145], v[160:161], -v[144:145]
	v_mul_f64 v[131:132], v[133:134], v[131:132]
	s_delay_alu instid0(VALU_DEP_1) | instskip(NEXT) | instid1(VALU_DEP_1)
	v_add_f64 v[131:132], v[144:145], v[131:132]
	v_add_f64 v[133:134], v[146:147], v[131:132]
	s_delay_alu instid0(VALU_DEP_1) | instskip(NEXT) | instid1(VALU_DEP_1)
	v_mul_f64 v[144:145], v[133:134], v[133:134]
	v_fma_f64 v[148:149], v[144:145], s[28:29], s[26:27]
	s_mov_b32 s26, 0xd7f4df2e
	s_mov_b32 s27, 0x3fc7474d
	v_mul_f64 v[150:151], v[133:134], v[144:145]
	s_delay_alu instid0(VALU_DEP_2)
	v_fma_f64 v[148:149], v[144:145], v[148:149], s[26:27]
	s_mov_b32 s26, 0x16291751
	s_mov_b32 s27, 0x3fcc71c0
	s_delay_alu instid0(VALU_DEP_1) | instid1(SALU_CYCLE_1)
	v_fma_f64 v[148:149], v[144:145], v[148:149], s[26:27]
	s_mov_b32 s26, 0x9b27acf1
	s_mov_b32 s27, 0x3fd24924
	s_delay_alu instid0(VALU_DEP_1) | instid1(SALU_CYCLE_1)
	v_fma_f64 v[148:149], v[144:145], v[148:149], s[26:27]
	s_mov_b32 s26, 0x998ef7b6
	s_mov_b32 s27, 0x3fd99999
	s_delay_alu instid0(VALU_DEP_1) | instid1(SALU_CYCLE_1)
	v_fma_f64 v[148:149], v[144:145], v[148:149], s[26:27]
	s_delay_alu instid0(VALU_DEP_1) | instskip(SKIP_2) | instid1(VALU_DEP_3)
	v_fma_f64 v[144:145], v[144:145], v[148:149], s[24:25]
	v_ldexp_f64 v[148:149], v[133:134], 1
	v_add_f64 v[133:134], v[133:134], -v[146:147]
	v_mul_f64 v[144:145], v[150:151], v[144:145]
	v_cvt_f64_i32_e32 v[150:151], v166
	s_delay_alu instid0(VALU_DEP_3) | instskip(NEXT) | instid1(VALU_DEP_3)
	v_add_f64 v[131:132], v[131:132], -v[133:134]
	v_add_f64 v[146:147], v[148:149], v[144:145]
	s_delay_alu instid0(VALU_DEP_3) | instskip(NEXT) | instid1(VALU_DEP_3)
	v_mul_f64 v[160:161], v[150:151], s[18:19]
	v_ldexp_f64 v[131:132], v[131:132], 1
	s_delay_alu instid0(VALU_DEP_3) | instskip(NEXT) | instid1(VALU_DEP_3)
	v_add_f64 v[133:134], v[146:147], -v[148:149]
	v_fma_f64 v[148:149], v[150:151], s[18:19], -v[160:161]
	s_delay_alu instid0(VALU_DEP_2) | instskip(NEXT) | instid1(VALU_DEP_2)
	v_add_f64 v[133:134], v[144:145], -v[133:134]
	v_fma_f64 v[144:145], v[150:151], s[20:21], v[148:149]
	s_delay_alu instid0(VALU_DEP_2) | instskip(NEXT) | instid1(VALU_DEP_2)
	v_add_f64 v[131:132], v[131:132], v[133:134]
	v_add_f64 v[133:134], v[160:161], v[144:145]
	s_delay_alu instid0(VALU_DEP_2) | instskip(NEXT) | instid1(VALU_DEP_2)
	v_add_f64 v[148:149], v[146:147], v[131:132]
	v_add_f64 v[160:161], v[133:134], -v[160:161]
	s_delay_alu instid0(VALU_DEP_2) | instskip(SKIP_1) | instid1(VALU_DEP_3)
	v_add_f64 v[150:151], v[133:134], v[148:149]
	v_add_f64 v[146:147], v[148:149], -v[146:147]
	v_add_f64 v[144:145], v[144:145], -v[160:161]
	s_delay_alu instid0(VALU_DEP_3) | instskip(NEXT) | instid1(VALU_DEP_3)
	v_add_f64 v[162:163], v[150:151], -v[133:134]
	v_add_f64 v[131:132], v[131:132], -v[146:147]
	s_delay_alu instid0(VALU_DEP_2) | instskip(SKIP_1) | instid1(VALU_DEP_3)
	v_add_f64 v[164:165], v[150:151], -v[162:163]
	v_add_f64 v[146:147], v[148:149], -v[162:163]
	v_add_f64 v[148:149], v[144:145], v[131:132]
	s_delay_alu instid0(VALU_DEP_3) | instskip(NEXT) | instid1(VALU_DEP_1)
	v_add_f64 v[133:134], v[133:134], -v[164:165]
	v_add_f64 v[133:134], v[146:147], v[133:134]
	s_delay_alu instid0(VALU_DEP_3) | instskip(NEXT) | instid1(VALU_DEP_2)
	v_add_f64 v[146:147], v[148:149], -v[144:145]
	v_add_f64 v[133:134], v[148:149], v[133:134]
	s_delay_alu instid0(VALU_DEP_2) | instskip(SKIP_1) | instid1(VALU_DEP_3)
	v_add_f64 v[148:149], v[148:149], -v[146:147]
	v_add_f64 v[131:132], v[131:132], -v[146:147]
	v_add_f64 v[160:161], v[150:151], v[133:134]
	s_delay_alu instid0(VALU_DEP_3) | instskip(NEXT) | instid1(VALU_DEP_2)
	v_add_f64 v[144:145], v[144:145], -v[148:149]
	v_add_f64 v[146:147], v[160:161], -v[150:151]
	s_delay_alu instid0(VALU_DEP_2) | instskip(NEXT) | instid1(VALU_DEP_2)
	v_add_f64 v[131:132], v[131:132], v[144:145]
	v_add_f64 v[133:134], v[133:134], -v[146:147]
	s_delay_alu instid0(VALU_DEP_1) | instskip(NEXT) | instid1(VALU_DEP_1)
	v_add_f64 v[131:132], v[131:132], v[133:134]
	v_add_f64 v[131:132], v[160:161], v[131:132]
	s_delay_alu instid0(VALU_DEP_1) | instskip(SKIP_1) | instid1(VALU_DEP_2)
	v_dual_cndmask_b32 v131, v131, v6 :: v_dual_cndmask_b32 v132, v132, v7
	v_cmp_ngt_f64_e32 vcc_lo, -1.0, v[6:7]
	v_cndmask_b32_e32 v132, 0x7ff80000, v132, vcc_lo
	v_cmp_nge_f64_e32 vcc_lo, -1.0, v[6:7]
	s_delay_alu instid0(VALU_DEP_4) | instskip(SKIP_1) | instid1(VALU_DEP_4)
	v_cndmask_b32_e32 v131, 0, v131, vcc_lo
	v_cmp_neq_f64_e32 vcc_lo, -1.0, v[6:7]
	v_cndmask_b32_e32 v132, 0xfff00000, v132, vcc_lo
	s_delay_alu instid0(VALU_DEP_1)
	v_add_f64 v[6:7], v[8:9], v[131:132]
.LBB56_229:
	s_or_b32 exec_lo, exec_lo, s12
	s_delay_alu instid0(VALU_DEP_1) | instskip(SKIP_1) | instid1(VALU_DEP_2)
	v_max_f64 v[8:9], v[6:7], v[6:7]
	v_cmp_u_f64_e32 vcc_lo, v[6:7], v[6:7]
	v_min_f64 v[131:132], v[8:9], v[10:11]
	v_max_f64 v[8:9], v[8:9], v[10:11]
	s_delay_alu instid0(VALU_DEP_2) | instskip(NEXT) | instid1(VALU_DEP_2)
	v_dual_cndmask_b32 v10, v131, v6 :: v_dual_cndmask_b32 v11, v132, v7
	v_dual_cndmask_b32 v9, v9, v7 :: v_dual_cndmask_b32 v8, v8, v6
	s_delay_alu instid0(VALU_DEP_2) | instskip(NEXT) | instid1(VALU_DEP_3)
	v_cndmask_b32_e64 v131, v10, v112, s2
	v_cndmask_b32_e64 v132, v11, v113, s2
	s_delay_alu instid0(VALU_DEP_3) | instskip(NEXT) | instid1(VALU_DEP_4)
	v_cndmask_b32_e64 v11, v9, v113, s2
	v_cndmask_b32_e64 v10, v8, v112, s2
	v_dual_mov_b32 v9, v7 :: v_dual_mov_b32 v8, v6
	s_delay_alu instid0(VALU_DEP_4) | instskip(NEXT) | instid1(VALU_DEP_3)
	v_cmp_class_f64_e64 s1, v[131:132], 0x1f8
	v_cmp_neq_f64_e32 vcc_lo, v[131:132], v[10:11]
	s_delay_alu instid0(VALU_DEP_2) | instskip(NEXT) | instid1(SALU_CYCLE_1)
	s_or_b32 s1, vcc_lo, s1
	s_and_saveexec_b32 s2, s1
	s_cbranch_execz .LBB56_231
; %bb.230:
	v_add_f64 v[8:9], v[131:132], -v[10:11]
	s_mov_b32 s18, 0x652b82fe
	s_mov_b32 s19, 0x3ff71547
	;; [unrolled: 1-line block ×10, first 2 shown]
	s_delay_alu instid0(VALU_DEP_1) | instskip(SKIP_4) | instid1(VALU_DEP_3)
	v_mul_f64 v[131:132], v[8:9], s[18:19]
	s_mov_b32 s19, 0xbfe62e42
	s_mov_b32 s18, 0xfefa39ef
	v_cmp_nlt_f64_e32 vcc_lo, 0x40900000, v[8:9]
	v_cmp_ngt_f64_e64 s1, 0xc090cc00, v[8:9]
	v_rndne_f64_e32 v[131:132], v[131:132]
	s_delay_alu instid0(VALU_DEP_1) | instskip(SKIP_2) | instid1(VALU_DEP_2)
	v_fma_f64 v[133:134], v[131:132], s[18:19], v[8:9]
	v_cvt_i32_f64_e32 v146, v[131:132]
	s_mov_b32 s19, 0x3fe62e42
	v_fma_f64 v[133:134], v[131:132], s[20:21], v[133:134]
	s_mov_b32 s21, 0x3c7abc9e
	s_delay_alu instid0(VALU_DEP_1) | instskip(SKIP_4) | instid1(VALU_DEP_1)
	v_fma_f64 v[144:145], v[133:134], s[26:27], s[24:25]
	s_mov_b32 s24, 0x623fde64
	s_mov_b32 s25, 0x3ec71dee
	;; [unrolled: 1-line block ×4, first 2 shown]
	v_fma_f64 v[144:145], v[133:134], v[144:145], s[24:25]
	s_mov_b32 s24, 0x7c89e6b0
	s_mov_b32 s25, 0x3efa0199
	s_delay_alu instid0(VALU_DEP_1) | instid1(SALU_CYCLE_1)
	v_fma_f64 v[144:145], v[133:134], v[144:145], s[24:25]
	s_mov_b32 s24, 0x14761f6e
	s_mov_b32 s25, 0x3f2a01a0
	s_delay_alu instid0(VALU_DEP_1) | instid1(SALU_CYCLE_1)
	;; [unrolled: 4-line block ×7, first 2 shown]
	v_fma_f64 v[144:145], v[133:134], v[144:145], s[24:25]
	s_mov_b32 s25, 0x3fe55555
	s_mov_b32 s24, 0x55555555
	s_delay_alu instid0(VALU_DEP_1) | instskip(NEXT) | instid1(VALU_DEP_1)
	v_fma_f64 v[144:145], v[133:134], v[144:145], 1.0
	v_fma_f64 v[131:132], v[133:134], v[144:145], 1.0
	s_delay_alu instid0(VALU_DEP_1) | instskip(NEXT) | instid1(VALU_DEP_1)
	v_ldexp_f64 v[131:132], v[131:132], v146
	v_cndmask_b32_e32 v132, 0x7ff00000, v132, vcc_lo
	s_and_b32 vcc_lo, s1, vcc_lo
	s_delay_alu instid0(VALU_DEP_2) | instskip(NEXT) | instid1(VALU_DEP_2)
	v_cndmask_b32_e32 v8, 0, v131, vcc_lo
	v_cndmask_b32_e64 v9, 0, v132, s1
	s_delay_alu instid0(VALU_DEP_1) | instskip(NEXT) | instid1(VALU_DEP_1)
	v_add_f64 v[131:132], v[8:9], 1.0
	v_frexp_mant_f64_e32 v[133:134], v[131:132]
	v_frexp_exp_i32_f64_e32 v146, v[131:132]
	v_add_f64 v[144:145], v[131:132], -1.0
	s_delay_alu instid0(VALU_DEP_3) | instskip(SKIP_1) | instid1(VALU_DEP_2)
	v_cmp_gt_f64_e32 vcc_lo, s[24:25], v[133:134]
	s_mov_b32 s24, 0x55555780
	v_add_f64 v[133:134], v[144:145], -v[131:132]
	v_add_f64 v[144:145], v[8:9], -v[144:145]
	v_subrev_co_ci_u32_e32 v166, vcc_lo, 0, v146, vcc_lo
	s_delay_alu instid0(VALU_DEP_3) | instskip(SKIP_1) | instid1(VALU_DEP_3)
	v_add_f64 v[133:134], v[133:134], 1.0
	v_cmp_eq_f64_e32 vcc_lo, 0x7ff00000, v[8:9]
	v_sub_nc_u32_e32 v148, 0, v166
	s_delay_alu instid0(VALU_DEP_1) | instskip(NEXT) | instid1(VALU_DEP_4)
	v_ldexp_f64 v[131:132], v[131:132], v148
	v_add_f64 v[133:134], v[144:145], v[133:134]
	s_delay_alu instid0(VALU_DEP_2) | instskip(SKIP_1) | instid1(VALU_DEP_3)
	v_add_f64 v[146:147], v[131:132], 1.0
	v_add_f64 v[160:161], v[131:132], -1.0
	v_ldexp_f64 v[133:134], v[133:134], v148
	s_delay_alu instid0(VALU_DEP_3) | instskip(NEXT) | instid1(VALU_DEP_3)
	v_add_f64 v[144:145], v[146:147], -1.0
	v_add_f64 v[162:163], v[160:161], 1.0
	s_delay_alu instid0(VALU_DEP_2) | instskip(NEXT) | instid1(VALU_DEP_2)
	v_add_f64 v[144:145], v[131:132], -v[144:145]
	v_add_f64 v[131:132], v[131:132], -v[162:163]
	s_delay_alu instid0(VALU_DEP_2) | instskip(NEXT) | instid1(VALU_DEP_2)
	v_add_f64 v[144:145], v[133:134], v[144:145]
	v_add_f64 v[131:132], v[133:134], v[131:132]
	s_delay_alu instid0(VALU_DEP_2) | instskip(NEXT) | instid1(VALU_DEP_2)
	v_add_f64 v[148:149], v[146:147], v[144:145]
	v_add_f64 v[162:163], v[160:161], v[131:132]
	s_delay_alu instid0(VALU_DEP_2) | instskip(SKIP_1) | instid1(VALU_DEP_2)
	v_rcp_f64_e32 v[150:151], v[148:149]
	v_add_f64 v[146:147], v[148:149], -v[146:147]
	v_add_f64 v[160:161], v[162:163], -v[160:161]
	s_delay_alu instid0(VALU_DEP_2) | instskip(SKIP_3) | instid1(VALU_DEP_2)
	v_add_f64 v[144:145], v[144:145], -v[146:147]
	s_waitcnt_depctr 0xfff
	v_fma_f64 v[164:165], -v[148:149], v[150:151], 1.0
	v_add_f64 v[131:132], v[131:132], -v[160:161]
	v_fma_f64 v[150:151], v[164:165], v[150:151], v[150:151]
	s_delay_alu instid0(VALU_DEP_1) | instskip(NEXT) | instid1(VALU_DEP_1)
	v_fma_f64 v[133:134], -v[148:149], v[150:151], 1.0
	v_fma_f64 v[133:134], v[133:134], v[150:151], v[150:151]
	s_delay_alu instid0(VALU_DEP_1) | instskip(NEXT) | instid1(VALU_DEP_1)
	v_mul_f64 v[150:151], v[162:163], v[133:134]
	v_mul_f64 v[164:165], v[148:149], v[150:151]
	s_delay_alu instid0(VALU_DEP_1) | instskip(NEXT) | instid1(VALU_DEP_1)
	v_fma_f64 v[146:147], v[150:151], v[148:149], -v[164:165]
	v_fma_f64 v[146:147], v[150:151], v[144:145], v[146:147]
	s_delay_alu instid0(VALU_DEP_1) | instskip(NEXT) | instid1(VALU_DEP_1)
	v_add_f64 v[209:210], v[164:165], v[146:147]
	v_add_f64 v[211:212], v[162:163], -v[209:210]
	v_add_f64 v[160:161], v[209:210], -v[164:165]
	s_delay_alu instid0(VALU_DEP_2) | instskip(NEXT) | instid1(VALU_DEP_2)
	v_add_f64 v[162:163], v[162:163], -v[211:212]
	v_add_f64 v[146:147], v[160:161], -v[146:147]
	s_delay_alu instid0(VALU_DEP_2) | instskip(NEXT) | instid1(VALU_DEP_1)
	v_add_f64 v[162:163], v[162:163], -v[209:210]
	v_add_f64 v[131:132], v[131:132], v[162:163]
	s_delay_alu instid0(VALU_DEP_1) | instskip(NEXT) | instid1(VALU_DEP_1)
	v_add_f64 v[131:132], v[146:147], v[131:132]
	v_add_f64 v[146:147], v[211:212], v[131:132]
	s_delay_alu instid0(VALU_DEP_1) | instskip(SKIP_1) | instid1(VALU_DEP_2)
	v_mul_f64 v[160:161], v[133:134], v[146:147]
	v_add_f64 v[209:210], v[211:212], -v[146:147]
	v_mul_f64 v[162:163], v[148:149], v[160:161]
	s_delay_alu instid0(VALU_DEP_2) | instskip(NEXT) | instid1(VALU_DEP_2)
	v_add_f64 v[131:132], v[131:132], v[209:210]
	v_fma_f64 v[148:149], v[160:161], v[148:149], -v[162:163]
	s_delay_alu instid0(VALU_DEP_1) | instskip(NEXT) | instid1(VALU_DEP_1)
	v_fma_f64 v[144:145], v[160:161], v[144:145], v[148:149]
	v_add_f64 v[148:149], v[162:163], v[144:145]
	s_delay_alu instid0(VALU_DEP_1) | instskip(SKIP_1) | instid1(VALU_DEP_2)
	v_add_f64 v[164:165], v[146:147], -v[148:149]
	v_add_f64 v[162:163], v[148:149], -v[162:163]
	v_add_f64 v[146:147], v[146:147], -v[164:165]
	s_delay_alu instid0(VALU_DEP_2) | instskip(NEXT) | instid1(VALU_DEP_2)
	v_add_f64 v[144:145], v[162:163], -v[144:145]
	v_add_f64 v[146:147], v[146:147], -v[148:149]
	s_delay_alu instid0(VALU_DEP_1) | instskip(SKIP_1) | instid1(VALU_DEP_2)
	v_add_f64 v[131:132], v[131:132], v[146:147]
	v_add_f64 v[146:147], v[150:151], v[160:161]
	;; [unrolled: 1-line block ×3, first 2 shown]
	s_delay_alu instid0(VALU_DEP_2) | instskip(NEXT) | instid1(VALU_DEP_2)
	v_add_f64 v[144:145], v[146:147], -v[150:151]
	v_add_f64 v[131:132], v[164:165], v[131:132]
	s_delay_alu instid0(VALU_DEP_2) | instskip(NEXT) | instid1(VALU_DEP_2)
	v_add_f64 v[144:145], v[160:161], -v[144:145]
	v_mul_f64 v[131:132], v[133:134], v[131:132]
	s_delay_alu instid0(VALU_DEP_1) | instskip(NEXT) | instid1(VALU_DEP_1)
	v_add_f64 v[131:132], v[144:145], v[131:132]
	v_add_f64 v[133:134], v[146:147], v[131:132]
	s_delay_alu instid0(VALU_DEP_1) | instskip(NEXT) | instid1(VALU_DEP_1)
	v_mul_f64 v[144:145], v[133:134], v[133:134]
	v_fma_f64 v[148:149], v[144:145], s[28:29], s[26:27]
	s_mov_b32 s26, 0xd7f4df2e
	s_mov_b32 s27, 0x3fc7474d
	v_mul_f64 v[150:151], v[133:134], v[144:145]
	s_delay_alu instid0(VALU_DEP_2)
	v_fma_f64 v[148:149], v[144:145], v[148:149], s[26:27]
	s_mov_b32 s26, 0x16291751
	s_mov_b32 s27, 0x3fcc71c0
	s_delay_alu instid0(VALU_DEP_1) | instid1(SALU_CYCLE_1)
	v_fma_f64 v[148:149], v[144:145], v[148:149], s[26:27]
	s_mov_b32 s26, 0x9b27acf1
	s_mov_b32 s27, 0x3fd24924
	s_delay_alu instid0(VALU_DEP_1) | instid1(SALU_CYCLE_1)
	;; [unrolled: 4-line block ×3, first 2 shown]
	v_fma_f64 v[148:149], v[144:145], v[148:149], s[26:27]
	s_delay_alu instid0(VALU_DEP_1) | instskip(SKIP_2) | instid1(VALU_DEP_3)
	v_fma_f64 v[144:145], v[144:145], v[148:149], s[24:25]
	v_ldexp_f64 v[148:149], v[133:134], 1
	v_add_f64 v[133:134], v[133:134], -v[146:147]
	v_mul_f64 v[144:145], v[150:151], v[144:145]
	v_cvt_f64_i32_e32 v[150:151], v166
	s_delay_alu instid0(VALU_DEP_3) | instskip(NEXT) | instid1(VALU_DEP_3)
	v_add_f64 v[131:132], v[131:132], -v[133:134]
	v_add_f64 v[146:147], v[148:149], v[144:145]
	s_delay_alu instid0(VALU_DEP_3) | instskip(NEXT) | instid1(VALU_DEP_3)
	v_mul_f64 v[160:161], v[150:151], s[18:19]
	v_ldexp_f64 v[131:132], v[131:132], 1
	s_delay_alu instid0(VALU_DEP_3) | instskip(NEXT) | instid1(VALU_DEP_3)
	v_add_f64 v[133:134], v[146:147], -v[148:149]
	v_fma_f64 v[148:149], v[150:151], s[18:19], -v[160:161]
	s_delay_alu instid0(VALU_DEP_2) | instskip(NEXT) | instid1(VALU_DEP_2)
	v_add_f64 v[133:134], v[144:145], -v[133:134]
	v_fma_f64 v[144:145], v[150:151], s[20:21], v[148:149]
	s_delay_alu instid0(VALU_DEP_2) | instskip(NEXT) | instid1(VALU_DEP_2)
	v_add_f64 v[131:132], v[131:132], v[133:134]
	v_add_f64 v[133:134], v[160:161], v[144:145]
	s_delay_alu instid0(VALU_DEP_2) | instskip(NEXT) | instid1(VALU_DEP_2)
	v_add_f64 v[148:149], v[146:147], v[131:132]
	v_add_f64 v[160:161], v[133:134], -v[160:161]
	s_delay_alu instid0(VALU_DEP_2) | instskip(SKIP_1) | instid1(VALU_DEP_3)
	v_add_f64 v[150:151], v[133:134], v[148:149]
	v_add_f64 v[146:147], v[148:149], -v[146:147]
	v_add_f64 v[144:145], v[144:145], -v[160:161]
	s_delay_alu instid0(VALU_DEP_3) | instskip(NEXT) | instid1(VALU_DEP_3)
	v_add_f64 v[162:163], v[150:151], -v[133:134]
	v_add_f64 v[131:132], v[131:132], -v[146:147]
	s_delay_alu instid0(VALU_DEP_2) | instskip(SKIP_1) | instid1(VALU_DEP_3)
	v_add_f64 v[164:165], v[150:151], -v[162:163]
	v_add_f64 v[146:147], v[148:149], -v[162:163]
	v_add_f64 v[148:149], v[144:145], v[131:132]
	s_delay_alu instid0(VALU_DEP_3) | instskip(NEXT) | instid1(VALU_DEP_1)
	v_add_f64 v[133:134], v[133:134], -v[164:165]
	v_add_f64 v[133:134], v[146:147], v[133:134]
	s_delay_alu instid0(VALU_DEP_3) | instskip(NEXT) | instid1(VALU_DEP_2)
	v_add_f64 v[146:147], v[148:149], -v[144:145]
	v_add_f64 v[133:134], v[148:149], v[133:134]
	s_delay_alu instid0(VALU_DEP_2) | instskip(SKIP_1) | instid1(VALU_DEP_3)
	v_add_f64 v[148:149], v[148:149], -v[146:147]
	v_add_f64 v[131:132], v[131:132], -v[146:147]
	v_add_f64 v[160:161], v[150:151], v[133:134]
	s_delay_alu instid0(VALU_DEP_3) | instskip(NEXT) | instid1(VALU_DEP_2)
	v_add_f64 v[144:145], v[144:145], -v[148:149]
	v_add_f64 v[146:147], v[160:161], -v[150:151]
	s_delay_alu instid0(VALU_DEP_2) | instskip(NEXT) | instid1(VALU_DEP_2)
	v_add_f64 v[131:132], v[131:132], v[144:145]
	v_add_f64 v[133:134], v[133:134], -v[146:147]
	s_delay_alu instid0(VALU_DEP_1) | instskip(NEXT) | instid1(VALU_DEP_1)
	v_add_f64 v[131:132], v[131:132], v[133:134]
	v_add_f64 v[131:132], v[160:161], v[131:132]
	s_delay_alu instid0(VALU_DEP_1) | instskip(SKIP_1) | instid1(VALU_DEP_2)
	v_dual_cndmask_b32 v131, v131, v8 :: v_dual_cndmask_b32 v132, v132, v9
	v_cmp_ngt_f64_e32 vcc_lo, -1.0, v[8:9]
	v_cndmask_b32_e32 v132, 0x7ff80000, v132, vcc_lo
	v_cmp_nge_f64_e32 vcc_lo, -1.0, v[8:9]
	s_delay_alu instid0(VALU_DEP_4) | instskip(SKIP_1) | instid1(VALU_DEP_4)
	v_cndmask_b32_e32 v131, 0, v131, vcc_lo
	v_cmp_neq_f64_e32 vcc_lo, -1.0, v[8:9]
	v_cndmask_b32_e32 v132, 0xfff00000, v132, vcc_lo
	s_delay_alu instid0(VALU_DEP_1)
	v_add_f64 v[8:9], v[10:11], v[131:132]
.LBB56_231:
	s_or_b32 exec_lo, exec_lo, s2
	s_delay_alu instid0(VALU_DEP_1) | instskip(SKIP_1) | instid1(VALU_DEP_2)
	v_max_f64 v[10:11], v[8:9], v[8:9]
	v_cmp_u_f64_e32 vcc_lo, v[8:9], v[8:9]
	v_min_f64 v[131:132], v[10:11], v[12:13]
	v_max_f64 v[10:11], v[10:11], v[12:13]
	s_delay_alu instid0(VALU_DEP_2) | instskip(NEXT) | instid1(VALU_DEP_2)
	v_dual_cndmask_b32 v12, v131, v8 :: v_dual_cndmask_b32 v13, v132, v9
	v_dual_cndmask_b32 v11, v11, v9 :: v_dual_cndmask_b32 v10, v10, v8
	s_delay_alu instid0(VALU_DEP_2) | instskip(NEXT) | instid1(VALU_DEP_3)
	v_cndmask_b32_e64 v131, v12, v114, s3
	v_cndmask_b32_e64 v132, v13, v115, s3
	s_delay_alu instid0(VALU_DEP_3) | instskip(NEXT) | instid1(VALU_DEP_4)
	v_cndmask_b32_e64 v13, v11, v115, s3
	v_cndmask_b32_e64 v12, v10, v114, s3
	v_dual_mov_b32 v11, v9 :: v_dual_mov_b32 v10, v8
	s_delay_alu instid0(VALU_DEP_4) | instskip(NEXT) | instid1(VALU_DEP_3)
	v_cmp_class_f64_e64 s1, v[131:132], 0x1f8
	v_cmp_neq_f64_e32 vcc_lo, v[131:132], v[12:13]
	s_delay_alu instid0(VALU_DEP_2) | instskip(NEXT) | instid1(SALU_CYCLE_1)
	s_or_b32 s1, vcc_lo, s1
	s_and_saveexec_b32 s12, s1
	s_cbranch_execz .LBB56_233
; %bb.232:
	v_add_f64 v[10:11], v[131:132], -v[12:13]
	s_mov_b32 s2, 0x652b82fe
	s_mov_b32 s3, 0x3ff71547
	;; [unrolled: 1-line block ×10, first 2 shown]
	s_delay_alu instid0(VALU_DEP_1) | instskip(SKIP_4) | instid1(VALU_DEP_3)
	v_mul_f64 v[131:132], v[10:11], s[2:3]
	s_mov_b32 s3, 0xbfe62e42
	s_mov_b32 s2, 0xfefa39ef
	v_cmp_nlt_f64_e32 vcc_lo, 0x40900000, v[10:11]
	v_cmp_ngt_f64_e64 s1, 0xc090cc00, v[10:11]
	v_rndne_f64_e32 v[131:132], v[131:132]
	s_delay_alu instid0(VALU_DEP_1) | instskip(SKIP_2) | instid1(VALU_DEP_2)
	v_fma_f64 v[133:134], v[131:132], s[2:3], v[10:11]
	v_cvt_i32_f64_e32 v146, v[131:132]
	s_mov_b32 s3, 0x3fe62e42
	v_fma_f64 v[133:134], v[131:132], s[18:19], v[133:134]
	s_mov_b32 s19, 0x3c7abc9e
	s_delay_alu instid0(VALU_DEP_1) | instskip(SKIP_4) | instid1(VALU_DEP_1)
	v_fma_f64 v[144:145], v[133:134], s[24:25], s[20:21]
	s_mov_b32 s20, 0x623fde64
	s_mov_b32 s21, 0x3ec71dee
	s_mov_b32 s24, 0x6b47b09a
	s_mov_b32 s25, 0x3fc38538
	v_fma_f64 v[144:145], v[133:134], v[144:145], s[20:21]
	s_mov_b32 s20, 0x7c89e6b0
	s_mov_b32 s21, 0x3efa0199
	s_delay_alu instid0(VALU_DEP_1) | instid1(SALU_CYCLE_1)
	v_fma_f64 v[144:145], v[133:134], v[144:145], s[20:21]
	s_mov_b32 s20, 0x14761f6e
	s_mov_b32 s21, 0x3f2a01a0
	s_delay_alu instid0(VALU_DEP_1) | instid1(SALU_CYCLE_1)
	;; [unrolled: 4-line block ×7, first 2 shown]
	v_fma_f64 v[144:145], v[133:134], v[144:145], s[20:21]
	s_mov_b32 s21, 0x3fe55555
	s_mov_b32 s20, 0x55555555
	s_delay_alu instid0(VALU_DEP_1) | instskip(NEXT) | instid1(VALU_DEP_1)
	v_fma_f64 v[144:145], v[133:134], v[144:145], 1.0
	v_fma_f64 v[131:132], v[133:134], v[144:145], 1.0
	s_delay_alu instid0(VALU_DEP_1) | instskip(NEXT) | instid1(VALU_DEP_1)
	v_ldexp_f64 v[131:132], v[131:132], v146
	v_cndmask_b32_e32 v132, 0x7ff00000, v132, vcc_lo
	s_and_b32 vcc_lo, s1, vcc_lo
	s_delay_alu instid0(VALU_DEP_2) | instskip(NEXT) | instid1(VALU_DEP_2)
	v_cndmask_b32_e32 v10, 0, v131, vcc_lo
	v_cndmask_b32_e64 v11, 0, v132, s1
	s_delay_alu instid0(VALU_DEP_1) | instskip(NEXT) | instid1(VALU_DEP_1)
	v_add_f64 v[131:132], v[10:11], 1.0
	v_frexp_mant_f64_e32 v[133:134], v[131:132]
	v_frexp_exp_i32_f64_e32 v146, v[131:132]
	v_add_f64 v[144:145], v[131:132], -1.0
	s_delay_alu instid0(VALU_DEP_3) | instskip(SKIP_1) | instid1(VALU_DEP_2)
	v_cmp_gt_f64_e32 vcc_lo, s[20:21], v[133:134]
	s_mov_b32 s20, 0x55555780
	v_add_f64 v[133:134], v[144:145], -v[131:132]
	v_add_f64 v[144:145], v[10:11], -v[144:145]
	v_subrev_co_ci_u32_e32 v166, vcc_lo, 0, v146, vcc_lo
	s_delay_alu instid0(VALU_DEP_3) | instskip(SKIP_1) | instid1(VALU_DEP_3)
	v_add_f64 v[133:134], v[133:134], 1.0
	v_cmp_eq_f64_e32 vcc_lo, 0x7ff00000, v[10:11]
	v_sub_nc_u32_e32 v148, 0, v166
	s_delay_alu instid0(VALU_DEP_1) | instskip(NEXT) | instid1(VALU_DEP_4)
	v_ldexp_f64 v[131:132], v[131:132], v148
	v_add_f64 v[133:134], v[144:145], v[133:134]
	s_delay_alu instid0(VALU_DEP_2) | instskip(SKIP_1) | instid1(VALU_DEP_3)
	v_add_f64 v[146:147], v[131:132], 1.0
	v_add_f64 v[160:161], v[131:132], -1.0
	v_ldexp_f64 v[133:134], v[133:134], v148
	s_delay_alu instid0(VALU_DEP_3) | instskip(NEXT) | instid1(VALU_DEP_3)
	v_add_f64 v[144:145], v[146:147], -1.0
	v_add_f64 v[162:163], v[160:161], 1.0
	s_delay_alu instid0(VALU_DEP_2) | instskip(NEXT) | instid1(VALU_DEP_2)
	v_add_f64 v[144:145], v[131:132], -v[144:145]
	v_add_f64 v[131:132], v[131:132], -v[162:163]
	s_delay_alu instid0(VALU_DEP_2) | instskip(NEXT) | instid1(VALU_DEP_2)
	v_add_f64 v[144:145], v[133:134], v[144:145]
	v_add_f64 v[131:132], v[133:134], v[131:132]
	s_delay_alu instid0(VALU_DEP_2) | instskip(NEXT) | instid1(VALU_DEP_2)
	v_add_f64 v[148:149], v[146:147], v[144:145]
	v_add_f64 v[162:163], v[160:161], v[131:132]
	s_delay_alu instid0(VALU_DEP_2) | instskip(SKIP_1) | instid1(VALU_DEP_2)
	v_rcp_f64_e32 v[150:151], v[148:149]
	v_add_f64 v[146:147], v[148:149], -v[146:147]
	v_add_f64 v[160:161], v[162:163], -v[160:161]
	s_delay_alu instid0(VALU_DEP_2) | instskip(SKIP_3) | instid1(VALU_DEP_2)
	v_add_f64 v[144:145], v[144:145], -v[146:147]
	s_waitcnt_depctr 0xfff
	v_fma_f64 v[164:165], -v[148:149], v[150:151], 1.0
	v_add_f64 v[131:132], v[131:132], -v[160:161]
	v_fma_f64 v[150:151], v[164:165], v[150:151], v[150:151]
	s_delay_alu instid0(VALU_DEP_1) | instskip(NEXT) | instid1(VALU_DEP_1)
	v_fma_f64 v[133:134], -v[148:149], v[150:151], 1.0
	v_fma_f64 v[133:134], v[133:134], v[150:151], v[150:151]
	s_delay_alu instid0(VALU_DEP_1) | instskip(NEXT) | instid1(VALU_DEP_1)
	v_mul_f64 v[150:151], v[162:163], v[133:134]
	v_mul_f64 v[164:165], v[148:149], v[150:151]
	s_delay_alu instid0(VALU_DEP_1) | instskip(NEXT) | instid1(VALU_DEP_1)
	v_fma_f64 v[146:147], v[150:151], v[148:149], -v[164:165]
	v_fma_f64 v[146:147], v[150:151], v[144:145], v[146:147]
	s_delay_alu instid0(VALU_DEP_1) | instskip(NEXT) | instid1(VALU_DEP_1)
	v_add_f64 v[209:210], v[164:165], v[146:147]
	v_add_f64 v[211:212], v[162:163], -v[209:210]
	v_add_f64 v[160:161], v[209:210], -v[164:165]
	s_delay_alu instid0(VALU_DEP_2) | instskip(NEXT) | instid1(VALU_DEP_2)
	v_add_f64 v[162:163], v[162:163], -v[211:212]
	v_add_f64 v[146:147], v[160:161], -v[146:147]
	s_delay_alu instid0(VALU_DEP_2) | instskip(NEXT) | instid1(VALU_DEP_1)
	v_add_f64 v[162:163], v[162:163], -v[209:210]
	v_add_f64 v[131:132], v[131:132], v[162:163]
	s_delay_alu instid0(VALU_DEP_1) | instskip(NEXT) | instid1(VALU_DEP_1)
	v_add_f64 v[131:132], v[146:147], v[131:132]
	v_add_f64 v[146:147], v[211:212], v[131:132]
	s_delay_alu instid0(VALU_DEP_1) | instskip(SKIP_1) | instid1(VALU_DEP_2)
	v_mul_f64 v[160:161], v[133:134], v[146:147]
	v_add_f64 v[209:210], v[211:212], -v[146:147]
	v_mul_f64 v[162:163], v[148:149], v[160:161]
	s_delay_alu instid0(VALU_DEP_2) | instskip(NEXT) | instid1(VALU_DEP_2)
	v_add_f64 v[131:132], v[131:132], v[209:210]
	v_fma_f64 v[148:149], v[160:161], v[148:149], -v[162:163]
	s_delay_alu instid0(VALU_DEP_1) | instskip(NEXT) | instid1(VALU_DEP_1)
	v_fma_f64 v[144:145], v[160:161], v[144:145], v[148:149]
	v_add_f64 v[148:149], v[162:163], v[144:145]
	s_delay_alu instid0(VALU_DEP_1) | instskip(SKIP_1) | instid1(VALU_DEP_2)
	v_add_f64 v[164:165], v[146:147], -v[148:149]
	v_add_f64 v[162:163], v[148:149], -v[162:163]
	;; [unrolled: 1-line block ×3, first 2 shown]
	s_delay_alu instid0(VALU_DEP_2) | instskip(NEXT) | instid1(VALU_DEP_2)
	v_add_f64 v[144:145], v[162:163], -v[144:145]
	v_add_f64 v[146:147], v[146:147], -v[148:149]
	s_delay_alu instid0(VALU_DEP_1) | instskip(SKIP_1) | instid1(VALU_DEP_2)
	v_add_f64 v[131:132], v[131:132], v[146:147]
	v_add_f64 v[146:147], v[150:151], v[160:161]
	;; [unrolled: 1-line block ×3, first 2 shown]
	s_delay_alu instid0(VALU_DEP_2) | instskip(NEXT) | instid1(VALU_DEP_2)
	v_add_f64 v[144:145], v[146:147], -v[150:151]
	v_add_f64 v[131:132], v[164:165], v[131:132]
	s_delay_alu instid0(VALU_DEP_2) | instskip(NEXT) | instid1(VALU_DEP_2)
	v_add_f64 v[144:145], v[160:161], -v[144:145]
	v_mul_f64 v[131:132], v[133:134], v[131:132]
	s_delay_alu instid0(VALU_DEP_1) | instskip(NEXT) | instid1(VALU_DEP_1)
	v_add_f64 v[131:132], v[144:145], v[131:132]
	v_add_f64 v[133:134], v[146:147], v[131:132]
	s_delay_alu instid0(VALU_DEP_1) | instskip(NEXT) | instid1(VALU_DEP_1)
	v_mul_f64 v[144:145], v[133:134], v[133:134]
	v_fma_f64 v[148:149], v[144:145], s[26:27], s[24:25]
	s_mov_b32 s24, 0xd7f4df2e
	s_mov_b32 s25, 0x3fc7474d
	v_mul_f64 v[150:151], v[133:134], v[144:145]
	s_delay_alu instid0(VALU_DEP_2)
	v_fma_f64 v[148:149], v[144:145], v[148:149], s[24:25]
	s_mov_b32 s24, 0x16291751
	s_mov_b32 s25, 0x3fcc71c0
	s_delay_alu instid0(VALU_DEP_1) | instid1(SALU_CYCLE_1)
	v_fma_f64 v[148:149], v[144:145], v[148:149], s[24:25]
	s_mov_b32 s24, 0x9b27acf1
	s_mov_b32 s25, 0x3fd24924
	s_delay_alu instid0(VALU_DEP_1) | instid1(SALU_CYCLE_1)
	;; [unrolled: 4-line block ×3, first 2 shown]
	v_fma_f64 v[148:149], v[144:145], v[148:149], s[24:25]
	s_delay_alu instid0(VALU_DEP_1) | instskip(SKIP_2) | instid1(VALU_DEP_3)
	v_fma_f64 v[144:145], v[144:145], v[148:149], s[20:21]
	v_ldexp_f64 v[148:149], v[133:134], 1
	v_add_f64 v[133:134], v[133:134], -v[146:147]
	v_mul_f64 v[144:145], v[150:151], v[144:145]
	v_cvt_f64_i32_e32 v[150:151], v166
	s_delay_alu instid0(VALU_DEP_3) | instskip(NEXT) | instid1(VALU_DEP_3)
	v_add_f64 v[131:132], v[131:132], -v[133:134]
	v_add_f64 v[146:147], v[148:149], v[144:145]
	s_delay_alu instid0(VALU_DEP_3) | instskip(NEXT) | instid1(VALU_DEP_3)
	v_mul_f64 v[160:161], v[150:151], s[2:3]
	v_ldexp_f64 v[131:132], v[131:132], 1
	s_delay_alu instid0(VALU_DEP_3) | instskip(NEXT) | instid1(VALU_DEP_3)
	v_add_f64 v[133:134], v[146:147], -v[148:149]
	v_fma_f64 v[148:149], v[150:151], s[2:3], -v[160:161]
	s_delay_alu instid0(VALU_DEP_2) | instskip(NEXT) | instid1(VALU_DEP_2)
	v_add_f64 v[133:134], v[144:145], -v[133:134]
	v_fma_f64 v[144:145], v[150:151], s[18:19], v[148:149]
	s_delay_alu instid0(VALU_DEP_2) | instskip(NEXT) | instid1(VALU_DEP_2)
	v_add_f64 v[131:132], v[131:132], v[133:134]
	v_add_f64 v[133:134], v[160:161], v[144:145]
	s_delay_alu instid0(VALU_DEP_2) | instskip(NEXT) | instid1(VALU_DEP_2)
	v_add_f64 v[148:149], v[146:147], v[131:132]
	v_add_f64 v[160:161], v[133:134], -v[160:161]
	s_delay_alu instid0(VALU_DEP_2) | instskip(SKIP_1) | instid1(VALU_DEP_3)
	v_add_f64 v[150:151], v[133:134], v[148:149]
	v_add_f64 v[146:147], v[148:149], -v[146:147]
	v_add_f64 v[144:145], v[144:145], -v[160:161]
	s_delay_alu instid0(VALU_DEP_3) | instskip(NEXT) | instid1(VALU_DEP_3)
	v_add_f64 v[162:163], v[150:151], -v[133:134]
	v_add_f64 v[131:132], v[131:132], -v[146:147]
	s_delay_alu instid0(VALU_DEP_2) | instskip(SKIP_1) | instid1(VALU_DEP_3)
	v_add_f64 v[164:165], v[150:151], -v[162:163]
	v_add_f64 v[146:147], v[148:149], -v[162:163]
	v_add_f64 v[148:149], v[144:145], v[131:132]
	s_delay_alu instid0(VALU_DEP_3) | instskip(NEXT) | instid1(VALU_DEP_1)
	v_add_f64 v[133:134], v[133:134], -v[164:165]
	v_add_f64 v[133:134], v[146:147], v[133:134]
	s_delay_alu instid0(VALU_DEP_3) | instskip(NEXT) | instid1(VALU_DEP_2)
	v_add_f64 v[146:147], v[148:149], -v[144:145]
	v_add_f64 v[133:134], v[148:149], v[133:134]
	s_delay_alu instid0(VALU_DEP_2) | instskip(SKIP_1) | instid1(VALU_DEP_3)
	v_add_f64 v[148:149], v[148:149], -v[146:147]
	v_add_f64 v[131:132], v[131:132], -v[146:147]
	v_add_f64 v[160:161], v[150:151], v[133:134]
	s_delay_alu instid0(VALU_DEP_3) | instskip(NEXT) | instid1(VALU_DEP_2)
	v_add_f64 v[144:145], v[144:145], -v[148:149]
	v_add_f64 v[146:147], v[160:161], -v[150:151]
	s_delay_alu instid0(VALU_DEP_2) | instskip(NEXT) | instid1(VALU_DEP_2)
	v_add_f64 v[131:132], v[131:132], v[144:145]
	v_add_f64 v[133:134], v[133:134], -v[146:147]
	s_delay_alu instid0(VALU_DEP_1) | instskip(NEXT) | instid1(VALU_DEP_1)
	v_add_f64 v[131:132], v[131:132], v[133:134]
	v_add_f64 v[131:132], v[160:161], v[131:132]
	s_delay_alu instid0(VALU_DEP_1) | instskip(SKIP_1) | instid1(VALU_DEP_2)
	v_dual_cndmask_b32 v131, v131, v10 :: v_dual_cndmask_b32 v132, v132, v11
	v_cmp_ngt_f64_e32 vcc_lo, -1.0, v[10:11]
	v_cndmask_b32_e32 v132, 0x7ff80000, v132, vcc_lo
	v_cmp_nge_f64_e32 vcc_lo, -1.0, v[10:11]
	s_delay_alu instid0(VALU_DEP_4) | instskip(SKIP_1) | instid1(VALU_DEP_4)
	v_cndmask_b32_e32 v131, 0, v131, vcc_lo
	v_cmp_neq_f64_e32 vcc_lo, -1.0, v[10:11]
	v_cndmask_b32_e32 v132, 0xfff00000, v132, vcc_lo
	s_delay_alu instid0(VALU_DEP_1)
	v_add_f64 v[10:11], v[12:13], v[131:132]
.LBB56_233:
	s_or_b32 exec_lo, exec_lo, s12
	s_delay_alu instid0(VALU_DEP_1) | instskip(SKIP_1) | instid1(VALU_DEP_2)
	v_max_f64 v[12:13], v[10:11], v[10:11]
	v_cmp_u_f64_e32 vcc_lo, v[10:11], v[10:11]
	v_min_f64 v[131:132], v[12:13], v[14:15]
	v_max_f64 v[12:13], v[12:13], v[14:15]
	s_delay_alu instid0(VALU_DEP_2) | instskip(NEXT) | instid1(VALU_DEP_2)
	v_dual_cndmask_b32 v14, v131, v10 :: v_dual_cndmask_b32 v15, v132, v11
	v_dual_cndmask_b32 v13, v13, v11 :: v_dual_cndmask_b32 v12, v12, v10
	s_delay_alu instid0(VALU_DEP_2) | instskip(NEXT) | instid1(VALU_DEP_3)
	v_cndmask_b32_e64 v131, v14, v100, s4
	v_cndmask_b32_e64 v132, v15, v101, s4
	s_delay_alu instid0(VALU_DEP_3) | instskip(NEXT) | instid1(VALU_DEP_4)
	v_cndmask_b32_e64 v15, v13, v101, s4
	v_cndmask_b32_e64 v14, v12, v100, s4
	v_dual_mov_b32 v13, v11 :: v_dual_mov_b32 v12, v10
	s_delay_alu instid0(VALU_DEP_4) | instskip(NEXT) | instid1(VALU_DEP_3)
	v_cmp_class_f64_e64 s1, v[131:132], 0x1f8
	v_cmp_neq_f64_e32 vcc_lo, v[131:132], v[14:15]
	s_delay_alu instid0(VALU_DEP_2) | instskip(NEXT) | instid1(SALU_CYCLE_1)
	s_or_b32 s1, vcc_lo, s1
	s_and_saveexec_b32 s4, s1
	s_cbranch_execz .LBB56_235
; %bb.234:
	v_add_f64 v[12:13], v[131:132], -v[14:15]
	s_mov_b32 s2, 0x652b82fe
	s_mov_b32 s3, 0x3ff71547
	;; [unrolled: 1-line block ×10, first 2 shown]
	s_delay_alu instid0(VALU_DEP_1) | instskip(SKIP_4) | instid1(VALU_DEP_3)
	v_mul_f64 v[131:132], v[12:13], s[2:3]
	s_mov_b32 s3, 0xbfe62e42
	s_mov_b32 s2, 0xfefa39ef
	v_cmp_nlt_f64_e32 vcc_lo, 0x40900000, v[12:13]
	v_cmp_ngt_f64_e64 s1, 0xc090cc00, v[12:13]
	v_rndne_f64_e32 v[131:132], v[131:132]
	s_delay_alu instid0(VALU_DEP_1) | instskip(SKIP_2) | instid1(VALU_DEP_2)
	v_fma_f64 v[133:134], v[131:132], s[2:3], v[12:13]
	v_cvt_i32_f64_e32 v146, v[131:132]
	s_mov_b32 s3, 0x3fe62e42
	v_fma_f64 v[133:134], v[131:132], s[18:19], v[133:134]
	s_mov_b32 s19, 0x3c7abc9e
	s_delay_alu instid0(VALU_DEP_1) | instskip(SKIP_4) | instid1(VALU_DEP_1)
	v_fma_f64 v[144:145], v[133:134], s[24:25], s[20:21]
	s_mov_b32 s20, 0x623fde64
	s_mov_b32 s21, 0x3ec71dee
	;; [unrolled: 1-line block ×4, first 2 shown]
	v_fma_f64 v[144:145], v[133:134], v[144:145], s[20:21]
	s_mov_b32 s20, 0x7c89e6b0
	s_mov_b32 s21, 0x3efa0199
	s_delay_alu instid0(VALU_DEP_1) | instid1(SALU_CYCLE_1)
	v_fma_f64 v[144:145], v[133:134], v[144:145], s[20:21]
	s_mov_b32 s20, 0x14761f6e
	s_mov_b32 s21, 0x3f2a01a0
	s_delay_alu instid0(VALU_DEP_1) | instid1(SALU_CYCLE_1)
	;; [unrolled: 4-line block ×7, first 2 shown]
	v_fma_f64 v[144:145], v[133:134], v[144:145], s[20:21]
	s_mov_b32 s21, 0x3fe55555
	s_mov_b32 s20, 0x55555555
	s_delay_alu instid0(VALU_DEP_1) | instskip(NEXT) | instid1(VALU_DEP_1)
	v_fma_f64 v[144:145], v[133:134], v[144:145], 1.0
	v_fma_f64 v[131:132], v[133:134], v[144:145], 1.0
	s_delay_alu instid0(VALU_DEP_1) | instskip(NEXT) | instid1(VALU_DEP_1)
	v_ldexp_f64 v[131:132], v[131:132], v146
	v_cndmask_b32_e32 v132, 0x7ff00000, v132, vcc_lo
	s_and_b32 vcc_lo, s1, vcc_lo
	s_delay_alu instid0(VALU_DEP_2) | instskip(NEXT) | instid1(VALU_DEP_2)
	v_cndmask_b32_e32 v12, 0, v131, vcc_lo
	v_cndmask_b32_e64 v13, 0, v132, s1
	s_delay_alu instid0(VALU_DEP_1) | instskip(NEXT) | instid1(VALU_DEP_1)
	v_add_f64 v[131:132], v[12:13], 1.0
	v_frexp_mant_f64_e32 v[133:134], v[131:132]
	v_frexp_exp_i32_f64_e32 v146, v[131:132]
	v_add_f64 v[144:145], v[131:132], -1.0
	s_delay_alu instid0(VALU_DEP_3) | instskip(SKIP_1) | instid1(VALU_DEP_2)
	v_cmp_gt_f64_e32 vcc_lo, s[20:21], v[133:134]
	s_mov_b32 s20, 0x55555780
	v_add_f64 v[133:134], v[144:145], -v[131:132]
	v_add_f64 v[144:145], v[12:13], -v[144:145]
	v_subrev_co_ci_u32_e32 v166, vcc_lo, 0, v146, vcc_lo
	s_delay_alu instid0(VALU_DEP_3) | instskip(SKIP_1) | instid1(VALU_DEP_3)
	v_add_f64 v[133:134], v[133:134], 1.0
	v_cmp_eq_f64_e32 vcc_lo, 0x7ff00000, v[12:13]
	v_sub_nc_u32_e32 v148, 0, v166
	s_delay_alu instid0(VALU_DEP_1) | instskip(NEXT) | instid1(VALU_DEP_4)
	v_ldexp_f64 v[131:132], v[131:132], v148
	v_add_f64 v[133:134], v[144:145], v[133:134]
	s_delay_alu instid0(VALU_DEP_2) | instskip(SKIP_1) | instid1(VALU_DEP_3)
	v_add_f64 v[146:147], v[131:132], 1.0
	v_add_f64 v[160:161], v[131:132], -1.0
	v_ldexp_f64 v[133:134], v[133:134], v148
	s_delay_alu instid0(VALU_DEP_3) | instskip(NEXT) | instid1(VALU_DEP_3)
	v_add_f64 v[144:145], v[146:147], -1.0
	v_add_f64 v[162:163], v[160:161], 1.0
	s_delay_alu instid0(VALU_DEP_2) | instskip(NEXT) | instid1(VALU_DEP_2)
	v_add_f64 v[144:145], v[131:132], -v[144:145]
	v_add_f64 v[131:132], v[131:132], -v[162:163]
	s_delay_alu instid0(VALU_DEP_2) | instskip(NEXT) | instid1(VALU_DEP_2)
	v_add_f64 v[144:145], v[133:134], v[144:145]
	v_add_f64 v[131:132], v[133:134], v[131:132]
	s_delay_alu instid0(VALU_DEP_2) | instskip(NEXT) | instid1(VALU_DEP_2)
	v_add_f64 v[148:149], v[146:147], v[144:145]
	v_add_f64 v[162:163], v[160:161], v[131:132]
	s_delay_alu instid0(VALU_DEP_2) | instskip(SKIP_1) | instid1(VALU_DEP_2)
	v_rcp_f64_e32 v[150:151], v[148:149]
	v_add_f64 v[146:147], v[148:149], -v[146:147]
	v_add_f64 v[160:161], v[162:163], -v[160:161]
	s_delay_alu instid0(VALU_DEP_2) | instskip(SKIP_3) | instid1(VALU_DEP_2)
	v_add_f64 v[144:145], v[144:145], -v[146:147]
	s_waitcnt_depctr 0xfff
	v_fma_f64 v[164:165], -v[148:149], v[150:151], 1.0
	v_add_f64 v[131:132], v[131:132], -v[160:161]
	v_fma_f64 v[150:151], v[164:165], v[150:151], v[150:151]
	s_delay_alu instid0(VALU_DEP_1) | instskip(NEXT) | instid1(VALU_DEP_1)
	v_fma_f64 v[133:134], -v[148:149], v[150:151], 1.0
	v_fma_f64 v[133:134], v[133:134], v[150:151], v[150:151]
	s_delay_alu instid0(VALU_DEP_1) | instskip(NEXT) | instid1(VALU_DEP_1)
	v_mul_f64 v[150:151], v[162:163], v[133:134]
	v_mul_f64 v[164:165], v[148:149], v[150:151]
	s_delay_alu instid0(VALU_DEP_1) | instskip(NEXT) | instid1(VALU_DEP_1)
	v_fma_f64 v[146:147], v[150:151], v[148:149], -v[164:165]
	v_fma_f64 v[146:147], v[150:151], v[144:145], v[146:147]
	s_delay_alu instid0(VALU_DEP_1) | instskip(NEXT) | instid1(VALU_DEP_1)
	v_add_f64 v[209:210], v[164:165], v[146:147]
	v_add_f64 v[211:212], v[162:163], -v[209:210]
	v_add_f64 v[160:161], v[209:210], -v[164:165]
	s_delay_alu instid0(VALU_DEP_2) | instskip(NEXT) | instid1(VALU_DEP_2)
	v_add_f64 v[162:163], v[162:163], -v[211:212]
	v_add_f64 v[146:147], v[160:161], -v[146:147]
	s_delay_alu instid0(VALU_DEP_2) | instskip(NEXT) | instid1(VALU_DEP_1)
	v_add_f64 v[162:163], v[162:163], -v[209:210]
	v_add_f64 v[131:132], v[131:132], v[162:163]
	s_delay_alu instid0(VALU_DEP_1) | instskip(NEXT) | instid1(VALU_DEP_1)
	v_add_f64 v[131:132], v[146:147], v[131:132]
	v_add_f64 v[146:147], v[211:212], v[131:132]
	s_delay_alu instid0(VALU_DEP_1) | instskip(SKIP_1) | instid1(VALU_DEP_2)
	v_mul_f64 v[160:161], v[133:134], v[146:147]
	v_add_f64 v[209:210], v[211:212], -v[146:147]
	v_mul_f64 v[162:163], v[148:149], v[160:161]
	s_delay_alu instid0(VALU_DEP_2) | instskip(NEXT) | instid1(VALU_DEP_2)
	v_add_f64 v[131:132], v[131:132], v[209:210]
	v_fma_f64 v[148:149], v[160:161], v[148:149], -v[162:163]
	s_delay_alu instid0(VALU_DEP_1) | instskip(NEXT) | instid1(VALU_DEP_1)
	v_fma_f64 v[144:145], v[160:161], v[144:145], v[148:149]
	v_add_f64 v[148:149], v[162:163], v[144:145]
	s_delay_alu instid0(VALU_DEP_1) | instskip(SKIP_1) | instid1(VALU_DEP_2)
	v_add_f64 v[164:165], v[146:147], -v[148:149]
	v_add_f64 v[162:163], v[148:149], -v[162:163]
	;; [unrolled: 1-line block ×3, first 2 shown]
	s_delay_alu instid0(VALU_DEP_2) | instskip(NEXT) | instid1(VALU_DEP_2)
	v_add_f64 v[144:145], v[162:163], -v[144:145]
	v_add_f64 v[146:147], v[146:147], -v[148:149]
	s_delay_alu instid0(VALU_DEP_1) | instskip(SKIP_1) | instid1(VALU_DEP_2)
	v_add_f64 v[131:132], v[131:132], v[146:147]
	v_add_f64 v[146:147], v[150:151], v[160:161]
	;; [unrolled: 1-line block ×3, first 2 shown]
	s_delay_alu instid0(VALU_DEP_2) | instskip(NEXT) | instid1(VALU_DEP_2)
	v_add_f64 v[144:145], v[146:147], -v[150:151]
	v_add_f64 v[131:132], v[164:165], v[131:132]
	s_delay_alu instid0(VALU_DEP_2) | instskip(NEXT) | instid1(VALU_DEP_2)
	v_add_f64 v[144:145], v[160:161], -v[144:145]
	v_mul_f64 v[131:132], v[133:134], v[131:132]
	s_delay_alu instid0(VALU_DEP_1) | instskip(NEXT) | instid1(VALU_DEP_1)
	v_add_f64 v[131:132], v[144:145], v[131:132]
	v_add_f64 v[133:134], v[146:147], v[131:132]
	s_delay_alu instid0(VALU_DEP_1) | instskip(NEXT) | instid1(VALU_DEP_1)
	v_mul_f64 v[144:145], v[133:134], v[133:134]
	v_fma_f64 v[148:149], v[144:145], s[26:27], s[24:25]
	s_mov_b32 s24, 0xd7f4df2e
	s_mov_b32 s25, 0x3fc7474d
	v_mul_f64 v[150:151], v[133:134], v[144:145]
	s_delay_alu instid0(VALU_DEP_2)
	v_fma_f64 v[148:149], v[144:145], v[148:149], s[24:25]
	s_mov_b32 s24, 0x16291751
	s_mov_b32 s25, 0x3fcc71c0
	s_delay_alu instid0(VALU_DEP_1) | instid1(SALU_CYCLE_1)
	v_fma_f64 v[148:149], v[144:145], v[148:149], s[24:25]
	s_mov_b32 s24, 0x9b27acf1
	s_mov_b32 s25, 0x3fd24924
	s_delay_alu instid0(VALU_DEP_1) | instid1(SALU_CYCLE_1)
	;; [unrolled: 4-line block ×3, first 2 shown]
	v_fma_f64 v[148:149], v[144:145], v[148:149], s[24:25]
	s_delay_alu instid0(VALU_DEP_1) | instskip(SKIP_2) | instid1(VALU_DEP_3)
	v_fma_f64 v[144:145], v[144:145], v[148:149], s[20:21]
	v_ldexp_f64 v[148:149], v[133:134], 1
	v_add_f64 v[133:134], v[133:134], -v[146:147]
	v_mul_f64 v[144:145], v[150:151], v[144:145]
	v_cvt_f64_i32_e32 v[150:151], v166
	s_delay_alu instid0(VALU_DEP_3) | instskip(NEXT) | instid1(VALU_DEP_3)
	v_add_f64 v[131:132], v[131:132], -v[133:134]
	v_add_f64 v[146:147], v[148:149], v[144:145]
	s_delay_alu instid0(VALU_DEP_3) | instskip(NEXT) | instid1(VALU_DEP_3)
	v_mul_f64 v[160:161], v[150:151], s[2:3]
	v_ldexp_f64 v[131:132], v[131:132], 1
	s_delay_alu instid0(VALU_DEP_3) | instskip(NEXT) | instid1(VALU_DEP_3)
	v_add_f64 v[133:134], v[146:147], -v[148:149]
	v_fma_f64 v[148:149], v[150:151], s[2:3], -v[160:161]
	s_delay_alu instid0(VALU_DEP_2) | instskip(NEXT) | instid1(VALU_DEP_2)
	v_add_f64 v[133:134], v[144:145], -v[133:134]
	v_fma_f64 v[144:145], v[150:151], s[18:19], v[148:149]
	s_delay_alu instid0(VALU_DEP_2) | instskip(NEXT) | instid1(VALU_DEP_2)
	v_add_f64 v[131:132], v[131:132], v[133:134]
	v_add_f64 v[133:134], v[160:161], v[144:145]
	s_delay_alu instid0(VALU_DEP_2) | instskip(NEXT) | instid1(VALU_DEP_2)
	v_add_f64 v[148:149], v[146:147], v[131:132]
	v_add_f64 v[160:161], v[133:134], -v[160:161]
	s_delay_alu instid0(VALU_DEP_2) | instskip(SKIP_1) | instid1(VALU_DEP_3)
	v_add_f64 v[150:151], v[133:134], v[148:149]
	v_add_f64 v[146:147], v[148:149], -v[146:147]
	v_add_f64 v[144:145], v[144:145], -v[160:161]
	s_delay_alu instid0(VALU_DEP_3) | instskip(NEXT) | instid1(VALU_DEP_3)
	v_add_f64 v[162:163], v[150:151], -v[133:134]
	v_add_f64 v[131:132], v[131:132], -v[146:147]
	s_delay_alu instid0(VALU_DEP_2) | instskip(SKIP_1) | instid1(VALU_DEP_3)
	v_add_f64 v[164:165], v[150:151], -v[162:163]
	v_add_f64 v[146:147], v[148:149], -v[162:163]
	v_add_f64 v[148:149], v[144:145], v[131:132]
	s_delay_alu instid0(VALU_DEP_3) | instskip(NEXT) | instid1(VALU_DEP_1)
	v_add_f64 v[133:134], v[133:134], -v[164:165]
	v_add_f64 v[133:134], v[146:147], v[133:134]
	s_delay_alu instid0(VALU_DEP_3) | instskip(NEXT) | instid1(VALU_DEP_2)
	v_add_f64 v[146:147], v[148:149], -v[144:145]
	v_add_f64 v[133:134], v[148:149], v[133:134]
	s_delay_alu instid0(VALU_DEP_2) | instskip(SKIP_1) | instid1(VALU_DEP_3)
	v_add_f64 v[148:149], v[148:149], -v[146:147]
	v_add_f64 v[131:132], v[131:132], -v[146:147]
	v_add_f64 v[160:161], v[150:151], v[133:134]
	s_delay_alu instid0(VALU_DEP_3) | instskip(NEXT) | instid1(VALU_DEP_2)
	v_add_f64 v[144:145], v[144:145], -v[148:149]
	v_add_f64 v[146:147], v[160:161], -v[150:151]
	s_delay_alu instid0(VALU_DEP_2) | instskip(NEXT) | instid1(VALU_DEP_2)
	v_add_f64 v[131:132], v[131:132], v[144:145]
	v_add_f64 v[133:134], v[133:134], -v[146:147]
	s_delay_alu instid0(VALU_DEP_1) | instskip(NEXT) | instid1(VALU_DEP_1)
	v_add_f64 v[131:132], v[131:132], v[133:134]
	v_add_f64 v[131:132], v[160:161], v[131:132]
	s_delay_alu instid0(VALU_DEP_1) | instskip(SKIP_1) | instid1(VALU_DEP_2)
	v_dual_cndmask_b32 v131, v131, v12 :: v_dual_cndmask_b32 v132, v132, v13
	v_cmp_ngt_f64_e32 vcc_lo, -1.0, v[12:13]
	v_cndmask_b32_e32 v132, 0x7ff80000, v132, vcc_lo
	v_cmp_nge_f64_e32 vcc_lo, -1.0, v[12:13]
	s_delay_alu instid0(VALU_DEP_4) | instskip(SKIP_1) | instid1(VALU_DEP_4)
	v_cndmask_b32_e32 v131, 0, v131, vcc_lo
	v_cmp_neq_f64_e32 vcc_lo, -1.0, v[12:13]
	v_cndmask_b32_e32 v132, 0xfff00000, v132, vcc_lo
	s_delay_alu instid0(VALU_DEP_1)
	v_add_f64 v[12:13], v[14:15], v[131:132]
.LBB56_235:
	s_or_b32 exec_lo, exec_lo, s4
	s_delay_alu instid0(VALU_DEP_1) | instskip(SKIP_1) | instid1(VALU_DEP_2)
	v_max_f64 v[14:15], v[12:13], v[12:13]
	v_cmp_u_f64_e32 vcc_lo, v[12:13], v[12:13]
	v_min_f64 v[131:132], v[14:15], v[16:17]
	v_max_f64 v[14:15], v[14:15], v[16:17]
	s_delay_alu instid0(VALU_DEP_2) | instskip(NEXT) | instid1(VALU_DEP_2)
	v_dual_cndmask_b32 v16, v131, v12 :: v_dual_cndmask_b32 v17, v132, v13
	v_dual_cndmask_b32 v15, v15, v13 :: v_dual_cndmask_b32 v14, v14, v12
	s_delay_alu instid0(VALU_DEP_2) | instskip(NEXT) | instid1(VALU_DEP_3)
	v_cndmask_b32_e64 v131, v16, v102, s5
	v_cndmask_b32_e64 v132, v17, v103, s5
	s_delay_alu instid0(VALU_DEP_3) | instskip(NEXT) | instid1(VALU_DEP_4)
	v_cndmask_b32_e64 v17, v15, v103, s5
	v_cndmask_b32_e64 v16, v14, v102, s5
	v_dual_mov_b32 v15, v13 :: v_dual_mov_b32 v14, v12
	s_delay_alu instid0(VALU_DEP_4) | instskip(NEXT) | instid1(VALU_DEP_3)
	v_cmp_class_f64_e64 s1, v[131:132], 0x1f8
	v_cmp_neq_f64_e32 vcc_lo, v[131:132], v[16:17]
	s_delay_alu instid0(VALU_DEP_2) | instskip(NEXT) | instid1(SALU_CYCLE_1)
	s_or_b32 s1, vcc_lo, s1
	s_and_saveexec_b32 s12, s1
	s_cbranch_execz .LBB56_237
; %bb.236:
	v_add_f64 v[14:15], v[131:132], -v[16:17]
	s_mov_b32 s2, 0x652b82fe
	s_mov_b32 s3, 0x3ff71547
	;; [unrolled: 1-line block ×10, first 2 shown]
	s_delay_alu instid0(VALU_DEP_1) | instskip(SKIP_4) | instid1(VALU_DEP_3)
	v_mul_f64 v[131:132], v[14:15], s[2:3]
	s_mov_b32 s3, 0xbfe62e42
	s_mov_b32 s2, 0xfefa39ef
	v_cmp_nlt_f64_e32 vcc_lo, 0x40900000, v[14:15]
	v_cmp_ngt_f64_e64 s1, 0xc090cc00, v[14:15]
	v_rndne_f64_e32 v[131:132], v[131:132]
	s_delay_alu instid0(VALU_DEP_1) | instskip(SKIP_2) | instid1(VALU_DEP_2)
	v_fma_f64 v[133:134], v[131:132], s[2:3], v[14:15]
	v_cvt_i32_f64_e32 v146, v[131:132]
	s_mov_b32 s3, 0x3fe62e42
	v_fma_f64 v[133:134], v[131:132], s[4:5], v[133:134]
	s_mov_b32 s5, 0x3c7abc9e
	s_delay_alu instid0(VALU_DEP_1) | instskip(SKIP_4) | instid1(VALU_DEP_1)
	v_fma_f64 v[144:145], v[133:134], s[20:21], s[18:19]
	s_mov_b32 s18, 0x623fde64
	s_mov_b32 s19, 0x3ec71dee
	;; [unrolled: 1-line block ×4, first 2 shown]
	v_fma_f64 v[144:145], v[133:134], v[144:145], s[18:19]
	s_mov_b32 s18, 0x7c89e6b0
	s_mov_b32 s19, 0x3efa0199
	s_delay_alu instid0(VALU_DEP_1) | instid1(SALU_CYCLE_1)
	v_fma_f64 v[144:145], v[133:134], v[144:145], s[18:19]
	s_mov_b32 s18, 0x14761f6e
	s_mov_b32 s19, 0x3f2a01a0
	s_delay_alu instid0(VALU_DEP_1) | instid1(SALU_CYCLE_1)
	;; [unrolled: 4-line block ×7, first 2 shown]
	v_fma_f64 v[144:145], v[133:134], v[144:145], s[18:19]
	s_mov_b32 s19, 0x3fe55555
	s_mov_b32 s18, 0x55555555
	s_delay_alu instid0(VALU_DEP_1) | instskip(NEXT) | instid1(VALU_DEP_1)
	v_fma_f64 v[144:145], v[133:134], v[144:145], 1.0
	v_fma_f64 v[131:132], v[133:134], v[144:145], 1.0
	s_delay_alu instid0(VALU_DEP_1) | instskip(NEXT) | instid1(VALU_DEP_1)
	v_ldexp_f64 v[131:132], v[131:132], v146
	v_cndmask_b32_e32 v132, 0x7ff00000, v132, vcc_lo
	s_and_b32 vcc_lo, s1, vcc_lo
	s_delay_alu instid0(VALU_DEP_2) | instskip(NEXT) | instid1(VALU_DEP_2)
	v_cndmask_b32_e32 v14, 0, v131, vcc_lo
	v_cndmask_b32_e64 v15, 0, v132, s1
	s_delay_alu instid0(VALU_DEP_1) | instskip(NEXT) | instid1(VALU_DEP_1)
	v_add_f64 v[131:132], v[14:15], 1.0
	v_frexp_mant_f64_e32 v[133:134], v[131:132]
	v_frexp_exp_i32_f64_e32 v146, v[131:132]
	v_add_f64 v[144:145], v[131:132], -1.0
	s_delay_alu instid0(VALU_DEP_3) | instskip(SKIP_1) | instid1(VALU_DEP_2)
	v_cmp_gt_f64_e32 vcc_lo, s[18:19], v[133:134]
	s_mov_b32 s18, 0x55555780
	v_add_f64 v[133:134], v[144:145], -v[131:132]
	v_add_f64 v[144:145], v[14:15], -v[144:145]
	v_subrev_co_ci_u32_e32 v166, vcc_lo, 0, v146, vcc_lo
	s_delay_alu instid0(VALU_DEP_3) | instskip(SKIP_1) | instid1(VALU_DEP_3)
	v_add_f64 v[133:134], v[133:134], 1.0
	v_cmp_eq_f64_e32 vcc_lo, 0x7ff00000, v[14:15]
	v_sub_nc_u32_e32 v148, 0, v166
	s_delay_alu instid0(VALU_DEP_1) | instskip(NEXT) | instid1(VALU_DEP_4)
	v_ldexp_f64 v[131:132], v[131:132], v148
	v_add_f64 v[133:134], v[144:145], v[133:134]
	s_delay_alu instid0(VALU_DEP_2) | instskip(SKIP_1) | instid1(VALU_DEP_3)
	v_add_f64 v[146:147], v[131:132], 1.0
	v_add_f64 v[160:161], v[131:132], -1.0
	v_ldexp_f64 v[133:134], v[133:134], v148
	s_delay_alu instid0(VALU_DEP_3) | instskip(NEXT) | instid1(VALU_DEP_3)
	v_add_f64 v[144:145], v[146:147], -1.0
	v_add_f64 v[162:163], v[160:161], 1.0
	s_delay_alu instid0(VALU_DEP_2) | instskip(NEXT) | instid1(VALU_DEP_2)
	v_add_f64 v[144:145], v[131:132], -v[144:145]
	v_add_f64 v[131:132], v[131:132], -v[162:163]
	s_delay_alu instid0(VALU_DEP_2) | instskip(NEXT) | instid1(VALU_DEP_2)
	v_add_f64 v[144:145], v[133:134], v[144:145]
	v_add_f64 v[131:132], v[133:134], v[131:132]
	s_delay_alu instid0(VALU_DEP_2) | instskip(NEXT) | instid1(VALU_DEP_2)
	v_add_f64 v[148:149], v[146:147], v[144:145]
	v_add_f64 v[162:163], v[160:161], v[131:132]
	s_delay_alu instid0(VALU_DEP_2) | instskip(SKIP_1) | instid1(VALU_DEP_2)
	v_rcp_f64_e32 v[150:151], v[148:149]
	v_add_f64 v[146:147], v[148:149], -v[146:147]
	v_add_f64 v[160:161], v[162:163], -v[160:161]
	s_delay_alu instid0(VALU_DEP_2) | instskip(SKIP_3) | instid1(VALU_DEP_2)
	v_add_f64 v[144:145], v[144:145], -v[146:147]
	s_waitcnt_depctr 0xfff
	v_fma_f64 v[164:165], -v[148:149], v[150:151], 1.0
	v_add_f64 v[131:132], v[131:132], -v[160:161]
	v_fma_f64 v[150:151], v[164:165], v[150:151], v[150:151]
	s_delay_alu instid0(VALU_DEP_1) | instskip(NEXT) | instid1(VALU_DEP_1)
	v_fma_f64 v[133:134], -v[148:149], v[150:151], 1.0
	v_fma_f64 v[133:134], v[133:134], v[150:151], v[150:151]
	s_delay_alu instid0(VALU_DEP_1) | instskip(NEXT) | instid1(VALU_DEP_1)
	v_mul_f64 v[150:151], v[162:163], v[133:134]
	v_mul_f64 v[164:165], v[148:149], v[150:151]
	s_delay_alu instid0(VALU_DEP_1) | instskip(NEXT) | instid1(VALU_DEP_1)
	v_fma_f64 v[146:147], v[150:151], v[148:149], -v[164:165]
	v_fma_f64 v[146:147], v[150:151], v[144:145], v[146:147]
	s_delay_alu instid0(VALU_DEP_1) | instskip(NEXT) | instid1(VALU_DEP_1)
	v_add_f64 v[209:210], v[164:165], v[146:147]
	v_add_f64 v[211:212], v[162:163], -v[209:210]
	v_add_f64 v[160:161], v[209:210], -v[164:165]
	s_delay_alu instid0(VALU_DEP_2) | instskip(NEXT) | instid1(VALU_DEP_2)
	v_add_f64 v[162:163], v[162:163], -v[211:212]
	v_add_f64 v[146:147], v[160:161], -v[146:147]
	s_delay_alu instid0(VALU_DEP_2) | instskip(NEXT) | instid1(VALU_DEP_1)
	v_add_f64 v[162:163], v[162:163], -v[209:210]
	v_add_f64 v[131:132], v[131:132], v[162:163]
	s_delay_alu instid0(VALU_DEP_1) | instskip(NEXT) | instid1(VALU_DEP_1)
	v_add_f64 v[131:132], v[146:147], v[131:132]
	v_add_f64 v[146:147], v[211:212], v[131:132]
	s_delay_alu instid0(VALU_DEP_1) | instskip(SKIP_1) | instid1(VALU_DEP_2)
	v_mul_f64 v[160:161], v[133:134], v[146:147]
	v_add_f64 v[209:210], v[211:212], -v[146:147]
	v_mul_f64 v[162:163], v[148:149], v[160:161]
	s_delay_alu instid0(VALU_DEP_2) | instskip(NEXT) | instid1(VALU_DEP_2)
	v_add_f64 v[131:132], v[131:132], v[209:210]
	v_fma_f64 v[148:149], v[160:161], v[148:149], -v[162:163]
	s_delay_alu instid0(VALU_DEP_1) | instskip(NEXT) | instid1(VALU_DEP_1)
	v_fma_f64 v[144:145], v[160:161], v[144:145], v[148:149]
	v_add_f64 v[148:149], v[162:163], v[144:145]
	s_delay_alu instid0(VALU_DEP_1) | instskip(SKIP_1) | instid1(VALU_DEP_2)
	v_add_f64 v[164:165], v[146:147], -v[148:149]
	v_add_f64 v[162:163], v[148:149], -v[162:163]
	;; [unrolled: 1-line block ×3, first 2 shown]
	s_delay_alu instid0(VALU_DEP_2) | instskip(NEXT) | instid1(VALU_DEP_2)
	v_add_f64 v[144:145], v[162:163], -v[144:145]
	v_add_f64 v[146:147], v[146:147], -v[148:149]
	s_delay_alu instid0(VALU_DEP_1) | instskip(SKIP_1) | instid1(VALU_DEP_2)
	v_add_f64 v[131:132], v[131:132], v[146:147]
	v_add_f64 v[146:147], v[150:151], v[160:161]
	;; [unrolled: 1-line block ×3, first 2 shown]
	s_delay_alu instid0(VALU_DEP_2) | instskip(NEXT) | instid1(VALU_DEP_2)
	v_add_f64 v[144:145], v[146:147], -v[150:151]
	v_add_f64 v[131:132], v[164:165], v[131:132]
	s_delay_alu instid0(VALU_DEP_2) | instskip(NEXT) | instid1(VALU_DEP_2)
	v_add_f64 v[144:145], v[160:161], -v[144:145]
	v_mul_f64 v[131:132], v[133:134], v[131:132]
	s_delay_alu instid0(VALU_DEP_1) | instskip(NEXT) | instid1(VALU_DEP_1)
	v_add_f64 v[131:132], v[144:145], v[131:132]
	v_add_f64 v[133:134], v[146:147], v[131:132]
	s_delay_alu instid0(VALU_DEP_1) | instskip(NEXT) | instid1(VALU_DEP_1)
	v_mul_f64 v[144:145], v[133:134], v[133:134]
	v_fma_f64 v[148:149], v[144:145], s[24:25], s[20:21]
	s_mov_b32 s20, 0xd7f4df2e
	s_mov_b32 s21, 0x3fc7474d
	v_mul_f64 v[150:151], v[133:134], v[144:145]
	s_delay_alu instid0(VALU_DEP_2)
	v_fma_f64 v[148:149], v[144:145], v[148:149], s[20:21]
	s_mov_b32 s20, 0x16291751
	s_mov_b32 s21, 0x3fcc71c0
	s_delay_alu instid0(VALU_DEP_1) | instid1(SALU_CYCLE_1)
	v_fma_f64 v[148:149], v[144:145], v[148:149], s[20:21]
	s_mov_b32 s20, 0x9b27acf1
	s_mov_b32 s21, 0x3fd24924
	s_delay_alu instid0(VALU_DEP_1) | instid1(SALU_CYCLE_1)
	;; [unrolled: 4-line block ×3, first 2 shown]
	v_fma_f64 v[148:149], v[144:145], v[148:149], s[20:21]
	s_delay_alu instid0(VALU_DEP_1) | instskip(SKIP_2) | instid1(VALU_DEP_3)
	v_fma_f64 v[144:145], v[144:145], v[148:149], s[18:19]
	v_ldexp_f64 v[148:149], v[133:134], 1
	v_add_f64 v[133:134], v[133:134], -v[146:147]
	v_mul_f64 v[144:145], v[150:151], v[144:145]
	v_cvt_f64_i32_e32 v[150:151], v166
	s_delay_alu instid0(VALU_DEP_3) | instskip(NEXT) | instid1(VALU_DEP_3)
	v_add_f64 v[131:132], v[131:132], -v[133:134]
	v_add_f64 v[146:147], v[148:149], v[144:145]
	s_delay_alu instid0(VALU_DEP_3) | instskip(NEXT) | instid1(VALU_DEP_3)
	v_mul_f64 v[160:161], v[150:151], s[2:3]
	v_ldexp_f64 v[131:132], v[131:132], 1
	s_delay_alu instid0(VALU_DEP_3) | instskip(NEXT) | instid1(VALU_DEP_3)
	v_add_f64 v[133:134], v[146:147], -v[148:149]
	v_fma_f64 v[148:149], v[150:151], s[2:3], -v[160:161]
	s_delay_alu instid0(VALU_DEP_2) | instskip(NEXT) | instid1(VALU_DEP_2)
	v_add_f64 v[133:134], v[144:145], -v[133:134]
	v_fma_f64 v[144:145], v[150:151], s[4:5], v[148:149]
	s_delay_alu instid0(VALU_DEP_2) | instskip(NEXT) | instid1(VALU_DEP_2)
	v_add_f64 v[131:132], v[131:132], v[133:134]
	v_add_f64 v[133:134], v[160:161], v[144:145]
	s_delay_alu instid0(VALU_DEP_2) | instskip(NEXT) | instid1(VALU_DEP_2)
	v_add_f64 v[148:149], v[146:147], v[131:132]
	v_add_f64 v[160:161], v[133:134], -v[160:161]
	s_delay_alu instid0(VALU_DEP_2) | instskip(SKIP_1) | instid1(VALU_DEP_3)
	v_add_f64 v[150:151], v[133:134], v[148:149]
	v_add_f64 v[146:147], v[148:149], -v[146:147]
	v_add_f64 v[144:145], v[144:145], -v[160:161]
	s_delay_alu instid0(VALU_DEP_3) | instskip(NEXT) | instid1(VALU_DEP_3)
	v_add_f64 v[162:163], v[150:151], -v[133:134]
	v_add_f64 v[131:132], v[131:132], -v[146:147]
	s_delay_alu instid0(VALU_DEP_2) | instskip(SKIP_1) | instid1(VALU_DEP_3)
	v_add_f64 v[164:165], v[150:151], -v[162:163]
	v_add_f64 v[146:147], v[148:149], -v[162:163]
	v_add_f64 v[148:149], v[144:145], v[131:132]
	s_delay_alu instid0(VALU_DEP_3) | instskip(NEXT) | instid1(VALU_DEP_1)
	v_add_f64 v[133:134], v[133:134], -v[164:165]
	v_add_f64 v[133:134], v[146:147], v[133:134]
	s_delay_alu instid0(VALU_DEP_3) | instskip(NEXT) | instid1(VALU_DEP_2)
	v_add_f64 v[146:147], v[148:149], -v[144:145]
	v_add_f64 v[133:134], v[148:149], v[133:134]
	s_delay_alu instid0(VALU_DEP_2) | instskip(SKIP_1) | instid1(VALU_DEP_3)
	v_add_f64 v[148:149], v[148:149], -v[146:147]
	v_add_f64 v[131:132], v[131:132], -v[146:147]
	v_add_f64 v[160:161], v[150:151], v[133:134]
	s_delay_alu instid0(VALU_DEP_3) | instskip(NEXT) | instid1(VALU_DEP_2)
	v_add_f64 v[144:145], v[144:145], -v[148:149]
	v_add_f64 v[146:147], v[160:161], -v[150:151]
	s_delay_alu instid0(VALU_DEP_2) | instskip(NEXT) | instid1(VALU_DEP_2)
	v_add_f64 v[131:132], v[131:132], v[144:145]
	v_add_f64 v[133:134], v[133:134], -v[146:147]
	s_delay_alu instid0(VALU_DEP_1) | instskip(NEXT) | instid1(VALU_DEP_1)
	v_add_f64 v[131:132], v[131:132], v[133:134]
	v_add_f64 v[131:132], v[160:161], v[131:132]
	s_delay_alu instid0(VALU_DEP_1) | instskip(SKIP_1) | instid1(VALU_DEP_2)
	v_dual_cndmask_b32 v131, v131, v14 :: v_dual_cndmask_b32 v132, v132, v15
	v_cmp_ngt_f64_e32 vcc_lo, -1.0, v[14:15]
	v_cndmask_b32_e32 v132, 0x7ff80000, v132, vcc_lo
	v_cmp_nge_f64_e32 vcc_lo, -1.0, v[14:15]
	s_delay_alu instid0(VALU_DEP_4) | instskip(SKIP_1) | instid1(VALU_DEP_4)
	v_cndmask_b32_e32 v131, 0, v131, vcc_lo
	v_cmp_neq_f64_e32 vcc_lo, -1.0, v[14:15]
	v_cndmask_b32_e32 v132, 0xfff00000, v132, vcc_lo
	s_delay_alu instid0(VALU_DEP_1)
	v_add_f64 v[14:15], v[16:17], v[131:132]
.LBB56_237:
	s_or_b32 exec_lo, exec_lo, s12
	s_delay_alu instid0(VALU_DEP_1) | instskip(SKIP_1) | instid1(VALU_DEP_2)
	v_max_f64 v[16:17], v[14:15], v[14:15]
	v_cmp_u_f64_e32 vcc_lo, v[14:15], v[14:15]
	v_min_f64 v[131:132], v[16:17], v[18:19]
	v_max_f64 v[16:17], v[16:17], v[18:19]
	s_delay_alu instid0(VALU_DEP_2) | instskip(NEXT) | instid1(VALU_DEP_2)
	v_dual_cndmask_b32 v18, v131, v14 :: v_dual_cndmask_b32 v19, v132, v15
	v_dual_cndmask_b32 v17, v17, v15 :: v_dual_cndmask_b32 v16, v16, v14
	s_delay_alu instid0(VALU_DEP_2) | instskip(NEXT) | instid1(VALU_DEP_3)
	v_cndmask_b32_e64 v131, v18, v96, s6
	v_cndmask_b32_e64 v132, v19, v97, s6
	s_delay_alu instid0(VALU_DEP_3) | instskip(NEXT) | instid1(VALU_DEP_4)
	v_cndmask_b32_e64 v19, v17, v97, s6
	v_cndmask_b32_e64 v18, v16, v96, s6
	v_dual_mov_b32 v17, v15 :: v_dual_mov_b32 v16, v14
	s_delay_alu instid0(VALU_DEP_4) | instskip(NEXT) | instid1(VALU_DEP_3)
	v_cmp_class_f64_e64 s1, v[131:132], 0x1f8
	v_cmp_neq_f64_e32 vcc_lo, v[131:132], v[18:19]
	s_delay_alu instid0(VALU_DEP_2) | instskip(NEXT) | instid1(SALU_CYCLE_1)
	s_or_b32 s1, vcc_lo, s1
	s_and_saveexec_b32 s6, s1
	s_cbranch_execz .LBB56_239
; %bb.238:
	v_add_f64 v[16:17], v[131:132], -v[18:19]
	s_mov_b32 s2, 0x652b82fe
	s_mov_b32 s3, 0x3ff71547
	;; [unrolled: 1-line block ×10, first 2 shown]
	s_delay_alu instid0(VALU_DEP_1) | instskip(SKIP_4) | instid1(VALU_DEP_3)
	v_mul_f64 v[131:132], v[16:17], s[2:3]
	s_mov_b32 s3, 0xbfe62e42
	s_mov_b32 s2, 0xfefa39ef
	v_cmp_nlt_f64_e32 vcc_lo, 0x40900000, v[16:17]
	v_cmp_ngt_f64_e64 s1, 0xc090cc00, v[16:17]
	v_rndne_f64_e32 v[131:132], v[131:132]
	s_delay_alu instid0(VALU_DEP_1) | instskip(SKIP_2) | instid1(VALU_DEP_2)
	v_fma_f64 v[133:134], v[131:132], s[2:3], v[16:17]
	v_cvt_i32_f64_e32 v146, v[131:132]
	s_mov_b32 s3, 0x3fe62e42
	v_fma_f64 v[133:134], v[131:132], s[4:5], v[133:134]
	s_mov_b32 s5, 0x3c7abc9e
	s_delay_alu instid0(VALU_DEP_1) | instskip(SKIP_4) | instid1(VALU_DEP_1)
	v_fma_f64 v[144:145], v[133:134], s[20:21], s[18:19]
	s_mov_b32 s18, 0x623fde64
	s_mov_b32 s19, 0x3ec71dee
	;; [unrolled: 1-line block ×4, first 2 shown]
	v_fma_f64 v[144:145], v[133:134], v[144:145], s[18:19]
	s_mov_b32 s18, 0x7c89e6b0
	s_mov_b32 s19, 0x3efa0199
	s_delay_alu instid0(VALU_DEP_1) | instid1(SALU_CYCLE_1)
	v_fma_f64 v[144:145], v[133:134], v[144:145], s[18:19]
	s_mov_b32 s18, 0x14761f6e
	s_mov_b32 s19, 0x3f2a01a0
	s_delay_alu instid0(VALU_DEP_1) | instid1(SALU_CYCLE_1)
	;; [unrolled: 4-line block ×7, first 2 shown]
	v_fma_f64 v[144:145], v[133:134], v[144:145], s[18:19]
	s_mov_b32 s19, 0x3fe55555
	s_mov_b32 s18, 0x55555555
	s_delay_alu instid0(VALU_DEP_1) | instskip(NEXT) | instid1(VALU_DEP_1)
	v_fma_f64 v[144:145], v[133:134], v[144:145], 1.0
	v_fma_f64 v[131:132], v[133:134], v[144:145], 1.0
	s_delay_alu instid0(VALU_DEP_1) | instskip(NEXT) | instid1(VALU_DEP_1)
	v_ldexp_f64 v[131:132], v[131:132], v146
	v_cndmask_b32_e32 v132, 0x7ff00000, v132, vcc_lo
	s_and_b32 vcc_lo, s1, vcc_lo
	s_delay_alu instid0(VALU_DEP_2) | instskip(NEXT) | instid1(VALU_DEP_2)
	v_cndmask_b32_e32 v16, 0, v131, vcc_lo
	v_cndmask_b32_e64 v17, 0, v132, s1
	s_delay_alu instid0(VALU_DEP_1) | instskip(NEXT) | instid1(VALU_DEP_1)
	v_add_f64 v[131:132], v[16:17], 1.0
	v_frexp_mant_f64_e32 v[133:134], v[131:132]
	v_frexp_exp_i32_f64_e32 v146, v[131:132]
	v_add_f64 v[144:145], v[131:132], -1.0
	s_delay_alu instid0(VALU_DEP_3) | instskip(SKIP_1) | instid1(VALU_DEP_2)
	v_cmp_gt_f64_e32 vcc_lo, s[18:19], v[133:134]
	s_mov_b32 s18, 0x55555780
	v_add_f64 v[133:134], v[144:145], -v[131:132]
	v_add_f64 v[144:145], v[16:17], -v[144:145]
	v_subrev_co_ci_u32_e32 v166, vcc_lo, 0, v146, vcc_lo
	s_delay_alu instid0(VALU_DEP_3) | instskip(SKIP_1) | instid1(VALU_DEP_3)
	v_add_f64 v[133:134], v[133:134], 1.0
	v_cmp_eq_f64_e32 vcc_lo, 0x7ff00000, v[16:17]
	v_sub_nc_u32_e32 v148, 0, v166
	s_delay_alu instid0(VALU_DEP_1) | instskip(NEXT) | instid1(VALU_DEP_4)
	v_ldexp_f64 v[131:132], v[131:132], v148
	v_add_f64 v[133:134], v[144:145], v[133:134]
	s_delay_alu instid0(VALU_DEP_2) | instskip(SKIP_1) | instid1(VALU_DEP_3)
	v_add_f64 v[146:147], v[131:132], 1.0
	v_add_f64 v[160:161], v[131:132], -1.0
	v_ldexp_f64 v[133:134], v[133:134], v148
	s_delay_alu instid0(VALU_DEP_3) | instskip(NEXT) | instid1(VALU_DEP_3)
	v_add_f64 v[144:145], v[146:147], -1.0
	v_add_f64 v[162:163], v[160:161], 1.0
	s_delay_alu instid0(VALU_DEP_2) | instskip(NEXT) | instid1(VALU_DEP_2)
	v_add_f64 v[144:145], v[131:132], -v[144:145]
	v_add_f64 v[131:132], v[131:132], -v[162:163]
	s_delay_alu instid0(VALU_DEP_2) | instskip(NEXT) | instid1(VALU_DEP_2)
	v_add_f64 v[144:145], v[133:134], v[144:145]
	v_add_f64 v[131:132], v[133:134], v[131:132]
	s_delay_alu instid0(VALU_DEP_2) | instskip(NEXT) | instid1(VALU_DEP_2)
	v_add_f64 v[148:149], v[146:147], v[144:145]
	v_add_f64 v[162:163], v[160:161], v[131:132]
	s_delay_alu instid0(VALU_DEP_2) | instskip(SKIP_1) | instid1(VALU_DEP_2)
	v_rcp_f64_e32 v[150:151], v[148:149]
	v_add_f64 v[146:147], v[148:149], -v[146:147]
	v_add_f64 v[160:161], v[162:163], -v[160:161]
	s_delay_alu instid0(VALU_DEP_2) | instskip(SKIP_3) | instid1(VALU_DEP_2)
	v_add_f64 v[144:145], v[144:145], -v[146:147]
	s_waitcnt_depctr 0xfff
	v_fma_f64 v[164:165], -v[148:149], v[150:151], 1.0
	v_add_f64 v[131:132], v[131:132], -v[160:161]
	v_fma_f64 v[150:151], v[164:165], v[150:151], v[150:151]
	s_delay_alu instid0(VALU_DEP_1) | instskip(NEXT) | instid1(VALU_DEP_1)
	v_fma_f64 v[133:134], -v[148:149], v[150:151], 1.0
	v_fma_f64 v[133:134], v[133:134], v[150:151], v[150:151]
	s_delay_alu instid0(VALU_DEP_1) | instskip(NEXT) | instid1(VALU_DEP_1)
	v_mul_f64 v[150:151], v[162:163], v[133:134]
	v_mul_f64 v[164:165], v[148:149], v[150:151]
	s_delay_alu instid0(VALU_DEP_1) | instskip(NEXT) | instid1(VALU_DEP_1)
	v_fma_f64 v[146:147], v[150:151], v[148:149], -v[164:165]
	v_fma_f64 v[146:147], v[150:151], v[144:145], v[146:147]
	s_delay_alu instid0(VALU_DEP_1) | instskip(NEXT) | instid1(VALU_DEP_1)
	v_add_f64 v[209:210], v[164:165], v[146:147]
	v_add_f64 v[211:212], v[162:163], -v[209:210]
	v_add_f64 v[160:161], v[209:210], -v[164:165]
	s_delay_alu instid0(VALU_DEP_2) | instskip(NEXT) | instid1(VALU_DEP_2)
	v_add_f64 v[162:163], v[162:163], -v[211:212]
	v_add_f64 v[146:147], v[160:161], -v[146:147]
	s_delay_alu instid0(VALU_DEP_2) | instskip(NEXT) | instid1(VALU_DEP_1)
	v_add_f64 v[162:163], v[162:163], -v[209:210]
	v_add_f64 v[131:132], v[131:132], v[162:163]
	s_delay_alu instid0(VALU_DEP_1) | instskip(NEXT) | instid1(VALU_DEP_1)
	v_add_f64 v[131:132], v[146:147], v[131:132]
	v_add_f64 v[146:147], v[211:212], v[131:132]
	s_delay_alu instid0(VALU_DEP_1) | instskip(SKIP_1) | instid1(VALU_DEP_2)
	v_mul_f64 v[160:161], v[133:134], v[146:147]
	v_add_f64 v[209:210], v[211:212], -v[146:147]
	v_mul_f64 v[162:163], v[148:149], v[160:161]
	s_delay_alu instid0(VALU_DEP_2) | instskip(NEXT) | instid1(VALU_DEP_2)
	v_add_f64 v[131:132], v[131:132], v[209:210]
	v_fma_f64 v[148:149], v[160:161], v[148:149], -v[162:163]
	s_delay_alu instid0(VALU_DEP_1) | instskip(NEXT) | instid1(VALU_DEP_1)
	v_fma_f64 v[144:145], v[160:161], v[144:145], v[148:149]
	v_add_f64 v[148:149], v[162:163], v[144:145]
	s_delay_alu instid0(VALU_DEP_1) | instskip(SKIP_1) | instid1(VALU_DEP_2)
	v_add_f64 v[164:165], v[146:147], -v[148:149]
	v_add_f64 v[162:163], v[148:149], -v[162:163]
	;; [unrolled: 1-line block ×3, first 2 shown]
	s_delay_alu instid0(VALU_DEP_2) | instskip(NEXT) | instid1(VALU_DEP_2)
	v_add_f64 v[144:145], v[162:163], -v[144:145]
	v_add_f64 v[146:147], v[146:147], -v[148:149]
	s_delay_alu instid0(VALU_DEP_1) | instskip(SKIP_1) | instid1(VALU_DEP_2)
	v_add_f64 v[131:132], v[131:132], v[146:147]
	v_add_f64 v[146:147], v[150:151], v[160:161]
	;; [unrolled: 1-line block ×3, first 2 shown]
	s_delay_alu instid0(VALU_DEP_2) | instskip(NEXT) | instid1(VALU_DEP_2)
	v_add_f64 v[144:145], v[146:147], -v[150:151]
	v_add_f64 v[131:132], v[164:165], v[131:132]
	s_delay_alu instid0(VALU_DEP_2) | instskip(NEXT) | instid1(VALU_DEP_2)
	v_add_f64 v[144:145], v[160:161], -v[144:145]
	v_mul_f64 v[131:132], v[133:134], v[131:132]
	s_delay_alu instid0(VALU_DEP_1) | instskip(NEXT) | instid1(VALU_DEP_1)
	v_add_f64 v[131:132], v[144:145], v[131:132]
	v_add_f64 v[133:134], v[146:147], v[131:132]
	s_delay_alu instid0(VALU_DEP_1) | instskip(NEXT) | instid1(VALU_DEP_1)
	v_mul_f64 v[144:145], v[133:134], v[133:134]
	v_fma_f64 v[148:149], v[144:145], s[24:25], s[20:21]
	s_mov_b32 s20, 0xd7f4df2e
	s_mov_b32 s21, 0x3fc7474d
	v_mul_f64 v[150:151], v[133:134], v[144:145]
	s_delay_alu instid0(VALU_DEP_2)
	v_fma_f64 v[148:149], v[144:145], v[148:149], s[20:21]
	s_mov_b32 s20, 0x16291751
	s_mov_b32 s21, 0x3fcc71c0
	s_delay_alu instid0(VALU_DEP_1) | instid1(SALU_CYCLE_1)
	v_fma_f64 v[148:149], v[144:145], v[148:149], s[20:21]
	s_mov_b32 s20, 0x9b27acf1
	s_mov_b32 s21, 0x3fd24924
	s_delay_alu instid0(VALU_DEP_1) | instid1(SALU_CYCLE_1)
	;; [unrolled: 4-line block ×3, first 2 shown]
	v_fma_f64 v[148:149], v[144:145], v[148:149], s[20:21]
	s_delay_alu instid0(VALU_DEP_1) | instskip(SKIP_2) | instid1(VALU_DEP_3)
	v_fma_f64 v[144:145], v[144:145], v[148:149], s[18:19]
	v_ldexp_f64 v[148:149], v[133:134], 1
	v_add_f64 v[133:134], v[133:134], -v[146:147]
	v_mul_f64 v[144:145], v[150:151], v[144:145]
	v_cvt_f64_i32_e32 v[150:151], v166
	s_delay_alu instid0(VALU_DEP_3) | instskip(NEXT) | instid1(VALU_DEP_3)
	v_add_f64 v[131:132], v[131:132], -v[133:134]
	v_add_f64 v[146:147], v[148:149], v[144:145]
	s_delay_alu instid0(VALU_DEP_3) | instskip(NEXT) | instid1(VALU_DEP_3)
	v_mul_f64 v[160:161], v[150:151], s[2:3]
	v_ldexp_f64 v[131:132], v[131:132], 1
	s_delay_alu instid0(VALU_DEP_3) | instskip(NEXT) | instid1(VALU_DEP_3)
	v_add_f64 v[133:134], v[146:147], -v[148:149]
	v_fma_f64 v[148:149], v[150:151], s[2:3], -v[160:161]
	s_delay_alu instid0(VALU_DEP_2) | instskip(NEXT) | instid1(VALU_DEP_2)
	v_add_f64 v[133:134], v[144:145], -v[133:134]
	v_fma_f64 v[144:145], v[150:151], s[4:5], v[148:149]
	s_delay_alu instid0(VALU_DEP_2) | instskip(NEXT) | instid1(VALU_DEP_2)
	v_add_f64 v[131:132], v[131:132], v[133:134]
	v_add_f64 v[133:134], v[160:161], v[144:145]
	s_delay_alu instid0(VALU_DEP_2) | instskip(NEXT) | instid1(VALU_DEP_2)
	v_add_f64 v[148:149], v[146:147], v[131:132]
	v_add_f64 v[160:161], v[133:134], -v[160:161]
	s_delay_alu instid0(VALU_DEP_2) | instskip(SKIP_1) | instid1(VALU_DEP_3)
	v_add_f64 v[150:151], v[133:134], v[148:149]
	v_add_f64 v[146:147], v[148:149], -v[146:147]
	v_add_f64 v[144:145], v[144:145], -v[160:161]
	s_delay_alu instid0(VALU_DEP_3) | instskip(NEXT) | instid1(VALU_DEP_3)
	v_add_f64 v[162:163], v[150:151], -v[133:134]
	v_add_f64 v[131:132], v[131:132], -v[146:147]
	s_delay_alu instid0(VALU_DEP_2) | instskip(SKIP_1) | instid1(VALU_DEP_3)
	v_add_f64 v[164:165], v[150:151], -v[162:163]
	v_add_f64 v[146:147], v[148:149], -v[162:163]
	v_add_f64 v[148:149], v[144:145], v[131:132]
	s_delay_alu instid0(VALU_DEP_3) | instskip(NEXT) | instid1(VALU_DEP_1)
	v_add_f64 v[133:134], v[133:134], -v[164:165]
	v_add_f64 v[133:134], v[146:147], v[133:134]
	s_delay_alu instid0(VALU_DEP_3) | instskip(NEXT) | instid1(VALU_DEP_2)
	v_add_f64 v[146:147], v[148:149], -v[144:145]
	v_add_f64 v[133:134], v[148:149], v[133:134]
	s_delay_alu instid0(VALU_DEP_2) | instskip(SKIP_1) | instid1(VALU_DEP_3)
	v_add_f64 v[148:149], v[148:149], -v[146:147]
	v_add_f64 v[131:132], v[131:132], -v[146:147]
	v_add_f64 v[160:161], v[150:151], v[133:134]
	s_delay_alu instid0(VALU_DEP_3) | instskip(NEXT) | instid1(VALU_DEP_2)
	v_add_f64 v[144:145], v[144:145], -v[148:149]
	v_add_f64 v[146:147], v[160:161], -v[150:151]
	s_delay_alu instid0(VALU_DEP_2) | instskip(NEXT) | instid1(VALU_DEP_2)
	v_add_f64 v[131:132], v[131:132], v[144:145]
	v_add_f64 v[133:134], v[133:134], -v[146:147]
	s_delay_alu instid0(VALU_DEP_1) | instskip(NEXT) | instid1(VALU_DEP_1)
	v_add_f64 v[131:132], v[131:132], v[133:134]
	v_add_f64 v[131:132], v[160:161], v[131:132]
	s_delay_alu instid0(VALU_DEP_1) | instskip(SKIP_1) | instid1(VALU_DEP_2)
	v_dual_cndmask_b32 v131, v131, v16 :: v_dual_cndmask_b32 v132, v132, v17
	v_cmp_ngt_f64_e32 vcc_lo, -1.0, v[16:17]
	v_cndmask_b32_e32 v132, 0x7ff80000, v132, vcc_lo
	v_cmp_nge_f64_e32 vcc_lo, -1.0, v[16:17]
	s_delay_alu instid0(VALU_DEP_4) | instskip(SKIP_1) | instid1(VALU_DEP_4)
	v_cndmask_b32_e32 v131, 0, v131, vcc_lo
	v_cmp_neq_f64_e32 vcc_lo, -1.0, v[16:17]
	v_cndmask_b32_e32 v132, 0xfff00000, v132, vcc_lo
	s_delay_alu instid0(VALU_DEP_1)
	v_add_f64 v[16:17], v[18:19], v[131:132]
.LBB56_239:
	s_or_b32 exec_lo, exec_lo, s6
	s_delay_alu instid0(VALU_DEP_1) | instskip(SKIP_1) | instid1(VALU_DEP_2)
	v_max_f64 v[18:19], v[16:17], v[16:17]
	v_cmp_u_f64_e32 vcc_lo, v[16:17], v[16:17]
	v_min_f64 v[131:132], v[18:19], v[20:21]
	v_max_f64 v[18:19], v[18:19], v[20:21]
	s_delay_alu instid0(VALU_DEP_2) | instskip(NEXT) | instid1(VALU_DEP_2)
	v_dual_cndmask_b32 v20, v131, v16 :: v_dual_cndmask_b32 v21, v132, v17
	v_dual_cndmask_b32 v19, v19, v17 :: v_dual_cndmask_b32 v18, v18, v16
	s_delay_alu instid0(VALU_DEP_2) | instskip(NEXT) | instid1(VALU_DEP_3)
	v_cndmask_b32_e64 v131, v20, v98, s7
	v_cndmask_b32_e64 v132, v21, v99, s7
	s_delay_alu instid0(VALU_DEP_3) | instskip(NEXT) | instid1(VALU_DEP_4)
	v_cndmask_b32_e64 v21, v19, v99, s7
	v_cndmask_b32_e64 v20, v18, v98, s7
	v_dual_mov_b32 v19, v17 :: v_dual_mov_b32 v18, v16
	s_delay_alu instid0(VALU_DEP_4) | instskip(NEXT) | instid1(VALU_DEP_3)
	v_cmp_class_f64_e64 s1, v[131:132], 0x1f8
	v_cmp_neq_f64_e32 vcc_lo, v[131:132], v[20:21]
	s_delay_alu instid0(VALU_DEP_2) | instskip(NEXT) | instid1(SALU_CYCLE_1)
	s_or_b32 s1, vcc_lo, s1
	s_and_saveexec_b32 s12, s1
	s_cbranch_execz .LBB56_241
; %bb.240:
	v_add_f64 v[18:19], v[131:132], -v[20:21]
	s_mov_b32 s2, 0x652b82fe
	s_mov_b32 s3, 0x3ff71547
	;; [unrolled: 1-line block ×10, first 2 shown]
	s_delay_alu instid0(VALU_DEP_1) | instskip(SKIP_4) | instid1(VALU_DEP_3)
	v_mul_f64 v[131:132], v[18:19], s[2:3]
	s_mov_b32 s3, 0xbfe62e42
	s_mov_b32 s2, 0xfefa39ef
	v_cmp_nlt_f64_e32 vcc_lo, 0x40900000, v[18:19]
	v_cmp_ngt_f64_e64 s1, 0xc090cc00, v[18:19]
	v_rndne_f64_e32 v[131:132], v[131:132]
	s_delay_alu instid0(VALU_DEP_1) | instskip(SKIP_2) | instid1(VALU_DEP_2)
	v_fma_f64 v[133:134], v[131:132], s[2:3], v[18:19]
	v_cvt_i32_f64_e32 v146, v[131:132]
	s_mov_b32 s3, 0x3fe62e42
	v_fma_f64 v[133:134], v[131:132], s[4:5], v[133:134]
	s_mov_b32 s5, 0x3c7abc9e
	s_delay_alu instid0(VALU_DEP_1) | instskip(SKIP_4) | instid1(VALU_DEP_1)
	v_fma_f64 v[144:145], v[133:134], s[18:19], s[6:7]
	s_mov_b32 s6, 0x623fde64
	s_mov_b32 s7, 0x3ec71dee
	;; [unrolled: 1-line block ×4, first 2 shown]
	v_fma_f64 v[144:145], v[133:134], v[144:145], s[6:7]
	s_mov_b32 s6, 0x7c89e6b0
	s_mov_b32 s7, 0x3efa0199
	s_delay_alu instid0(VALU_DEP_1) | instid1(SALU_CYCLE_1)
	v_fma_f64 v[144:145], v[133:134], v[144:145], s[6:7]
	s_mov_b32 s6, 0x14761f6e
	s_mov_b32 s7, 0x3f2a01a0
	s_delay_alu instid0(VALU_DEP_1) | instid1(SALU_CYCLE_1)
	;; [unrolled: 4-line block ×7, first 2 shown]
	v_fma_f64 v[144:145], v[133:134], v[144:145], s[6:7]
	s_mov_b32 s7, 0x3fe55555
	s_mov_b32 s6, 0x55555555
	s_delay_alu instid0(VALU_DEP_1) | instskip(NEXT) | instid1(VALU_DEP_1)
	v_fma_f64 v[144:145], v[133:134], v[144:145], 1.0
	v_fma_f64 v[131:132], v[133:134], v[144:145], 1.0
	s_delay_alu instid0(VALU_DEP_1) | instskip(NEXT) | instid1(VALU_DEP_1)
	v_ldexp_f64 v[131:132], v[131:132], v146
	v_cndmask_b32_e32 v132, 0x7ff00000, v132, vcc_lo
	s_and_b32 vcc_lo, s1, vcc_lo
	s_delay_alu instid0(VALU_DEP_2) | instskip(NEXT) | instid1(VALU_DEP_2)
	v_cndmask_b32_e32 v18, 0, v131, vcc_lo
	v_cndmask_b32_e64 v19, 0, v132, s1
	s_delay_alu instid0(VALU_DEP_1) | instskip(NEXT) | instid1(VALU_DEP_1)
	v_add_f64 v[131:132], v[18:19], 1.0
	v_frexp_mant_f64_e32 v[133:134], v[131:132]
	v_frexp_exp_i32_f64_e32 v146, v[131:132]
	v_add_f64 v[144:145], v[131:132], -1.0
	s_delay_alu instid0(VALU_DEP_3) | instskip(SKIP_1) | instid1(VALU_DEP_2)
	v_cmp_gt_f64_e32 vcc_lo, s[6:7], v[133:134]
	s_mov_b32 s6, 0x55555780
	v_add_f64 v[133:134], v[144:145], -v[131:132]
	v_add_f64 v[144:145], v[18:19], -v[144:145]
	v_subrev_co_ci_u32_e32 v166, vcc_lo, 0, v146, vcc_lo
	s_delay_alu instid0(VALU_DEP_3) | instskip(SKIP_1) | instid1(VALU_DEP_3)
	v_add_f64 v[133:134], v[133:134], 1.0
	v_cmp_eq_f64_e32 vcc_lo, 0x7ff00000, v[18:19]
	v_sub_nc_u32_e32 v148, 0, v166
	s_delay_alu instid0(VALU_DEP_1) | instskip(NEXT) | instid1(VALU_DEP_4)
	v_ldexp_f64 v[131:132], v[131:132], v148
	v_add_f64 v[133:134], v[144:145], v[133:134]
	s_delay_alu instid0(VALU_DEP_2) | instskip(SKIP_1) | instid1(VALU_DEP_3)
	v_add_f64 v[146:147], v[131:132], 1.0
	v_add_f64 v[160:161], v[131:132], -1.0
	v_ldexp_f64 v[133:134], v[133:134], v148
	s_delay_alu instid0(VALU_DEP_3) | instskip(NEXT) | instid1(VALU_DEP_3)
	v_add_f64 v[144:145], v[146:147], -1.0
	v_add_f64 v[162:163], v[160:161], 1.0
	s_delay_alu instid0(VALU_DEP_2) | instskip(NEXT) | instid1(VALU_DEP_2)
	v_add_f64 v[144:145], v[131:132], -v[144:145]
	v_add_f64 v[131:132], v[131:132], -v[162:163]
	s_delay_alu instid0(VALU_DEP_2) | instskip(NEXT) | instid1(VALU_DEP_2)
	v_add_f64 v[144:145], v[133:134], v[144:145]
	v_add_f64 v[131:132], v[133:134], v[131:132]
	s_delay_alu instid0(VALU_DEP_2) | instskip(NEXT) | instid1(VALU_DEP_2)
	v_add_f64 v[148:149], v[146:147], v[144:145]
	v_add_f64 v[162:163], v[160:161], v[131:132]
	s_delay_alu instid0(VALU_DEP_2) | instskip(SKIP_1) | instid1(VALU_DEP_2)
	v_rcp_f64_e32 v[150:151], v[148:149]
	v_add_f64 v[146:147], v[148:149], -v[146:147]
	v_add_f64 v[160:161], v[162:163], -v[160:161]
	s_delay_alu instid0(VALU_DEP_2) | instskip(SKIP_3) | instid1(VALU_DEP_2)
	v_add_f64 v[144:145], v[144:145], -v[146:147]
	s_waitcnt_depctr 0xfff
	v_fma_f64 v[164:165], -v[148:149], v[150:151], 1.0
	v_add_f64 v[131:132], v[131:132], -v[160:161]
	v_fma_f64 v[150:151], v[164:165], v[150:151], v[150:151]
	s_delay_alu instid0(VALU_DEP_1) | instskip(NEXT) | instid1(VALU_DEP_1)
	v_fma_f64 v[133:134], -v[148:149], v[150:151], 1.0
	v_fma_f64 v[133:134], v[133:134], v[150:151], v[150:151]
	s_delay_alu instid0(VALU_DEP_1) | instskip(NEXT) | instid1(VALU_DEP_1)
	v_mul_f64 v[150:151], v[162:163], v[133:134]
	v_mul_f64 v[164:165], v[148:149], v[150:151]
	s_delay_alu instid0(VALU_DEP_1) | instskip(NEXT) | instid1(VALU_DEP_1)
	v_fma_f64 v[146:147], v[150:151], v[148:149], -v[164:165]
	v_fma_f64 v[146:147], v[150:151], v[144:145], v[146:147]
	s_delay_alu instid0(VALU_DEP_1) | instskip(NEXT) | instid1(VALU_DEP_1)
	v_add_f64 v[209:210], v[164:165], v[146:147]
	v_add_f64 v[211:212], v[162:163], -v[209:210]
	v_add_f64 v[160:161], v[209:210], -v[164:165]
	s_delay_alu instid0(VALU_DEP_2) | instskip(NEXT) | instid1(VALU_DEP_2)
	v_add_f64 v[162:163], v[162:163], -v[211:212]
	v_add_f64 v[146:147], v[160:161], -v[146:147]
	s_delay_alu instid0(VALU_DEP_2) | instskip(NEXT) | instid1(VALU_DEP_1)
	v_add_f64 v[162:163], v[162:163], -v[209:210]
	v_add_f64 v[131:132], v[131:132], v[162:163]
	s_delay_alu instid0(VALU_DEP_1) | instskip(NEXT) | instid1(VALU_DEP_1)
	v_add_f64 v[131:132], v[146:147], v[131:132]
	v_add_f64 v[146:147], v[211:212], v[131:132]
	s_delay_alu instid0(VALU_DEP_1) | instskip(SKIP_1) | instid1(VALU_DEP_2)
	v_mul_f64 v[160:161], v[133:134], v[146:147]
	v_add_f64 v[209:210], v[211:212], -v[146:147]
	v_mul_f64 v[162:163], v[148:149], v[160:161]
	s_delay_alu instid0(VALU_DEP_2) | instskip(NEXT) | instid1(VALU_DEP_2)
	v_add_f64 v[131:132], v[131:132], v[209:210]
	v_fma_f64 v[148:149], v[160:161], v[148:149], -v[162:163]
	s_delay_alu instid0(VALU_DEP_1) | instskip(NEXT) | instid1(VALU_DEP_1)
	v_fma_f64 v[144:145], v[160:161], v[144:145], v[148:149]
	v_add_f64 v[148:149], v[162:163], v[144:145]
	s_delay_alu instid0(VALU_DEP_1) | instskip(SKIP_1) | instid1(VALU_DEP_2)
	v_add_f64 v[164:165], v[146:147], -v[148:149]
	v_add_f64 v[162:163], v[148:149], -v[162:163]
	;; [unrolled: 1-line block ×3, first 2 shown]
	s_delay_alu instid0(VALU_DEP_2) | instskip(NEXT) | instid1(VALU_DEP_2)
	v_add_f64 v[144:145], v[162:163], -v[144:145]
	v_add_f64 v[146:147], v[146:147], -v[148:149]
	s_delay_alu instid0(VALU_DEP_1) | instskip(SKIP_1) | instid1(VALU_DEP_2)
	v_add_f64 v[131:132], v[131:132], v[146:147]
	v_add_f64 v[146:147], v[150:151], v[160:161]
	v_add_f64 v[131:132], v[144:145], v[131:132]
	s_delay_alu instid0(VALU_DEP_2) | instskip(NEXT) | instid1(VALU_DEP_2)
	v_add_f64 v[144:145], v[146:147], -v[150:151]
	v_add_f64 v[131:132], v[164:165], v[131:132]
	s_delay_alu instid0(VALU_DEP_2) | instskip(NEXT) | instid1(VALU_DEP_2)
	v_add_f64 v[144:145], v[160:161], -v[144:145]
	v_mul_f64 v[131:132], v[133:134], v[131:132]
	s_delay_alu instid0(VALU_DEP_1) | instskip(NEXT) | instid1(VALU_DEP_1)
	v_add_f64 v[131:132], v[144:145], v[131:132]
	v_add_f64 v[133:134], v[146:147], v[131:132]
	s_delay_alu instid0(VALU_DEP_1) | instskip(NEXT) | instid1(VALU_DEP_1)
	v_mul_f64 v[144:145], v[133:134], v[133:134]
	v_fma_f64 v[148:149], v[144:145], s[20:21], s[18:19]
	s_mov_b32 s18, 0xd7f4df2e
	s_mov_b32 s19, 0x3fc7474d
	v_mul_f64 v[150:151], v[133:134], v[144:145]
	s_delay_alu instid0(VALU_DEP_2)
	v_fma_f64 v[148:149], v[144:145], v[148:149], s[18:19]
	s_mov_b32 s18, 0x16291751
	s_mov_b32 s19, 0x3fcc71c0
	s_delay_alu instid0(VALU_DEP_1) | instid1(SALU_CYCLE_1)
	v_fma_f64 v[148:149], v[144:145], v[148:149], s[18:19]
	s_mov_b32 s18, 0x9b27acf1
	s_mov_b32 s19, 0x3fd24924
	s_delay_alu instid0(VALU_DEP_1) | instid1(SALU_CYCLE_1)
	;; [unrolled: 4-line block ×3, first 2 shown]
	v_fma_f64 v[148:149], v[144:145], v[148:149], s[18:19]
	s_delay_alu instid0(VALU_DEP_1) | instskip(SKIP_2) | instid1(VALU_DEP_3)
	v_fma_f64 v[144:145], v[144:145], v[148:149], s[6:7]
	v_ldexp_f64 v[148:149], v[133:134], 1
	v_add_f64 v[133:134], v[133:134], -v[146:147]
	v_mul_f64 v[144:145], v[150:151], v[144:145]
	v_cvt_f64_i32_e32 v[150:151], v166
	s_delay_alu instid0(VALU_DEP_3) | instskip(NEXT) | instid1(VALU_DEP_3)
	v_add_f64 v[131:132], v[131:132], -v[133:134]
	v_add_f64 v[146:147], v[148:149], v[144:145]
	s_delay_alu instid0(VALU_DEP_3) | instskip(NEXT) | instid1(VALU_DEP_3)
	v_mul_f64 v[160:161], v[150:151], s[2:3]
	v_ldexp_f64 v[131:132], v[131:132], 1
	s_delay_alu instid0(VALU_DEP_3) | instskip(NEXT) | instid1(VALU_DEP_3)
	v_add_f64 v[133:134], v[146:147], -v[148:149]
	v_fma_f64 v[148:149], v[150:151], s[2:3], -v[160:161]
	s_delay_alu instid0(VALU_DEP_2) | instskip(NEXT) | instid1(VALU_DEP_2)
	v_add_f64 v[133:134], v[144:145], -v[133:134]
	v_fma_f64 v[144:145], v[150:151], s[4:5], v[148:149]
	s_delay_alu instid0(VALU_DEP_2) | instskip(NEXT) | instid1(VALU_DEP_2)
	v_add_f64 v[131:132], v[131:132], v[133:134]
	v_add_f64 v[133:134], v[160:161], v[144:145]
	s_delay_alu instid0(VALU_DEP_2) | instskip(NEXT) | instid1(VALU_DEP_2)
	v_add_f64 v[148:149], v[146:147], v[131:132]
	v_add_f64 v[160:161], v[133:134], -v[160:161]
	s_delay_alu instid0(VALU_DEP_2) | instskip(SKIP_1) | instid1(VALU_DEP_3)
	v_add_f64 v[150:151], v[133:134], v[148:149]
	v_add_f64 v[146:147], v[148:149], -v[146:147]
	v_add_f64 v[144:145], v[144:145], -v[160:161]
	s_delay_alu instid0(VALU_DEP_3) | instskip(NEXT) | instid1(VALU_DEP_3)
	v_add_f64 v[162:163], v[150:151], -v[133:134]
	v_add_f64 v[131:132], v[131:132], -v[146:147]
	s_delay_alu instid0(VALU_DEP_2) | instskip(SKIP_1) | instid1(VALU_DEP_3)
	v_add_f64 v[164:165], v[150:151], -v[162:163]
	v_add_f64 v[146:147], v[148:149], -v[162:163]
	v_add_f64 v[148:149], v[144:145], v[131:132]
	s_delay_alu instid0(VALU_DEP_3) | instskip(NEXT) | instid1(VALU_DEP_1)
	v_add_f64 v[133:134], v[133:134], -v[164:165]
	v_add_f64 v[133:134], v[146:147], v[133:134]
	s_delay_alu instid0(VALU_DEP_3) | instskip(NEXT) | instid1(VALU_DEP_2)
	v_add_f64 v[146:147], v[148:149], -v[144:145]
	v_add_f64 v[133:134], v[148:149], v[133:134]
	s_delay_alu instid0(VALU_DEP_2) | instskip(SKIP_1) | instid1(VALU_DEP_3)
	v_add_f64 v[148:149], v[148:149], -v[146:147]
	v_add_f64 v[131:132], v[131:132], -v[146:147]
	v_add_f64 v[160:161], v[150:151], v[133:134]
	s_delay_alu instid0(VALU_DEP_3) | instskip(NEXT) | instid1(VALU_DEP_2)
	v_add_f64 v[144:145], v[144:145], -v[148:149]
	v_add_f64 v[146:147], v[160:161], -v[150:151]
	s_delay_alu instid0(VALU_DEP_2) | instskip(NEXT) | instid1(VALU_DEP_2)
	v_add_f64 v[131:132], v[131:132], v[144:145]
	v_add_f64 v[133:134], v[133:134], -v[146:147]
	s_delay_alu instid0(VALU_DEP_1) | instskip(NEXT) | instid1(VALU_DEP_1)
	v_add_f64 v[131:132], v[131:132], v[133:134]
	v_add_f64 v[131:132], v[160:161], v[131:132]
	s_delay_alu instid0(VALU_DEP_1) | instskip(SKIP_1) | instid1(VALU_DEP_2)
	v_dual_cndmask_b32 v131, v131, v18 :: v_dual_cndmask_b32 v132, v132, v19
	v_cmp_ngt_f64_e32 vcc_lo, -1.0, v[18:19]
	v_cndmask_b32_e32 v132, 0x7ff80000, v132, vcc_lo
	v_cmp_nge_f64_e32 vcc_lo, -1.0, v[18:19]
	s_delay_alu instid0(VALU_DEP_4) | instskip(SKIP_1) | instid1(VALU_DEP_4)
	v_cndmask_b32_e32 v131, 0, v131, vcc_lo
	v_cmp_neq_f64_e32 vcc_lo, -1.0, v[18:19]
	v_cndmask_b32_e32 v132, 0xfff00000, v132, vcc_lo
	s_delay_alu instid0(VALU_DEP_1)
	v_add_f64 v[18:19], v[20:21], v[131:132]
.LBB56_241:
	s_or_b32 exec_lo, exec_lo, s12
	s_delay_alu instid0(VALU_DEP_1) | instskip(SKIP_1) | instid1(VALU_DEP_2)
	v_max_f64 v[20:21], v[18:19], v[18:19]
	v_cmp_u_f64_e32 vcc_lo, v[18:19], v[18:19]
	v_min_f64 v[131:132], v[20:21], v[22:23]
	v_max_f64 v[20:21], v[20:21], v[22:23]
	s_delay_alu instid0(VALU_DEP_2) | instskip(NEXT) | instid1(VALU_DEP_2)
	v_dual_cndmask_b32 v22, v131, v18 :: v_dual_cndmask_b32 v23, v132, v19
	v_dual_cndmask_b32 v21, v21, v19 :: v_dual_cndmask_b32 v20, v20, v18
	s_delay_alu instid0(VALU_DEP_2) | instskip(NEXT) | instid1(VALU_DEP_3)
	v_cndmask_b32_e64 v131, v22, v84, s8
	v_cndmask_b32_e64 v132, v23, v85, s8
	s_delay_alu instid0(VALU_DEP_3) | instskip(NEXT) | instid1(VALU_DEP_4)
	v_cndmask_b32_e64 v23, v21, v85, s8
	v_cndmask_b32_e64 v22, v20, v84, s8
	v_dual_mov_b32 v21, v19 :: v_dual_mov_b32 v20, v18
	s_delay_alu instid0(VALU_DEP_4) | instskip(NEXT) | instid1(VALU_DEP_3)
	v_cmp_class_f64_e64 s1, v[131:132], 0x1f8
	v_cmp_neq_f64_e32 vcc_lo, v[131:132], v[22:23]
	s_delay_alu instid0(VALU_DEP_2) | instskip(NEXT) | instid1(SALU_CYCLE_1)
	s_or_b32 s1, vcc_lo, s1
	s_and_saveexec_b32 s8, s1
	s_cbranch_execz .LBB56_243
; %bb.242:
	v_add_f64 v[20:21], v[131:132], -v[22:23]
	s_mov_b32 s2, 0x652b82fe
	s_mov_b32 s3, 0x3ff71547
	;; [unrolled: 1-line block ×10, first 2 shown]
	s_delay_alu instid0(VALU_DEP_1) | instskip(SKIP_4) | instid1(VALU_DEP_3)
	v_mul_f64 v[131:132], v[20:21], s[2:3]
	s_mov_b32 s3, 0xbfe62e42
	s_mov_b32 s2, 0xfefa39ef
	v_cmp_nlt_f64_e32 vcc_lo, 0x40900000, v[20:21]
	v_cmp_ngt_f64_e64 s1, 0xc090cc00, v[20:21]
	v_rndne_f64_e32 v[131:132], v[131:132]
	s_delay_alu instid0(VALU_DEP_1) | instskip(SKIP_2) | instid1(VALU_DEP_2)
	v_fma_f64 v[133:134], v[131:132], s[2:3], v[20:21]
	v_cvt_i32_f64_e32 v146, v[131:132]
	s_mov_b32 s3, 0x3fe62e42
	v_fma_f64 v[133:134], v[131:132], s[4:5], v[133:134]
	s_mov_b32 s5, 0x3c7abc9e
	s_delay_alu instid0(VALU_DEP_1) | instskip(SKIP_4) | instid1(VALU_DEP_1)
	v_fma_f64 v[144:145], v[133:134], s[18:19], s[6:7]
	s_mov_b32 s6, 0x623fde64
	s_mov_b32 s7, 0x3ec71dee
	;; [unrolled: 1-line block ×4, first 2 shown]
	v_fma_f64 v[144:145], v[133:134], v[144:145], s[6:7]
	s_mov_b32 s6, 0x7c89e6b0
	s_mov_b32 s7, 0x3efa0199
	s_delay_alu instid0(VALU_DEP_1) | instid1(SALU_CYCLE_1)
	v_fma_f64 v[144:145], v[133:134], v[144:145], s[6:7]
	s_mov_b32 s6, 0x14761f6e
	s_mov_b32 s7, 0x3f2a01a0
	s_delay_alu instid0(VALU_DEP_1) | instid1(SALU_CYCLE_1)
	;; [unrolled: 4-line block ×7, first 2 shown]
	v_fma_f64 v[144:145], v[133:134], v[144:145], s[6:7]
	s_mov_b32 s7, 0x3fe55555
	s_mov_b32 s6, 0x55555555
	s_delay_alu instid0(VALU_DEP_1) | instskip(NEXT) | instid1(VALU_DEP_1)
	v_fma_f64 v[144:145], v[133:134], v[144:145], 1.0
	v_fma_f64 v[131:132], v[133:134], v[144:145], 1.0
	s_delay_alu instid0(VALU_DEP_1) | instskip(NEXT) | instid1(VALU_DEP_1)
	v_ldexp_f64 v[131:132], v[131:132], v146
	v_cndmask_b32_e32 v132, 0x7ff00000, v132, vcc_lo
	s_and_b32 vcc_lo, s1, vcc_lo
	s_delay_alu instid0(VALU_DEP_2) | instskip(NEXT) | instid1(VALU_DEP_2)
	v_cndmask_b32_e32 v20, 0, v131, vcc_lo
	v_cndmask_b32_e64 v21, 0, v132, s1
	s_delay_alu instid0(VALU_DEP_1) | instskip(NEXT) | instid1(VALU_DEP_1)
	v_add_f64 v[131:132], v[20:21], 1.0
	v_frexp_mant_f64_e32 v[133:134], v[131:132]
	v_frexp_exp_i32_f64_e32 v146, v[131:132]
	v_add_f64 v[144:145], v[131:132], -1.0
	s_delay_alu instid0(VALU_DEP_3) | instskip(SKIP_1) | instid1(VALU_DEP_2)
	v_cmp_gt_f64_e32 vcc_lo, s[6:7], v[133:134]
	s_mov_b32 s6, 0x55555780
	v_add_f64 v[133:134], v[144:145], -v[131:132]
	v_add_f64 v[144:145], v[20:21], -v[144:145]
	v_subrev_co_ci_u32_e32 v166, vcc_lo, 0, v146, vcc_lo
	s_delay_alu instid0(VALU_DEP_3) | instskip(SKIP_1) | instid1(VALU_DEP_3)
	v_add_f64 v[133:134], v[133:134], 1.0
	v_cmp_eq_f64_e32 vcc_lo, 0x7ff00000, v[20:21]
	v_sub_nc_u32_e32 v148, 0, v166
	s_delay_alu instid0(VALU_DEP_1) | instskip(NEXT) | instid1(VALU_DEP_4)
	v_ldexp_f64 v[131:132], v[131:132], v148
	v_add_f64 v[133:134], v[144:145], v[133:134]
	s_delay_alu instid0(VALU_DEP_2) | instskip(SKIP_1) | instid1(VALU_DEP_3)
	v_add_f64 v[146:147], v[131:132], 1.0
	v_add_f64 v[160:161], v[131:132], -1.0
	v_ldexp_f64 v[133:134], v[133:134], v148
	s_delay_alu instid0(VALU_DEP_3) | instskip(NEXT) | instid1(VALU_DEP_3)
	v_add_f64 v[144:145], v[146:147], -1.0
	v_add_f64 v[162:163], v[160:161], 1.0
	s_delay_alu instid0(VALU_DEP_2) | instskip(NEXT) | instid1(VALU_DEP_2)
	v_add_f64 v[144:145], v[131:132], -v[144:145]
	v_add_f64 v[131:132], v[131:132], -v[162:163]
	s_delay_alu instid0(VALU_DEP_2) | instskip(NEXT) | instid1(VALU_DEP_2)
	v_add_f64 v[144:145], v[133:134], v[144:145]
	v_add_f64 v[131:132], v[133:134], v[131:132]
	s_delay_alu instid0(VALU_DEP_2) | instskip(NEXT) | instid1(VALU_DEP_2)
	v_add_f64 v[148:149], v[146:147], v[144:145]
	v_add_f64 v[162:163], v[160:161], v[131:132]
	s_delay_alu instid0(VALU_DEP_2) | instskip(SKIP_1) | instid1(VALU_DEP_2)
	v_rcp_f64_e32 v[150:151], v[148:149]
	v_add_f64 v[146:147], v[148:149], -v[146:147]
	v_add_f64 v[160:161], v[162:163], -v[160:161]
	s_delay_alu instid0(VALU_DEP_2) | instskip(SKIP_3) | instid1(VALU_DEP_2)
	v_add_f64 v[144:145], v[144:145], -v[146:147]
	s_waitcnt_depctr 0xfff
	v_fma_f64 v[164:165], -v[148:149], v[150:151], 1.0
	v_add_f64 v[131:132], v[131:132], -v[160:161]
	v_fma_f64 v[150:151], v[164:165], v[150:151], v[150:151]
	s_delay_alu instid0(VALU_DEP_1) | instskip(NEXT) | instid1(VALU_DEP_1)
	v_fma_f64 v[133:134], -v[148:149], v[150:151], 1.0
	v_fma_f64 v[133:134], v[133:134], v[150:151], v[150:151]
	s_delay_alu instid0(VALU_DEP_1) | instskip(NEXT) | instid1(VALU_DEP_1)
	v_mul_f64 v[150:151], v[162:163], v[133:134]
	v_mul_f64 v[164:165], v[148:149], v[150:151]
	s_delay_alu instid0(VALU_DEP_1) | instskip(NEXT) | instid1(VALU_DEP_1)
	v_fma_f64 v[146:147], v[150:151], v[148:149], -v[164:165]
	v_fma_f64 v[146:147], v[150:151], v[144:145], v[146:147]
	s_delay_alu instid0(VALU_DEP_1) | instskip(NEXT) | instid1(VALU_DEP_1)
	v_add_f64 v[209:210], v[164:165], v[146:147]
	v_add_f64 v[211:212], v[162:163], -v[209:210]
	v_add_f64 v[160:161], v[209:210], -v[164:165]
	s_delay_alu instid0(VALU_DEP_2) | instskip(NEXT) | instid1(VALU_DEP_2)
	v_add_f64 v[162:163], v[162:163], -v[211:212]
	v_add_f64 v[146:147], v[160:161], -v[146:147]
	s_delay_alu instid0(VALU_DEP_2) | instskip(NEXT) | instid1(VALU_DEP_1)
	v_add_f64 v[162:163], v[162:163], -v[209:210]
	v_add_f64 v[131:132], v[131:132], v[162:163]
	s_delay_alu instid0(VALU_DEP_1) | instskip(NEXT) | instid1(VALU_DEP_1)
	v_add_f64 v[131:132], v[146:147], v[131:132]
	v_add_f64 v[146:147], v[211:212], v[131:132]
	s_delay_alu instid0(VALU_DEP_1) | instskip(SKIP_1) | instid1(VALU_DEP_2)
	v_mul_f64 v[160:161], v[133:134], v[146:147]
	v_add_f64 v[209:210], v[211:212], -v[146:147]
	v_mul_f64 v[162:163], v[148:149], v[160:161]
	s_delay_alu instid0(VALU_DEP_2) | instskip(NEXT) | instid1(VALU_DEP_2)
	v_add_f64 v[131:132], v[131:132], v[209:210]
	v_fma_f64 v[148:149], v[160:161], v[148:149], -v[162:163]
	s_delay_alu instid0(VALU_DEP_1) | instskip(NEXT) | instid1(VALU_DEP_1)
	v_fma_f64 v[144:145], v[160:161], v[144:145], v[148:149]
	v_add_f64 v[148:149], v[162:163], v[144:145]
	s_delay_alu instid0(VALU_DEP_1) | instskip(SKIP_1) | instid1(VALU_DEP_2)
	v_add_f64 v[164:165], v[146:147], -v[148:149]
	v_add_f64 v[162:163], v[148:149], -v[162:163]
	;; [unrolled: 1-line block ×3, first 2 shown]
	s_delay_alu instid0(VALU_DEP_2) | instskip(NEXT) | instid1(VALU_DEP_2)
	v_add_f64 v[144:145], v[162:163], -v[144:145]
	v_add_f64 v[146:147], v[146:147], -v[148:149]
	s_delay_alu instid0(VALU_DEP_1) | instskip(SKIP_1) | instid1(VALU_DEP_2)
	v_add_f64 v[131:132], v[131:132], v[146:147]
	v_add_f64 v[146:147], v[150:151], v[160:161]
	;; [unrolled: 1-line block ×3, first 2 shown]
	s_delay_alu instid0(VALU_DEP_2) | instskip(NEXT) | instid1(VALU_DEP_2)
	v_add_f64 v[144:145], v[146:147], -v[150:151]
	v_add_f64 v[131:132], v[164:165], v[131:132]
	s_delay_alu instid0(VALU_DEP_2) | instskip(NEXT) | instid1(VALU_DEP_2)
	v_add_f64 v[144:145], v[160:161], -v[144:145]
	v_mul_f64 v[131:132], v[133:134], v[131:132]
	s_delay_alu instid0(VALU_DEP_1) | instskip(NEXT) | instid1(VALU_DEP_1)
	v_add_f64 v[131:132], v[144:145], v[131:132]
	v_add_f64 v[133:134], v[146:147], v[131:132]
	s_delay_alu instid0(VALU_DEP_1) | instskip(NEXT) | instid1(VALU_DEP_1)
	v_mul_f64 v[144:145], v[133:134], v[133:134]
	v_fma_f64 v[148:149], v[144:145], s[20:21], s[18:19]
	s_mov_b32 s18, 0xd7f4df2e
	s_mov_b32 s19, 0x3fc7474d
	v_mul_f64 v[150:151], v[133:134], v[144:145]
	s_delay_alu instid0(VALU_DEP_2)
	v_fma_f64 v[148:149], v[144:145], v[148:149], s[18:19]
	s_mov_b32 s18, 0x16291751
	s_mov_b32 s19, 0x3fcc71c0
	s_delay_alu instid0(VALU_DEP_1) | instid1(SALU_CYCLE_1)
	v_fma_f64 v[148:149], v[144:145], v[148:149], s[18:19]
	s_mov_b32 s18, 0x9b27acf1
	s_mov_b32 s19, 0x3fd24924
	s_delay_alu instid0(VALU_DEP_1) | instid1(SALU_CYCLE_1)
	;; [unrolled: 4-line block ×3, first 2 shown]
	v_fma_f64 v[148:149], v[144:145], v[148:149], s[18:19]
	s_delay_alu instid0(VALU_DEP_1) | instskip(SKIP_2) | instid1(VALU_DEP_3)
	v_fma_f64 v[144:145], v[144:145], v[148:149], s[6:7]
	v_ldexp_f64 v[148:149], v[133:134], 1
	v_add_f64 v[133:134], v[133:134], -v[146:147]
	v_mul_f64 v[144:145], v[150:151], v[144:145]
	v_cvt_f64_i32_e32 v[150:151], v166
	s_delay_alu instid0(VALU_DEP_3) | instskip(NEXT) | instid1(VALU_DEP_3)
	v_add_f64 v[131:132], v[131:132], -v[133:134]
	v_add_f64 v[146:147], v[148:149], v[144:145]
	s_delay_alu instid0(VALU_DEP_3) | instskip(NEXT) | instid1(VALU_DEP_3)
	v_mul_f64 v[160:161], v[150:151], s[2:3]
	v_ldexp_f64 v[131:132], v[131:132], 1
	s_delay_alu instid0(VALU_DEP_3) | instskip(NEXT) | instid1(VALU_DEP_3)
	v_add_f64 v[133:134], v[146:147], -v[148:149]
	v_fma_f64 v[148:149], v[150:151], s[2:3], -v[160:161]
	s_delay_alu instid0(VALU_DEP_2) | instskip(NEXT) | instid1(VALU_DEP_2)
	v_add_f64 v[133:134], v[144:145], -v[133:134]
	v_fma_f64 v[144:145], v[150:151], s[4:5], v[148:149]
	s_delay_alu instid0(VALU_DEP_2) | instskip(NEXT) | instid1(VALU_DEP_2)
	v_add_f64 v[131:132], v[131:132], v[133:134]
	v_add_f64 v[133:134], v[160:161], v[144:145]
	s_delay_alu instid0(VALU_DEP_2) | instskip(NEXT) | instid1(VALU_DEP_2)
	v_add_f64 v[148:149], v[146:147], v[131:132]
	v_add_f64 v[160:161], v[133:134], -v[160:161]
	s_delay_alu instid0(VALU_DEP_2) | instskip(SKIP_1) | instid1(VALU_DEP_3)
	v_add_f64 v[150:151], v[133:134], v[148:149]
	v_add_f64 v[146:147], v[148:149], -v[146:147]
	v_add_f64 v[144:145], v[144:145], -v[160:161]
	s_delay_alu instid0(VALU_DEP_3) | instskip(NEXT) | instid1(VALU_DEP_3)
	v_add_f64 v[162:163], v[150:151], -v[133:134]
	v_add_f64 v[131:132], v[131:132], -v[146:147]
	s_delay_alu instid0(VALU_DEP_2) | instskip(SKIP_1) | instid1(VALU_DEP_3)
	v_add_f64 v[164:165], v[150:151], -v[162:163]
	v_add_f64 v[146:147], v[148:149], -v[162:163]
	v_add_f64 v[148:149], v[144:145], v[131:132]
	s_delay_alu instid0(VALU_DEP_3) | instskip(NEXT) | instid1(VALU_DEP_1)
	v_add_f64 v[133:134], v[133:134], -v[164:165]
	v_add_f64 v[133:134], v[146:147], v[133:134]
	s_delay_alu instid0(VALU_DEP_3) | instskip(NEXT) | instid1(VALU_DEP_2)
	v_add_f64 v[146:147], v[148:149], -v[144:145]
	v_add_f64 v[133:134], v[148:149], v[133:134]
	s_delay_alu instid0(VALU_DEP_2) | instskip(SKIP_1) | instid1(VALU_DEP_3)
	v_add_f64 v[148:149], v[148:149], -v[146:147]
	v_add_f64 v[131:132], v[131:132], -v[146:147]
	v_add_f64 v[160:161], v[150:151], v[133:134]
	s_delay_alu instid0(VALU_DEP_3) | instskip(NEXT) | instid1(VALU_DEP_2)
	v_add_f64 v[144:145], v[144:145], -v[148:149]
	v_add_f64 v[146:147], v[160:161], -v[150:151]
	s_delay_alu instid0(VALU_DEP_2) | instskip(NEXT) | instid1(VALU_DEP_2)
	v_add_f64 v[131:132], v[131:132], v[144:145]
	v_add_f64 v[133:134], v[133:134], -v[146:147]
	s_delay_alu instid0(VALU_DEP_1) | instskip(NEXT) | instid1(VALU_DEP_1)
	v_add_f64 v[131:132], v[131:132], v[133:134]
	v_add_f64 v[131:132], v[160:161], v[131:132]
	s_delay_alu instid0(VALU_DEP_1) | instskip(SKIP_1) | instid1(VALU_DEP_2)
	v_dual_cndmask_b32 v131, v131, v20 :: v_dual_cndmask_b32 v132, v132, v21
	v_cmp_ngt_f64_e32 vcc_lo, -1.0, v[20:21]
	v_cndmask_b32_e32 v132, 0x7ff80000, v132, vcc_lo
	v_cmp_nge_f64_e32 vcc_lo, -1.0, v[20:21]
	s_delay_alu instid0(VALU_DEP_4) | instskip(SKIP_1) | instid1(VALU_DEP_4)
	v_cndmask_b32_e32 v131, 0, v131, vcc_lo
	v_cmp_neq_f64_e32 vcc_lo, -1.0, v[20:21]
	v_cndmask_b32_e32 v132, 0xfff00000, v132, vcc_lo
	s_delay_alu instid0(VALU_DEP_1)
	v_add_f64 v[20:21], v[22:23], v[131:132]
.LBB56_243:
	s_or_b32 exec_lo, exec_lo, s8
	s_delay_alu instid0(VALU_DEP_1) | instskip(SKIP_1) | instid1(VALU_DEP_2)
	v_max_f64 v[22:23], v[20:21], v[20:21]
	v_cmp_u_f64_e32 vcc_lo, v[20:21], v[20:21]
	v_min_f64 v[131:132], v[22:23], v[24:25]
	v_max_f64 v[22:23], v[22:23], v[24:25]
	s_delay_alu instid0(VALU_DEP_2) | instskip(NEXT) | instid1(VALU_DEP_2)
	v_dual_cndmask_b32 v24, v131, v20 :: v_dual_cndmask_b32 v25, v132, v21
	v_dual_cndmask_b32 v23, v23, v21 :: v_dual_cndmask_b32 v22, v22, v20
	s_delay_alu instid0(VALU_DEP_2) | instskip(NEXT) | instid1(VALU_DEP_3)
	v_cndmask_b32_e64 v131, v24, v86, s9
	v_cndmask_b32_e64 v132, v25, v87, s9
	s_delay_alu instid0(VALU_DEP_3) | instskip(NEXT) | instid1(VALU_DEP_4)
	v_cndmask_b32_e64 v25, v23, v87, s9
	v_cndmask_b32_e64 v24, v22, v86, s9
	v_dual_mov_b32 v23, v21 :: v_dual_mov_b32 v22, v20
	s_delay_alu instid0(VALU_DEP_4) | instskip(NEXT) | instid1(VALU_DEP_3)
	v_cmp_class_f64_e64 s1, v[131:132], 0x1f8
	v_cmp_neq_f64_e32 vcc_lo, v[131:132], v[24:25]
	s_delay_alu instid0(VALU_DEP_2) | instskip(NEXT) | instid1(SALU_CYCLE_1)
	s_or_b32 s1, vcc_lo, s1
	s_and_saveexec_b32 s8, s1
	s_cbranch_execz .LBB56_245
; %bb.244:
	v_add_f64 v[22:23], v[131:132], -v[24:25]
	s_mov_b32 s2, 0x652b82fe
	s_mov_b32 s3, 0x3ff71547
	;; [unrolled: 1-line block ×10, first 2 shown]
	s_delay_alu instid0(VALU_DEP_1) | instskip(SKIP_4) | instid1(VALU_DEP_3)
	v_mul_f64 v[131:132], v[22:23], s[2:3]
	s_mov_b32 s3, 0xbfe62e42
	s_mov_b32 s2, 0xfefa39ef
	v_cmp_nlt_f64_e32 vcc_lo, 0x40900000, v[22:23]
	v_cmp_ngt_f64_e64 s1, 0xc090cc00, v[22:23]
	v_rndne_f64_e32 v[131:132], v[131:132]
	s_delay_alu instid0(VALU_DEP_1) | instskip(SKIP_2) | instid1(VALU_DEP_2)
	v_fma_f64 v[133:134], v[131:132], s[2:3], v[22:23]
	v_cvt_i32_f64_e32 v146, v[131:132]
	s_mov_b32 s3, 0x3fe62e42
	v_fma_f64 v[133:134], v[131:132], s[4:5], v[133:134]
	s_mov_b32 s5, 0x3c7abc9e
	s_delay_alu instid0(VALU_DEP_1) | instskip(SKIP_4) | instid1(VALU_DEP_1)
	v_fma_f64 v[144:145], v[133:134], s[18:19], s[6:7]
	s_mov_b32 s6, 0x623fde64
	s_mov_b32 s7, 0x3ec71dee
	;; [unrolled: 1-line block ×4, first 2 shown]
	v_fma_f64 v[144:145], v[133:134], v[144:145], s[6:7]
	s_mov_b32 s6, 0x7c89e6b0
	s_mov_b32 s7, 0x3efa0199
	s_delay_alu instid0(VALU_DEP_1) | instid1(SALU_CYCLE_1)
	v_fma_f64 v[144:145], v[133:134], v[144:145], s[6:7]
	s_mov_b32 s6, 0x14761f6e
	s_mov_b32 s7, 0x3f2a01a0
	s_delay_alu instid0(VALU_DEP_1) | instid1(SALU_CYCLE_1)
	v_fma_f64 v[144:145], v[133:134], v[144:145], s[6:7]
	s_mov_b32 s6, 0x1852b7b0
	s_mov_b32 s7, 0x3f56c16c
	s_delay_alu instid0(VALU_DEP_1) | instid1(SALU_CYCLE_1)
	v_fma_f64 v[144:145], v[133:134], v[144:145], s[6:7]
	s_mov_b32 s6, 0x11122322
	s_mov_b32 s7, 0x3f811111
	s_delay_alu instid0(VALU_DEP_1) | instid1(SALU_CYCLE_1)
	v_fma_f64 v[144:145], v[133:134], v[144:145], s[6:7]
	s_mov_b32 s6, 0x555502a1
	s_mov_b32 s7, 0x3fa55555
	s_delay_alu instid0(VALU_DEP_1) | instid1(SALU_CYCLE_1)
	v_fma_f64 v[144:145], v[133:134], v[144:145], s[6:7]
	s_mov_b32 s6, 0x55555511
	s_mov_b32 s7, 0x3fc55555
	s_delay_alu instid0(VALU_DEP_1) | instid1(SALU_CYCLE_1)
	v_fma_f64 v[144:145], v[133:134], v[144:145], s[6:7]
	s_mov_b32 s6, 11
	s_mov_b32 s7, 0x3fe00000
	s_delay_alu instid0(VALU_DEP_1) | instid1(SALU_CYCLE_1)
	v_fma_f64 v[144:145], v[133:134], v[144:145], s[6:7]
	s_mov_b32 s7, 0x3fe55555
	s_mov_b32 s6, 0x55555555
	s_delay_alu instid0(VALU_DEP_1) | instskip(NEXT) | instid1(VALU_DEP_1)
	v_fma_f64 v[144:145], v[133:134], v[144:145], 1.0
	v_fma_f64 v[131:132], v[133:134], v[144:145], 1.0
	s_delay_alu instid0(VALU_DEP_1) | instskip(NEXT) | instid1(VALU_DEP_1)
	v_ldexp_f64 v[131:132], v[131:132], v146
	v_cndmask_b32_e32 v132, 0x7ff00000, v132, vcc_lo
	s_and_b32 vcc_lo, s1, vcc_lo
	s_delay_alu instid0(VALU_DEP_2) | instskip(NEXT) | instid1(VALU_DEP_2)
	v_cndmask_b32_e32 v22, 0, v131, vcc_lo
	v_cndmask_b32_e64 v23, 0, v132, s1
	s_delay_alu instid0(VALU_DEP_1) | instskip(NEXT) | instid1(VALU_DEP_1)
	v_add_f64 v[131:132], v[22:23], 1.0
	v_frexp_mant_f64_e32 v[133:134], v[131:132]
	v_frexp_exp_i32_f64_e32 v146, v[131:132]
	v_add_f64 v[144:145], v[131:132], -1.0
	s_delay_alu instid0(VALU_DEP_3) | instskip(SKIP_1) | instid1(VALU_DEP_2)
	v_cmp_gt_f64_e32 vcc_lo, s[6:7], v[133:134]
	s_mov_b32 s6, 0x55555780
	v_add_f64 v[133:134], v[144:145], -v[131:132]
	v_add_f64 v[144:145], v[22:23], -v[144:145]
	v_subrev_co_ci_u32_e32 v166, vcc_lo, 0, v146, vcc_lo
	s_delay_alu instid0(VALU_DEP_3) | instskip(SKIP_1) | instid1(VALU_DEP_3)
	v_add_f64 v[133:134], v[133:134], 1.0
	v_cmp_eq_f64_e32 vcc_lo, 0x7ff00000, v[22:23]
	v_sub_nc_u32_e32 v148, 0, v166
	s_delay_alu instid0(VALU_DEP_1) | instskip(NEXT) | instid1(VALU_DEP_4)
	v_ldexp_f64 v[131:132], v[131:132], v148
	v_add_f64 v[133:134], v[144:145], v[133:134]
	s_delay_alu instid0(VALU_DEP_2) | instskip(SKIP_1) | instid1(VALU_DEP_3)
	v_add_f64 v[146:147], v[131:132], 1.0
	v_add_f64 v[160:161], v[131:132], -1.0
	v_ldexp_f64 v[133:134], v[133:134], v148
	s_delay_alu instid0(VALU_DEP_3) | instskip(NEXT) | instid1(VALU_DEP_3)
	v_add_f64 v[144:145], v[146:147], -1.0
	v_add_f64 v[162:163], v[160:161], 1.0
	s_delay_alu instid0(VALU_DEP_2) | instskip(NEXT) | instid1(VALU_DEP_2)
	v_add_f64 v[144:145], v[131:132], -v[144:145]
	v_add_f64 v[131:132], v[131:132], -v[162:163]
	s_delay_alu instid0(VALU_DEP_2) | instskip(NEXT) | instid1(VALU_DEP_2)
	v_add_f64 v[144:145], v[133:134], v[144:145]
	v_add_f64 v[131:132], v[133:134], v[131:132]
	s_delay_alu instid0(VALU_DEP_2) | instskip(NEXT) | instid1(VALU_DEP_2)
	v_add_f64 v[148:149], v[146:147], v[144:145]
	v_add_f64 v[162:163], v[160:161], v[131:132]
	s_delay_alu instid0(VALU_DEP_2) | instskip(SKIP_1) | instid1(VALU_DEP_2)
	v_rcp_f64_e32 v[150:151], v[148:149]
	v_add_f64 v[146:147], v[148:149], -v[146:147]
	v_add_f64 v[160:161], v[162:163], -v[160:161]
	s_delay_alu instid0(VALU_DEP_2) | instskip(SKIP_3) | instid1(VALU_DEP_2)
	v_add_f64 v[144:145], v[144:145], -v[146:147]
	s_waitcnt_depctr 0xfff
	v_fma_f64 v[164:165], -v[148:149], v[150:151], 1.0
	v_add_f64 v[131:132], v[131:132], -v[160:161]
	v_fma_f64 v[150:151], v[164:165], v[150:151], v[150:151]
	s_delay_alu instid0(VALU_DEP_1) | instskip(NEXT) | instid1(VALU_DEP_1)
	v_fma_f64 v[133:134], -v[148:149], v[150:151], 1.0
	v_fma_f64 v[133:134], v[133:134], v[150:151], v[150:151]
	s_delay_alu instid0(VALU_DEP_1) | instskip(NEXT) | instid1(VALU_DEP_1)
	v_mul_f64 v[150:151], v[162:163], v[133:134]
	v_mul_f64 v[164:165], v[148:149], v[150:151]
	s_delay_alu instid0(VALU_DEP_1) | instskip(NEXT) | instid1(VALU_DEP_1)
	v_fma_f64 v[146:147], v[150:151], v[148:149], -v[164:165]
	v_fma_f64 v[146:147], v[150:151], v[144:145], v[146:147]
	s_delay_alu instid0(VALU_DEP_1) | instskip(NEXT) | instid1(VALU_DEP_1)
	v_add_f64 v[209:210], v[164:165], v[146:147]
	v_add_f64 v[211:212], v[162:163], -v[209:210]
	v_add_f64 v[160:161], v[209:210], -v[164:165]
	s_delay_alu instid0(VALU_DEP_2) | instskip(NEXT) | instid1(VALU_DEP_2)
	v_add_f64 v[162:163], v[162:163], -v[211:212]
	v_add_f64 v[146:147], v[160:161], -v[146:147]
	s_delay_alu instid0(VALU_DEP_2) | instskip(NEXT) | instid1(VALU_DEP_1)
	v_add_f64 v[162:163], v[162:163], -v[209:210]
	v_add_f64 v[131:132], v[131:132], v[162:163]
	s_delay_alu instid0(VALU_DEP_1) | instskip(NEXT) | instid1(VALU_DEP_1)
	v_add_f64 v[131:132], v[146:147], v[131:132]
	v_add_f64 v[146:147], v[211:212], v[131:132]
	s_delay_alu instid0(VALU_DEP_1) | instskip(SKIP_1) | instid1(VALU_DEP_2)
	v_mul_f64 v[160:161], v[133:134], v[146:147]
	v_add_f64 v[209:210], v[211:212], -v[146:147]
	v_mul_f64 v[162:163], v[148:149], v[160:161]
	s_delay_alu instid0(VALU_DEP_2) | instskip(NEXT) | instid1(VALU_DEP_2)
	v_add_f64 v[131:132], v[131:132], v[209:210]
	v_fma_f64 v[148:149], v[160:161], v[148:149], -v[162:163]
	s_delay_alu instid0(VALU_DEP_1) | instskip(NEXT) | instid1(VALU_DEP_1)
	v_fma_f64 v[144:145], v[160:161], v[144:145], v[148:149]
	v_add_f64 v[148:149], v[162:163], v[144:145]
	s_delay_alu instid0(VALU_DEP_1) | instskip(SKIP_1) | instid1(VALU_DEP_2)
	v_add_f64 v[164:165], v[146:147], -v[148:149]
	v_add_f64 v[162:163], v[148:149], -v[162:163]
	;; [unrolled: 1-line block ×3, first 2 shown]
	s_delay_alu instid0(VALU_DEP_2) | instskip(NEXT) | instid1(VALU_DEP_2)
	v_add_f64 v[144:145], v[162:163], -v[144:145]
	v_add_f64 v[146:147], v[146:147], -v[148:149]
	s_delay_alu instid0(VALU_DEP_1) | instskip(SKIP_1) | instid1(VALU_DEP_2)
	v_add_f64 v[131:132], v[131:132], v[146:147]
	v_add_f64 v[146:147], v[150:151], v[160:161]
	;; [unrolled: 1-line block ×3, first 2 shown]
	s_delay_alu instid0(VALU_DEP_2) | instskip(NEXT) | instid1(VALU_DEP_2)
	v_add_f64 v[144:145], v[146:147], -v[150:151]
	v_add_f64 v[131:132], v[164:165], v[131:132]
	s_delay_alu instid0(VALU_DEP_2) | instskip(NEXT) | instid1(VALU_DEP_2)
	v_add_f64 v[144:145], v[160:161], -v[144:145]
	v_mul_f64 v[131:132], v[133:134], v[131:132]
	s_delay_alu instid0(VALU_DEP_1) | instskip(NEXT) | instid1(VALU_DEP_1)
	v_add_f64 v[131:132], v[144:145], v[131:132]
	v_add_f64 v[133:134], v[146:147], v[131:132]
	s_delay_alu instid0(VALU_DEP_1) | instskip(NEXT) | instid1(VALU_DEP_1)
	v_mul_f64 v[144:145], v[133:134], v[133:134]
	v_fma_f64 v[148:149], v[144:145], s[20:21], s[18:19]
	s_mov_b32 s18, 0xd7f4df2e
	s_mov_b32 s19, 0x3fc7474d
	v_mul_f64 v[150:151], v[133:134], v[144:145]
	s_delay_alu instid0(VALU_DEP_2)
	v_fma_f64 v[148:149], v[144:145], v[148:149], s[18:19]
	s_mov_b32 s18, 0x16291751
	s_mov_b32 s19, 0x3fcc71c0
	s_delay_alu instid0(VALU_DEP_1) | instid1(SALU_CYCLE_1)
	v_fma_f64 v[148:149], v[144:145], v[148:149], s[18:19]
	s_mov_b32 s18, 0x9b27acf1
	s_mov_b32 s19, 0x3fd24924
	s_delay_alu instid0(VALU_DEP_1) | instid1(SALU_CYCLE_1)
	;; [unrolled: 4-line block ×3, first 2 shown]
	v_fma_f64 v[148:149], v[144:145], v[148:149], s[18:19]
	s_delay_alu instid0(VALU_DEP_1) | instskip(SKIP_2) | instid1(VALU_DEP_3)
	v_fma_f64 v[144:145], v[144:145], v[148:149], s[6:7]
	v_ldexp_f64 v[148:149], v[133:134], 1
	v_add_f64 v[133:134], v[133:134], -v[146:147]
	v_mul_f64 v[144:145], v[150:151], v[144:145]
	v_cvt_f64_i32_e32 v[150:151], v166
	s_delay_alu instid0(VALU_DEP_3) | instskip(NEXT) | instid1(VALU_DEP_3)
	v_add_f64 v[131:132], v[131:132], -v[133:134]
	v_add_f64 v[146:147], v[148:149], v[144:145]
	s_delay_alu instid0(VALU_DEP_3) | instskip(NEXT) | instid1(VALU_DEP_3)
	v_mul_f64 v[160:161], v[150:151], s[2:3]
	v_ldexp_f64 v[131:132], v[131:132], 1
	s_delay_alu instid0(VALU_DEP_3) | instskip(NEXT) | instid1(VALU_DEP_3)
	v_add_f64 v[133:134], v[146:147], -v[148:149]
	v_fma_f64 v[148:149], v[150:151], s[2:3], -v[160:161]
	s_delay_alu instid0(VALU_DEP_2) | instskip(NEXT) | instid1(VALU_DEP_2)
	v_add_f64 v[133:134], v[144:145], -v[133:134]
	v_fma_f64 v[144:145], v[150:151], s[4:5], v[148:149]
	s_delay_alu instid0(VALU_DEP_2) | instskip(NEXT) | instid1(VALU_DEP_2)
	v_add_f64 v[131:132], v[131:132], v[133:134]
	v_add_f64 v[133:134], v[160:161], v[144:145]
	s_delay_alu instid0(VALU_DEP_2) | instskip(NEXT) | instid1(VALU_DEP_2)
	v_add_f64 v[148:149], v[146:147], v[131:132]
	v_add_f64 v[160:161], v[133:134], -v[160:161]
	s_delay_alu instid0(VALU_DEP_2) | instskip(SKIP_1) | instid1(VALU_DEP_3)
	v_add_f64 v[150:151], v[133:134], v[148:149]
	v_add_f64 v[146:147], v[148:149], -v[146:147]
	v_add_f64 v[144:145], v[144:145], -v[160:161]
	s_delay_alu instid0(VALU_DEP_3) | instskip(NEXT) | instid1(VALU_DEP_3)
	v_add_f64 v[162:163], v[150:151], -v[133:134]
	v_add_f64 v[131:132], v[131:132], -v[146:147]
	s_delay_alu instid0(VALU_DEP_2) | instskip(SKIP_1) | instid1(VALU_DEP_3)
	v_add_f64 v[164:165], v[150:151], -v[162:163]
	v_add_f64 v[146:147], v[148:149], -v[162:163]
	v_add_f64 v[148:149], v[144:145], v[131:132]
	s_delay_alu instid0(VALU_DEP_3) | instskip(NEXT) | instid1(VALU_DEP_1)
	v_add_f64 v[133:134], v[133:134], -v[164:165]
	v_add_f64 v[133:134], v[146:147], v[133:134]
	s_delay_alu instid0(VALU_DEP_3) | instskip(NEXT) | instid1(VALU_DEP_2)
	v_add_f64 v[146:147], v[148:149], -v[144:145]
	v_add_f64 v[133:134], v[148:149], v[133:134]
	s_delay_alu instid0(VALU_DEP_2) | instskip(SKIP_1) | instid1(VALU_DEP_3)
	v_add_f64 v[148:149], v[148:149], -v[146:147]
	v_add_f64 v[131:132], v[131:132], -v[146:147]
	v_add_f64 v[160:161], v[150:151], v[133:134]
	s_delay_alu instid0(VALU_DEP_3) | instskip(NEXT) | instid1(VALU_DEP_2)
	v_add_f64 v[144:145], v[144:145], -v[148:149]
	v_add_f64 v[146:147], v[160:161], -v[150:151]
	s_delay_alu instid0(VALU_DEP_2) | instskip(NEXT) | instid1(VALU_DEP_2)
	v_add_f64 v[131:132], v[131:132], v[144:145]
	v_add_f64 v[133:134], v[133:134], -v[146:147]
	s_delay_alu instid0(VALU_DEP_1) | instskip(NEXT) | instid1(VALU_DEP_1)
	v_add_f64 v[131:132], v[131:132], v[133:134]
	v_add_f64 v[131:132], v[160:161], v[131:132]
	s_delay_alu instid0(VALU_DEP_1) | instskip(SKIP_1) | instid1(VALU_DEP_2)
	v_dual_cndmask_b32 v131, v131, v22 :: v_dual_cndmask_b32 v132, v132, v23
	v_cmp_ngt_f64_e32 vcc_lo, -1.0, v[22:23]
	v_cndmask_b32_e32 v132, 0x7ff80000, v132, vcc_lo
	v_cmp_nge_f64_e32 vcc_lo, -1.0, v[22:23]
	s_delay_alu instid0(VALU_DEP_4) | instskip(SKIP_1) | instid1(VALU_DEP_4)
	v_cndmask_b32_e32 v131, 0, v131, vcc_lo
	v_cmp_neq_f64_e32 vcc_lo, -1.0, v[22:23]
	v_cndmask_b32_e32 v132, 0xfff00000, v132, vcc_lo
	s_delay_alu instid0(VALU_DEP_1)
	v_add_f64 v[22:23], v[24:25], v[131:132]
.LBB56_245:
	s_or_b32 exec_lo, exec_lo, s8
	s_delay_alu instid0(VALU_DEP_1) | instskip(SKIP_1) | instid1(VALU_DEP_2)
	v_max_f64 v[24:25], v[22:23], v[22:23]
	v_cmp_u_f64_e32 vcc_lo, v[22:23], v[22:23]
	v_min_f64 v[131:132], v[24:25], v[26:27]
	v_max_f64 v[24:25], v[24:25], v[26:27]
	s_delay_alu instid0(VALU_DEP_2) | instskip(NEXT) | instid1(VALU_DEP_2)
	v_dual_cndmask_b32 v26, v131, v22 :: v_dual_cndmask_b32 v27, v132, v23
	v_dual_cndmask_b32 v25, v25, v23 :: v_dual_cndmask_b32 v24, v24, v22
	s_delay_alu instid0(VALU_DEP_2) | instskip(NEXT) | instid1(VALU_DEP_3)
	v_cndmask_b32_e64 v131, v26, v80, s10
	v_cndmask_b32_e64 v132, v27, v81, s10
	s_delay_alu instid0(VALU_DEP_3) | instskip(NEXT) | instid1(VALU_DEP_4)
	v_cndmask_b32_e64 v27, v25, v81, s10
	v_cndmask_b32_e64 v26, v24, v80, s10
	v_dual_mov_b32 v25, v23 :: v_dual_mov_b32 v24, v22
	s_delay_alu instid0(VALU_DEP_4) | instskip(NEXT) | instid1(VALU_DEP_3)
	v_cmp_class_f64_e64 s1, v[131:132], 0x1f8
	v_cmp_neq_f64_e32 vcc_lo, v[131:132], v[26:27]
	s_delay_alu instid0(VALU_DEP_2) | instskip(NEXT) | instid1(SALU_CYCLE_1)
	s_or_b32 s1, vcc_lo, s1
	s_and_saveexec_b32 s8, s1
	s_cbranch_execz .LBB56_247
; %bb.246:
	v_add_f64 v[24:25], v[131:132], -v[26:27]
	s_mov_b32 s2, 0x652b82fe
	s_mov_b32 s3, 0x3ff71547
	;; [unrolled: 1-line block ×10, first 2 shown]
	s_delay_alu instid0(VALU_DEP_1) | instskip(SKIP_4) | instid1(VALU_DEP_3)
	v_mul_f64 v[131:132], v[24:25], s[2:3]
	s_mov_b32 s3, 0xbfe62e42
	s_mov_b32 s2, 0xfefa39ef
	v_cmp_nlt_f64_e32 vcc_lo, 0x40900000, v[24:25]
	v_cmp_ngt_f64_e64 s1, 0xc090cc00, v[24:25]
	v_rndne_f64_e32 v[131:132], v[131:132]
	s_delay_alu instid0(VALU_DEP_1) | instskip(SKIP_2) | instid1(VALU_DEP_2)
	v_fma_f64 v[133:134], v[131:132], s[2:3], v[24:25]
	v_cvt_i32_f64_e32 v146, v[131:132]
	s_mov_b32 s3, 0x3fe62e42
	v_fma_f64 v[133:134], v[131:132], s[4:5], v[133:134]
	s_mov_b32 s5, 0x3c7abc9e
	s_delay_alu instid0(VALU_DEP_1) | instskip(SKIP_4) | instid1(VALU_DEP_1)
	v_fma_f64 v[144:145], v[133:134], s[18:19], s[6:7]
	s_mov_b32 s6, 0x623fde64
	s_mov_b32 s7, 0x3ec71dee
	;; [unrolled: 1-line block ×4, first 2 shown]
	v_fma_f64 v[144:145], v[133:134], v[144:145], s[6:7]
	s_mov_b32 s6, 0x7c89e6b0
	s_mov_b32 s7, 0x3efa0199
	s_delay_alu instid0(VALU_DEP_1) | instid1(SALU_CYCLE_1)
	v_fma_f64 v[144:145], v[133:134], v[144:145], s[6:7]
	s_mov_b32 s6, 0x14761f6e
	s_mov_b32 s7, 0x3f2a01a0
	s_delay_alu instid0(VALU_DEP_1) | instid1(SALU_CYCLE_1)
	;; [unrolled: 4-line block ×7, first 2 shown]
	v_fma_f64 v[144:145], v[133:134], v[144:145], s[6:7]
	s_mov_b32 s7, 0x3fe55555
	s_mov_b32 s6, 0x55555555
	s_delay_alu instid0(VALU_DEP_1) | instskip(NEXT) | instid1(VALU_DEP_1)
	v_fma_f64 v[144:145], v[133:134], v[144:145], 1.0
	v_fma_f64 v[131:132], v[133:134], v[144:145], 1.0
	s_delay_alu instid0(VALU_DEP_1) | instskip(NEXT) | instid1(VALU_DEP_1)
	v_ldexp_f64 v[131:132], v[131:132], v146
	v_cndmask_b32_e32 v132, 0x7ff00000, v132, vcc_lo
	s_and_b32 vcc_lo, s1, vcc_lo
	s_delay_alu instid0(VALU_DEP_2) | instskip(NEXT) | instid1(VALU_DEP_2)
	v_cndmask_b32_e32 v24, 0, v131, vcc_lo
	v_cndmask_b32_e64 v25, 0, v132, s1
	s_delay_alu instid0(VALU_DEP_1) | instskip(NEXT) | instid1(VALU_DEP_1)
	v_add_f64 v[131:132], v[24:25], 1.0
	v_frexp_mant_f64_e32 v[133:134], v[131:132]
	v_frexp_exp_i32_f64_e32 v146, v[131:132]
	v_add_f64 v[144:145], v[131:132], -1.0
	s_delay_alu instid0(VALU_DEP_3) | instskip(SKIP_1) | instid1(VALU_DEP_2)
	v_cmp_gt_f64_e32 vcc_lo, s[6:7], v[133:134]
	s_mov_b32 s6, 0x55555780
	v_add_f64 v[133:134], v[144:145], -v[131:132]
	v_add_f64 v[144:145], v[24:25], -v[144:145]
	v_subrev_co_ci_u32_e32 v166, vcc_lo, 0, v146, vcc_lo
	s_delay_alu instid0(VALU_DEP_3) | instskip(SKIP_1) | instid1(VALU_DEP_3)
	v_add_f64 v[133:134], v[133:134], 1.0
	v_cmp_eq_f64_e32 vcc_lo, 0x7ff00000, v[24:25]
	v_sub_nc_u32_e32 v148, 0, v166
	s_delay_alu instid0(VALU_DEP_1) | instskip(NEXT) | instid1(VALU_DEP_4)
	v_ldexp_f64 v[131:132], v[131:132], v148
	v_add_f64 v[133:134], v[144:145], v[133:134]
	s_delay_alu instid0(VALU_DEP_2) | instskip(SKIP_1) | instid1(VALU_DEP_3)
	v_add_f64 v[146:147], v[131:132], 1.0
	v_add_f64 v[160:161], v[131:132], -1.0
	v_ldexp_f64 v[133:134], v[133:134], v148
	s_delay_alu instid0(VALU_DEP_3) | instskip(NEXT) | instid1(VALU_DEP_3)
	v_add_f64 v[144:145], v[146:147], -1.0
	v_add_f64 v[162:163], v[160:161], 1.0
	s_delay_alu instid0(VALU_DEP_2) | instskip(NEXT) | instid1(VALU_DEP_2)
	v_add_f64 v[144:145], v[131:132], -v[144:145]
	v_add_f64 v[131:132], v[131:132], -v[162:163]
	s_delay_alu instid0(VALU_DEP_2) | instskip(NEXT) | instid1(VALU_DEP_2)
	v_add_f64 v[144:145], v[133:134], v[144:145]
	v_add_f64 v[131:132], v[133:134], v[131:132]
	s_delay_alu instid0(VALU_DEP_2) | instskip(NEXT) | instid1(VALU_DEP_2)
	v_add_f64 v[148:149], v[146:147], v[144:145]
	v_add_f64 v[162:163], v[160:161], v[131:132]
	s_delay_alu instid0(VALU_DEP_2) | instskip(SKIP_1) | instid1(VALU_DEP_2)
	v_rcp_f64_e32 v[150:151], v[148:149]
	v_add_f64 v[146:147], v[148:149], -v[146:147]
	v_add_f64 v[160:161], v[162:163], -v[160:161]
	s_delay_alu instid0(VALU_DEP_2) | instskip(SKIP_3) | instid1(VALU_DEP_2)
	v_add_f64 v[144:145], v[144:145], -v[146:147]
	s_waitcnt_depctr 0xfff
	v_fma_f64 v[164:165], -v[148:149], v[150:151], 1.0
	v_add_f64 v[131:132], v[131:132], -v[160:161]
	v_fma_f64 v[150:151], v[164:165], v[150:151], v[150:151]
	s_delay_alu instid0(VALU_DEP_1) | instskip(NEXT) | instid1(VALU_DEP_1)
	v_fma_f64 v[133:134], -v[148:149], v[150:151], 1.0
	v_fma_f64 v[133:134], v[133:134], v[150:151], v[150:151]
	s_delay_alu instid0(VALU_DEP_1) | instskip(NEXT) | instid1(VALU_DEP_1)
	v_mul_f64 v[150:151], v[162:163], v[133:134]
	v_mul_f64 v[164:165], v[148:149], v[150:151]
	s_delay_alu instid0(VALU_DEP_1) | instskip(NEXT) | instid1(VALU_DEP_1)
	v_fma_f64 v[146:147], v[150:151], v[148:149], -v[164:165]
	v_fma_f64 v[146:147], v[150:151], v[144:145], v[146:147]
	s_delay_alu instid0(VALU_DEP_1) | instskip(NEXT) | instid1(VALU_DEP_1)
	v_add_f64 v[209:210], v[164:165], v[146:147]
	v_add_f64 v[211:212], v[162:163], -v[209:210]
	v_add_f64 v[160:161], v[209:210], -v[164:165]
	s_delay_alu instid0(VALU_DEP_2) | instskip(NEXT) | instid1(VALU_DEP_2)
	v_add_f64 v[162:163], v[162:163], -v[211:212]
	v_add_f64 v[146:147], v[160:161], -v[146:147]
	s_delay_alu instid0(VALU_DEP_2) | instskip(NEXT) | instid1(VALU_DEP_1)
	v_add_f64 v[162:163], v[162:163], -v[209:210]
	v_add_f64 v[131:132], v[131:132], v[162:163]
	s_delay_alu instid0(VALU_DEP_1) | instskip(NEXT) | instid1(VALU_DEP_1)
	v_add_f64 v[131:132], v[146:147], v[131:132]
	v_add_f64 v[146:147], v[211:212], v[131:132]
	s_delay_alu instid0(VALU_DEP_1) | instskip(SKIP_1) | instid1(VALU_DEP_2)
	v_mul_f64 v[160:161], v[133:134], v[146:147]
	v_add_f64 v[209:210], v[211:212], -v[146:147]
	v_mul_f64 v[162:163], v[148:149], v[160:161]
	s_delay_alu instid0(VALU_DEP_2) | instskip(NEXT) | instid1(VALU_DEP_2)
	v_add_f64 v[131:132], v[131:132], v[209:210]
	v_fma_f64 v[148:149], v[160:161], v[148:149], -v[162:163]
	s_delay_alu instid0(VALU_DEP_1) | instskip(NEXT) | instid1(VALU_DEP_1)
	v_fma_f64 v[144:145], v[160:161], v[144:145], v[148:149]
	v_add_f64 v[148:149], v[162:163], v[144:145]
	s_delay_alu instid0(VALU_DEP_1) | instskip(SKIP_1) | instid1(VALU_DEP_2)
	v_add_f64 v[164:165], v[146:147], -v[148:149]
	v_add_f64 v[162:163], v[148:149], -v[162:163]
	;; [unrolled: 1-line block ×3, first 2 shown]
	s_delay_alu instid0(VALU_DEP_2) | instskip(NEXT) | instid1(VALU_DEP_2)
	v_add_f64 v[144:145], v[162:163], -v[144:145]
	v_add_f64 v[146:147], v[146:147], -v[148:149]
	s_delay_alu instid0(VALU_DEP_1) | instskip(SKIP_1) | instid1(VALU_DEP_2)
	v_add_f64 v[131:132], v[131:132], v[146:147]
	v_add_f64 v[146:147], v[150:151], v[160:161]
	;; [unrolled: 1-line block ×3, first 2 shown]
	s_delay_alu instid0(VALU_DEP_2) | instskip(NEXT) | instid1(VALU_DEP_2)
	v_add_f64 v[144:145], v[146:147], -v[150:151]
	v_add_f64 v[131:132], v[164:165], v[131:132]
	s_delay_alu instid0(VALU_DEP_2) | instskip(NEXT) | instid1(VALU_DEP_2)
	v_add_f64 v[144:145], v[160:161], -v[144:145]
	v_mul_f64 v[131:132], v[133:134], v[131:132]
	s_delay_alu instid0(VALU_DEP_1) | instskip(NEXT) | instid1(VALU_DEP_1)
	v_add_f64 v[131:132], v[144:145], v[131:132]
	v_add_f64 v[133:134], v[146:147], v[131:132]
	s_delay_alu instid0(VALU_DEP_1) | instskip(NEXT) | instid1(VALU_DEP_1)
	v_mul_f64 v[144:145], v[133:134], v[133:134]
	v_fma_f64 v[148:149], v[144:145], s[20:21], s[18:19]
	s_mov_b32 s18, 0xd7f4df2e
	s_mov_b32 s19, 0x3fc7474d
	v_mul_f64 v[150:151], v[133:134], v[144:145]
	s_delay_alu instid0(VALU_DEP_2)
	v_fma_f64 v[148:149], v[144:145], v[148:149], s[18:19]
	s_mov_b32 s18, 0x16291751
	s_mov_b32 s19, 0x3fcc71c0
	s_delay_alu instid0(VALU_DEP_1) | instid1(SALU_CYCLE_1)
	v_fma_f64 v[148:149], v[144:145], v[148:149], s[18:19]
	s_mov_b32 s18, 0x9b27acf1
	s_mov_b32 s19, 0x3fd24924
	s_delay_alu instid0(VALU_DEP_1) | instid1(SALU_CYCLE_1)
	;; [unrolled: 4-line block ×3, first 2 shown]
	v_fma_f64 v[148:149], v[144:145], v[148:149], s[18:19]
	s_delay_alu instid0(VALU_DEP_1) | instskip(SKIP_2) | instid1(VALU_DEP_3)
	v_fma_f64 v[144:145], v[144:145], v[148:149], s[6:7]
	v_ldexp_f64 v[148:149], v[133:134], 1
	v_add_f64 v[133:134], v[133:134], -v[146:147]
	v_mul_f64 v[144:145], v[150:151], v[144:145]
	v_cvt_f64_i32_e32 v[150:151], v166
	s_delay_alu instid0(VALU_DEP_3) | instskip(NEXT) | instid1(VALU_DEP_3)
	v_add_f64 v[131:132], v[131:132], -v[133:134]
	v_add_f64 v[146:147], v[148:149], v[144:145]
	s_delay_alu instid0(VALU_DEP_3) | instskip(NEXT) | instid1(VALU_DEP_3)
	v_mul_f64 v[160:161], v[150:151], s[2:3]
	v_ldexp_f64 v[131:132], v[131:132], 1
	s_delay_alu instid0(VALU_DEP_3) | instskip(NEXT) | instid1(VALU_DEP_3)
	v_add_f64 v[133:134], v[146:147], -v[148:149]
	v_fma_f64 v[148:149], v[150:151], s[2:3], -v[160:161]
	s_delay_alu instid0(VALU_DEP_2) | instskip(NEXT) | instid1(VALU_DEP_2)
	v_add_f64 v[133:134], v[144:145], -v[133:134]
	v_fma_f64 v[144:145], v[150:151], s[4:5], v[148:149]
	s_delay_alu instid0(VALU_DEP_2) | instskip(NEXT) | instid1(VALU_DEP_2)
	v_add_f64 v[131:132], v[131:132], v[133:134]
	v_add_f64 v[133:134], v[160:161], v[144:145]
	s_delay_alu instid0(VALU_DEP_2) | instskip(NEXT) | instid1(VALU_DEP_2)
	v_add_f64 v[148:149], v[146:147], v[131:132]
	v_add_f64 v[160:161], v[133:134], -v[160:161]
	s_delay_alu instid0(VALU_DEP_2) | instskip(SKIP_1) | instid1(VALU_DEP_3)
	v_add_f64 v[150:151], v[133:134], v[148:149]
	v_add_f64 v[146:147], v[148:149], -v[146:147]
	v_add_f64 v[144:145], v[144:145], -v[160:161]
	s_delay_alu instid0(VALU_DEP_3) | instskip(NEXT) | instid1(VALU_DEP_3)
	v_add_f64 v[162:163], v[150:151], -v[133:134]
	v_add_f64 v[131:132], v[131:132], -v[146:147]
	s_delay_alu instid0(VALU_DEP_2) | instskip(SKIP_1) | instid1(VALU_DEP_3)
	v_add_f64 v[164:165], v[150:151], -v[162:163]
	v_add_f64 v[146:147], v[148:149], -v[162:163]
	v_add_f64 v[148:149], v[144:145], v[131:132]
	s_delay_alu instid0(VALU_DEP_3) | instskip(NEXT) | instid1(VALU_DEP_1)
	v_add_f64 v[133:134], v[133:134], -v[164:165]
	v_add_f64 v[133:134], v[146:147], v[133:134]
	s_delay_alu instid0(VALU_DEP_3) | instskip(NEXT) | instid1(VALU_DEP_2)
	v_add_f64 v[146:147], v[148:149], -v[144:145]
	v_add_f64 v[133:134], v[148:149], v[133:134]
	s_delay_alu instid0(VALU_DEP_2) | instskip(SKIP_1) | instid1(VALU_DEP_3)
	v_add_f64 v[148:149], v[148:149], -v[146:147]
	v_add_f64 v[131:132], v[131:132], -v[146:147]
	v_add_f64 v[160:161], v[150:151], v[133:134]
	s_delay_alu instid0(VALU_DEP_3) | instskip(NEXT) | instid1(VALU_DEP_2)
	v_add_f64 v[144:145], v[144:145], -v[148:149]
	v_add_f64 v[146:147], v[160:161], -v[150:151]
	s_delay_alu instid0(VALU_DEP_2) | instskip(NEXT) | instid1(VALU_DEP_2)
	v_add_f64 v[131:132], v[131:132], v[144:145]
	v_add_f64 v[133:134], v[133:134], -v[146:147]
	s_delay_alu instid0(VALU_DEP_1) | instskip(NEXT) | instid1(VALU_DEP_1)
	v_add_f64 v[131:132], v[131:132], v[133:134]
	v_add_f64 v[131:132], v[160:161], v[131:132]
	s_delay_alu instid0(VALU_DEP_1) | instskip(SKIP_1) | instid1(VALU_DEP_2)
	v_dual_cndmask_b32 v131, v131, v24 :: v_dual_cndmask_b32 v132, v132, v25
	v_cmp_ngt_f64_e32 vcc_lo, -1.0, v[24:25]
	v_cndmask_b32_e32 v132, 0x7ff80000, v132, vcc_lo
	v_cmp_nge_f64_e32 vcc_lo, -1.0, v[24:25]
	s_delay_alu instid0(VALU_DEP_4) | instskip(SKIP_1) | instid1(VALU_DEP_4)
	v_cndmask_b32_e32 v131, 0, v131, vcc_lo
	v_cmp_neq_f64_e32 vcc_lo, -1.0, v[24:25]
	v_cndmask_b32_e32 v132, 0xfff00000, v132, vcc_lo
	s_delay_alu instid0(VALU_DEP_1)
	v_add_f64 v[24:25], v[26:27], v[131:132]
.LBB56_247:
	s_or_b32 exec_lo, exec_lo, s8
	s_delay_alu instid0(VALU_DEP_1) | instskip(SKIP_1) | instid1(VALU_DEP_2)
	v_max_f64 v[26:27], v[24:25], v[24:25]
	v_cmp_u_f64_e32 vcc_lo, v[24:25], v[24:25]
	v_min_f64 v[131:132], v[26:27], v[28:29]
	v_max_f64 v[26:27], v[26:27], v[28:29]
	s_delay_alu instid0(VALU_DEP_2) | instskip(NEXT) | instid1(VALU_DEP_2)
	v_dual_cndmask_b32 v28, v131, v24 :: v_dual_cndmask_b32 v29, v132, v25
	v_dual_cndmask_b32 v27, v27, v25 :: v_dual_cndmask_b32 v26, v26, v24
	s_delay_alu instid0(VALU_DEP_2) | instskip(NEXT) | instid1(VALU_DEP_3)
	v_cndmask_b32_e64 v131, v28, v82, s11
	v_cndmask_b32_e64 v132, v29, v83, s11
	s_delay_alu instid0(VALU_DEP_3) | instskip(NEXT) | instid1(VALU_DEP_4)
	v_cndmask_b32_e64 v29, v27, v83, s11
	v_cndmask_b32_e64 v28, v26, v82, s11
	v_dual_mov_b32 v27, v25 :: v_dual_mov_b32 v26, v24
	s_delay_alu instid0(VALU_DEP_4) | instskip(NEXT) | instid1(VALU_DEP_3)
	v_cmp_class_f64_e64 s1, v[131:132], 0x1f8
	v_cmp_neq_f64_e32 vcc_lo, v[131:132], v[28:29]
	s_delay_alu instid0(VALU_DEP_2) | instskip(NEXT) | instid1(SALU_CYCLE_1)
	s_or_b32 s1, vcc_lo, s1
	s_and_saveexec_b32 s8, s1
	s_cbranch_execz .LBB56_249
; %bb.248:
	v_add_f64 v[26:27], v[131:132], -v[28:29]
	s_mov_b32 s2, 0x652b82fe
	s_mov_b32 s3, 0x3ff71547
	;; [unrolled: 1-line block ×10, first 2 shown]
	s_delay_alu instid0(VALU_DEP_1) | instskip(SKIP_4) | instid1(VALU_DEP_3)
	v_mul_f64 v[131:132], v[26:27], s[2:3]
	s_mov_b32 s3, 0xbfe62e42
	s_mov_b32 s2, 0xfefa39ef
	v_cmp_nlt_f64_e32 vcc_lo, 0x40900000, v[26:27]
	v_cmp_ngt_f64_e64 s1, 0xc090cc00, v[26:27]
	v_rndne_f64_e32 v[131:132], v[131:132]
	s_delay_alu instid0(VALU_DEP_1) | instskip(SKIP_2) | instid1(VALU_DEP_2)
	v_fma_f64 v[133:134], v[131:132], s[2:3], v[26:27]
	v_cvt_i32_f64_e32 v146, v[131:132]
	s_mov_b32 s3, 0x3fe62e42
	v_fma_f64 v[133:134], v[131:132], s[4:5], v[133:134]
	s_mov_b32 s5, 0x3c7abc9e
	s_delay_alu instid0(VALU_DEP_1) | instskip(SKIP_4) | instid1(VALU_DEP_1)
	v_fma_f64 v[144:145], v[133:134], s[10:11], s[6:7]
	s_mov_b32 s6, 0x623fde64
	s_mov_b32 s7, 0x3ec71dee
	;; [unrolled: 1-line block ×4, first 2 shown]
	v_fma_f64 v[144:145], v[133:134], v[144:145], s[6:7]
	s_mov_b32 s6, 0x7c89e6b0
	s_mov_b32 s7, 0x3efa0199
	s_delay_alu instid0(VALU_DEP_1) | instid1(SALU_CYCLE_1)
	v_fma_f64 v[144:145], v[133:134], v[144:145], s[6:7]
	s_mov_b32 s6, 0x14761f6e
	s_mov_b32 s7, 0x3f2a01a0
	s_delay_alu instid0(VALU_DEP_1) | instid1(SALU_CYCLE_1)
	;; [unrolled: 4-line block ×7, first 2 shown]
	v_fma_f64 v[144:145], v[133:134], v[144:145], s[6:7]
	s_mov_b32 s7, 0x3fe55555
	s_mov_b32 s6, 0x55555555
	s_delay_alu instid0(VALU_DEP_1) | instskip(NEXT) | instid1(VALU_DEP_1)
	v_fma_f64 v[144:145], v[133:134], v[144:145], 1.0
	v_fma_f64 v[131:132], v[133:134], v[144:145], 1.0
	s_delay_alu instid0(VALU_DEP_1) | instskip(NEXT) | instid1(VALU_DEP_1)
	v_ldexp_f64 v[131:132], v[131:132], v146
	v_cndmask_b32_e32 v132, 0x7ff00000, v132, vcc_lo
	s_and_b32 vcc_lo, s1, vcc_lo
	s_delay_alu instid0(VALU_DEP_2) | instskip(NEXT) | instid1(VALU_DEP_2)
	v_cndmask_b32_e32 v26, 0, v131, vcc_lo
	v_cndmask_b32_e64 v27, 0, v132, s1
	s_delay_alu instid0(VALU_DEP_1) | instskip(NEXT) | instid1(VALU_DEP_1)
	v_add_f64 v[131:132], v[26:27], 1.0
	v_frexp_mant_f64_e32 v[133:134], v[131:132]
	v_frexp_exp_i32_f64_e32 v146, v[131:132]
	v_add_f64 v[144:145], v[131:132], -1.0
	s_delay_alu instid0(VALU_DEP_3) | instskip(SKIP_1) | instid1(VALU_DEP_2)
	v_cmp_gt_f64_e32 vcc_lo, s[6:7], v[133:134]
	s_mov_b32 s6, 0x55555780
	v_add_f64 v[133:134], v[144:145], -v[131:132]
	v_add_f64 v[144:145], v[26:27], -v[144:145]
	v_subrev_co_ci_u32_e32 v166, vcc_lo, 0, v146, vcc_lo
	s_delay_alu instid0(VALU_DEP_3) | instskip(SKIP_1) | instid1(VALU_DEP_3)
	v_add_f64 v[133:134], v[133:134], 1.0
	v_cmp_eq_f64_e32 vcc_lo, 0x7ff00000, v[26:27]
	v_sub_nc_u32_e32 v148, 0, v166
	s_delay_alu instid0(VALU_DEP_1) | instskip(NEXT) | instid1(VALU_DEP_4)
	v_ldexp_f64 v[131:132], v[131:132], v148
	v_add_f64 v[133:134], v[144:145], v[133:134]
	s_delay_alu instid0(VALU_DEP_2) | instskip(SKIP_1) | instid1(VALU_DEP_3)
	v_add_f64 v[146:147], v[131:132], 1.0
	v_add_f64 v[160:161], v[131:132], -1.0
	v_ldexp_f64 v[133:134], v[133:134], v148
	s_delay_alu instid0(VALU_DEP_3) | instskip(NEXT) | instid1(VALU_DEP_3)
	v_add_f64 v[144:145], v[146:147], -1.0
	v_add_f64 v[162:163], v[160:161], 1.0
	s_delay_alu instid0(VALU_DEP_2) | instskip(NEXT) | instid1(VALU_DEP_2)
	v_add_f64 v[144:145], v[131:132], -v[144:145]
	v_add_f64 v[131:132], v[131:132], -v[162:163]
	s_delay_alu instid0(VALU_DEP_2) | instskip(NEXT) | instid1(VALU_DEP_2)
	v_add_f64 v[144:145], v[133:134], v[144:145]
	v_add_f64 v[131:132], v[133:134], v[131:132]
	s_delay_alu instid0(VALU_DEP_2) | instskip(NEXT) | instid1(VALU_DEP_2)
	v_add_f64 v[148:149], v[146:147], v[144:145]
	v_add_f64 v[162:163], v[160:161], v[131:132]
	s_delay_alu instid0(VALU_DEP_2) | instskip(SKIP_1) | instid1(VALU_DEP_2)
	v_rcp_f64_e32 v[150:151], v[148:149]
	v_add_f64 v[146:147], v[148:149], -v[146:147]
	v_add_f64 v[160:161], v[162:163], -v[160:161]
	s_delay_alu instid0(VALU_DEP_2) | instskip(SKIP_3) | instid1(VALU_DEP_2)
	v_add_f64 v[144:145], v[144:145], -v[146:147]
	s_waitcnt_depctr 0xfff
	v_fma_f64 v[164:165], -v[148:149], v[150:151], 1.0
	v_add_f64 v[131:132], v[131:132], -v[160:161]
	v_fma_f64 v[150:151], v[164:165], v[150:151], v[150:151]
	s_delay_alu instid0(VALU_DEP_1) | instskip(NEXT) | instid1(VALU_DEP_1)
	v_fma_f64 v[133:134], -v[148:149], v[150:151], 1.0
	v_fma_f64 v[133:134], v[133:134], v[150:151], v[150:151]
	s_delay_alu instid0(VALU_DEP_1) | instskip(NEXT) | instid1(VALU_DEP_1)
	v_mul_f64 v[150:151], v[162:163], v[133:134]
	v_mul_f64 v[164:165], v[148:149], v[150:151]
	s_delay_alu instid0(VALU_DEP_1) | instskip(NEXT) | instid1(VALU_DEP_1)
	v_fma_f64 v[146:147], v[150:151], v[148:149], -v[164:165]
	v_fma_f64 v[146:147], v[150:151], v[144:145], v[146:147]
	s_delay_alu instid0(VALU_DEP_1) | instskip(NEXT) | instid1(VALU_DEP_1)
	v_add_f64 v[209:210], v[164:165], v[146:147]
	v_add_f64 v[211:212], v[162:163], -v[209:210]
	v_add_f64 v[160:161], v[209:210], -v[164:165]
	s_delay_alu instid0(VALU_DEP_2) | instskip(NEXT) | instid1(VALU_DEP_2)
	v_add_f64 v[162:163], v[162:163], -v[211:212]
	v_add_f64 v[146:147], v[160:161], -v[146:147]
	s_delay_alu instid0(VALU_DEP_2) | instskip(NEXT) | instid1(VALU_DEP_1)
	v_add_f64 v[162:163], v[162:163], -v[209:210]
	v_add_f64 v[131:132], v[131:132], v[162:163]
	s_delay_alu instid0(VALU_DEP_1) | instskip(NEXT) | instid1(VALU_DEP_1)
	v_add_f64 v[131:132], v[146:147], v[131:132]
	v_add_f64 v[146:147], v[211:212], v[131:132]
	s_delay_alu instid0(VALU_DEP_1) | instskip(SKIP_1) | instid1(VALU_DEP_2)
	v_mul_f64 v[160:161], v[133:134], v[146:147]
	v_add_f64 v[209:210], v[211:212], -v[146:147]
	v_mul_f64 v[162:163], v[148:149], v[160:161]
	s_delay_alu instid0(VALU_DEP_2) | instskip(NEXT) | instid1(VALU_DEP_2)
	v_add_f64 v[131:132], v[131:132], v[209:210]
	v_fma_f64 v[148:149], v[160:161], v[148:149], -v[162:163]
	s_delay_alu instid0(VALU_DEP_1) | instskip(NEXT) | instid1(VALU_DEP_1)
	v_fma_f64 v[144:145], v[160:161], v[144:145], v[148:149]
	v_add_f64 v[148:149], v[162:163], v[144:145]
	s_delay_alu instid0(VALU_DEP_1) | instskip(SKIP_1) | instid1(VALU_DEP_2)
	v_add_f64 v[164:165], v[146:147], -v[148:149]
	v_add_f64 v[162:163], v[148:149], -v[162:163]
	;; [unrolled: 1-line block ×3, first 2 shown]
	s_delay_alu instid0(VALU_DEP_2) | instskip(NEXT) | instid1(VALU_DEP_2)
	v_add_f64 v[144:145], v[162:163], -v[144:145]
	v_add_f64 v[146:147], v[146:147], -v[148:149]
	s_delay_alu instid0(VALU_DEP_1) | instskip(SKIP_1) | instid1(VALU_DEP_2)
	v_add_f64 v[131:132], v[131:132], v[146:147]
	v_add_f64 v[146:147], v[150:151], v[160:161]
	;; [unrolled: 1-line block ×3, first 2 shown]
	s_delay_alu instid0(VALU_DEP_2) | instskip(NEXT) | instid1(VALU_DEP_2)
	v_add_f64 v[144:145], v[146:147], -v[150:151]
	v_add_f64 v[131:132], v[164:165], v[131:132]
	s_delay_alu instid0(VALU_DEP_2) | instskip(NEXT) | instid1(VALU_DEP_2)
	v_add_f64 v[144:145], v[160:161], -v[144:145]
	v_mul_f64 v[131:132], v[133:134], v[131:132]
	s_delay_alu instid0(VALU_DEP_1) | instskip(NEXT) | instid1(VALU_DEP_1)
	v_add_f64 v[131:132], v[144:145], v[131:132]
	v_add_f64 v[133:134], v[146:147], v[131:132]
	s_delay_alu instid0(VALU_DEP_1) | instskip(NEXT) | instid1(VALU_DEP_1)
	v_mul_f64 v[144:145], v[133:134], v[133:134]
	v_fma_f64 v[148:149], v[144:145], s[18:19], s[10:11]
	s_mov_b32 s10, 0xd7f4df2e
	s_mov_b32 s11, 0x3fc7474d
	v_mul_f64 v[150:151], v[133:134], v[144:145]
	s_delay_alu instid0(VALU_DEP_2)
	v_fma_f64 v[148:149], v[144:145], v[148:149], s[10:11]
	s_mov_b32 s10, 0x16291751
	s_mov_b32 s11, 0x3fcc71c0
	s_delay_alu instid0(VALU_DEP_1) | instid1(SALU_CYCLE_1)
	v_fma_f64 v[148:149], v[144:145], v[148:149], s[10:11]
	s_mov_b32 s10, 0x9b27acf1
	s_mov_b32 s11, 0x3fd24924
	s_delay_alu instid0(VALU_DEP_1) | instid1(SALU_CYCLE_1)
	;; [unrolled: 4-line block ×3, first 2 shown]
	v_fma_f64 v[148:149], v[144:145], v[148:149], s[10:11]
	s_delay_alu instid0(VALU_DEP_1) | instskip(SKIP_2) | instid1(VALU_DEP_3)
	v_fma_f64 v[144:145], v[144:145], v[148:149], s[6:7]
	v_ldexp_f64 v[148:149], v[133:134], 1
	v_add_f64 v[133:134], v[133:134], -v[146:147]
	v_mul_f64 v[144:145], v[150:151], v[144:145]
	v_cvt_f64_i32_e32 v[150:151], v166
	s_delay_alu instid0(VALU_DEP_3) | instskip(NEXT) | instid1(VALU_DEP_3)
	v_add_f64 v[131:132], v[131:132], -v[133:134]
	v_add_f64 v[146:147], v[148:149], v[144:145]
	s_delay_alu instid0(VALU_DEP_3) | instskip(NEXT) | instid1(VALU_DEP_3)
	v_mul_f64 v[160:161], v[150:151], s[2:3]
	v_ldexp_f64 v[131:132], v[131:132], 1
	s_delay_alu instid0(VALU_DEP_3) | instskip(NEXT) | instid1(VALU_DEP_3)
	v_add_f64 v[133:134], v[146:147], -v[148:149]
	v_fma_f64 v[148:149], v[150:151], s[2:3], -v[160:161]
	s_delay_alu instid0(VALU_DEP_2) | instskip(NEXT) | instid1(VALU_DEP_2)
	v_add_f64 v[133:134], v[144:145], -v[133:134]
	v_fma_f64 v[144:145], v[150:151], s[4:5], v[148:149]
	s_delay_alu instid0(VALU_DEP_2) | instskip(NEXT) | instid1(VALU_DEP_2)
	v_add_f64 v[131:132], v[131:132], v[133:134]
	v_add_f64 v[133:134], v[160:161], v[144:145]
	s_delay_alu instid0(VALU_DEP_2) | instskip(NEXT) | instid1(VALU_DEP_2)
	v_add_f64 v[148:149], v[146:147], v[131:132]
	v_add_f64 v[160:161], v[133:134], -v[160:161]
	s_delay_alu instid0(VALU_DEP_2) | instskip(SKIP_1) | instid1(VALU_DEP_3)
	v_add_f64 v[150:151], v[133:134], v[148:149]
	v_add_f64 v[146:147], v[148:149], -v[146:147]
	v_add_f64 v[144:145], v[144:145], -v[160:161]
	s_delay_alu instid0(VALU_DEP_3) | instskip(NEXT) | instid1(VALU_DEP_3)
	v_add_f64 v[162:163], v[150:151], -v[133:134]
	v_add_f64 v[131:132], v[131:132], -v[146:147]
	s_delay_alu instid0(VALU_DEP_2) | instskip(SKIP_1) | instid1(VALU_DEP_3)
	v_add_f64 v[164:165], v[150:151], -v[162:163]
	v_add_f64 v[146:147], v[148:149], -v[162:163]
	v_add_f64 v[148:149], v[144:145], v[131:132]
	s_delay_alu instid0(VALU_DEP_3) | instskip(NEXT) | instid1(VALU_DEP_1)
	v_add_f64 v[133:134], v[133:134], -v[164:165]
	v_add_f64 v[133:134], v[146:147], v[133:134]
	s_delay_alu instid0(VALU_DEP_3) | instskip(NEXT) | instid1(VALU_DEP_2)
	v_add_f64 v[146:147], v[148:149], -v[144:145]
	v_add_f64 v[133:134], v[148:149], v[133:134]
	s_delay_alu instid0(VALU_DEP_2) | instskip(SKIP_1) | instid1(VALU_DEP_3)
	v_add_f64 v[148:149], v[148:149], -v[146:147]
	v_add_f64 v[131:132], v[131:132], -v[146:147]
	v_add_f64 v[160:161], v[150:151], v[133:134]
	s_delay_alu instid0(VALU_DEP_3) | instskip(NEXT) | instid1(VALU_DEP_2)
	v_add_f64 v[144:145], v[144:145], -v[148:149]
	v_add_f64 v[146:147], v[160:161], -v[150:151]
	s_delay_alu instid0(VALU_DEP_2) | instskip(NEXT) | instid1(VALU_DEP_2)
	v_add_f64 v[131:132], v[131:132], v[144:145]
	v_add_f64 v[133:134], v[133:134], -v[146:147]
	s_delay_alu instid0(VALU_DEP_1) | instskip(NEXT) | instid1(VALU_DEP_1)
	v_add_f64 v[131:132], v[131:132], v[133:134]
	v_add_f64 v[131:132], v[160:161], v[131:132]
	s_delay_alu instid0(VALU_DEP_1) | instskip(SKIP_1) | instid1(VALU_DEP_2)
	v_dual_cndmask_b32 v131, v131, v26 :: v_dual_cndmask_b32 v132, v132, v27
	v_cmp_ngt_f64_e32 vcc_lo, -1.0, v[26:27]
	v_cndmask_b32_e32 v132, 0x7ff80000, v132, vcc_lo
	v_cmp_nge_f64_e32 vcc_lo, -1.0, v[26:27]
	s_delay_alu instid0(VALU_DEP_4) | instskip(SKIP_1) | instid1(VALU_DEP_4)
	v_cndmask_b32_e32 v131, 0, v131, vcc_lo
	v_cmp_neq_f64_e32 vcc_lo, -1.0, v[26:27]
	v_cndmask_b32_e32 v132, 0xfff00000, v132, vcc_lo
	s_delay_alu instid0(VALU_DEP_1)
	v_add_f64 v[26:27], v[28:29], v[131:132]
.LBB56_249:
	s_or_b32 exec_lo, exec_lo, s8
	s_delay_alu instid0(VALU_DEP_1) | instskip(SKIP_1) | instid1(VALU_DEP_2)
	v_max_f64 v[28:29], v[26:27], v[26:27]
	v_cmp_u_f64_e32 vcc_lo, v[26:27], v[26:27]
	v_min_f64 v[131:132], v[28:29], v[30:31]
	v_max_f64 v[28:29], v[28:29], v[30:31]
	s_delay_alu instid0(VALU_DEP_2) | instskip(NEXT) | instid1(VALU_DEP_2)
	v_dual_cndmask_b32 v30, v131, v26 :: v_dual_cndmask_b32 v31, v132, v27
	v_dual_cndmask_b32 v29, v29, v27 :: v_dual_cndmask_b32 v28, v28, v26
	s_delay_alu instid0(VALU_DEP_2) | instskip(NEXT) | instid1(VALU_DEP_3)
	v_cndmask_b32_e64 v131, v30, v68, s13
	v_cndmask_b32_e64 v132, v31, v69, s13
	s_delay_alu instid0(VALU_DEP_3) | instskip(NEXT) | instid1(VALU_DEP_4)
	v_cndmask_b32_e64 v31, v29, v69, s13
	v_cndmask_b32_e64 v30, v28, v68, s13
	v_dual_mov_b32 v29, v27 :: v_dual_mov_b32 v28, v26
	s_delay_alu instid0(VALU_DEP_4) | instskip(NEXT) | instid1(VALU_DEP_3)
	v_cmp_class_f64_e64 s1, v[131:132], 0x1f8
	v_cmp_neq_f64_e32 vcc_lo, v[131:132], v[30:31]
	s_delay_alu instid0(VALU_DEP_2) | instskip(NEXT) | instid1(SALU_CYCLE_1)
	s_or_b32 s1, vcc_lo, s1
	s_and_saveexec_b32 s8, s1
	s_cbranch_execz .LBB56_251
; %bb.250:
	v_add_f64 v[28:29], v[131:132], -v[30:31]
	s_mov_b32 s2, 0x652b82fe
	s_mov_b32 s3, 0x3ff71547
	;; [unrolled: 1-line block ×10, first 2 shown]
	s_delay_alu instid0(VALU_DEP_1) | instskip(SKIP_4) | instid1(VALU_DEP_3)
	v_mul_f64 v[131:132], v[28:29], s[2:3]
	s_mov_b32 s3, 0xbfe62e42
	s_mov_b32 s2, 0xfefa39ef
	v_cmp_nlt_f64_e32 vcc_lo, 0x40900000, v[28:29]
	v_cmp_ngt_f64_e64 s1, 0xc090cc00, v[28:29]
	v_rndne_f64_e32 v[131:132], v[131:132]
	s_delay_alu instid0(VALU_DEP_1) | instskip(SKIP_2) | instid1(VALU_DEP_2)
	v_fma_f64 v[133:134], v[131:132], s[2:3], v[28:29]
	v_cvt_i32_f64_e32 v146, v[131:132]
	s_mov_b32 s3, 0x3fe62e42
	v_fma_f64 v[133:134], v[131:132], s[4:5], v[133:134]
	s_mov_b32 s5, 0x3c7abc9e
	s_delay_alu instid0(VALU_DEP_1) | instskip(SKIP_4) | instid1(VALU_DEP_1)
	v_fma_f64 v[144:145], v[133:134], s[10:11], s[6:7]
	s_mov_b32 s6, 0x623fde64
	s_mov_b32 s7, 0x3ec71dee
	;; [unrolled: 1-line block ×4, first 2 shown]
	v_fma_f64 v[144:145], v[133:134], v[144:145], s[6:7]
	s_mov_b32 s6, 0x7c89e6b0
	s_mov_b32 s7, 0x3efa0199
	s_delay_alu instid0(VALU_DEP_1) | instid1(SALU_CYCLE_1)
	v_fma_f64 v[144:145], v[133:134], v[144:145], s[6:7]
	s_mov_b32 s6, 0x14761f6e
	s_mov_b32 s7, 0x3f2a01a0
	s_delay_alu instid0(VALU_DEP_1) | instid1(SALU_CYCLE_1)
	;; [unrolled: 4-line block ×7, first 2 shown]
	v_fma_f64 v[144:145], v[133:134], v[144:145], s[6:7]
	s_mov_b32 s7, 0x3fe55555
	s_mov_b32 s6, 0x55555555
	s_delay_alu instid0(VALU_DEP_1) | instskip(NEXT) | instid1(VALU_DEP_1)
	v_fma_f64 v[144:145], v[133:134], v[144:145], 1.0
	v_fma_f64 v[131:132], v[133:134], v[144:145], 1.0
	s_delay_alu instid0(VALU_DEP_1) | instskip(NEXT) | instid1(VALU_DEP_1)
	v_ldexp_f64 v[131:132], v[131:132], v146
	v_cndmask_b32_e32 v132, 0x7ff00000, v132, vcc_lo
	s_and_b32 vcc_lo, s1, vcc_lo
	s_delay_alu instid0(VALU_DEP_2) | instskip(NEXT) | instid1(VALU_DEP_2)
	v_cndmask_b32_e32 v28, 0, v131, vcc_lo
	v_cndmask_b32_e64 v29, 0, v132, s1
	s_delay_alu instid0(VALU_DEP_1) | instskip(NEXT) | instid1(VALU_DEP_1)
	v_add_f64 v[131:132], v[28:29], 1.0
	v_frexp_mant_f64_e32 v[133:134], v[131:132]
	v_frexp_exp_i32_f64_e32 v146, v[131:132]
	v_add_f64 v[144:145], v[131:132], -1.0
	s_delay_alu instid0(VALU_DEP_3) | instskip(SKIP_1) | instid1(VALU_DEP_2)
	v_cmp_gt_f64_e32 vcc_lo, s[6:7], v[133:134]
	s_mov_b32 s6, 0x55555780
	v_add_f64 v[133:134], v[144:145], -v[131:132]
	v_add_f64 v[144:145], v[28:29], -v[144:145]
	v_subrev_co_ci_u32_e32 v166, vcc_lo, 0, v146, vcc_lo
	s_delay_alu instid0(VALU_DEP_3) | instskip(SKIP_1) | instid1(VALU_DEP_3)
	v_add_f64 v[133:134], v[133:134], 1.0
	v_cmp_eq_f64_e32 vcc_lo, 0x7ff00000, v[28:29]
	v_sub_nc_u32_e32 v148, 0, v166
	s_delay_alu instid0(VALU_DEP_1) | instskip(NEXT) | instid1(VALU_DEP_4)
	v_ldexp_f64 v[131:132], v[131:132], v148
	v_add_f64 v[133:134], v[144:145], v[133:134]
	s_delay_alu instid0(VALU_DEP_2) | instskip(SKIP_1) | instid1(VALU_DEP_3)
	v_add_f64 v[146:147], v[131:132], 1.0
	v_add_f64 v[160:161], v[131:132], -1.0
	v_ldexp_f64 v[133:134], v[133:134], v148
	s_delay_alu instid0(VALU_DEP_3) | instskip(NEXT) | instid1(VALU_DEP_3)
	v_add_f64 v[144:145], v[146:147], -1.0
	v_add_f64 v[162:163], v[160:161], 1.0
	s_delay_alu instid0(VALU_DEP_2) | instskip(NEXT) | instid1(VALU_DEP_2)
	v_add_f64 v[144:145], v[131:132], -v[144:145]
	v_add_f64 v[131:132], v[131:132], -v[162:163]
	s_delay_alu instid0(VALU_DEP_2) | instskip(NEXT) | instid1(VALU_DEP_2)
	v_add_f64 v[144:145], v[133:134], v[144:145]
	v_add_f64 v[131:132], v[133:134], v[131:132]
	s_delay_alu instid0(VALU_DEP_2) | instskip(NEXT) | instid1(VALU_DEP_2)
	v_add_f64 v[148:149], v[146:147], v[144:145]
	v_add_f64 v[162:163], v[160:161], v[131:132]
	s_delay_alu instid0(VALU_DEP_2) | instskip(SKIP_1) | instid1(VALU_DEP_2)
	v_rcp_f64_e32 v[150:151], v[148:149]
	v_add_f64 v[146:147], v[148:149], -v[146:147]
	v_add_f64 v[160:161], v[162:163], -v[160:161]
	s_delay_alu instid0(VALU_DEP_2) | instskip(SKIP_3) | instid1(VALU_DEP_2)
	v_add_f64 v[144:145], v[144:145], -v[146:147]
	s_waitcnt_depctr 0xfff
	v_fma_f64 v[164:165], -v[148:149], v[150:151], 1.0
	v_add_f64 v[131:132], v[131:132], -v[160:161]
	v_fma_f64 v[150:151], v[164:165], v[150:151], v[150:151]
	s_delay_alu instid0(VALU_DEP_1) | instskip(NEXT) | instid1(VALU_DEP_1)
	v_fma_f64 v[133:134], -v[148:149], v[150:151], 1.0
	v_fma_f64 v[133:134], v[133:134], v[150:151], v[150:151]
	s_delay_alu instid0(VALU_DEP_1) | instskip(NEXT) | instid1(VALU_DEP_1)
	v_mul_f64 v[150:151], v[162:163], v[133:134]
	v_mul_f64 v[164:165], v[148:149], v[150:151]
	s_delay_alu instid0(VALU_DEP_1) | instskip(NEXT) | instid1(VALU_DEP_1)
	v_fma_f64 v[146:147], v[150:151], v[148:149], -v[164:165]
	v_fma_f64 v[146:147], v[150:151], v[144:145], v[146:147]
	s_delay_alu instid0(VALU_DEP_1) | instskip(NEXT) | instid1(VALU_DEP_1)
	v_add_f64 v[209:210], v[164:165], v[146:147]
	v_add_f64 v[211:212], v[162:163], -v[209:210]
	v_add_f64 v[160:161], v[209:210], -v[164:165]
	s_delay_alu instid0(VALU_DEP_2) | instskip(NEXT) | instid1(VALU_DEP_2)
	v_add_f64 v[162:163], v[162:163], -v[211:212]
	v_add_f64 v[146:147], v[160:161], -v[146:147]
	s_delay_alu instid0(VALU_DEP_2) | instskip(NEXT) | instid1(VALU_DEP_1)
	v_add_f64 v[162:163], v[162:163], -v[209:210]
	v_add_f64 v[131:132], v[131:132], v[162:163]
	s_delay_alu instid0(VALU_DEP_1) | instskip(NEXT) | instid1(VALU_DEP_1)
	v_add_f64 v[131:132], v[146:147], v[131:132]
	v_add_f64 v[146:147], v[211:212], v[131:132]
	s_delay_alu instid0(VALU_DEP_1) | instskip(SKIP_1) | instid1(VALU_DEP_2)
	v_mul_f64 v[160:161], v[133:134], v[146:147]
	v_add_f64 v[209:210], v[211:212], -v[146:147]
	v_mul_f64 v[162:163], v[148:149], v[160:161]
	s_delay_alu instid0(VALU_DEP_2) | instskip(NEXT) | instid1(VALU_DEP_2)
	v_add_f64 v[131:132], v[131:132], v[209:210]
	v_fma_f64 v[148:149], v[160:161], v[148:149], -v[162:163]
	s_delay_alu instid0(VALU_DEP_1) | instskip(NEXT) | instid1(VALU_DEP_1)
	v_fma_f64 v[144:145], v[160:161], v[144:145], v[148:149]
	v_add_f64 v[148:149], v[162:163], v[144:145]
	s_delay_alu instid0(VALU_DEP_1) | instskip(SKIP_1) | instid1(VALU_DEP_2)
	v_add_f64 v[164:165], v[146:147], -v[148:149]
	v_add_f64 v[162:163], v[148:149], -v[162:163]
	;; [unrolled: 1-line block ×3, first 2 shown]
	s_delay_alu instid0(VALU_DEP_2) | instskip(NEXT) | instid1(VALU_DEP_2)
	v_add_f64 v[144:145], v[162:163], -v[144:145]
	v_add_f64 v[146:147], v[146:147], -v[148:149]
	s_delay_alu instid0(VALU_DEP_1) | instskip(SKIP_1) | instid1(VALU_DEP_2)
	v_add_f64 v[131:132], v[131:132], v[146:147]
	v_add_f64 v[146:147], v[150:151], v[160:161]
	;; [unrolled: 1-line block ×3, first 2 shown]
	s_delay_alu instid0(VALU_DEP_2) | instskip(NEXT) | instid1(VALU_DEP_2)
	v_add_f64 v[144:145], v[146:147], -v[150:151]
	v_add_f64 v[131:132], v[164:165], v[131:132]
	s_delay_alu instid0(VALU_DEP_2) | instskip(NEXT) | instid1(VALU_DEP_2)
	v_add_f64 v[144:145], v[160:161], -v[144:145]
	v_mul_f64 v[131:132], v[133:134], v[131:132]
	s_delay_alu instid0(VALU_DEP_1) | instskip(NEXT) | instid1(VALU_DEP_1)
	v_add_f64 v[131:132], v[144:145], v[131:132]
	v_add_f64 v[133:134], v[146:147], v[131:132]
	s_delay_alu instid0(VALU_DEP_1) | instskip(NEXT) | instid1(VALU_DEP_1)
	v_mul_f64 v[144:145], v[133:134], v[133:134]
	v_fma_f64 v[148:149], v[144:145], s[12:13], s[10:11]
	s_mov_b32 s10, 0xd7f4df2e
	s_mov_b32 s11, 0x3fc7474d
	v_mul_f64 v[150:151], v[133:134], v[144:145]
	s_delay_alu instid0(VALU_DEP_2)
	v_fma_f64 v[148:149], v[144:145], v[148:149], s[10:11]
	s_mov_b32 s10, 0x16291751
	s_mov_b32 s11, 0x3fcc71c0
	s_delay_alu instid0(VALU_DEP_1) | instid1(SALU_CYCLE_1)
	v_fma_f64 v[148:149], v[144:145], v[148:149], s[10:11]
	s_mov_b32 s10, 0x9b27acf1
	s_mov_b32 s11, 0x3fd24924
	s_delay_alu instid0(VALU_DEP_1) | instid1(SALU_CYCLE_1)
	;; [unrolled: 4-line block ×3, first 2 shown]
	v_fma_f64 v[148:149], v[144:145], v[148:149], s[10:11]
	s_delay_alu instid0(VALU_DEP_1) | instskip(SKIP_2) | instid1(VALU_DEP_3)
	v_fma_f64 v[144:145], v[144:145], v[148:149], s[6:7]
	v_ldexp_f64 v[148:149], v[133:134], 1
	v_add_f64 v[133:134], v[133:134], -v[146:147]
	v_mul_f64 v[144:145], v[150:151], v[144:145]
	v_cvt_f64_i32_e32 v[150:151], v166
	s_delay_alu instid0(VALU_DEP_3) | instskip(NEXT) | instid1(VALU_DEP_3)
	v_add_f64 v[131:132], v[131:132], -v[133:134]
	v_add_f64 v[146:147], v[148:149], v[144:145]
	s_delay_alu instid0(VALU_DEP_3) | instskip(NEXT) | instid1(VALU_DEP_3)
	v_mul_f64 v[160:161], v[150:151], s[2:3]
	v_ldexp_f64 v[131:132], v[131:132], 1
	s_delay_alu instid0(VALU_DEP_3) | instskip(NEXT) | instid1(VALU_DEP_3)
	v_add_f64 v[133:134], v[146:147], -v[148:149]
	v_fma_f64 v[148:149], v[150:151], s[2:3], -v[160:161]
	s_delay_alu instid0(VALU_DEP_2) | instskip(NEXT) | instid1(VALU_DEP_2)
	v_add_f64 v[133:134], v[144:145], -v[133:134]
	v_fma_f64 v[144:145], v[150:151], s[4:5], v[148:149]
	s_delay_alu instid0(VALU_DEP_2) | instskip(NEXT) | instid1(VALU_DEP_2)
	v_add_f64 v[131:132], v[131:132], v[133:134]
	v_add_f64 v[133:134], v[160:161], v[144:145]
	s_delay_alu instid0(VALU_DEP_2) | instskip(NEXT) | instid1(VALU_DEP_2)
	v_add_f64 v[148:149], v[146:147], v[131:132]
	v_add_f64 v[160:161], v[133:134], -v[160:161]
	s_delay_alu instid0(VALU_DEP_2) | instskip(SKIP_1) | instid1(VALU_DEP_3)
	v_add_f64 v[150:151], v[133:134], v[148:149]
	v_add_f64 v[146:147], v[148:149], -v[146:147]
	v_add_f64 v[144:145], v[144:145], -v[160:161]
	s_delay_alu instid0(VALU_DEP_3) | instskip(NEXT) | instid1(VALU_DEP_3)
	v_add_f64 v[162:163], v[150:151], -v[133:134]
	v_add_f64 v[131:132], v[131:132], -v[146:147]
	s_delay_alu instid0(VALU_DEP_2) | instskip(SKIP_1) | instid1(VALU_DEP_3)
	v_add_f64 v[164:165], v[150:151], -v[162:163]
	v_add_f64 v[146:147], v[148:149], -v[162:163]
	v_add_f64 v[148:149], v[144:145], v[131:132]
	s_delay_alu instid0(VALU_DEP_3) | instskip(NEXT) | instid1(VALU_DEP_1)
	v_add_f64 v[133:134], v[133:134], -v[164:165]
	v_add_f64 v[133:134], v[146:147], v[133:134]
	s_delay_alu instid0(VALU_DEP_3) | instskip(NEXT) | instid1(VALU_DEP_2)
	v_add_f64 v[146:147], v[148:149], -v[144:145]
	v_add_f64 v[133:134], v[148:149], v[133:134]
	s_delay_alu instid0(VALU_DEP_2) | instskip(SKIP_1) | instid1(VALU_DEP_3)
	v_add_f64 v[148:149], v[148:149], -v[146:147]
	v_add_f64 v[131:132], v[131:132], -v[146:147]
	v_add_f64 v[160:161], v[150:151], v[133:134]
	s_delay_alu instid0(VALU_DEP_3) | instskip(NEXT) | instid1(VALU_DEP_2)
	v_add_f64 v[144:145], v[144:145], -v[148:149]
	v_add_f64 v[146:147], v[160:161], -v[150:151]
	s_delay_alu instid0(VALU_DEP_2) | instskip(NEXT) | instid1(VALU_DEP_2)
	v_add_f64 v[131:132], v[131:132], v[144:145]
	v_add_f64 v[133:134], v[133:134], -v[146:147]
	s_delay_alu instid0(VALU_DEP_1) | instskip(NEXT) | instid1(VALU_DEP_1)
	v_add_f64 v[131:132], v[131:132], v[133:134]
	v_add_f64 v[131:132], v[160:161], v[131:132]
	s_delay_alu instid0(VALU_DEP_1) | instskip(SKIP_1) | instid1(VALU_DEP_2)
	v_dual_cndmask_b32 v131, v131, v28 :: v_dual_cndmask_b32 v132, v132, v29
	v_cmp_ngt_f64_e32 vcc_lo, -1.0, v[28:29]
	v_cndmask_b32_e32 v132, 0x7ff80000, v132, vcc_lo
	v_cmp_nge_f64_e32 vcc_lo, -1.0, v[28:29]
	s_delay_alu instid0(VALU_DEP_4) | instskip(SKIP_1) | instid1(VALU_DEP_4)
	v_cndmask_b32_e32 v131, 0, v131, vcc_lo
	v_cmp_neq_f64_e32 vcc_lo, -1.0, v[28:29]
	v_cndmask_b32_e32 v132, 0xfff00000, v132, vcc_lo
	s_delay_alu instid0(VALU_DEP_1)
	v_add_f64 v[28:29], v[30:31], v[131:132]
.LBB56_251:
	s_or_b32 exec_lo, exec_lo, s8
	s_delay_alu instid0(VALU_DEP_1) | instskip(SKIP_1) | instid1(VALU_DEP_2)
	v_max_f64 v[30:31], v[28:29], v[28:29]
	v_cmp_u_f64_e32 vcc_lo, v[28:29], v[28:29]
	v_min_f64 v[131:132], v[30:31], v[32:33]
	v_max_f64 v[30:31], v[30:31], v[32:33]
	s_delay_alu instid0(VALU_DEP_2) | instskip(NEXT) | instid1(VALU_DEP_2)
	v_dual_cndmask_b32 v32, v131, v28 :: v_dual_cndmask_b32 v33, v132, v29
	v_dual_cndmask_b32 v31, v31, v29 :: v_dual_cndmask_b32 v30, v30, v28
	s_delay_alu instid0(VALU_DEP_2) | instskip(NEXT) | instid1(VALU_DEP_3)
	v_cndmask_b32_e64 v131, v32, v70, s14
	v_cndmask_b32_e64 v132, v33, v71, s14
	s_delay_alu instid0(VALU_DEP_3) | instskip(NEXT) | instid1(VALU_DEP_4)
	v_cndmask_b32_e64 v33, v31, v71, s14
	v_cndmask_b32_e64 v32, v30, v70, s14
	v_dual_mov_b32 v31, v29 :: v_dual_mov_b32 v30, v28
	s_delay_alu instid0(VALU_DEP_4) | instskip(NEXT) | instid1(VALU_DEP_3)
	v_cmp_class_f64_e64 s1, v[131:132], 0x1f8
	v_cmp_neq_f64_e32 vcc_lo, v[131:132], v[32:33]
	s_delay_alu instid0(VALU_DEP_2) | instskip(NEXT) | instid1(SALU_CYCLE_1)
	s_or_b32 s1, vcc_lo, s1
	s_and_saveexec_b32 s8, s1
	s_cbranch_execz .LBB56_253
; %bb.252:
	v_add_f64 v[30:31], v[131:132], -v[32:33]
	s_mov_b32 s2, 0x652b82fe
	s_mov_b32 s3, 0x3ff71547
	;; [unrolled: 1-line block ×10, first 2 shown]
	s_delay_alu instid0(VALU_DEP_1) | instskip(SKIP_4) | instid1(VALU_DEP_3)
	v_mul_f64 v[131:132], v[30:31], s[2:3]
	s_mov_b32 s3, 0xbfe62e42
	s_mov_b32 s2, 0xfefa39ef
	v_cmp_nlt_f64_e32 vcc_lo, 0x40900000, v[30:31]
	v_cmp_ngt_f64_e64 s1, 0xc090cc00, v[30:31]
	v_rndne_f64_e32 v[131:132], v[131:132]
	s_delay_alu instid0(VALU_DEP_1) | instskip(SKIP_2) | instid1(VALU_DEP_2)
	v_fma_f64 v[133:134], v[131:132], s[2:3], v[30:31]
	v_cvt_i32_f64_e32 v146, v[131:132]
	s_mov_b32 s3, 0x3fe62e42
	v_fma_f64 v[133:134], v[131:132], s[4:5], v[133:134]
	s_mov_b32 s5, 0x3c7abc9e
	s_delay_alu instid0(VALU_DEP_1) | instskip(SKIP_4) | instid1(VALU_DEP_1)
	v_fma_f64 v[144:145], v[133:134], s[10:11], s[6:7]
	s_mov_b32 s6, 0x623fde64
	s_mov_b32 s7, 0x3ec71dee
	;; [unrolled: 1-line block ×4, first 2 shown]
	v_fma_f64 v[144:145], v[133:134], v[144:145], s[6:7]
	s_mov_b32 s6, 0x7c89e6b0
	s_mov_b32 s7, 0x3efa0199
	s_delay_alu instid0(VALU_DEP_1) | instid1(SALU_CYCLE_1)
	v_fma_f64 v[144:145], v[133:134], v[144:145], s[6:7]
	s_mov_b32 s6, 0x14761f6e
	s_mov_b32 s7, 0x3f2a01a0
	s_delay_alu instid0(VALU_DEP_1) | instid1(SALU_CYCLE_1)
	;; [unrolled: 4-line block ×7, first 2 shown]
	v_fma_f64 v[144:145], v[133:134], v[144:145], s[6:7]
	s_mov_b32 s7, 0x3fe55555
	s_mov_b32 s6, 0x55555555
	s_delay_alu instid0(VALU_DEP_1) | instskip(NEXT) | instid1(VALU_DEP_1)
	v_fma_f64 v[144:145], v[133:134], v[144:145], 1.0
	v_fma_f64 v[131:132], v[133:134], v[144:145], 1.0
	s_delay_alu instid0(VALU_DEP_1) | instskip(NEXT) | instid1(VALU_DEP_1)
	v_ldexp_f64 v[131:132], v[131:132], v146
	v_cndmask_b32_e32 v132, 0x7ff00000, v132, vcc_lo
	s_and_b32 vcc_lo, s1, vcc_lo
	s_delay_alu instid0(VALU_DEP_2) | instskip(NEXT) | instid1(VALU_DEP_2)
	v_cndmask_b32_e32 v30, 0, v131, vcc_lo
	v_cndmask_b32_e64 v31, 0, v132, s1
	s_delay_alu instid0(VALU_DEP_1) | instskip(NEXT) | instid1(VALU_DEP_1)
	v_add_f64 v[131:132], v[30:31], 1.0
	v_frexp_mant_f64_e32 v[133:134], v[131:132]
	v_frexp_exp_i32_f64_e32 v146, v[131:132]
	v_add_f64 v[144:145], v[131:132], -1.0
	s_delay_alu instid0(VALU_DEP_3) | instskip(SKIP_1) | instid1(VALU_DEP_2)
	v_cmp_gt_f64_e32 vcc_lo, s[6:7], v[133:134]
	s_mov_b32 s6, 0x55555780
	v_add_f64 v[133:134], v[144:145], -v[131:132]
	v_add_f64 v[144:145], v[30:31], -v[144:145]
	v_subrev_co_ci_u32_e32 v166, vcc_lo, 0, v146, vcc_lo
	s_delay_alu instid0(VALU_DEP_3) | instskip(SKIP_1) | instid1(VALU_DEP_3)
	v_add_f64 v[133:134], v[133:134], 1.0
	v_cmp_eq_f64_e32 vcc_lo, 0x7ff00000, v[30:31]
	v_sub_nc_u32_e32 v148, 0, v166
	s_delay_alu instid0(VALU_DEP_1) | instskip(NEXT) | instid1(VALU_DEP_4)
	v_ldexp_f64 v[131:132], v[131:132], v148
	v_add_f64 v[133:134], v[144:145], v[133:134]
	s_delay_alu instid0(VALU_DEP_2) | instskip(SKIP_1) | instid1(VALU_DEP_3)
	v_add_f64 v[146:147], v[131:132], 1.0
	v_add_f64 v[160:161], v[131:132], -1.0
	v_ldexp_f64 v[133:134], v[133:134], v148
	s_delay_alu instid0(VALU_DEP_3) | instskip(NEXT) | instid1(VALU_DEP_3)
	v_add_f64 v[144:145], v[146:147], -1.0
	v_add_f64 v[162:163], v[160:161], 1.0
	s_delay_alu instid0(VALU_DEP_2) | instskip(NEXT) | instid1(VALU_DEP_2)
	v_add_f64 v[144:145], v[131:132], -v[144:145]
	v_add_f64 v[131:132], v[131:132], -v[162:163]
	s_delay_alu instid0(VALU_DEP_2) | instskip(NEXT) | instid1(VALU_DEP_2)
	v_add_f64 v[144:145], v[133:134], v[144:145]
	v_add_f64 v[131:132], v[133:134], v[131:132]
	s_delay_alu instid0(VALU_DEP_2) | instskip(NEXT) | instid1(VALU_DEP_2)
	v_add_f64 v[148:149], v[146:147], v[144:145]
	v_add_f64 v[162:163], v[160:161], v[131:132]
	s_delay_alu instid0(VALU_DEP_2) | instskip(SKIP_1) | instid1(VALU_DEP_2)
	v_rcp_f64_e32 v[150:151], v[148:149]
	v_add_f64 v[146:147], v[148:149], -v[146:147]
	v_add_f64 v[160:161], v[162:163], -v[160:161]
	s_delay_alu instid0(VALU_DEP_2) | instskip(SKIP_3) | instid1(VALU_DEP_2)
	v_add_f64 v[144:145], v[144:145], -v[146:147]
	s_waitcnt_depctr 0xfff
	v_fma_f64 v[164:165], -v[148:149], v[150:151], 1.0
	v_add_f64 v[131:132], v[131:132], -v[160:161]
	v_fma_f64 v[150:151], v[164:165], v[150:151], v[150:151]
	s_delay_alu instid0(VALU_DEP_1) | instskip(NEXT) | instid1(VALU_DEP_1)
	v_fma_f64 v[133:134], -v[148:149], v[150:151], 1.0
	v_fma_f64 v[133:134], v[133:134], v[150:151], v[150:151]
	s_delay_alu instid0(VALU_DEP_1) | instskip(NEXT) | instid1(VALU_DEP_1)
	v_mul_f64 v[150:151], v[162:163], v[133:134]
	v_mul_f64 v[164:165], v[148:149], v[150:151]
	s_delay_alu instid0(VALU_DEP_1) | instskip(NEXT) | instid1(VALU_DEP_1)
	v_fma_f64 v[146:147], v[150:151], v[148:149], -v[164:165]
	v_fma_f64 v[146:147], v[150:151], v[144:145], v[146:147]
	s_delay_alu instid0(VALU_DEP_1) | instskip(NEXT) | instid1(VALU_DEP_1)
	v_add_f64 v[209:210], v[164:165], v[146:147]
	v_add_f64 v[211:212], v[162:163], -v[209:210]
	v_add_f64 v[160:161], v[209:210], -v[164:165]
	s_delay_alu instid0(VALU_DEP_2) | instskip(NEXT) | instid1(VALU_DEP_2)
	v_add_f64 v[162:163], v[162:163], -v[211:212]
	v_add_f64 v[146:147], v[160:161], -v[146:147]
	s_delay_alu instid0(VALU_DEP_2) | instskip(NEXT) | instid1(VALU_DEP_1)
	v_add_f64 v[162:163], v[162:163], -v[209:210]
	v_add_f64 v[131:132], v[131:132], v[162:163]
	s_delay_alu instid0(VALU_DEP_1) | instskip(NEXT) | instid1(VALU_DEP_1)
	v_add_f64 v[131:132], v[146:147], v[131:132]
	v_add_f64 v[146:147], v[211:212], v[131:132]
	s_delay_alu instid0(VALU_DEP_1) | instskip(SKIP_1) | instid1(VALU_DEP_2)
	v_mul_f64 v[160:161], v[133:134], v[146:147]
	v_add_f64 v[209:210], v[211:212], -v[146:147]
	v_mul_f64 v[162:163], v[148:149], v[160:161]
	s_delay_alu instid0(VALU_DEP_2) | instskip(NEXT) | instid1(VALU_DEP_2)
	v_add_f64 v[131:132], v[131:132], v[209:210]
	v_fma_f64 v[148:149], v[160:161], v[148:149], -v[162:163]
	s_delay_alu instid0(VALU_DEP_1) | instskip(NEXT) | instid1(VALU_DEP_1)
	v_fma_f64 v[144:145], v[160:161], v[144:145], v[148:149]
	v_add_f64 v[148:149], v[162:163], v[144:145]
	s_delay_alu instid0(VALU_DEP_1) | instskip(SKIP_1) | instid1(VALU_DEP_2)
	v_add_f64 v[164:165], v[146:147], -v[148:149]
	v_add_f64 v[162:163], v[148:149], -v[162:163]
	;; [unrolled: 1-line block ×3, first 2 shown]
	s_delay_alu instid0(VALU_DEP_2) | instskip(NEXT) | instid1(VALU_DEP_2)
	v_add_f64 v[144:145], v[162:163], -v[144:145]
	v_add_f64 v[146:147], v[146:147], -v[148:149]
	s_delay_alu instid0(VALU_DEP_1) | instskip(SKIP_1) | instid1(VALU_DEP_2)
	v_add_f64 v[131:132], v[131:132], v[146:147]
	v_add_f64 v[146:147], v[150:151], v[160:161]
	;; [unrolled: 1-line block ×3, first 2 shown]
	s_delay_alu instid0(VALU_DEP_2) | instskip(NEXT) | instid1(VALU_DEP_2)
	v_add_f64 v[144:145], v[146:147], -v[150:151]
	v_add_f64 v[131:132], v[164:165], v[131:132]
	s_delay_alu instid0(VALU_DEP_2) | instskip(NEXT) | instid1(VALU_DEP_2)
	v_add_f64 v[144:145], v[160:161], -v[144:145]
	v_mul_f64 v[131:132], v[133:134], v[131:132]
	s_delay_alu instid0(VALU_DEP_1) | instskip(NEXT) | instid1(VALU_DEP_1)
	v_add_f64 v[131:132], v[144:145], v[131:132]
	v_add_f64 v[133:134], v[146:147], v[131:132]
	s_delay_alu instid0(VALU_DEP_1) | instskip(NEXT) | instid1(VALU_DEP_1)
	v_mul_f64 v[144:145], v[133:134], v[133:134]
	v_fma_f64 v[148:149], v[144:145], s[12:13], s[10:11]
	s_mov_b32 s10, 0xd7f4df2e
	s_mov_b32 s11, 0x3fc7474d
	v_mul_f64 v[150:151], v[133:134], v[144:145]
	s_delay_alu instid0(VALU_DEP_2)
	v_fma_f64 v[148:149], v[144:145], v[148:149], s[10:11]
	s_mov_b32 s10, 0x16291751
	s_mov_b32 s11, 0x3fcc71c0
	s_delay_alu instid0(VALU_DEP_1) | instid1(SALU_CYCLE_1)
	v_fma_f64 v[148:149], v[144:145], v[148:149], s[10:11]
	s_mov_b32 s10, 0x9b27acf1
	s_mov_b32 s11, 0x3fd24924
	s_delay_alu instid0(VALU_DEP_1) | instid1(SALU_CYCLE_1)
	;; [unrolled: 4-line block ×3, first 2 shown]
	v_fma_f64 v[148:149], v[144:145], v[148:149], s[10:11]
	s_delay_alu instid0(VALU_DEP_1) | instskip(SKIP_2) | instid1(VALU_DEP_3)
	v_fma_f64 v[144:145], v[144:145], v[148:149], s[6:7]
	v_ldexp_f64 v[148:149], v[133:134], 1
	v_add_f64 v[133:134], v[133:134], -v[146:147]
	v_mul_f64 v[144:145], v[150:151], v[144:145]
	v_cvt_f64_i32_e32 v[150:151], v166
	s_delay_alu instid0(VALU_DEP_3) | instskip(NEXT) | instid1(VALU_DEP_3)
	v_add_f64 v[131:132], v[131:132], -v[133:134]
	v_add_f64 v[146:147], v[148:149], v[144:145]
	s_delay_alu instid0(VALU_DEP_3) | instskip(NEXT) | instid1(VALU_DEP_3)
	v_mul_f64 v[160:161], v[150:151], s[2:3]
	v_ldexp_f64 v[131:132], v[131:132], 1
	s_delay_alu instid0(VALU_DEP_3) | instskip(NEXT) | instid1(VALU_DEP_3)
	v_add_f64 v[133:134], v[146:147], -v[148:149]
	v_fma_f64 v[148:149], v[150:151], s[2:3], -v[160:161]
	s_delay_alu instid0(VALU_DEP_2) | instskip(NEXT) | instid1(VALU_DEP_2)
	v_add_f64 v[133:134], v[144:145], -v[133:134]
	v_fma_f64 v[144:145], v[150:151], s[4:5], v[148:149]
	s_delay_alu instid0(VALU_DEP_2) | instskip(NEXT) | instid1(VALU_DEP_2)
	v_add_f64 v[131:132], v[131:132], v[133:134]
	v_add_f64 v[133:134], v[160:161], v[144:145]
	s_delay_alu instid0(VALU_DEP_2) | instskip(NEXT) | instid1(VALU_DEP_2)
	v_add_f64 v[148:149], v[146:147], v[131:132]
	v_add_f64 v[160:161], v[133:134], -v[160:161]
	s_delay_alu instid0(VALU_DEP_2) | instskip(SKIP_1) | instid1(VALU_DEP_3)
	v_add_f64 v[150:151], v[133:134], v[148:149]
	v_add_f64 v[146:147], v[148:149], -v[146:147]
	v_add_f64 v[144:145], v[144:145], -v[160:161]
	s_delay_alu instid0(VALU_DEP_3) | instskip(NEXT) | instid1(VALU_DEP_3)
	v_add_f64 v[162:163], v[150:151], -v[133:134]
	v_add_f64 v[131:132], v[131:132], -v[146:147]
	s_delay_alu instid0(VALU_DEP_2) | instskip(SKIP_1) | instid1(VALU_DEP_3)
	v_add_f64 v[164:165], v[150:151], -v[162:163]
	v_add_f64 v[146:147], v[148:149], -v[162:163]
	v_add_f64 v[148:149], v[144:145], v[131:132]
	s_delay_alu instid0(VALU_DEP_3) | instskip(NEXT) | instid1(VALU_DEP_1)
	v_add_f64 v[133:134], v[133:134], -v[164:165]
	v_add_f64 v[133:134], v[146:147], v[133:134]
	s_delay_alu instid0(VALU_DEP_3) | instskip(NEXT) | instid1(VALU_DEP_2)
	v_add_f64 v[146:147], v[148:149], -v[144:145]
	v_add_f64 v[133:134], v[148:149], v[133:134]
	s_delay_alu instid0(VALU_DEP_2) | instskip(SKIP_1) | instid1(VALU_DEP_3)
	v_add_f64 v[148:149], v[148:149], -v[146:147]
	v_add_f64 v[131:132], v[131:132], -v[146:147]
	v_add_f64 v[160:161], v[150:151], v[133:134]
	s_delay_alu instid0(VALU_DEP_3) | instskip(NEXT) | instid1(VALU_DEP_2)
	v_add_f64 v[144:145], v[144:145], -v[148:149]
	v_add_f64 v[146:147], v[160:161], -v[150:151]
	s_delay_alu instid0(VALU_DEP_2) | instskip(NEXT) | instid1(VALU_DEP_2)
	v_add_f64 v[131:132], v[131:132], v[144:145]
	v_add_f64 v[133:134], v[133:134], -v[146:147]
	s_delay_alu instid0(VALU_DEP_1) | instskip(NEXT) | instid1(VALU_DEP_1)
	v_add_f64 v[131:132], v[131:132], v[133:134]
	v_add_f64 v[131:132], v[160:161], v[131:132]
	s_delay_alu instid0(VALU_DEP_1) | instskip(SKIP_1) | instid1(VALU_DEP_2)
	v_dual_cndmask_b32 v131, v131, v30 :: v_dual_cndmask_b32 v132, v132, v31
	v_cmp_ngt_f64_e32 vcc_lo, -1.0, v[30:31]
	v_cndmask_b32_e32 v132, 0x7ff80000, v132, vcc_lo
	v_cmp_nge_f64_e32 vcc_lo, -1.0, v[30:31]
	s_delay_alu instid0(VALU_DEP_4) | instskip(SKIP_1) | instid1(VALU_DEP_4)
	v_cndmask_b32_e32 v131, 0, v131, vcc_lo
	v_cmp_neq_f64_e32 vcc_lo, -1.0, v[30:31]
	v_cndmask_b32_e32 v132, 0xfff00000, v132, vcc_lo
	s_delay_alu instid0(VALU_DEP_1)
	v_add_f64 v[30:31], v[32:33], v[131:132]
.LBB56_253:
	s_or_b32 exec_lo, exec_lo, s8
	s_delay_alu instid0(VALU_DEP_1) | instskip(SKIP_1) | instid1(VALU_DEP_2)
	v_max_f64 v[32:33], v[30:31], v[30:31]
	v_cmp_u_f64_e32 vcc_lo, v[30:31], v[30:31]
	v_min_f64 v[131:132], v[32:33], v[34:35]
	v_max_f64 v[32:33], v[32:33], v[34:35]
	s_delay_alu instid0(VALU_DEP_2) | instskip(NEXT) | instid1(VALU_DEP_2)
	v_dual_cndmask_b32 v34, v131, v30 :: v_dual_cndmask_b32 v35, v132, v31
	v_dual_cndmask_b32 v33, v33, v31 :: v_dual_cndmask_b32 v32, v32, v30
	s_delay_alu instid0(VALU_DEP_2) | instskip(NEXT) | instid1(VALU_DEP_3)
	v_cndmask_b32_e64 v131, v34, v64, s15
	v_cndmask_b32_e64 v132, v35, v65, s15
	s_delay_alu instid0(VALU_DEP_3) | instskip(NEXT) | instid1(VALU_DEP_4)
	v_cndmask_b32_e64 v35, v33, v65, s15
	v_cndmask_b32_e64 v34, v32, v64, s15
	v_dual_mov_b32 v33, v31 :: v_dual_mov_b32 v32, v30
	s_delay_alu instid0(VALU_DEP_4) | instskip(NEXT) | instid1(VALU_DEP_3)
	v_cmp_class_f64_e64 s1, v[131:132], 0x1f8
	v_cmp_neq_f64_e32 vcc_lo, v[131:132], v[34:35]
	s_delay_alu instid0(VALU_DEP_2) | instskip(NEXT) | instid1(SALU_CYCLE_1)
	s_or_b32 s1, vcc_lo, s1
	s_and_saveexec_b32 s8, s1
	s_cbranch_execz .LBB56_255
; %bb.254:
	v_add_f64 v[32:33], v[131:132], -v[34:35]
	s_mov_b32 s2, 0x652b82fe
	s_mov_b32 s3, 0x3ff71547
	;; [unrolled: 1-line block ×10, first 2 shown]
	s_delay_alu instid0(VALU_DEP_1) | instskip(SKIP_4) | instid1(VALU_DEP_3)
	v_mul_f64 v[131:132], v[32:33], s[2:3]
	s_mov_b32 s3, 0xbfe62e42
	s_mov_b32 s2, 0xfefa39ef
	v_cmp_nlt_f64_e32 vcc_lo, 0x40900000, v[32:33]
	v_cmp_ngt_f64_e64 s1, 0xc090cc00, v[32:33]
	v_rndne_f64_e32 v[131:132], v[131:132]
	s_delay_alu instid0(VALU_DEP_1) | instskip(SKIP_2) | instid1(VALU_DEP_2)
	v_fma_f64 v[133:134], v[131:132], s[2:3], v[32:33]
	v_cvt_i32_f64_e32 v146, v[131:132]
	s_mov_b32 s3, 0x3fe62e42
	v_fma_f64 v[133:134], v[131:132], s[4:5], v[133:134]
	s_mov_b32 s5, 0x3c7abc9e
	s_delay_alu instid0(VALU_DEP_1) | instskip(SKIP_4) | instid1(VALU_DEP_1)
	v_fma_f64 v[144:145], v[133:134], s[10:11], s[6:7]
	s_mov_b32 s6, 0x623fde64
	s_mov_b32 s7, 0x3ec71dee
	;; [unrolled: 1-line block ×4, first 2 shown]
	v_fma_f64 v[144:145], v[133:134], v[144:145], s[6:7]
	s_mov_b32 s6, 0x7c89e6b0
	s_mov_b32 s7, 0x3efa0199
	s_delay_alu instid0(VALU_DEP_1) | instid1(SALU_CYCLE_1)
	v_fma_f64 v[144:145], v[133:134], v[144:145], s[6:7]
	s_mov_b32 s6, 0x14761f6e
	s_mov_b32 s7, 0x3f2a01a0
	s_delay_alu instid0(VALU_DEP_1) | instid1(SALU_CYCLE_1)
	;; [unrolled: 4-line block ×7, first 2 shown]
	v_fma_f64 v[144:145], v[133:134], v[144:145], s[6:7]
	s_mov_b32 s7, 0x3fe55555
	s_mov_b32 s6, 0x55555555
	s_delay_alu instid0(VALU_DEP_1) | instskip(NEXT) | instid1(VALU_DEP_1)
	v_fma_f64 v[144:145], v[133:134], v[144:145], 1.0
	v_fma_f64 v[131:132], v[133:134], v[144:145], 1.0
	s_delay_alu instid0(VALU_DEP_1) | instskip(NEXT) | instid1(VALU_DEP_1)
	v_ldexp_f64 v[131:132], v[131:132], v146
	v_cndmask_b32_e32 v132, 0x7ff00000, v132, vcc_lo
	s_and_b32 vcc_lo, s1, vcc_lo
	s_delay_alu instid0(VALU_DEP_2) | instskip(NEXT) | instid1(VALU_DEP_2)
	v_cndmask_b32_e32 v32, 0, v131, vcc_lo
	v_cndmask_b32_e64 v33, 0, v132, s1
	s_delay_alu instid0(VALU_DEP_1) | instskip(NEXT) | instid1(VALU_DEP_1)
	v_add_f64 v[131:132], v[32:33], 1.0
	v_frexp_mant_f64_e32 v[133:134], v[131:132]
	v_frexp_exp_i32_f64_e32 v146, v[131:132]
	v_add_f64 v[144:145], v[131:132], -1.0
	s_delay_alu instid0(VALU_DEP_3) | instskip(SKIP_1) | instid1(VALU_DEP_2)
	v_cmp_gt_f64_e32 vcc_lo, s[6:7], v[133:134]
	s_mov_b32 s6, 0x55555780
	v_add_f64 v[133:134], v[144:145], -v[131:132]
	v_add_f64 v[144:145], v[32:33], -v[144:145]
	v_subrev_co_ci_u32_e32 v166, vcc_lo, 0, v146, vcc_lo
	s_delay_alu instid0(VALU_DEP_3) | instskip(SKIP_1) | instid1(VALU_DEP_3)
	v_add_f64 v[133:134], v[133:134], 1.0
	v_cmp_eq_f64_e32 vcc_lo, 0x7ff00000, v[32:33]
	v_sub_nc_u32_e32 v148, 0, v166
	s_delay_alu instid0(VALU_DEP_1) | instskip(NEXT) | instid1(VALU_DEP_4)
	v_ldexp_f64 v[131:132], v[131:132], v148
	v_add_f64 v[133:134], v[144:145], v[133:134]
	s_delay_alu instid0(VALU_DEP_2) | instskip(SKIP_1) | instid1(VALU_DEP_3)
	v_add_f64 v[146:147], v[131:132], 1.0
	v_add_f64 v[160:161], v[131:132], -1.0
	v_ldexp_f64 v[133:134], v[133:134], v148
	s_delay_alu instid0(VALU_DEP_3) | instskip(NEXT) | instid1(VALU_DEP_3)
	v_add_f64 v[144:145], v[146:147], -1.0
	v_add_f64 v[162:163], v[160:161], 1.0
	s_delay_alu instid0(VALU_DEP_2) | instskip(NEXT) | instid1(VALU_DEP_2)
	v_add_f64 v[144:145], v[131:132], -v[144:145]
	v_add_f64 v[131:132], v[131:132], -v[162:163]
	s_delay_alu instid0(VALU_DEP_2) | instskip(NEXT) | instid1(VALU_DEP_2)
	v_add_f64 v[144:145], v[133:134], v[144:145]
	v_add_f64 v[131:132], v[133:134], v[131:132]
	s_delay_alu instid0(VALU_DEP_2) | instskip(NEXT) | instid1(VALU_DEP_2)
	v_add_f64 v[148:149], v[146:147], v[144:145]
	v_add_f64 v[162:163], v[160:161], v[131:132]
	s_delay_alu instid0(VALU_DEP_2) | instskip(SKIP_1) | instid1(VALU_DEP_2)
	v_rcp_f64_e32 v[150:151], v[148:149]
	v_add_f64 v[146:147], v[148:149], -v[146:147]
	v_add_f64 v[160:161], v[162:163], -v[160:161]
	s_delay_alu instid0(VALU_DEP_2) | instskip(SKIP_3) | instid1(VALU_DEP_2)
	v_add_f64 v[144:145], v[144:145], -v[146:147]
	s_waitcnt_depctr 0xfff
	v_fma_f64 v[164:165], -v[148:149], v[150:151], 1.0
	v_add_f64 v[131:132], v[131:132], -v[160:161]
	v_fma_f64 v[150:151], v[164:165], v[150:151], v[150:151]
	s_delay_alu instid0(VALU_DEP_1) | instskip(NEXT) | instid1(VALU_DEP_1)
	v_fma_f64 v[133:134], -v[148:149], v[150:151], 1.0
	v_fma_f64 v[133:134], v[133:134], v[150:151], v[150:151]
	s_delay_alu instid0(VALU_DEP_1) | instskip(NEXT) | instid1(VALU_DEP_1)
	v_mul_f64 v[150:151], v[162:163], v[133:134]
	v_mul_f64 v[164:165], v[148:149], v[150:151]
	s_delay_alu instid0(VALU_DEP_1) | instskip(NEXT) | instid1(VALU_DEP_1)
	v_fma_f64 v[146:147], v[150:151], v[148:149], -v[164:165]
	v_fma_f64 v[146:147], v[150:151], v[144:145], v[146:147]
	s_delay_alu instid0(VALU_DEP_1) | instskip(NEXT) | instid1(VALU_DEP_1)
	v_add_f64 v[209:210], v[164:165], v[146:147]
	v_add_f64 v[211:212], v[162:163], -v[209:210]
	v_add_f64 v[160:161], v[209:210], -v[164:165]
	s_delay_alu instid0(VALU_DEP_2) | instskip(NEXT) | instid1(VALU_DEP_2)
	v_add_f64 v[162:163], v[162:163], -v[211:212]
	v_add_f64 v[146:147], v[160:161], -v[146:147]
	s_delay_alu instid0(VALU_DEP_2) | instskip(NEXT) | instid1(VALU_DEP_1)
	v_add_f64 v[162:163], v[162:163], -v[209:210]
	v_add_f64 v[131:132], v[131:132], v[162:163]
	s_delay_alu instid0(VALU_DEP_1) | instskip(NEXT) | instid1(VALU_DEP_1)
	v_add_f64 v[131:132], v[146:147], v[131:132]
	v_add_f64 v[146:147], v[211:212], v[131:132]
	s_delay_alu instid0(VALU_DEP_1) | instskip(SKIP_1) | instid1(VALU_DEP_2)
	v_mul_f64 v[160:161], v[133:134], v[146:147]
	v_add_f64 v[209:210], v[211:212], -v[146:147]
	v_mul_f64 v[162:163], v[148:149], v[160:161]
	s_delay_alu instid0(VALU_DEP_2) | instskip(NEXT) | instid1(VALU_DEP_2)
	v_add_f64 v[131:132], v[131:132], v[209:210]
	v_fma_f64 v[148:149], v[160:161], v[148:149], -v[162:163]
	s_delay_alu instid0(VALU_DEP_1) | instskip(NEXT) | instid1(VALU_DEP_1)
	v_fma_f64 v[144:145], v[160:161], v[144:145], v[148:149]
	v_add_f64 v[148:149], v[162:163], v[144:145]
	s_delay_alu instid0(VALU_DEP_1) | instskip(SKIP_1) | instid1(VALU_DEP_2)
	v_add_f64 v[164:165], v[146:147], -v[148:149]
	v_add_f64 v[162:163], v[148:149], -v[162:163]
	v_add_f64 v[146:147], v[146:147], -v[164:165]
	s_delay_alu instid0(VALU_DEP_2) | instskip(NEXT) | instid1(VALU_DEP_2)
	v_add_f64 v[144:145], v[162:163], -v[144:145]
	v_add_f64 v[146:147], v[146:147], -v[148:149]
	s_delay_alu instid0(VALU_DEP_1) | instskip(SKIP_1) | instid1(VALU_DEP_2)
	v_add_f64 v[131:132], v[131:132], v[146:147]
	v_add_f64 v[146:147], v[150:151], v[160:161]
	;; [unrolled: 1-line block ×3, first 2 shown]
	s_delay_alu instid0(VALU_DEP_2) | instskip(NEXT) | instid1(VALU_DEP_2)
	v_add_f64 v[144:145], v[146:147], -v[150:151]
	v_add_f64 v[131:132], v[164:165], v[131:132]
	s_delay_alu instid0(VALU_DEP_2) | instskip(NEXT) | instid1(VALU_DEP_2)
	v_add_f64 v[144:145], v[160:161], -v[144:145]
	v_mul_f64 v[131:132], v[133:134], v[131:132]
	s_delay_alu instid0(VALU_DEP_1) | instskip(NEXT) | instid1(VALU_DEP_1)
	v_add_f64 v[131:132], v[144:145], v[131:132]
	v_add_f64 v[133:134], v[146:147], v[131:132]
	s_delay_alu instid0(VALU_DEP_1) | instskip(NEXT) | instid1(VALU_DEP_1)
	v_mul_f64 v[144:145], v[133:134], v[133:134]
	v_fma_f64 v[148:149], v[144:145], s[12:13], s[10:11]
	s_mov_b32 s10, 0xd7f4df2e
	s_mov_b32 s11, 0x3fc7474d
	v_mul_f64 v[150:151], v[133:134], v[144:145]
	s_delay_alu instid0(VALU_DEP_2)
	v_fma_f64 v[148:149], v[144:145], v[148:149], s[10:11]
	s_mov_b32 s10, 0x16291751
	s_mov_b32 s11, 0x3fcc71c0
	s_delay_alu instid0(VALU_DEP_1) | instid1(SALU_CYCLE_1)
	v_fma_f64 v[148:149], v[144:145], v[148:149], s[10:11]
	s_mov_b32 s10, 0x9b27acf1
	s_mov_b32 s11, 0x3fd24924
	s_delay_alu instid0(VALU_DEP_1) | instid1(SALU_CYCLE_1)
	;; [unrolled: 4-line block ×3, first 2 shown]
	v_fma_f64 v[148:149], v[144:145], v[148:149], s[10:11]
	s_delay_alu instid0(VALU_DEP_1) | instskip(SKIP_2) | instid1(VALU_DEP_3)
	v_fma_f64 v[144:145], v[144:145], v[148:149], s[6:7]
	v_ldexp_f64 v[148:149], v[133:134], 1
	v_add_f64 v[133:134], v[133:134], -v[146:147]
	v_mul_f64 v[144:145], v[150:151], v[144:145]
	v_cvt_f64_i32_e32 v[150:151], v166
	s_delay_alu instid0(VALU_DEP_3) | instskip(NEXT) | instid1(VALU_DEP_3)
	v_add_f64 v[131:132], v[131:132], -v[133:134]
	v_add_f64 v[146:147], v[148:149], v[144:145]
	s_delay_alu instid0(VALU_DEP_3) | instskip(NEXT) | instid1(VALU_DEP_3)
	v_mul_f64 v[160:161], v[150:151], s[2:3]
	v_ldexp_f64 v[131:132], v[131:132], 1
	s_delay_alu instid0(VALU_DEP_3) | instskip(NEXT) | instid1(VALU_DEP_3)
	v_add_f64 v[133:134], v[146:147], -v[148:149]
	v_fma_f64 v[148:149], v[150:151], s[2:3], -v[160:161]
	s_delay_alu instid0(VALU_DEP_2) | instskip(NEXT) | instid1(VALU_DEP_2)
	v_add_f64 v[133:134], v[144:145], -v[133:134]
	v_fma_f64 v[144:145], v[150:151], s[4:5], v[148:149]
	s_delay_alu instid0(VALU_DEP_2) | instskip(NEXT) | instid1(VALU_DEP_2)
	v_add_f64 v[131:132], v[131:132], v[133:134]
	v_add_f64 v[133:134], v[160:161], v[144:145]
	s_delay_alu instid0(VALU_DEP_2) | instskip(NEXT) | instid1(VALU_DEP_2)
	v_add_f64 v[148:149], v[146:147], v[131:132]
	v_add_f64 v[160:161], v[133:134], -v[160:161]
	s_delay_alu instid0(VALU_DEP_2) | instskip(SKIP_1) | instid1(VALU_DEP_3)
	v_add_f64 v[150:151], v[133:134], v[148:149]
	v_add_f64 v[146:147], v[148:149], -v[146:147]
	v_add_f64 v[144:145], v[144:145], -v[160:161]
	s_delay_alu instid0(VALU_DEP_3) | instskip(NEXT) | instid1(VALU_DEP_3)
	v_add_f64 v[162:163], v[150:151], -v[133:134]
	v_add_f64 v[131:132], v[131:132], -v[146:147]
	s_delay_alu instid0(VALU_DEP_2) | instskip(SKIP_1) | instid1(VALU_DEP_3)
	v_add_f64 v[164:165], v[150:151], -v[162:163]
	v_add_f64 v[146:147], v[148:149], -v[162:163]
	v_add_f64 v[148:149], v[144:145], v[131:132]
	s_delay_alu instid0(VALU_DEP_3) | instskip(NEXT) | instid1(VALU_DEP_1)
	v_add_f64 v[133:134], v[133:134], -v[164:165]
	v_add_f64 v[133:134], v[146:147], v[133:134]
	s_delay_alu instid0(VALU_DEP_3) | instskip(NEXT) | instid1(VALU_DEP_2)
	v_add_f64 v[146:147], v[148:149], -v[144:145]
	v_add_f64 v[133:134], v[148:149], v[133:134]
	s_delay_alu instid0(VALU_DEP_2) | instskip(SKIP_1) | instid1(VALU_DEP_3)
	v_add_f64 v[148:149], v[148:149], -v[146:147]
	v_add_f64 v[131:132], v[131:132], -v[146:147]
	v_add_f64 v[160:161], v[150:151], v[133:134]
	s_delay_alu instid0(VALU_DEP_3) | instskip(NEXT) | instid1(VALU_DEP_2)
	v_add_f64 v[144:145], v[144:145], -v[148:149]
	v_add_f64 v[146:147], v[160:161], -v[150:151]
	s_delay_alu instid0(VALU_DEP_2) | instskip(NEXT) | instid1(VALU_DEP_2)
	v_add_f64 v[131:132], v[131:132], v[144:145]
	v_add_f64 v[133:134], v[133:134], -v[146:147]
	s_delay_alu instid0(VALU_DEP_1) | instskip(NEXT) | instid1(VALU_DEP_1)
	v_add_f64 v[131:132], v[131:132], v[133:134]
	v_add_f64 v[131:132], v[160:161], v[131:132]
	s_delay_alu instid0(VALU_DEP_1) | instskip(SKIP_1) | instid1(VALU_DEP_2)
	v_dual_cndmask_b32 v131, v131, v32 :: v_dual_cndmask_b32 v132, v132, v33
	v_cmp_ngt_f64_e32 vcc_lo, -1.0, v[32:33]
	v_cndmask_b32_e32 v132, 0x7ff80000, v132, vcc_lo
	v_cmp_nge_f64_e32 vcc_lo, -1.0, v[32:33]
	s_delay_alu instid0(VALU_DEP_4) | instskip(SKIP_1) | instid1(VALU_DEP_4)
	v_cndmask_b32_e32 v131, 0, v131, vcc_lo
	v_cmp_neq_f64_e32 vcc_lo, -1.0, v[32:33]
	v_cndmask_b32_e32 v132, 0xfff00000, v132, vcc_lo
	s_delay_alu instid0(VALU_DEP_1)
	v_add_f64 v[32:33], v[34:35], v[131:132]
.LBB56_255:
	s_or_b32 exec_lo, exec_lo, s8
	s_delay_alu instid0(VALU_DEP_1) | instskip(SKIP_1) | instid1(VALU_DEP_2)
	v_max_f64 v[34:35], v[32:33], v[32:33]
	v_cmp_u_f64_e32 vcc_lo, v[32:33], v[32:33]
	v_min_f64 v[131:132], v[34:35], v[129:130]
	v_max_f64 v[34:35], v[34:35], v[129:130]
	s_delay_alu instid0(VALU_DEP_2) | instskip(NEXT) | instid1(VALU_DEP_2)
	v_dual_cndmask_b32 v129, v131, v32 :: v_dual_cndmask_b32 v130, v132, v33
	v_dual_cndmask_b32 v35, v35, v33 :: v_dual_cndmask_b32 v34, v34, v32
	s_delay_alu instid0(VALU_DEP_2) | instskip(NEXT) | instid1(VALU_DEP_3)
	v_cndmask_b32_e64 v131, v129, v66, s16
	v_cndmask_b32_e64 v132, v130, v67, s16
	s_delay_alu instid0(VALU_DEP_3) | instskip(NEXT) | instid1(VALU_DEP_4)
	v_cndmask_b32_e64 v130, v35, v67, s16
	v_cndmask_b32_e64 v129, v34, v66, s16
	v_dual_mov_b32 v35, v33 :: v_dual_mov_b32 v34, v32
	s_delay_alu instid0(VALU_DEP_4) | instskip(NEXT) | instid1(VALU_DEP_3)
	v_cmp_class_f64_e64 s1, v[131:132], 0x1f8
	v_cmp_neq_f64_e32 vcc_lo, v[131:132], v[129:130]
	s_delay_alu instid0(VALU_DEP_2) | instskip(NEXT) | instid1(SALU_CYCLE_1)
	s_or_b32 s1, vcc_lo, s1
	s_and_saveexec_b32 s8, s1
	s_cbranch_execz .LBB56_257
; %bb.256:
	v_add_f64 v[34:35], v[131:132], -v[129:130]
	s_mov_b32 s2, 0x652b82fe
	s_mov_b32 s3, 0x3ff71547
	;; [unrolled: 1-line block ×10, first 2 shown]
	s_delay_alu instid0(VALU_DEP_1) | instskip(SKIP_4) | instid1(VALU_DEP_3)
	v_mul_f64 v[131:132], v[34:35], s[2:3]
	s_mov_b32 s3, 0xbfe62e42
	s_mov_b32 s2, 0xfefa39ef
	v_cmp_nlt_f64_e32 vcc_lo, 0x40900000, v[34:35]
	v_cmp_ngt_f64_e64 s1, 0xc090cc00, v[34:35]
	v_rndne_f64_e32 v[131:132], v[131:132]
	s_delay_alu instid0(VALU_DEP_1) | instskip(SKIP_2) | instid1(VALU_DEP_2)
	v_fma_f64 v[133:134], v[131:132], s[2:3], v[34:35]
	v_cvt_i32_f64_e32 v146, v[131:132]
	s_mov_b32 s3, 0x3fe62e42
	v_fma_f64 v[133:134], v[131:132], s[4:5], v[133:134]
	s_mov_b32 s5, 0x3c7abc9e
	s_delay_alu instid0(VALU_DEP_1) | instskip(SKIP_4) | instid1(VALU_DEP_1)
	v_fma_f64 v[144:145], v[133:134], s[10:11], s[6:7]
	s_mov_b32 s6, 0x623fde64
	s_mov_b32 s7, 0x3ec71dee
	;; [unrolled: 1-line block ×4, first 2 shown]
	v_fma_f64 v[144:145], v[133:134], v[144:145], s[6:7]
	s_mov_b32 s6, 0x7c89e6b0
	s_mov_b32 s7, 0x3efa0199
	s_delay_alu instid0(VALU_DEP_1) | instid1(SALU_CYCLE_1)
	v_fma_f64 v[144:145], v[133:134], v[144:145], s[6:7]
	s_mov_b32 s6, 0x14761f6e
	s_mov_b32 s7, 0x3f2a01a0
	s_delay_alu instid0(VALU_DEP_1) | instid1(SALU_CYCLE_1)
	;; [unrolled: 4-line block ×7, first 2 shown]
	v_fma_f64 v[144:145], v[133:134], v[144:145], s[6:7]
	s_mov_b32 s7, 0x3fe55555
	s_mov_b32 s6, 0x55555555
	s_delay_alu instid0(VALU_DEP_1) | instskip(NEXT) | instid1(VALU_DEP_1)
	v_fma_f64 v[144:145], v[133:134], v[144:145], 1.0
	v_fma_f64 v[131:132], v[133:134], v[144:145], 1.0
	s_delay_alu instid0(VALU_DEP_1) | instskip(NEXT) | instid1(VALU_DEP_1)
	v_ldexp_f64 v[131:132], v[131:132], v146
	v_cndmask_b32_e32 v132, 0x7ff00000, v132, vcc_lo
	s_and_b32 vcc_lo, s1, vcc_lo
	s_delay_alu instid0(VALU_DEP_2) | instskip(NEXT) | instid1(VALU_DEP_2)
	v_cndmask_b32_e32 v34, 0, v131, vcc_lo
	v_cndmask_b32_e64 v35, 0, v132, s1
	s_delay_alu instid0(VALU_DEP_1) | instskip(NEXT) | instid1(VALU_DEP_1)
	v_add_f64 v[131:132], v[34:35], 1.0
	v_frexp_mant_f64_e32 v[133:134], v[131:132]
	v_frexp_exp_i32_f64_e32 v146, v[131:132]
	v_add_f64 v[144:145], v[131:132], -1.0
	s_delay_alu instid0(VALU_DEP_3) | instskip(SKIP_1) | instid1(VALU_DEP_2)
	v_cmp_gt_f64_e32 vcc_lo, s[6:7], v[133:134]
	s_mov_b32 s6, 0x55555780
	v_add_f64 v[133:134], v[144:145], -v[131:132]
	v_add_f64 v[144:145], v[34:35], -v[144:145]
	v_subrev_co_ci_u32_e32 v166, vcc_lo, 0, v146, vcc_lo
	s_delay_alu instid0(VALU_DEP_3) | instskip(SKIP_1) | instid1(VALU_DEP_3)
	v_add_f64 v[133:134], v[133:134], 1.0
	v_cmp_eq_f64_e32 vcc_lo, 0x7ff00000, v[34:35]
	v_sub_nc_u32_e32 v148, 0, v166
	s_delay_alu instid0(VALU_DEP_1) | instskip(NEXT) | instid1(VALU_DEP_4)
	v_ldexp_f64 v[131:132], v[131:132], v148
	v_add_f64 v[133:134], v[144:145], v[133:134]
	s_delay_alu instid0(VALU_DEP_2) | instskip(SKIP_1) | instid1(VALU_DEP_3)
	v_add_f64 v[146:147], v[131:132], 1.0
	v_add_f64 v[160:161], v[131:132], -1.0
	v_ldexp_f64 v[133:134], v[133:134], v148
	s_delay_alu instid0(VALU_DEP_3) | instskip(NEXT) | instid1(VALU_DEP_3)
	v_add_f64 v[144:145], v[146:147], -1.0
	v_add_f64 v[162:163], v[160:161], 1.0
	s_delay_alu instid0(VALU_DEP_2) | instskip(NEXT) | instid1(VALU_DEP_2)
	v_add_f64 v[144:145], v[131:132], -v[144:145]
	v_add_f64 v[131:132], v[131:132], -v[162:163]
	s_delay_alu instid0(VALU_DEP_2) | instskip(NEXT) | instid1(VALU_DEP_2)
	v_add_f64 v[144:145], v[133:134], v[144:145]
	v_add_f64 v[131:132], v[133:134], v[131:132]
	s_delay_alu instid0(VALU_DEP_2) | instskip(NEXT) | instid1(VALU_DEP_2)
	v_add_f64 v[148:149], v[146:147], v[144:145]
	v_add_f64 v[162:163], v[160:161], v[131:132]
	s_delay_alu instid0(VALU_DEP_2) | instskip(SKIP_1) | instid1(VALU_DEP_2)
	v_rcp_f64_e32 v[150:151], v[148:149]
	v_add_f64 v[146:147], v[148:149], -v[146:147]
	v_add_f64 v[160:161], v[162:163], -v[160:161]
	s_delay_alu instid0(VALU_DEP_2) | instskip(SKIP_3) | instid1(VALU_DEP_2)
	v_add_f64 v[144:145], v[144:145], -v[146:147]
	s_waitcnt_depctr 0xfff
	v_fma_f64 v[164:165], -v[148:149], v[150:151], 1.0
	v_add_f64 v[131:132], v[131:132], -v[160:161]
	v_fma_f64 v[150:151], v[164:165], v[150:151], v[150:151]
	s_delay_alu instid0(VALU_DEP_1) | instskip(NEXT) | instid1(VALU_DEP_1)
	v_fma_f64 v[133:134], -v[148:149], v[150:151], 1.0
	v_fma_f64 v[133:134], v[133:134], v[150:151], v[150:151]
	s_delay_alu instid0(VALU_DEP_1) | instskip(NEXT) | instid1(VALU_DEP_1)
	v_mul_f64 v[150:151], v[162:163], v[133:134]
	v_mul_f64 v[164:165], v[148:149], v[150:151]
	s_delay_alu instid0(VALU_DEP_1) | instskip(NEXT) | instid1(VALU_DEP_1)
	v_fma_f64 v[146:147], v[150:151], v[148:149], -v[164:165]
	v_fma_f64 v[146:147], v[150:151], v[144:145], v[146:147]
	s_delay_alu instid0(VALU_DEP_1) | instskip(NEXT) | instid1(VALU_DEP_1)
	v_add_f64 v[209:210], v[164:165], v[146:147]
	v_add_f64 v[211:212], v[162:163], -v[209:210]
	v_add_f64 v[160:161], v[209:210], -v[164:165]
	s_delay_alu instid0(VALU_DEP_2) | instskip(NEXT) | instid1(VALU_DEP_2)
	v_add_f64 v[162:163], v[162:163], -v[211:212]
	v_add_f64 v[146:147], v[160:161], -v[146:147]
	s_delay_alu instid0(VALU_DEP_2) | instskip(NEXT) | instid1(VALU_DEP_1)
	v_add_f64 v[162:163], v[162:163], -v[209:210]
	v_add_f64 v[131:132], v[131:132], v[162:163]
	s_delay_alu instid0(VALU_DEP_1) | instskip(NEXT) | instid1(VALU_DEP_1)
	v_add_f64 v[131:132], v[146:147], v[131:132]
	v_add_f64 v[146:147], v[211:212], v[131:132]
	s_delay_alu instid0(VALU_DEP_1) | instskip(SKIP_1) | instid1(VALU_DEP_2)
	v_mul_f64 v[160:161], v[133:134], v[146:147]
	v_add_f64 v[209:210], v[211:212], -v[146:147]
	v_mul_f64 v[162:163], v[148:149], v[160:161]
	s_delay_alu instid0(VALU_DEP_2) | instskip(NEXT) | instid1(VALU_DEP_2)
	v_add_f64 v[131:132], v[131:132], v[209:210]
	v_fma_f64 v[148:149], v[160:161], v[148:149], -v[162:163]
	s_delay_alu instid0(VALU_DEP_1) | instskip(NEXT) | instid1(VALU_DEP_1)
	v_fma_f64 v[144:145], v[160:161], v[144:145], v[148:149]
	v_add_f64 v[148:149], v[162:163], v[144:145]
	s_delay_alu instid0(VALU_DEP_1) | instskip(SKIP_1) | instid1(VALU_DEP_2)
	v_add_f64 v[164:165], v[146:147], -v[148:149]
	v_add_f64 v[162:163], v[148:149], -v[162:163]
	;; [unrolled: 1-line block ×3, first 2 shown]
	s_delay_alu instid0(VALU_DEP_2) | instskip(NEXT) | instid1(VALU_DEP_2)
	v_add_f64 v[144:145], v[162:163], -v[144:145]
	v_add_f64 v[146:147], v[146:147], -v[148:149]
	s_delay_alu instid0(VALU_DEP_1) | instskip(SKIP_1) | instid1(VALU_DEP_2)
	v_add_f64 v[131:132], v[131:132], v[146:147]
	v_add_f64 v[146:147], v[150:151], v[160:161]
	;; [unrolled: 1-line block ×3, first 2 shown]
	s_delay_alu instid0(VALU_DEP_2) | instskip(NEXT) | instid1(VALU_DEP_2)
	v_add_f64 v[144:145], v[146:147], -v[150:151]
	v_add_f64 v[131:132], v[164:165], v[131:132]
	s_delay_alu instid0(VALU_DEP_2) | instskip(NEXT) | instid1(VALU_DEP_2)
	v_add_f64 v[144:145], v[160:161], -v[144:145]
	v_mul_f64 v[131:132], v[133:134], v[131:132]
	s_delay_alu instid0(VALU_DEP_1) | instskip(NEXT) | instid1(VALU_DEP_1)
	v_add_f64 v[131:132], v[144:145], v[131:132]
	v_add_f64 v[133:134], v[146:147], v[131:132]
	s_delay_alu instid0(VALU_DEP_1) | instskip(NEXT) | instid1(VALU_DEP_1)
	v_mul_f64 v[144:145], v[133:134], v[133:134]
	v_fma_f64 v[148:149], v[144:145], s[12:13], s[10:11]
	s_mov_b32 s10, 0xd7f4df2e
	s_mov_b32 s11, 0x3fc7474d
	v_mul_f64 v[150:151], v[133:134], v[144:145]
	s_delay_alu instid0(VALU_DEP_2)
	v_fma_f64 v[148:149], v[144:145], v[148:149], s[10:11]
	s_mov_b32 s10, 0x16291751
	s_mov_b32 s11, 0x3fcc71c0
	s_delay_alu instid0(VALU_DEP_1) | instid1(SALU_CYCLE_1)
	v_fma_f64 v[148:149], v[144:145], v[148:149], s[10:11]
	s_mov_b32 s10, 0x9b27acf1
	s_mov_b32 s11, 0x3fd24924
	s_delay_alu instid0(VALU_DEP_1) | instid1(SALU_CYCLE_1)
	;; [unrolled: 4-line block ×3, first 2 shown]
	v_fma_f64 v[148:149], v[144:145], v[148:149], s[10:11]
	s_delay_alu instid0(VALU_DEP_1) | instskip(SKIP_2) | instid1(VALU_DEP_3)
	v_fma_f64 v[144:145], v[144:145], v[148:149], s[6:7]
	v_ldexp_f64 v[148:149], v[133:134], 1
	v_add_f64 v[133:134], v[133:134], -v[146:147]
	v_mul_f64 v[144:145], v[150:151], v[144:145]
	v_cvt_f64_i32_e32 v[150:151], v166
	s_delay_alu instid0(VALU_DEP_3) | instskip(NEXT) | instid1(VALU_DEP_3)
	v_add_f64 v[131:132], v[131:132], -v[133:134]
	v_add_f64 v[146:147], v[148:149], v[144:145]
	s_delay_alu instid0(VALU_DEP_3) | instskip(NEXT) | instid1(VALU_DEP_3)
	v_mul_f64 v[160:161], v[150:151], s[2:3]
	v_ldexp_f64 v[131:132], v[131:132], 1
	s_delay_alu instid0(VALU_DEP_3) | instskip(NEXT) | instid1(VALU_DEP_3)
	v_add_f64 v[133:134], v[146:147], -v[148:149]
	v_fma_f64 v[148:149], v[150:151], s[2:3], -v[160:161]
	s_delay_alu instid0(VALU_DEP_2) | instskip(NEXT) | instid1(VALU_DEP_2)
	v_add_f64 v[133:134], v[144:145], -v[133:134]
	v_fma_f64 v[144:145], v[150:151], s[4:5], v[148:149]
	s_delay_alu instid0(VALU_DEP_2) | instskip(NEXT) | instid1(VALU_DEP_2)
	v_add_f64 v[131:132], v[131:132], v[133:134]
	v_add_f64 v[133:134], v[160:161], v[144:145]
	s_delay_alu instid0(VALU_DEP_2) | instskip(NEXT) | instid1(VALU_DEP_2)
	v_add_f64 v[148:149], v[146:147], v[131:132]
	v_add_f64 v[160:161], v[133:134], -v[160:161]
	s_delay_alu instid0(VALU_DEP_2) | instskip(SKIP_1) | instid1(VALU_DEP_3)
	v_add_f64 v[150:151], v[133:134], v[148:149]
	v_add_f64 v[146:147], v[148:149], -v[146:147]
	v_add_f64 v[144:145], v[144:145], -v[160:161]
	s_delay_alu instid0(VALU_DEP_3) | instskip(NEXT) | instid1(VALU_DEP_3)
	v_add_f64 v[162:163], v[150:151], -v[133:134]
	v_add_f64 v[131:132], v[131:132], -v[146:147]
	s_delay_alu instid0(VALU_DEP_2) | instskip(SKIP_1) | instid1(VALU_DEP_3)
	v_add_f64 v[164:165], v[150:151], -v[162:163]
	v_add_f64 v[146:147], v[148:149], -v[162:163]
	v_add_f64 v[148:149], v[144:145], v[131:132]
	s_delay_alu instid0(VALU_DEP_3) | instskip(NEXT) | instid1(VALU_DEP_1)
	v_add_f64 v[133:134], v[133:134], -v[164:165]
	v_add_f64 v[133:134], v[146:147], v[133:134]
	s_delay_alu instid0(VALU_DEP_3) | instskip(NEXT) | instid1(VALU_DEP_2)
	v_add_f64 v[146:147], v[148:149], -v[144:145]
	v_add_f64 v[133:134], v[148:149], v[133:134]
	s_delay_alu instid0(VALU_DEP_2) | instskip(SKIP_1) | instid1(VALU_DEP_3)
	v_add_f64 v[148:149], v[148:149], -v[146:147]
	v_add_f64 v[131:132], v[131:132], -v[146:147]
	v_add_f64 v[160:161], v[150:151], v[133:134]
	s_delay_alu instid0(VALU_DEP_3) | instskip(NEXT) | instid1(VALU_DEP_2)
	v_add_f64 v[144:145], v[144:145], -v[148:149]
	v_add_f64 v[146:147], v[160:161], -v[150:151]
	s_delay_alu instid0(VALU_DEP_2) | instskip(NEXT) | instid1(VALU_DEP_2)
	v_add_f64 v[131:132], v[131:132], v[144:145]
	v_add_f64 v[133:134], v[133:134], -v[146:147]
	s_delay_alu instid0(VALU_DEP_1) | instskip(NEXT) | instid1(VALU_DEP_1)
	v_add_f64 v[131:132], v[131:132], v[133:134]
	v_add_f64 v[131:132], v[160:161], v[131:132]
	s_delay_alu instid0(VALU_DEP_1) | instskip(SKIP_1) | instid1(VALU_DEP_2)
	v_dual_cndmask_b32 v131, v131, v34 :: v_dual_cndmask_b32 v132, v132, v35
	v_cmp_ngt_f64_e32 vcc_lo, -1.0, v[34:35]
	v_cndmask_b32_e32 v132, 0x7ff80000, v132, vcc_lo
	v_cmp_nge_f64_e32 vcc_lo, -1.0, v[34:35]
	s_delay_alu instid0(VALU_DEP_4) | instskip(SKIP_1) | instid1(VALU_DEP_4)
	v_cndmask_b32_e32 v131, 0, v131, vcc_lo
	v_cmp_neq_f64_e32 vcc_lo, -1.0, v[34:35]
	v_cndmask_b32_e32 v132, 0xfff00000, v132, vcc_lo
	s_delay_alu instid0(VALU_DEP_1)
	v_add_f64 v[34:35], v[129:130], v[131:132]
.LBB56_257:
	s_or_b32 exec_lo, exec_lo, s8
	s_branch .LBB56_377
.LBB56_258:
	v_cmp_ne_u64_e32 vcc_lo, 0, v[48:49]
	v_cmp_eq_u32_e64 s2, 0, v128
	v_cmp_ne_u32_e64 s1, 0, v128
	s_delay_alu instid0(VALU_DEP_2) | instskip(NEXT) | instid1(SALU_CYCLE_1)
	s_and_b32 s2, s2, vcc_lo
	s_and_saveexec_b32 s8, s2
	s_cbranch_execz .LBB56_262
; %bb.259:
	flat_load_b64 v[4:5], v[36:37]
	v_max_f64 v[6:7], v[0:1], v[0:1]
	v_cmp_u_f64_e64 s2, v[0:1], v[0:1]
	s_waitcnt vmcnt(0) lgkmcnt(0)
	v_max_f64 v[8:9], v[4:5], v[4:5]
	v_cmp_u_f64_e32 vcc_lo, v[4:5], v[4:5]
	s_delay_alu instid0(VALU_DEP_2) | instskip(SKIP_1) | instid1(VALU_DEP_2)
	v_min_f64 v[10:11], v[8:9], v[6:7]
	v_max_f64 v[6:7], v[8:9], v[6:7]
	v_dual_cndmask_b32 v8, v10, v4 :: v_dual_cndmask_b32 v9, v11, v5
	s_delay_alu instid0(VALU_DEP_2) | instskip(NEXT) | instid1(VALU_DEP_2)
	v_dual_cndmask_b32 v10, v7, v5 :: v_dual_cndmask_b32 v11, v6, v4
	v_cndmask_b32_e64 v6, v8, v0, s2
	s_delay_alu instid0(VALU_DEP_3) | instskip(NEXT) | instid1(VALU_DEP_3)
	v_cndmask_b32_e64 v7, v9, v1, s2
	v_cndmask_b32_e64 v1, v10, v1, s2
	s_delay_alu instid0(VALU_DEP_4) | instskip(NEXT) | instid1(VALU_DEP_3)
	v_cndmask_b32_e64 v0, v11, v0, s2
	v_cmp_class_f64_e64 s2, v[6:7], 0x1f8
	s_delay_alu instid0(VALU_DEP_2) | instskip(NEXT) | instid1(VALU_DEP_2)
	v_cmp_neq_f64_e32 vcc_lo, v[6:7], v[0:1]
	s_or_b32 s2, vcc_lo, s2
	s_delay_alu instid0(SALU_CYCLE_1)
	s_and_saveexec_b32 s9, s2
	s_cbranch_execz .LBB56_261
; %bb.260:
	v_add_f64 v[4:5], v[6:7], -v[0:1]
	s_mov_b32 s2, 0x652b82fe
	s_mov_b32 s3, 0x3ff71547
	;; [unrolled: 1-line block ×10, first 2 shown]
	s_delay_alu instid0(VALU_DEP_1) | instskip(SKIP_3) | instid1(VALU_DEP_2)
	v_mul_f64 v[6:7], v[4:5], s[2:3]
	s_mov_b32 s2, 0xfca7ab0c
	s_mov_b32 s3, 0x3e928af3
	v_cmp_nlt_f64_e32 vcc_lo, 0x40900000, v[4:5]
	v_rndne_f64_e32 v[6:7], v[6:7]
	s_delay_alu instid0(VALU_DEP_1) | instskip(SKIP_2) | instid1(VALU_DEP_2)
	v_fma_f64 v[8:9], v[6:7], s[4:5], v[4:5]
	v_cvt_i32_f64_e32 v12, v[6:7]
	s_mov_b32 s5, 0x3fe62e42
	v_fma_f64 v[8:9], v[6:7], s[6:7], v[8:9]
	s_mov_b32 s7, 0x3c7abc9e
	s_delay_alu instid0(VALU_DEP_1) | instskip(SKIP_4) | instid1(VALU_DEP_1)
	v_fma_f64 v[10:11], v[8:9], s[10:11], s[2:3]
	s_mov_b32 s2, 0x623fde64
	s_mov_b32 s3, 0x3ec71dee
	;; [unrolled: 1-line block ×4, first 2 shown]
	v_fma_f64 v[10:11], v[8:9], v[10:11], s[2:3]
	s_mov_b32 s2, 0x7c89e6b0
	s_mov_b32 s3, 0x3efa0199
	s_delay_alu instid0(VALU_DEP_1) | instid1(SALU_CYCLE_1)
	v_fma_f64 v[10:11], v[8:9], v[10:11], s[2:3]
	s_mov_b32 s2, 0x14761f6e
	s_mov_b32 s3, 0x3f2a01a0
	s_delay_alu instid0(VALU_DEP_1) | instid1(SALU_CYCLE_1)
	;; [unrolled: 4-line block ×7, first 2 shown]
	v_fma_f64 v[10:11], v[8:9], v[10:11], s[2:3]
	v_cmp_ngt_f64_e64 s2, 0xc090cc00, v[4:5]
	s_mov_b32 s3, 0x3fe55555
	s_delay_alu instid0(VALU_DEP_2) | instskip(NEXT) | instid1(VALU_DEP_1)
	v_fma_f64 v[10:11], v[8:9], v[10:11], 1.0
	v_fma_f64 v[6:7], v[8:9], v[10:11], 1.0
	s_delay_alu instid0(VALU_DEP_1) | instskip(NEXT) | instid1(VALU_DEP_1)
	v_ldexp_f64 v[6:7], v[6:7], v12
	v_cndmask_b32_e32 v7, 0x7ff00000, v7, vcc_lo
	s_and_b32 vcc_lo, s2, vcc_lo
	s_delay_alu instid0(VALU_DEP_1) | instskip(NEXT) | instid1(VALU_DEP_3)
	v_cndmask_b32_e64 v5, 0, v7, s2
	v_cndmask_b32_e32 v4, 0, v6, vcc_lo
	s_mov_b32 s2, 0x55555555
	s_delay_alu instid0(VALU_DEP_1) | instskip(NEXT) | instid1(VALU_DEP_1)
	v_add_f64 v[6:7], v[4:5], 1.0
	v_frexp_mant_f64_e32 v[8:9], v[6:7]
	v_frexp_exp_i32_f64_e32 v12, v[6:7]
	v_add_f64 v[10:11], v[6:7], -1.0
	s_delay_alu instid0(VALU_DEP_3) | instskip(SKIP_1) | instid1(VALU_DEP_2)
	v_cmp_gt_f64_e32 vcc_lo, s[2:3], v[8:9]
	s_mov_b32 s2, 0x55555780
	v_add_f64 v[8:9], v[10:11], -v[6:7]
	v_add_f64 v[10:11], v[4:5], -v[10:11]
	v_subrev_co_ci_u32_e32 v28, vcc_lo, 0, v12, vcc_lo
	s_delay_alu instid0(VALU_DEP_3) | instskip(SKIP_1) | instid1(VALU_DEP_3)
	v_add_f64 v[8:9], v[8:9], 1.0
	v_cmp_eq_f64_e32 vcc_lo, 0x7ff00000, v[4:5]
	v_sub_nc_u32_e32 v14, 0, v28
	s_delay_alu instid0(VALU_DEP_1) | instskip(NEXT) | instid1(VALU_DEP_4)
	v_ldexp_f64 v[6:7], v[6:7], v14
	v_add_f64 v[8:9], v[10:11], v[8:9]
	s_delay_alu instid0(VALU_DEP_2) | instskip(SKIP_1) | instid1(VALU_DEP_3)
	v_add_f64 v[12:13], v[6:7], 1.0
	v_add_f64 v[18:19], v[6:7], -1.0
	v_ldexp_f64 v[8:9], v[8:9], v14
	s_delay_alu instid0(VALU_DEP_3) | instskip(NEXT) | instid1(VALU_DEP_3)
	v_add_f64 v[10:11], v[12:13], -1.0
	v_add_f64 v[20:21], v[18:19], 1.0
	s_delay_alu instid0(VALU_DEP_2) | instskip(NEXT) | instid1(VALU_DEP_2)
	v_add_f64 v[10:11], v[6:7], -v[10:11]
	v_add_f64 v[6:7], v[6:7], -v[20:21]
	s_delay_alu instid0(VALU_DEP_2) | instskip(NEXT) | instid1(VALU_DEP_2)
	v_add_f64 v[10:11], v[8:9], v[10:11]
	v_add_f64 v[6:7], v[8:9], v[6:7]
	s_delay_alu instid0(VALU_DEP_2) | instskip(NEXT) | instid1(VALU_DEP_2)
	v_add_f64 v[14:15], v[12:13], v[10:11]
	v_add_f64 v[20:21], v[18:19], v[6:7]
	s_delay_alu instid0(VALU_DEP_2) | instskip(SKIP_1) | instid1(VALU_DEP_2)
	v_rcp_f64_e32 v[16:17], v[14:15]
	v_add_f64 v[12:13], v[14:15], -v[12:13]
	v_add_f64 v[18:19], v[20:21], -v[18:19]
	s_delay_alu instid0(VALU_DEP_2) | instskip(SKIP_3) | instid1(VALU_DEP_2)
	v_add_f64 v[10:11], v[10:11], -v[12:13]
	s_waitcnt_depctr 0xfff
	v_fma_f64 v[22:23], -v[14:15], v[16:17], 1.0
	v_add_f64 v[6:7], v[6:7], -v[18:19]
	v_fma_f64 v[16:17], v[22:23], v[16:17], v[16:17]
	s_delay_alu instid0(VALU_DEP_1) | instskip(NEXT) | instid1(VALU_DEP_1)
	v_fma_f64 v[8:9], -v[14:15], v[16:17], 1.0
	v_fma_f64 v[8:9], v[8:9], v[16:17], v[16:17]
	s_delay_alu instid0(VALU_DEP_1) | instskip(NEXT) | instid1(VALU_DEP_1)
	v_mul_f64 v[16:17], v[20:21], v[8:9]
	v_mul_f64 v[22:23], v[14:15], v[16:17]
	s_delay_alu instid0(VALU_DEP_1) | instskip(NEXT) | instid1(VALU_DEP_1)
	v_fma_f64 v[12:13], v[16:17], v[14:15], -v[22:23]
	v_fma_f64 v[12:13], v[16:17], v[10:11], v[12:13]
	s_delay_alu instid0(VALU_DEP_1) | instskip(NEXT) | instid1(VALU_DEP_1)
	v_add_f64 v[24:25], v[22:23], v[12:13]
	v_add_f64 v[26:27], v[20:21], -v[24:25]
	v_add_f64 v[18:19], v[24:25], -v[22:23]
	s_delay_alu instid0(VALU_DEP_2) | instskip(NEXT) | instid1(VALU_DEP_2)
	v_add_f64 v[20:21], v[20:21], -v[26:27]
	v_add_f64 v[12:13], v[18:19], -v[12:13]
	s_delay_alu instid0(VALU_DEP_2) | instskip(NEXT) | instid1(VALU_DEP_1)
	v_add_f64 v[20:21], v[20:21], -v[24:25]
	v_add_f64 v[6:7], v[6:7], v[20:21]
	s_delay_alu instid0(VALU_DEP_1) | instskip(NEXT) | instid1(VALU_DEP_1)
	v_add_f64 v[6:7], v[12:13], v[6:7]
	v_add_f64 v[12:13], v[26:27], v[6:7]
	s_delay_alu instid0(VALU_DEP_1) | instskip(SKIP_1) | instid1(VALU_DEP_2)
	v_mul_f64 v[18:19], v[8:9], v[12:13]
	v_add_f64 v[24:25], v[26:27], -v[12:13]
	v_mul_f64 v[20:21], v[14:15], v[18:19]
	s_delay_alu instid0(VALU_DEP_2) | instskip(NEXT) | instid1(VALU_DEP_2)
	v_add_f64 v[6:7], v[6:7], v[24:25]
	v_fma_f64 v[14:15], v[18:19], v[14:15], -v[20:21]
	s_delay_alu instid0(VALU_DEP_1) | instskip(NEXT) | instid1(VALU_DEP_1)
	v_fma_f64 v[10:11], v[18:19], v[10:11], v[14:15]
	v_add_f64 v[14:15], v[20:21], v[10:11]
	s_delay_alu instid0(VALU_DEP_1) | instskip(SKIP_1) | instid1(VALU_DEP_2)
	v_add_f64 v[22:23], v[12:13], -v[14:15]
	v_add_f64 v[20:21], v[14:15], -v[20:21]
	;; [unrolled: 1-line block ×3, first 2 shown]
	s_delay_alu instid0(VALU_DEP_2) | instskip(NEXT) | instid1(VALU_DEP_2)
	v_add_f64 v[10:11], v[20:21], -v[10:11]
	v_add_f64 v[12:13], v[12:13], -v[14:15]
	s_delay_alu instid0(VALU_DEP_1) | instskip(SKIP_1) | instid1(VALU_DEP_2)
	v_add_f64 v[6:7], v[6:7], v[12:13]
	v_add_f64 v[12:13], v[16:17], v[18:19]
	;; [unrolled: 1-line block ×3, first 2 shown]
	s_delay_alu instid0(VALU_DEP_2) | instskip(NEXT) | instid1(VALU_DEP_2)
	v_add_f64 v[10:11], v[12:13], -v[16:17]
	v_add_f64 v[6:7], v[22:23], v[6:7]
	s_delay_alu instid0(VALU_DEP_2) | instskip(NEXT) | instid1(VALU_DEP_2)
	v_add_f64 v[10:11], v[18:19], -v[10:11]
	v_mul_f64 v[6:7], v[8:9], v[6:7]
	s_delay_alu instid0(VALU_DEP_1) | instskip(NEXT) | instid1(VALU_DEP_1)
	v_add_f64 v[6:7], v[10:11], v[6:7]
	v_add_f64 v[8:9], v[12:13], v[6:7]
	s_delay_alu instid0(VALU_DEP_1) | instskip(NEXT) | instid1(VALU_DEP_1)
	v_mul_f64 v[10:11], v[8:9], v[8:9]
	v_fma_f64 v[14:15], v[10:11], s[12:13], s[10:11]
	s_mov_b32 s10, 0xd7f4df2e
	s_mov_b32 s11, 0x3fc7474d
	v_mul_f64 v[16:17], v[8:9], v[10:11]
	s_delay_alu instid0(VALU_DEP_2)
	v_fma_f64 v[14:15], v[10:11], v[14:15], s[10:11]
	s_mov_b32 s10, 0x16291751
	s_mov_b32 s11, 0x3fcc71c0
	s_delay_alu instid0(VALU_DEP_1) | instid1(SALU_CYCLE_1)
	v_fma_f64 v[14:15], v[10:11], v[14:15], s[10:11]
	s_mov_b32 s10, 0x9b27acf1
	s_mov_b32 s11, 0x3fd24924
	s_delay_alu instid0(VALU_DEP_1) | instid1(SALU_CYCLE_1)
	;; [unrolled: 4-line block ×3, first 2 shown]
	v_fma_f64 v[14:15], v[10:11], v[14:15], s[10:11]
	s_delay_alu instid0(VALU_DEP_1) | instskip(SKIP_2) | instid1(VALU_DEP_3)
	v_fma_f64 v[10:11], v[10:11], v[14:15], s[2:3]
	v_ldexp_f64 v[14:15], v[8:9], 1
	v_add_f64 v[8:9], v[8:9], -v[12:13]
	v_mul_f64 v[10:11], v[16:17], v[10:11]
	v_cvt_f64_i32_e32 v[16:17], v28
	s_delay_alu instid0(VALU_DEP_3) | instskip(NEXT) | instid1(VALU_DEP_3)
	v_add_f64 v[6:7], v[6:7], -v[8:9]
	v_add_f64 v[12:13], v[14:15], v[10:11]
	s_delay_alu instid0(VALU_DEP_3) | instskip(NEXT) | instid1(VALU_DEP_3)
	v_mul_f64 v[18:19], v[16:17], s[4:5]
	v_ldexp_f64 v[6:7], v[6:7], 1
	s_delay_alu instid0(VALU_DEP_3) | instskip(NEXT) | instid1(VALU_DEP_3)
	v_add_f64 v[8:9], v[12:13], -v[14:15]
	v_fma_f64 v[14:15], v[16:17], s[4:5], -v[18:19]
	s_delay_alu instid0(VALU_DEP_2) | instskip(NEXT) | instid1(VALU_DEP_2)
	v_add_f64 v[8:9], v[10:11], -v[8:9]
	v_fma_f64 v[10:11], v[16:17], s[6:7], v[14:15]
	s_delay_alu instid0(VALU_DEP_2) | instskip(NEXT) | instid1(VALU_DEP_2)
	v_add_f64 v[6:7], v[6:7], v[8:9]
	v_add_f64 v[8:9], v[18:19], v[10:11]
	s_delay_alu instid0(VALU_DEP_2) | instskip(NEXT) | instid1(VALU_DEP_2)
	v_add_f64 v[14:15], v[12:13], v[6:7]
	v_add_f64 v[18:19], v[8:9], -v[18:19]
	s_delay_alu instid0(VALU_DEP_2) | instskip(SKIP_1) | instid1(VALU_DEP_3)
	v_add_f64 v[16:17], v[8:9], v[14:15]
	v_add_f64 v[12:13], v[14:15], -v[12:13]
	v_add_f64 v[10:11], v[10:11], -v[18:19]
	s_delay_alu instid0(VALU_DEP_3) | instskip(NEXT) | instid1(VALU_DEP_3)
	v_add_f64 v[20:21], v[16:17], -v[8:9]
	v_add_f64 v[6:7], v[6:7], -v[12:13]
	s_delay_alu instid0(VALU_DEP_2) | instskip(SKIP_1) | instid1(VALU_DEP_3)
	v_add_f64 v[22:23], v[16:17], -v[20:21]
	v_add_f64 v[12:13], v[14:15], -v[20:21]
	v_add_f64 v[14:15], v[10:11], v[6:7]
	s_delay_alu instid0(VALU_DEP_3) | instskip(NEXT) | instid1(VALU_DEP_1)
	v_add_f64 v[8:9], v[8:9], -v[22:23]
	v_add_f64 v[8:9], v[12:13], v[8:9]
	s_delay_alu instid0(VALU_DEP_3) | instskip(NEXT) | instid1(VALU_DEP_2)
	v_add_f64 v[12:13], v[14:15], -v[10:11]
	v_add_f64 v[8:9], v[14:15], v[8:9]
	s_delay_alu instid0(VALU_DEP_2) | instskip(SKIP_1) | instid1(VALU_DEP_3)
	v_add_f64 v[14:15], v[14:15], -v[12:13]
	v_add_f64 v[6:7], v[6:7], -v[12:13]
	v_add_f64 v[18:19], v[16:17], v[8:9]
	s_delay_alu instid0(VALU_DEP_3) | instskip(NEXT) | instid1(VALU_DEP_2)
	v_add_f64 v[10:11], v[10:11], -v[14:15]
	v_add_f64 v[12:13], v[18:19], -v[16:17]
	s_delay_alu instid0(VALU_DEP_2) | instskip(NEXT) | instid1(VALU_DEP_2)
	v_add_f64 v[6:7], v[6:7], v[10:11]
	v_add_f64 v[8:9], v[8:9], -v[12:13]
	s_delay_alu instid0(VALU_DEP_1) | instskip(NEXT) | instid1(VALU_DEP_1)
	v_add_f64 v[6:7], v[6:7], v[8:9]
	v_add_f64 v[6:7], v[18:19], v[6:7]
	s_delay_alu instid0(VALU_DEP_1) | instskip(SKIP_1) | instid1(VALU_DEP_2)
	v_dual_cndmask_b32 v7, v7, v5 :: v_dual_cndmask_b32 v6, v6, v4
	v_cmp_ngt_f64_e32 vcc_lo, -1.0, v[4:5]
	v_cndmask_b32_e32 v7, 0x7ff80000, v7, vcc_lo
	v_cmp_nge_f64_e32 vcc_lo, -1.0, v[4:5]
	s_delay_alu instid0(VALU_DEP_4) | instskip(SKIP_1) | instid1(VALU_DEP_4)
	v_cndmask_b32_e32 v6, 0, v6, vcc_lo
	v_cmp_neq_f64_e32 vcc_lo, -1.0, v[4:5]
	v_cndmask_b32_e32 v7, 0xfff00000, v7, vcc_lo
	s_delay_alu instid0(VALU_DEP_1)
	v_add_f64 v[4:5], v[0:1], v[6:7]
.LBB56_261:
	s_or_b32 exec_lo, exec_lo, s9
	s_delay_alu instid0(VALU_DEP_1)
	v_dual_mov_b32 v0, v4 :: v_dual_mov_b32 v1, v5
.LBB56_262:
	s_or_b32 exec_lo, exec_lo, s8
	s_delay_alu instid0(VALU_DEP_1) | instskip(SKIP_3) | instid1(VALU_DEP_4)
	v_max_f64 v[32:33], v[0:1], v[0:1]
	v_cmp_u_f64_e64 s16, v[0:1], v[0:1]
	v_cmp_u_f64_e32 vcc_lo, v[2:3], v[2:3]
	v_dual_mov_b32 v49, v1 :: v_dual_mov_b32 v48, v0
	v_min_f64 v[34:35], v[32:33], v[54:55]
	v_max_f64 v[36:37], v[32:33], v[54:55]
	s_delay_alu instid0(VALU_DEP_2) | instskip(NEXT) | instid1(VALU_DEP_3)
	v_cndmask_b32_e64 v4, v34, v0, s16
	v_cndmask_b32_e64 v5, v35, v1, s16
	s_delay_alu instid0(VALU_DEP_3) | instskip(NEXT) | instid1(VALU_DEP_4)
	v_cndmask_b32_e64 v8, v37, v1, s16
	v_cndmask_b32_e64 v9, v36, v0, s16
	s_delay_alu instid0(VALU_DEP_3) | instskip(NEXT) | instid1(VALU_DEP_2)
	v_dual_cndmask_b32 v6, v4, v2 :: v_dual_cndmask_b32 v7, v5, v3
	v_dual_cndmask_b32 v5, v8, v3 :: v_dual_cndmask_b32 v4, v9, v2
	s_delay_alu instid0(VALU_DEP_2) | instskip(NEXT) | instid1(VALU_DEP_2)
	v_cmp_class_f64_e64 s3, v[6:7], 0x1f8
	v_cmp_neq_f64_e64 s2, v[6:7], v[4:5]
	s_delay_alu instid0(VALU_DEP_1) | instskip(NEXT) | instid1(SALU_CYCLE_1)
	s_or_b32 s2, s2, s3
	s_and_saveexec_b32 s8, s2
	s_cbranch_execz .LBB56_264
; %bb.263:
	v_add_f64 v[6:7], v[6:7], -v[4:5]
	s_mov_b32 s2, 0x652b82fe
	s_mov_b32 s3, 0x3ff71547
	;; [unrolled: 1-line block ×10, first 2 shown]
	s_delay_alu instid0(VALU_DEP_1) | instskip(SKIP_2) | instid1(VALU_DEP_1)
	v_mul_f64 v[8:9], v[6:7], s[2:3]
	s_mov_b32 s2, 0xfca7ab0c
	s_mov_b32 s3, 0x3e928af3
	v_rndne_f64_e32 v[8:9], v[8:9]
	s_delay_alu instid0(VALU_DEP_1) | instskip(SKIP_2) | instid1(VALU_DEP_2)
	v_fma_f64 v[10:11], v[8:9], s[4:5], v[6:7]
	v_cvt_i32_f64_e32 v14, v[8:9]
	s_mov_b32 s5, 0x3fe62e42
	v_fma_f64 v[10:11], v[8:9], s[6:7], v[10:11]
	s_mov_b32 s7, 0x3c7abc9e
	s_delay_alu instid0(VALU_DEP_1) | instskip(SKIP_4) | instid1(VALU_DEP_1)
	v_fma_f64 v[12:13], v[10:11], s[10:11], s[2:3]
	s_mov_b32 s2, 0x623fde64
	s_mov_b32 s3, 0x3ec71dee
	;; [unrolled: 1-line block ×4, first 2 shown]
	v_fma_f64 v[12:13], v[10:11], v[12:13], s[2:3]
	s_mov_b32 s2, 0x7c89e6b0
	s_mov_b32 s3, 0x3efa0199
	s_delay_alu instid0(VALU_DEP_1) | instid1(SALU_CYCLE_1)
	v_fma_f64 v[12:13], v[10:11], v[12:13], s[2:3]
	s_mov_b32 s2, 0x14761f6e
	s_mov_b32 s3, 0x3f2a01a0
	s_delay_alu instid0(VALU_DEP_1) | instid1(SALU_CYCLE_1)
	v_fma_f64 v[12:13], v[10:11], v[12:13], s[2:3]
	s_mov_b32 s2, 0x1852b7b0
	s_mov_b32 s3, 0x3f56c16c
	s_delay_alu instid0(VALU_DEP_1) | instid1(SALU_CYCLE_1)
	v_fma_f64 v[12:13], v[10:11], v[12:13], s[2:3]
	s_mov_b32 s2, 0x11122322
	s_mov_b32 s3, 0x3f811111
	s_delay_alu instid0(VALU_DEP_1) | instid1(SALU_CYCLE_1)
	v_fma_f64 v[12:13], v[10:11], v[12:13], s[2:3]
	s_mov_b32 s2, 0x555502a1
	s_mov_b32 s3, 0x3fa55555
	s_delay_alu instid0(VALU_DEP_1) | instid1(SALU_CYCLE_1)
	v_fma_f64 v[12:13], v[10:11], v[12:13], s[2:3]
	s_mov_b32 s2, 0x55555511
	s_mov_b32 s3, 0x3fc55555
	s_delay_alu instid0(VALU_DEP_1) | instid1(SALU_CYCLE_1)
	v_fma_f64 v[12:13], v[10:11], v[12:13], s[2:3]
	s_mov_b32 s2, 11
	s_mov_b32 s3, 0x3fe00000
	s_delay_alu instid0(VALU_DEP_1) | instid1(SALU_CYCLE_1)
	v_fma_f64 v[12:13], v[10:11], v[12:13], s[2:3]
	v_cmp_nlt_f64_e64 s2, 0x40900000, v[6:7]
	v_cmp_ngt_f64_e64 s3, 0xc090cc00, v[6:7]
	s_delay_alu instid0(VALU_DEP_3) | instskip(NEXT) | instid1(VALU_DEP_1)
	v_fma_f64 v[12:13], v[10:11], v[12:13], 1.0
	v_fma_f64 v[8:9], v[10:11], v[12:13], 1.0
	s_delay_alu instid0(VALU_DEP_1) | instskip(NEXT) | instid1(VALU_DEP_1)
	v_ldexp_f64 v[8:9], v[8:9], v14
	v_cndmask_b32_e64 v9, 0x7ff00000, v9, s2
	s_and_b32 s2, s3, s2
	s_delay_alu instid0(VALU_DEP_2) | instid1(SALU_CYCLE_1)
	v_cndmask_b32_e64 v6, 0, v8, s2
	s_mov_b32 s2, 0x55555555
	s_delay_alu instid0(VALU_DEP_2) | instskip(SKIP_1) | instid1(VALU_DEP_1)
	v_cndmask_b32_e64 v7, 0, v9, s3
	s_mov_b32 s3, 0x3fe55555
	v_add_f64 v[8:9], v[6:7], 1.0
	s_delay_alu instid0(VALU_DEP_1) | instskip(SKIP_2) | instid1(VALU_DEP_3)
	v_frexp_mant_f64_e32 v[10:11], v[8:9]
	v_frexp_exp_i32_f64_e32 v14, v[8:9]
	v_add_f64 v[12:13], v[8:9], -1.0
	v_cmp_gt_f64_e64 s2, s[2:3], v[10:11]
	s_delay_alu instid0(VALU_DEP_2) | instskip(SKIP_1) | instid1(VALU_DEP_3)
	v_add_f64 v[10:11], v[12:13], -v[8:9]
	v_add_f64 v[12:13], v[6:7], -v[12:13]
	v_subrev_co_ci_u32_e64 v30, s2, 0, v14, s2
	s_delay_alu instid0(VALU_DEP_3) | instskip(SKIP_1) | instid1(VALU_DEP_2)
	v_add_f64 v[10:11], v[10:11], 1.0
	s_mov_b32 s2, 0x55555780
	v_sub_nc_u32_e32 v16, 0, v30
	s_delay_alu instid0(VALU_DEP_1) | instskip(NEXT) | instid1(VALU_DEP_3)
	v_ldexp_f64 v[8:9], v[8:9], v16
	v_add_f64 v[10:11], v[12:13], v[10:11]
	s_delay_alu instid0(VALU_DEP_2) | instskip(SKIP_1) | instid1(VALU_DEP_3)
	v_add_f64 v[14:15], v[8:9], 1.0
	v_add_f64 v[20:21], v[8:9], -1.0
	v_ldexp_f64 v[10:11], v[10:11], v16
	s_delay_alu instid0(VALU_DEP_3) | instskip(NEXT) | instid1(VALU_DEP_3)
	v_add_f64 v[12:13], v[14:15], -1.0
	v_add_f64 v[22:23], v[20:21], 1.0
	s_delay_alu instid0(VALU_DEP_2) | instskip(NEXT) | instid1(VALU_DEP_2)
	v_add_f64 v[12:13], v[8:9], -v[12:13]
	v_add_f64 v[8:9], v[8:9], -v[22:23]
	s_delay_alu instid0(VALU_DEP_2) | instskip(NEXT) | instid1(VALU_DEP_2)
	v_add_f64 v[12:13], v[10:11], v[12:13]
	v_add_f64 v[8:9], v[10:11], v[8:9]
	s_delay_alu instid0(VALU_DEP_2) | instskip(NEXT) | instid1(VALU_DEP_2)
	v_add_f64 v[16:17], v[14:15], v[12:13]
	v_add_f64 v[22:23], v[20:21], v[8:9]
	s_delay_alu instid0(VALU_DEP_2) | instskip(SKIP_1) | instid1(VALU_DEP_2)
	v_rcp_f64_e32 v[18:19], v[16:17]
	v_add_f64 v[14:15], v[16:17], -v[14:15]
	v_add_f64 v[20:21], v[22:23], -v[20:21]
	s_delay_alu instid0(VALU_DEP_2) | instskip(SKIP_3) | instid1(VALU_DEP_2)
	v_add_f64 v[12:13], v[12:13], -v[14:15]
	s_waitcnt_depctr 0xfff
	v_fma_f64 v[24:25], -v[16:17], v[18:19], 1.0
	v_add_f64 v[8:9], v[8:9], -v[20:21]
	v_fma_f64 v[18:19], v[24:25], v[18:19], v[18:19]
	s_delay_alu instid0(VALU_DEP_1) | instskip(NEXT) | instid1(VALU_DEP_1)
	v_fma_f64 v[10:11], -v[16:17], v[18:19], 1.0
	v_fma_f64 v[10:11], v[10:11], v[18:19], v[18:19]
	s_delay_alu instid0(VALU_DEP_1) | instskip(NEXT) | instid1(VALU_DEP_1)
	v_mul_f64 v[18:19], v[22:23], v[10:11]
	v_mul_f64 v[24:25], v[16:17], v[18:19]
	s_delay_alu instid0(VALU_DEP_1) | instskip(NEXT) | instid1(VALU_DEP_1)
	v_fma_f64 v[14:15], v[18:19], v[16:17], -v[24:25]
	v_fma_f64 v[14:15], v[18:19], v[12:13], v[14:15]
	s_delay_alu instid0(VALU_DEP_1) | instskip(NEXT) | instid1(VALU_DEP_1)
	v_add_f64 v[26:27], v[24:25], v[14:15]
	v_add_f64 v[28:29], v[22:23], -v[26:27]
	v_add_f64 v[20:21], v[26:27], -v[24:25]
	s_delay_alu instid0(VALU_DEP_2) | instskip(NEXT) | instid1(VALU_DEP_2)
	v_add_f64 v[22:23], v[22:23], -v[28:29]
	v_add_f64 v[14:15], v[20:21], -v[14:15]
	s_delay_alu instid0(VALU_DEP_2) | instskip(NEXT) | instid1(VALU_DEP_1)
	v_add_f64 v[22:23], v[22:23], -v[26:27]
	v_add_f64 v[8:9], v[8:9], v[22:23]
	s_delay_alu instid0(VALU_DEP_1) | instskip(NEXT) | instid1(VALU_DEP_1)
	v_add_f64 v[8:9], v[14:15], v[8:9]
	v_add_f64 v[14:15], v[28:29], v[8:9]
	s_delay_alu instid0(VALU_DEP_1) | instskip(SKIP_1) | instid1(VALU_DEP_2)
	v_mul_f64 v[20:21], v[10:11], v[14:15]
	v_add_f64 v[26:27], v[28:29], -v[14:15]
	v_mul_f64 v[22:23], v[16:17], v[20:21]
	s_delay_alu instid0(VALU_DEP_2) | instskip(NEXT) | instid1(VALU_DEP_2)
	v_add_f64 v[8:9], v[8:9], v[26:27]
	v_fma_f64 v[16:17], v[20:21], v[16:17], -v[22:23]
	s_delay_alu instid0(VALU_DEP_1) | instskip(NEXT) | instid1(VALU_DEP_1)
	v_fma_f64 v[12:13], v[20:21], v[12:13], v[16:17]
	v_add_f64 v[16:17], v[22:23], v[12:13]
	s_delay_alu instid0(VALU_DEP_1) | instskip(SKIP_1) | instid1(VALU_DEP_2)
	v_add_f64 v[24:25], v[14:15], -v[16:17]
	v_add_f64 v[22:23], v[16:17], -v[22:23]
	;; [unrolled: 1-line block ×3, first 2 shown]
	s_delay_alu instid0(VALU_DEP_2) | instskip(NEXT) | instid1(VALU_DEP_2)
	v_add_f64 v[12:13], v[22:23], -v[12:13]
	v_add_f64 v[14:15], v[14:15], -v[16:17]
	s_delay_alu instid0(VALU_DEP_1) | instskip(SKIP_1) | instid1(VALU_DEP_2)
	v_add_f64 v[8:9], v[8:9], v[14:15]
	v_add_f64 v[14:15], v[18:19], v[20:21]
	;; [unrolled: 1-line block ×3, first 2 shown]
	s_delay_alu instid0(VALU_DEP_2) | instskip(NEXT) | instid1(VALU_DEP_2)
	v_add_f64 v[12:13], v[14:15], -v[18:19]
	v_add_f64 v[8:9], v[24:25], v[8:9]
	s_delay_alu instid0(VALU_DEP_2) | instskip(NEXT) | instid1(VALU_DEP_2)
	v_add_f64 v[12:13], v[20:21], -v[12:13]
	v_mul_f64 v[8:9], v[10:11], v[8:9]
	s_delay_alu instid0(VALU_DEP_1) | instskip(NEXT) | instid1(VALU_DEP_1)
	v_add_f64 v[8:9], v[12:13], v[8:9]
	v_add_f64 v[10:11], v[14:15], v[8:9]
	s_delay_alu instid0(VALU_DEP_1) | instskip(NEXT) | instid1(VALU_DEP_1)
	v_mul_f64 v[12:13], v[10:11], v[10:11]
	v_fma_f64 v[16:17], v[12:13], s[12:13], s[10:11]
	s_mov_b32 s10, 0xd7f4df2e
	s_mov_b32 s11, 0x3fc7474d
	v_mul_f64 v[18:19], v[10:11], v[12:13]
	s_delay_alu instid0(VALU_DEP_2)
	v_fma_f64 v[16:17], v[12:13], v[16:17], s[10:11]
	s_mov_b32 s10, 0x16291751
	s_mov_b32 s11, 0x3fcc71c0
	s_delay_alu instid0(VALU_DEP_1) | instid1(SALU_CYCLE_1)
	v_fma_f64 v[16:17], v[12:13], v[16:17], s[10:11]
	s_mov_b32 s10, 0x9b27acf1
	s_mov_b32 s11, 0x3fd24924
	s_delay_alu instid0(VALU_DEP_1) | instid1(SALU_CYCLE_1)
	;; [unrolled: 4-line block ×3, first 2 shown]
	v_fma_f64 v[16:17], v[12:13], v[16:17], s[10:11]
	s_delay_alu instid0(VALU_DEP_1) | instskip(SKIP_3) | instid1(VALU_DEP_4)
	v_fma_f64 v[12:13], v[12:13], v[16:17], s[2:3]
	v_ldexp_f64 v[16:17], v[10:11], 1
	v_add_f64 v[10:11], v[10:11], -v[14:15]
	v_cmp_eq_f64_e64 s2, 0x7ff00000, v[6:7]
	v_mul_f64 v[12:13], v[18:19], v[12:13]
	v_cvt_f64_i32_e32 v[18:19], v30
	s_delay_alu instid0(VALU_DEP_4) | instskip(NEXT) | instid1(VALU_DEP_3)
	v_add_f64 v[8:9], v[8:9], -v[10:11]
	v_add_f64 v[14:15], v[16:17], v[12:13]
	s_delay_alu instid0(VALU_DEP_3) | instskip(NEXT) | instid1(VALU_DEP_3)
	v_mul_f64 v[20:21], v[18:19], s[4:5]
	v_ldexp_f64 v[8:9], v[8:9], 1
	s_delay_alu instid0(VALU_DEP_3) | instskip(NEXT) | instid1(VALU_DEP_3)
	v_add_f64 v[10:11], v[14:15], -v[16:17]
	v_fma_f64 v[16:17], v[18:19], s[4:5], -v[20:21]
	s_delay_alu instid0(VALU_DEP_2) | instskip(NEXT) | instid1(VALU_DEP_2)
	v_add_f64 v[10:11], v[12:13], -v[10:11]
	v_fma_f64 v[12:13], v[18:19], s[6:7], v[16:17]
	s_delay_alu instid0(VALU_DEP_2) | instskip(NEXT) | instid1(VALU_DEP_2)
	v_add_f64 v[8:9], v[8:9], v[10:11]
	v_add_f64 v[10:11], v[20:21], v[12:13]
	s_delay_alu instid0(VALU_DEP_2) | instskip(NEXT) | instid1(VALU_DEP_2)
	v_add_f64 v[16:17], v[14:15], v[8:9]
	v_add_f64 v[20:21], v[10:11], -v[20:21]
	s_delay_alu instid0(VALU_DEP_2) | instskip(SKIP_1) | instid1(VALU_DEP_3)
	v_add_f64 v[18:19], v[10:11], v[16:17]
	v_add_f64 v[14:15], v[16:17], -v[14:15]
	v_add_f64 v[12:13], v[12:13], -v[20:21]
	s_delay_alu instid0(VALU_DEP_3) | instskip(NEXT) | instid1(VALU_DEP_3)
	v_add_f64 v[22:23], v[18:19], -v[10:11]
	v_add_f64 v[8:9], v[8:9], -v[14:15]
	s_delay_alu instid0(VALU_DEP_2) | instskip(SKIP_1) | instid1(VALU_DEP_3)
	v_add_f64 v[24:25], v[18:19], -v[22:23]
	v_add_f64 v[14:15], v[16:17], -v[22:23]
	v_add_f64 v[16:17], v[12:13], v[8:9]
	s_delay_alu instid0(VALU_DEP_3) | instskip(NEXT) | instid1(VALU_DEP_1)
	v_add_f64 v[10:11], v[10:11], -v[24:25]
	v_add_f64 v[10:11], v[14:15], v[10:11]
	s_delay_alu instid0(VALU_DEP_3) | instskip(NEXT) | instid1(VALU_DEP_2)
	v_add_f64 v[14:15], v[16:17], -v[12:13]
	v_add_f64 v[10:11], v[16:17], v[10:11]
	s_delay_alu instid0(VALU_DEP_2) | instskip(SKIP_1) | instid1(VALU_DEP_3)
	v_add_f64 v[16:17], v[16:17], -v[14:15]
	v_add_f64 v[8:9], v[8:9], -v[14:15]
	v_add_f64 v[20:21], v[18:19], v[10:11]
	s_delay_alu instid0(VALU_DEP_3) | instskip(NEXT) | instid1(VALU_DEP_2)
	v_add_f64 v[12:13], v[12:13], -v[16:17]
	v_add_f64 v[14:15], v[20:21], -v[18:19]
	s_delay_alu instid0(VALU_DEP_2) | instskip(NEXT) | instid1(VALU_DEP_2)
	v_add_f64 v[8:9], v[8:9], v[12:13]
	v_add_f64 v[10:11], v[10:11], -v[14:15]
	s_delay_alu instid0(VALU_DEP_1) | instskip(NEXT) | instid1(VALU_DEP_1)
	v_add_f64 v[8:9], v[8:9], v[10:11]
	v_add_f64 v[8:9], v[20:21], v[8:9]
	s_delay_alu instid0(VALU_DEP_1) | instskip(NEXT) | instid1(VALU_DEP_2)
	v_cndmask_b32_e64 v8, v8, v6, s2
	v_cndmask_b32_e64 v9, v9, v7, s2
	v_cmp_ngt_f64_e64 s2, -1.0, v[6:7]
	s_delay_alu instid0(VALU_DEP_1) | instskip(SKIP_1) | instid1(VALU_DEP_1)
	v_cndmask_b32_e64 v9, 0x7ff80000, v9, s2
	v_cmp_nge_f64_e64 s2, -1.0, v[6:7]
	v_cndmask_b32_e64 v8, 0, v8, s2
	v_cmp_neq_f64_e64 s2, -1.0, v[6:7]
	s_delay_alu instid0(VALU_DEP_1) | instskip(NEXT) | instid1(VALU_DEP_1)
	v_cndmask_b32_e64 v9, 0xfff00000, v9, s2
	v_add_f64 v[48:49], v[4:5], v[8:9]
.LBB56_264:
	s_or_b32 exec_lo, exec_lo, s8
	v_max_f64 v[4:5], v[112:113], v[112:113]
	s_delay_alu instid0(VALU_DEP_2) | instskip(SKIP_2) | instid1(VALU_DEP_3)
	v_max_f64 v[6:7], v[48:49], v[48:49]
	v_cmp_u_f64_e64 s3, v[48:49], v[48:49]
	v_cmp_u_f64_e64 s2, v[112:113], v[112:113]
	v_min_f64 v[8:9], v[6:7], v[4:5]
	v_max_f64 v[6:7], v[6:7], v[4:5]
	s_delay_alu instid0(VALU_DEP_2) | instskip(NEXT) | instid1(VALU_DEP_3)
	v_cndmask_b32_e64 v8, v8, v48, s3
	v_cndmask_b32_e64 v9, v9, v49, s3
	s_delay_alu instid0(VALU_DEP_3) | instskip(NEXT) | instid1(VALU_DEP_4)
	v_cndmask_b32_e64 v7, v7, v49, s3
	v_cndmask_b32_e64 v6, v6, v48, s3
	s_delay_alu instid0(VALU_DEP_4) | instskip(NEXT) | instid1(VALU_DEP_4)
	v_cndmask_b32_e64 v8, v8, v112, s2
	v_cndmask_b32_e64 v9, v9, v113, s2
	s_delay_alu instid0(VALU_DEP_4) | instskip(NEXT) | instid1(VALU_DEP_4)
	v_cndmask_b32_e64 v7, v7, v113, s2
	v_cndmask_b32_e64 v6, v6, v112, s2
	s_delay_alu instid0(VALU_DEP_3) | instskip(NEXT) | instid1(VALU_DEP_2)
	v_cmp_class_f64_e64 s4, v[8:9], 0x1f8
	v_cmp_neq_f64_e64 s3, v[8:9], v[6:7]
	s_delay_alu instid0(VALU_DEP_1) | instskip(NEXT) | instid1(SALU_CYCLE_1)
	s_or_b32 s3, s3, s4
	s_and_saveexec_b32 s10, s3
	s_cbranch_execz .LBB56_266
; %bb.265:
	v_add_f64 v[8:9], v[8:9], -v[6:7]
	s_mov_b32 s4, 0x652b82fe
	s_mov_b32 s5, 0x3ff71547
	;; [unrolled: 1-line block ×10, first 2 shown]
	s_delay_alu instid0(VALU_DEP_1) | instskip(SKIP_3) | instid1(VALU_DEP_2)
	v_mul_f64 v[10:11], v[8:9], s[4:5]
	s_mov_b32 s4, 0xfca7ab0c
	s_mov_b32 s5, 0x3e928af3
	v_cmp_nlt_f64_e64 s3, 0x40900000, v[8:9]
	v_rndne_f64_e32 v[10:11], v[10:11]
	s_delay_alu instid0(VALU_DEP_1) | instskip(SKIP_2) | instid1(VALU_DEP_2)
	v_fma_f64 v[12:13], v[10:11], s[6:7], v[8:9]
	v_cvt_i32_f64_e32 v16, v[10:11]
	s_mov_b32 s7, 0x3fe62e42
	v_fma_f64 v[12:13], v[10:11], s[8:9], v[12:13]
	s_mov_b32 s9, 0x3c7abc9e
	s_delay_alu instid0(VALU_DEP_1) | instskip(SKIP_4) | instid1(VALU_DEP_1)
	v_fma_f64 v[14:15], v[12:13], s[12:13], s[4:5]
	s_mov_b32 s4, 0x623fde64
	s_mov_b32 s5, 0x3ec71dee
	;; [unrolled: 1-line block ×4, first 2 shown]
	v_fma_f64 v[14:15], v[12:13], v[14:15], s[4:5]
	s_mov_b32 s4, 0x7c89e6b0
	s_mov_b32 s5, 0x3efa0199
	s_delay_alu instid0(VALU_DEP_1) | instid1(SALU_CYCLE_1)
	v_fma_f64 v[14:15], v[12:13], v[14:15], s[4:5]
	s_mov_b32 s4, 0x14761f6e
	s_mov_b32 s5, 0x3f2a01a0
	s_delay_alu instid0(VALU_DEP_1) | instid1(SALU_CYCLE_1)
	;; [unrolled: 4-line block ×7, first 2 shown]
	v_fma_f64 v[14:15], v[12:13], v[14:15], s[4:5]
	v_cmp_ngt_f64_e64 s4, 0xc090cc00, v[8:9]
	s_mov_b32 s5, 0x3fe55555
	s_delay_alu instid0(VALU_DEP_2) | instskip(NEXT) | instid1(VALU_DEP_1)
	v_fma_f64 v[14:15], v[12:13], v[14:15], 1.0
	v_fma_f64 v[10:11], v[12:13], v[14:15], 1.0
	s_delay_alu instid0(VALU_DEP_1) | instskip(NEXT) | instid1(VALU_DEP_1)
	v_ldexp_f64 v[10:11], v[10:11], v16
	v_cndmask_b32_e64 v11, 0x7ff00000, v11, s3
	s_and_b32 s3, s4, s3
	s_delay_alu instid0(VALU_DEP_2) | instid1(SALU_CYCLE_1)
	v_cndmask_b32_e64 v8, 0, v10, s3
	s_delay_alu instid0(VALU_DEP_2) | instskip(SKIP_1) | instid1(VALU_DEP_1)
	v_cndmask_b32_e64 v9, 0, v11, s4
	s_mov_b32 s4, 0x55555555
	v_add_f64 v[10:11], v[8:9], 1.0
	s_delay_alu instid0(VALU_DEP_1) | instskip(SKIP_2) | instid1(VALU_DEP_3)
	v_frexp_mant_f64_e32 v[12:13], v[10:11]
	v_frexp_exp_i32_f64_e32 v16, v[10:11]
	v_add_f64 v[14:15], v[10:11], -1.0
	v_cmp_gt_f64_e64 s3, s[4:5], v[12:13]
	s_mov_b32 s4, 0x55555780
	s_delay_alu instid0(VALU_DEP_2) | instskip(SKIP_1) | instid1(VALU_DEP_3)
	v_add_f64 v[12:13], v[14:15], -v[10:11]
	v_add_f64 v[14:15], v[8:9], -v[14:15]
	v_subrev_co_ci_u32_e64 v48, s3, 0, v16, s3
	s_delay_alu instid0(VALU_DEP_3) | instskip(SKIP_1) | instid1(VALU_DEP_3)
	v_add_f64 v[12:13], v[12:13], 1.0
	v_cmp_eq_f64_e64 s3, 0x7ff00000, v[8:9]
	v_sub_nc_u32_e32 v18, 0, v48
	s_delay_alu instid0(VALU_DEP_1) | instskip(NEXT) | instid1(VALU_DEP_4)
	v_ldexp_f64 v[10:11], v[10:11], v18
	v_add_f64 v[12:13], v[14:15], v[12:13]
	s_delay_alu instid0(VALU_DEP_2) | instskip(SKIP_1) | instid1(VALU_DEP_3)
	v_add_f64 v[16:17], v[10:11], 1.0
	v_add_f64 v[22:23], v[10:11], -1.0
	v_ldexp_f64 v[12:13], v[12:13], v18
	s_delay_alu instid0(VALU_DEP_3) | instskip(NEXT) | instid1(VALU_DEP_3)
	v_add_f64 v[14:15], v[16:17], -1.0
	v_add_f64 v[24:25], v[22:23], 1.0
	s_delay_alu instid0(VALU_DEP_2) | instskip(NEXT) | instid1(VALU_DEP_2)
	v_add_f64 v[14:15], v[10:11], -v[14:15]
	v_add_f64 v[10:11], v[10:11], -v[24:25]
	s_delay_alu instid0(VALU_DEP_2) | instskip(NEXT) | instid1(VALU_DEP_2)
	v_add_f64 v[14:15], v[12:13], v[14:15]
	v_add_f64 v[10:11], v[12:13], v[10:11]
	s_delay_alu instid0(VALU_DEP_2) | instskip(NEXT) | instid1(VALU_DEP_2)
	v_add_f64 v[18:19], v[16:17], v[14:15]
	v_add_f64 v[24:25], v[22:23], v[10:11]
	s_delay_alu instid0(VALU_DEP_2) | instskip(SKIP_1) | instid1(VALU_DEP_2)
	v_rcp_f64_e32 v[20:21], v[18:19]
	v_add_f64 v[16:17], v[18:19], -v[16:17]
	v_add_f64 v[22:23], v[24:25], -v[22:23]
	s_delay_alu instid0(VALU_DEP_2) | instskip(SKIP_3) | instid1(VALU_DEP_2)
	v_add_f64 v[14:15], v[14:15], -v[16:17]
	s_waitcnt_depctr 0xfff
	v_fma_f64 v[26:27], -v[18:19], v[20:21], 1.0
	v_add_f64 v[10:11], v[10:11], -v[22:23]
	v_fma_f64 v[20:21], v[26:27], v[20:21], v[20:21]
	s_delay_alu instid0(VALU_DEP_1) | instskip(NEXT) | instid1(VALU_DEP_1)
	v_fma_f64 v[12:13], -v[18:19], v[20:21], 1.0
	v_fma_f64 v[12:13], v[12:13], v[20:21], v[20:21]
	s_delay_alu instid0(VALU_DEP_1) | instskip(NEXT) | instid1(VALU_DEP_1)
	v_mul_f64 v[20:21], v[24:25], v[12:13]
	v_mul_f64 v[26:27], v[18:19], v[20:21]
	s_delay_alu instid0(VALU_DEP_1) | instskip(NEXT) | instid1(VALU_DEP_1)
	v_fma_f64 v[16:17], v[20:21], v[18:19], -v[26:27]
	v_fma_f64 v[16:17], v[20:21], v[14:15], v[16:17]
	s_delay_alu instid0(VALU_DEP_1) | instskip(NEXT) | instid1(VALU_DEP_1)
	v_add_f64 v[28:29], v[26:27], v[16:17]
	v_add_f64 v[30:31], v[24:25], -v[28:29]
	v_add_f64 v[22:23], v[28:29], -v[26:27]
	s_delay_alu instid0(VALU_DEP_2) | instskip(NEXT) | instid1(VALU_DEP_2)
	v_add_f64 v[24:25], v[24:25], -v[30:31]
	v_add_f64 v[16:17], v[22:23], -v[16:17]
	s_delay_alu instid0(VALU_DEP_2) | instskip(NEXT) | instid1(VALU_DEP_1)
	v_add_f64 v[24:25], v[24:25], -v[28:29]
	v_add_f64 v[10:11], v[10:11], v[24:25]
	s_delay_alu instid0(VALU_DEP_1) | instskip(NEXT) | instid1(VALU_DEP_1)
	v_add_f64 v[10:11], v[16:17], v[10:11]
	v_add_f64 v[16:17], v[30:31], v[10:11]
	s_delay_alu instid0(VALU_DEP_1) | instskip(SKIP_1) | instid1(VALU_DEP_2)
	v_mul_f64 v[22:23], v[12:13], v[16:17]
	v_add_f64 v[28:29], v[30:31], -v[16:17]
	v_mul_f64 v[24:25], v[18:19], v[22:23]
	s_delay_alu instid0(VALU_DEP_2) | instskip(NEXT) | instid1(VALU_DEP_2)
	v_add_f64 v[10:11], v[10:11], v[28:29]
	v_fma_f64 v[18:19], v[22:23], v[18:19], -v[24:25]
	s_delay_alu instid0(VALU_DEP_1) | instskip(NEXT) | instid1(VALU_DEP_1)
	v_fma_f64 v[14:15], v[22:23], v[14:15], v[18:19]
	v_add_f64 v[18:19], v[24:25], v[14:15]
	s_delay_alu instid0(VALU_DEP_1) | instskip(SKIP_1) | instid1(VALU_DEP_2)
	v_add_f64 v[26:27], v[16:17], -v[18:19]
	v_add_f64 v[24:25], v[18:19], -v[24:25]
	;; [unrolled: 1-line block ×3, first 2 shown]
	s_delay_alu instid0(VALU_DEP_2) | instskip(NEXT) | instid1(VALU_DEP_2)
	v_add_f64 v[14:15], v[24:25], -v[14:15]
	v_add_f64 v[16:17], v[16:17], -v[18:19]
	s_delay_alu instid0(VALU_DEP_1) | instskip(SKIP_1) | instid1(VALU_DEP_2)
	v_add_f64 v[10:11], v[10:11], v[16:17]
	v_add_f64 v[16:17], v[20:21], v[22:23]
	v_add_f64 v[10:11], v[14:15], v[10:11]
	s_delay_alu instid0(VALU_DEP_2) | instskip(NEXT) | instid1(VALU_DEP_2)
	v_add_f64 v[14:15], v[16:17], -v[20:21]
	v_add_f64 v[10:11], v[26:27], v[10:11]
	s_delay_alu instid0(VALU_DEP_2) | instskip(NEXT) | instid1(VALU_DEP_2)
	v_add_f64 v[14:15], v[22:23], -v[14:15]
	v_mul_f64 v[10:11], v[12:13], v[10:11]
	s_delay_alu instid0(VALU_DEP_1) | instskip(NEXT) | instid1(VALU_DEP_1)
	v_add_f64 v[10:11], v[14:15], v[10:11]
	v_add_f64 v[12:13], v[16:17], v[10:11]
	s_delay_alu instid0(VALU_DEP_1) | instskip(NEXT) | instid1(VALU_DEP_1)
	v_mul_f64 v[14:15], v[12:13], v[12:13]
	v_fma_f64 v[18:19], v[14:15], s[14:15], s[12:13]
	s_mov_b32 s12, 0xd7f4df2e
	s_mov_b32 s13, 0x3fc7474d
	v_mul_f64 v[20:21], v[12:13], v[14:15]
	s_delay_alu instid0(VALU_DEP_2)
	v_fma_f64 v[18:19], v[14:15], v[18:19], s[12:13]
	s_mov_b32 s12, 0x16291751
	s_mov_b32 s13, 0x3fcc71c0
	s_delay_alu instid0(VALU_DEP_1) | instid1(SALU_CYCLE_1)
	v_fma_f64 v[18:19], v[14:15], v[18:19], s[12:13]
	s_mov_b32 s12, 0x9b27acf1
	s_mov_b32 s13, 0x3fd24924
	s_delay_alu instid0(VALU_DEP_1) | instid1(SALU_CYCLE_1)
	;; [unrolled: 4-line block ×3, first 2 shown]
	v_fma_f64 v[18:19], v[14:15], v[18:19], s[12:13]
	s_delay_alu instid0(VALU_DEP_1) | instskip(SKIP_2) | instid1(VALU_DEP_3)
	v_fma_f64 v[14:15], v[14:15], v[18:19], s[4:5]
	v_ldexp_f64 v[18:19], v[12:13], 1
	v_add_f64 v[12:13], v[12:13], -v[16:17]
	v_mul_f64 v[14:15], v[20:21], v[14:15]
	v_cvt_f64_i32_e32 v[20:21], v48
	s_delay_alu instid0(VALU_DEP_3) | instskip(NEXT) | instid1(VALU_DEP_3)
	v_add_f64 v[10:11], v[10:11], -v[12:13]
	v_add_f64 v[16:17], v[18:19], v[14:15]
	s_delay_alu instid0(VALU_DEP_3) | instskip(NEXT) | instid1(VALU_DEP_3)
	v_mul_f64 v[22:23], v[20:21], s[6:7]
	v_ldexp_f64 v[10:11], v[10:11], 1
	s_delay_alu instid0(VALU_DEP_3) | instskip(NEXT) | instid1(VALU_DEP_3)
	v_add_f64 v[12:13], v[16:17], -v[18:19]
	v_fma_f64 v[18:19], v[20:21], s[6:7], -v[22:23]
	s_delay_alu instid0(VALU_DEP_2) | instskip(NEXT) | instid1(VALU_DEP_2)
	v_add_f64 v[12:13], v[14:15], -v[12:13]
	v_fma_f64 v[14:15], v[20:21], s[8:9], v[18:19]
	s_delay_alu instid0(VALU_DEP_2) | instskip(NEXT) | instid1(VALU_DEP_2)
	v_add_f64 v[10:11], v[10:11], v[12:13]
	v_add_f64 v[12:13], v[22:23], v[14:15]
	s_delay_alu instid0(VALU_DEP_2) | instskip(NEXT) | instid1(VALU_DEP_2)
	v_add_f64 v[18:19], v[16:17], v[10:11]
	v_add_f64 v[22:23], v[12:13], -v[22:23]
	s_delay_alu instid0(VALU_DEP_2) | instskip(SKIP_1) | instid1(VALU_DEP_3)
	v_add_f64 v[20:21], v[12:13], v[18:19]
	v_add_f64 v[16:17], v[18:19], -v[16:17]
	v_add_f64 v[14:15], v[14:15], -v[22:23]
	s_delay_alu instid0(VALU_DEP_3) | instskip(NEXT) | instid1(VALU_DEP_3)
	v_add_f64 v[24:25], v[20:21], -v[12:13]
	v_add_f64 v[10:11], v[10:11], -v[16:17]
	s_delay_alu instid0(VALU_DEP_2) | instskip(SKIP_1) | instid1(VALU_DEP_3)
	v_add_f64 v[26:27], v[20:21], -v[24:25]
	v_add_f64 v[16:17], v[18:19], -v[24:25]
	v_add_f64 v[18:19], v[14:15], v[10:11]
	s_delay_alu instid0(VALU_DEP_3) | instskip(NEXT) | instid1(VALU_DEP_1)
	v_add_f64 v[12:13], v[12:13], -v[26:27]
	v_add_f64 v[12:13], v[16:17], v[12:13]
	s_delay_alu instid0(VALU_DEP_3) | instskip(NEXT) | instid1(VALU_DEP_2)
	v_add_f64 v[16:17], v[18:19], -v[14:15]
	v_add_f64 v[12:13], v[18:19], v[12:13]
	s_delay_alu instid0(VALU_DEP_2) | instskip(SKIP_1) | instid1(VALU_DEP_3)
	v_add_f64 v[18:19], v[18:19], -v[16:17]
	v_add_f64 v[10:11], v[10:11], -v[16:17]
	v_add_f64 v[22:23], v[20:21], v[12:13]
	s_delay_alu instid0(VALU_DEP_3) | instskip(NEXT) | instid1(VALU_DEP_2)
	v_add_f64 v[14:15], v[14:15], -v[18:19]
	v_add_f64 v[16:17], v[22:23], -v[20:21]
	s_delay_alu instid0(VALU_DEP_2) | instskip(NEXT) | instid1(VALU_DEP_2)
	v_add_f64 v[10:11], v[10:11], v[14:15]
	v_add_f64 v[12:13], v[12:13], -v[16:17]
	s_delay_alu instid0(VALU_DEP_1) | instskip(NEXT) | instid1(VALU_DEP_1)
	v_add_f64 v[10:11], v[10:11], v[12:13]
	v_add_f64 v[10:11], v[22:23], v[10:11]
	s_delay_alu instid0(VALU_DEP_1) | instskip(NEXT) | instid1(VALU_DEP_2)
	v_cndmask_b32_e64 v10, v10, v8, s3
	v_cndmask_b32_e64 v11, v11, v9, s3
	v_cmp_ngt_f64_e64 s3, -1.0, v[8:9]
	s_delay_alu instid0(VALU_DEP_1) | instskip(SKIP_1) | instid1(VALU_DEP_1)
	v_cndmask_b32_e64 v11, 0x7ff80000, v11, s3
	v_cmp_nge_f64_e64 s3, -1.0, v[8:9]
	v_cndmask_b32_e64 v10, 0, v10, s3
	v_cmp_neq_f64_e64 s3, -1.0, v[8:9]
	s_delay_alu instid0(VALU_DEP_1) | instskip(NEXT) | instid1(VALU_DEP_1)
	v_cndmask_b32_e64 v11, 0xfff00000, v11, s3
	v_add_f64 v[48:49], v[6:7], v[10:11]
.LBB56_266:
	s_or_b32 exec_lo, exec_lo, s10
	v_max_f64 v[6:7], v[114:115], v[114:115]
	s_delay_alu instid0(VALU_DEP_2) | instskip(SKIP_2) | instid1(VALU_DEP_3)
	v_max_f64 v[8:9], v[48:49], v[48:49]
	v_cmp_u_f64_e64 s4, v[48:49], v[48:49]
	v_cmp_u_f64_e64 s3, v[114:115], v[114:115]
	v_min_f64 v[10:11], v[8:9], v[6:7]
	v_max_f64 v[8:9], v[8:9], v[6:7]
	s_delay_alu instid0(VALU_DEP_2) | instskip(NEXT) | instid1(VALU_DEP_3)
	v_cndmask_b32_e64 v10, v10, v48, s4
	v_cndmask_b32_e64 v11, v11, v49, s4
	s_delay_alu instid0(VALU_DEP_3) | instskip(NEXT) | instid1(VALU_DEP_4)
	v_cndmask_b32_e64 v9, v9, v49, s4
	v_cndmask_b32_e64 v8, v8, v48, s4
	s_delay_alu instid0(VALU_DEP_4) | instskip(NEXT) | instid1(VALU_DEP_4)
	v_cndmask_b32_e64 v10, v10, v114, s3
	v_cndmask_b32_e64 v11, v11, v115, s3
	s_delay_alu instid0(VALU_DEP_4) | instskip(NEXT) | instid1(VALU_DEP_4)
	v_cndmask_b32_e64 v9, v9, v115, s3
	v_cndmask_b32_e64 v8, v8, v114, s3
	s_delay_alu instid0(VALU_DEP_3) | instskip(NEXT) | instid1(VALU_DEP_2)
	v_cmp_class_f64_e64 s5, v[10:11], 0x1f8
	v_cmp_neq_f64_e64 s4, v[10:11], v[8:9]
	s_delay_alu instid0(VALU_DEP_1) | instskip(NEXT) | instid1(SALU_CYCLE_1)
	s_or_b32 s4, s4, s5
	s_and_saveexec_b32 s10, s4
	s_cbranch_execz .LBB56_268
; %bb.267:
	v_add_f64 v[10:11], v[10:11], -v[8:9]
	s_mov_b32 s4, 0x652b82fe
	s_mov_b32 s5, 0x3ff71547
	;; [unrolled: 1-line block ×10, first 2 shown]
	s_delay_alu instid0(VALU_DEP_1) | instskip(SKIP_2) | instid1(VALU_DEP_1)
	v_mul_f64 v[12:13], v[10:11], s[4:5]
	s_mov_b32 s4, 0xfca7ab0c
	s_mov_b32 s5, 0x3e928af3
	v_rndne_f64_e32 v[12:13], v[12:13]
	s_delay_alu instid0(VALU_DEP_1) | instskip(SKIP_2) | instid1(VALU_DEP_2)
	v_fma_f64 v[14:15], v[12:13], s[6:7], v[10:11]
	v_cvt_i32_f64_e32 v18, v[12:13]
	s_mov_b32 s7, 0x3fe62e42
	v_fma_f64 v[14:15], v[12:13], s[8:9], v[14:15]
	s_mov_b32 s9, 0x3c7abc9e
	s_delay_alu instid0(VALU_DEP_1) | instskip(SKIP_4) | instid1(VALU_DEP_1)
	v_fma_f64 v[16:17], v[14:15], s[12:13], s[4:5]
	s_mov_b32 s4, 0x623fde64
	s_mov_b32 s5, 0x3ec71dee
	;; [unrolled: 1-line block ×4, first 2 shown]
	v_fma_f64 v[16:17], v[14:15], v[16:17], s[4:5]
	s_mov_b32 s4, 0x7c89e6b0
	s_mov_b32 s5, 0x3efa0199
	s_delay_alu instid0(VALU_DEP_1) | instid1(SALU_CYCLE_1)
	v_fma_f64 v[16:17], v[14:15], v[16:17], s[4:5]
	s_mov_b32 s4, 0x14761f6e
	s_mov_b32 s5, 0x3f2a01a0
	s_delay_alu instid0(VALU_DEP_1) | instid1(SALU_CYCLE_1)
	;; [unrolled: 4-line block ×7, first 2 shown]
	v_fma_f64 v[16:17], v[14:15], v[16:17], s[4:5]
	v_cmp_nlt_f64_e64 s4, 0x40900000, v[10:11]
	v_cmp_ngt_f64_e64 s5, 0xc090cc00, v[10:11]
	s_delay_alu instid0(VALU_DEP_3) | instskip(NEXT) | instid1(VALU_DEP_1)
	v_fma_f64 v[16:17], v[14:15], v[16:17], 1.0
	v_fma_f64 v[12:13], v[14:15], v[16:17], 1.0
	s_delay_alu instid0(VALU_DEP_1) | instskip(NEXT) | instid1(VALU_DEP_1)
	v_ldexp_f64 v[12:13], v[12:13], v18
	v_cndmask_b32_e64 v13, 0x7ff00000, v13, s4
	s_and_b32 s4, s5, s4
	s_delay_alu instid0(VALU_DEP_2) | instid1(SALU_CYCLE_1)
	v_cndmask_b32_e64 v10, 0, v12, s4
	s_mov_b32 s4, 0x55555555
	s_delay_alu instid0(VALU_DEP_2) | instskip(SKIP_1) | instid1(VALU_DEP_1)
	v_cndmask_b32_e64 v11, 0, v13, s5
	s_mov_b32 s5, 0x3fe55555
	v_add_f64 v[12:13], v[10:11], 1.0
	s_delay_alu instid0(VALU_DEP_1) | instskip(SKIP_2) | instid1(VALU_DEP_3)
	v_frexp_mant_f64_e32 v[14:15], v[12:13]
	v_frexp_exp_i32_f64_e32 v18, v[12:13]
	v_add_f64 v[16:17], v[12:13], -1.0
	v_cmp_gt_f64_e64 s4, s[4:5], v[14:15]
	s_delay_alu instid0(VALU_DEP_2) | instskip(SKIP_1) | instid1(VALU_DEP_3)
	v_add_f64 v[14:15], v[16:17], -v[12:13]
	v_add_f64 v[16:17], v[10:11], -v[16:17]
	v_subrev_co_ci_u32_e64 v129, s4, 0, v18, s4
	s_delay_alu instid0(VALU_DEP_3) | instskip(SKIP_1) | instid1(VALU_DEP_2)
	v_add_f64 v[14:15], v[14:15], 1.0
	s_mov_b32 s4, 0x55555780
	v_sub_nc_u32_e32 v20, 0, v129
	s_delay_alu instid0(VALU_DEP_1) | instskip(NEXT) | instid1(VALU_DEP_3)
	v_ldexp_f64 v[12:13], v[12:13], v20
	v_add_f64 v[14:15], v[16:17], v[14:15]
	s_delay_alu instid0(VALU_DEP_2) | instskip(SKIP_1) | instid1(VALU_DEP_3)
	v_add_f64 v[18:19], v[12:13], 1.0
	v_add_f64 v[24:25], v[12:13], -1.0
	v_ldexp_f64 v[14:15], v[14:15], v20
	s_delay_alu instid0(VALU_DEP_3) | instskip(NEXT) | instid1(VALU_DEP_3)
	v_add_f64 v[16:17], v[18:19], -1.0
	v_add_f64 v[26:27], v[24:25], 1.0
	s_delay_alu instid0(VALU_DEP_2) | instskip(NEXT) | instid1(VALU_DEP_2)
	v_add_f64 v[16:17], v[12:13], -v[16:17]
	v_add_f64 v[12:13], v[12:13], -v[26:27]
	s_delay_alu instid0(VALU_DEP_2) | instskip(NEXT) | instid1(VALU_DEP_2)
	v_add_f64 v[16:17], v[14:15], v[16:17]
	v_add_f64 v[12:13], v[14:15], v[12:13]
	s_delay_alu instid0(VALU_DEP_2) | instskip(NEXT) | instid1(VALU_DEP_2)
	v_add_f64 v[20:21], v[18:19], v[16:17]
	v_add_f64 v[26:27], v[24:25], v[12:13]
	s_delay_alu instid0(VALU_DEP_2) | instskip(SKIP_1) | instid1(VALU_DEP_2)
	v_rcp_f64_e32 v[22:23], v[20:21]
	v_add_f64 v[18:19], v[20:21], -v[18:19]
	v_add_f64 v[24:25], v[26:27], -v[24:25]
	s_delay_alu instid0(VALU_DEP_2) | instskip(SKIP_3) | instid1(VALU_DEP_2)
	v_add_f64 v[16:17], v[16:17], -v[18:19]
	s_waitcnt_depctr 0xfff
	v_fma_f64 v[28:29], -v[20:21], v[22:23], 1.0
	v_add_f64 v[12:13], v[12:13], -v[24:25]
	v_fma_f64 v[22:23], v[28:29], v[22:23], v[22:23]
	s_delay_alu instid0(VALU_DEP_1) | instskip(NEXT) | instid1(VALU_DEP_1)
	v_fma_f64 v[14:15], -v[20:21], v[22:23], 1.0
	v_fma_f64 v[14:15], v[14:15], v[22:23], v[22:23]
	s_delay_alu instid0(VALU_DEP_1) | instskip(NEXT) | instid1(VALU_DEP_1)
	v_mul_f64 v[22:23], v[26:27], v[14:15]
	v_mul_f64 v[28:29], v[20:21], v[22:23]
	s_delay_alu instid0(VALU_DEP_1) | instskip(NEXT) | instid1(VALU_DEP_1)
	v_fma_f64 v[18:19], v[22:23], v[20:21], -v[28:29]
	v_fma_f64 v[18:19], v[22:23], v[16:17], v[18:19]
	s_delay_alu instid0(VALU_DEP_1) | instskip(NEXT) | instid1(VALU_DEP_1)
	v_add_f64 v[30:31], v[28:29], v[18:19]
	v_add_f64 v[48:49], v[26:27], -v[30:31]
	v_add_f64 v[24:25], v[30:31], -v[28:29]
	s_delay_alu instid0(VALU_DEP_2) | instskip(NEXT) | instid1(VALU_DEP_2)
	v_add_f64 v[26:27], v[26:27], -v[48:49]
	v_add_f64 v[18:19], v[24:25], -v[18:19]
	s_delay_alu instid0(VALU_DEP_2) | instskip(NEXT) | instid1(VALU_DEP_1)
	v_add_f64 v[26:27], v[26:27], -v[30:31]
	v_add_f64 v[12:13], v[12:13], v[26:27]
	s_delay_alu instid0(VALU_DEP_1) | instskip(NEXT) | instid1(VALU_DEP_1)
	v_add_f64 v[12:13], v[18:19], v[12:13]
	v_add_f64 v[18:19], v[48:49], v[12:13]
	s_delay_alu instid0(VALU_DEP_1) | instskip(SKIP_1) | instid1(VALU_DEP_2)
	v_mul_f64 v[24:25], v[14:15], v[18:19]
	v_add_f64 v[30:31], v[48:49], -v[18:19]
	v_mul_f64 v[26:27], v[20:21], v[24:25]
	s_delay_alu instid0(VALU_DEP_2) | instskip(NEXT) | instid1(VALU_DEP_2)
	v_add_f64 v[12:13], v[12:13], v[30:31]
	v_fma_f64 v[20:21], v[24:25], v[20:21], -v[26:27]
	s_delay_alu instid0(VALU_DEP_1) | instskip(NEXT) | instid1(VALU_DEP_1)
	v_fma_f64 v[16:17], v[24:25], v[16:17], v[20:21]
	v_add_f64 v[20:21], v[26:27], v[16:17]
	s_delay_alu instid0(VALU_DEP_1) | instskip(SKIP_1) | instid1(VALU_DEP_2)
	v_add_f64 v[28:29], v[18:19], -v[20:21]
	v_add_f64 v[26:27], v[20:21], -v[26:27]
	v_add_f64 v[18:19], v[18:19], -v[28:29]
	s_delay_alu instid0(VALU_DEP_2) | instskip(NEXT) | instid1(VALU_DEP_2)
	v_add_f64 v[16:17], v[26:27], -v[16:17]
	v_add_f64 v[18:19], v[18:19], -v[20:21]
	s_delay_alu instid0(VALU_DEP_1) | instskip(SKIP_1) | instid1(VALU_DEP_2)
	v_add_f64 v[12:13], v[12:13], v[18:19]
	v_add_f64 v[18:19], v[22:23], v[24:25]
	;; [unrolled: 1-line block ×3, first 2 shown]
	s_delay_alu instid0(VALU_DEP_2) | instskip(NEXT) | instid1(VALU_DEP_2)
	v_add_f64 v[16:17], v[18:19], -v[22:23]
	v_add_f64 v[12:13], v[28:29], v[12:13]
	s_delay_alu instid0(VALU_DEP_2) | instskip(NEXT) | instid1(VALU_DEP_2)
	v_add_f64 v[16:17], v[24:25], -v[16:17]
	v_mul_f64 v[12:13], v[14:15], v[12:13]
	s_delay_alu instid0(VALU_DEP_1) | instskip(NEXT) | instid1(VALU_DEP_1)
	v_add_f64 v[12:13], v[16:17], v[12:13]
	v_add_f64 v[14:15], v[18:19], v[12:13]
	s_delay_alu instid0(VALU_DEP_1) | instskip(NEXT) | instid1(VALU_DEP_1)
	v_mul_f64 v[16:17], v[14:15], v[14:15]
	v_fma_f64 v[20:21], v[16:17], s[14:15], s[12:13]
	s_mov_b32 s12, 0xd7f4df2e
	s_mov_b32 s13, 0x3fc7474d
	v_mul_f64 v[22:23], v[14:15], v[16:17]
	s_delay_alu instid0(VALU_DEP_2)
	v_fma_f64 v[20:21], v[16:17], v[20:21], s[12:13]
	s_mov_b32 s12, 0x16291751
	s_mov_b32 s13, 0x3fcc71c0
	s_delay_alu instid0(VALU_DEP_1) | instid1(SALU_CYCLE_1)
	v_fma_f64 v[20:21], v[16:17], v[20:21], s[12:13]
	s_mov_b32 s12, 0x9b27acf1
	s_mov_b32 s13, 0x3fd24924
	s_delay_alu instid0(VALU_DEP_1) | instid1(SALU_CYCLE_1)
	;; [unrolled: 4-line block ×3, first 2 shown]
	v_fma_f64 v[20:21], v[16:17], v[20:21], s[12:13]
	s_delay_alu instid0(VALU_DEP_1) | instskip(SKIP_3) | instid1(VALU_DEP_4)
	v_fma_f64 v[16:17], v[16:17], v[20:21], s[4:5]
	v_ldexp_f64 v[20:21], v[14:15], 1
	v_add_f64 v[14:15], v[14:15], -v[18:19]
	v_cmp_eq_f64_e64 s4, 0x7ff00000, v[10:11]
	v_mul_f64 v[16:17], v[22:23], v[16:17]
	v_cvt_f64_i32_e32 v[22:23], v129
	s_delay_alu instid0(VALU_DEP_4) | instskip(NEXT) | instid1(VALU_DEP_3)
	v_add_f64 v[12:13], v[12:13], -v[14:15]
	v_add_f64 v[18:19], v[20:21], v[16:17]
	s_delay_alu instid0(VALU_DEP_3) | instskip(NEXT) | instid1(VALU_DEP_3)
	v_mul_f64 v[24:25], v[22:23], s[6:7]
	v_ldexp_f64 v[12:13], v[12:13], 1
	s_delay_alu instid0(VALU_DEP_3) | instskip(NEXT) | instid1(VALU_DEP_3)
	v_add_f64 v[14:15], v[18:19], -v[20:21]
	v_fma_f64 v[20:21], v[22:23], s[6:7], -v[24:25]
	s_delay_alu instid0(VALU_DEP_2) | instskip(NEXT) | instid1(VALU_DEP_2)
	v_add_f64 v[14:15], v[16:17], -v[14:15]
	v_fma_f64 v[16:17], v[22:23], s[8:9], v[20:21]
	s_delay_alu instid0(VALU_DEP_2) | instskip(NEXT) | instid1(VALU_DEP_2)
	v_add_f64 v[12:13], v[12:13], v[14:15]
	v_add_f64 v[14:15], v[24:25], v[16:17]
	s_delay_alu instid0(VALU_DEP_2) | instskip(NEXT) | instid1(VALU_DEP_2)
	v_add_f64 v[20:21], v[18:19], v[12:13]
	v_add_f64 v[24:25], v[14:15], -v[24:25]
	s_delay_alu instid0(VALU_DEP_2) | instskip(SKIP_1) | instid1(VALU_DEP_3)
	v_add_f64 v[22:23], v[14:15], v[20:21]
	v_add_f64 v[18:19], v[20:21], -v[18:19]
	v_add_f64 v[16:17], v[16:17], -v[24:25]
	s_delay_alu instid0(VALU_DEP_3) | instskip(NEXT) | instid1(VALU_DEP_3)
	v_add_f64 v[26:27], v[22:23], -v[14:15]
	v_add_f64 v[12:13], v[12:13], -v[18:19]
	s_delay_alu instid0(VALU_DEP_2) | instskip(SKIP_1) | instid1(VALU_DEP_3)
	v_add_f64 v[28:29], v[22:23], -v[26:27]
	v_add_f64 v[18:19], v[20:21], -v[26:27]
	v_add_f64 v[20:21], v[16:17], v[12:13]
	s_delay_alu instid0(VALU_DEP_3) | instskip(NEXT) | instid1(VALU_DEP_1)
	v_add_f64 v[14:15], v[14:15], -v[28:29]
	v_add_f64 v[14:15], v[18:19], v[14:15]
	s_delay_alu instid0(VALU_DEP_3) | instskip(NEXT) | instid1(VALU_DEP_2)
	v_add_f64 v[18:19], v[20:21], -v[16:17]
	v_add_f64 v[14:15], v[20:21], v[14:15]
	s_delay_alu instid0(VALU_DEP_2) | instskip(SKIP_1) | instid1(VALU_DEP_3)
	v_add_f64 v[20:21], v[20:21], -v[18:19]
	v_add_f64 v[12:13], v[12:13], -v[18:19]
	v_add_f64 v[24:25], v[22:23], v[14:15]
	s_delay_alu instid0(VALU_DEP_3) | instskip(NEXT) | instid1(VALU_DEP_2)
	v_add_f64 v[16:17], v[16:17], -v[20:21]
	v_add_f64 v[18:19], v[24:25], -v[22:23]
	s_delay_alu instid0(VALU_DEP_2) | instskip(NEXT) | instid1(VALU_DEP_2)
	v_add_f64 v[12:13], v[12:13], v[16:17]
	v_add_f64 v[14:15], v[14:15], -v[18:19]
	s_delay_alu instid0(VALU_DEP_1) | instskip(NEXT) | instid1(VALU_DEP_1)
	v_add_f64 v[12:13], v[12:13], v[14:15]
	v_add_f64 v[12:13], v[24:25], v[12:13]
	s_delay_alu instid0(VALU_DEP_1) | instskip(NEXT) | instid1(VALU_DEP_2)
	v_cndmask_b32_e64 v12, v12, v10, s4
	v_cndmask_b32_e64 v13, v13, v11, s4
	v_cmp_ngt_f64_e64 s4, -1.0, v[10:11]
	s_delay_alu instid0(VALU_DEP_1) | instskip(SKIP_1) | instid1(VALU_DEP_1)
	v_cndmask_b32_e64 v13, 0x7ff80000, v13, s4
	v_cmp_nge_f64_e64 s4, -1.0, v[10:11]
	v_cndmask_b32_e64 v12, 0, v12, s4
	v_cmp_neq_f64_e64 s4, -1.0, v[10:11]
	s_delay_alu instid0(VALU_DEP_1) | instskip(NEXT) | instid1(VALU_DEP_1)
	v_cndmask_b32_e64 v13, 0xfff00000, v13, s4
	v_add_f64 v[48:49], v[8:9], v[12:13]
.LBB56_268:
	s_or_b32 exec_lo, exec_lo, s10
	v_max_f64 v[8:9], v[100:101], v[100:101]
	s_delay_alu instid0(VALU_DEP_2) | instskip(SKIP_2) | instid1(VALU_DEP_3)
	v_max_f64 v[10:11], v[48:49], v[48:49]
	v_cmp_u_f64_e64 s5, v[48:49], v[48:49]
	v_cmp_u_f64_e64 s4, v[100:101], v[100:101]
	v_min_f64 v[12:13], v[10:11], v[8:9]
	v_max_f64 v[10:11], v[10:11], v[8:9]
	s_delay_alu instid0(VALU_DEP_2) | instskip(NEXT) | instid1(VALU_DEP_3)
	v_cndmask_b32_e64 v12, v12, v48, s5
	v_cndmask_b32_e64 v13, v13, v49, s5
	s_delay_alu instid0(VALU_DEP_3) | instskip(NEXT) | instid1(VALU_DEP_4)
	v_cndmask_b32_e64 v11, v11, v49, s5
	v_cndmask_b32_e64 v10, v10, v48, s5
	s_delay_alu instid0(VALU_DEP_4) | instskip(NEXT) | instid1(VALU_DEP_4)
	v_cndmask_b32_e64 v12, v12, v100, s4
	v_cndmask_b32_e64 v13, v13, v101, s4
	s_delay_alu instid0(VALU_DEP_4) | instskip(NEXT) | instid1(VALU_DEP_4)
	v_cndmask_b32_e64 v11, v11, v101, s4
	v_cndmask_b32_e64 v10, v10, v100, s4
	s_delay_alu instid0(VALU_DEP_3) | instskip(NEXT) | instid1(VALU_DEP_2)
	v_cmp_class_f64_e64 s6, v[12:13], 0x1f8
	v_cmp_neq_f64_e64 s5, v[12:13], v[10:11]
	s_delay_alu instid0(VALU_DEP_1) | instskip(NEXT) | instid1(SALU_CYCLE_1)
	s_or_b32 s5, s5, s6
	s_and_saveexec_b32 s12, s5
	s_cbranch_execz .LBB56_270
; %bb.269:
	v_add_f64 v[12:13], v[12:13], -v[10:11]
	s_mov_b32 s6, 0x652b82fe
	s_mov_b32 s7, 0x3ff71547
	;; [unrolled: 1-line block ×10, first 2 shown]
	s_delay_alu instid0(VALU_DEP_1) | instskip(SKIP_3) | instid1(VALU_DEP_2)
	v_mul_f64 v[14:15], v[12:13], s[6:7]
	s_mov_b32 s6, 0xfca7ab0c
	s_mov_b32 s7, 0x3e928af3
	v_cmp_nlt_f64_e64 s5, 0x40900000, v[12:13]
	v_rndne_f64_e32 v[14:15], v[14:15]
	s_delay_alu instid0(VALU_DEP_1) | instskip(SKIP_2) | instid1(VALU_DEP_2)
	v_fma_f64 v[16:17], v[14:15], s[8:9], v[12:13]
	v_cvt_i32_f64_e32 v20, v[14:15]
	s_mov_b32 s9, 0x3fe62e42
	v_fma_f64 v[16:17], v[14:15], s[10:11], v[16:17]
	s_mov_b32 s11, 0x3c7abc9e
	s_delay_alu instid0(VALU_DEP_1) | instskip(SKIP_4) | instid1(VALU_DEP_1)
	v_fma_f64 v[18:19], v[16:17], s[14:15], s[6:7]
	s_mov_b32 s6, 0x623fde64
	s_mov_b32 s7, 0x3ec71dee
	;; [unrolled: 1-line block ×4, first 2 shown]
	v_fma_f64 v[18:19], v[16:17], v[18:19], s[6:7]
	s_mov_b32 s6, 0x7c89e6b0
	s_mov_b32 s7, 0x3efa0199
	s_delay_alu instid0(VALU_DEP_1) | instid1(SALU_CYCLE_1)
	v_fma_f64 v[18:19], v[16:17], v[18:19], s[6:7]
	s_mov_b32 s6, 0x14761f6e
	s_mov_b32 s7, 0x3f2a01a0
	s_delay_alu instid0(VALU_DEP_1) | instid1(SALU_CYCLE_1)
	;; [unrolled: 4-line block ×7, first 2 shown]
	v_fma_f64 v[18:19], v[16:17], v[18:19], s[6:7]
	v_cmp_ngt_f64_e64 s6, 0xc090cc00, v[12:13]
	s_mov_b32 s7, 0x3fe55555
	s_delay_alu instid0(VALU_DEP_2) | instskip(NEXT) | instid1(VALU_DEP_1)
	v_fma_f64 v[18:19], v[16:17], v[18:19], 1.0
	v_fma_f64 v[14:15], v[16:17], v[18:19], 1.0
	s_delay_alu instid0(VALU_DEP_1) | instskip(NEXT) | instid1(VALU_DEP_1)
	v_ldexp_f64 v[14:15], v[14:15], v20
	v_cndmask_b32_e64 v15, 0x7ff00000, v15, s5
	s_and_b32 s5, s6, s5
	s_delay_alu instid0(VALU_DEP_2) | instid1(SALU_CYCLE_1)
	v_cndmask_b32_e64 v12, 0, v14, s5
	s_delay_alu instid0(VALU_DEP_2) | instskip(SKIP_1) | instid1(VALU_DEP_1)
	v_cndmask_b32_e64 v13, 0, v15, s6
	s_mov_b32 s6, 0x55555555
	v_add_f64 v[14:15], v[12:13], 1.0
	s_delay_alu instid0(VALU_DEP_1) | instskip(SKIP_2) | instid1(VALU_DEP_3)
	v_frexp_mant_f64_e32 v[16:17], v[14:15]
	v_frexp_exp_i32_f64_e32 v20, v[14:15]
	v_add_f64 v[18:19], v[14:15], -1.0
	v_cmp_gt_f64_e64 s5, s[6:7], v[16:17]
	s_mov_b32 s6, 0x55555780
	s_delay_alu instid0(VALU_DEP_2) | instskip(SKIP_1) | instid1(VALU_DEP_3)
	v_add_f64 v[16:17], v[18:19], -v[14:15]
	v_add_f64 v[18:19], v[12:13], -v[18:19]
	v_subrev_co_ci_u32_e64 v131, s5, 0, v20, s5
	s_delay_alu instid0(VALU_DEP_3) | instskip(SKIP_1) | instid1(VALU_DEP_3)
	v_add_f64 v[16:17], v[16:17], 1.0
	v_cmp_eq_f64_e64 s5, 0x7ff00000, v[12:13]
	v_sub_nc_u32_e32 v22, 0, v131
	s_delay_alu instid0(VALU_DEP_1) | instskip(NEXT) | instid1(VALU_DEP_4)
	v_ldexp_f64 v[14:15], v[14:15], v22
	v_add_f64 v[16:17], v[18:19], v[16:17]
	s_delay_alu instid0(VALU_DEP_2) | instskip(SKIP_1) | instid1(VALU_DEP_3)
	v_add_f64 v[20:21], v[14:15], 1.0
	v_add_f64 v[26:27], v[14:15], -1.0
	v_ldexp_f64 v[16:17], v[16:17], v22
	s_delay_alu instid0(VALU_DEP_3) | instskip(NEXT) | instid1(VALU_DEP_3)
	v_add_f64 v[18:19], v[20:21], -1.0
	v_add_f64 v[28:29], v[26:27], 1.0
	s_delay_alu instid0(VALU_DEP_2) | instskip(NEXT) | instid1(VALU_DEP_2)
	v_add_f64 v[18:19], v[14:15], -v[18:19]
	v_add_f64 v[14:15], v[14:15], -v[28:29]
	s_delay_alu instid0(VALU_DEP_2) | instskip(NEXT) | instid1(VALU_DEP_2)
	v_add_f64 v[18:19], v[16:17], v[18:19]
	v_add_f64 v[14:15], v[16:17], v[14:15]
	s_delay_alu instid0(VALU_DEP_2) | instskip(NEXT) | instid1(VALU_DEP_2)
	v_add_f64 v[22:23], v[20:21], v[18:19]
	v_add_f64 v[28:29], v[26:27], v[14:15]
	s_delay_alu instid0(VALU_DEP_2) | instskip(SKIP_1) | instid1(VALU_DEP_2)
	v_rcp_f64_e32 v[24:25], v[22:23]
	v_add_f64 v[20:21], v[22:23], -v[20:21]
	v_add_f64 v[26:27], v[28:29], -v[26:27]
	s_delay_alu instid0(VALU_DEP_2) | instskip(SKIP_3) | instid1(VALU_DEP_2)
	v_add_f64 v[18:19], v[18:19], -v[20:21]
	s_waitcnt_depctr 0xfff
	v_fma_f64 v[30:31], -v[22:23], v[24:25], 1.0
	v_add_f64 v[14:15], v[14:15], -v[26:27]
	v_fma_f64 v[24:25], v[30:31], v[24:25], v[24:25]
	s_delay_alu instid0(VALU_DEP_1) | instskip(NEXT) | instid1(VALU_DEP_1)
	v_fma_f64 v[16:17], -v[22:23], v[24:25], 1.0
	v_fma_f64 v[16:17], v[16:17], v[24:25], v[24:25]
	s_delay_alu instid0(VALU_DEP_1) | instskip(NEXT) | instid1(VALU_DEP_1)
	v_mul_f64 v[24:25], v[28:29], v[16:17]
	v_mul_f64 v[30:31], v[22:23], v[24:25]
	s_delay_alu instid0(VALU_DEP_1) | instskip(NEXT) | instid1(VALU_DEP_1)
	v_fma_f64 v[20:21], v[24:25], v[22:23], -v[30:31]
	v_fma_f64 v[20:21], v[24:25], v[18:19], v[20:21]
	s_delay_alu instid0(VALU_DEP_1) | instskip(NEXT) | instid1(VALU_DEP_1)
	v_add_f64 v[48:49], v[30:31], v[20:21]
	v_add_f64 v[129:130], v[28:29], -v[48:49]
	v_add_f64 v[26:27], v[48:49], -v[30:31]
	s_delay_alu instid0(VALU_DEP_2) | instskip(NEXT) | instid1(VALU_DEP_2)
	v_add_f64 v[28:29], v[28:29], -v[129:130]
	v_add_f64 v[20:21], v[26:27], -v[20:21]
	s_delay_alu instid0(VALU_DEP_2) | instskip(NEXT) | instid1(VALU_DEP_1)
	v_add_f64 v[28:29], v[28:29], -v[48:49]
	v_add_f64 v[14:15], v[14:15], v[28:29]
	s_delay_alu instid0(VALU_DEP_1) | instskip(NEXT) | instid1(VALU_DEP_1)
	v_add_f64 v[14:15], v[20:21], v[14:15]
	v_add_f64 v[20:21], v[129:130], v[14:15]
	s_delay_alu instid0(VALU_DEP_1) | instskip(SKIP_1) | instid1(VALU_DEP_2)
	v_mul_f64 v[26:27], v[16:17], v[20:21]
	v_add_f64 v[48:49], v[129:130], -v[20:21]
	v_mul_f64 v[28:29], v[22:23], v[26:27]
	s_delay_alu instid0(VALU_DEP_2) | instskip(NEXT) | instid1(VALU_DEP_2)
	v_add_f64 v[14:15], v[14:15], v[48:49]
	v_fma_f64 v[22:23], v[26:27], v[22:23], -v[28:29]
	s_delay_alu instid0(VALU_DEP_1) | instskip(NEXT) | instid1(VALU_DEP_1)
	v_fma_f64 v[18:19], v[26:27], v[18:19], v[22:23]
	v_add_f64 v[22:23], v[28:29], v[18:19]
	s_delay_alu instid0(VALU_DEP_1) | instskip(SKIP_1) | instid1(VALU_DEP_2)
	v_add_f64 v[30:31], v[20:21], -v[22:23]
	v_add_f64 v[28:29], v[22:23], -v[28:29]
	v_add_f64 v[20:21], v[20:21], -v[30:31]
	s_delay_alu instid0(VALU_DEP_2) | instskip(NEXT) | instid1(VALU_DEP_2)
	v_add_f64 v[18:19], v[28:29], -v[18:19]
	v_add_f64 v[20:21], v[20:21], -v[22:23]
	s_delay_alu instid0(VALU_DEP_1) | instskip(SKIP_1) | instid1(VALU_DEP_2)
	v_add_f64 v[14:15], v[14:15], v[20:21]
	v_add_f64 v[20:21], v[24:25], v[26:27]
	;; [unrolled: 1-line block ×3, first 2 shown]
	s_delay_alu instid0(VALU_DEP_2) | instskip(NEXT) | instid1(VALU_DEP_2)
	v_add_f64 v[18:19], v[20:21], -v[24:25]
	v_add_f64 v[14:15], v[30:31], v[14:15]
	s_delay_alu instid0(VALU_DEP_2) | instskip(NEXT) | instid1(VALU_DEP_2)
	v_add_f64 v[18:19], v[26:27], -v[18:19]
	v_mul_f64 v[14:15], v[16:17], v[14:15]
	s_delay_alu instid0(VALU_DEP_1) | instskip(NEXT) | instid1(VALU_DEP_1)
	v_add_f64 v[14:15], v[18:19], v[14:15]
	v_add_f64 v[16:17], v[20:21], v[14:15]
	s_delay_alu instid0(VALU_DEP_1) | instskip(NEXT) | instid1(VALU_DEP_1)
	v_mul_f64 v[18:19], v[16:17], v[16:17]
	v_fma_f64 v[22:23], v[18:19], s[18:19], s[14:15]
	s_mov_b32 s14, 0xd7f4df2e
	s_mov_b32 s15, 0x3fc7474d
	v_mul_f64 v[24:25], v[16:17], v[18:19]
	s_delay_alu instid0(VALU_DEP_2)
	v_fma_f64 v[22:23], v[18:19], v[22:23], s[14:15]
	s_mov_b32 s14, 0x16291751
	s_mov_b32 s15, 0x3fcc71c0
	s_delay_alu instid0(VALU_DEP_1) | instid1(SALU_CYCLE_1)
	v_fma_f64 v[22:23], v[18:19], v[22:23], s[14:15]
	s_mov_b32 s14, 0x9b27acf1
	s_mov_b32 s15, 0x3fd24924
	s_delay_alu instid0(VALU_DEP_1) | instid1(SALU_CYCLE_1)
	v_fma_f64 v[22:23], v[18:19], v[22:23], s[14:15]
	s_mov_b32 s14, 0x998ef7b6
	s_mov_b32 s15, 0x3fd99999
	s_delay_alu instid0(VALU_DEP_1) | instid1(SALU_CYCLE_1)
	v_fma_f64 v[22:23], v[18:19], v[22:23], s[14:15]
	s_delay_alu instid0(VALU_DEP_1) | instskip(SKIP_2) | instid1(VALU_DEP_3)
	v_fma_f64 v[18:19], v[18:19], v[22:23], s[6:7]
	v_ldexp_f64 v[22:23], v[16:17], 1
	v_add_f64 v[16:17], v[16:17], -v[20:21]
	v_mul_f64 v[18:19], v[24:25], v[18:19]
	v_cvt_f64_i32_e32 v[24:25], v131
	s_delay_alu instid0(VALU_DEP_3) | instskip(NEXT) | instid1(VALU_DEP_3)
	v_add_f64 v[14:15], v[14:15], -v[16:17]
	v_add_f64 v[20:21], v[22:23], v[18:19]
	s_delay_alu instid0(VALU_DEP_3) | instskip(NEXT) | instid1(VALU_DEP_3)
	v_mul_f64 v[26:27], v[24:25], s[8:9]
	v_ldexp_f64 v[14:15], v[14:15], 1
	s_delay_alu instid0(VALU_DEP_3) | instskip(NEXT) | instid1(VALU_DEP_3)
	v_add_f64 v[16:17], v[20:21], -v[22:23]
	v_fma_f64 v[22:23], v[24:25], s[8:9], -v[26:27]
	s_delay_alu instid0(VALU_DEP_2) | instskip(NEXT) | instid1(VALU_DEP_2)
	v_add_f64 v[16:17], v[18:19], -v[16:17]
	v_fma_f64 v[18:19], v[24:25], s[10:11], v[22:23]
	s_delay_alu instid0(VALU_DEP_2) | instskip(NEXT) | instid1(VALU_DEP_2)
	v_add_f64 v[14:15], v[14:15], v[16:17]
	v_add_f64 v[16:17], v[26:27], v[18:19]
	s_delay_alu instid0(VALU_DEP_2) | instskip(NEXT) | instid1(VALU_DEP_2)
	v_add_f64 v[22:23], v[20:21], v[14:15]
	v_add_f64 v[26:27], v[16:17], -v[26:27]
	s_delay_alu instid0(VALU_DEP_2) | instskip(SKIP_1) | instid1(VALU_DEP_3)
	v_add_f64 v[24:25], v[16:17], v[22:23]
	v_add_f64 v[20:21], v[22:23], -v[20:21]
	v_add_f64 v[18:19], v[18:19], -v[26:27]
	s_delay_alu instid0(VALU_DEP_3) | instskip(NEXT) | instid1(VALU_DEP_3)
	v_add_f64 v[28:29], v[24:25], -v[16:17]
	v_add_f64 v[14:15], v[14:15], -v[20:21]
	s_delay_alu instid0(VALU_DEP_2) | instskip(SKIP_1) | instid1(VALU_DEP_3)
	v_add_f64 v[30:31], v[24:25], -v[28:29]
	v_add_f64 v[20:21], v[22:23], -v[28:29]
	v_add_f64 v[22:23], v[18:19], v[14:15]
	s_delay_alu instid0(VALU_DEP_3) | instskip(NEXT) | instid1(VALU_DEP_1)
	v_add_f64 v[16:17], v[16:17], -v[30:31]
	v_add_f64 v[16:17], v[20:21], v[16:17]
	s_delay_alu instid0(VALU_DEP_3) | instskip(NEXT) | instid1(VALU_DEP_2)
	v_add_f64 v[20:21], v[22:23], -v[18:19]
	v_add_f64 v[16:17], v[22:23], v[16:17]
	s_delay_alu instid0(VALU_DEP_2) | instskip(SKIP_1) | instid1(VALU_DEP_3)
	v_add_f64 v[22:23], v[22:23], -v[20:21]
	v_add_f64 v[14:15], v[14:15], -v[20:21]
	v_add_f64 v[26:27], v[24:25], v[16:17]
	s_delay_alu instid0(VALU_DEP_3) | instskip(NEXT) | instid1(VALU_DEP_2)
	v_add_f64 v[18:19], v[18:19], -v[22:23]
	v_add_f64 v[20:21], v[26:27], -v[24:25]
	s_delay_alu instid0(VALU_DEP_2) | instskip(NEXT) | instid1(VALU_DEP_2)
	v_add_f64 v[14:15], v[14:15], v[18:19]
	v_add_f64 v[16:17], v[16:17], -v[20:21]
	s_delay_alu instid0(VALU_DEP_1) | instskip(NEXT) | instid1(VALU_DEP_1)
	v_add_f64 v[14:15], v[14:15], v[16:17]
	v_add_f64 v[14:15], v[26:27], v[14:15]
	s_delay_alu instid0(VALU_DEP_1) | instskip(NEXT) | instid1(VALU_DEP_2)
	v_cndmask_b32_e64 v14, v14, v12, s5
	v_cndmask_b32_e64 v15, v15, v13, s5
	v_cmp_ngt_f64_e64 s5, -1.0, v[12:13]
	s_delay_alu instid0(VALU_DEP_1) | instskip(SKIP_1) | instid1(VALU_DEP_1)
	v_cndmask_b32_e64 v15, 0x7ff80000, v15, s5
	v_cmp_nge_f64_e64 s5, -1.0, v[12:13]
	v_cndmask_b32_e64 v14, 0, v14, s5
	v_cmp_neq_f64_e64 s5, -1.0, v[12:13]
	s_delay_alu instid0(VALU_DEP_1) | instskip(NEXT) | instid1(VALU_DEP_1)
	v_cndmask_b32_e64 v15, 0xfff00000, v15, s5
	v_add_f64 v[48:49], v[10:11], v[14:15]
.LBB56_270:
	s_or_b32 exec_lo, exec_lo, s12
	v_max_f64 v[10:11], v[102:103], v[102:103]
	s_delay_alu instid0(VALU_DEP_2) | instskip(SKIP_2) | instid1(VALU_DEP_3)
	v_max_f64 v[12:13], v[48:49], v[48:49]
	v_cmp_u_f64_e64 s6, v[48:49], v[48:49]
	v_cmp_u_f64_e64 s5, v[102:103], v[102:103]
	v_min_f64 v[14:15], v[12:13], v[10:11]
	v_max_f64 v[12:13], v[12:13], v[10:11]
	s_delay_alu instid0(VALU_DEP_2) | instskip(NEXT) | instid1(VALU_DEP_3)
	v_cndmask_b32_e64 v14, v14, v48, s6
	v_cndmask_b32_e64 v15, v15, v49, s6
	s_delay_alu instid0(VALU_DEP_3) | instskip(NEXT) | instid1(VALU_DEP_4)
	v_cndmask_b32_e64 v13, v13, v49, s6
	v_cndmask_b32_e64 v12, v12, v48, s6
	s_delay_alu instid0(VALU_DEP_4) | instskip(NEXT) | instid1(VALU_DEP_4)
	v_cndmask_b32_e64 v14, v14, v102, s5
	v_cndmask_b32_e64 v15, v15, v103, s5
	s_delay_alu instid0(VALU_DEP_4) | instskip(NEXT) | instid1(VALU_DEP_4)
	v_cndmask_b32_e64 v13, v13, v103, s5
	v_cndmask_b32_e64 v12, v12, v102, s5
	s_delay_alu instid0(VALU_DEP_3) | instskip(NEXT) | instid1(VALU_DEP_2)
	v_cmp_class_f64_e64 s7, v[14:15], 0x1f8
	v_cmp_neq_f64_e64 s6, v[14:15], v[12:13]
	s_delay_alu instid0(VALU_DEP_1) | instskip(NEXT) | instid1(SALU_CYCLE_1)
	s_or_b32 s6, s6, s7
	s_and_saveexec_b32 s12, s6
	s_cbranch_execz .LBB56_272
; %bb.271:
	v_add_f64 v[14:15], v[14:15], -v[12:13]
	s_mov_b32 s6, 0x652b82fe
	s_mov_b32 s7, 0x3ff71547
	;; [unrolled: 1-line block ×10, first 2 shown]
	s_delay_alu instid0(VALU_DEP_1) | instskip(SKIP_2) | instid1(VALU_DEP_1)
	v_mul_f64 v[16:17], v[14:15], s[6:7]
	s_mov_b32 s6, 0xfca7ab0c
	s_mov_b32 s7, 0x3e928af3
	v_rndne_f64_e32 v[16:17], v[16:17]
	s_delay_alu instid0(VALU_DEP_1) | instskip(SKIP_2) | instid1(VALU_DEP_2)
	v_fma_f64 v[18:19], v[16:17], s[8:9], v[14:15]
	v_cvt_i32_f64_e32 v22, v[16:17]
	s_mov_b32 s9, 0x3fe62e42
	v_fma_f64 v[18:19], v[16:17], s[10:11], v[18:19]
	s_mov_b32 s11, 0x3c7abc9e
	s_delay_alu instid0(VALU_DEP_1) | instskip(SKIP_4) | instid1(VALU_DEP_1)
	v_fma_f64 v[20:21], v[18:19], s[14:15], s[6:7]
	s_mov_b32 s6, 0x623fde64
	s_mov_b32 s7, 0x3ec71dee
	;; [unrolled: 1-line block ×4, first 2 shown]
	v_fma_f64 v[20:21], v[18:19], v[20:21], s[6:7]
	s_mov_b32 s6, 0x7c89e6b0
	s_mov_b32 s7, 0x3efa0199
	s_delay_alu instid0(VALU_DEP_1) | instid1(SALU_CYCLE_1)
	v_fma_f64 v[20:21], v[18:19], v[20:21], s[6:7]
	s_mov_b32 s6, 0x14761f6e
	s_mov_b32 s7, 0x3f2a01a0
	s_delay_alu instid0(VALU_DEP_1) | instid1(SALU_CYCLE_1)
	;; [unrolled: 4-line block ×7, first 2 shown]
	v_fma_f64 v[20:21], v[18:19], v[20:21], s[6:7]
	v_cmp_nlt_f64_e64 s6, 0x40900000, v[14:15]
	v_cmp_ngt_f64_e64 s7, 0xc090cc00, v[14:15]
	s_delay_alu instid0(VALU_DEP_3) | instskip(NEXT) | instid1(VALU_DEP_1)
	v_fma_f64 v[20:21], v[18:19], v[20:21], 1.0
	v_fma_f64 v[16:17], v[18:19], v[20:21], 1.0
	s_delay_alu instid0(VALU_DEP_1) | instskip(NEXT) | instid1(VALU_DEP_1)
	v_ldexp_f64 v[16:17], v[16:17], v22
	v_cndmask_b32_e64 v17, 0x7ff00000, v17, s6
	s_and_b32 s6, s7, s6
	s_delay_alu instid0(VALU_DEP_2) | instid1(SALU_CYCLE_1)
	v_cndmask_b32_e64 v14, 0, v16, s6
	s_mov_b32 s6, 0x55555555
	s_delay_alu instid0(VALU_DEP_2) | instskip(SKIP_1) | instid1(VALU_DEP_1)
	v_cndmask_b32_e64 v15, 0, v17, s7
	s_mov_b32 s7, 0x3fe55555
	v_add_f64 v[16:17], v[14:15], 1.0
	s_delay_alu instid0(VALU_DEP_1) | instskip(SKIP_2) | instid1(VALU_DEP_3)
	v_frexp_mant_f64_e32 v[18:19], v[16:17]
	v_frexp_exp_i32_f64_e32 v22, v[16:17]
	v_add_f64 v[20:21], v[16:17], -1.0
	v_cmp_gt_f64_e64 s6, s[6:7], v[18:19]
	s_delay_alu instid0(VALU_DEP_2) | instskip(SKIP_1) | instid1(VALU_DEP_3)
	v_add_f64 v[18:19], v[20:21], -v[16:17]
	v_add_f64 v[20:21], v[14:15], -v[20:21]
	v_subrev_co_ci_u32_e64 v133, s6, 0, v22, s6
	s_delay_alu instid0(VALU_DEP_3) | instskip(SKIP_1) | instid1(VALU_DEP_2)
	v_add_f64 v[18:19], v[18:19], 1.0
	s_mov_b32 s6, 0x55555780
	v_sub_nc_u32_e32 v24, 0, v133
	s_delay_alu instid0(VALU_DEP_1) | instskip(NEXT) | instid1(VALU_DEP_3)
	v_ldexp_f64 v[16:17], v[16:17], v24
	v_add_f64 v[18:19], v[20:21], v[18:19]
	s_delay_alu instid0(VALU_DEP_2) | instskip(SKIP_1) | instid1(VALU_DEP_3)
	v_add_f64 v[22:23], v[16:17], 1.0
	v_add_f64 v[28:29], v[16:17], -1.0
	v_ldexp_f64 v[18:19], v[18:19], v24
	s_delay_alu instid0(VALU_DEP_3) | instskip(NEXT) | instid1(VALU_DEP_3)
	v_add_f64 v[20:21], v[22:23], -1.0
	v_add_f64 v[30:31], v[28:29], 1.0
	s_delay_alu instid0(VALU_DEP_2) | instskip(NEXT) | instid1(VALU_DEP_2)
	v_add_f64 v[20:21], v[16:17], -v[20:21]
	v_add_f64 v[16:17], v[16:17], -v[30:31]
	s_delay_alu instid0(VALU_DEP_2) | instskip(NEXT) | instid1(VALU_DEP_2)
	v_add_f64 v[20:21], v[18:19], v[20:21]
	v_add_f64 v[16:17], v[18:19], v[16:17]
	s_delay_alu instid0(VALU_DEP_2) | instskip(NEXT) | instid1(VALU_DEP_2)
	v_add_f64 v[24:25], v[22:23], v[20:21]
	v_add_f64 v[30:31], v[28:29], v[16:17]
	s_delay_alu instid0(VALU_DEP_2) | instskip(SKIP_1) | instid1(VALU_DEP_2)
	v_rcp_f64_e32 v[26:27], v[24:25]
	v_add_f64 v[22:23], v[24:25], -v[22:23]
	v_add_f64 v[28:29], v[30:31], -v[28:29]
	s_delay_alu instid0(VALU_DEP_2) | instskip(SKIP_3) | instid1(VALU_DEP_2)
	v_add_f64 v[20:21], v[20:21], -v[22:23]
	s_waitcnt_depctr 0xfff
	v_fma_f64 v[48:49], -v[24:25], v[26:27], 1.0
	v_add_f64 v[16:17], v[16:17], -v[28:29]
	v_fma_f64 v[26:27], v[48:49], v[26:27], v[26:27]
	s_delay_alu instid0(VALU_DEP_1) | instskip(NEXT) | instid1(VALU_DEP_1)
	v_fma_f64 v[18:19], -v[24:25], v[26:27], 1.0
	v_fma_f64 v[18:19], v[18:19], v[26:27], v[26:27]
	s_delay_alu instid0(VALU_DEP_1) | instskip(NEXT) | instid1(VALU_DEP_1)
	v_mul_f64 v[26:27], v[30:31], v[18:19]
	v_mul_f64 v[48:49], v[24:25], v[26:27]
	s_delay_alu instid0(VALU_DEP_1) | instskip(NEXT) | instid1(VALU_DEP_1)
	v_fma_f64 v[22:23], v[26:27], v[24:25], -v[48:49]
	v_fma_f64 v[22:23], v[26:27], v[20:21], v[22:23]
	s_delay_alu instid0(VALU_DEP_1) | instskip(NEXT) | instid1(VALU_DEP_1)
	v_add_f64 v[129:130], v[48:49], v[22:23]
	v_add_f64 v[131:132], v[30:31], -v[129:130]
	v_add_f64 v[28:29], v[129:130], -v[48:49]
	s_delay_alu instid0(VALU_DEP_2) | instskip(NEXT) | instid1(VALU_DEP_2)
	v_add_f64 v[30:31], v[30:31], -v[131:132]
	v_add_f64 v[22:23], v[28:29], -v[22:23]
	s_delay_alu instid0(VALU_DEP_2) | instskip(NEXT) | instid1(VALU_DEP_1)
	v_add_f64 v[30:31], v[30:31], -v[129:130]
	v_add_f64 v[16:17], v[16:17], v[30:31]
	s_delay_alu instid0(VALU_DEP_1) | instskip(NEXT) | instid1(VALU_DEP_1)
	v_add_f64 v[16:17], v[22:23], v[16:17]
	v_add_f64 v[22:23], v[131:132], v[16:17]
	s_delay_alu instid0(VALU_DEP_1) | instskip(SKIP_1) | instid1(VALU_DEP_2)
	v_mul_f64 v[28:29], v[18:19], v[22:23]
	v_add_f64 v[129:130], v[131:132], -v[22:23]
	v_mul_f64 v[30:31], v[24:25], v[28:29]
	s_delay_alu instid0(VALU_DEP_2) | instskip(NEXT) | instid1(VALU_DEP_2)
	v_add_f64 v[16:17], v[16:17], v[129:130]
	v_fma_f64 v[24:25], v[28:29], v[24:25], -v[30:31]
	s_delay_alu instid0(VALU_DEP_1) | instskip(NEXT) | instid1(VALU_DEP_1)
	v_fma_f64 v[20:21], v[28:29], v[20:21], v[24:25]
	v_add_f64 v[24:25], v[30:31], v[20:21]
	s_delay_alu instid0(VALU_DEP_1) | instskip(SKIP_1) | instid1(VALU_DEP_2)
	v_add_f64 v[48:49], v[22:23], -v[24:25]
	v_add_f64 v[30:31], v[24:25], -v[30:31]
	;; [unrolled: 1-line block ×3, first 2 shown]
	s_delay_alu instid0(VALU_DEP_2) | instskip(NEXT) | instid1(VALU_DEP_2)
	v_add_f64 v[20:21], v[30:31], -v[20:21]
	v_add_f64 v[22:23], v[22:23], -v[24:25]
	s_delay_alu instid0(VALU_DEP_1) | instskip(SKIP_1) | instid1(VALU_DEP_2)
	v_add_f64 v[16:17], v[16:17], v[22:23]
	v_add_f64 v[22:23], v[26:27], v[28:29]
	;; [unrolled: 1-line block ×3, first 2 shown]
	s_delay_alu instid0(VALU_DEP_2) | instskip(NEXT) | instid1(VALU_DEP_2)
	v_add_f64 v[20:21], v[22:23], -v[26:27]
	v_add_f64 v[16:17], v[48:49], v[16:17]
	s_delay_alu instid0(VALU_DEP_2) | instskip(NEXT) | instid1(VALU_DEP_2)
	v_add_f64 v[20:21], v[28:29], -v[20:21]
	v_mul_f64 v[16:17], v[18:19], v[16:17]
	s_delay_alu instid0(VALU_DEP_1) | instskip(NEXT) | instid1(VALU_DEP_1)
	v_add_f64 v[16:17], v[20:21], v[16:17]
	v_add_f64 v[18:19], v[22:23], v[16:17]
	s_delay_alu instid0(VALU_DEP_1) | instskip(NEXT) | instid1(VALU_DEP_1)
	v_mul_f64 v[20:21], v[18:19], v[18:19]
	v_fma_f64 v[24:25], v[20:21], s[18:19], s[14:15]
	s_mov_b32 s14, 0xd7f4df2e
	s_mov_b32 s15, 0x3fc7474d
	v_mul_f64 v[26:27], v[18:19], v[20:21]
	s_delay_alu instid0(VALU_DEP_2)
	v_fma_f64 v[24:25], v[20:21], v[24:25], s[14:15]
	s_mov_b32 s14, 0x16291751
	s_mov_b32 s15, 0x3fcc71c0
	s_delay_alu instid0(VALU_DEP_1) | instid1(SALU_CYCLE_1)
	v_fma_f64 v[24:25], v[20:21], v[24:25], s[14:15]
	s_mov_b32 s14, 0x9b27acf1
	s_mov_b32 s15, 0x3fd24924
	s_delay_alu instid0(VALU_DEP_1) | instid1(SALU_CYCLE_1)
	;; [unrolled: 4-line block ×3, first 2 shown]
	v_fma_f64 v[24:25], v[20:21], v[24:25], s[14:15]
	s_delay_alu instid0(VALU_DEP_1) | instskip(SKIP_3) | instid1(VALU_DEP_4)
	v_fma_f64 v[20:21], v[20:21], v[24:25], s[6:7]
	v_ldexp_f64 v[24:25], v[18:19], 1
	v_add_f64 v[18:19], v[18:19], -v[22:23]
	v_cmp_eq_f64_e64 s6, 0x7ff00000, v[14:15]
	v_mul_f64 v[20:21], v[26:27], v[20:21]
	v_cvt_f64_i32_e32 v[26:27], v133
	s_delay_alu instid0(VALU_DEP_4) | instskip(NEXT) | instid1(VALU_DEP_3)
	v_add_f64 v[16:17], v[16:17], -v[18:19]
	v_add_f64 v[22:23], v[24:25], v[20:21]
	s_delay_alu instid0(VALU_DEP_3) | instskip(NEXT) | instid1(VALU_DEP_3)
	v_mul_f64 v[28:29], v[26:27], s[8:9]
	v_ldexp_f64 v[16:17], v[16:17], 1
	s_delay_alu instid0(VALU_DEP_3) | instskip(NEXT) | instid1(VALU_DEP_3)
	v_add_f64 v[18:19], v[22:23], -v[24:25]
	v_fma_f64 v[24:25], v[26:27], s[8:9], -v[28:29]
	s_delay_alu instid0(VALU_DEP_2) | instskip(NEXT) | instid1(VALU_DEP_2)
	v_add_f64 v[18:19], v[20:21], -v[18:19]
	v_fma_f64 v[20:21], v[26:27], s[10:11], v[24:25]
	s_delay_alu instid0(VALU_DEP_2) | instskip(NEXT) | instid1(VALU_DEP_2)
	v_add_f64 v[16:17], v[16:17], v[18:19]
	v_add_f64 v[18:19], v[28:29], v[20:21]
	s_delay_alu instid0(VALU_DEP_2) | instskip(NEXT) | instid1(VALU_DEP_2)
	v_add_f64 v[24:25], v[22:23], v[16:17]
	v_add_f64 v[28:29], v[18:19], -v[28:29]
	s_delay_alu instid0(VALU_DEP_2) | instskip(SKIP_1) | instid1(VALU_DEP_3)
	v_add_f64 v[26:27], v[18:19], v[24:25]
	v_add_f64 v[22:23], v[24:25], -v[22:23]
	v_add_f64 v[20:21], v[20:21], -v[28:29]
	s_delay_alu instid0(VALU_DEP_3) | instskip(NEXT) | instid1(VALU_DEP_3)
	v_add_f64 v[30:31], v[26:27], -v[18:19]
	v_add_f64 v[16:17], v[16:17], -v[22:23]
	s_delay_alu instid0(VALU_DEP_2) | instskip(SKIP_1) | instid1(VALU_DEP_3)
	v_add_f64 v[48:49], v[26:27], -v[30:31]
	v_add_f64 v[22:23], v[24:25], -v[30:31]
	v_add_f64 v[24:25], v[20:21], v[16:17]
	s_delay_alu instid0(VALU_DEP_3) | instskip(NEXT) | instid1(VALU_DEP_1)
	v_add_f64 v[18:19], v[18:19], -v[48:49]
	v_add_f64 v[18:19], v[22:23], v[18:19]
	s_delay_alu instid0(VALU_DEP_3) | instskip(NEXT) | instid1(VALU_DEP_2)
	v_add_f64 v[22:23], v[24:25], -v[20:21]
	v_add_f64 v[18:19], v[24:25], v[18:19]
	s_delay_alu instid0(VALU_DEP_2) | instskip(SKIP_1) | instid1(VALU_DEP_3)
	v_add_f64 v[24:25], v[24:25], -v[22:23]
	v_add_f64 v[16:17], v[16:17], -v[22:23]
	v_add_f64 v[28:29], v[26:27], v[18:19]
	s_delay_alu instid0(VALU_DEP_3) | instskip(NEXT) | instid1(VALU_DEP_2)
	v_add_f64 v[20:21], v[20:21], -v[24:25]
	v_add_f64 v[22:23], v[28:29], -v[26:27]
	s_delay_alu instid0(VALU_DEP_2) | instskip(NEXT) | instid1(VALU_DEP_2)
	v_add_f64 v[16:17], v[16:17], v[20:21]
	v_add_f64 v[18:19], v[18:19], -v[22:23]
	s_delay_alu instid0(VALU_DEP_1) | instskip(NEXT) | instid1(VALU_DEP_1)
	v_add_f64 v[16:17], v[16:17], v[18:19]
	v_add_f64 v[16:17], v[28:29], v[16:17]
	s_delay_alu instid0(VALU_DEP_1) | instskip(NEXT) | instid1(VALU_DEP_2)
	v_cndmask_b32_e64 v16, v16, v14, s6
	v_cndmask_b32_e64 v17, v17, v15, s6
	v_cmp_ngt_f64_e64 s6, -1.0, v[14:15]
	s_delay_alu instid0(VALU_DEP_1) | instskip(SKIP_1) | instid1(VALU_DEP_1)
	v_cndmask_b32_e64 v17, 0x7ff80000, v17, s6
	v_cmp_nge_f64_e64 s6, -1.0, v[14:15]
	v_cndmask_b32_e64 v16, 0, v16, s6
	v_cmp_neq_f64_e64 s6, -1.0, v[14:15]
	s_delay_alu instid0(VALU_DEP_1) | instskip(NEXT) | instid1(VALU_DEP_1)
	v_cndmask_b32_e64 v17, 0xfff00000, v17, s6
	v_add_f64 v[48:49], v[12:13], v[16:17]
.LBB56_272:
	s_or_b32 exec_lo, exec_lo, s12
	v_max_f64 v[12:13], v[96:97], v[96:97]
	s_delay_alu instid0(VALU_DEP_2) | instskip(SKIP_2) | instid1(VALU_DEP_3)
	v_max_f64 v[14:15], v[48:49], v[48:49]
	v_cmp_u_f64_e64 s7, v[48:49], v[48:49]
	v_cmp_u_f64_e64 s6, v[96:97], v[96:97]
	v_min_f64 v[16:17], v[14:15], v[12:13]
	v_max_f64 v[14:15], v[14:15], v[12:13]
	s_delay_alu instid0(VALU_DEP_2) | instskip(NEXT) | instid1(VALU_DEP_3)
	v_cndmask_b32_e64 v16, v16, v48, s7
	v_cndmask_b32_e64 v17, v17, v49, s7
	s_delay_alu instid0(VALU_DEP_3) | instskip(NEXT) | instid1(VALU_DEP_4)
	v_cndmask_b32_e64 v15, v15, v49, s7
	v_cndmask_b32_e64 v14, v14, v48, s7
	s_delay_alu instid0(VALU_DEP_4) | instskip(NEXT) | instid1(VALU_DEP_4)
	v_cndmask_b32_e64 v16, v16, v96, s6
	v_cndmask_b32_e64 v17, v17, v97, s6
	s_delay_alu instid0(VALU_DEP_4) | instskip(NEXT) | instid1(VALU_DEP_4)
	v_cndmask_b32_e64 v15, v15, v97, s6
	v_cndmask_b32_e64 v14, v14, v96, s6
	s_delay_alu instid0(VALU_DEP_3) | instskip(NEXT) | instid1(VALU_DEP_2)
	v_cmp_class_f64_e64 s8, v[16:17], 0x1f8
	v_cmp_neq_f64_e64 s7, v[16:17], v[14:15]
	s_delay_alu instid0(VALU_DEP_1) | instskip(NEXT) | instid1(SALU_CYCLE_1)
	s_or_b32 s7, s7, s8
	s_and_saveexec_b32 s14, s7
	s_cbranch_execz .LBB56_274
; %bb.273:
	v_add_f64 v[16:17], v[16:17], -v[14:15]
	s_mov_b32 s8, 0x652b82fe
	s_mov_b32 s9, 0x3ff71547
	;; [unrolled: 1-line block ×10, first 2 shown]
	s_delay_alu instid0(VALU_DEP_1) | instskip(SKIP_3) | instid1(VALU_DEP_2)
	v_mul_f64 v[18:19], v[16:17], s[8:9]
	s_mov_b32 s8, 0xfca7ab0c
	s_mov_b32 s9, 0x3e928af3
	v_cmp_nlt_f64_e64 s7, 0x40900000, v[16:17]
	v_rndne_f64_e32 v[18:19], v[18:19]
	s_delay_alu instid0(VALU_DEP_1) | instskip(SKIP_2) | instid1(VALU_DEP_2)
	v_fma_f64 v[20:21], v[18:19], s[10:11], v[16:17]
	v_cvt_i32_f64_e32 v24, v[18:19]
	s_mov_b32 s11, 0x3fe62e42
	v_fma_f64 v[20:21], v[18:19], s[12:13], v[20:21]
	s_mov_b32 s13, 0x3c7abc9e
	s_delay_alu instid0(VALU_DEP_1) | instskip(SKIP_4) | instid1(VALU_DEP_1)
	v_fma_f64 v[22:23], v[20:21], s[18:19], s[8:9]
	s_mov_b32 s8, 0x623fde64
	s_mov_b32 s9, 0x3ec71dee
	;; [unrolled: 1-line block ×4, first 2 shown]
	v_fma_f64 v[22:23], v[20:21], v[22:23], s[8:9]
	s_mov_b32 s8, 0x7c89e6b0
	s_mov_b32 s9, 0x3efa0199
	s_delay_alu instid0(VALU_DEP_1) | instid1(SALU_CYCLE_1)
	v_fma_f64 v[22:23], v[20:21], v[22:23], s[8:9]
	s_mov_b32 s8, 0x14761f6e
	s_mov_b32 s9, 0x3f2a01a0
	s_delay_alu instid0(VALU_DEP_1) | instid1(SALU_CYCLE_1)
	;; [unrolled: 4-line block ×7, first 2 shown]
	v_fma_f64 v[22:23], v[20:21], v[22:23], s[8:9]
	v_cmp_ngt_f64_e64 s8, 0xc090cc00, v[16:17]
	s_mov_b32 s9, 0x3fe55555
	s_delay_alu instid0(VALU_DEP_2) | instskip(NEXT) | instid1(VALU_DEP_1)
	v_fma_f64 v[22:23], v[20:21], v[22:23], 1.0
	v_fma_f64 v[18:19], v[20:21], v[22:23], 1.0
	s_delay_alu instid0(VALU_DEP_1) | instskip(NEXT) | instid1(VALU_DEP_1)
	v_ldexp_f64 v[18:19], v[18:19], v24
	v_cndmask_b32_e64 v19, 0x7ff00000, v19, s7
	s_and_b32 s7, s8, s7
	s_delay_alu instid0(VALU_DEP_2) | instid1(SALU_CYCLE_1)
	v_cndmask_b32_e64 v16, 0, v18, s7
	s_delay_alu instid0(VALU_DEP_2) | instskip(SKIP_1) | instid1(VALU_DEP_1)
	v_cndmask_b32_e64 v17, 0, v19, s8
	s_mov_b32 s8, 0x55555555
	v_add_f64 v[18:19], v[16:17], 1.0
	s_delay_alu instid0(VALU_DEP_1) | instskip(SKIP_2) | instid1(VALU_DEP_3)
	v_frexp_mant_f64_e32 v[20:21], v[18:19]
	v_frexp_exp_i32_f64_e32 v24, v[18:19]
	v_add_f64 v[22:23], v[18:19], -1.0
	v_cmp_gt_f64_e64 s7, s[8:9], v[20:21]
	s_mov_b32 s8, 0x55555780
	s_delay_alu instid0(VALU_DEP_2) | instskip(SKIP_1) | instid1(VALU_DEP_3)
	v_add_f64 v[20:21], v[22:23], -v[18:19]
	v_add_f64 v[22:23], v[16:17], -v[22:23]
	v_subrev_co_ci_u32_e64 v144, s7, 0, v24, s7
	s_delay_alu instid0(VALU_DEP_3) | instskip(SKIP_1) | instid1(VALU_DEP_3)
	v_add_f64 v[20:21], v[20:21], 1.0
	v_cmp_eq_f64_e64 s7, 0x7ff00000, v[16:17]
	v_sub_nc_u32_e32 v26, 0, v144
	s_delay_alu instid0(VALU_DEP_1) | instskip(NEXT) | instid1(VALU_DEP_4)
	v_ldexp_f64 v[18:19], v[18:19], v26
	v_add_f64 v[20:21], v[22:23], v[20:21]
	s_delay_alu instid0(VALU_DEP_2) | instskip(SKIP_1) | instid1(VALU_DEP_3)
	v_add_f64 v[24:25], v[18:19], 1.0
	v_add_f64 v[30:31], v[18:19], -1.0
	v_ldexp_f64 v[20:21], v[20:21], v26
	s_delay_alu instid0(VALU_DEP_3) | instskip(NEXT) | instid1(VALU_DEP_3)
	v_add_f64 v[22:23], v[24:25], -1.0
	v_add_f64 v[48:49], v[30:31], 1.0
	s_delay_alu instid0(VALU_DEP_2) | instskip(NEXT) | instid1(VALU_DEP_2)
	v_add_f64 v[22:23], v[18:19], -v[22:23]
	v_add_f64 v[18:19], v[18:19], -v[48:49]
	s_delay_alu instid0(VALU_DEP_2) | instskip(NEXT) | instid1(VALU_DEP_2)
	v_add_f64 v[22:23], v[20:21], v[22:23]
	v_add_f64 v[18:19], v[20:21], v[18:19]
	s_delay_alu instid0(VALU_DEP_2) | instskip(NEXT) | instid1(VALU_DEP_2)
	v_add_f64 v[26:27], v[24:25], v[22:23]
	v_add_f64 v[48:49], v[30:31], v[18:19]
	s_delay_alu instid0(VALU_DEP_2) | instskip(SKIP_1) | instid1(VALU_DEP_2)
	v_rcp_f64_e32 v[28:29], v[26:27]
	v_add_f64 v[24:25], v[26:27], -v[24:25]
	v_add_f64 v[30:31], v[48:49], -v[30:31]
	s_delay_alu instid0(VALU_DEP_2) | instskip(SKIP_3) | instid1(VALU_DEP_2)
	v_add_f64 v[22:23], v[22:23], -v[24:25]
	s_waitcnt_depctr 0xfff
	v_fma_f64 v[129:130], -v[26:27], v[28:29], 1.0
	v_add_f64 v[18:19], v[18:19], -v[30:31]
	v_fma_f64 v[28:29], v[129:130], v[28:29], v[28:29]
	s_delay_alu instid0(VALU_DEP_1) | instskip(NEXT) | instid1(VALU_DEP_1)
	v_fma_f64 v[20:21], -v[26:27], v[28:29], 1.0
	v_fma_f64 v[20:21], v[20:21], v[28:29], v[28:29]
	s_delay_alu instid0(VALU_DEP_1) | instskip(NEXT) | instid1(VALU_DEP_1)
	v_mul_f64 v[28:29], v[48:49], v[20:21]
	v_mul_f64 v[129:130], v[26:27], v[28:29]
	s_delay_alu instid0(VALU_DEP_1) | instskip(NEXT) | instid1(VALU_DEP_1)
	v_fma_f64 v[24:25], v[28:29], v[26:27], -v[129:130]
	v_fma_f64 v[24:25], v[28:29], v[22:23], v[24:25]
	s_delay_alu instid0(VALU_DEP_1) | instskip(NEXT) | instid1(VALU_DEP_1)
	v_add_f64 v[131:132], v[129:130], v[24:25]
	v_add_f64 v[133:134], v[48:49], -v[131:132]
	v_add_f64 v[30:31], v[131:132], -v[129:130]
	s_delay_alu instid0(VALU_DEP_2) | instskip(NEXT) | instid1(VALU_DEP_2)
	v_add_f64 v[48:49], v[48:49], -v[133:134]
	v_add_f64 v[24:25], v[30:31], -v[24:25]
	s_delay_alu instid0(VALU_DEP_2) | instskip(NEXT) | instid1(VALU_DEP_1)
	v_add_f64 v[48:49], v[48:49], -v[131:132]
	v_add_f64 v[18:19], v[18:19], v[48:49]
	s_delay_alu instid0(VALU_DEP_1) | instskip(NEXT) | instid1(VALU_DEP_1)
	v_add_f64 v[18:19], v[24:25], v[18:19]
	v_add_f64 v[24:25], v[133:134], v[18:19]
	s_delay_alu instid0(VALU_DEP_1) | instskip(SKIP_1) | instid1(VALU_DEP_2)
	v_mul_f64 v[30:31], v[20:21], v[24:25]
	v_add_f64 v[131:132], v[133:134], -v[24:25]
	v_mul_f64 v[48:49], v[26:27], v[30:31]
	s_delay_alu instid0(VALU_DEP_2) | instskip(NEXT) | instid1(VALU_DEP_2)
	v_add_f64 v[18:19], v[18:19], v[131:132]
	v_fma_f64 v[26:27], v[30:31], v[26:27], -v[48:49]
	s_delay_alu instid0(VALU_DEP_1) | instskip(NEXT) | instid1(VALU_DEP_1)
	v_fma_f64 v[22:23], v[30:31], v[22:23], v[26:27]
	v_add_f64 v[26:27], v[48:49], v[22:23]
	s_delay_alu instid0(VALU_DEP_1) | instskip(SKIP_1) | instid1(VALU_DEP_2)
	v_add_f64 v[129:130], v[24:25], -v[26:27]
	v_add_f64 v[48:49], v[26:27], -v[48:49]
	;; [unrolled: 1-line block ×3, first 2 shown]
	s_delay_alu instid0(VALU_DEP_2) | instskip(NEXT) | instid1(VALU_DEP_2)
	v_add_f64 v[22:23], v[48:49], -v[22:23]
	v_add_f64 v[24:25], v[24:25], -v[26:27]
	s_delay_alu instid0(VALU_DEP_1) | instskip(SKIP_1) | instid1(VALU_DEP_2)
	v_add_f64 v[18:19], v[18:19], v[24:25]
	v_add_f64 v[24:25], v[28:29], v[30:31]
	;; [unrolled: 1-line block ×3, first 2 shown]
	s_delay_alu instid0(VALU_DEP_2) | instskip(NEXT) | instid1(VALU_DEP_2)
	v_add_f64 v[22:23], v[24:25], -v[28:29]
	v_add_f64 v[18:19], v[129:130], v[18:19]
	s_delay_alu instid0(VALU_DEP_2) | instskip(NEXT) | instid1(VALU_DEP_2)
	v_add_f64 v[22:23], v[30:31], -v[22:23]
	v_mul_f64 v[18:19], v[20:21], v[18:19]
	s_delay_alu instid0(VALU_DEP_1) | instskip(NEXT) | instid1(VALU_DEP_1)
	v_add_f64 v[18:19], v[22:23], v[18:19]
	v_add_f64 v[20:21], v[24:25], v[18:19]
	s_delay_alu instid0(VALU_DEP_1) | instskip(NEXT) | instid1(VALU_DEP_1)
	v_mul_f64 v[22:23], v[20:21], v[20:21]
	v_fma_f64 v[26:27], v[22:23], s[20:21], s[18:19]
	s_mov_b32 s18, 0xd7f4df2e
	s_mov_b32 s19, 0x3fc7474d
	v_mul_f64 v[28:29], v[20:21], v[22:23]
	s_delay_alu instid0(VALU_DEP_2)
	v_fma_f64 v[26:27], v[22:23], v[26:27], s[18:19]
	s_mov_b32 s18, 0x16291751
	s_mov_b32 s19, 0x3fcc71c0
	s_delay_alu instid0(VALU_DEP_1) | instid1(SALU_CYCLE_1)
	v_fma_f64 v[26:27], v[22:23], v[26:27], s[18:19]
	s_mov_b32 s18, 0x9b27acf1
	s_mov_b32 s19, 0x3fd24924
	s_delay_alu instid0(VALU_DEP_1) | instid1(SALU_CYCLE_1)
	;; [unrolled: 4-line block ×3, first 2 shown]
	v_fma_f64 v[26:27], v[22:23], v[26:27], s[18:19]
	s_delay_alu instid0(VALU_DEP_1) | instskip(SKIP_2) | instid1(VALU_DEP_3)
	v_fma_f64 v[22:23], v[22:23], v[26:27], s[8:9]
	v_ldexp_f64 v[26:27], v[20:21], 1
	v_add_f64 v[20:21], v[20:21], -v[24:25]
	v_mul_f64 v[22:23], v[28:29], v[22:23]
	v_cvt_f64_i32_e32 v[28:29], v144
	s_delay_alu instid0(VALU_DEP_3) | instskip(NEXT) | instid1(VALU_DEP_3)
	v_add_f64 v[18:19], v[18:19], -v[20:21]
	v_add_f64 v[24:25], v[26:27], v[22:23]
	s_delay_alu instid0(VALU_DEP_3) | instskip(NEXT) | instid1(VALU_DEP_3)
	v_mul_f64 v[30:31], v[28:29], s[10:11]
	v_ldexp_f64 v[18:19], v[18:19], 1
	s_delay_alu instid0(VALU_DEP_3) | instskip(NEXT) | instid1(VALU_DEP_3)
	v_add_f64 v[20:21], v[24:25], -v[26:27]
	v_fma_f64 v[26:27], v[28:29], s[10:11], -v[30:31]
	s_delay_alu instid0(VALU_DEP_2) | instskip(NEXT) | instid1(VALU_DEP_2)
	v_add_f64 v[20:21], v[22:23], -v[20:21]
	v_fma_f64 v[22:23], v[28:29], s[12:13], v[26:27]
	s_delay_alu instid0(VALU_DEP_2) | instskip(NEXT) | instid1(VALU_DEP_2)
	v_add_f64 v[18:19], v[18:19], v[20:21]
	v_add_f64 v[20:21], v[30:31], v[22:23]
	s_delay_alu instid0(VALU_DEP_2) | instskip(NEXT) | instid1(VALU_DEP_2)
	v_add_f64 v[26:27], v[24:25], v[18:19]
	v_add_f64 v[30:31], v[20:21], -v[30:31]
	s_delay_alu instid0(VALU_DEP_2) | instskip(SKIP_1) | instid1(VALU_DEP_3)
	v_add_f64 v[28:29], v[20:21], v[26:27]
	v_add_f64 v[24:25], v[26:27], -v[24:25]
	v_add_f64 v[22:23], v[22:23], -v[30:31]
	s_delay_alu instid0(VALU_DEP_3) | instskip(NEXT) | instid1(VALU_DEP_3)
	v_add_f64 v[48:49], v[28:29], -v[20:21]
	v_add_f64 v[18:19], v[18:19], -v[24:25]
	s_delay_alu instid0(VALU_DEP_2) | instskip(SKIP_1) | instid1(VALU_DEP_3)
	v_add_f64 v[129:130], v[28:29], -v[48:49]
	v_add_f64 v[24:25], v[26:27], -v[48:49]
	v_add_f64 v[26:27], v[22:23], v[18:19]
	s_delay_alu instid0(VALU_DEP_3) | instskip(NEXT) | instid1(VALU_DEP_1)
	v_add_f64 v[20:21], v[20:21], -v[129:130]
	v_add_f64 v[20:21], v[24:25], v[20:21]
	s_delay_alu instid0(VALU_DEP_3) | instskip(NEXT) | instid1(VALU_DEP_2)
	v_add_f64 v[24:25], v[26:27], -v[22:23]
	v_add_f64 v[20:21], v[26:27], v[20:21]
	s_delay_alu instid0(VALU_DEP_2) | instskip(SKIP_1) | instid1(VALU_DEP_3)
	v_add_f64 v[26:27], v[26:27], -v[24:25]
	v_add_f64 v[18:19], v[18:19], -v[24:25]
	v_add_f64 v[30:31], v[28:29], v[20:21]
	s_delay_alu instid0(VALU_DEP_3) | instskip(NEXT) | instid1(VALU_DEP_2)
	v_add_f64 v[22:23], v[22:23], -v[26:27]
	v_add_f64 v[24:25], v[30:31], -v[28:29]
	s_delay_alu instid0(VALU_DEP_2) | instskip(NEXT) | instid1(VALU_DEP_2)
	v_add_f64 v[18:19], v[18:19], v[22:23]
	v_add_f64 v[20:21], v[20:21], -v[24:25]
	s_delay_alu instid0(VALU_DEP_1) | instskip(NEXT) | instid1(VALU_DEP_1)
	v_add_f64 v[18:19], v[18:19], v[20:21]
	v_add_f64 v[18:19], v[30:31], v[18:19]
	s_delay_alu instid0(VALU_DEP_1) | instskip(NEXT) | instid1(VALU_DEP_2)
	v_cndmask_b32_e64 v18, v18, v16, s7
	v_cndmask_b32_e64 v19, v19, v17, s7
	v_cmp_ngt_f64_e64 s7, -1.0, v[16:17]
	s_delay_alu instid0(VALU_DEP_1) | instskip(SKIP_1) | instid1(VALU_DEP_1)
	v_cndmask_b32_e64 v19, 0x7ff80000, v19, s7
	v_cmp_nge_f64_e64 s7, -1.0, v[16:17]
	v_cndmask_b32_e64 v18, 0, v18, s7
	v_cmp_neq_f64_e64 s7, -1.0, v[16:17]
	s_delay_alu instid0(VALU_DEP_1) | instskip(NEXT) | instid1(VALU_DEP_1)
	v_cndmask_b32_e64 v19, 0xfff00000, v19, s7
	v_add_f64 v[48:49], v[14:15], v[18:19]
.LBB56_274:
	s_or_b32 exec_lo, exec_lo, s14
	v_max_f64 v[14:15], v[98:99], v[98:99]
	s_delay_alu instid0(VALU_DEP_2) | instskip(SKIP_2) | instid1(VALU_DEP_3)
	v_max_f64 v[16:17], v[48:49], v[48:49]
	v_cmp_u_f64_e64 s8, v[48:49], v[48:49]
	v_cmp_u_f64_e64 s7, v[98:99], v[98:99]
	v_min_f64 v[18:19], v[16:17], v[14:15]
	v_max_f64 v[16:17], v[16:17], v[14:15]
	s_delay_alu instid0(VALU_DEP_2) | instskip(NEXT) | instid1(VALU_DEP_3)
	v_cndmask_b32_e64 v18, v18, v48, s8
	v_cndmask_b32_e64 v19, v19, v49, s8
	s_delay_alu instid0(VALU_DEP_3) | instskip(NEXT) | instid1(VALU_DEP_4)
	v_cndmask_b32_e64 v17, v17, v49, s8
	v_cndmask_b32_e64 v16, v16, v48, s8
	s_delay_alu instid0(VALU_DEP_4) | instskip(NEXT) | instid1(VALU_DEP_4)
	v_cndmask_b32_e64 v18, v18, v98, s7
	v_cndmask_b32_e64 v19, v19, v99, s7
	s_delay_alu instid0(VALU_DEP_4) | instskip(NEXT) | instid1(VALU_DEP_4)
	v_cndmask_b32_e64 v17, v17, v99, s7
	v_cndmask_b32_e64 v16, v16, v98, s7
	s_delay_alu instid0(VALU_DEP_3) | instskip(NEXT) | instid1(VALU_DEP_2)
	v_cmp_class_f64_e64 s9, v[18:19], 0x1f8
	v_cmp_neq_f64_e64 s8, v[18:19], v[16:17]
	s_delay_alu instid0(VALU_DEP_1) | instskip(NEXT) | instid1(SALU_CYCLE_1)
	s_or_b32 s8, s8, s9
	s_and_saveexec_b32 s14, s8
	s_cbranch_execz .LBB56_276
; %bb.275:
	v_add_f64 v[18:19], v[18:19], -v[16:17]
	s_mov_b32 s8, 0x652b82fe
	s_mov_b32 s9, 0x3ff71547
	;; [unrolled: 1-line block ×10, first 2 shown]
	s_delay_alu instid0(VALU_DEP_1) | instskip(SKIP_2) | instid1(VALU_DEP_1)
	v_mul_f64 v[20:21], v[18:19], s[8:9]
	s_mov_b32 s8, 0xfca7ab0c
	s_mov_b32 s9, 0x3e928af3
	v_rndne_f64_e32 v[20:21], v[20:21]
	s_delay_alu instid0(VALU_DEP_1) | instskip(SKIP_2) | instid1(VALU_DEP_2)
	v_fma_f64 v[22:23], v[20:21], s[10:11], v[18:19]
	v_cvt_i32_f64_e32 v26, v[20:21]
	s_mov_b32 s11, 0x3fe62e42
	v_fma_f64 v[22:23], v[20:21], s[12:13], v[22:23]
	s_mov_b32 s13, 0x3c7abc9e
	s_delay_alu instid0(VALU_DEP_1) | instskip(SKIP_4) | instid1(VALU_DEP_1)
	v_fma_f64 v[24:25], v[22:23], s[18:19], s[8:9]
	s_mov_b32 s8, 0x623fde64
	s_mov_b32 s9, 0x3ec71dee
	;; [unrolled: 1-line block ×4, first 2 shown]
	v_fma_f64 v[24:25], v[22:23], v[24:25], s[8:9]
	s_mov_b32 s8, 0x7c89e6b0
	s_mov_b32 s9, 0x3efa0199
	s_delay_alu instid0(VALU_DEP_1) | instid1(SALU_CYCLE_1)
	v_fma_f64 v[24:25], v[22:23], v[24:25], s[8:9]
	s_mov_b32 s8, 0x14761f6e
	s_mov_b32 s9, 0x3f2a01a0
	s_delay_alu instid0(VALU_DEP_1) | instid1(SALU_CYCLE_1)
	;; [unrolled: 4-line block ×7, first 2 shown]
	v_fma_f64 v[24:25], v[22:23], v[24:25], s[8:9]
	v_cmp_nlt_f64_e64 s8, 0x40900000, v[18:19]
	v_cmp_ngt_f64_e64 s9, 0xc090cc00, v[18:19]
	s_delay_alu instid0(VALU_DEP_3) | instskip(NEXT) | instid1(VALU_DEP_1)
	v_fma_f64 v[24:25], v[22:23], v[24:25], 1.0
	v_fma_f64 v[20:21], v[22:23], v[24:25], 1.0
	s_delay_alu instid0(VALU_DEP_1) | instskip(NEXT) | instid1(VALU_DEP_1)
	v_ldexp_f64 v[20:21], v[20:21], v26
	v_cndmask_b32_e64 v21, 0x7ff00000, v21, s8
	s_and_b32 s8, s9, s8
	s_delay_alu instid0(VALU_DEP_2) | instid1(SALU_CYCLE_1)
	v_cndmask_b32_e64 v18, 0, v20, s8
	s_mov_b32 s8, 0x55555555
	s_delay_alu instid0(VALU_DEP_2) | instskip(SKIP_1) | instid1(VALU_DEP_1)
	v_cndmask_b32_e64 v19, 0, v21, s9
	s_mov_b32 s9, 0x3fe55555
	v_add_f64 v[20:21], v[18:19], 1.0
	s_delay_alu instid0(VALU_DEP_1) | instskip(SKIP_2) | instid1(VALU_DEP_3)
	v_frexp_mant_f64_e32 v[22:23], v[20:21]
	v_frexp_exp_i32_f64_e32 v26, v[20:21]
	v_add_f64 v[24:25], v[20:21], -1.0
	v_cmp_gt_f64_e64 s8, s[8:9], v[22:23]
	s_delay_alu instid0(VALU_DEP_2) | instskip(SKIP_1) | instid1(VALU_DEP_3)
	v_add_f64 v[22:23], v[24:25], -v[20:21]
	v_add_f64 v[24:25], v[18:19], -v[24:25]
	v_subrev_co_ci_u32_e64 v146, s8, 0, v26, s8
	s_delay_alu instid0(VALU_DEP_3) | instskip(SKIP_1) | instid1(VALU_DEP_2)
	v_add_f64 v[22:23], v[22:23], 1.0
	s_mov_b32 s8, 0x55555780
	v_sub_nc_u32_e32 v28, 0, v146
	s_delay_alu instid0(VALU_DEP_1) | instskip(NEXT) | instid1(VALU_DEP_3)
	v_ldexp_f64 v[20:21], v[20:21], v28
	v_add_f64 v[22:23], v[24:25], v[22:23]
	s_delay_alu instid0(VALU_DEP_2) | instskip(SKIP_1) | instid1(VALU_DEP_3)
	v_add_f64 v[26:27], v[20:21], 1.0
	v_add_f64 v[48:49], v[20:21], -1.0
	v_ldexp_f64 v[22:23], v[22:23], v28
	s_delay_alu instid0(VALU_DEP_3) | instskip(NEXT) | instid1(VALU_DEP_3)
	v_add_f64 v[24:25], v[26:27], -1.0
	v_add_f64 v[129:130], v[48:49], 1.0
	s_delay_alu instid0(VALU_DEP_2) | instskip(NEXT) | instid1(VALU_DEP_2)
	v_add_f64 v[24:25], v[20:21], -v[24:25]
	v_add_f64 v[20:21], v[20:21], -v[129:130]
	s_delay_alu instid0(VALU_DEP_2) | instskip(NEXT) | instid1(VALU_DEP_2)
	v_add_f64 v[24:25], v[22:23], v[24:25]
	v_add_f64 v[20:21], v[22:23], v[20:21]
	s_delay_alu instid0(VALU_DEP_2) | instskip(NEXT) | instid1(VALU_DEP_2)
	v_add_f64 v[28:29], v[26:27], v[24:25]
	v_add_f64 v[129:130], v[48:49], v[20:21]
	s_delay_alu instid0(VALU_DEP_2) | instskip(SKIP_1) | instid1(VALU_DEP_2)
	v_rcp_f64_e32 v[30:31], v[28:29]
	v_add_f64 v[26:27], v[28:29], -v[26:27]
	v_add_f64 v[48:49], v[129:130], -v[48:49]
	s_delay_alu instid0(VALU_DEP_2) | instskip(SKIP_3) | instid1(VALU_DEP_2)
	v_add_f64 v[24:25], v[24:25], -v[26:27]
	s_waitcnt_depctr 0xfff
	v_fma_f64 v[131:132], -v[28:29], v[30:31], 1.0
	v_add_f64 v[20:21], v[20:21], -v[48:49]
	v_fma_f64 v[30:31], v[131:132], v[30:31], v[30:31]
	s_delay_alu instid0(VALU_DEP_1) | instskip(NEXT) | instid1(VALU_DEP_1)
	v_fma_f64 v[22:23], -v[28:29], v[30:31], 1.0
	v_fma_f64 v[22:23], v[22:23], v[30:31], v[30:31]
	s_delay_alu instid0(VALU_DEP_1) | instskip(NEXT) | instid1(VALU_DEP_1)
	v_mul_f64 v[30:31], v[129:130], v[22:23]
	v_mul_f64 v[131:132], v[28:29], v[30:31]
	s_delay_alu instid0(VALU_DEP_1) | instskip(NEXT) | instid1(VALU_DEP_1)
	v_fma_f64 v[26:27], v[30:31], v[28:29], -v[131:132]
	v_fma_f64 v[26:27], v[30:31], v[24:25], v[26:27]
	s_delay_alu instid0(VALU_DEP_1) | instskip(NEXT) | instid1(VALU_DEP_1)
	v_add_f64 v[133:134], v[131:132], v[26:27]
	v_add_f64 v[144:145], v[129:130], -v[133:134]
	v_add_f64 v[48:49], v[133:134], -v[131:132]
	s_delay_alu instid0(VALU_DEP_2) | instskip(NEXT) | instid1(VALU_DEP_2)
	v_add_f64 v[129:130], v[129:130], -v[144:145]
	v_add_f64 v[26:27], v[48:49], -v[26:27]
	s_delay_alu instid0(VALU_DEP_2) | instskip(NEXT) | instid1(VALU_DEP_1)
	v_add_f64 v[129:130], v[129:130], -v[133:134]
	v_add_f64 v[20:21], v[20:21], v[129:130]
	s_delay_alu instid0(VALU_DEP_1) | instskip(NEXT) | instid1(VALU_DEP_1)
	v_add_f64 v[20:21], v[26:27], v[20:21]
	v_add_f64 v[26:27], v[144:145], v[20:21]
	s_delay_alu instid0(VALU_DEP_1) | instskip(SKIP_1) | instid1(VALU_DEP_2)
	v_mul_f64 v[48:49], v[22:23], v[26:27]
	v_add_f64 v[133:134], v[144:145], -v[26:27]
	v_mul_f64 v[129:130], v[28:29], v[48:49]
	s_delay_alu instid0(VALU_DEP_2) | instskip(NEXT) | instid1(VALU_DEP_2)
	v_add_f64 v[20:21], v[20:21], v[133:134]
	v_fma_f64 v[28:29], v[48:49], v[28:29], -v[129:130]
	s_delay_alu instid0(VALU_DEP_1) | instskip(NEXT) | instid1(VALU_DEP_1)
	v_fma_f64 v[24:25], v[48:49], v[24:25], v[28:29]
	v_add_f64 v[28:29], v[129:130], v[24:25]
	s_delay_alu instid0(VALU_DEP_1) | instskip(SKIP_1) | instid1(VALU_DEP_2)
	v_add_f64 v[131:132], v[26:27], -v[28:29]
	v_add_f64 v[129:130], v[28:29], -v[129:130]
	;; [unrolled: 1-line block ×3, first 2 shown]
	s_delay_alu instid0(VALU_DEP_2) | instskip(NEXT) | instid1(VALU_DEP_2)
	v_add_f64 v[24:25], v[129:130], -v[24:25]
	v_add_f64 v[26:27], v[26:27], -v[28:29]
	s_delay_alu instid0(VALU_DEP_1) | instskip(SKIP_1) | instid1(VALU_DEP_2)
	v_add_f64 v[20:21], v[20:21], v[26:27]
	v_add_f64 v[26:27], v[30:31], v[48:49]
	;; [unrolled: 1-line block ×3, first 2 shown]
	s_delay_alu instid0(VALU_DEP_2) | instskip(NEXT) | instid1(VALU_DEP_2)
	v_add_f64 v[24:25], v[26:27], -v[30:31]
	v_add_f64 v[20:21], v[131:132], v[20:21]
	s_delay_alu instid0(VALU_DEP_2) | instskip(NEXT) | instid1(VALU_DEP_2)
	v_add_f64 v[24:25], v[48:49], -v[24:25]
	v_mul_f64 v[20:21], v[22:23], v[20:21]
	s_delay_alu instid0(VALU_DEP_1) | instskip(NEXT) | instid1(VALU_DEP_1)
	v_add_f64 v[20:21], v[24:25], v[20:21]
	v_add_f64 v[22:23], v[26:27], v[20:21]
	s_delay_alu instid0(VALU_DEP_1) | instskip(NEXT) | instid1(VALU_DEP_1)
	v_mul_f64 v[24:25], v[22:23], v[22:23]
	v_fma_f64 v[28:29], v[24:25], s[20:21], s[18:19]
	s_mov_b32 s18, 0xd7f4df2e
	s_mov_b32 s19, 0x3fc7474d
	v_mul_f64 v[30:31], v[22:23], v[24:25]
	s_delay_alu instid0(VALU_DEP_2)
	v_fma_f64 v[28:29], v[24:25], v[28:29], s[18:19]
	s_mov_b32 s18, 0x16291751
	s_mov_b32 s19, 0x3fcc71c0
	s_delay_alu instid0(VALU_DEP_1) | instid1(SALU_CYCLE_1)
	v_fma_f64 v[28:29], v[24:25], v[28:29], s[18:19]
	s_mov_b32 s18, 0x9b27acf1
	s_mov_b32 s19, 0x3fd24924
	s_delay_alu instid0(VALU_DEP_1) | instid1(SALU_CYCLE_1)
	;; [unrolled: 4-line block ×3, first 2 shown]
	v_fma_f64 v[28:29], v[24:25], v[28:29], s[18:19]
	s_delay_alu instid0(VALU_DEP_1) | instskip(SKIP_3) | instid1(VALU_DEP_4)
	v_fma_f64 v[24:25], v[24:25], v[28:29], s[8:9]
	v_ldexp_f64 v[28:29], v[22:23], 1
	v_add_f64 v[22:23], v[22:23], -v[26:27]
	v_cmp_eq_f64_e64 s8, 0x7ff00000, v[18:19]
	v_mul_f64 v[24:25], v[30:31], v[24:25]
	v_cvt_f64_i32_e32 v[30:31], v146
	s_delay_alu instid0(VALU_DEP_4) | instskip(NEXT) | instid1(VALU_DEP_3)
	v_add_f64 v[20:21], v[20:21], -v[22:23]
	v_add_f64 v[26:27], v[28:29], v[24:25]
	s_delay_alu instid0(VALU_DEP_3) | instskip(NEXT) | instid1(VALU_DEP_3)
	v_mul_f64 v[48:49], v[30:31], s[10:11]
	v_ldexp_f64 v[20:21], v[20:21], 1
	s_delay_alu instid0(VALU_DEP_3) | instskip(NEXT) | instid1(VALU_DEP_3)
	v_add_f64 v[22:23], v[26:27], -v[28:29]
	v_fma_f64 v[28:29], v[30:31], s[10:11], -v[48:49]
	s_delay_alu instid0(VALU_DEP_2) | instskip(NEXT) | instid1(VALU_DEP_2)
	v_add_f64 v[22:23], v[24:25], -v[22:23]
	v_fma_f64 v[24:25], v[30:31], s[12:13], v[28:29]
	s_delay_alu instid0(VALU_DEP_2) | instskip(NEXT) | instid1(VALU_DEP_2)
	v_add_f64 v[20:21], v[20:21], v[22:23]
	v_add_f64 v[22:23], v[48:49], v[24:25]
	s_delay_alu instid0(VALU_DEP_2) | instskip(NEXT) | instid1(VALU_DEP_2)
	v_add_f64 v[28:29], v[26:27], v[20:21]
	v_add_f64 v[48:49], v[22:23], -v[48:49]
	s_delay_alu instid0(VALU_DEP_2) | instskip(SKIP_1) | instid1(VALU_DEP_3)
	v_add_f64 v[30:31], v[22:23], v[28:29]
	v_add_f64 v[26:27], v[28:29], -v[26:27]
	v_add_f64 v[24:25], v[24:25], -v[48:49]
	s_delay_alu instid0(VALU_DEP_3) | instskip(NEXT) | instid1(VALU_DEP_3)
	v_add_f64 v[129:130], v[30:31], -v[22:23]
	v_add_f64 v[20:21], v[20:21], -v[26:27]
	s_delay_alu instid0(VALU_DEP_2) | instskip(SKIP_1) | instid1(VALU_DEP_3)
	v_add_f64 v[131:132], v[30:31], -v[129:130]
	v_add_f64 v[26:27], v[28:29], -v[129:130]
	v_add_f64 v[28:29], v[24:25], v[20:21]
	s_delay_alu instid0(VALU_DEP_3) | instskip(NEXT) | instid1(VALU_DEP_1)
	v_add_f64 v[22:23], v[22:23], -v[131:132]
	v_add_f64 v[22:23], v[26:27], v[22:23]
	s_delay_alu instid0(VALU_DEP_3) | instskip(NEXT) | instid1(VALU_DEP_2)
	v_add_f64 v[26:27], v[28:29], -v[24:25]
	v_add_f64 v[22:23], v[28:29], v[22:23]
	s_delay_alu instid0(VALU_DEP_2) | instskip(SKIP_1) | instid1(VALU_DEP_3)
	v_add_f64 v[28:29], v[28:29], -v[26:27]
	v_add_f64 v[20:21], v[20:21], -v[26:27]
	v_add_f64 v[48:49], v[30:31], v[22:23]
	s_delay_alu instid0(VALU_DEP_3) | instskip(NEXT) | instid1(VALU_DEP_2)
	v_add_f64 v[24:25], v[24:25], -v[28:29]
	v_add_f64 v[26:27], v[48:49], -v[30:31]
	s_delay_alu instid0(VALU_DEP_2) | instskip(NEXT) | instid1(VALU_DEP_2)
	v_add_f64 v[20:21], v[20:21], v[24:25]
	v_add_f64 v[22:23], v[22:23], -v[26:27]
	s_delay_alu instid0(VALU_DEP_1) | instskip(NEXT) | instid1(VALU_DEP_1)
	v_add_f64 v[20:21], v[20:21], v[22:23]
	v_add_f64 v[20:21], v[48:49], v[20:21]
	s_delay_alu instid0(VALU_DEP_1) | instskip(NEXT) | instid1(VALU_DEP_2)
	v_cndmask_b32_e64 v20, v20, v18, s8
	v_cndmask_b32_e64 v21, v21, v19, s8
	v_cmp_ngt_f64_e64 s8, -1.0, v[18:19]
	s_delay_alu instid0(VALU_DEP_1) | instskip(SKIP_1) | instid1(VALU_DEP_1)
	v_cndmask_b32_e64 v21, 0x7ff80000, v21, s8
	v_cmp_nge_f64_e64 s8, -1.0, v[18:19]
	v_cndmask_b32_e64 v20, 0, v20, s8
	v_cmp_neq_f64_e64 s8, -1.0, v[18:19]
	s_delay_alu instid0(VALU_DEP_1) | instskip(NEXT) | instid1(VALU_DEP_1)
	v_cndmask_b32_e64 v21, 0xfff00000, v21, s8
	v_add_f64 v[48:49], v[16:17], v[20:21]
.LBB56_276:
	s_or_b32 exec_lo, exec_lo, s14
	v_max_f64 v[16:17], v[84:85], v[84:85]
	s_delay_alu instid0(VALU_DEP_2) | instskip(SKIP_2) | instid1(VALU_DEP_3)
	v_max_f64 v[18:19], v[48:49], v[48:49]
	v_cmp_u_f64_e64 s9, v[48:49], v[48:49]
	v_cmp_u_f64_e64 s8, v[84:85], v[84:85]
	v_min_f64 v[20:21], v[18:19], v[16:17]
	v_max_f64 v[18:19], v[18:19], v[16:17]
	s_delay_alu instid0(VALU_DEP_2) | instskip(NEXT) | instid1(VALU_DEP_3)
	v_cndmask_b32_e64 v20, v20, v48, s9
	v_cndmask_b32_e64 v21, v21, v49, s9
	s_delay_alu instid0(VALU_DEP_3) | instskip(NEXT) | instid1(VALU_DEP_4)
	v_cndmask_b32_e64 v19, v19, v49, s9
	v_cndmask_b32_e64 v18, v18, v48, s9
	s_delay_alu instid0(VALU_DEP_4) | instskip(NEXT) | instid1(VALU_DEP_4)
	v_cndmask_b32_e64 v20, v20, v84, s8
	v_cndmask_b32_e64 v21, v21, v85, s8
	s_delay_alu instid0(VALU_DEP_4) | instskip(NEXT) | instid1(VALU_DEP_4)
	v_cndmask_b32_e64 v19, v19, v85, s8
	v_cndmask_b32_e64 v18, v18, v84, s8
	s_delay_alu instid0(VALU_DEP_3) | instskip(NEXT) | instid1(VALU_DEP_2)
	v_cmp_class_f64_e64 s10, v[20:21], 0x1f8
	v_cmp_neq_f64_e64 s9, v[20:21], v[18:19]
	s_delay_alu instid0(VALU_DEP_1) | instskip(NEXT) | instid1(SALU_CYCLE_1)
	s_or_b32 s9, s9, s10
	s_and_saveexec_b32 s17, s9
	s_cbranch_execz .LBB56_278
; %bb.277:
	v_add_f64 v[20:21], v[20:21], -v[18:19]
	s_mov_b32 s10, 0x652b82fe
	s_mov_b32 s11, 0x3ff71547
	;; [unrolled: 1-line block ×10, first 2 shown]
	s_delay_alu instid0(VALU_DEP_1) | instskip(SKIP_3) | instid1(VALU_DEP_2)
	v_mul_f64 v[22:23], v[20:21], s[10:11]
	s_mov_b32 s10, 0xfca7ab0c
	s_mov_b32 s11, 0x3e928af3
	v_cmp_nlt_f64_e64 s9, 0x40900000, v[20:21]
	v_rndne_f64_e32 v[22:23], v[22:23]
	s_delay_alu instid0(VALU_DEP_1) | instskip(SKIP_2) | instid1(VALU_DEP_2)
	v_fma_f64 v[24:25], v[22:23], s[12:13], v[20:21]
	v_cvt_i32_f64_e32 v28, v[22:23]
	s_mov_b32 s13, 0x3fe62e42
	v_fma_f64 v[24:25], v[22:23], s[14:15], v[24:25]
	s_mov_b32 s15, 0x3c7abc9e
	s_delay_alu instid0(VALU_DEP_1) | instskip(SKIP_4) | instid1(VALU_DEP_1)
	v_fma_f64 v[26:27], v[24:25], s[18:19], s[10:11]
	s_mov_b32 s10, 0x623fde64
	s_mov_b32 s11, 0x3ec71dee
	;; [unrolled: 1-line block ×4, first 2 shown]
	v_fma_f64 v[26:27], v[24:25], v[26:27], s[10:11]
	s_mov_b32 s10, 0x7c89e6b0
	s_mov_b32 s11, 0x3efa0199
	s_delay_alu instid0(VALU_DEP_1) | instid1(SALU_CYCLE_1)
	v_fma_f64 v[26:27], v[24:25], v[26:27], s[10:11]
	s_mov_b32 s10, 0x14761f6e
	s_mov_b32 s11, 0x3f2a01a0
	s_delay_alu instid0(VALU_DEP_1) | instid1(SALU_CYCLE_1)
	;; [unrolled: 4-line block ×7, first 2 shown]
	v_fma_f64 v[26:27], v[24:25], v[26:27], s[10:11]
	v_cmp_ngt_f64_e64 s10, 0xc090cc00, v[20:21]
	s_mov_b32 s11, 0x3fe55555
	s_delay_alu instid0(VALU_DEP_2) | instskip(NEXT) | instid1(VALU_DEP_1)
	v_fma_f64 v[26:27], v[24:25], v[26:27], 1.0
	v_fma_f64 v[22:23], v[24:25], v[26:27], 1.0
	s_delay_alu instid0(VALU_DEP_1) | instskip(NEXT) | instid1(VALU_DEP_1)
	v_ldexp_f64 v[22:23], v[22:23], v28
	v_cndmask_b32_e64 v23, 0x7ff00000, v23, s9
	s_and_b32 s9, s10, s9
	s_delay_alu instid0(VALU_DEP_2) | instid1(SALU_CYCLE_1)
	v_cndmask_b32_e64 v20, 0, v22, s9
	s_delay_alu instid0(VALU_DEP_2) | instskip(SKIP_1) | instid1(VALU_DEP_1)
	v_cndmask_b32_e64 v21, 0, v23, s10
	s_mov_b32 s10, 0x55555555
	v_add_f64 v[22:23], v[20:21], 1.0
	s_delay_alu instid0(VALU_DEP_1) | instskip(SKIP_2) | instid1(VALU_DEP_3)
	v_frexp_mant_f64_e32 v[24:25], v[22:23]
	v_frexp_exp_i32_f64_e32 v28, v[22:23]
	v_add_f64 v[26:27], v[22:23], -1.0
	v_cmp_gt_f64_e64 s9, s[10:11], v[24:25]
	s_mov_b32 s10, 0x55555780
	s_delay_alu instid0(VALU_DEP_2) | instskip(SKIP_1) | instid1(VALU_DEP_3)
	v_add_f64 v[24:25], v[26:27], -v[22:23]
	v_add_f64 v[26:27], v[20:21], -v[26:27]
	v_subrev_co_ci_u32_e64 v148, s9, 0, v28, s9
	s_delay_alu instid0(VALU_DEP_3) | instskip(SKIP_1) | instid1(VALU_DEP_3)
	v_add_f64 v[24:25], v[24:25], 1.0
	v_cmp_eq_f64_e64 s9, 0x7ff00000, v[20:21]
	v_sub_nc_u32_e32 v30, 0, v148
	s_delay_alu instid0(VALU_DEP_1) | instskip(NEXT) | instid1(VALU_DEP_4)
	v_ldexp_f64 v[22:23], v[22:23], v30
	v_add_f64 v[24:25], v[26:27], v[24:25]
	s_delay_alu instid0(VALU_DEP_2) | instskip(SKIP_1) | instid1(VALU_DEP_3)
	v_add_f64 v[28:29], v[22:23], 1.0
	v_add_f64 v[129:130], v[22:23], -1.0
	v_ldexp_f64 v[24:25], v[24:25], v30
	s_delay_alu instid0(VALU_DEP_3) | instskip(NEXT) | instid1(VALU_DEP_3)
	v_add_f64 v[26:27], v[28:29], -1.0
	v_add_f64 v[131:132], v[129:130], 1.0
	s_delay_alu instid0(VALU_DEP_2) | instskip(NEXT) | instid1(VALU_DEP_2)
	v_add_f64 v[26:27], v[22:23], -v[26:27]
	v_add_f64 v[22:23], v[22:23], -v[131:132]
	s_delay_alu instid0(VALU_DEP_2) | instskip(NEXT) | instid1(VALU_DEP_2)
	v_add_f64 v[26:27], v[24:25], v[26:27]
	v_add_f64 v[22:23], v[24:25], v[22:23]
	s_delay_alu instid0(VALU_DEP_2) | instskip(NEXT) | instid1(VALU_DEP_2)
	v_add_f64 v[30:31], v[28:29], v[26:27]
	v_add_f64 v[131:132], v[129:130], v[22:23]
	s_delay_alu instid0(VALU_DEP_2) | instskip(SKIP_1) | instid1(VALU_DEP_2)
	v_rcp_f64_e32 v[48:49], v[30:31]
	v_add_f64 v[28:29], v[30:31], -v[28:29]
	v_add_f64 v[129:130], v[131:132], -v[129:130]
	s_delay_alu instid0(VALU_DEP_2) | instskip(SKIP_3) | instid1(VALU_DEP_2)
	v_add_f64 v[26:27], v[26:27], -v[28:29]
	s_waitcnt_depctr 0xfff
	v_fma_f64 v[133:134], -v[30:31], v[48:49], 1.0
	v_add_f64 v[22:23], v[22:23], -v[129:130]
	v_fma_f64 v[48:49], v[133:134], v[48:49], v[48:49]
	s_delay_alu instid0(VALU_DEP_1) | instskip(NEXT) | instid1(VALU_DEP_1)
	v_fma_f64 v[24:25], -v[30:31], v[48:49], 1.0
	v_fma_f64 v[24:25], v[24:25], v[48:49], v[48:49]
	s_delay_alu instid0(VALU_DEP_1) | instskip(NEXT) | instid1(VALU_DEP_1)
	v_mul_f64 v[48:49], v[131:132], v[24:25]
	v_mul_f64 v[133:134], v[30:31], v[48:49]
	s_delay_alu instid0(VALU_DEP_1) | instskip(NEXT) | instid1(VALU_DEP_1)
	v_fma_f64 v[28:29], v[48:49], v[30:31], -v[133:134]
	v_fma_f64 v[28:29], v[48:49], v[26:27], v[28:29]
	s_delay_alu instid0(VALU_DEP_1) | instskip(NEXT) | instid1(VALU_DEP_1)
	v_add_f64 v[144:145], v[133:134], v[28:29]
	v_add_f64 v[146:147], v[131:132], -v[144:145]
	v_add_f64 v[129:130], v[144:145], -v[133:134]
	s_delay_alu instid0(VALU_DEP_2) | instskip(NEXT) | instid1(VALU_DEP_2)
	v_add_f64 v[131:132], v[131:132], -v[146:147]
	v_add_f64 v[28:29], v[129:130], -v[28:29]
	s_delay_alu instid0(VALU_DEP_2) | instskip(NEXT) | instid1(VALU_DEP_1)
	v_add_f64 v[131:132], v[131:132], -v[144:145]
	v_add_f64 v[22:23], v[22:23], v[131:132]
	s_delay_alu instid0(VALU_DEP_1) | instskip(NEXT) | instid1(VALU_DEP_1)
	v_add_f64 v[22:23], v[28:29], v[22:23]
	v_add_f64 v[28:29], v[146:147], v[22:23]
	s_delay_alu instid0(VALU_DEP_1) | instskip(SKIP_1) | instid1(VALU_DEP_2)
	v_mul_f64 v[129:130], v[24:25], v[28:29]
	v_add_f64 v[144:145], v[146:147], -v[28:29]
	v_mul_f64 v[131:132], v[30:31], v[129:130]
	s_delay_alu instid0(VALU_DEP_2) | instskip(NEXT) | instid1(VALU_DEP_2)
	v_add_f64 v[22:23], v[22:23], v[144:145]
	v_fma_f64 v[30:31], v[129:130], v[30:31], -v[131:132]
	s_delay_alu instid0(VALU_DEP_1) | instskip(NEXT) | instid1(VALU_DEP_1)
	v_fma_f64 v[26:27], v[129:130], v[26:27], v[30:31]
	v_add_f64 v[30:31], v[131:132], v[26:27]
	s_delay_alu instid0(VALU_DEP_1) | instskip(SKIP_1) | instid1(VALU_DEP_2)
	v_add_f64 v[133:134], v[28:29], -v[30:31]
	v_add_f64 v[131:132], v[30:31], -v[131:132]
	;; [unrolled: 1-line block ×3, first 2 shown]
	s_delay_alu instid0(VALU_DEP_2) | instskip(NEXT) | instid1(VALU_DEP_2)
	v_add_f64 v[26:27], v[131:132], -v[26:27]
	v_add_f64 v[28:29], v[28:29], -v[30:31]
	s_delay_alu instid0(VALU_DEP_1) | instskip(SKIP_1) | instid1(VALU_DEP_2)
	v_add_f64 v[22:23], v[22:23], v[28:29]
	v_add_f64 v[28:29], v[48:49], v[129:130]
	v_add_f64 v[22:23], v[26:27], v[22:23]
	s_delay_alu instid0(VALU_DEP_2) | instskip(NEXT) | instid1(VALU_DEP_2)
	v_add_f64 v[26:27], v[28:29], -v[48:49]
	v_add_f64 v[22:23], v[133:134], v[22:23]
	s_delay_alu instid0(VALU_DEP_2) | instskip(NEXT) | instid1(VALU_DEP_2)
	v_add_f64 v[26:27], v[129:130], -v[26:27]
	v_mul_f64 v[22:23], v[24:25], v[22:23]
	s_delay_alu instid0(VALU_DEP_1) | instskip(NEXT) | instid1(VALU_DEP_1)
	v_add_f64 v[22:23], v[26:27], v[22:23]
	v_add_f64 v[24:25], v[28:29], v[22:23]
	s_delay_alu instid0(VALU_DEP_1) | instskip(NEXT) | instid1(VALU_DEP_1)
	v_mul_f64 v[26:27], v[24:25], v[24:25]
	v_fma_f64 v[30:31], v[26:27], s[20:21], s[18:19]
	s_mov_b32 s18, 0xd7f4df2e
	s_mov_b32 s19, 0x3fc7474d
	v_mul_f64 v[48:49], v[24:25], v[26:27]
	s_delay_alu instid0(VALU_DEP_2)
	v_fma_f64 v[30:31], v[26:27], v[30:31], s[18:19]
	s_mov_b32 s18, 0x16291751
	s_mov_b32 s19, 0x3fcc71c0
	s_delay_alu instid0(VALU_DEP_1) | instid1(SALU_CYCLE_1)
	v_fma_f64 v[30:31], v[26:27], v[30:31], s[18:19]
	s_mov_b32 s18, 0x9b27acf1
	s_mov_b32 s19, 0x3fd24924
	s_delay_alu instid0(VALU_DEP_1) | instid1(SALU_CYCLE_1)
	;; [unrolled: 4-line block ×3, first 2 shown]
	v_fma_f64 v[30:31], v[26:27], v[30:31], s[18:19]
	s_delay_alu instid0(VALU_DEP_1) | instskip(SKIP_2) | instid1(VALU_DEP_3)
	v_fma_f64 v[26:27], v[26:27], v[30:31], s[10:11]
	v_ldexp_f64 v[30:31], v[24:25], 1
	v_add_f64 v[24:25], v[24:25], -v[28:29]
	v_mul_f64 v[26:27], v[48:49], v[26:27]
	v_cvt_f64_i32_e32 v[48:49], v148
	s_delay_alu instid0(VALU_DEP_3) | instskip(NEXT) | instid1(VALU_DEP_3)
	v_add_f64 v[22:23], v[22:23], -v[24:25]
	v_add_f64 v[28:29], v[30:31], v[26:27]
	s_delay_alu instid0(VALU_DEP_3) | instskip(NEXT) | instid1(VALU_DEP_3)
	v_mul_f64 v[129:130], v[48:49], s[12:13]
	v_ldexp_f64 v[22:23], v[22:23], 1
	s_delay_alu instid0(VALU_DEP_3) | instskip(NEXT) | instid1(VALU_DEP_3)
	v_add_f64 v[24:25], v[28:29], -v[30:31]
	v_fma_f64 v[30:31], v[48:49], s[12:13], -v[129:130]
	s_delay_alu instid0(VALU_DEP_2) | instskip(NEXT) | instid1(VALU_DEP_2)
	v_add_f64 v[24:25], v[26:27], -v[24:25]
	v_fma_f64 v[26:27], v[48:49], s[14:15], v[30:31]
	s_delay_alu instid0(VALU_DEP_2) | instskip(NEXT) | instid1(VALU_DEP_2)
	v_add_f64 v[22:23], v[22:23], v[24:25]
	v_add_f64 v[24:25], v[129:130], v[26:27]
	s_delay_alu instid0(VALU_DEP_2) | instskip(NEXT) | instid1(VALU_DEP_2)
	v_add_f64 v[30:31], v[28:29], v[22:23]
	v_add_f64 v[129:130], v[24:25], -v[129:130]
	s_delay_alu instid0(VALU_DEP_2) | instskip(SKIP_1) | instid1(VALU_DEP_3)
	v_add_f64 v[48:49], v[24:25], v[30:31]
	v_add_f64 v[28:29], v[30:31], -v[28:29]
	v_add_f64 v[26:27], v[26:27], -v[129:130]
	s_delay_alu instid0(VALU_DEP_3) | instskip(NEXT) | instid1(VALU_DEP_3)
	v_add_f64 v[131:132], v[48:49], -v[24:25]
	v_add_f64 v[22:23], v[22:23], -v[28:29]
	s_delay_alu instid0(VALU_DEP_2) | instskip(SKIP_1) | instid1(VALU_DEP_3)
	v_add_f64 v[133:134], v[48:49], -v[131:132]
	v_add_f64 v[28:29], v[30:31], -v[131:132]
	v_add_f64 v[30:31], v[26:27], v[22:23]
	s_delay_alu instid0(VALU_DEP_3) | instskip(NEXT) | instid1(VALU_DEP_1)
	v_add_f64 v[24:25], v[24:25], -v[133:134]
	v_add_f64 v[24:25], v[28:29], v[24:25]
	s_delay_alu instid0(VALU_DEP_3) | instskip(NEXT) | instid1(VALU_DEP_2)
	v_add_f64 v[28:29], v[30:31], -v[26:27]
	v_add_f64 v[24:25], v[30:31], v[24:25]
	s_delay_alu instid0(VALU_DEP_2) | instskip(SKIP_1) | instid1(VALU_DEP_3)
	v_add_f64 v[30:31], v[30:31], -v[28:29]
	v_add_f64 v[22:23], v[22:23], -v[28:29]
	v_add_f64 v[129:130], v[48:49], v[24:25]
	s_delay_alu instid0(VALU_DEP_3) | instskip(NEXT) | instid1(VALU_DEP_2)
	v_add_f64 v[26:27], v[26:27], -v[30:31]
	v_add_f64 v[28:29], v[129:130], -v[48:49]
	s_delay_alu instid0(VALU_DEP_2) | instskip(NEXT) | instid1(VALU_DEP_2)
	v_add_f64 v[22:23], v[22:23], v[26:27]
	v_add_f64 v[24:25], v[24:25], -v[28:29]
	s_delay_alu instid0(VALU_DEP_1) | instskip(NEXT) | instid1(VALU_DEP_1)
	v_add_f64 v[22:23], v[22:23], v[24:25]
	v_add_f64 v[22:23], v[129:130], v[22:23]
	s_delay_alu instid0(VALU_DEP_1) | instskip(NEXT) | instid1(VALU_DEP_2)
	v_cndmask_b32_e64 v22, v22, v20, s9
	v_cndmask_b32_e64 v23, v23, v21, s9
	v_cmp_ngt_f64_e64 s9, -1.0, v[20:21]
	s_delay_alu instid0(VALU_DEP_1) | instskip(SKIP_1) | instid1(VALU_DEP_1)
	v_cndmask_b32_e64 v23, 0x7ff80000, v23, s9
	v_cmp_nge_f64_e64 s9, -1.0, v[20:21]
	v_cndmask_b32_e64 v22, 0, v22, s9
	v_cmp_neq_f64_e64 s9, -1.0, v[20:21]
	s_delay_alu instid0(VALU_DEP_1) | instskip(NEXT) | instid1(VALU_DEP_1)
	v_cndmask_b32_e64 v23, 0xfff00000, v23, s9
	v_add_f64 v[48:49], v[18:19], v[22:23]
.LBB56_278:
	s_or_b32 exec_lo, exec_lo, s17
	v_max_f64 v[18:19], v[86:87], v[86:87]
	s_delay_alu instid0(VALU_DEP_2) | instskip(SKIP_2) | instid1(VALU_DEP_3)
	v_max_f64 v[20:21], v[48:49], v[48:49]
	v_cmp_u_f64_e64 s10, v[48:49], v[48:49]
	v_cmp_u_f64_e64 s9, v[86:87], v[86:87]
	v_min_f64 v[22:23], v[20:21], v[18:19]
	v_max_f64 v[20:21], v[20:21], v[18:19]
	s_delay_alu instid0(VALU_DEP_2) | instskip(NEXT) | instid1(VALU_DEP_3)
	v_cndmask_b32_e64 v22, v22, v48, s10
	v_cndmask_b32_e64 v23, v23, v49, s10
	s_delay_alu instid0(VALU_DEP_3) | instskip(NEXT) | instid1(VALU_DEP_4)
	v_cndmask_b32_e64 v21, v21, v49, s10
	v_cndmask_b32_e64 v20, v20, v48, s10
	s_delay_alu instid0(VALU_DEP_4) | instskip(NEXT) | instid1(VALU_DEP_4)
	v_cndmask_b32_e64 v22, v22, v86, s9
	v_cndmask_b32_e64 v23, v23, v87, s9
	s_delay_alu instid0(VALU_DEP_4) | instskip(NEXT) | instid1(VALU_DEP_4)
	v_cndmask_b32_e64 v21, v21, v87, s9
	v_cndmask_b32_e64 v20, v20, v86, s9
	s_delay_alu instid0(VALU_DEP_3) | instskip(NEXT) | instid1(VALU_DEP_2)
	v_cmp_class_f64_e64 s11, v[22:23], 0x1f8
	v_cmp_neq_f64_e64 s10, v[22:23], v[20:21]
	s_delay_alu instid0(VALU_DEP_1) | instskip(NEXT) | instid1(SALU_CYCLE_1)
	s_or_b32 s10, s10, s11
	s_and_saveexec_b32 s17, s10
	s_cbranch_execz .LBB56_280
; %bb.279:
	v_add_f64 v[22:23], v[22:23], -v[20:21]
	s_mov_b32 s10, 0x652b82fe
	s_mov_b32 s11, 0x3ff71547
	;; [unrolled: 1-line block ×10, first 2 shown]
	s_delay_alu instid0(VALU_DEP_1) | instskip(SKIP_2) | instid1(VALU_DEP_1)
	v_mul_f64 v[24:25], v[22:23], s[10:11]
	s_mov_b32 s10, 0xfca7ab0c
	s_mov_b32 s11, 0x3e928af3
	v_rndne_f64_e32 v[24:25], v[24:25]
	s_delay_alu instid0(VALU_DEP_1) | instskip(SKIP_2) | instid1(VALU_DEP_2)
	v_fma_f64 v[26:27], v[24:25], s[12:13], v[22:23]
	v_cvt_i32_f64_e32 v30, v[24:25]
	s_mov_b32 s13, 0x3fe62e42
	v_fma_f64 v[26:27], v[24:25], s[14:15], v[26:27]
	s_mov_b32 s15, 0x3c7abc9e
	s_delay_alu instid0(VALU_DEP_1) | instskip(SKIP_4) | instid1(VALU_DEP_1)
	v_fma_f64 v[28:29], v[26:27], s[18:19], s[10:11]
	s_mov_b32 s10, 0x623fde64
	s_mov_b32 s11, 0x3ec71dee
	;; [unrolled: 1-line block ×4, first 2 shown]
	v_fma_f64 v[28:29], v[26:27], v[28:29], s[10:11]
	s_mov_b32 s10, 0x7c89e6b0
	s_mov_b32 s11, 0x3efa0199
	s_delay_alu instid0(VALU_DEP_1) | instid1(SALU_CYCLE_1)
	v_fma_f64 v[28:29], v[26:27], v[28:29], s[10:11]
	s_mov_b32 s10, 0x14761f6e
	s_mov_b32 s11, 0x3f2a01a0
	s_delay_alu instid0(VALU_DEP_1) | instid1(SALU_CYCLE_1)
	;; [unrolled: 4-line block ×7, first 2 shown]
	v_fma_f64 v[28:29], v[26:27], v[28:29], s[10:11]
	v_cmp_nlt_f64_e64 s10, 0x40900000, v[22:23]
	v_cmp_ngt_f64_e64 s11, 0xc090cc00, v[22:23]
	s_delay_alu instid0(VALU_DEP_3) | instskip(NEXT) | instid1(VALU_DEP_1)
	v_fma_f64 v[28:29], v[26:27], v[28:29], 1.0
	v_fma_f64 v[24:25], v[26:27], v[28:29], 1.0
	s_delay_alu instid0(VALU_DEP_1) | instskip(NEXT) | instid1(VALU_DEP_1)
	v_ldexp_f64 v[24:25], v[24:25], v30
	v_cndmask_b32_e64 v25, 0x7ff00000, v25, s10
	s_and_b32 s10, s11, s10
	s_delay_alu instid0(VALU_DEP_2) | instid1(SALU_CYCLE_1)
	v_cndmask_b32_e64 v22, 0, v24, s10
	s_mov_b32 s10, 0x55555555
	s_delay_alu instid0(VALU_DEP_2) | instskip(SKIP_1) | instid1(VALU_DEP_1)
	v_cndmask_b32_e64 v23, 0, v25, s11
	s_mov_b32 s11, 0x3fe55555
	v_add_f64 v[24:25], v[22:23], 1.0
	s_delay_alu instid0(VALU_DEP_1) | instskip(SKIP_2) | instid1(VALU_DEP_3)
	v_frexp_mant_f64_e32 v[26:27], v[24:25]
	v_frexp_exp_i32_f64_e32 v30, v[24:25]
	v_add_f64 v[28:29], v[24:25], -1.0
	v_cmp_gt_f64_e64 s10, s[10:11], v[26:27]
	s_delay_alu instid0(VALU_DEP_2) | instskip(SKIP_1) | instid1(VALU_DEP_3)
	v_add_f64 v[26:27], v[28:29], -v[24:25]
	v_add_f64 v[28:29], v[22:23], -v[28:29]
	v_subrev_co_ci_u32_e64 v150, s10, 0, v30, s10
	s_delay_alu instid0(VALU_DEP_3) | instskip(SKIP_1) | instid1(VALU_DEP_2)
	v_add_f64 v[26:27], v[26:27], 1.0
	s_mov_b32 s10, 0x55555780
	v_sub_nc_u32_e32 v48, 0, v150
	s_delay_alu instid0(VALU_DEP_1) | instskip(NEXT) | instid1(VALU_DEP_3)
	v_ldexp_f64 v[24:25], v[24:25], v48
	v_add_f64 v[26:27], v[28:29], v[26:27]
	s_delay_alu instid0(VALU_DEP_2) | instskip(SKIP_1) | instid1(VALU_DEP_3)
	v_add_f64 v[30:31], v[24:25], 1.0
	v_add_f64 v[131:132], v[24:25], -1.0
	v_ldexp_f64 v[26:27], v[26:27], v48
	s_delay_alu instid0(VALU_DEP_3) | instskip(NEXT) | instid1(VALU_DEP_3)
	v_add_f64 v[28:29], v[30:31], -1.0
	v_add_f64 v[133:134], v[131:132], 1.0
	s_delay_alu instid0(VALU_DEP_2) | instskip(NEXT) | instid1(VALU_DEP_2)
	v_add_f64 v[28:29], v[24:25], -v[28:29]
	v_add_f64 v[24:25], v[24:25], -v[133:134]
	s_delay_alu instid0(VALU_DEP_2) | instskip(NEXT) | instid1(VALU_DEP_2)
	v_add_f64 v[28:29], v[26:27], v[28:29]
	v_add_f64 v[24:25], v[26:27], v[24:25]
	s_delay_alu instid0(VALU_DEP_2) | instskip(NEXT) | instid1(VALU_DEP_2)
	v_add_f64 v[48:49], v[30:31], v[28:29]
	v_add_f64 v[133:134], v[131:132], v[24:25]
	s_delay_alu instid0(VALU_DEP_2) | instskip(SKIP_1) | instid1(VALU_DEP_2)
	v_rcp_f64_e32 v[129:130], v[48:49]
	v_add_f64 v[30:31], v[48:49], -v[30:31]
	v_add_f64 v[131:132], v[133:134], -v[131:132]
	s_delay_alu instid0(VALU_DEP_2) | instskip(SKIP_3) | instid1(VALU_DEP_2)
	v_add_f64 v[28:29], v[28:29], -v[30:31]
	s_waitcnt_depctr 0xfff
	v_fma_f64 v[144:145], -v[48:49], v[129:130], 1.0
	v_add_f64 v[24:25], v[24:25], -v[131:132]
	v_fma_f64 v[129:130], v[144:145], v[129:130], v[129:130]
	s_delay_alu instid0(VALU_DEP_1) | instskip(NEXT) | instid1(VALU_DEP_1)
	v_fma_f64 v[26:27], -v[48:49], v[129:130], 1.0
	v_fma_f64 v[26:27], v[26:27], v[129:130], v[129:130]
	s_delay_alu instid0(VALU_DEP_1) | instskip(NEXT) | instid1(VALU_DEP_1)
	v_mul_f64 v[129:130], v[133:134], v[26:27]
	v_mul_f64 v[144:145], v[48:49], v[129:130]
	s_delay_alu instid0(VALU_DEP_1) | instskip(NEXT) | instid1(VALU_DEP_1)
	v_fma_f64 v[30:31], v[129:130], v[48:49], -v[144:145]
	v_fma_f64 v[30:31], v[129:130], v[28:29], v[30:31]
	s_delay_alu instid0(VALU_DEP_1) | instskip(NEXT) | instid1(VALU_DEP_1)
	v_add_f64 v[146:147], v[144:145], v[30:31]
	v_add_f64 v[148:149], v[133:134], -v[146:147]
	v_add_f64 v[131:132], v[146:147], -v[144:145]
	s_delay_alu instid0(VALU_DEP_2) | instskip(NEXT) | instid1(VALU_DEP_2)
	v_add_f64 v[133:134], v[133:134], -v[148:149]
	v_add_f64 v[30:31], v[131:132], -v[30:31]
	s_delay_alu instid0(VALU_DEP_2) | instskip(NEXT) | instid1(VALU_DEP_1)
	v_add_f64 v[133:134], v[133:134], -v[146:147]
	v_add_f64 v[24:25], v[24:25], v[133:134]
	s_delay_alu instid0(VALU_DEP_1) | instskip(NEXT) | instid1(VALU_DEP_1)
	v_add_f64 v[24:25], v[30:31], v[24:25]
	v_add_f64 v[30:31], v[148:149], v[24:25]
	s_delay_alu instid0(VALU_DEP_1) | instskip(SKIP_1) | instid1(VALU_DEP_2)
	v_mul_f64 v[131:132], v[26:27], v[30:31]
	v_add_f64 v[146:147], v[148:149], -v[30:31]
	v_mul_f64 v[133:134], v[48:49], v[131:132]
	s_delay_alu instid0(VALU_DEP_2) | instskip(NEXT) | instid1(VALU_DEP_2)
	v_add_f64 v[24:25], v[24:25], v[146:147]
	v_fma_f64 v[48:49], v[131:132], v[48:49], -v[133:134]
	s_delay_alu instid0(VALU_DEP_1) | instskip(NEXT) | instid1(VALU_DEP_1)
	v_fma_f64 v[28:29], v[131:132], v[28:29], v[48:49]
	v_add_f64 v[48:49], v[133:134], v[28:29]
	s_delay_alu instid0(VALU_DEP_1) | instskip(SKIP_1) | instid1(VALU_DEP_2)
	v_add_f64 v[144:145], v[30:31], -v[48:49]
	v_add_f64 v[133:134], v[48:49], -v[133:134]
	;; [unrolled: 1-line block ×3, first 2 shown]
	s_delay_alu instid0(VALU_DEP_2) | instskip(NEXT) | instid1(VALU_DEP_2)
	v_add_f64 v[28:29], v[133:134], -v[28:29]
	v_add_f64 v[30:31], v[30:31], -v[48:49]
	s_delay_alu instid0(VALU_DEP_1) | instskip(SKIP_1) | instid1(VALU_DEP_2)
	v_add_f64 v[24:25], v[24:25], v[30:31]
	v_add_f64 v[30:31], v[129:130], v[131:132]
	;; [unrolled: 1-line block ×3, first 2 shown]
	s_delay_alu instid0(VALU_DEP_2) | instskip(NEXT) | instid1(VALU_DEP_2)
	v_add_f64 v[28:29], v[30:31], -v[129:130]
	v_add_f64 v[24:25], v[144:145], v[24:25]
	s_delay_alu instid0(VALU_DEP_2) | instskip(NEXT) | instid1(VALU_DEP_2)
	v_add_f64 v[28:29], v[131:132], -v[28:29]
	v_mul_f64 v[24:25], v[26:27], v[24:25]
	s_delay_alu instid0(VALU_DEP_1) | instskip(NEXT) | instid1(VALU_DEP_1)
	v_add_f64 v[24:25], v[28:29], v[24:25]
	v_add_f64 v[26:27], v[30:31], v[24:25]
	s_delay_alu instid0(VALU_DEP_1) | instskip(NEXT) | instid1(VALU_DEP_1)
	v_mul_f64 v[28:29], v[26:27], v[26:27]
	v_fma_f64 v[48:49], v[28:29], s[20:21], s[18:19]
	s_mov_b32 s18, 0xd7f4df2e
	s_mov_b32 s19, 0x3fc7474d
	v_mul_f64 v[129:130], v[26:27], v[28:29]
	s_delay_alu instid0(VALU_DEP_2)
	v_fma_f64 v[48:49], v[28:29], v[48:49], s[18:19]
	s_mov_b32 s18, 0x16291751
	s_mov_b32 s19, 0x3fcc71c0
	s_delay_alu instid0(VALU_DEP_1) | instid1(SALU_CYCLE_1)
	v_fma_f64 v[48:49], v[28:29], v[48:49], s[18:19]
	s_mov_b32 s18, 0x9b27acf1
	s_mov_b32 s19, 0x3fd24924
	s_delay_alu instid0(VALU_DEP_1) | instid1(SALU_CYCLE_1)
	;; [unrolled: 4-line block ×3, first 2 shown]
	v_fma_f64 v[48:49], v[28:29], v[48:49], s[18:19]
	s_delay_alu instid0(VALU_DEP_1) | instskip(SKIP_3) | instid1(VALU_DEP_4)
	v_fma_f64 v[28:29], v[28:29], v[48:49], s[10:11]
	v_ldexp_f64 v[48:49], v[26:27], 1
	v_add_f64 v[26:27], v[26:27], -v[30:31]
	v_cmp_eq_f64_e64 s10, 0x7ff00000, v[22:23]
	v_mul_f64 v[28:29], v[129:130], v[28:29]
	v_cvt_f64_i32_e32 v[129:130], v150
	s_delay_alu instid0(VALU_DEP_4) | instskip(NEXT) | instid1(VALU_DEP_3)
	v_add_f64 v[24:25], v[24:25], -v[26:27]
	v_add_f64 v[30:31], v[48:49], v[28:29]
	s_delay_alu instid0(VALU_DEP_3) | instskip(NEXT) | instid1(VALU_DEP_3)
	v_mul_f64 v[131:132], v[129:130], s[12:13]
	v_ldexp_f64 v[24:25], v[24:25], 1
	s_delay_alu instid0(VALU_DEP_3) | instskip(NEXT) | instid1(VALU_DEP_3)
	v_add_f64 v[26:27], v[30:31], -v[48:49]
	v_fma_f64 v[48:49], v[129:130], s[12:13], -v[131:132]
	s_delay_alu instid0(VALU_DEP_2) | instskip(NEXT) | instid1(VALU_DEP_2)
	v_add_f64 v[26:27], v[28:29], -v[26:27]
	v_fma_f64 v[28:29], v[129:130], s[14:15], v[48:49]
	s_delay_alu instid0(VALU_DEP_2) | instskip(NEXT) | instid1(VALU_DEP_2)
	v_add_f64 v[24:25], v[24:25], v[26:27]
	v_add_f64 v[26:27], v[131:132], v[28:29]
	s_delay_alu instid0(VALU_DEP_2) | instskip(NEXT) | instid1(VALU_DEP_2)
	v_add_f64 v[48:49], v[30:31], v[24:25]
	v_add_f64 v[131:132], v[26:27], -v[131:132]
	s_delay_alu instid0(VALU_DEP_2) | instskip(SKIP_1) | instid1(VALU_DEP_3)
	v_add_f64 v[129:130], v[26:27], v[48:49]
	v_add_f64 v[30:31], v[48:49], -v[30:31]
	v_add_f64 v[28:29], v[28:29], -v[131:132]
	s_delay_alu instid0(VALU_DEP_3) | instskip(NEXT) | instid1(VALU_DEP_3)
	v_add_f64 v[133:134], v[129:130], -v[26:27]
	v_add_f64 v[24:25], v[24:25], -v[30:31]
	s_delay_alu instid0(VALU_DEP_2) | instskip(SKIP_1) | instid1(VALU_DEP_3)
	v_add_f64 v[144:145], v[129:130], -v[133:134]
	v_add_f64 v[30:31], v[48:49], -v[133:134]
	v_add_f64 v[48:49], v[28:29], v[24:25]
	s_delay_alu instid0(VALU_DEP_3) | instskip(NEXT) | instid1(VALU_DEP_1)
	v_add_f64 v[26:27], v[26:27], -v[144:145]
	v_add_f64 v[26:27], v[30:31], v[26:27]
	s_delay_alu instid0(VALU_DEP_3) | instskip(NEXT) | instid1(VALU_DEP_2)
	v_add_f64 v[30:31], v[48:49], -v[28:29]
	v_add_f64 v[26:27], v[48:49], v[26:27]
	s_delay_alu instid0(VALU_DEP_2) | instskip(SKIP_1) | instid1(VALU_DEP_3)
	v_add_f64 v[48:49], v[48:49], -v[30:31]
	v_add_f64 v[24:25], v[24:25], -v[30:31]
	v_add_f64 v[131:132], v[129:130], v[26:27]
	s_delay_alu instid0(VALU_DEP_3) | instskip(NEXT) | instid1(VALU_DEP_2)
	v_add_f64 v[28:29], v[28:29], -v[48:49]
	v_add_f64 v[30:31], v[131:132], -v[129:130]
	s_delay_alu instid0(VALU_DEP_2) | instskip(NEXT) | instid1(VALU_DEP_2)
	v_add_f64 v[24:25], v[24:25], v[28:29]
	v_add_f64 v[26:27], v[26:27], -v[30:31]
	s_delay_alu instid0(VALU_DEP_1) | instskip(NEXT) | instid1(VALU_DEP_1)
	v_add_f64 v[24:25], v[24:25], v[26:27]
	v_add_f64 v[24:25], v[131:132], v[24:25]
	s_delay_alu instid0(VALU_DEP_1) | instskip(NEXT) | instid1(VALU_DEP_2)
	v_cndmask_b32_e64 v24, v24, v22, s10
	v_cndmask_b32_e64 v25, v25, v23, s10
	v_cmp_ngt_f64_e64 s10, -1.0, v[22:23]
	s_delay_alu instid0(VALU_DEP_1) | instskip(SKIP_1) | instid1(VALU_DEP_1)
	v_cndmask_b32_e64 v25, 0x7ff80000, v25, s10
	v_cmp_nge_f64_e64 s10, -1.0, v[22:23]
	v_cndmask_b32_e64 v24, 0, v24, s10
	v_cmp_neq_f64_e64 s10, -1.0, v[22:23]
	s_delay_alu instid0(VALU_DEP_1) | instskip(NEXT) | instid1(VALU_DEP_1)
	v_cndmask_b32_e64 v25, 0xfff00000, v25, s10
	v_add_f64 v[48:49], v[20:21], v[24:25]
.LBB56_280:
	s_or_b32 exec_lo, exec_lo, s17
	v_max_f64 v[20:21], v[80:81], v[80:81]
	s_delay_alu instid0(VALU_DEP_2) | instskip(SKIP_2) | instid1(VALU_DEP_3)
	v_max_f64 v[22:23], v[48:49], v[48:49]
	v_cmp_u_f64_e64 s11, v[48:49], v[48:49]
	v_cmp_u_f64_e64 s10, v[80:81], v[80:81]
	v_min_f64 v[24:25], v[22:23], v[20:21]
	v_max_f64 v[22:23], v[22:23], v[20:21]
	s_delay_alu instid0(VALU_DEP_2) | instskip(NEXT) | instid1(VALU_DEP_3)
	v_cndmask_b32_e64 v24, v24, v48, s11
	v_cndmask_b32_e64 v25, v25, v49, s11
	s_delay_alu instid0(VALU_DEP_3) | instskip(NEXT) | instid1(VALU_DEP_4)
	v_cndmask_b32_e64 v23, v23, v49, s11
	v_cndmask_b32_e64 v22, v22, v48, s11
	s_delay_alu instid0(VALU_DEP_4) | instskip(NEXT) | instid1(VALU_DEP_4)
	v_cndmask_b32_e64 v24, v24, v80, s10
	v_cndmask_b32_e64 v25, v25, v81, s10
	s_delay_alu instid0(VALU_DEP_4) | instskip(NEXT) | instid1(VALU_DEP_4)
	v_cndmask_b32_e64 v23, v23, v81, s10
	v_cndmask_b32_e64 v22, v22, v80, s10
	s_delay_alu instid0(VALU_DEP_3) | instskip(NEXT) | instid1(VALU_DEP_2)
	v_cmp_class_f64_e64 s12, v[24:25], 0x1f8
	v_cmp_neq_f64_e64 s11, v[24:25], v[22:23]
	s_delay_alu instid0(VALU_DEP_1) | instskip(NEXT) | instid1(SALU_CYCLE_1)
	s_or_b32 s11, s11, s12
	s_and_saveexec_b32 s17, s11
	s_cbranch_execz .LBB56_282
; %bb.281:
	v_add_f64 v[24:25], v[24:25], -v[22:23]
	s_mov_b32 s12, 0x652b82fe
	s_mov_b32 s13, 0x3ff71547
	;; [unrolled: 1-line block ×10, first 2 shown]
	s_delay_alu instid0(VALU_DEP_1) | instskip(SKIP_3) | instid1(VALU_DEP_2)
	v_mul_f64 v[26:27], v[24:25], s[12:13]
	s_mov_b32 s12, 0xfca7ab0c
	s_mov_b32 s13, 0x3e928af3
	v_cmp_nlt_f64_e64 s11, 0x40900000, v[24:25]
	v_rndne_f64_e32 v[26:27], v[26:27]
	s_delay_alu instid0(VALU_DEP_1) | instskip(SKIP_2) | instid1(VALU_DEP_2)
	v_fma_f64 v[28:29], v[26:27], s[14:15], v[24:25]
	v_cvt_i32_f64_e32 v48, v[26:27]
	s_mov_b32 s15, 0x3fe62e42
	v_fma_f64 v[28:29], v[26:27], s[18:19], v[28:29]
	s_mov_b32 s19, 0x3c7abc9e
	s_delay_alu instid0(VALU_DEP_1) | instskip(SKIP_4) | instid1(VALU_DEP_1)
	v_fma_f64 v[30:31], v[28:29], s[20:21], s[12:13]
	s_mov_b32 s12, 0x623fde64
	s_mov_b32 s13, 0x3ec71dee
	;; [unrolled: 1-line block ×4, first 2 shown]
	v_fma_f64 v[30:31], v[28:29], v[30:31], s[12:13]
	s_mov_b32 s12, 0x7c89e6b0
	s_mov_b32 s13, 0x3efa0199
	s_delay_alu instid0(VALU_DEP_1) | instid1(SALU_CYCLE_1)
	v_fma_f64 v[30:31], v[28:29], v[30:31], s[12:13]
	s_mov_b32 s12, 0x14761f6e
	s_mov_b32 s13, 0x3f2a01a0
	s_delay_alu instid0(VALU_DEP_1) | instid1(SALU_CYCLE_1)
	;; [unrolled: 4-line block ×7, first 2 shown]
	v_fma_f64 v[30:31], v[28:29], v[30:31], s[12:13]
	v_cmp_ngt_f64_e64 s12, 0xc090cc00, v[24:25]
	s_mov_b32 s13, 0x3fe55555
	s_delay_alu instid0(VALU_DEP_2) | instskip(NEXT) | instid1(VALU_DEP_1)
	v_fma_f64 v[30:31], v[28:29], v[30:31], 1.0
	v_fma_f64 v[26:27], v[28:29], v[30:31], 1.0
	s_delay_alu instid0(VALU_DEP_1) | instskip(NEXT) | instid1(VALU_DEP_1)
	v_ldexp_f64 v[26:27], v[26:27], v48
	v_cndmask_b32_e64 v27, 0x7ff00000, v27, s11
	s_and_b32 s11, s12, s11
	s_delay_alu instid0(VALU_DEP_2) | instid1(SALU_CYCLE_1)
	v_cndmask_b32_e64 v24, 0, v26, s11
	s_delay_alu instid0(VALU_DEP_2) | instskip(SKIP_1) | instid1(VALU_DEP_1)
	v_cndmask_b32_e64 v25, 0, v27, s12
	s_mov_b32 s12, 0x55555555
	v_add_f64 v[26:27], v[24:25], 1.0
	s_delay_alu instid0(VALU_DEP_1) | instskip(SKIP_2) | instid1(VALU_DEP_3)
	v_frexp_mant_f64_e32 v[28:29], v[26:27]
	v_frexp_exp_i32_f64_e32 v48, v[26:27]
	v_add_f64 v[30:31], v[26:27], -1.0
	v_cmp_gt_f64_e64 s11, s[12:13], v[28:29]
	s_mov_b32 s12, 0x55555780
	s_delay_alu instid0(VALU_DEP_2) | instskip(SKIP_1) | instid1(VALU_DEP_3)
	v_add_f64 v[28:29], v[30:31], -v[26:27]
	v_add_f64 v[30:31], v[24:25], -v[30:31]
	v_subrev_co_ci_u32_e64 v160, s11, 0, v48, s11
	s_delay_alu instid0(VALU_DEP_3) | instskip(SKIP_1) | instid1(VALU_DEP_3)
	v_add_f64 v[28:29], v[28:29], 1.0
	v_cmp_eq_f64_e64 s11, 0x7ff00000, v[24:25]
	v_sub_nc_u32_e32 v129, 0, v160
	s_delay_alu instid0(VALU_DEP_1) | instskip(NEXT) | instid1(VALU_DEP_4)
	v_ldexp_f64 v[26:27], v[26:27], v129
	v_add_f64 v[28:29], v[30:31], v[28:29]
	s_delay_alu instid0(VALU_DEP_2) | instskip(SKIP_1) | instid1(VALU_DEP_3)
	v_add_f64 v[48:49], v[26:27], 1.0
	v_add_f64 v[133:134], v[26:27], -1.0
	v_ldexp_f64 v[28:29], v[28:29], v129
	s_delay_alu instid0(VALU_DEP_3) | instskip(NEXT) | instid1(VALU_DEP_3)
	v_add_f64 v[30:31], v[48:49], -1.0
	v_add_f64 v[144:145], v[133:134], 1.0
	s_delay_alu instid0(VALU_DEP_2) | instskip(NEXT) | instid1(VALU_DEP_2)
	v_add_f64 v[30:31], v[26:27], -v[30:31]
	v_add_f64 v[26:27], v[26:27], -v[144:145]
	s_delay_alu instid0(VALU_DEP_2) | instskip(NEXT) | instid1(VALU_DEP_2)
	v_add_f64 v[30:31], v[28:29], v[30:31]
	v_add_f64 v[26:27], v[28:29], v[26:27]
	s_delay_alu instid0(VALU_DEP_2) | instskip(NEXT) | instid1(VALU_DEP_2)
	v_add_f64 v[129:130], v[48:49], v[30:31]
	v_add_f64 v[144:145], v[133:134], v[26:27]
	s_delay_alu instid0(VALU_DEP_2) | instskip(SKIP_1) | instid1(VALU_DEP_2)
	v_rcp_f64_e32 v[131:132], v[129:130]
	v_add_f64 v[48:49], v[129:130], -v[48:49]
	v_add_f64 v[133:134], v[144:145], -v[133:134]
	s_delay_alu instid0(VALU_DEP_2) | instskip(SKIP_3) | instid1(VALU_DEP_2)
	v_add_f64 v[30:31], v[30:31], -v[48:49]
	s_waitcnt_depctr 0xfff
	v_fma_f64 v[146:147], -v[129:130], v[131:132], 1.0
	v_add_f64 v[26:27], v[26:27], -v[133:134]
	v_fma_f64 v[131:132], v[146:147], v[131:132], v[131:132]
	s_delay_alu instid0(VALU_DEP_1) | instskip(NEXT) | instid1(VALU_DEP_1)
	v_fma_f64 v[28:29], -v[129:130], v[131:132], 1.0
	v_fma_f64 v[28:29], v[28:29], v[131:132], v[131:132]
	s_delay_alu instid0(VALU_DEP_1) | instskip(NEXT) | instid1(VALU_DEP_1)
	v_mul_f64 v[131:132], v[144:145], v[28:29]
	v_mul_f64 v[146:147], v[129:130], v[131:132]
	s_delay_alu instid0(VALU_DEP_1) | instskip(NEXT) | instid1(VALU_DEP_1)
	v_fma_f64 v[48:49], v[131:132], v[129:130], -v[146:147]
	v_fma_f64 v[48:49], v[131:132], v[30:31], v[48:49]
	s_delay_alu instid0(VALU_DEP_1) | instskip(NEXT) | instid1(VALU_DEP_1)
	v_add_f64 v[148:149], v[146:147], v[48:49]
	v_add_f64 v[150:151], v[144:145], -v[148:149]
	v_add_f64 v[133:134], v[148:149], -v[146:147]
	s_delay_alu instid0(VALU_DEP_2) | instskip(NEXT) | instid1(VALU_DEP_2)
	v_add_f64 v[144:145], v[144:145], -v[150:151]
	v_add_f64 v[48:49], v[133:134], -v[48:49]
	s_delay_alu instid0(VALU_DEP_2) | instskip(NEXT) | instid1(VALU_DEP_1)
	v_add_f64 v[144:145], v[144:145], -v[148:149]
	v_add_f64 v[26:27], v[26:27], v[144:145]
	s_delay_alu instid0(VALU_DEP_1) | instskip(NEXT) | instid1(VALU_DEP_1)
	v_add_f64 v[26:27], v[48:49], v[26:27]
	v_add_f64 v[48:49], v[150:151], v[26:27]
	s_delay_alu instid0(VALU_DEP_1) | instskip(SKIP_1) | instid1(VALU_DEP_2)
	v_mul_f64 v[133:134], v[28:29], v[48:49]
	v_add_f64 v[148:149], v[150:151], -v[48:49]
	v_mul_f64 v[144:145], v[129:130], v[133:134]
	s_delay_alu instid0(VALU_DEP_2) | instskip(NEXT) | instid1(VALU_DEP_2)
	v_add_f64 v[26:27], v[26:27], v[148:149]
	v_fma_f64 v[129:130], v[133:134], v[129:130], -v[144:145]
	s_delay_alu instid0(VALU_DEP_1) | instskip(NEXT) | instid1(VALU_DEP_1)
	v_fma_f64 v[30:31], v[133:134], v[30:31], v[129:130]
	v_add_f64 v[129:130], v[144:145], v[30:31]
	s_delay_alu instid0(VALU_DEP_1) | instskip(SKIP_1) | instid1(VALU_DEP_2)
	v_add_f64 v[146:147], v[48:49], -v[129:130]
	v_add_f64 v[144:145], v[129:130], -v[144:145]
	;; [unrolled: 1-line block ×3, first 2 shown]
	s_delay_alu instid0(VALU_DEP_2) | instskip(NEXT) | instid1(VALU_DEP_2)
	v_add_f64 v[30:31], v[144:145], -v[30:31]
	v_add_f64 v[48:49], v[48:49], -v[129:130]
	s_delay_alu instid0(VALU_DEP_1) | instskip(SKIP_1) | instid1(VALU_DEP_2)
	v_add_f64 v[26:27], v[26:27], v[48:49]
	v_add_f64 v[48:49], v[131:132], v[133:134]
	v_add_f64 v[26:27], v[30:31], v[26:27]
	s_delay_alu instid0(VALU_DEP_2) | instskip(NEXT) | instid1(VALU_DEP_2)
	v_add_f64 v[30:31], v[48:49], -v[131:132]
	v_add_f64 v[26:27], v[146:147], v[26:27]
	s_delay_alu instid0(VALU_DEP_2) | instskip(NEXT) | instid1(VALU_DEP_2)
	v_add_f64 v[30:31], v[133:134], -v[30:31]
	v_mul_f64 v[26:27], v[28:29], v[26:27]
	s_delay_alu instid0(VALU_DEP_1) | instskip(NEXT) | instid1(VALU_DEP_1)
	v_add_f64 v[26:27], v[30:31], v[26:27]
	v_add_f64 v[28:29], v[48:49], v[26:27]
	s_delay_alu instid0(VALU_DEP_1) | instskip(NEXT) | instid1(VALU_DEP_1)
	v_mul_f64 v[30:31], v[28:29], v[28:29]
	v_fma_f64 v[129:130], v[30:31], s[24:25], s[20:21]
	s_mov_b32 s20, 0xd7f4df2e
	s_mov_b32 s21, 0x3fc7474d
	v_mul_f64 v[131:132], v[28:29], v[30:31]
	s_delay_alu instid0(VALU_DEP_2)
	v_fma_f64 v[129:130], v[30:31], v[129:130], s[20:21]
	s_mov_b32 s20, 0x16291751
	s_mov_b32 s21, 0x3fcc71c0
	s_delay_alu instid0(VALU_DEP_1) | instid1(SALU_CYCLE_1)
	v_fma_f64 v[129:130], v[30:31], v[129:130], s[20:21]
	s_mov_b32 s20, 0x9b27acf1
	s_mov_b32 s21, 0x3fd24924
	s_delay_alu instid0(VALU_DEP_1) | instid1(SALU_CYCLE_1)
	;; [unrolled: 4-line block ×3, first 2 shown]
	v_fma_f64 v[129:130], v[30:31], v[129:130], s[20:21]
	s_delay_alu instid0(VALU_DEP_1) | instskip(SKIP_2) | instid1(VALU_DEP_3)
	v_fma_f64 v[30:31], v[30:31], v[129:130], s[12:13]
	v_ldexp_f64 v[129:130], v[28:29], 1
	v_add_f64 v[28:29], v[28:29], -v[48:49]
	v_mul_f64 v[30:31], v[131:132], v[30:31]
	v_cvt_f64_i32_e32 v[131:132], v160
	s_delay_alu instid0(VALU_DEP_3) | instskip(NEXT) | instid1(VALU_DEP_3)
	v_add_f64 v[26:27], v[26:27], -v[28:29]
	v_add_f64 v[48:49], v[129:130], v[30:31]
	s_delay_alu instid0(VALU_DEP_3) | instskip(NEXT) | instid1(VALU_DEP_3)
	v_mul_f64 v[133:134], v[131:132], s[14:15]
	v_ldexp_f64 v[26:27], v[26:27], 1
	s_delay_alu instid0(VALU_DEP_3) | instskip(NEXT) | instid1(VALU_DEP_3)
	v_add_f64 v[28:29], v[48:49], -v[129:130]
	v_fma_f64 v[129:130], v[131:132], s[14:15], -v[133:134]
	s_delay_alu instid0(VALU_DEP_2) | instskip(NEXT) | instid1(VALU_DEP_2)
	v_add_f64 v[28:29], v[30:31], -v[28:29]
	v_fma_f64 v[30:31], v[131:132], s[18:19], v[129:130]
	s_delay_alu instid0(VALU_DEP_2) | instskip(NEXT) | instid1(VALU_DEP_2)
	v_add_f64 v[26:27], v[26:27], v[28:29]
	v_add_f64 v[28:29], v[133:134], v[30:31]
	s_delay_alu instid0(VALU_DEP_2) | instskip(NEXT) | instid1(VALU_DEP_2)
	v_add_f64 v[129:130], v[48:49], v[26:27]
	v_add_f64 v[133:134], v[28:29], -v[133:134]
	s_delay_alu instid0(VALU_DEP_2) | instskip(SKIP_1) | instid1(VALU_DEP_3)
	v_add_f64 v[131:132], v[28:29], v[129:130]
	v_add_f64 v[48:49], v[129:130], -v[48:49]
	v_add_f64 v[30:31], v[30:31], -v[133:134]
	s_delay_alu instid0(VALU_DEP_3) | instskip(NEXT) | instid1(VALU_DEP_3)
	v_add_f64 v[144:145], v[131:132], -v[28:29]
	v_add_f64 v[26:27], v[26:27], -v[48:49]
	s_delay_alu instid0(VALU_DEP_2) | instskip(SKIP_1) | instid1(VALU_DEP_3)
	v_add_f64 v[146:147], v[131:132], -v[144:145]
	v_add_f64 v[48:49], v[129:130], -v[144:145]
	v_add_f64 v[129:130], v[30:31], v[26:27]
	s_delay_alu instid0(VALU_DEP_3) | instskip(NEXT) | instid1(VALU_DEP_1)
	v_add_f64 v[28:29], v[28:29], -v[146:147]
	v_add_f64 v[28:29], v[48:49], v[28:29]
	s_delay_alu instid0(VALU_DEP_3) | instskip(NEXT) | instid1(VALU_DEP_2)
	v_add_f64 v[48:49], v[129:130], -v[30:31]
	v_add_f64 v[28:29], v[129:130], v[28:29]
	s_delay_alu instid0(VALU_DEP_2) | instskip(SKIP_1) | instid1(VALU_DEP_3)
	v_add_f64 v[129:130], v[129:130], -v[48:49]
	v_add_f64 v[26:27], v[26:27], -v[48:49]
	v_add_f64 v[133:134], v[131:132], v[28:29]
	s_delay_alu instid0(VALU_DEP_3) | instskip(NEXT) | instid1(VALU_DEP_2)
	v_add_f64 v[30:31], v[30:31], -v[129:130]
	v_add_f64 v[48:49], v[133:134], -v[131:132]
	s_delay_alu instid0(VALU_DEP_2) | instskip(NEXT) | instid1(VALU_DEP_2)
	v_add_f64 v[26:27], v[26:27], v[30:31]
	v_add_f64 v[28:29], v[28:29], -v[48:49]
	s_delay_alu instid0(VALU_DEP_1) | instskip(NEXT) | instid1(VALU_DEP_1)
	v_add_f64 v[26:27], v[26:27], v[28:29]
	v_add_f64 v[26:27], v[133:134], v[26:27]
	s_delay_alu instid0(VALU_DEP_1) | instskip(NEXT) | instid1(VALU_DEP_2)
	v_cndmask_b32_e64 v26, v26, v24, s11
	v_cndmask_b32_e64 v27, v27, v25, s11
	v_cmp_ngt_f64_e64 s11, -1.0, v[24:25]
	s_delay_alu instid0(VALU_DEP_1) | instskip(SKIP_1) | instid1(VALU_DEP_1)
	v_cndmask_b32_e64 v27, 0x7ff80000, v27, s11
	v_cmp_nge_f64_e64 s11, -1.0, v[24:25]
	v_cndmask_b32_e64 v26, 0, v26, s11
	v_cmp_neq_f64_e64 s11, -1.0, v[24:25]
	s_delay_alu instid0(VALU_DEP_1) | instskip(NEXT) | instid1(VALU_DEP_1)
	v_cndmask_b32_e64 v27, 0xfff00000, v27, s11
	v_add_f64 v[48:49], v[22:23], v[26:27]
.LBB56_282:
	s_or_b32 exec_lo, exec_lo, s17
	v_max_f64 v[22:23], v[82:83], v[82:83]
	s_delay_alu instid0(VALU_DEP_2) | instskip(SKIP_2) | instid1(VALU_DEP_3)
	v_max_f64 v[24:25], v[48:49], v[48:49]
	v_cmp_u_f64_e64 s12, v[48:49], v[48:49]
	v_cmp_u_f64_e64 s11, v[82:83], v[82:83]
	v_min_f64 v[26:27], v[24:25], v[22:23]
	v_max_f64 v[24:25], v[24:25], v[22:23]
	s_delay_alu instid0(VALU_DEP_2) | instskip(NEXT) | instid1(VALU_DEP_3)
	v_cndmask_b32_e64 v26, v26, v48, s12
	v_cndmask_b32_e64 v27, v27, v49, s12
	s_delay_alu instid0(VALU_DEP_3) | instskip(NEXT) | instid1(VALU_DEP_4)
	v_cndmask_b32_e64 v25, v25, v49, s12
	v_cndmask_b32_e64 v24, v24, v48, s12
	s_delay_alu instid0(VALU_DEP_4) | instskip(NEXT) | instid1(VALU_DEP_4)
	v_cndmask_b32_e64 v26, v26, v82, s11
	v_cndmask_b32_e64 v27, v27, v83, s11
	s_delay_alu instid0(VALU_DEP_4) | instskip(NEXT) | instid1(VALU_DEP_4)
	v_cndmask_b32_e64 v25, v25, v83, s11
	v_cndmask_b32_e64 v24, v24, v82, s11
	s_delay_alu instid0(VALU_DEP_3) | instskip(NEXT) | instid1(VALU_DEP_2)
	v_cmp_class_f64_e64 s13, v[26:27], 0x1f8
	v_cmp_neq_f64_e64 s12, v[26:27], v[24:25]
	s_delay_alu instid0(VALU_DEP_1) | instskip(NEXT) | instid1(SALU_CYCLE_1)
	s_or_b32 s12, s12, s13
	s_and_saveexec_b32 s17, s12
	s_cbranch_execz .LBB56_284
; %bb.283:
	v_add_f64 v[26:27], v[26:27], -v[24:25]
	s_mov_b32 s12, 0x652b82fe
	s_mov_b32 s13, 0x3ff71547
	;; [unrolled: 1-line block ×10, first 2 shown]
	s_delay_alu instid0(VALU_DEP_1) | instskip(SKIP_2) | instid1(VALU_DEP_1)
	v_mul_f64 v[28:29], v[26:27], s[12:13]
	s_mov_b32 s12, 0xfca7ab0c
	s_mov_b32 s13, 0x3e928af3
	v_rndne_f64_e32 v[28:29], v[28:29]
	s_delay_alu instid0(VALU_DEP_1) | instskip(SKIP_2) | instid1(VALU_DEP_2)
	v_fma_f64 v[30:31], v[28:29], s[14:15], v[26:27]
	v_cvt_i32_f64_e32 v129, v[28:29]
	s_mov_b32 s15, 0x3fe62e42
	v_fma_f64 v[30:31], v[28:29], s[18:19], v[30:31]
	s_mov_b32 s19, 0x3c7abc9e
	s_delay_alu instid0(VALU_DEP_1) | instskip(SKIP_4) | instid1(VALU_DEP_1)
	v_fma_f64 v[48:49], v[30:31], s[20:21], s[12:13]
	s_mov_b32 s12, 0x623fde64
	s_mov_b32 s13, 0x3ec71dee
	;; [unrolled: 1-line block ×4, first 2 shown]
	v_fma_f64 v[48:49], v[30:31], v[48:49], s[12:13]
	s_mov_b32 s12, 0x7c89e6b0
	s_mov_b32 s13, 0x3efa0199
	s_delay_alu instid0(VALU_DEP_1) | instid1(SALU_CYCLE_1)
	v_fma_f64 v[48:49], v[30:31], v[48:49], s[12:13]
	s_mov_b32 s12, 0x14761f6e
	s_mov_b32 s13, 0x3f2a01a0
	s_delay_alu instid0(VALU_DEP_1) | instid1(SALU_CYCLE_1)
	v_fma_f64 v[48:49], v[30:31], v[48:49], s[12:13]
	s_mov_b32 s12, 0x1852b7b0
	s_mov_b32 s13, 0x3f56c16c
	s_delay_alu instid0(VALU_DEP_1) | instid1(SALU_CYCLE_1)
	v_fma_f64 v[48:49], v[30:31], v[48:49], s[12:13]
	s_mov_b32 s12, 0x11122322
	s_mov_b32 s13, 0x3f811111
	s_delay_alu instid0(VALU_DEP_1) | instid1(SALU_CYCLE_1)
	v_fma_f64 v[48:49], v[30:31], v[48:49], s[12:13]
	s_mov_b32 s12, 0x555502a1
	s_mov_b32 s13, 0x3fa55555
	s_delay_alu instid0(VALU_DEP_1) | instid1(SALU_CYCLE_1)
	v_fma_f64 v[48:49], v[30:31], v[48:49], s[12:13]
	s_mov_b32 s12, 0x55555511
	s_mov_b32 s13, 0x3fc55555
	s_delay_alu instid0(VALU_DEP_1) | instid1(SALU_CYCLE_1)
	v_fma_f64 v[48:49], v[30:31], v[48:49], s[12:13]
	s_mov_b32 s12, 11
	s_mov_b32 s13, 0x3fe00000
	s_delay_alu instid0(VALU_DEP_1) | instid1(SALU_CYCLE_1)
	v_fma_f64 v[48:49], v[30:31], v[48:49], s[12:13]
	v_cmp_nlt_f64_e64 s12, 0x40900000, v[26:27]
	v_cmp_ngt_f64_e64 s13, 0xc090cc00, v[26:27]
	s_delay_alu instid0(VALU_DEP_3) | instskip(NEXT) | instid1(VALU_DEP_1)
	v_fma_f64 v[48:49], v[30:31], v[48:49], 1.0
	v_fma_f64 v[28:29], v[30:31], v[48:49], 1.0
	s_delay_alu instid0(VALU_DEP_1) | instskip(NEXT) | instid1(VALU_DEP_1)
	v_ldexp_f64 v[28:29], v[28:29], v129
	v_cndmask_b32_e64 v29, 0x7ff00000, v29, s12
	s_and_b32 s12, s13, s12
	s_delay_alu instid0(VALU_DEP_2) | instid1(SALU_CYCLE_1)
	v_cndmask_b32_e64 v26, 0, v28, s12
	s_mov_b32 s12, 0x55555555
	s_delay_alu instid0(VALU_DEP_2) | instskip(SKIP_1) | instid1(VALU_DEP_1)
	v_cndmask_b32_e64 v27, 0, v29, s13
	s_mov_b32 s13, 0x3fe55555
	v_add_f64 v[28:29], v[26:27], 1.0
	s_delay_alu instid0(VALU_DEP_1) | instskip(SKIP_2) | instid1(VALU_DEP_3)
	v_frexp_mant_f64_e32 v[30:31], v[28:29]
	v_frexp_exp_i32_f64_e32 v129, v[28:29]
	v_add_f64 v[48:49], v[28:29], -1.0
	v_cmp_gt_f64_e64 s12, s[12:13], v[30:31]
	s_delay_alu instid0(VALU_DEP_2) | instskip(SKIP_1) | instid1(VALU_DEP_3)
	v_add_f64 v[30:31], v[48:49], -v[28:29]
	v_add_f64 v[48:49], v[26:27], -v[48:49]
	v_subrev_co_ci_u32_e64 v162, s12, 0, v129, s12
	s_delay_alu instid0(VALU_DEP_3) | instskip(SKIP_1) | instid1(VALU_DEP_2)
	v_add_f64 v[30:31], v[30:31], 1.0
	s_mov_b32 s12, 0x55555780
	v_sub_nc_u32_e32 v131, 0, v162
	s_delay_alu instid0(VALU_DEP_1) | instskip(NEXT) | instid1(VALU_DEP_3)
	v_ldexp_f64 v[28:29], v[28:29], v131
	v_add_f64 v[30:31], v[48:49], v[30:31]
	s_delay_alu instid0(VALU_DEP_2) | instskip(SKIP_1) | instid1(VALU_DEP_3)
	v_add_f64 v[129:130], v[28:29], 1.0
	v_add_f64 v[144:145], v[28:29], -1.0
	v_ldexp_f64 v[30:31], v[30:31], v131
	s_delay_alu instid0(VALU_DEP_3) | instskip(NEXT) | instid1(VALU_DEP_3)
	v_add_f64 v[48:49], v[129:130], -1.0
	v_add_f64 v[146:147], v[144:145], 1.0
	s_delay_alu instid0(VALU_DEP_2) | instskip(NEXT) | instid1(VALU_DEP_2)
	v_add_f64 v[48:49], v[28:29], -v[48:49]
	v_add_f64 v[28:29], v[28:29], -v[146:147]
	s_delay_alu instid0(VALU_DEP_2) | instskip(NEXT) | instid1(VALU_DEP_2)
	v_add_f64 v[48:49], v[30:31], v[48:49]
	v_add_f64 v[28:29], v[30:31], v[28:29]
	s_delay_alu instid0(VALU_DEP_2) | instskip(NEXT) | instid1(VALU_DEP_2)
	v_add_f64 v[131:132], v[129:130], v[48:49]
	v_add_f64 v[146:147], v[144:145], v[28:29]
	s_delay_alu instid0(VALU_DEP_2) | instskip(SKIP_1) | instid1(VALU_DEP_2)
	v_rcp_f64_e32 v[133:134], v[131:132]
	v_add_f64 v[129:130], v[131:132], -v[129:130]
	v_add_f64 v[144:145], v[146:147], -v[144:145]
	s_delay_alu instid0(VALU_DEP_2) | instskip(SKIP_3) | instid1(VALU_DEP_2)
	v_add_f64 v[48:49], v[48:49], -v[129:130]
	s_waitcnt_depctr 0xfff
	v_fma_f64 v[148:149], -v[131:132], v[133:134], 1.0
	v_add_f64 v[28:29], v[28:29], -v[144:145]
	v_fma_f64 v[133:134], v[148:149], v[133:134], v[133:134]
	s_delay_alu instid0(VALU_DEP_1) | instskip(NEXT) | instid1(VALU_DEP_1)
	v_fma_f64 v[30:31], -v[131:132], v[133:134], 1.0
	v_fma_f64 v[30:31], v[30:31], v[133:134], v[133:134]
	s_delay_alu instid0(VALU_DEP_1) | instskip(NEXT) | instid1(VALU_DEP_1)
	v_mul_f64 v[133:134], v[146:147], v[30:31]
	v_mul_f64 v[148:149], v[131:132], v[133:134]
	s_delay_alu instid0(VALU_DEP_1) | instskip(NEXT) | instid1(VALU_DEP_1)
	v_fma_f64 v[129:130], v[133:134], v[131:132], -v[148:149]
	v_fma_f64 v[129:130], v[133:134], v[48:49], v[129:130]
	s_delay_alu instid0(VALU_DEP_1) | instskip(NEXT) | instid1(VALU_DEP_1)
	v_add_f64 v[150:151], v[148:149], v[129:130]
	v_add_f64 v[160:161], v[146:147], -v[150:151]
	v_add_f64 v[144:145], v[150:151], -v[148:149]
	s_delay_alu instid0(VALU_DEP_2) | instskip(NEXT) | instid1(VALU_DEP_2)
	v_add_f64 v[146:147], v[146:147], -v[160:161]
	v_add_f64 v[129:130], v[144:145], -v[129:130]
	s_delay_alu instid0(VALU_DEP_2) | instskip(NEXT) | instid1(VALU_DEP_1)
	v_add_f64 v[146:147], v[146:147], -v[150:151]
	v_add_f64 v[28:29], v[28:29], v[146:147]
	s_delay_alu instid0(VALU_DEP_1) | instskip(NEXT) | instid1(VALU_DEP_1)
	v_add_f64 v[28:29], v[129:130], v[28:29]
	v_add_f64 v[129:130], v[160:161], v[28:29]
	s_delay_alu instid0(VALU_DEP_1) | instskip(SKIP_1) | instid1(VALU_DEP_2)
	v_mul_f64 v[144:145], v[30:31], v[129:130]
	v_add_f64 v[150:151], v[160:161], -v[129:130]
	v_mul_f64 v[146:147], v[131:132], v[144:145]
	s_delay_alu instid0(VALU_DEP_2) | instskip(NEXT) | instid1(VALU_DEP_2)
	v_add_f64 v[28:29], v[28:29], v[150:151]
	v_fma_f64 v[131:132], v[144:145], v[131:132], -v[146:147]
	s_delay_alu instid0(VALU_DEP_1) | instskip(NEXT) | instid1(VALU_DEP_1)
	v_fma_f64 v[48:49], v[144:145], v[48:49], v[131:132]
	v_add_f64 v[131:132], v[146:147], v[48:49]
	s_delay_alu instid0(VALU_DEP_1) | instskip(SKIP_1) | instid1(VALU_DEP_2)
	v_add_f64 v[148:149], v[129:130], -v[131:132]
	v_add_f64 v[146:147], v[131:132], -v[146:147]
	;; [unrolled: 1-line block ×3, first 2 shown]
	s_delay_alu instid0(VALU_DEP_2) | instskip(NEXT) | instid1(VALU_DEP_2)
	v_add_f64 v[48:49], v[146:147], -v[48:49]
	v_add_f64 v[129:130], v[129:130], -v[131:132]
	s_delay_alu instid0(VALU_DEP_1) | instskip(SKIP_1) | instid1(VALU_DEP_2)
	v_add_f64 v[28:29], v[28:29], v[129:130]
	v_add_f64 v[129:130], v[133:134], v[144:145]
	;; [unrolled: 1-line block ×3, first 2 shown]
	s_delay_alu instid0(VALU_DEP_2) | instskip(NEXT) | instid1(VALU_DEP_2)
	v_add_f64 v[48:49], v[129:130], -v[133:134]
	v_add_f64 v[28:29], v[148:149], v[28:29]
	s_delay_alu instid0(VALU_DEP_2) | instskip(NEXT) | instid1(VALU_DEP_2)
	v_add_f64 v[48:49], v[144:145], -v[48:49]
	v_mul_f64 v[28:29], v[30:31], v[28:29]
	s_delay_alu instid0(VALU_DEP_1) | instskip(NEXT) | instid1(VALU_DEP_1)
	v_add_f64 v[28:29], v[48:49], v[28:29]
	v_add_f64 v[30:31], v[129:130], v[28:29]
	s_delay_alu instid0(VALU_DEP_1) | instskip(NEXT) | instid1(VALU_DEP_1)
	v_mul_f64 v[48:49], v[30:31], v[30:31]
	v_fma_f64 v[131:132], v[48:49], s[24:25], s[20:21]
	s_mov_b32 s20, 0xd7f4df2e
	s_mov_b32 s21, 0x3fc7474d
	v_mul_f64 v[133:134], v[30:31], v[48:49]
	s_delay_alu instid0(VALU_DEP_2)
	v_fma_f64 v[131:132], v[48:49], v[131:132], s[20:21]
	s_mov_b32 s20, 0x16291751
	s_mov_b32 s21, 0x3fcc71c0
	s_delay_alu instid0(VALU_DEP_1) | instid1(SALU_CYCLE_1)
	v_fma_f64 v[131:132], v[48:49], v[131:132], s[20:21]
	s_mov_b32 s20, 0x9b27acf1
	s_mov_b32 s21, 0x3fd24924
	s_delay_alu instid0(VALU_DEP_1) | instid1(SALU_CYCLE_1)
	;; [unrolled: 4-line block ×3, first 2 shown]
	v_fma_f64 v[131:132], v[48:49], v[131:132], s[20:21]
	s_delay_alu instid0(VALU_DEP_1) | instskip(SKIP_3) | instid1(VALU_DEP_4)
	v_fma_f64 v[48:49], v[48:49], v[131:132], s[12:13]
	v_ldexp_f64 v[131:132], v[30:31], 1
	v_add_f64 v[30:31], v[30:31], -v[129:130]
	v_cmp_eq_f64_e64 s12, 0x7ff00000, v[26:27]
	v_mul_f64 v[48:49], v[133:134], v[48:49]
	v_cvt_f64_i32_e32 v[133:134], v162
	s_delay_alu instid0(VALU_DEP_4) | instskip(NEXT) | instid1(VALU_DEP_3)
	v_add_f64 v[28:29], v[28:29], -v[30:31]
	v_add_f64 v[129:130], v[131:132], v[48:49]
	s_delay_alu instid0(VALU_DEP_3) | instskip(NEXT) | instid1(VALU_DEP_3)
	v_mul_f64 v[144:145], v[133:134], s[14:15]
	v_ldexp_f64 v[28:29], v[28:29], 1
	s_delay_alu instid0(VALU_DEP_3) | instskip(NEXT) | instid1(VALU_DEP_3)
	v_add_f64 v[30:31], v[129:130], -v[131:132]
	v_fma_f64 v[131:132], v[133:134], s[14:15], -v[144:145]
	s_delay_alu instid0(VALU_DEP_2) | instskip(NEXT) | instid1(VALU_DEP_2)
	v_add_f64 v[30:31], v[48:49], -v[30:31]
	v_fma_f64 v[48:49], v[133:134], s[18:19], v[131:132]
	s_delay_alu instid0(VALU_DEP_2) | instskip(NEXT) | instid1(VALU_DEP_2)
	v_add_f64 v[28:29], v[28:29], v[30:31]
	v_add_f64 v[30:31], v[144:145], v[48:49]
	s_delay_alu instid0(VALU_DEP_2) | instskip(NEXT) | instid1(VALU_DEP_2)
	v_add_f64 v[131:132], v[129:130], v[28:29]
	v_add_f64 v[144:145], v[30:31], -v[144:145]
	s_delay_alu instid0(VALU_DEP_2) | instskip(SKIP_1) | instid1(VALU_DEP_3)
	v_add_f64 v[133:134], v[30:31], v[131:132]
	v_add_f64 v[129:130], v[131:132], -v[129:130]
	v_add_f64 v[48:49], v[48:49], -v[144:145]
	s_delay_alu instid0(VALU_DEP_3) | instskip(NEXT) | instid1(VALU_DEP_3)
	v_add_f64 v[146:147], v[133:134], -v[30:31]
	v_add_f64 v[28:29], v[28:29], -v[129:130]
	s_delay_alu instid0(VALU_DEP_2) | instskip(SKIP_1) | instid1(VALU_DEP_3)
	v_add_f64 v[148:149], v[133:134], -v[146:147]
	v_add_f64 v[129:130], v[131:132], -v[146:147]
	v_add_f64 v[131:132], v[48:49], v[28:29]
	s_delay_alu instid0(VALU_DEP_3) | instskip(NEXT) | instid1(VALU_DEP_1)
	v_add_f64 v[30:31], v[30:31], -v[148:149]
	v_add_f64 v[30:31], v[129:130], v[30:31]
	s_delay_alu instid0(VALU_DEP_3) | instskip(NEXT) | instid1(VALU_DEP_2)
	v_add_f64 v[129:130], v[131:132], -v[48:49]
	v_add_f64 v[30:31], v[131:132], v[30:31]
	s_delay_alu instid0(VALU_DEP_2) | instskip(SKIP_1) | instid1(VALU_DEP_3)
	v_add_f64 v[131:132], v[131:132], -v[129:130]
	v_add_f64 v[28:29], v[28:29], -v[129:130]
	v_add_f64 v[144:145], v[133:134], v[30:31]
	s_delay_alu instid0(VALU_DEP_3) | instskip(NEXT) | instid1(VALU_DEP_2)
	v_add_f64 v[48:49], v[48:49], -v[131:132]
	v_add_f64 v[129:130], v[144:145], -v[133:134]
	s_delay_alu instid0(VALU_DEP_2) | instskip(NEXT) | instid1(VALU_DEP_2)
	v_add_f64 v[28:29], v[28:29], v[48:49]
	v_add_f64 v[30:31], v[30:31], -v[129:130]
	s_delay_alu instid0(VALU_DEP_1) | instskip(NEXT) | instid1(VALU_DEP_1)
	v_add_f64 v[28:29], v[28:29], v[30:31]
	v_add_f64 v[28:29], v[144:145], v[28:29]
	s_delay_alu instid0(VALU_DEP_1) | instskip(NEXT) | instid1(VALU_DEP_2)
	v_cndmask_b32_e64 v28, v28, v26, s12
	v_cndmask_b32_e64 v29, v29, v27, s12
	v_cmp_ngt_f64_e64 s12, -1.0, v[26:27]
	s_delay_alu instid0(VALU_DEP_1) | instskip(SKIP_1) | instid1(VALU_DEP_1)
	v_cndmask_b32_e64 v29, 0x7ff80000, v29, s12
	v_cmp_nge_f64_e64 s12, -1.0, v[26:27]
	v_cndmask_b32_e64 v28, 0, v28, s12
	v_cmp_neq_f64_e64 s12, -1.0, v[26:27]
	s_delay_alu instid0(VALU_DEP_1) | instskip(NEXT) | instid1(VALU_DEP_1)
	v_cndmask_b32_e64 v29, 0xfff00000, v29, s12
	v_add_f64 v[48:49], v[24:25], v[28:29]
.LBB56_284:
	s_or_b32 exec_lo, exec_lo, s17
	v_max_f64 v[24:25], v[68:69], v[68:69]
	s_delay_alu instid0(VALU_DEP_2) | instskip(SKIP_2) | instid1(VALU_DEP_3)
	v_max_f64 v[26:27], v[48:49], v[48:49]
	v_cmp_u_f64_e64 s13, v[48:49], v[48:49]
	v_cmp_u_f64_e64 s12, v[68:69], v[68:69]
	v_min_f64 v[28:29], v[26:27], v[24:25]
	v_max_f64 v[26:27], v[26:27], v[24:25]
	s_delay_alu instid0(VALU_DEP_2) | instskip(NEXT) | instid1(VALU_DEP_3)
	v_cndmask_b32_e64 v28, v28, v48, s13
	v_cndmask_b32_e64 v29, v29, v49, s13
	s_delay_alu instid0(VALU_DEP_3) | instskip(NEXT) | instid1(VALU_DEP_4)
	v_cndmask_b32_e64 v27, v27, v49, s13
	v_cndmask_b32_e64 v26, v26, v48, s13
	s_delay_alu instid0(VALU_DEP_4) | instskip(NEXT) | instid1(VALU_DEP_4)
	v_cndmask_b32_e64 v28, v28, v68, s12
	v_cndmask_b32_e64 v29, v29, v69, s12
	s_delay_alu instid0(VALU_DEP_4) | instskip(NEXT) | instid1(VALU_DEP_4)
	v_cndmask_b32_e64 v27, v27, v69, s12
	v_cndmask_b32_e64 v26, v26, v68, s12
	s_delay_alu instid0(VALU_DEP_3) | instskip(NEXT) | instid1(VALU_DEP_2)
	v_cmp_class_f64_e64 s14, v[28:29], 0x1f8
	v_cmp_neq_f64_e64 s13, v[28:29], v[26:27]
	s_delay_alu instid0(VALU_DEP_1) | instskip(NEXT) | instid1(SALU_CYCLE_1)
	s_or_b32 s13, s13, s14
	s_and_saveexec_b32 s17, s13
	s_cbranch_execz .LBB56_286
; %bb.285:
	v_add_f64 v[28:29], v[28:29], -v[26:27]
	s_mov_b32 s14, 0x652b82fe
	s_mov_b32 s15, 0x3ff71547
	s_mov_b32 s19, 0xbfe62e42
	s_mov_b32 s18, 0xfefa39ef
	s_mov_b32 s21, 0xbc7abc9e
	s_mov_b32 s20, 0x3b39803f
	s_mov_b32 s24, 0x6a5dcb37
	s_mov_b32 s25, 0x3e5ade15
	s_mov_b32 s26, 0xbf559e2b
	s_mov_b32 s27, 0x3fc3ab76
	s_delay_alu instid0(VALU_DEP_1) | instskip(SKIP_3) | instid1(VALU_DEP_2)
	v_mul_f64 v[30:31], v[28:29], s[14:15]
	s_mov_b32 s14, 0xfca7ab0c
	s_mov_b32 s15, 0x3e928af3
	v_cmp_nlt_f64_e64 s13, 0x40900000, v[28:29]
	v_rndne_f64_e32 v[30:31], v[30:31]
	s_delay_alu instid0(VALU_DEP_1) | instskip(SKIP_1) | instid1(VALU_DEP_1)
	v_fma_f64 v[48:49], v[30:31], s[18:19], v[28:29]
	s_mov_b32 s19, 0x3fe62e42
	v_fma_f64 v[48:49], v[30:31], s[20:21], v[48:49]
	v_cvt_i32_f64_e32 v30, v[30:31]
	s_mov_b32 s21, 0x3c7abc9e
	s_delay_alu instid0(VALU_DEP_2) | instskip(SKIP_4) | instid1(VALU_DEP_1)
	v_fma_f64 v[129:130], v[48:49], s[24:25], s[14:15]
	s_mov_b32 s14, 0x623fde64
	s_mov_b32 s15, 0x3ec71dee
	;; [unrolled: 1-line block ×4, first 2 shown]
	v_fma_f64 v[129:130], v[48:49], v[129:130], s[14:15]
	s_mov_b32 s14, 0x7c89e6b0
	s_mov_b32 s15, 0x3efa0199
	s_delay_alu instid0(VALU_DEP_1) | instid1(SALU_CYCLE_1)
	v_fma_f64 v[129:130], v[48:49], v[129:130], s[14:15]
	s_mov_b32 s14, 0x14761f6e
	s_mov_b32 s15, 0x3f2a01a0
	s_delay_alu instid0(VALU_DEP_1) | instid1(SALU_CYCLE_1)
	;; [unrolled: 4-line block ×7, first 2 shown]
	v_fma_f64 v[129:130], v[48:49], v[129:130], s[14:15]
	v_cmp_ngt_f64_e64 s14, 0xc090cc00, v[28:29]
	s_mov_b32 s15, 0x3fe55555
	s_delay_alu instid0(VALU_DEP_2) | instskip(NEXT) | instid1(VALU_DEP_1)
	v_fma_f64 v[129:130], v[48:49], v[129:130], 1.0
	v_fma_f64 v[48:49], v[48:49], v[129:130], 1.0
	s_delay_alu instid0(VALU_DEP_1) | instskip(NEXT) | instid1(VALU_DEP_1)
	v_ldexp_f64 v[30:31], v[48:49], v30
	v_cndmask_b32_e64 v31, 0x7ff00000, v31, s13
	s_and_b32 s13, s14, s13
	s_delay_alu instid0(VALU_DEP_2) | instid1(SALU_CYCLE_1)
	v_cndmask_b32_e64 v28, 0, v30, s13
	s_delay_alu instid0(VALU_DEP_2) | instskip(SKIP_1) | instid1(VALU_DEP_1)
	v_cndmask_b32_e64 v29, 0, v31, s14
	s_mov_b32 s14, 0x55555555
	v_add_f64 v[30:31], v[28:29], 1.0
	s_delay_alu instid0(VALU_DEP_1) | instskip(SKIP_1) | instid1(VALU_DEP_2)
	v_add_f64 v[48:49], v[30:31], -1.0
	v_frexp_exp_i32_f64_e32 v131, v[30:31]
	v_add_f64 v[129:130], v[48:49], -v[30:31]
	v_add_f64 v[48:49], v[28:29], -v[48:49]
	s_delay_alu instid0(VALU_DEP_2) | instskip(NEXT) | instid1(VALU_DEP_1)
	v_add_f64 v[129:130], v[129:130], 1.0
	v_add_f64 v[48:49], v[48:49], v[129:130]
	v_frexp_mant_f64_e32 v[129:130], v[30:31]
	s_delay_alu instid0(VALU_DEP_1) | instskip(SKIP_1) | instid1(VALU_DEP_1)
	v_cmp_gt_f64_e64 s13, s[14:15], v[129:130]
	s_mov_b32 s14, 0x55555780
	v_subrev_co_ci_u32_e64 v162, s13, 0, v131, s13
	v_cmp_eq_f64_e64 s13, 0x7ff00000, v[28:29]
	s_delay_alu instid0(VALU_DEP_2) | instskip(NEXT) | instid1(VALU_DEP_1)
	v_sub_nc_u32_e32 v129, 0, v162
	v_ldexp_f64 v[30:31], v[30:31], v129
	v_ldexp_f64 v[48:49], v[48:49], v129
	s_delay_alu instid0(VALU_DEP_2) | instskip(NEXT) | instid1(VALU_DEP_1)
	v_add_f64 v[129:130], v[30:31], -1.0
	v_add_f64 v[131:132], v[129:130], 1.0
	s_delay_alu instid0(VALU_DEP_1) | instskip(NEXT) | instid1(VALU_DEP_1)
	v_add_f64 v[131:132], v[30:31], -v[131:132]
	v_add_f64 v[131:132], v[48:49], v[131:132]
	s_delay_alu instid0(VALU_DEP_1) | instskip(NEXT) | instid1(VALU_DEP_1)
	v_add_f64 v[133:134], v[129:130], v[131:132]
	v_add_f64 v[129:130], v[133:134], -v[129:130]
	s_delay_alu instid0(VALU_DEP_1) | instskip(SKIP_1) | instid1(VALU_DEP_1)
	v_add_f64 v[129:130], v[131:132], -v[129:130]
	v_add_f64 v[131:132], v[30:31], 1.0
	v_add_f64 v[144:145], v[131:132], -1.0
	s_delay_alu instid0(VALU_DEP_1) | instskip(NEXT) | instid1(VALU_DEP_1)
	v_add_f64 v[30:31], v[30:31], -v[144:145]
	v_add_f64 v[30:31], v[48:49], v[30:31]
	s_delay_alu instid0(VALU_DEP_1) | instskip(NEXT) | instid1(VALU_DEP_1)
	v_add_f64 v[48:49], v[131:132], v[30:31]
	v_add_f64 v[131:132], v[48:49], -v[131:132]
	s_delay_alu instid0(VALU_DEP_1) | instskip(SKIP_3) | instid1(VALU_DEP_1)
	v_add_f64 v[30:31], v[30:31], -v[131:132]
	v_rcp_f64_e32 v[131:132], v[48:49]
	s_waitcnt_depctr 0xfff
	v_fma_f64 v[144:145], -v[48:49], v[131:132], 1.0
	v_fma_f64 v[131:132], v[144:145], v[131:132], v[131:132]
	s_delay_alu instid0(VALU_DEP_1) | instskip(NEXT) | instid1(VALU_DEP_1)
	v_fma_f64 v[144:145], -v[48:49], v[131:132], 1.0
	v_fma_f64 v[131:132], v[144:145], v[131:132], v[131:132]
	s_delay_alu instid0(VALU_DEP_1) | instskip(NEXT) | instid1(VALU_DEP_1)
	v_mul_f64 v[144:145], v[133:134], v[131:132]
	v_mul_f64 v[146:147], v[48:49], v[144:145]
	s_delay_alu instid0(VALU_DEP_1) | instskip(NEXT) | instid1(VALU_DEP_1)
	v_fma_f64 v[148:149], v[144:145], v[48:49], -v[146:147]
	v_fma_f64 v[148:149], v[144:145], v[30:31], v[148:149]
	s_delay_alu instid0(VALU_DEP_1) | instskip(NEXT) | instid1(VALU_DEP_1)
	v_add_f64 v[150:151], v[146:147], v[148:149]
	v_add_f64 v[160:161], v[133:134], -v[150:151]
	v_add_f64 v[146:147], v[150:151], -v[146:147]
	s_delay_alu instid0(VALU_DEP_2) | instskip(NEXT) | instid1(VALU_DEP_1)
	v_add_f64 v[133:134], v[133:134], -v[160:161]
	v_add_f64 v[133:134], v[133:134], -v[150:151]
	s_delay_alu instid0(VALU_DEP_1) | instskip(NEXT) | instid1(VALU_DEP_4)
	v_add_f64 v[129:130], v[129:130], v[133:134]
	v_add_f64 v[133:134], v[146:147], -v[148:149]
	s_delay_alu instid0(VALU_DEP_1) | instskip(NEXT) | instid1(VALU_DEP_1)
	v_add_f64 v[129:130], v[133:134], v[129:130]
	v_add_f64 v[133:134], v[160:161], v[129:130]
	s_delay_alu instid0(VALU_DEP_1) | instskip(NEXT) | instid1(VALU_DEP_1)
	v_add_f64 v[146:147], v[160:161], -v[133:134]
	v_add_f64 v[129:130], v[129:130], v[146:147]
	v_mul_f64 v[146:147], v[131:132], v[133:134]
	s_delay_alu instid0(VALU_DEP_1) | instskip(NEXT) | instid1(VALU_DEP_1)
	v_mul_f64 v[148:149], v[48:49], v[146:147]
	v_fma_f64 v[48:49], v[146:147], v[48:49], -v[148:149]
	s_delay_alu instid0(VALU_DEP_1) | instskip(NEXT) | instid1(VALU_DEP_1)
	v_fma_f64 v[30:31], v[146:147], v[30:31], v[48:49]
	v_add_f64 v[48:49], v[148:149], v[30:31]
	s_delay_alu instid0(VALU_DEP_1) | instskip(SKIP_1) | instid1(VALU_DEP_2)
	v_add_f64 v[150:151], v[133:134], -v[48:49]
	v_add_f64 v[148:149], v[48:49], -v[148:149]
	;; [unrolled: 1-line block ×3, first 2 shown]
	s_delay_alu instid0(VALU_DEP_2) | instskip(NEXT) | instid1(VALU_DEP_2)
	v_add_f64 v[30:31], v[148:149], -v[30:31]
	v_add_f64 v[48:49], v[133:134], -v[48:49]
	v_cvt_f64_i32_e32 v[133:134], v162
	s_delay_alu instid0(VALU_DEP_2) | instskip(NEXT) | instid1(VALU_DEP_1)
	v_add_f64 v[48:49], v[129:130], v[48:49]
	v_add_f64 v[30:31], v[30:31], v[48:49]
	;; [unrolled: 1-line block ×3, first 2 shown]
	s_delay_alu instid0(VALU_DEP_2) | instskip(NEXT) | instid1(VALU_DEP_2)
	v_add_f64 v[30:31], v[150:151], v[30:31]
	v_add_f64 v[129:130], v[48:49], -v[144:145]
	v_mul_f64 v[144:145], v[133:134], s[18:19]
	s_delay_alu instid0(VALU_DEP_3) | instskip(NEXT) | instid1(VALU_DEP_3)
	v_mul_f64 v[30:31], v[131:132], v[30:31]
	v_add_f64 v[129:130], v[146:147], -v[129:130]
	s_delay_alu instid0(VALU_DEP_3) | instskip(NEXT) | instid1(VALU_DEP_2)
	v_fma_f64 v[146:147], v[133:134], s[18:19], -v[144:145]
	v_add_f64 v[30:31], v[129:130], v[30:31]
	s_delay_alu instid0(VALU_DEP_2) | instskip(NEXT) | instid1(VALU_DEP_2)
	v_fma_f64 v[133:134], v[133:134], s[20:21], v[146:147]
	v_add_f64 v[129:130], v[48:49], v[30:31]
	s_delay_alu instid0(VALU_DEP_2) | instskip(NEXT) | instid1(VALU_DEP_2)
	v_add_f64 v[146:147], v[144:145], v[133:134]
	v_add_f64 v[48:49], v[129:130], -v[48:49]
	s_delay_alu instid0(VALU_DEP_2) | instskip(NEXT) | instid1(VALU_DEP_2)
	v_add_f64 v[144:145], v[146:147], -v[144:145]
	v_add_f64 v[30:31], v[30:31], -v[48:49]
	v_mul_f64 v[48:49], v[129:130], v[129:130]
	s_delay_alu instid0(VALU_DEP_3) | instskip(SKIP_1) | instid1(VALU_DEP_4)
	v_add_f64 v[133:134], v[133:134], -v[144:145]
	v_ldexp_f64 v[144:145], v[129:130], 1
	v_ldexp_f64 v[30:31], v[30:31], 1
	s_delay_alu instid0(VALU_DEP_4)
	v_fma_f64 v[131:132], v[48:49], s[26:27], s[24:25]
	s_mov_b32 s24, 0xd7f4df2e
	s_mov_b32 s25, 0x3fc7474d
	s_delay_alu instid0(VALU_DEP_1) | instid1(SALU_CYCLE_1)
	v_fma_f64 v[131:132], v[48:49], v[131:132], s[24:25]
	s_mov_b32 s24, 0x16291751
	s_mov_b32 s25, 0x3fcc71c0
	s_delay_alu instid0(VALU_DEP_1) | instid1(SALU_CYCLE_1)
	;; [unrolled: 4-line block ×4, first 2 shown]
	v_fma_f64 v[131:132], v[48:49], v[131:132], s[24:25]
	s_delay_alu instid0(VALU_DEP_1) | instskip(SKIP_1) | instid1(VALU_DEP_1)
	v_fma_f64 v[131:132], v[48:49], v[131:132], s[14:15]
	v_mul_f64 v[48:49], v[129:130], v[48:49]
	v_mul_f64 v[48:49], v[48:49], v[131:132]
	s_delay_alu instid0(VALU_DEP_1) | instskip(NEXT) | instid1(VALU_DEP_1)
	v_add_f64 v[129:130], v[144:145], v[48:49]
	v_add_f64 v[131:132], v[129:130], -v[144:145]
	s_delay_alu instid0(VALU_DEP_1) | instskip(NEXT) | instid1(VALU_DEP_1)
	v_add_f64 v[48:49], v[48:49], -v[131:132]
	v_add_f64 v[30:31], v[30:31], v[48:49]
	s_delay_alu instid0(VALU_DEP_1) | instskip(NEXT) | instid1(VALU_DEP_1)
	v_add_f64 v[48:49], v[129:130], v[30:31]
	v_add_f64 v[129:130], v[48:49], -v[129:130]
	s_delay_alu instid0(VALU_DEP_1) | instskip(SKIP_1) | instid1(VALU_DEP_1)
	v_add_f64 v[30:31], v[30:31], -v[129:130]
	v_add_f64 v[129:130], v[146:147], v[48:49]
	v_add_f64 v[131:132], v[129:130], -v[146:147]
	s_delay_alu instid0(VALU_DEP_1) | instskip(SKIP_2) | instid1(VALU_DEP_3)
	v_add_f64 v[144:145], v[129:130], -v[131:132]
	v_add_f64 v[48:49], v[48:49], -v[131:132]
	v_add_f64 v[131:132], v[133:134], v[30:31]
	v_add_f64 v[144:145], v[146:147], -v[144:145]
	s_delay_alu instid0(VALU_DEP_1) | instskip(NEXT) | instid1(VALU_DEP_3)
	v_add_f64 v[48:49], v[48:49], v[144:145]
	v_add_f64 v[144:145], v[131:132], -v[133:134]
	s_delay_alu instid0(VALU_DEP_2) | instskip(NEXT) | instid1(VALU_DEP_2)
	v_add_f64 v[48:49], v[131:132], v[48:49]
	v_add_f64 v[146:147], v[131:132], -v[144:145]
	v_add_f64 v[30:31], v[30:31], -v[144:145]
	s_delay_alu instid0(VALU_DEP_3) | instskip(NEXT) | instid1(VALU_DEP_3)
	v_add_f64 v[131:132], v[129:130], v[48:49]
	v_add_f64 v[133:134], v[133:134], -v[146:147]
	s_delay_alu instid0(VALU_DEP_2) | instskip(NEXT) | instid1(VALU_DEP_2)
	v_add_f64 v[129:130], v[131:132], -v[129:130]
	v_add_f64 v[30:31], v[30:31], v[133:134]
	s_delay_alu instid0(VALU_DEP_2) | instskip(NEXT) | instid1(VALU_DEP_1)
	v_add_f64 v[48:49], v[48:49], -v[129:130]
	v_add_f64 v[30:31], v[30:31], v[48:49]
	s_delay_alu instid0(VALU_DEP_1) | instskip(NEXT) | instid1(VALU_DEP_1)
	v_add_f64 v[30:31], v[131:132], v[30:31]
	v_cndmask_b32_e64 v30, v30, v28, s13
	s_delay_alu instid0(VALU_DEP_2) | instskip(SKIP_1) | instid1(VALU_DEP_1)
	v_cndmask_b32_e64 v31, v31, v29, s13
	v_cmp_ngt_f64_e64 s13, -1.0, v[28:29]
	v_cndmask_b32_e64 v31, 0x7ff80000, v31, s13
	v_cmp_nge_f64_e64 s13, -1.0, v[28:29]
	s_delay_alu instid0(VALU_DEP_1) | instskip(SKIP_1) | instid1(VALU_DEP_1)
	v_cndmask_b32_e64 v30, 0, v30, s13
	v_cmp_neq_f64_e64 s13, -1.0, v[28:29]
	v_cndmask_b32_e64 v31, 0xfff00000, v31, s13
	s_delay_alu instid0(VALU_DEP_1)
	v_add_f64 v[48:49], v[26:27], v[30:31]
.LBB56_286:
	s_or_b32 exec_lo, exec_lo, s17
	v_max_f64 v[26:27], v[70:71], v[70:71]
	s_delay_alu instid0(VALU_DEP_2) | instskip(SKIP_2) | instid1(VALU_DEP_3)
	v_max_f64 v[28:29], v[48:49], v[48:49]
	v_cmp_u_f64_e64 s14, v[48:49], v[48:49]
	v_cmp_u_f64_e64 s13, v[70:71], v[70:71]
	v_min_f64 v[30:31], v[28:29], v[26:27]
	v_max_f64 v[28:29], v[28:29], v[26:27]
	s_delay_alu instid0(VALU_DEP_2) | instskip(NEXT) | instid1(VALU_DEP_3)
	v_cndmask_b32_e64 v30, v30, v48, s14
	v_cndmask_b32_e64 v31, v31, v49, s14
	s_delay_alu instid0(VALU_DEP_3) | instskip(NEXT) | instid1(VALU_DEP_4)
	v_cndmask_b32_e64 v29, v29, v49, s14
	v_cndmask_b32_e64 v28, v28, v48, s14
	s_delay_alu instid0(VALU_DEP_4) | instskip(NEXT) | instid1(VALU_DEP_4)
	v_cndmask_b32_e64 v30, v30, v70, s13
	v_cndmask_b32_e64 v31, v31, v71, s13
	s_delay_alu instid0(VALU_DEP_4) | instskip(NEXT) | instid1(VALU_DEP_4)
	v_cndmask_b32_e64 v29, v29, v71, s13
	v_cndmask_b32_e64 v28, v28, v70, s13
	s_delay_alu instid0(VALU_DEP_3) | instskip(NEXT) | instid1(VALU_DEP_2)
	v_cmp_class_f64_e64 s15, v[30:31], 0x1f8
	v_cmp_neq_f64_e64 s14, v[30:31], v[28:29]
	s_delay_alu instid0(VALU_DEP_1) | instskip(NEXT) | instid1(SALU_CYCLE_1)
	s_or_b32 s14, s14, s15
	s_and_saveexec_b32 s17, s14
	s_cbranch_execz .LBB56_288
; %bb.287:
	v_add_f64 v[30:31], v[30:31], -v[28:29]
	s_mov_b32 s14, 0x652b82fe
	s_mov_b32 s15, 0x3ff71547
	;; [unrolled: 1-line block ×10, first 2 shown]
	s_delay_alu instid0(VALU_DEP_1) | instskip(SKIP_2) | instid1(VALU_DEP_1)
	v_mul_f64 v[48:49], v[30:31], s[14:15]
	s_mov_b32 s14, 0xfca7ab0c
	s_mov_b32 s15, 0x3e928af3
	v_rndne_f64_e32 v[48:49], v[48:49]
	s_delay_alu instid0(VALU_DEP_1) | instskip(SKIP_2) | instid1(VALU_DEP_2)
	v_fma_f64 v[129:130], v[48:49], s[18:19], v[30:31]
	v_cvt_i32_f64_e32 v133, v[48:49]
	s_mov_b32 s19, 0x3fe62e42
	v_fma_f64 v[129:130], v[48:49], s[20:21], v[129:130]
	s_mov_b32 s21, 0x3c7abc9e
	s_delay_alu instid0(VALU_DEP_1) | instskip(SKIP_4) | instid1(VALU_DEP_1)
	v_fma_f64 v[131:132], v[129:130], s[24:25], s[14:15]
	s_mov_b32 s14, 0x623fde64
	s_mov_b32 s15, 0x3ec71dee
	;; [unrolled: 1-line block ×4, first 2 shown]
	v_fma_f64 v[131:132], v[129:130], v[131:132], s[14:15]
	s_mov_b32 s14, 0x7c89e6b0
	s_mov_b32 s15, 0x3efa0199
	s_delay_alu instid0(VALU_DEP_1) | instid1(SALU_CYCLE_1)
	v_fma_f64 v[131:132], v[129:130], v[131:132], s[14:15]
	s_mov_b32 s14, 0x14761f6e
	s_mov_b32 s15, 0x3f2a01a0
	s_delay_alu instid0(VALU_DEP_1) | instid1(SALU_CYCLE_1)
	;; [unrolled: 4-line block ×7, first 2 shown]
	v_fma_f64 v[131:132], v[129:130], v[131:132], s[14:15]
	v_cmp_nlt_f64_e64 s14, 0x40900000, v[30:31]
	v_cmp_ngt_f64_e64 s15, 0xc090cc00, v[30:31]
	s_delay_alu instid0(VALU_DEP_3) | instskip(NEXT) | instid1(VALU_DEP_1)
	v_fma_f64 v[131:132], v[129:130], v[131:132], 1.0
	v_fma_f64 v[48:49], v[129:130], v[131:132], 1.0
	s_delay_alu instid0(VALU_DEP_1) | instskip(NEXT) | instid1(VALU_DEP_1)
	v_ldexp_f64 v[48:49], v[48:49], v133
	v_cndmask_b32_e64 v49, 0x7ff00000, v49, s14
	s_and_b32 s14, s15, s14
	s_delay_alu instid0(VALU_DEP_2) | instid1(SALU_CYCLE_1)
	v_cndmask_b32_e64 v30, 0, v48, s14
	s_mov_b32 s14, 0x55555555
	s_delay_alu instid0(VALU_DEP_2) | instskip(SKIP_1) | instid1(VALU_DEP_1)
	v_cndmask_b32_e64 v31, 0, v49, s15
	s_mov_b32 s15, 0x3fe55555
	v_add_f64 v[48:49], v[30:31], 1.0
	s_delay_alu instid0(VALU_DEP_1) | instskip(SKIP_2) | instid1(VALU_DEP_3)
	v_frexp_mant_f64_e32 v[129:130], v[48:49]
	v_frexp_exp_i32_f64_e32 v133, v[48:49]
	v_add_f64 v[131:132], v[48:49], -1.0
	v_cmp_gt_f64_e64 s14, s[14:15], v[129:130]
	s_delay_alu instid0(VALU_DEP_2) | instskip(SKIP_1) | instid1(VALU_DEP_3)
	v_add_f64 v[129:130], v[131:132], -v[48:49]
	v_add_f64 v[131:132], v[30:31], -v[131:132]
	v_subrev_co_ci_u32_e64 v166, s14, 0, v133, s14
	s_delay_alu instid0(VALU_DEP_3) | instskip(SKIP_1) | instid1(VALU_DEP_2)
	v_add_f64 v[129:130], v[129:130], 1.0
	s_mov_b32 s14, 0x55555780
	v_sub_nc_u32_e32 v144, 0, v166
	s_delay_alu instid0(VALU_DEP_1) | instskip(NEXT) | instid1(VALU_DEP_3)
	v_ldexp_f64 v[48:49], v[48:49], v144
	v_add_f64 v[129:130], v[131:132], v[129:130]
	s_delay_alu instid0(VALU_DEP_2) | instskip(SKIP_1) | instid1(VALU_DEP_3)
	v_add_f64 v[133:134], v[48:49], 1.0
	v_add_f64 v[148:149], v[48:49], -1.0
	v_ldexp_f64 v[129:130], v[129:130], v144
	s_delay_alu instid0(VALU_DEP_3) | instskip(NEXT) | instid1(VALU_DEP_3)
	v_add_f64 v[131:132], v[133:134], -1.0
	v_add_f64 v[150:151], v[148:149], 1.0
	s_delay_alu instid0(VALU_DEP_2) | instskip(NEXT) | instid1(VALU_DEP_2)
	v_add_f64 v[131:132], v[48:49], -v[131:132]
	v_add_f64 v[48:49], v[48:49], -v[150:151]
	s_delay_alu instid0(VALU_DEP_2) | instskip(NEXT) | instid1(VALU_DEP_2)
	v_add_f64 v[131:132], v[129:130], v[131:132]
	v_add_f64 v[48:49], v[129:130], v[48:49]
	s_delay_alu instid0(VALU_DEP_2) | instskip(NEXT) | instid1(VALU_DEP_2)
	v_add_f64 v[144:145], v[133:134], v[131:132]
	v_add_f64 v[150:151], v[148:149], v[48:49]
	s_delay_alu instid0(VALU_DEP_2) | instskip(SKIP_1) | instid1(VALU_DEP_2)
	v_rcp_f64_e32 v[146:147], v[144:145]
	v_add_f64 v[133:134], v[144:145], -v[133:134]
	v_add_f64 v[148:149], v[150:151], -v[148:149]
	s_delay_alu instid0(VALU_DEP_2) | instskip(SKIP_3) | instid1(VALU_DEP_2)
	v_add_f64 v[131:132], v[131:132], -v[133:134]
	s_waitcnt_depctr 0xfff
	v_fma_f64 v[160:161], -v[144:145], v[146:147], 1.0
	v_add_f64 v[48:49], v[48:49], -v[148:149]
	v_fma_f64 v[146:147], v[160:161], v[146:147], v[146:147]
	s_delay_alu instid0(VALU_DEP_1) | instskip(NEXT) | instid1(VALU_DEP_1)
	v_fma_f64 v[129:130], -v[144:145], v[146:147], 1.0
	v_fma_f64 v[129:130], v[129:130], v[146:147], v[146:147]
	s_delay_alu instid0(VALU_DEP_1) | instskip(NEXT) | instid1(VALU_DEP_1)
	v_mul_f64 v[146:147], v[150:151], v[129:130]
	v_mul_f64 v[160:161], v[144:145], v[146:147]
	s_delay_alu instid0(VALU_DEP_1) | instskip(NEXT) | instid1(VALU_DEP_1)
	v_fma_f64 v[133:134], v[146:147], v[144:145], -v[160:161]
	v_fma_f64 v[133:134], v[146:147], v[131:132], v[133:134]
	s_delay_alu instid0(VALU_DEP_1) | instskip(NEXT) | instid1(VALU_DEP_1)
	v_add_f64 v[162:163], v[160:161], v[133:134]
	v_add_f64 v[164:165], v[150:151], -v[162:163]
	v_add_f64 v[148:149], v[162:163], -v[160:161]
	s_delay_alu instid0(VALU_DEP_2) | instskip(NEXT) | instid1(VALU_DEP_2)
	v_add_f64 v[150:151], v[150:151], -v[164:165]
	v_add_f64 v[133:134], v[148:149], -v[133:134]
	s_delay_alu instid0(VALU_DEP_2) | instskip(NEXT) | instid1(VALU_DEP_1)
	v_add_f64 v[150:151], v[150:151], -v[162:163]
	v_add_f64 v[48:49], v[48:49], v[150:151]
	s_delay_alu instid0(VALU_DEP_1) | instskip(NEXT) | instid1(VALU_DEP_1)
	v_add_f64 v[48:49], v[133:134], v[48:49]
	v_add_f64 v[133:134], v[164:165], v[48:49]
	s_delay_alu instid0(VALU_DEP_1) | instskip(SKIP_1) | instid1(VALU_DEP_2)
	v_mul_f64 v[148:149], v[129:130], v[133:134]
	v_add_f64 v[162:163], v[164:165], -v[133:134]
	v_mul_f64 v[150:151], v[144:145], v[148:149]
	s_delay_alu instid0(VALU_DEP_2) | instskip(NEXT) | instid1(VALU_DEP_2)
	v_add_f64 v[48:49], v[48:49], v[162:163]
	v_fma_f64 v[144:145], v[148:149], v[144:145], -v[150:151]
	s_delay_alu instid0(VALU_DEP_1) | instskip(NEXT) | instid1(VALU_DEP_1)
	v_fma_f64 v[131:132], v[148:149], v[131:132], v[144:145]
	v_add_f64 v[144:145], v[150:151], v[131:132]
	s_delay_alu instid0(VALU_DEP_1) | instskip(SKIP_1) | instid1(VALU_DEP_2)
	v_add_f64 v[160:161], v[133:134], -v[144:145]
	v_add_f64 v[150:151], v[144:145], -v[150:151]
	;; [unrolled: 1-line block ×3, first 2 shown]
	s_delay_alu instid0(VALU_DEP_2) | instskip(NEXT) | instid1(VALU_DEP_2)
	v_add_f64 v[131:132], v[150:151], -v[131:132]
	v_add_f64 v[133:134], v[133:134], -v[144:145]
	s_delay_alu instid0(VALU_DEP_1) | instskip(SKIP_1) | instid1(VALU_DEP_2)
	v_add_f64 v[48:49], v[48:49], v[133:134]
	v_add_f64 v[133:134], v[146:147], v[148:149]
	;; [unrolled: 1-line block ×3, first 2 shown]
	s_delay_alu instid0(VALU_DEP_2) | instskip(NEXT) | instid1(VALU_DEP_2)
	v_add_f64 v[131:132], v[133:134], -v[146:147]
	v_add_f64 v[48:49], v[160:161], v[48:49]
	s_delay_alu instid0(VALU_DEP_2) | instskip(NEXT) | instid1(VALU_DEP_2)
	v_add_f64 v[131:132], v[148:149], -v[131:132]
	v_mul_f64 v[48:49], v[129:130], v[48:49]
	s_delay_alu instid0(VALU_DEP_1) | instskip(NEXT) | instid1(VALU_DEP_1)
	v_add_f64 v[48:49], v[131:132], v[48:49]
	v_add_f64 v[129:130], v[133:134], v[48:49]
	s_delay_alu instid0(VALU_DEP_1) | instskip(NEXT) | instid1(VALU_DEP_1)
	v_mul_f64 v[131:132], v[129:130], v[129:130]
	v_fma_f64 v[144:145], v[131:132], s[26:27], s[24:25]
	s_mov_b32 s24, 0xd7f4df2e
	s_mov_b32 s25, 0x3fc7474d
	v_mul_f64 v[146:147], v[129:130], v[131:132]
	s_delay_alu instid0(VALU_DEP_2)
	v_fma_f64 v[144:145], v[131:132], v[144:145], s[24:25]
	s_mov_b32 s24, 0x16291751
	s_mov_b32 s25, 0x3fcc71c0
	s_delay_alu instid0(VALU_DEP_1) | instid1(SALU_CYCLE_1)
	v_fma_f64 v[144:145], v[131:132], v[144:145], s[24:25]
	s_mov_b32 s24, 0x9b27acf1
	s_mov_b32 s25, 0x3fd24924
	s_delay_alu instid0(VALU_DEP_1) | instid1(SALU_CYCLE_1)
	;; [unrolled: 4-line block ×3, first 2 shown]
	v_fma_f64 v[144:145], v[131:132], v[144:145], s[24:25]
	s_delay_alu instid0(VALU_DEP_1) | instskip(SKIP_3) | instid1(VALU_DEP_4)
	v_fma_f64 v[131:132], v[131:132], v[144:145], s[14:15]
	v_ldexp_f64 v[144:145], v[129:130], 1
	v_add_f64 v[129:130], v[129:130], -v[133:134]
	v_cmp_eq_f64_e64 s14, 0x7ff00000, v[30:31]
	v_mul_f64 v[131:132], v[146:147], v[131:132]
	v_cvt_f64_i32_e32 v[146:147], v166
	s_delay_alu instid0(VALU_DEP_4) | instskip(NEXT) | instid1(VALU_DEP_3)
	v_add_f64 v[48:49], v[48:49], -v[129:130]
	v_add_f64 v[133:134], v[144:145], v[131:132]
	s_delay_alu instid0(VALU_DEP_3) | instskip(NEXT) | instid1(VALU_DEP_3)
	v_mul_f64 v[148:149], v[146:147], s[18:19]
	v_ldexp_f64 v[48:49], v[48:49], 1
	s_delay_alu instid0(VALU_DEP_3) | instskip(NEXT) | instid1(VALU_DEP_3)
	v_add_f64 v[129:130], v[133:134], -v[144:145]
	v_fma_f64 v[144:145], v[146:147], s[18:19], -v[148:149]
	s_delay_alu instid0(VALU_DEP_2) | instskip(NEXT) | instid1(VALU_DEP_2)
	v_add_f64 v[129:130], v[131:132], -v[129:130]
	v_fma_f64 v[131:132], v[146:147], s[20:21], v[144:145]
	s_delay_alu instid0(VALU_DEP_2) | instskip(NEXT) | instid1(VALU_DEP_2)
	v_add_f64 v[48:49], v[48:49], v[129:130]
	v_add_f64 v[129:130], v[148:149], v[131:132]
	s_delay_alu instid0(VALU_DEP_2) | instskip(NEXT) | instid1(VALU_DEP_2)
	v_add_f64 v[144:145], v[133:134], v[48:49]
	v_add_f64 v[148:149], v[129:130], -v[148:149]
	s_delay_alu instid0(VALU_DEP_2) | instskip(SKIP_1) | instid1(VALU_DEP_3)
	v_add_f64 v[146:147], v[129:130], v[144:145]
	v_add_f64 v[133:134], v[144:145], -v[133:134]
	v_add_f64 v[131:132], v[131:132], -v[148:149]
	s_delay_alu instid0(VALU_DEP_3) | instskip(NEXT) | instid1(VALU_DEP_3)
	v_add_f64 v[150:151], v[146:147], -v[129:130]
	v_add_f64 v[48:49], v[48:49], -v[133:134]
	s_delay_alu instid0(VALU_DEP_2) | instskip(SKIP_1) | instid1(VALU_DEP_3)
	v_add_f64 v[160:161], v[146:147], -v[150:151]
	v_add_f64 v[133:134], v[144:145], -v[150:151]
	v_add_f64 v[144:145], v[131:132], v[48:49]
	s_delay_alu instid0(VALU_DEP_3) | instskip(NEXT) | instid1(VALU_DEP_1)
	v_add_f64 v[129:130], v[129:130], -v[160:161]
	v_add_f64 v[129:130], v[133:134], v[129:130]
	s_delay_alu instid0(VALU_DEP_3) | instskip(NEXT) | instid1(VALU_DEP_2)
	v_add_f64 v[133:134], v[144:145], -v[131:132]
	v_add_f64 v[129:130], v[144:145], v[129:130]
	s_delay_alu instid0(VALU_DEP_2) | instskip(SKIP_1) | instid1(VALU_DEP_3)
	v_add_f64 v[144:145], v[144:145], -v[133:134]
	v_add_f64 v[48:49], v[48:49], -v[133:134]
	v_add_f64 v[148:149], v[146:147], v[129:130]
	s_delay_alu instid0(VALU_DEP_3) | instskip(NEXT) | instid1(VALU_DEP_2)
	v_add_f64 v[131:132], v[131:132], -v[144:145]
	v_add_f64 v[133:134], v[148:149], -v[146:147]
	s_delay_alu instid0(VALU_DEP_2) | instskip(NEXT) | instid1(VALU_DEP_2)
	v_add_f64 v[48:49], v[48:49], v[131:132]
	v_add_f64 v[129:130], v[129:130], -v[133:134]
	s_delay_alu instid0(VALU_DEP_1) | instskip(NEXT) | instid1(VALU_DEP_1)
	v_add_f64 v[48:49], v[48:49], v[129:130]
	v_add_f64 v[48:49], v[148:149], v[48:49]
	s_delay_alu instid0(VALU_DEP_1) | instskip(NEXT) | instid1(VALU_DEP_2)
	v_cndmask_b32_e64 v48, v48, v30, s14
	v_cndmask_b32_e64 v49, v49, v31, s14
	v_cmp_ngt_f64_e64 s14, -1.0, v[30:31]
	s_delay_alu instid0(VALU_DEP_1) | instskip(SKIP_1) | instid1(VALU_DEP_1)
	v_cndmask_b32_e64 v49, 0x7ff80000, v49, s14
	v_cmp_nge_f64_e64 s14, -1.0, v[30:31]
	v_cndmask_b32_e64 v48, 0, v48, s14
	v_cmp_neq_f64_e64 s14, -1.0, v[30:31]
	s_delay_alu instid0(VALU_DEP_1) | instskip(NEXT) | instid1(VALU_DEP_1)
	v_cndmask_b32_e64 v49, 0xfff00000, v49, s14
	v_add_f64 v[48:49], v[28:29], v[48:49]
.LBB56_288:
	s_or_b32 exec_lo, exec_lo, s17
	v_max_f64 v[28:29], v[64:65], v[64:65]
	s_delay_alu instid0(VALU_DEP_2) | instskip(SKIP_2) | instid1(VALU_DEP_3)
	v_max_f64 v[30:31], v[48:49], v[48:49]
	v_cmp_u_f64_e64 s15, v[48:49], v[48:49]
	v_cmp_u_f64_e64 s14, v[64:65], v[64:65]
	v_min_f64 v[129:130], v[30:31], v[28:29]
	v_max_f64 v[30:31], v[30:31], v[28:29]
	s_delay_alu instid0(VALU_DEP_2) | instskip(NEXT) | instid1(VALU_DEP_3)
	v_cndmask_b32_e64 v129, v129, v48, s15
	v_cndmask_b32_e64 v130, v130, v49, s15
	s_delay_alu instid0(VALU_DEP_3) | instskip(NEXT) | instid1(VALU_DEP_4)
	v_cndmask_b32_e64 v31, v31, v49, s15
	v_cndmask_b32_e64 v30, v30, v48, s15
	s_delay_alu instid0(VALU_DEP_4) | instskip(NEXT) | instid1(VALU_DEP_4)
	v_cndmask_b32_e64 v129, v129, v64, s14
	v_cndmask_b32_e64 v130, v130, v65, s14
	s_delay_alu instid0(VALU_DEP_4) | instskip(NEXT) | instid1(VALU_DEP_4)
	v_cndmask_b32_e64 v31, v31, v65, s14
	v_cndmask_b32_e64 v30, v30, v64, s14
	s_delay_alu instid0(VALU_DEP_3) | instskip(NEXT) | instid1(VALU_DEP_2)
	v_cmp_class_f64_e64 s17, v[129:130], 0x1f8
	v_cmp_neq_f64_e64 s15, v[129:130], v[30:31]
	s_delay_alu instid0(VALU_DEP_1) | instskip(NEXT) | instid1(SALU_CYCLE_1)
	s_or_b32 s15, s15, s17
	s_and_saveexec_b32 s26, s15
	s_cbranch_execz .LBB56_290
; %bb.289:
	v_add_f64 v[48:49], v[129:130], -v[30:31]
	s_mov_b32 s18, 0x652b82fe
	s_mov_b32 s19, 0x3ff71547
	;; [unrolled: 1-line block ×10, first 2 shown]
	s_delay_alu instid0(VALU_DEP_1) | instskip(SKIP_4) | instid1(VALU_DEP_3)
	v_mul_f64 v[129:130], v[48:49], s[18:19]
	s_mov_b32 s19, 0xbfe62e42
	s_mov_b32 s18, 0xfefa39ef
	v_cmp_nlt_f64_e64 s15, 0x40900000, v[48:49]
	v_cmp_ngt_f64_e64 s17, 0xc090cc00, v[48:49]
	v_rndne_f64_e32 v[129:130], v[129:130]
	s_delay_alu instid0(VALU_DEP_1) | instskip(SKIP_2) | instid1(VALU_DEP_2)
	v_fma_f64 v[131:132], v[129:130], s[18:19], v[48:49]
	v_cvt_i32_f64_e32 v144, v[129:130]
	s_mov_b32 s19, 0x3fe62e42
	v_fma_f64 v[131:132], v[129:130], s[20:21], v[131:132]
	s_mov_b32 s21, 0x3c7abc9e
	s_delay_alu instid0(VALU_DEP_1) | instskip(SKIP_4) | instid1(VALU_DEP_1)
	v_fma_f64 v[133:134], v[131:132], s[28:29], s[24:25]
	s_mov_b32 s24, 0x623fde64
	s_mov_b32 s25, 0x3ec71dee
	;; [unrolled: 1-line block ×4, first 2 shown]
	v_fma_f64 v[133:134], v[131:132], v[133:134], s[24:25]
	s_mov_b32 s24, 0x7c89e6b0
	s_mov_b32 s25, 0x3efa0199
	s_delay_alu instid0(VALU_DEP_1) | instid1(SALU_CYCLE_1)
	v_fma_f64 v[133:134], v[131:132], v[133:134], s[24:25]
	s_mov_b32 s24, 0x14761f6e
	s_mov_b32 s25, 0x3f2a01a0
	s_delay_alu instid0(VALU_DEP_1) | instid1(SALU_CYCLE_1)
	;; [unrolled: 4-line block ×7, first 2 shown]
	v_fma_f64 v[133:134], v[131:132], v[133:134], s[24:25]
	s_mov_b32 s25, 0x3fe55555
	s_mov_b32 s24, 0x55555555
	s_delay_alu instid0(VALU_DEP_1) | instskip(NEXT) | instid1(VALU_DEP_1)
	v_fma_f64 v[133:134], v[131:132], v[133:134], 1.0
	v_fma_f64 v[129:130], v[131:132], v[133:134], 1.0
	s_delay_alu instid0(VALU_DEP_1) | instskip(NEXT) | instid1(VALU_DEP_1)
	v_ldexp_f64 v[129:130], v[129:130], v144
	v_cndmask_b32_e64 v130, 0x7ff00000, v130, s15
	s_and_b32 s15, s17, s15
	s_delay_alu instid0(VALU_DEP_2) | instid1(SALU_CYCLE_1)
	v_cndmask_b32_e64 v48, 0, v129, s15
	s_delay_alu instid0(VALU_DEP_2) | instskip(NEXT) | instid1(VALU_DEP_1)
	v_cndmask_b32_e64 v49, 0, v130, s17
	v_add_f64 v[129:130], v[48:49], 1.0
	s_delay_alu instid0(VALU_DEP_1) | instskip(SKIP_2) | instid1(VALU_DEP_3)
	v_frexp_mant_f64_e32 v[131:132], v[129:130]
	v_frexp_exp_i32_f64_e32 v144, v[129:130]
	v_add_f64 v[133:134], v[129:130], -1.0
	v_cmp_gt_f64_e64 s15, s[24:25], v[131:132]
	s_mov_b32 s24, 0x55555780
	s_delay_alu instid0(VALU_DEP_2) | instskip(SKIP_1) | instid1(VALU_DEP_3)
	v_add_f64 v[131:132], v[133:134], -v[129:130]
	v_add_f64 v[133:134], v[48:49], -v[133:134]
	v_subrev_co_ci_u32_e64 v166, s15, 0, v144, s15
	s_delay_alu instid0(VALU_DEP_3) | instskip(SKIP_1) | instid1(VALU_DEP_3)
	v_add_f64 v[131:132], v[131:132], 1.0
	v_cmp_eq_f64_e64 s15, 0x7ff00000, v[48:49]
	v_sub_nc_u32_e32 v146, 0, v166
	s_delay_alu instid0(VALU_DEP_1) | instskip(NEXT) | instid1(VALU_DEP_4)
	v_ldexp_f64 v[129:130], v[129:130], v146
	v_add_f64 v[131:132], v[133:134], v[131:132]
	s_delay_alu instid0(VALU_DEP_2) | instskip(SKIP_1) | instid1(VALU_DEP_3)
	v_add_f64 v[144:145], v[129:130], 1.0
	v_add_f64 v[150:151], v[129:130], -1.0
	v_ldexp_f64 v[131:132], v[131:132], v146
	s_delay_alu instid0(VALU_DEP_3) | instskip(NEXT) | instid1(VALU_DEP_3)
	v_add_f64 v[133:134], v[144:145], -1.0
	v_add_f64 v[160:161], v[150:151], 1.0
	s_delay_alu instid0(VALU_DEP_2) | instskip(NEXT) | instid1(VALU_DEP_2)
	v_add_f64 v[133:134], v[129:130], -v[133:134]
	v_add_f64 v[129:130], v[129:130], -v[160:161]
	s_delay_alu instid0(VALU_DEP_2) | instskip(NEXT) | instid1(VALU_DEP_2)
	v_add_f64 v[133:134], v[131:132], v[133:134]
	v_add_f64 v[129:130], v[131:132], v[129:130]
	s_delay_alu instid0(VALU_DEP_2) | instskip(NEXT) | instid1(VALU_DEP_2)
	v_add_f64 v[146:147], v[144:145], v[133:134]
	v_add_f64 v[160:161], v[150:151], v[129:130]
	s_delay_alu instid0(VALU_DEP_2) | instskip(SKIP_1) | instid1(VALU_DEP_2)
	v_rcp_f64_e32 v[148:149], v[146:147]
	v_add_f64 v[144:145], v[146:147], -v[144:145]
	v_add_f64 v[150:151], v[160:161], -v[150:151]
	s_delay_alu instid0(VALU_DEP_2) | instskip(SKIP_3) | instid1(VALU_DEP_2)
	v_add_f64 v[133:134], v[133:134], -v[144:145]
	s_waitcnt_depctr 0xfff
	v_fma_f64 v[162:163], -v[146:147], v[148:149], 1.0
	v_add_f64 v[129:130], v[129:130], -v[150:151]
	v_fma_f64 v[148:149], v[162:163], v[148:149], v[148:149]
	s_delay_alu instid0(VALU_DEP_1) | instskip(NEXT) | instid1(VALU_DEP_1)
	v_fma_f64 v[131:132], -v[146:147], v[148:149], 1.0
	v_fma_f64 v[131:132], v[131:132], v[148:149], v[148:149]
	s_delay_alu instid0(VALU_DEP_1) | instskip(NEXT) | instid1(VALU_DEP_1)
	v_mul_f64 v[148:149], v[160:161], v[131:132]
	v_mul_f64 v[162:163], v[146:147], v[148:149]
	s_delay_alu instid0(VALU_DEP_1) | instskip(NEXT) | instid1(VALU_DEP_1)
	v_fma_f64 v[144:145], v[148:149], v[146:147], -v[162:163]
	v_fma_f64 v[144:145], v[148:149], v[133:134], v[144:145]
	s_delay_alu instid0(VALU_DEP_1) | instskip(NEXT) | instid1(VALU_DEP_1)
	v_add_f64 v[164:165], v[162:163], v[144:145]
	v_add_f64 v[209:210], v[160:161], -v[164:165]
	v_add_f64 v[150:151], v[164:165], -v[162:163]
	s_delay_alu instid0(VALU_DEP_2) | instskip(NEXT) | instid1(VALU_DEP_2)
	v_add_f64 v[160:161], v[160:161], -v[209:210]
	v_add_f64 v[144:145], v[150:151], -v[144:145]
	s_delay_alu instid0(VALU_DEP_2) | instskip(NEXT) | instid1(VALU_DEP_1)
	v_add_f64 v[160:161], v[160:161], -v[164:165]
	v_add_f64 v[129:130], v[129:130], v[160:161]
	s_delay_alu instid0(VALU_DEP_1) | instskip(NEXT) | instid1(VALU_DEP_1)
	v_add_f64 v[129:130], v[144:145], v[129:130]
	v_add_f64 v[144:145], v[209:210], v[129:130]
	s_delay_alu instid0(VALU_DEP_1) | instskip(SKIP_1) | instid1(VALU_DEP_2)
	v_mul_f64 v[150:151], v[131:132], v[144:145]
	v_add_f64 v[164:165], v[209:210], -v[144:145]
	v_mul_f64 v[160:161], v[146:147], v[150:151]
	s_delay_alu instid0(VALU_DEP_2) | instskip(NEXT) | instid1(VALU_DEP_2)
	v_add_f64 v[129:130], v[129:130], v[164:165]
	v_fma_f64 v[146:147], v[150:151], v[146:147], -v[160:161]
	s_delay_alu instid0(VALU_DEP_1) | instskip(NEXT) | instid1(VALU_DEP_1)
	v_fma_f64 v[133:134], v[150:151], v[133:134], v[146:147]
	v_add_f64 v[146:147], v[160:161], v[133:134]
	s_delay_alu instid0(VALU_DEP_1) | instskip(SKIP_1) | instid1(VALU_DEP_2)
	v_add_f64 v[162:163], v[144:145], -v[146:147]
	v_add_f64 v[160:161], v[146:147], -v[160:161]
	;; [unrolled: 1-line block ×3, first 2 shown]
	s_delay_alu instid0(VALU_DEP_2) | instskip(NEXT) | instid1(VALU_DEP_2)
	v_add_f64 v[133:134], v[160:161], -v[133:134]
	v_add_f64 v[144:145], v[144:145], -v[146:147]
	s_delay_alu instid0(VALU_DEP_1) | instskip(SKIP_1) | instid1(VALU_DEP_2)
	v_add_f64 v[129:130], v[129:130], v[144:145]
	v_add_f64 v[144:145], v[148:149], v[150:151]
	;; [unrolled: 1-line block ×3, first 2 shown]
	s_delay_alu instid0(VALU_DEP_2) | instskip(NEXT) | instid1(VALU_DEP_2)
	v_add_f64 v[133:134], v[144:145], -v[148:149]
	v_add_f64 v[129:130], v[162:163], v[129:130]
	s_delay_alu instid0(VALU_DEP_2) | instskip(NEXT) | instid1(VALU_DEP_2)
	v_add_f64 v[133:134], v[150:151], -v[133:134]
	v_mul_f64 v[129:130], v[131:132], v[129:130]
	s_delay_alu instid0(VALU_DEP_1) | instskip(NEXT) | instid1(VALU_DEP_1)
	v_add_f64 v[129:130], v[133:134], v[129:130]
	v_add_f64 v[131:132], v[144:145], v[129:130]
	s_delay_alu instid0(VALU_DEP_1) | instskip(NEXT) | instid1(VALU_DEP_1)
	v_mul_f64 v[133:134], v[131:132], v[131:132]
	v_fma_f64 v[146:147], v[133:134], s[30:31], s[28:29]
	s_mov_b32 s28, 0xd7f4df2e
	s_mov_b32 s29, 0x3fc7474d
	v_mul_f64 v[148:149], v[131:132], v[133:134]
	s_delay_alu instid0(VALU_DEP_2)
	v_fma_f64 v[146:147], v[133:134], v[146:147], s[28:29]
	s_mov_b32 s28, 0x16291751
	s_mov_b32 s29, 0x3fcc71c0
	s_delay_alu instid0(VALU_DEP_1) | instid1(SALU_CYCLE_1)
	v_fma_f64 v[146:147], v[133:134], v[146:147], s[28:29]
	s_mov_b32 s28, 0x9b27acf1
	s_mov_b32 s29, 0x3fd24924
	s_delay_alu instid0(VALU_DEP_1) | instid1(SALU_CYCLE_1)
	;; [unrolled: 4-line block ×3, first 2 shown]
	v_fma_f64 v[146:147], v[133:134], v[146:147], s[28:29]
	s_delay_alu instid0(VALU_DEP_1) | instskip(SKIP_2) | instid1(VALU_DEP_3)
	v_fma_f64 v[133:134], v[133:134], v[146:147], s[24:25]
	v_ldexp_f64 v[146:147], v[131:132], 1
	v_add_f64 v[131:132], v[131:132], -v[144:145]
	v_mul_f64 v[133:134], v[148:149], v[133:134]
	v_cvt_f64_i32_e32 v[148:149], v166
	s_delay_alu instid0(VALU_DEP_3) | instskip(NEXT) | instid1(VALU_DEP_3)
	v_add_f64 v[129:130], v[129:130], -v[131:132]
	v_add_f64 v[144:145], v[146:147], v[133:134]
	s_delay_alu instid0(VALU_DEP_3) | instskip(NEXT) | instid1(VALU_DEP_3)
	v_mul_f64 v[150:151], v[148:149], s[18:19]
	v_ldexp_f64 v[129:130], v[129:130], 1
	s_delay_alu instid0(VALU_DEP_3) | instskip(NEXT) | instid1(VALU_DEP_3)
	v_add_f64 v[131:132], v[144:145], -v[146:147]
	v_fma_f64 v[146:147], v[148:149], s[18:19], -v[150:151]
	s_delay_alu instid0(VALU_DEP_2) | instskip(NEXT) | instid1(VALU_DEP_2)
	v_add_f64 v[131:132], v[133:134], -v[131:132]
	v_fma_f64 v[133:134], v[148:149], s[20:21], v[146:147]
	s_delay_alu instid0(VALU_DEP_2) | instskip(NEXT) | instid1(VALU_DEP_2)
	v_add_f64 v[129:130], v[129:130], v[131:132]
	v_add_f64 v[131:132], v[150:151], v[133:134]
	s_delay_alu instid0(VALU_DEP_2) | instskip(NEXT) | instid1(VALU_DEP_2)
	v_add_f64 v[146:147], v[144:145], v[129:130]
	v_add_f64 v[150:151], v[131:132], -v[150:151]
	s_delay_alu instid0(VALU_DEP_2) | instskip(SKIP_1) | instid1(VALU_DEP_3)
	v_add_f64 v[148:149], v[131:132], v[146:147]
	v_add_f64 v[144:145], v[146:147], -v[144:145]
	v_add_f64 v[133:134], v[133:134], -v[150:151]
	s_delay_alu instid0(VALU_DEP_3) | instskip(NEXT) | instid1(VALU_DEP_3)
	v_add_f64 v[160:161], v[148:149], -v[131:132]
	v_add_f64 v[129:130], v[129:130], -v[144:145]
	s_delay_alu instid0(VALU_DEP_2) | instskip(SKIP_1) | instid1(VALU_DEP_3)
	v_add_f64 v[162:163], v[148:149], -v[160:161]
	v_add_f64 v[144:145], v[146:147], -v[160:161]
	v_add_f64 v[146:147], v[133:134], v[129:130]
	s_delay_alu instid0(VALU_DEP_3) | instskip(NEXT) | instid1(VALU_DEP_1)
	v_add_f64 v[131:132], v[131:132], -v[162:163]
	v_add_f64 v[131:132], v[144:145], v[131:132]
	s_delay_alu instid0(VALU_DEP_3) | instskip(NEXT) | instid1(VALU_DEP_2)
	v_add_f64 v[144:145], v[146:147], -v[133:134]
	v_add_f64 v[131:132], v[146:147], v[131:132]
	s_delay_alu instid0(VALU_DEP_2) | instskip(SKIP_1) | instid1(VALU_DEP_3)
	v_add_f64 v[146:147], v[146:147], -v[144:145]
	v_add_f64 v[129:130], v[129:130], -v[144:145]
	v_add_f64 v[150:151], v[148:149], v[131:132]
	s_delay_alu instid0(VALU_DEP_3) | instskip(NEXT) | instid1(VALU_DEP_2)
	v_add_f64 v[133:134], v[133:134], -v[146:147]
	v_add_f64 v[144:145], v[150:151], -v[148:149]
	s_delay_alu instid0(VALU_DEP_2) | instskip(NEXT) | instid1(VALU_DEP_2)
	v_add_f64 v[129:130], v[129:130], v[133:134]
	v_add_f64 v[131:132], v[131:132], -v[144:145]
	s_delay_alu instid0(VALU_DEP_1) | instskip(NEXT) | instid1(VALU_DEP_1)
	v_add_f64 v[129:130], v[129:130], v[131:132]
	v_add_f64 v[129:130], v[150:151], v[129:130]
	s_delay_alu instid0(VALU_DEP_1) | instskip(NEXT) | instid1(VALU_DEP_2)
	v_cndmask_b32_e64 v129, v129, v48, s15
	v_cndmask_b32_e64 v130, v130, v49, s15
	v_cmp_ngt_f64_e64 s15, -1.0, v[48:49]
	s_delay_alu instid0(VALU_DEP_1) | instskip(SKIP_1) | instid1(VALU_DEP_1)
	v_cndmask_b32_e64 v130, 0x7ff80000, v130, s15
	v_cmp_nge_f64_e64 s15, -1.0, v[48:49]
	v_cndmask_b32_e64 v129, 0, v129, s15
	v_cmp_neq_f64_e64 s15, -1.0, v[48:49]
	s_delay_alu instid0(VALU_DEP_1) | instskip(NEXT) | instid1(VALU_DEP_1)
	v_cndmask_b32_e64 v130, 0xfff00000, v130, s15
	v_add_f64 v[48:49], v[30:31], v[129:130]
.LBB56_290:
	s_or_b32 exec_lo, exec_lo, s26
	v_max_f64 v[30:31], v[66:67], v[66:67]
	s_delay_alu instid0(VALU_DEP_2) | instskip(SKIP_2) | instid1(VALU_DEP_3)
	v_max_f64 v[129:130], v[48:49], v[48:49]
	v_cmp_u_f64_e64 s17, v[48:49], v[48:49]
	v_cmp_u_f64_e64 s15, v[66:67], v[66:67]
	v_min_f64 v[131:132], v[129:130], v[30:31]
	v_max_f64 v[129:130], v[129:130], v[30:31]
	s_delay_alu instid0(VALU_DEP_2) | instskip(NEXT) | instid1(VALU_DEP_3)
	v_cndmask_b32_e64 v131, v131, v48, s17
	v_cndmask_b32_e64 v132, v132, v49, s17
	s_delay_alu instid0(VALU_DEP_3) | instskip(NEXT) | instid1(VALU_DEP_4)
	v_cndmask_b32_e64 v130, v130, v49, s17
	v_cndmask_b32_e64 v129, v129, v48, s17
	s_delay_alu instid0(VALU_DEP_4) | instskip(NEXT) | instid1(VALU_DEP_4)
	v_cndmask_b32_e64 v131, v131, v66, s15
	v_cndmask_b32_e64 v132, v132, v67, s15
	s_delay_alu instid0(VALU_DEP_4) | instskip(NEXT) | instid1(VALU_DEP_4)
	v_cndmask_b32_e64 v130, v130, v67, s15
	v_cndmask_b32_e64 v129, v129, v66, s15
	s_delay_alu instid0(VALU_DEP_3) | instskip(NEXT) | instid1(VALU_DEP_2)
	v_cmp_class_f64_e64 s18, v[131:132], 0x1f8
	v_cmp_neq_f64_e64 s17, v[131:132], v[129:130]
	s_delay_alu instid0(VALU_DEP_1) | instskip(NEXT) | instid1(SALU_CYCLE_1)
	s_or_b32 s17, s17, s18
	s_and_saveexec_b32 s26, s17
	s_cbranch_execz .LBB56_292
; %bb.291:
	v_add_f64 v[48:49], v[131:132], -v[129:130]
	s_mov_b32 s18, 0x652b82fe
	s_mov_b32 s19, 0x3ff71547
	;; [unrolled: 1-line block ×10, first 2 shown]
	s_delay_alu instid0(VALU_DEP_1) | instskip(SKIP_3) | instid1(VALU_DEP_2)
	v_mul_f64 v[131:132], v[48:49], s[18:19]
	s_mov_b32 s18, 0xfca7ab0c
	s_mov_b32 s19, 0x3e928af3
	v_cmp_nlt_f64_e64 s17, 0x40900000, v[48:49]
	v_rndne_f64_e32 v[131:132], v[131:132]
	s_delay_alu instid0(VALU_DEP_1) | instskip(SKIP_2) | instid1(VALU_DEP_2)
	v_fma_f64 v[133:134], v[131:132], s[20:21], v[48:49]
	v_cvt_i32_f64_e32 v146, v[131:132]
	s_mov_b32 s21, 0x3fe62e42
	v_fma_f64 v[133:134], v[131:132], s[24:25], v[133:134]
	s_mov_b32 s25, 0x3c7abc9e
	s_delay_alu instid0(VALU_DEP_1) | instskip(SKIP_4) | instid1(VALU_DEP_1)
	v_fma_f64 v[144:145], v[133:134], s[28:29], s[18:19]
	s_mov_b32 s18, 0x623fde64
	s_mov_b32 s19, 0x3ec71dee
	;; [unrolled: 1-line block ×4, first 2 shown]
	v_fma_f64 v[144:145], v[133:134], v[144:145], s[18:19]
	s_mov_b32 s18, 0x7c89e6b0
	s_mov_b32 s19, 0x3efa0199
	s_delay_alu instid0(VALU_DEP_1) | instid1(SALU_CYCLE_1)
	v_fma_f64 v[144:145], v[133:134], v[144:145], s[18:19]
	s_mov_b32 s18, 0x14761f6e
	s_mov_b32 s19, 0x3f2a01a0
	s_delay_alu instid0(VALU_DEP_1) | instid1(SALU_CYCLE_1)
	v_fma_f64 v[144:145], v[133:134], v[144:145], s[18:19]
	s_mov_b32 s18, 0x1852b7b0
	s_mov_b32 s19, 0x3f56c16c
	s_delay_alu instid0(VALU_DEP_1) | instid1(SALU_CYCLE_1)
	v_fma_f64 v[144:145], v[133:134], v[144:145], s[18:19]
	s_mov_b32 s18, 0x11122322
	s_mov_b32 s19, 0x3f811111
	s_delay_alu instid0(VALU_DEP_1) | instid1(SALU_CYCLE_1)
	v_fma_f64 v[144:145], v[133:134], v[144:145], s[18:19]
	s_mov_b32 s18, 0x555502a1
	s_mov_b32 s19, 0x3fa55555
	s_delay_alu instid0(VALU_DEP_1) | instid1(SALU_CYCLE_1)
	v_fma_f64 v[144:145], v[133:134], v[144:145], s[18:19]
	s_mov_b32 s18, 0x55555511
	s_mov_b32 s19, 0x3fc55555
	s_delay_alu instid0(VALU_DEP_1) | instid1(SALU_CYCLE_1)
	v_fma_f64 v[144:145], v[133:134], v[144:145], s[18:19]
	s_mov_b32 s18, 11
	s_mov_b32 s19, 0x3fe00000
	s_delay_alu instid0(VALU_DEP_1) | instid1(SALU_CYCLE_1)
	v_fma_f64 v[144:145], v[133:134], v[144:145], s[18:19]
	v_cmp_ngt_f64_e64 s18, 0xc090cc00, v[48:49]
	s_mov_b32 s19, 0x3fe55555
	s_delay_alu instid0(VALU_DEP_2) | instskip(NEXT) | instid1(VALU_DEP_1)
	v_fma_f64 v[144:145], v[133:134], v[144:145], 1.0
	v_fma_f64 v[131:132], v[133:134], v[144:145], 1.0
	s_delay_alu instid0(VALU_DEP_1) | instskip(NEXT) | instid1(VALU_DEP_1)
	v_ldexp_f64 v[131:132], v[131:132], v146
	v_cndmask_b32_e64 v132, 0x7ff00000, v132, s17
	s_and_b32 s17, s18, s17
	s_delay_alu instid0(VALU_DEP_2) | instid1(SALU_CYCLE_1)
	v_cndmask_b32_e64 v48, 0, v131, s17
	s_delay_alu instid0(VALU_DEP_2) | instskip(SKIP_1) | instid1(VALU_DEP_1)
	v_cndmask_b32_e64 v49, 0, v132, s18
	s_mov_b32 s18, 0x55555555
	v_add_f64 v[131:132], v[48:49], 1.0
	s_delay_alu instid0(VALU_DEP_1) | instskip(SKIP_2) | instid1(VALU_DEP_3)
	v_frexp_mant_f64_e32 v[133:134], v[131:132]
	v_frexp_exp_i32_f64_e32 v146, v[131:132]
	v_add_f64 v[144:145], v[131:132], -1.0
	v_cmp_gt_f64_e64 s17, s[18:19], v[133:134]
	s_mov_b32 s18, 0x55555780
	s_delay_alu instid0(VALU_DEP_2) | instskip(SKIP_1) | instid1(VALU_DEP_3)
	v_add_f64 v[133:134], v[144:145], -v[131:132]
	v_add_f64 v[144:145], v[48:49], -v[144:145]
	v_subrev_co_ci_u32_e64 v166, s17, 0, v146, s17
	s_delay_alu instid0(VALU_DEP_3) | instskip(SKIP_1) | instid1(VALU_DEP_3)
	v_add_f64 v[133:134], v[133:134], 1.0
	v_cmp_eq_f64_e64 s17, 0x7ff00000, v[48:49]
	v_sub_nc_u32_e32 v148, 0, v166
	s_delay_alu instid0(VALU_DEP_1) | instskip(NEXT) | instid1(VALU_DEP_4)
	v_ldexp_f64 v[131:132], v[131:132], v148
	v_add_f64 v[133:134], v[144:145], v[133:134]
	s_delay_alu instid0(VALU_DEP_2) | instskip(SKIP_1) | instid1(VALU_DEP_3)
	v_add_f64 v[146:147], v[131:132], 1.0
	v_add_f64 v[160:161], v[131:132], -1.0
	v_ldexp_f64 v[133:134], v[133:134], v148
	s_delay_alu instid0(VALU_DEP_3) | instskip(NEXT) | instid1(VALU_DEP_3)
	v_add_f64 v[144:145], v[146:147], -1.0
	v_add_f64 v[162:163], v[160:161], 1.0
	s_delay_alu instid0(VALU_DEP_2) | instskip(NEXT) | instid1(VALU_DEP_2)
	v_add_f64 v[144:145], v[131:132], -v[144:145]
	v_add_f64 v[131:132], v[131:132], -v[162:163]
	s_delay_alu instid0(VALU_DEP_2) | instskip(NEXT) | instid1(VALU_DEP_2)
	v_add_f64 v[144:145], v[133:134], v[144:145]
	v_add_f64 v[131:132], v[133:134], v[131:132]
	s_delay_alu instid0(VALU_DEP_2) | instskip(NEXT) | instid1(VALU_DEP_2)
	v_add_f64 v[148:149], v[146:147], v[144:145]
	v_add_f64 v[162:163], v[160:161], v[131:132]
	s_delay_alu instid0(VALU_DEP_2) | instskip(SKIP_1) | instid1(VALU_DEP_2)
	v_rcp_f64_e32 v[150:151], v[148:149]
	v_add_f64 v[146:147], v[148:149], -v[146:147]
	v_add_f64 v[160:161], v[162:163], -v[160:161]
	s_delay_alu instid0(VALU_DEP_2) | instskip(SKIP_3) | instid1(VALU_DEP_2)
	v_add_f64 v[144:145], v[144:145], -v[146:147]
	s_waitcnt_depctr 0xfff
	v_fma_f64 v[164:165], -v[148:149], v[150:151], 1.0
	v_add_f64 v[131:132], v[131:132], -v[160:161]
	v_fma_f64 v[150:151], v[164:165], v[150:151], v[150:151]
	s_delay_alu instid0(VALU_DEP_1) | instskip(NEXT) | instid1(VALU_DEP_1)
	v_fma_f64 v[133:134], -v[148:149], v[150:151], 1.0
	v_fma_f64 v[133:134], v[133:134], v[150:151], v[150:151]
	s_delay_alu instid0(VALU_DEP_1) | instskip(NEXT) | instid1(VALU_DEP_1)
	v_mul_f64 v[150:151], v[162:163], v[133:134]
	v_mul_f64 v[164:165], v[148:149], v[150:151]
	s_delay_alu instid0(VALU_DEP_1) | instskip(NEXT) | instid1(VALU_DEP_1)
	v_fma_f64 v[146:147], v[150:151], v[148:149], -v[164:165]
	v_fma_f64 v[146:147], v[150:151], v[144:145], v[146:147]
	s_delay_alu instid0(VALU_DEP_1) | instskip(NEXT) | instid1(VALU_DEP_1)
	v_add_f64 v[209:210], v[164:165], v[146:147]
	v_add_f64 v[211:212], v[162:163], -v[209:210]
	v_add_f64 v[160:161], v[209:210], -v[164:165]
	s_delay_alu instid0(VALU_DEP_2) | instskip(NEXT) | instid1(VALU_DEP_2)
	v_add_f64 v[162:163], v[162:163], -v[211:212]
	v_add_f64 v[146:147], v[160:161], -v[146:147]
	s_delay_alu instid0(VALU_DEP_2) | instskip(NEXT) | instid1(VALU_DEP_1)
	v_add_f64 v[162:163], v[162:163], -v[209:210]
	v_add_f64 v[131:132], v[131:132], v[162:163]
	s_delay_alu instid0(VALU_DEP_1) | instskip(NEXT) | instid1(VALU_DEP_1)
	v_add_f64 v[131:132], v[146:147], v[131:132]
	v_add_f64 v[146:147], v[211:212], v[131:132]
	s_delay_alu instid0(VALU_DEP_1) | instskip(SKIP_1) | instid1(VALU_DEP_2)
	v_mul_f64 v[160:161], v[133:134], v[146:147]
	v_add_f64 v[209:210], v[211:212], -v[146:147]
	v_mul_f64 v[162:163], v[148:149], v[160:161]
	s_delay_alu instid0(VALU_DEP_2) | instskip(NEXT) | instid1(VALU_DEP_2)
	v_add_f64 v[131:132], v[131:132], v[209:210]
	v_fma_f64 v[148:149], v[160:161], v[148:149], -v[162:163]
	s_delay_alu instid0(VALU_DEP_1) | instskip(NEXT) | instid1(VALU_DEP_1)
	v_fma_f64 v[144:145], v[160:161], v[144:145], v[148:149]
	v_add_f64 v[148:149], v[162:163], v[144:145]
	s_delay_alu instid0(VALU_DEP_1) | instskip(SKIP_1) | instid1(VALU_DEP_2)
	v_add_f64 v[164:165], v[146:147], -v[148:149]
	v_add_f64 v[162:163], v[148:149], -v[162:163]
	;; [unrolled: 1-line block ×3, first 2 shown]
	s_delay_alu instid0(VALU_DEP_2) | instskip(NEXT) | instid1(VALU_DEP_2)
	v_add_f64 v[144:145], v[162:163], -v[144:145]
	v_add_f64 v[146:147], v[146:147], -v[148:149]
	s_delay_alu instid0(VALU_DEP_1) | instskip(SKIP_1) | instid1(VALU_DEP_2)
	v_add_f64 v[131:132], v[131:132], v[146:147]
	v_add_f64 v[146:147], v[150:151], v[160:161]
	;; [unrolled: 1-line block ×3, first 2 shown]
	s_delay_alu instid0(VALU_DEP_2) | instskip(NEXT) | instid1(VALU_DEP_2)
	v_add_f64 v[144:145], v[146:147], -v[150:151]
	v_add_f64 v[131:132], v[164:165], v[131:132]
	s_delay_alu instid0(VALU_DEP_2) | instskip(NEXT) | instid1(VALU_DEP_2)
	v_add_f64 v[144:145], v[160:161], -v[144:145]
	v_mul_f64 v[131:132], v[133:134], v[131:132]
	s_delay_alu instid0(VALU_DEP_1) | instskip(NEXT) | instid1(VALU_DEP_1)
	v_add_f64 v[131:132], v[144:145], v[131:132]
	v_add_f64 v[133:134], v[146:147], v[131:132]
	s_delay_alu instid0(VALU_DEP_1) | instskip(NEXT) | instid1(VALU_DEP_1)
	v_mul_f64 v[144:145], v[133:134], v[133:134]
	v_fma_f64 v[148:149], v[144:145], s[30:31], s[28:29]
	s_mov_b32 s28, 0xd7f4df2e
	s_mov_b32 s29, 0x3fc7474d
	v_mul_f64 v[150:151], v[133:134], v[144:145]
	s_delay_alu instid0(VALU_DEP_2)
	v_fma_f64 v[148:149], v[144:145], v[148:149], s[28:29]
	s_mov_b32 s28, 0x16291751
	s_mov_b32 s29, 0x3fcc71c0
	s_delay_alu instid0(VALU_DEP_1) | instid1(SALU_CYCLE_1)
	v_fma_f64 v[148:149], v[144:145], v[148:149], s[28:29]
	s_mov_b32 s28, 0x9b27acf1
	s_mov_b32 s29, 0x3fd24924
	s_delay_alu instid0(VALU_DEP_1) | instid1(SALU_CYCLE_1)
	;; [unrolled: 4-line block ×3, first 2 shown]
	v_fma_f64 v[148:149], v[144:145], v[148:149], s[28:29]
	s_delay_alu instid0(VALU_DEP_1) | instskip(SKIP_2) | instid1(VALU_DEP_3)
	v_fma_f64 v[144:145], v[144:145], v[148:149], s[18:19]
	v_ldexp_f64 v[148:149], v[133:134], 1
	v_add_f64 v[133:134], v[133:134], -v[146:147]
	v_mul_f64 v[144:145], v[150:151], v[144:145]
	v_cvt_f64_i32_e32 v[150:151], v166
	s_delay_alu instid0(VALU_DEP_3) | instskip(NEXT) | instid1(VALU_DEP_3)
	v_add_f64 v[131:132], v[131:132], -v[133:134]
	v_add_f64 v[146:147], v[148:149], v[144:145]
	s_delay_alu instid0(VALU_DEP_3) | instskip(NEXT) | instid1(VALU_DEP_3)
	v_mul_f64 v[160:161], v[150:151], s[20:21]
	v_ldexp_f64 v[131:132], v[131:132], 1
	s_delay_alu instid0(VALU_DEP_3) | instskip(NEXT) | instid1(VALU_DEP_3)
	v_add_f64 v[133:134], v[146:147], -v[148:149]
	v_fma_f64 v[148:149], v[150:151], s[20:21], -v[160:161]
	s_delay_alu instid0(VALU_DEP_2) | instskip(NEXT) | instid1(VALU_DEP_2)
	v_add_f64 v[133:134], v[144:145], -v[133:134]
	v_fma_f64 v[144:145], v[150:151], s[24:25], v[148:149]
	s_delay_alu instid0(VALU_DEP_2) | instskip(NEXT) | instid1(VALU_DEP_2)
	v_add_f64 v[131:132], v[131:132], v[133:134]
	v_add_f64 v[133:134], v[160:161], v[144:145]
	s_delay_alu instid0(VALU_DEP_2) | instskip(NEXT) | instid1(VALU_DEP_2)
	v_add_f64 v[148:149], v[146:147], v[131:132]
	v_add_f64 v[160:161], v[133:134], -v[160:161]
	s_delay_alu instid0(VALU_DEP_2) | instskip(SKIP_1) | instid1(VALU_DEP_3)
	v_add_f64 v[150:151], v[133:134], v[148:149]
	v_add_f64 v[146:147], v[148:149], -v[146:147]
	v_add_f64 v[144:145], v[144:145], -v[160:161]
	s_delay_alu instid0(VALU_DEP_3) | instskip(NEXT) | instid1(VALU_DEP_3)
	v_add_f64 v[162:163], v[150:151], -v[133:134]
	v_add_f64 v[131:132], v[131:132], -v[146:147]
	s_delay_alu instid0(VALU_DEP_2) | instskip(SKIP_1) | instid1(VALU_DEP_3)
	v_add_f64 v[164:165], v[150:151], -v[162:163]
	v_add_f64 v[146:147], v[148:149], -v[162:163]
	v_add_f64 v[148:149], v[144:145], v[131:132]
	s_delay_alu instid0(VALU_DEP_3) | instskip(NEXT) | instid1(VALU_DEP_1)
	v_add_f64 v[133:134], v[133:134], -v[164:165]
	v_add_f64 v[133:134], v[146:147], v[133:134]
	s_delay_alu instid0(VALU_DEP_3) | instskip(NEXT) | instid1(VALU_DEP_2)
	v_add_f64 v[146:147], v[148:149], -v[144:145]
	v_add_f64 v[133:134], v[148:149], v[133:134]
	s_delay_alu instid0(VALU_DEP_2) | instskip(SKIP_1) | instid1(VALU_DEP_3)
	v_add_f64 v[148:149], v[148:149], -v[146:147]
	v_add_f64 v[131:132], v[131:132], -v[146:147]
	v_add_f64 v[160:161], v[150:151], v[133:134]
	s_delay_alu instid0(VALU_DEP_3) | instskip(NEXT) | instid1(VALU_DEP_2)
	v_add_f64 v[144:145], v[144:145], -v[148:149]
	v_add_f64 v[146:147], v[160:161], -v[150:151]
	s_delay_alu instid0(VALU_DEP_2) | instskip(NEXT) | instid1(VALU_DEP_2)
	v_add_f64 v[131:132], v[131:132], v[144:145]
	v_add_f64 v[133:134], v[133:134], -v[146:147]
	s_delay_alu instid0(VALU_DEP_1) | instskip(NEXT) | instid1(VALU_DEP_1)
	v_add_f64 v[131:132], v[131:132], v[133:134]
	v_add_f64 v[131:132], v[160:161], v[131:132]
	s_delay_alu instid0(VALU_DEP_1) | instskip(NEXT) | instid1(VALU_DEP_2)
	v_cndmask_b32_e64 v131, v131, v48, s17
	v_cndmask_b32_e64 v132, v132, v49, s17
	v_cmp_ngt_f64_e64 s17, -1.0, v[48:49]
	s_delay_alu instid0(VALU_DEP_1) | instskip(SKIP_1) | instid1(VALU_DEP_1)
	v_cndmask_b32_e64 v132, 0x7ff80000, v132, s17
	v_cmp_nge_f64_e64 s17, -1.0, v[48:49]
	v_cndmask_b32_e64 v131, 0, v131, s17
	v_cmp_neq_f64_e64 s17, -1.0, v[48:49]
	s_delay_alu instid0(VALU_DEP_1) | instskip(NEXT) | instid1(VALU_DEP_1)
	v_cndmask_b32_e64 v132, 0xfff00000, v132, s17
	v_add_f64 v[48:49], v[129:130], v[131:132]
.LBB56_292:
	s_or_b32 exec_lo, exec_lo, s26
	v_mbcnt_lo_u32_b32 v144, -1, 0
	s_delay_alu instid0(VALU_DEP_2) | instskip(NEXT) | instid1(VALU_DEP_3)
	v_mov_b32_dpp v129, v48 row_shr:1 row_mask:0xf bank_mask:0xf
	v_mov_b32_dpp v130, v49 row_shr:1 row_mask:0xf bank_mask:0xf
	v_mov_b32_e32 v131, v48
	s_mov_b32 s26, exec_lo
	v_dual_mov_b32 v132, v49 :: v_dual_and_b32 v133, 15, v144
	s_delay_alu instid0(VALU_DEP_1)
	v_cmpx_ne_u32_e32 0, v133
	s_cbranch_execz .LBB56_296
; %bb.293:
	v_max_f64 v[131:132], v[129:130], v[129:130]
	v_max_f64 v[145:146], v[48:49], v[48:49]
	v_cmp_u_f64_e64 s17, v[129:130], v[129:130]
	v_cmp_u_f64_e64 s18, v[48:49], v[48:49]
	s_delay_alu instid0(VALU_DEP_3) | instskip(SKIP_1) | instid1(VALU_DEP_2)
	v_min_f64 v[147:148], v[131:132], v[145:146]
	v_max_f64 v[131:132], v[131:132], v[145:146]
	v_cndmask_b32_e64 v134, v147, v129, s17
	s_delay_alu instid0(VALU_DEP_3) | instskip(NEXT) | instid1(VALU_DEP_3)
	v_cndmask_b32_e64 v145, v148, v130, s17
	v_cndmask_b32_e64 v146, v132, v130, s17
	s_delay_alu instid0(VALU_DEP_4) | instskip(NEXT) | instid1(VALU_DEP_4)
	v_cndmask_b32_e64 v147, v131, v129, s17
	v_cndmask_b32_e64 v131, v134, v48, s18
	s_delay_alu instid0(VALU_DEP_4) | instskip(NEXT) | instid1(VALU_DEP_4)
	v_cndmask_b32_e64 v132, v145, v49, s18
	v_cndmask_b32_e64 v49, v146, v49, s18
	s_delay_alu instid0(VALU_DEP_4) | instskip(NEXT) | instid1(VALU_DEP_3)
	v_cndmask_b32_e64 v48, v147, v48, s18
	v_cmp_class_f64_e64 s18, v[131:132], 0x1f8
	s_delay_alu instid0(VALU_DEP_2) | instskip(NEXT) | instid1(VALU_DEP_1)
	v_cmp_neq_f64_e64 s17, v[131:132], v[48:49]
	s_or_b32 s17, s17, s18
	s_delay_alu instid0(SALU_CYCLE_1)
	s_and_saveexec_b32 s27, s17
	s_cbranch_execz .LBB56_295
; %bb.294:
	v_add_f64 v[129:130], v[131:132], -v[48:49]
	s_mov_b32 s18, 0x652b82fe
	s_mov_b32 s19, 0x3ff71547
	;; [unrolled: 1-line block ×10, first 2 shown]
	s_delay_alu instid0(VALU_DEP_1) | instskip(SKIP_3) | instid1(VALU_DEP_2)
	v_mul_f64 v[131:132], v[129:130], s[18:19]
	s_mov_b32 s18, 0xfca7ab0c
	s_mov_b32 s19, 0x3e928af3
	v_cmp_nlt_f64_e64 s17, 0x40900000, v[129:130]
	v_rndne_f64_e32 v[131:132], v[131:132]
	s_delay_alu instid0(VALU_DEP_1) | instskip(SKIP_2) | instid1(VALU_DEP_2)
	v_fma_f64 v[145:146], v[131:132], s[20:21], v[129:130]
	v_cvt_i32_f64_e32 v134, v[131:132]
	s_mov_b32 s21, 0x3fe62e42
	v_fma_f64 v[145:146], v[131:132], s[24:25], v[145:146]
	s_mov_b32 s25, 0x3c7abc9e
	s_delay_alu instid0(VALU_DEP_1) | instskip(SKIP_4) | instid1(VALU_DEP_1)
	v_fma_f64 v[147:148], v[145:146], s[28:29], s[18:19]
	s_mov_b32 s18, 0x623fde64
	s_mov_b32 s19, 0x3ec71dee
	;; [unrolled: 1-line block ×4, first 2 shown]
	v_fma_f64 v[147:148], v[145:146], v[147:148], s[18:19]
	s_mov_b32 s18, 0x7c89e6b0
	s_mov_b32 s19, 0x3efa0199
	s_delay_alu instid0(VALU_DEP_1) | instid1(SALU_CYCLE_1)
	v_fma_f64 v[147:148], v[145:146], v[147:148], s[18:19]
	s_mov_b32 s18, 0x14761f6e
	s_mov_b32 s19, 0x3f2a01a0
	s_delay_alu instid0(VALU_DEP_1) | instid1(SALU_CYCLE_1)
	;; [unrolled: 4-line block ×7, first 2 shown]
	v_fma_f64 v[147:148], v[145:146], v[147:148], s[18:19]
	v_cmp_ngt_f64_e64 s18, 0xc090cc00, v[129:130]
	s_mov_b32 s19, 0x3fe55555
	s_delay_alu instid0(VALU_DEP_2) | instskip(NEXT) | instid1(VALU_DEP_1)
	v_fma_f64 v[147:148], v[145:146], v[147:148], 1.0
	v_fma_f64 v[131:132], v[145:146], v[147:148], 1.0
	s_delay_alu instid0(VALU_DEP_1) | instskip(NEXT) | instid1(VALU_DEP_1)
	v_ldexp_f64 v[131:132], v[131:132], v134
	v_cndmask_b32_e64 v132, 0x7ff00000, v132, s17
	s_and_b32 s17, s18, s17
	s_delay_alu instid0(VALU_DEP_2) | instid1(SALU_CYCLE_1)
	v_cndmask_b32_e64 v129, 0, v131, s17
	s_delay_alu instid0(VALU_DEP_2) | instskip(SKIP_1) | instid1(VALU_DEP_1)
	v_cndmask_b32_e64 v130, 0, v132, s18
	s_mov_b32 s18, 0x55555555
	v_add_f64 v[131:132], v[129:130], 1.0
	s_delay_alu instid0(VALU_DEP_1) | instskip(SKIP_2) | instid1(VALU_DEP_3)
	v_frexp_mant_f64_e32 v[145:146], v[131:132]
	v_frexp_exp_i32_f64_e32 v134, v[131:132]
	v_add_f64 v[147:148], v[131:132], -1.0
	v_cmp_gt_f64_e64 s17, s[18:19], v[145:146]
	s_mov_b32 s18, 0x55555780
	s_delay_alu instid0(VALU_DEP_2) | instskip(SKIP_1) | instid1(VALU_DEP_3)
	v_add_f64 v[145:146], v[147:148], -v[131:132]
	v_add_f64 v[147:148], v[129:130], -v[147:148]
	v_subrev_co_ci_u32_e64 v134, s17, 0, v134, s17
	s_delay_alu instid0(VALU_DEP_3) | instskip(SKIP_1) | instid1(VALU_DEP_3)
	v_add_f64 v[145:146], v[145:146], 1.0
	v_cmp_eq_f64_e64 s17, 0x7ff00000, v[129:130]
	v_sub_nc_u32_e32 v151, 0, v134
	s_delay_alu instid0(VALU_DEP_1) | instskip(NEXT) | instid1(VALU_DEP_4)
	v_ldexp_f64 v[131:132], v[131:132], v151
	v_add_f64 v[145:146], v[147:148], v[145:146]
	s_delay_alu instid0(VALU_DEP_2) | instskip(SKIP_1) | instid1(VALU_DEP_3)
	v_add_f64 v[149:150], v[131:132], 1.0
	v_add_f64 v[164:165], v[131:132], -1.0
	v_ldexp_f64 v[145:146], v[145:146], v151
	s_delay_alu instid0(VALU_DEP_3) | instskip(NEXT) | instid1(VALU_DEP_3)
	v_add_f64 v[147:148], v[149:150], -1.0
	v_add_f64 v[209:210], v[164:165], 1.0
	s_delay_alu instid0(VALU_DEP_2) | instskip(NEXT) | instid1(VALU_DEP_2)
	v_add_f64 v[147:148], v[131:132], -v[147:148]
	v_add_f64 v[131:132], v[131:132], -v[209:210]
	s_delay_alu instid0(VALU_DEP_2) | instskip(NEXT) | instid1(VALU_DEP_2)
	v_add_f64 v[147:148], v[145:146], v[147:148]
	v_add_f64 v[131:132], v[145:146], v[131:132]
	s_delay_alu instid0(VALU_DEP_2) | instskip(NEXT) | instid1(VALU_DEP_2)
	v_add_f64 v[160:161], v[149:150], v[147:148]
	v_add_f64 v[209:210], v[164:165], v[131:132]
	s_delay_alu instid0(VALU_DEP_2) | instskip(SKIP_1) | instid1(VALU_DEP_2)
	v_rcp_f64_e32 v[162:163], v[160:161]
	v_add_f64 v[149:150], v[160:161], -v[149:150]
	v_add_f64 v[164:165], v[209:210], -v[164:165]
	s_delay_alu instid0(VALU_DEP_2) | instskip(SKIP_3) | instid1(VALU_DEP_2)
	v_add_f64 v[147:148], v[147:148], -v[149:150]
	s_waitcnt_depctr 0xfff
	v_fma_f64 v[211:212], -v[160:161], v[162:163], 1.0
	v_add_f64 v[131:132], v[131:132], -v[164:165]
	v_fma_f64 v[162:163], v[211:212], v[162:163], v[162:163]
	s_delay_alu instid0(VALU_DEP_1) | instskip(NEXT) | instid1(VALU_DEP_1)
	v_fma_f64 v[145:146], -v[160:161], v[162:163], 1.0
	v_fma_f64 v[145:146], v[145:146], v[162:163], v[162:163]
	s_delay_alu instid0(VALU_DEP_1) | instskip(NEXT) | instid1(VALU_DEP_1)
	v_mul_f64 v[162:163], v[209:210], v[145:146]
	v_mul_f64 v[211:212], v[160:161], v[162:163]
	s_delay_alu instid0(VALU_DEP_1) | instskip(NEXT) | instid1(VALU_DEP_1)
	v_fma_f64 v[149:150], v[162:163], v[160:161], -v[211:212]
	v_fma_f64 v[149:150], v[162:163], v[147:148], v[149:150]
	s_delay_alu instid0(VALU_DEP_1) | instskip(NEXT) | instid1(VALU_DEP_1)
	v_add_f64 v[213:214], v[211:212], v[149:150]
	v_add_f64 v[224:225], v[209:210], -v[213:214]
	v_add_f64 v[164:165], v[213:214], -v[211:212]
	s_delay_alu instid0(VALU_DEP_2) | instskip(NEXT) | instid1(VALU_DEP_2)
	v_add_f64 v[209:210], v[209:210], -v[224:225]
	v_add_f64 v[149:150], v[164:165], -v[149:150]
	s_delay_alu instid0(VALU_DEP_2) | instskip(NEXT) | instid1(VALU_DEP_1)
	v_add_f64 v[209:210], v[209:210], -v[213:214]
	v_add_f64 v[131:132], v[131:132], v[209:210]
	s_delay_alu instid0(VALU_DEP_1) | instskip(NEXT) | instid1(VALU_DEP_1)
	v_add_f64 v[131:132], v[149:150], v[131:132]
	v_add_f64 v[149:150], v[224:225], v[131:132]
	s_delay_alu instid0(VALU_DEP_1) | instskip(SKIP_1) | instid1(VALU_DEP_2)
	v_mul_f64 v[164:165], v[145:146], v[149:150]
	v_add_f64 v[213:214], v[224:225], -v[149:150]
	v_mul_f64 v[209:210], v[160:161], v[164:165]
	s_delay_alu instid0(VALU_DEP_2) | instskip(NEXT) | instid1(VALU_DEP_2)
	v_add_f64 v[131:132], v[131:132], v[213:214]
	v_fma_f64 v[160:161], v[164:165], v[160:161], -v[209:210]
	s_delay_alu instid0(VALU_DEP_1) | instskip(NEXT) | instid1(VALU_DEP_1)
	v_fma_f64 v[147:148], v[164:165], v[147:148], v[160:161]
	v_add_f64 v[160:161], v[209:210], v[147:148]
	s_delay_alu instid0(VALU_DEP_1) | instskip(SKIP_1) | instid1(VALU_DEP_2)
	v_add_f64 v[211:212], v[149:150], -v[160:161]
	v_add_f64 v[209:210], v[160:161], -v[209:210]
	;; [unrolled: 1-line block ×3, first 2 shown]
	s_delay_alu instid0(VALU_DEP_2) | instskip(NEXT) | instid1(VALU_DEP_2)
	v_add_f64 v[147:148], v[209:210], -v[147:148]
	v_add_f64 v[149:150], v[149:150], -v[160:161]
	s_delay_alu instid0(VALU_DEP_1) | instskip(SKIP_1) | instid1(VALU_DEP_2)
	v_add_f64 v[131:132], v[131:132], v[149:150]
	v_add_f64 v[149:150], v[162:163], v[164:165]
	;; [unrolled: 1-line block ×3, first 2 shown]
	s_delay_alu instid0(VALU_DEP_2) | instskip(NEXT) | instid1(VALU_DEP_2)
	v_add_f64 v[147:148], v[149:150], -v[162:163]
	v_add_f64 v[131:132], v[211:212], v[131:132]
	s_delay_alu instid0(VALU_DEP_2) | instskip(NEXT) | instid1(VALU_DEP_2)
	v_add_f64 v[147:148], v[164:165], -v[147:148]
	v_mul_f64 v[131:132], v[145:146], v[131:132]
	s_delay_alu instid0(VALU_DEP_1) | instskip(NEXT) | instid1(VALU_DEP_1)
	v_add_f64 v[131:132], v[147:148], v[131:132]
	v_add_f64 v[145:146], v[149:150], v[131:132]
	s_delay_alu instid0(VALU_DEP_1) | instskip(NEXT) | instid1(VALU_DEP_1)
	v_mul_f64 v[147:148], v[145:146], v[145:146]
	v_fma_f64 v[160:161], v[147:148], s[30:31], s[28:29]
	s_mov_b32 s28, 0xd7f4df2e
	s_mov_b32 s29, 0x3fc7474d
	v_mul_f64 v[162:163], v[145:146], v[147:148]
	s_delay_alu instid0(VALU_DEP_2)
	v_fma_f64 v[160:161], v[147:148], v[160:161], s[28:29]
	s_mov_b32 s28, 0x16291751
	s_mov_b32 s29, 0x3fcc71c0
	s_delay_alu instid0(VALU_DEP_1) | instid1(SALU_CYCLE_1)
	v_fma_f64 v[160:161], v[147:148], v[160:161], s[28:29]
	s_mov_b32 s28, 0x9b27acf1
	s_mov_b32 s29, 0x3fd24924
	s_delay_alu instid0(VALU_DEP_1) | instid1(SALU_CYCLE_1)
	;; [unrolled: 4-line block ×3, first 2 shown]
	v_fma_f64 v[160:161], v[147:148], v[160:161], s[28:29]
	s_delay_alu instid0(VALU_DEP_1) | instskip(SKIP_2) | instid1(VALU_DEP_3)
	v_fma_f64 v[147:148], v[147:148], v[160:161], s[18:19]
	v_ldexp_f64 v[160:161], v[145:146], 1
	v_add_f64 v[145:146], v[145:146], -v[149:150]
	v_mul_f64 v[147:148], v[162:163], v[147:148]
	v_cvt_f64_i32_e32 v[162:163], v134
	s_delay_alu instid0(VALU_DEP_3) | instskip(NEXT) | instid1(VALU_DEP_3)
	v_add_f64 v[131:132], v[131:132], -v[145:146]
	v_add_f64 v[149:150], v[160:161], v[147:148]
	s_delay_alu instid0(VALU_DEP_3) | instskip(NEXT) | instid1(VALU_DEP_3)
	v_mul_f64 v[164:165], v[162:163], s[20:21]
	v_ldexp_f64 v[131:132], v[131:132], 1
	s_delay_alu instid0(VALU_DEP_3) | instskip(NEXT) | instid1(VALU_DEP_3)
	v_add_f64 v[145:146], v[149:150], -v[160:161]
	v_fma_f64 v[160:161], v[162:163], s[20:21], -v[164:165]
	s_delay_alu instid0(VALU_DEP_2) | instskip(NEXT) | instid1(VALU_DEP_2)
	v_add_f64 v[145:146], v[147:148], -v[145:146]
	v_fma_f64 v[147:148], v[162:163], s[24:25], v[160:161]
	s_delay_alu instid0(VALU_DEP_2) | instskip(NEXT) | instid1(VALU_DEP_2)
	v_add_f64 v[131:132], v[131:132], v[145:146]
	v_add_f64 v[145:146], v[164:165], v[147:148]
	s_delay_alu instid0(VALU_DEP_2) | instskip(NEXT) | instid1(VALU_DEP_2)
	v_add_f64 v[160:161], v[149:150], v[131:132]
	v_add_f64 v[164:165], v[145:146], -v[164:165]
	s_delay_alu instid0(VALU_DEP_2) | instskip(SKIP_1) | instid1(VALU_DEP_3)
	v_add_f64 v[162:163], v[145:146], v[160:161]
	v_add_f64 v[149:150], v[160:161], -v[149:150]
	v_add_f64 v[147:148], v[147:148], -v[164:165]
	s_delay_alu instid0(VALU_DEP_3) | instskip(NEXT) | instid1(VALU_DEP_3)
	v_add_f64 v[209:210], v[162:163], -v[145:146]
	v_add_f64 v[131:132], v[131:132], -v[149:150]
	s_delay_alu instid0(VALU_DEP_2) | instskip(SKIP_1) | instid1(VALU_DEP_3)
	v_add_f64 v[211:212], v[162:163], -v[209:210]
	v_add_f64 v[149:150], v[160:161], -v[209:210]
	v_add_f64 v[160:161], v[147:148], v[131:132]
	s_delay_alu instid0(VALU_DEP_3) | instskip(NEXT) | instid1(VALU_DEP_1)
	v_add_f64 v[145:146], v[145:146], -v[211:212]
	v_add_f64 v[145:146], v[149:150], v[145:146]
	s_delay_alu instid0(VALU_DEP_3) | instskip(NEXT) | instid1(VALU_DEP_2)
	v_add_f64 v[149:150], v[160:161], -v[147:148]
	v_add_f64 v[145:146], v[160:161], v[145:146]
	s_delay_alu instid0(VALU_DEP_2) | instskip(SKIP_1) | instid1(VALU_DEP_3)
	v_add_f64 v[160:161], v[160:161], -v[149:150]
	v_add_f64 v[131:132], v[131:132], -v[149:150]
	v_add_f64 v[164:165], v[162:163], v[145:146]
	s_delay_alu instid0(VALU_DEP_3) | instskip(NEXT) | instid1(VALU_DEP_2)
	v_add_f64 v[147:148], v[147:148], -v[160:161]
	v_add_f64 v[149:150], v[164:165], -v[162:163]
	s_delay_alu instid0(VALU_DEP_2) | instskip(NEXT) | instid1(VALU_DEP_2)
	v_add_f64 v[131:132], v[131:132], v[147:148]
	v_add_f64 v[145:146], v[145:146], -v[149:150]
	s_delay_alu instid0(VALU_DEP_1) | instskip(NEXT) | instid1(VALU_DEP_1)
	v_add_f64 v[131:132], v[131:132], v[145:146]
	v_add_f64 v[131:132], v[164:165], v[131:132]
	s_delay_alu instid0(VALU_DEP_1) | instskip(NEXT) | instid1(VALU_DEP_2)
	v_cndmask_b32_e64 v131, v131, v129, s17
	v_cndmask_b32_e64 v132, v132, v130, s17
	v_cmp_ngt_f64_e64 s17, -1.0, v[129:130]
	s_delay_alu instid0(VALU_DEP_1) | instskip(SKIP_1) | instid1(VALU_DEP_1)
	v_cndmask_b32_e64 v132, 0x7ff80000, v132, s17
	v_cmp_nge_f64_e64 s17, -1.0, v[129:130]
	v_cndmask_b32_e64 v131, 0, v131, s17
	v_cmp_neq_f64_e64 s17, -1.0, v[129:130]
	s_delay_alu instid0(VALU_DEP_1) | instskip(NEXT) | instid1(VALU_DEP_1)
	v_cndmask_b32_e64 v132, 0xfff00000, v132, s17
	v_add_f64 v[129:130], v[48:49], v[131:132]
.LBB56_295:
	s_or_b32 exec_lo, exec_lo, s27
	s_delay_alu instid0(VALU_DEP_1)
	v_dual_mov_b32 v131, v129 :: v_dual_mov_b32 v132, v130
	v_dual_mov_b32 v48, v129 :: v_dual_mov_b32 v49, v130
.LBB56_296:
	s_or_b32 exec_lo, exec_lo, s26
	s_delay_alu instid0(VALU_DEP_2) | instskip(NEXT) | instid1(VALU_DEP_3)
	v_mov_b32_dpp v129, v131 row_shr:2 row_mask:0xf bank_mask:0xf
	v_mov_b32_dpp v130, v132 row_shr:2 row_mask:0xf bank_mask:0xf
	s_mov_b32 s26, exec_lo
	v_cmpx_lt_u32_e32 1, v133
	s_cbranch_execz .LBB56_300
; %bb.297:
	s_delay_alu instid0(VALU_DEP_2) | instskip(SKIP_3) | instid1(VALU_DEP_3)
	v_max_f64 v[131:132], v[129:130], v[129:130]
	v_max_f64 v[145:146], v[48:49], v[48:49]
	v_cmp_u_f64_e64 s17, v[129:130], v[129:130]
	v_cmp_u_f64_e64 s18, v[48:49], v[48:49]
	v_min_f64 v[147:148], v[131:132], v[145:146]
	v_max_f64 v[131:132], v[131:132], v[145:146]
	s_delay_alu instid0(VALU_DEP_2) | instskip(NEXT) | instid1(VALU_DEP_3)
	v_cndmask_b32_e64 v134, v147, v129, s17
	v_cndmask_b32_e64 v145, v148, v130, s17
	s_delay_alu instid0(VALU_DEP_3) | instskip(NEXT) | instid1(VALU_DEP_4)
	v_cndmask_b32_e64 v146, v132, v130, s17
	v_cndmask_b32_e64 v147, v131, v129, s17
	s_delay_alu instid0(VALU_DEP_4) | instskip(NEXT) | instid1(VALU_DEP_4)
	v_cndmask_b32_e64 v131, v134, v48, s18
	v_cndmask_b32_e64 v132, v145, v49, s18
	s_delay_alu instid0(VALU_DEP_4) | instskip(NEXT) | instid1(VALU_DEP_4)
	v_cndmask_b32_e64 v49, v146, v49, s18
	v_cndmask_b32_e64 v48, v147, v48, s18
	s_delay_alu instid0(VALU_DEP_3) | instskip(NEXT) | instid1(VALU_DEP_2)
	v_cmp_class_f64_e64 s18, v[131:132], 0x1f8
	v_cmp_neq_f64_e64 s17, v[131:132], v[48:49]
	s_delay_alu instid0(VALU_DEP_1) | instskip(NEXT) | instid1(SALU_CYCLE_1)
	s_or_b32 s17, s17, s18
	s_and_saveexec_b32 s27, s17
	s_cbranch_execz .LBB56_299
; %bb.298:
	v_add_f64 v[129:130], v[131:132], -v[48:49]
	s_mov_b32 s18, 0x652b82fe
	s_mov_b32 s19, 0x3ff71547
	s_mov_b32 s21, 0xbfe62e42
	s_mov_b32 s20, 0xfefa39ef
	s_mov_b32 s25, 0xbc7abc9e
	s_mov_b32 s24, 0x3b39803f
	s_mov_b32 s28, 0x6a5dcb37
	s_mov_b32 s29, 0x3e5ade15
	s_mov_b32 s30, 0xbf559e2b
	s_mov_b32 s31, 0x3fc3ab76
	s_delay_alu instid0(VALU_DEP_1) | instskip(SKIP_3) | instid1(VALU_DEP_2)
	v_mul_f64 v[131:132], v[129:130], s[18:19]
	s_mov_b32 s18, 0xfca7ab0c
	s_mov_b32 s19, 0x3e928af3
	v_cmp_nlt_f64_e64 s17, 0x40900000, v[129:130]
	v_rndne_f64_e32 v[131:132], v[131:132]
	s_delay_alu instid0(VALU_DEP_1) | instskip(SKIP_2) | instid1(VALU_DEP_2)
	v_fma_f64 v[145:146], v[131:132], s[20:21], v[129:130]
	v_cvt_i32_f64_e32 v134, v[131:132]
	s_mov_b32 s21, 0x3fe62e42
	v_fma_f64 v[145:146], v[131:132], s[24:25], v[145:146]
	s_mov_b32 s25, 0x3c7abc9e
	s_delay_alu instid0(VALU_DEP_1) | instskip(SKIP_4) | instid1(VALU_DEP_1)
	v_fma_f64 v[147:148], v[145:146], s[28:29], s[18:19]
	s_mov_b32 s18, 0x623fde64
	s_mov_b32 s19, 0x3ec71dee
	;; [unrolled: 1-line block ×4, first 2 shown]
	v_fma_f64 v[147:148], v[145:146], v[147:148], s[18:19]
	s_mov_b32 s18, 0x7c89e6b0
	s_mov_b32 s19, 0x3efa0199
	s_delay_alu instid0(VALU_DEP_1) | instid1(SALU_CYCLE_1)
	v_fma_f64 v[147:148], v[145:146], v[147:148], s[18:19]
	s_mov_b32 s18, 0x14761f6e
	s_mov_b32 s19, 0x3f2a01a0
	s_delay_alu instid0(VALU_DEP_1) | instid1(SALU_CYCLE_1)
	v_fma_f64 v[147:148], v[145:146], v[147:148], s[18:19]
	s_mov_b32 s18, 0x1852b7b0
	s_mov_b32 s19, 0x3f56c16c
	s_delay_alu instid0(VALU_DEP_1) | instid1(SALU_CYCLE_1)
	v_fma_f64 v[147:148], v[145:146], v[147:148], s[18:19]
	s_mov_b32 s18, 0x11122322
	s_mov_b32 s19, 0x3f811111
	s_delay_alu instid0(VALU_DEP_1) | instid1(SALU_CYCLE_1)
	v_fma_f64 v[147:148], v[145:146], v[147:148], s[18:19]
	s_mov_b32 s18, 0x555502a1
	s_mov_b32 s19, 0x3fa55555
	s_delay_alu instid0(VALU_DEP_1) | instid1(SALU_CYCLE_1)
	v_fma_f64 v[147:148], v[145:146], v[147:148], s[18:19]
	s_mov_b32 s18, 0x55555511
	s_mov_b32 s19, 0x3fc55555
	s_delay_alu instid0(VALU_DEP_1) | instid1(SALU_CYCLE_1)
	v_fma_f64 v[147:148], v[145:146], v[147:148], s[18:19]
	s_mov_b32 s18, 11
	s_mov_b32 s19, 0x3fe00000
	s_delay_alu instid0(VALU_DEP_1) | instid1(SALU_CYCLE_1)
	v_fma_f64 v[147:148], v[145:146], v[147:148], s[18:19]
	v_cmp_ngt_f64_e64 s18, 0xc090cc00, v[129:130]
	s_mov_b32 s19, 0x3fe55555
	s_delay_alu instid0(VALU_DEP_2) | instskip(NEXT) | instid1(VALU_DEP_1)
	v_fma_f64 v[147:148], v[145:146], v[147:148], 1.0
	v_fma_f64 v[131:132], v[145:146], v[147:148], 1.0
	s_delay_alu instid0(VALU_DEP_1) | instskip(NEXT) | instid1(VALU_DEP_1)
	v_ldexp_f64 v[131:132], v[131:132], v134
	v_cndmask_b32_e64 v132, 0x7ff00000, v132, s17
	s_and_b32 s17, s18, s17
	s_delay_alu instid0(VALU_DEP_2) | instid1(SALU_CYCLE_1)
	v_cndmask_b32_e64 v129, 0, v131, s17
	s_delay_alu instid0(VALU_DEP_2) | instskip(SKIP_1) | instid1(VALU_DEP_1)
	v_cndmask_b32_e64 v130, 0, v132, s18
	s_mov_b32 s18, 0x55555555
	v_add_f64 v[131:132], v[129:130], 1.0
	s_delay_alu instid0(VALU_DEP_1) | instskip(SKIP_2) | instid1(VALU_DEP_3)
	v_frexp_mant_f64_e32 v[145:146], v[131:132]
	v_frexp_exp_i32_f64_e32 v134, v[131:132]
	v_add_f64 v[147:148], v[131:132], -1.0
	v_cmp_gt_f64_e64 s17, s[18:19], v[145:146]
	s_mov_b32 s18, 0x55555780
	s_delay_alu instid0(VALU_DEP_2) | instskip(SKIP_1) | instid1(VALU_DEP_3)
	v_add_f64 v[145:146], v[147:148], -v[131:132]
	v_add_f64 v[147:148], v[129:130], -v[147:148]
	v_subrev_co_ci_u32_e64 v134, s17, 0, v134, s17
	s_delay_alu instid0(VALU_DEP_3) | instskip(SKIP_1) | instid1(VALU_DEP_3)
	v_add_f64 v[145:146], v[145:146], 1.0
	v_cmp_eq_f64_e64 s17, 0x7ff00000, v[129:130]
	v_sub_nc_u32_e32 v151, 0, v134
	s_delay_alu instid0(VALU_DEP_1) | instskip(NEXT) | instid1(VALU_DEP_4)
	v_ldexp_f64 v[131:132], v[131:132], v151
	v_add_f64 v[145:146], v[147:148], v[145:146]
	s_delay_alu instid0(VALU_DEP_2) | instskip(SKIP_1) | instid1(VALU_DEP_3)
	v_add_f64 v[149:150], v[131:132], 1.0
	v_add_f64 v[164:165], v[131:132], -1.0
	v_ldexp_f64 v[145:146], v[145:146], v151
	s_delay_alu instid0(VALU_DEP_3) | instskip(NEXT) | instid1(VALU_DEP_3)
	v_add_f64 v[147:148], v[149:150], -1.0
	v_add_f64 v[209:210], v[164:165], 1.0
	s_delay_alu instid0(VALU_DEP_2) | instskip(NEXT) | instid1(VALU_DEP_2)
	v_add_f64 v[147:148], v[131:132], -v[147:148]
	v_add_f64 v[131:132], v[131:132], -v[209:210]
	s_delay_alu instid0(VALU_DEP_2) | instskip(NEXT) | instid1(VALU_DEP_2)
	v_add_f64 v[147:148], v[145:146], v[147:148]
	v_add_f64 v[131:132], v[145:146], v[131:132]
	s_delay_alu instid0(VALU_DEP_2) | instskip(NEXT) | instid1(VALU_DEP_2)
	v_add_f64 v[160:161], v[149:150], v[147:148]
	v_add_f64 v[209:210], v[164:165], v[131:132]
	s_delay_alu instid0(VALU_DEP_2) | instskip(SKIP_1) | instid1(VALU_DEP_2)
	v_rcp_f64_e32 v[162:163], v[160:161]
	v_add_f64 v[149:150], v[160:161], -v[149:150]
	v_add_f64 v[164:165], v[209:210], -v[164:165]
	s_delay_alu instid0(VALU_DEP_2) | instskip(SKIP_3) | instid1(VALU_DEP_2)
	v_add_f64 v[147:148], v[147:148], -v[149:150]
	s_waitcnt_depctr 0xfff
	v_fma_f64 v[211:212], -v[160:161], v[162:163], 1.0
	v_add_f64 v[131:132], v[131:132], -v[164:165]
	v_fma_f64 v[162:163], v[211:212], v[162:163], v[162:163]
	s_delay_alu instid0(VALU_DEP_1) | instskip(NEXT) | instid1(VALU_DEP_1)
	v_fma_f64 v[145:146], -v[160:161], v[162:163], 1.0
	v_fma_f64 v[145:146], v[145:146], v[162:163], v[162:163]
	s_delay_alu instid0(VALU_DEP_1) | instskip(NEXT) | instid1(VALU_DEP_1)
	v_mul_f64 v[162:163], v[209:210], v[145:146]
	v_mul_f64 v[211:212], v[160:161], v[162:163]
	s_delay_alu instid0(VALU_DEP_1) | instskip(NEXT) | instid1(VALU_DEP_1)
	v_fma_f64 v[149:150], v[162:163], v[160:161], -v[211:212]
	v_fma_f64 v[149:150], v[162:163], v[147:148], v[149:150]
	s_delay_alu instid0(VALU_DEP_1) | instskip(NEXT) | instid1(VALU_DEP_1)
	v_add_f64 v[213:214], v[211:212], v[149:150]
	v_add_f64 v[224:225], v[209:210], -v[213:214]
	v_add_f64 v[164:165], v[213:214], -v[211:212]
	s_delay_alu instid0(VALU_DEP_2) | instskip(NEXT) | instid1(VALU_DEP_2)
	v_add_f64 v[209:210], v[209:210], -v[224:225]
	v_add_f64 v[149:150], v[164:165], -v[149:150]
	s_delay_alu instid0(VALU_DEP_2) | instskip(NEXT) | instid1(VALU_DEP_1)
	v_add_f64 v[209:210], v[209:210], -v[213:214]
	v_add_f64 v[131:132], v[131:132], v[209:210]
	s_delay_alu instid0(VALU_DEP_1) | instskip(NEXT) | instid1(VALU_DEP_1)
	v_add_f64 v[131:132], v[149:150], v[131:132]
	v_add_f64 v[149:150], v[224:225], v[131:132]
	s_delay_alu instid0(VALU_DEP_1) | instskip(SKIP_1) | instid1(VALU_DEP_2)
	v_mul_f64 v[164:165], v[145:146], v[149:150]
	v_add_f64 v[213:214], v[224:225], -v[149:150]
	v_mul_f64 v[209:210], v[160:161], v[164:165]
	s_delay_alu instid0(VALU_DEP_2) | instskip(NEXT) | instid1(VALU_DEP_2)
	v_add_f64 v[131:132], v[131:132], v[213:214]
	v_fma_f64 v[160:161], v[164:165], v[160:161], -v[209:210]
	s_delay_alu instid0(VALU_DEP_1) | instskip(NEXT) | instid1(VALU_DEP_1)
	v_fma_f64 v[147:148], v[164:165], v[147:148], v[160:161]
	v_add_f64 v[160:161], v[209:210], v[147:148]
	s_delay_alu instid0(VALU_DEP_1) | instskip(SKIP_1) | instid1(VALU_DEP_2)
	v_add_f64 v[211:212], v[149:150], -v[160:161]
	v_add_f64 v[209:210], v[160:161], -v[209:210]
	;; [unrolled: 1-line block ×3, first 2 shown]
	s_delay_alu instid0(VALU_DEP_2) | instskip(NEXT) | instid1(VALU_DEP_2)
	v_add_f64 v[147:148], v[209:210], -v[147:148]
	v_add_f64 v[149:150], v[149:150], -v[160:161]
	s_delay_alu instid0(VALU_DEP_1) | instskip(SKIP_1) | instid1(VALU_DEP_2)
	v_add_f64 v[131:132], v[131:132], v[149:150]
	v_add_f64 v[149:150], v[162:163], v[164:165]
	v_add_f64 v[131:132], v[147:148], v[131:132]
	s_delay_alu instid0(VALU_DEP_2) | instskip(NEXT) | instid1(VALU_DEP_2)
	v_add_f64 v[147:148], v[149:150], -v[162:163]
	v_add_f64 v[131:132], v[211:212], v[131:132]
	s_delay_alu instid0(VALU_DEP_2) | instskip(NEXT) | instid1(VALU_DEP_2)
	v_add_f64 v[147:148], v[164:165], -v[147:148]
	v_mul_f64 v[131:132], v[145:146], v[131:132]
	s_delay_alu instid0(VALU_DEP_1) | instskip(NEXT) | instid1(VALU_DEP_1)
	v_add_f64 v[131:132], v[147:148], v[131:132]
	v_add_f64 v[145:146], v[149:150], v[131:132]
	s_delay_alu instid0(VALU_DEP_1) | instskip(NEXT) | instid1(VALU_DEP_1)
	v_mul_f64 v[147:148], v[145:146], v[145:146]
	v_fma_f64 v[160:161], v[147:148], s[30:31], s[28:29]
	s_mov_b32 s28, 0xd7f4df2e
	s_mov_b32 s29, 0x3fc7474d
	v_mul_f64 v[162:163], v[145:146], v[147:148]
	s_delay_alu instid0(VALU_DEP_2)
	v_fma_f64 v[160:161], v[147:148], v[160:161], s[28:29]
	s_mov_b32 s28, 0x16291751
	s_mov_b32 s29, 0x3fcc71c0
	s_delay_alu instid0(VALU_DEP_1) | instid1(SALU_CYCLE_1)
	v_fma_f64 v[160:161], v[147:148], v[160:161], s[28:29]
	s_mov_b32 s28, 0x9b27acf1
	s_mov_b32 s29, 0x3fd24924
	s_delay_alu instid0(VALU_DEP_1) | instid1(SALU_CYCLE_1)
	;; [unrolled: 4-line block ×3, first 2 shown]
	v_fma_f64 v[160:161], v[147:148], v[160:161], s[28:29]
	s_delay_alu instid0(VALU_DEP_1) | instskip(SKIP_2) | instid1(VALU_DEP_3)
	v_fma_f64 v[147:148], v[147:148], v[160:161], s[18:19]
	v_ldexp_f64 v[160:161], v[145:146], 1
	v_add_f64 v[145:146], v[145:146], -v[149:150]
	v_mul_f64 v[147:148], v[162:163], v[147:148]
	v_cvt_f64_i32_e32 v[162:163], v134
	s_delay_alu instid0(VALU_DEP_3) | instskip(NEXT) | instid1(VALU_DEP_3)
	v_add_f64 v[131:132], v[131:132], -v[145:146]
	v_add_f64 v[149:150], v[160:161], v[147:148]
	s_delay_alu instid0(VALU_DEP_3) | instskip(NEXT) | instid1(VALU_DEP_3)
	v_mul_f64 v[164:165], v[162:163], s[20:21]
	v_ldexp_f64 v[131:132], v[131:132], 1
	s_delay_alu instid0(VALU_DEP_3) | instskip(NEXT) | instid1(VALU_DEP_3)
	v_add_f64 v[145:146], v[149:150], -v[160:161]
	v_fma_f64 v[160:161], v[162:163], s[20:21], -v[164:165]
	s_delay_alu instid0(VALU_DEP_2) | instskip(NEXT) | instid1(VALU_DEP_2)
	v_add_f64 v[145:146], v[147:148], -v[145:146]
	v_fma_f64 v[147:148], v[162:163], s[24:25], v[160:161]
	s_delay_alu instid0(VALU_DEP_2) | instskip(NEXT) | instid1(VALU_DEP_2)
	v_add_f64 v[131:132], v[131:132], v[145:146]
	v_add_f64 v[145:146], v[164:165], v[147:148]
	s_delay_alu instid0(VALU_DEP_2) | instskip(NEXT) | instid1(VALU_DEP_2)
	v_add_f64 v[160:161], v[149:150], v[131:132]
	v_add_f64 v[164:165], v[145:146], -v[164:165]
	s_delay_alu instid0(VALU_DEP_2) | instskip(SKIP_1) | instid1(VALU_DEP_3)
	v_add_f64 v[162:163], v[145:146], v[160:161]
	v_add_f64 v[149:150], v[160:161], -v[149:150]
	v_add_f64 v[147:148], v[147:148], -v[164:165]
	s_delay_alu instid0(VALU_DEP_3) | instskip(NEXT) | instid1(VALU_DEP_3)
	v_add_f64 v[209:210], v[162:163], -v[145:146]
	v_add_f64 v[131:132], v[131:132], -v[149:150]
	s_delay_alu instid0(VALU_DEP_2) | instskip(SKIP_1) | instid1(VALU_DEP_3)
	v_add_f64 v[211:212], v[162:163], -v[209:210]
	v_add_f64 v[149:150], v[160:161], -v[209:210]
	v_add_f64 v[160:161], v[147:148], v[131:132]
	s_delay_alu instid0(VALU_DEP_3) | instskip(NEXT) | instid1(VALU_DEP_1)
	v_add_f64 v[145:146], v[145:146], -v[211:212]
	v_add_f64 v[145:146], v[149:150], v[145:146]
	s_delay_alu instid0(VALU_DEP_3) | instskip(NEXT) | instid1(VALU_DEP_2)
	v_add_f64 v[149:150], v[160:161], -v[147:148]
	v_add_f64 v[145:146], v[160:161], v[145:146]
	s_delay_alu instid0(VALU_DEP_2) | instskip(SKIP_1) | instid1(VALU_DEP_3)
	v_add_f64 v[160:161], v[160:161], -v[149:150]
	v_add_f64 v[131:132], v[131:132], -v[149:150]
	v_add_f64 v[164:165], v[162:163], v[145:146]
	s_delay_alu instid0(VALU_DEP_3) | instskip(NEXT) | instid1(VALU_DEP_2)
	v_add_f64 v[147:148], v[147:148], -v[160:161]
	v_add_f64 v[149:150], v[164:165], -v[162:163]
	s_delay_alu instid0(VALU_DEP_2) | instskip(NEXT) | instid1(VALU_DEP_2)
	v_add_f64 v[131:132], v[131:132], v[147:148]
	v_add_f64 v[145:146], v[145:146], -v[149:150]
	s_delay_alu instid0(VALU_DEP_1) | instskip(NEXT) | instid1(VALU_DEP_1)
	v_add_f64 v[131:132], v[131:132], v[145:146]
	v_add_f64 v[131:132], v[164:165], v[131:132]
	s_delay_alu instid0(VALU_DEP_1) | instskip(NEXT) | instid1(VALU_DEP_2)
	v_cndmask_b32_e64 v131, v131, v129, s17
	v_cndmask_b32_e64 v132, v132, v130, s17
	v_cmp_ngt_f64_e64 s17, -1.0, v[129:130]
	s_delay_alu instid0(VALU_DEP_1) | instskip(SKIP_1) | instid1(VALU_DEP_1)
	v_cndmask_b32_e64 v132, 0x7ff80000, v132, s17
	v_cmp_nge_f64_e64 s17, -1.0, v[129:130]
	v_cndmask_b32_e64 v131, 0, v131, s17
	v_cmp_neq_f64_e64 s17, -1.0, v[129:130]
	s_delay_alu instid0(VALU_DEP_1) | instskip(NEXT) | instid1(VALU_DEP_1)
	v_cndmask_b32_e64 v132, 0xfff00000, v132, s17
	v_add_f64 v[129:130], v[48:49], v[131:132]
.LBB56_299:
	s_or_b32 exec_lo, exec_lo, s27
	s_delay_alu instid0(VALU_DEP_1)
	v_dual_mov_b32 v48, v129 :: v_dual_mov_b32 v49, v130
	v_dual_mov_b32 v131, v129 :: v_dual_mov_b32 v132, v130
.LBB56_300:
	s_or_b32 exec_lo, exec_lo, s26
	s_delay_alu instid0(VALU_DEP_1) | instskip(NEXT) | instid1(VALU_DEP_2)
	v_mov_b32_dpp v129, v131 row_shr:4 row_mask:0xf bank_mask:0xf
	v_mov_b32_dpp v130, v132 row_shr:4 row_mask:0xf bank_mask:0xf
	s_mov_b32 s26, exec_lo
	v_cmpx_lt_u32_e32 3, v133
	s_cbranch_execz .LBB56_304
; %bb.301:
	s_delay_alu instid0(VALU_DEP_2) | instskip(SKIP_3) | instid1(VALU_DEP_3)
	v_max_f64 v[131:132], v[129:130], v[129:130]
	v_max_f64 v[145:146], v[48:49], v[48:49]
	v_cmp_u_f64_e64 s17, v[129:130], v[129:130]
	v_cmp_u_f64_e64 s18, v[48:49], v[48:49]
	v_min_f64 v[147:148], v[131:132], v[145:146]
	v_max_f64 v[131:132], v[131:132], v[145:146]
	s_delay_alu instid0(VALU_DEP_2) | instskip(NEXT) | instid1(VALU_DEP_3)
	v_cndmask_b32_e64 v134, v147, v129, s17
	v_cndmask_b32_e64 v145, v148, v130, s17
	s_delay_alu instid0(VALU_DEP_3) | instskip(NEXT) | instid1(VALU_DEP_4)
	v_cndmask_b32_e64 v146, v132, v130, s17
	v_cndmask_b32_e64 v147, v131, v129, s17
	s_delay_alu instid0(VALU_DEP_4) | instskip(NEXT) | instid1(VALU_DEP_4)
	v_cndmask_b32_e64 v131, v134, v48, s18
	v_cndmask_b32_e64 v132, v145, v49, s18
	s_delay_alu instid0(VALU_DEP_4) | instskip(NEXT) | instid1(VALU_DEP_4)
	v_cndmask_b32_e64 v49, v146, v49, s18
	v_cndmask_b32_e64 v48, v147, v48, s18
	s_delay_alu instid0(VALU_DEP_3) | instskip(NEXT) | instid1(VALU_DEP_2)
	v_cmp_class_f64_e64 s18, v[131:132], 0x1f8
	v_cmp_neq_f64_e64 s17, v[131:132], v[48:49]
	s_delay_alu instid0(VALU_DEP_1) | instskip(NEXT) | instid1(SALU_CYCLE_1)
	s_or_b32 s17, s17, s18
	s_and_saveexec_b32 s27, s17
	s_cbranch_execz .LBB56_303
; %bb.302:
	v_add_f64 v[129:130], v[131:132], -v[48:49]
	s_mov_b32 s18, 0x652b82fe
	s_mov_b32 s19, 0x3ff71547
	;; [unrolled: 1-line block ×10, first 2 shown]
	s_delay_alu instid0(VALU_DEP_1) | instskip(SKIP_3) | instid1(VALU_DEP_2)
	v_mul_f64 v[131:132], v[129:130], s[18:19]
	s_mov_b32 s18, 0xfca7ab0c
	s_mov_b32 s19, 0x3e928af3
	v_cmp_nlt_f64_e64 s17, 0x40900000, v[129:130]
	v_rndne_f64_e32 v[131:132], v[131:132]
	s_delay_alu instid0(VALU_DEP_1) | instskip(SKIP_2) | instid1(VALU_DEP_2)
	v_fma_f64 v[145:146], v[131:132], s[20:21], v[129:130]
	v_cvt_i32_f64_e32 v134, v[131:132]
	s_mov_b32 s21, 0x3fe62e42
	v_fma_f64 v[145:146], v[131:132], s[24:25], v[145:146]
	s_mov_b32 s25, 0x3c7abc9e
	s_delay_alu instid0(VALU_DEP_1) | instskip(SKIP_4) | instid1(VALU_DEP_1)
	v_fma_f64 v[147:148], v[145:146], s[28:29], s[18:19]
	s_mov_b32 s18, 0x623fde64
	s_mov_b32 s19, 0x3ec71dee
	;; [unrolled: 1-line block ×4, first 2 shown]
	v_fma_f64 v[147:148], v[145:146], v[147:148], s[18:19]
	s_mov_b32 s18, 0x7c89e6b0
	s_mov_b32 s19, 0x3efa0199
	s_delay_alu instid0(VALU_DEP_1) | instid1(SALU_CYCLE_1)
	v_fma_f64 v[147:148], v[145:146], v[147:148], s[18:19]
	s_mov_b32 s18, 0x14761f6e
	s_mov_b32 s19, 0x3f2a01a0
	s_delay_alu instid0(VALU_DEP_1) | instid1(SALU_CYCLE_1)
	;; [unrolled: 4-line block ×7, first 2 shown]
	v_fma_f64 v[147:148], v[145:146], v[147:148], s[18:19]
	v_cmp_ngt_f64_e64 s18, 0xc090cc00, v[129:130]
	s_mov_b32 s19, 0x3fe55555
	s_delay_alu instid0(VALU_DEP_2) | instskip(NEXT) | instid1(VALU_DEP_1)
	v_fma_f64 v[147:148], v[145:146], v[147:148], 1.0
	v_fma_f64 v[131:132], v[145:146], v[147:148], 1.0
	s_delay_alu instid0(VALU_DEP_1) | instskip(NEXT) | instid1(VALU_DEP_1)
	v_ldexp_f64 v[131:132], v[131:132], v134
	v_cndmask_b32_e64 v132, 0x7ff00000, v132, s17
	s_and_b32 s17, s18, s17
	s_delay_alu instid0(VALU_DEP_2) | instid1(SALU_CYCLE_1)
	v_cndmask_b32_e64 v129, 0, v131, s17
	s_delay_alu instid0(VALU_DEP_2) | instskip(SKIP_1) | instid1(VALU_DEP_1)
	v_cndmask_b32_e64 v130, 0, v132, s18
	s_mov_b32 s18, 0x55555555
	v_add_f64 v[131:132], v[129:130], 1.0
	s_delay_alu instid0(VALU_DEP_1) | instskip(SKIP_2) | instid1(VALU_DEP_3)
	v_frexp_mant_f64_e32 v[145:146], v[131:132]
	v_frexp_exp_i32_f64_e32 v134, v[131:132]
	v_add_f64 v[147:148], v[131:132], -1.0
	v_cmp_gt_f64_e64 s17, s[18:19], v[145:146]
	s_mov_b32 s18, 0x55555780
	s_delay_alu instid0(VALU_DEP_2) | instskip(SKIP_1) | instid1(VALU_DEP_3)
	v_add_f64 v[145:146], v[147:148], -v[131:132]
	v_add_f64 v[147:148], v[129:130], -v[147:148]
	v_subrev_co_ci_u32_e64 v134, s17, 0, v134, s17
	s_delay_alu instid0(VALU_DEP_3) | instskip(SKIP_1) | instid1(VALU_DEP_3)
	v_add_f64 v[145:146], v[145:146], 1.0
	v_cmp_eq_f64_e64 s17, 0x7ff00000, v[129:130]
	v_sub_nc_u32_e32 v151, 0, v134
	s_delay_alu instid0(VALU_DEP_1) | instskip(NEXT) | instid1(VALU_DEP_4)
	v_ldexp_f64 v[131:132], v[131:132], v151
	v_add_f64 v[145:146], v[147:148], v[145:146]
	s_delay_alu instid0(VALU_DEP_2) | instskip(SKIP_1) | instid1(VALU_DEP_3)
	v_add_f64 v[149:150], v[131:132], 1.0
	v_add_f64 v[164:165], v[131:132], -1.0
	v_ldexp_f64 v[145:146], v[145:146], v151
	s_delay_alu instid0(VALU_DEP_3) | instskip(NEXT) | instid1(VALU_DEP_3)
	v_add_f64 v[147:148], v[149:150], -1.0
	v_add_f64 v[209:210], v[164:165], 1.0
	s_delay_alu instid0(VALU_DEP_2) | instskip(NEXT) | instid1(VALU_DEP_2)
	v_add_f64 v[147:148], v[131:132], -v[147:148]
	v_add_f64 v[131:132], v[131:132], -v[209:210]
	s_delay_alu instid0(VALU_DEP_2) | instskip(NEXT) | instid1(VALU_DEP_2)
	v_add_f64 v[147:148], v[145:146], v[147:148]
	v_add_f64 v[131:132], v[145:146], v[131:132]
	s_delay_alu instid0(VALU_DEP_2) | instskip(NEXT) | instid1(VALU_DEP_2)
	v_add_f64 v[160:161], v[149:150], v[147:148]
	v_add_f64 v[209:210], v[164:165], v[131:132]
	s_delay_alu instid0(VALU_DEP_2) | instskip(SKIP_1) | instid1(VALU_DEP_2)
	v_rcp_f64_e32 v[162:163], v[160:161]
	v_add_f64 v[149:150], v[160:161], -v[149:150]
	v_add_f64 v[164:165], v[209:210], -v[164:165]
	s_delay_alu instid0(VALU_DEP_2) | instskip(SKIP_3) | instid1(VALU_DEP_2)
	v_add_f64 v[147:148], v[147:148], -v[149:150]
	s_waitcnt_depctr 0xfff
	v_fma_f64 v[211:212], -v[160:161], v[162:163], 1.0
	v_add_f64 v[131:132], v[131:132], -v[164:165]
	v_fma_f64 v[162:163], v[211:212], v[162:163], v[162:163]
	s_delay_alu instid0(VALU_DEP_1) | instskip(NEXT) | instid1(VALU_DEP_1)
	v_fma_f64 v[145:146], -v[160:161], v[162:163], 1.0
	v_fma_f64 v[145:146], v[145:146], v[162:163], v[162:163]
	s_delay_alu instid0(VALU_DEP_1) | instskip(NEXT) | instid1(VALU_DEP_1)
	v_mul_f64 v[162:163], v[209:210], v[145:146]
	v_mul_f64 v[211:212], v[160:161], v[162:163]
	s_delay_alu instid0(VALU_DEP_1) | instskip(NEXT) | instid1(VALU_DEP_1)
	v_fma_f64 v[149:150], v[162:163], v[160:161], -v[211:212]
	v_fma_f64 v[149:150], v[162:163], v[147:148], v[149:150]
	s_delay_alu instid0(VALU_DEP_1) | instskip(NEXT) | instid1(VALU_DEP_1)
	v_add_f64 v[213:214], v[211:212], v[149:150]
	v_add_f64 v[224:225], v[209:210], -v[213:214]
	v_add_f64 v[164:165], v[213:214], -v[211:212]
	s_delay_alu instid0(VALU_DEP_2) | instskip(NEXT) | instid1(VALU_DEP_2)
	v_add_f64 v[209:210], v[209:210], -v[224:225]
	v_add_f64 v[149:150], v[164:165], -v[149:150]
	s_delay_alu instid0(VALU_DEP_2) | instskip(NEXT) | instid1(VALU_DEP_1)
	v_add_f64 v[209:210], v[209:210], -v[213:214]
	v_add_f64 v[131:132], v[131:132], v[209:210]
	s_delay_alu instid0(VALU_DEP_1) | instskip(NEXT) | instid1(VALU_DEP_1)
	v_add_f64 v[131:132], v[149:150], v[131:132]
	v_add_f64 v[149:150], v[224:225], v[131:132]
	s_delay_alu instid0(VALU_DEP_1) | instskip(SKIP_1) | instid1(VALU_DEP_2)
	v_mul_f64 v[164:165], v[145:146], v[149:150]
	v_add_f64 v[213:214], v[224:225], -v[149:150]
	v_mul_f64 v[209:210], v[160:161], v[164:165]
	s_delay_alu instid0(VALU_DEP_2) | instskip(NEXT) | instid1(VALU_DEP_2)
	v_add_f64 v[131:132], v[131:132], v[213:214]
	v_fma_f64 v[160:161], v[164:165], v[160:161], -v[209:210]
	s_delay_alu instid0(VALU_DEP_1) | instskip(NEXT) | instid1(VALU_DEP_1)
	v_fma_f64 v[147:148], v[164:165], v[147:148], v[160:161]
	v_add_f64 v[160:161], v[209:210], v[147:148]
	s_delay_alu instid0(VALU_DEP_1) | instskip(SKIP_1) | instid1(VALU_DEP_2)
	v_add_f64 v[211:212], v[149:150], -v[160:161]
	v_add_f64 v[209:210], v[160:161], -v[209:210]
	v_add_f64 v[149:150], v[149:150], -v[211:212]
	s_delay_alu instid0(VALU_DEP_2) | instskip(NEXT) | instid1(VALU_DEP_2)
	v_add_f64 v[147:148], v[209:210], -v[147:148]
	v_add_f64 v[149:150], v[149:150], -v[160:161]
	s_delay_alu instid0(VALU_DEP_1) | instskip(SKIP_1) | instid1(VALU_DEP_2)
	v_add_f64 v[131:132], v[131:132], v[149:150]
	v_add_f64 v[149:150], v[162:163], v[164:165]
	;; [unrolled: 1-line block ×3, first 2 shown]
	s_delay_alu instid0(VALU_DEP_2) | instskip(NEXT) | instid1(VALU_DEP_2)
	v_add_f64 v[147:148], v[149:150], -v[162:163]
	v_add_f64 v[131:132], v[211:212], v[131:132]
	s_delay_alu instid0(VALU_DEP_2) | instskip(NEXT) | instid1(VALU_DEP_2)
	v_add_f64 v[147:148], v[164:165], -v[147:148]
	v_mul_f64 v[131:132], v[145:146], v[131:132]
	s_delay_alu instid0(VALU_DEP_1) | instskip(NEXT) | instid1(VALU_DEP_1)
	v_add_f64 v[131:132], v[147:148], v[131:132]
	v_add_f64 v[145:146], v[149:150], v[131:132]
	s_delay_alu instid0(VALU_DEP_1) | instskip(NEXT) | instid1(VALU_DEP_1)
	v_mul_f64 v[147:148], v[145:146], v[145:146]
	v_fma_f64 v[160:161], v[147:148], s[30:31], s[28:29]
	s_mov_b32 s28, 0xd7f4df2e
	s_mov_b32 s29, 0x3fc7474d
	v_mul_f64 v[162:163], v[145:146], v[147:148]
	s_delay_alu instid0(VALU_DEP_2)
	v_fma_f64 v[160:161], v[147:148], v[160:161], s[28:29]
	s_mov_b32 s28, 0x16291751
	s_mov_b32 s29, 0x3fcc71c0
	s_delay_alu instid0(VALU_DEP_1) | instid1(SALU_CYCLE_1)
	v_fma_f64 v[160:161], v[147:148], v[160:161], s[28:29]
	s_mov_b32 s28, 0x9b27acf1
	s_mov_b32 s29, 0x3fd24924
	s_delay_alu instid0(VALU_DEP_1) | instid1(SALU_CYCLE_1)
	;; [unrolled: 4-line block ×3, first 2 shown]
	v_fma_f64 v[160:161], v[147:148], v[160:161], s[28:29]
	s_delay_alu instid0(VALU_DEP_1) | instskip(SKIP_2) | instid1(VALU_DEP_3)
	v_fma_f64 v[147:148], v[147:148], v[160:161], s[18:19]
	v_ldexp_f64 v[160:161], v[145:146], 1
	v_add_f64 v[145:146], v[145:146], -v[149:150]
	v_mul_f64 v[147:148], v[162:163], v[147:148]
	v_cvt_f64_i32_e32 v[162:163], v134
	s_delay_alu instid0(VALU_DEP_3) | instskip(NEXT) | instid1(VALU_DEP_3)
	v_add_f64 v[131:132], v[131:132], -v[145:146]
	v_add_f64 v[149:150], v[160:161], v[147:148]
	s_delay_alu instid0(VALU_DEP_3) | instskip(NEXT) | instid1(VALU_DEP_3)
	v_mul_f64 v[164:165], v[162:163], s[20:21]
	v_ldexp_f64 v[131:132], v[131:132], 1
	s_delay_alu instid0(VALU_DEP_3) | instskip(NEXT) | instid1(VALU_DEP_3)
	v_add_f64 v[145:146], v[149:150], -v[160:161]
	v_fma_f64 v[160:161], v[162:163], s[20:21], -v[164:165]
	s_delay_alu instid0(VALU_DEP_2) | instskip(NEXT) | instid1(VALU_DEP_2)
	v_add_f64 v[145:146], v[147:148], -v[145:146]
	v_fma_f64 v[147:148], v[162:163], s[24:25], v[160:161]
	s_delay_alu instid0(VALU_DEP_2) | instskip(NEXT) | instid1(VALU_DEP_2)
	v_add_f64 v[131:132], v[131:132], v[145:146]
	v_add_f64 v[145:146], v[164:165], v[147:148]
	s_delay_alu instid0(VALU_DEP_2) | instskip(NEXT) | instid1(VALU_DEP_2)
	v_add_f64 v[160:161], v[149:150], v[131:132]
	v_add_f64 v[164:165], v[145:146], -v[164:165]
	s_delay_alu instid0(VALU_DEP_2) | instskip(SKIP_1) | instid1(VALU_DEP_3)
	v_add_f64 v[162:163], v[145:146], v[160:161]
	v_add_f64 v[149:150], v[160:161], -v[149:150]
	v_add_f64 v[147:148], v[147:148], -v[164:165]
	s_delay_alu instid0(VALU_DEP_3) | instskip(NEXT) | instid1(VALU_DEP_3)
	v_add_f64 v[209:210], v[162:163], -v[145:146]
	v_add_f64 v[131:132], v[131:132], -v[149:150]
	s_delay_alu instid0(VALU_DEP_2) | instskip(SKIP_1) | instid1(VALU_DEP_3)
	v_add_f64 v[211:212], v[162:163], -v[209:210]
	v_add_f64 v[149:150], v[160:161], -v[209:210]
	v_add_f64 v[160:161], v[147:148], v[131:132]
	s_delay_alu instid0(VALU_DEP_3) | instskip(NEXT) | instid1(VALU_DEP_1)
	v_add_f64 v[145:146], v[145:146], -v[211:212]
	v_add_f64 v[145:146], v[149:150], v[145:146]
	s_delay_alu instid0(VALU_DEP_3) | instskip(NEXT) | instid1(VALU_DEP_2)
	v_add_f64 v[149:150], v[160:161], -v[147:148]
	v_add_f64 v[145:146], v[160:161], v[145:146]
	s_delay_alu instid0(VALU_DEP_2) | instskip(SKIP_1) | instid1(VALU_DEP_3)
	v_add_f64 v[160:161], v[160:161], -v[149:150]
	v_add_f64 v[131:132], v[131:132], -v[149:150]
	v_add_f64 v[164:165], v[162:163], v[145:146]
	s_delay_alu instid0(VALU_DEP_3) | instskip(NEXT) | instid1(VALU_DEP_2)
	v_add_f64 v[147:148], v[147:148], -v[160:161]
	v_add_f64 v[149:150], v[164:165], -v[162:163]
	s_delay_alu instid0(VALU_DEP_2) | instskip(NEXT) | instid1(VALU_DEP_2)
	v_add_f64 v[131:132], v[131:132], v[147:148]
	v_add_f64 v[145:146], v[145:146], -v[149:150]
	s_delay_alu instid0(VALU_DEP_1) | instskip(NEXT) | instid1(VALU_DEP_1)
	v_add_f64 v[131:132], v[131:132], v[145:146]
	v_add_f64 v[131:132], v[164:165], v[131:132]
	s_delay_alu instid0(VALU_DEP_1) | instskip(NEXT) | instid1(VALU_DEP_2)
	v_cndmask_b32_e64 v131, v131, v129, s17
	v_cndmask_b32_e64 v132, v132, v130, s17
	v_cmp_ngt_f64_e64 s17, -1.0, v[129:130]
	s_delay_alu instid0(VALU_DEP_1) | instskip(SKIP_1) | instid1(VALU_DEP_1)
	v_cndmask_b32_e64 v132, 0x7ff80000, v132, s17
	v_cmp_nge_f64_e64 s17, -1.0, v[129:130]
	v_cndmask_b32_e64 v131, 0, v131, s17
	v_cmp_neq_f64_e64 s17, -1.0, v[129:130]
	s_delay_alu instid0(VALU_DEP_1) | instskip(NEXT) | instid1(VALU_DEP_1)
	v_cndmask_b32_e64 v132, 0xfff00000, v132, s17
	v_add_f64 v[129:130], v[48:49], v[131:132]
.LBB56_303:
	s_or_b32 exec_lo, exec_lo, s27
	s_delay_alu instid0(VALU_DEP_1)
	v_dual_mov_b32 v48, v129 :: v_dual_mov_b32 v49, v130
	v_dual_mov_b32 v131, v129 :: v_dual_mov_b32 v132, v130
.LBB56_304:
	s_or_b32 exec_lo, exec_lo, s26
	s_delay_alu instid0(VALU_DEP_1) | instskip(NEXT) | instid1(VALU_DEP_2)
	v_mov_b32_dpp v129, v131 row_shr:8 row_mask:0xf bank_mask:0xf
	v_mov_b32_dpp v130, v132 row_shr:8 row_mask:0xf bank_mask:0xf
	s_mov_b32 s26, exec_lo
	v_cmpx_lt_u32_e32 7, v133
	s_cbranch_execz .LBB56_308
; %bb.305:
	s_delay_alu instid0(VALU_DEP_2) | instskip(SKIP_3) | instid1(VALU_DEP_3)
	v_max_f64 v[131:132], v[129:130], v[129:130]
	v_max_f64 v[133:134], v[48:49], v[48:49]
	v_cmp_u_f64_e64 s17, v[129:130], v[129:130]
	v_cmp_u_f64_e64 s18, v[48:49], v[48:49]
	v_min_f64 v[145:146], v[131:132], v[133:134]
	v_max_f64 v[131:132], v[131:132], v[133:134]
	s_delay_alu instid0(VALU_DEP_2) | instskip(NEXT) | instid1(VALU_DEP_3)
	v_cndmask_b32_e64 v133, v145, v129, s17
	v_cndmask_b32_e64 v134, v146, v130, s17
	s_delay_alu instid0(VALU_DEP_3) | instskip(NEXT) | instid1(VALU_DEP_4)
	v_cndmask_b32_e64 v145, v132, v130, s17
	v_cndmask_b32_e64 v146, v131, v129, s17
	s_delay_alu instid0(VALU_DEP_4) | instskip(NEXT) | instid1(VALU_DEP_4)
	v_cndmask_b32_e64 v131, v133, v48, s18
	v_cndmask_b32_e64 v132, v134, v49, s18
	s_delay_alu instid0(VALU_DEP_4) | instskip(NEXT) | instid1(VALU_DEP_4)
	v_cndmask_b32_e64 v49, v145, v49, s18
	v_cndmask_b32_e64 v48, v146, v48, s18
	s_delay_alu instid0(VALU_DEP_3) | instskip(NEXT) | instid1(VALU_DEP_2)
	v_cmp_class_f64_e64 s18, v[131:132], 0x1f8
	v_cmp_neq_f64_e64 s17, v[131:132], v[48:49]
	s_delay_alu instid0(VALU_DEP_1) | instskip(NEXT) | instid1(SALU_CYCLE_1)
	s_or_b32 s17, s17, s18
	s_and_saveexec_b32 s27, s17
	s_cbranch_execz .LBB56_307
; %bb.306:
	v_add_f64 v[129:130], v[131:132], -v[48:49]
	s_mov_b32 s18, 0x652b82fe
	s_mov_b32 s19, 0x3ff71547
	;; [unrolled: 1-line block ×10, first 2 shown]
	s_delay_alu instid0(VALU_DEP_1) | instskip(SKIP_3) | instid1(VALU_DEP_2)
	v_mul_f64 v[131:132], v[129:130], s[18:19]
	s_mov_b32 s18, 0xfca7ab0c
	s_mov_b32 s19, 0x3e928af3
	v_cmp_nlt_f64_e64 s17, 0x40900000, v[129:130]
	v_rndne_f64_e32 v[131:132], v[131:132]
	s_delay_alu instid0(VALU_DEP_1) | instskip(SKIP_2) | instid1(VALU_DEP_2)
	v_fma_f64 v[133:134], v[131:132], s[20:21], v[129:130]
	v_cvt_i32_f64_e32 v147, v[131:132]
	s_mov_b32 s21, 0x3fe62e42
	v_fma_f64 v[133:134], v[131:132], s[24:25], v[133:134]
	s_mov_b32 s25, 0x3c7abc9e
	s_delay_alu instid0(VALU_DEP_1) | instskip(SKIP_4) | instid1(VALU_DEP_1)
	v_fma_f64 v[145:146], v[133:134], s[28:29], s[18:19]
	s_mov_b32 s18, 0x623fde64
	s_mov_b32 s19, 0x3ec71dee
	;; [unrolled: 1-line block ×4, first 2 shown]
	v_fma_f64 v[145:146], v[133:134], v[145:146], s[18:19]
	s_mov_b32 s18, 0x7c89e6b0
	s_mov_b32 s19, 0x3efa0199
	s_delay_alu instid0(VALU_DEP_1) | instid1(SALU_CYCLE_1)
	v_fma_f64 v[145:146], v[133:134], v[145:146], s[18:19]
	s_mov_b32 s18, 0x14761f6e
	s_mov_b32 s19, 0x3f2a01a0
	s_delay_alu instid0(VALU_DEP_1) | instid1(SALU_CYCLE_1)
	;; [unrolled: 4-line block ×7, first 2 shown]
	v_fma_f64 v[145:146], v[133:134], v[145:146], s[18:19]
	v_cmp_ngt_f64_e64 s18, 0xc090cc00, v[129:130]
	s_mov_b32 s19, 0x3fe55555
	s_delay_alu instid0(VALU_DEP_2) | instskip(NEXT) | instid1(VALU_DEP_1)
	v_fma_f64 v[145:146], v[133:134], v[145:146], 1.0
	v_fma_f64 v[131:132], v[133:134], v[145:146], 1.0
	s_delay_alu instid0(VALU_DEP_1) | instskip(NEXT) | instid1(VALU_DEP_1)
	v_ldexp_f64 v[131:132], v[131:132], v147
	v_cndmask_b32_e64 v132, 0x7ff00000, v132, s17
	s_and_b32 s17, s18, s17
	s_delay_alu instid0(VALU_DEP_2) | instid1(SALU_CYCLE_1)
	v_cndmask_b32_e64 v129, 0, v131, s17
	s_delay_alu instid0(VALU_DEP_2) | instskip(SKIP_1) | instid1(VALU_DEP_1)
	v_cndmask_b32_e64 v130, 0, v132, s18
	s_mov_b32 s18, 0x55555555
	v_add_f64 v[131:132], v[129:130], 1.0
	s_delay_alu instid0(VALU_DEP_1) | instskip(SKIP_2) | instid1(VALU_DEP_3)
	v_frexp_mant_f64_e32 v[133:134], v[131:132]
	v_frexp_exp_i32_f64_e32 v147, v[131:132]
	v_add_f64 v[145:146], v[131:132], -1.0
	v_cmp_gt_f64_e64 s17, s[18:19], v[133:134]
	s_mov_b32 s18, 0x55555780
	s_delay_alu instid0(VALU_DEP_2) | instskip(SKIP_1) | instid1(VALU_DEP_3)
	v_add_f64 v[133:134], v[145:146], -v[131:132]
	v_add_f64 v[145:146], v[129:130], -v[145:146]
	v_subrev_co_ci_u32_e64 v151, s17, 0, v147, s17
	s_delay_alu instid0(VALU_DEP_3) | instskip(SKIP_1) | instid1(VALU_DEP_3)
	v_add_f64 v[133:134], v[133:134], 1.0
	v_cmp_eq_f64_e64 s17, 0x7ff00000, v[129:130]
	v_sub_nc_u32_e32 v149, 0, v151
	s_delay_alu instid0(VALU_DEP_1) | instskip(NEXT) | instid1(VALU_DEP_4)
	v_ldexp_f64 v[131:132], v[131:132], v149
	v_add_f64 v[133:134], v[145:146], v[133:134]
	s_delay_alu instid0(VALU_DEP_2) | instskip(SKIP_1) | instid1(VALU_DEP_3)
	v_add_f64 v[147:148], v[131:132], 1.0
	v_add_f64 v[162:163], v[131:132], -1.0
	v_ldexp_f64 v[133:134], v[133:134], v149
	s_delay_alu instid0(VALU_DEP_3) | instskip(NEXT) | instid1(VALU_DEP_3)
	v_add_f64 v[145:146], v[147:148], -1.0
	v_add_f64 v[164:165], v[162:163], 1.0
	s_delay_alu instid0(VALU_DEP_2) | instskip(NEXT) | instid1(VALU_DEP_2)
	v_add_f64 v[145:146], v[131:132], -v[145:146]
	v_add_f64 v[131:132], v[131:132], -v[164:165]
	s_delay_alu instid0(VALU_DEP_2) | instskip(NEXT) | instid1(VALU_DEP_2)
	v_add_f64 v[145:146], v[133:134], v[145:146]
	v_add_f64 v[131:132], v[133:134], v[131:132]
	s_delay_alu instid0(VALU_DEP_2) | instskip(NEXT) | instid1(VALU_DEP_2)
	v_add_f64 v[149:150], v[147:148], v[145:146]
	v_add_f64 v[164:165], v[162:163], v[131:132]
	s_delay_alu instid0(VALU_DEP_2) | instskip(SKIP_1) | instid1(VALU_DEP_2)
	v_rcp_f64_e32 v[160:161], v[149:150]
	v_add_f64 v[147:148], v[149:150], -v[147:148]
	v_add_f64 v[162:163], v[164:165], -v[162:163]
	s_delay_alu instid0(VALU_DEP_2) | instskip(SKIP_3) | instid1(VALU_DEP_2)
	v_add_f64 v[145:146], v[145:146], -v[147:148]
	s_waitcnt_depctr 0xfff
	v_fma_f64 v[209:210], -v[149:150], v[160:161], 1.0
	v_add_f64 v[131:132], v[131:132], -v[162:163]
	v_fma_f64 v[160:161], v[209:210], v[160:161], v[160:161]
	s_delay_alu instid0(VALU_DEP_1) | instskip(NEXT) | instid1(VALU_DEP_1)
	v_fma_f64 v[133:134], -v[149:150], v[160:161], 1.0
	v_fma_f64 v[133:134], v[133:134], v[160:161], v[160:161]
	s_delay_alu instid0(VALU_DEP_1) | instskip(NEXT) | instid1(VALU_DEP_1)
	v_mul_f64 v[160:161], v[164:165], v[133:134]
	v_mul_f64 v[209:210], v[149:150], v[160:161]
	s_delay_alu instid0(VALU_DEP_1) | instskip(NEXT) | instid1(VALU_DEP_1)
	v_fma_f64 v[147:148], v[160:161], v[149:150], -v[209:210]
	v_fma_f64 v[147:148], v[160:161], v[145:146], v[147:148]
	s_delay_alu instid0(VALU_DEP_1) | instskip(NEXT) | instid1(VALU_DEP_1)
	v_add_f64 v[211:212], v[209:210], v[147:148]
	v_add_f64 v[213:214], v[164:165], -v[211:212]
	v_add_f64 v[162:163], v[211:212], -v[209:210]
	s_delay_alu instid0(VALU_DEP_2) | instskip(NEXT) | instid1(VALU_DEP_2)
	v_add_f64 v[164:165], v[164:165], -v[213:214]
	v_add_f64 v[147:148], v[162:163], -v[147:148]
	s_delay_alu instid0(VALU_DEP_2) | instskip(NEXT) | instid1(VALU_DEP_1)
	v_add_f64 v[164:165], v[164:165], -v[211:212]
	v_add_f64 v[131:132], v[131:132], v[164:165]
	s_delay_alu instid0(VALU_DEP_1) | instskip(NEXT) | instid1(VALU_DEP_1)
	v_add_f64 v[131:132], v[147:148], v[131:132]
	v_add_f64 v[147:148], v[213:214], v[131:132]
	s_delay_alu instid0(VALU_DEP_1) | instskip(SKIP_1) | instid1(VALU_DEP_2)
	v_mul_f64 v[162:163], v[133:134], v[147:148]
	v_add_f64 v[211:212], v[213:214], -v[147:148]
	v_mul_f64 v[164:165], v[149:150], v[162:163]
	s_delay_alu instid0(VALU_DEP_2) | instskip(NEXT) | instid1(VALU_DEP_2)
	v_add_f64 v[131:132], v[131:132], v[211:212]
	v_fma_f64 v[149:150], v[162:163], v[149:150], -v[164:165]
	s_delay_alu instid0(VALU_DEP_1) | instskip(NEXT) | instid1(VALU_DEP_1)
	v_fma_f64 v[145:146], v[162:163], v[145:146], v[149:150]
	v_add_f64 v[149:150], v[164:165], v[145:146]
	s_delay_alu instid0(VALU_DEP_1) | instskip(SKIP_1) | instid1(VALU_DEP_2)
	v_add_f64 v[209:210], v[147:148], -v[149:150]
	v_add_f64 v[164:165], v[149:150], -v[164:165]
	;; [unrolled: 1-line block ×3, first 2 shown]
	s_delay_alu instid0(VALU_DEP_2) | instskip(NEXT) | instid1(VALU_DEP_2)
	v_add_f64 v[145:146], v[164:165], -v[145:146]
	v_add_f64 v[147:148], v[147:148], -v[149:150]
	s_delay_alu instid0(VALU_DEP_1) | instskip(SKIP_1) | instid1(VALU_DEP_2)
	v_add_f64 v[131:132], v[131:132], v[147:148]
	v_add_f64 v[147:148], v[160:161], v[162:163]
	;; [unrolled: 1-line block ×3, first 2 shown]
	s_delay_alu instid0(VALU_DEP_2) | instskip(NEXT) | instid1(VALU_DEP_2)
	v_add_f64 v[145:146], v[147:148], -v[160:161]
	v_add_f64 v[131:132], v[209:210], v[131:132]
	s_delay_alu instid0(VALU_DEP_2) | instskip(NEXT) | instid1(VALU_DEP_2)
	v_add_f64 v[145:146], v[162:163], -v[145:146]
	v_mul_f64 v[131:132], v[133:134], v[131:132]
	s_delay_alu instid0(VALU_DEP_1) | instskip(NEXT) | instid1(VALU_DEP_1)
	v_add_f64 v[131:132], v[145:146], v[131:132]
	v_add_f64 v[133:134], v[147:148], v[131:132]
	s_delay_alu instid0(VALU_DEP_1) | instskip(NEXT) | instid1(VALU_DEP_1)
	v_mul_f64 v[145:146], v[133:134], v[133:134]
	v_fma_f64 v[149:150], v[145:146], s[30:31], s[28:29]
	s_mov_b32 s28, 0xd7f4df2e
	s_mov_b32 s29, 0x3fc7474d
	v_mul_f64 v[160:161], v[133:134], v[145:146]
	s_delay_alu instid0(VALU_DEP_2)
	v_fma_f64 v[149:150], v[145:146], v[149:150], s[28:29]
	s_mov_b32 s28, 0x16291751
	s_mov_b32 s29, 0x3fcc71c0
	s_delay_alu instid0(VALU_DEP_1) | instid1(SALU_CYCLE_1)
	v_fma_f64 v[149:150], v[145:146], v[149:150], s[28:29]
	s_mov_b32 s28, 0x9b27acf1
	s_mov_b32 s29, 0x3fd24924
	s_delay_alu instid0(VALU_DEP_1) | instid1(SALU_CYCLE_1)
	;; [unrolled: 4-line block ×3, first 2 shown]
	v_fma_f64 v[149:150], v[145:146], v[149:150], s[28:29]
	s_delay_alu instid0(VALU_DEP_1) | instskip(SKIP_2) | instid1(VALU_DEP_3)
	v_fma_f64 v[145:146], v[145:146], v[149:150], s[18:19]
	v_ldexp_f64 v[149:150], v[133:134], 1
	v_add_f64 v[133:134], v[133:134], -v[147:148]
	v_mul_f64 v[145:146], v[160:161], v[145:146]
	v_cvt_f64_i32_e32 v[160:161], v151
	s_delay_alu instid0(VALU_DEP_3) | instskip(NEXT) | instid1(VALU_DEP_3)
	v_add_f64 v[131:132], v[131:132], -v[133:134]
	v_add_f64 v[147:148], v[149:150], v[145:146]
	s_delay_alu instid0(VALU_DEP_3) | instskip(NEXT) | instid1(VALU_DEP_3)
	v_mul_f64 v[162:163], v[160:161], s[20:21]
	v_ldexp_f64 v[131:132], v[131:132], 1
	s_delay_alu instid0(VALU_DEP_3) | instskip(NEXT) | instid1(VALU_DEP_3)
	v_add_f64 v[133:134], v[147:148], -v[149:150]
	v_fma_f64 v[149:150], v[160:161], s[20:21], -v[162:163]
	s_delay_alu instid0(VALU_DEP_2) | instskip(NEXT) | instid1(VALU_DEP_2)
	v_add_f64 v[133:134], v[145:146], -v[133:134]
	v_fma_f64 v[145:146], v[160:161], s[24:25], v[149:150]
	s_delay_alu instid0(VALU_DEP_2) | instskip(NEXT) | instid1(VALU_DEP_2)
	v_add_f64 v[131:132], v[131:132], v[133:134]
	v_add_f64 v[133:134], v[162:163], v[145:146]
	s_delay_alu instid0(VALU_DEP_2) | instskip(NEXT) | instid1(VALU_DEP_2)
	v_add_f64 v[149:150], v[147:148], v[131:132]
	v_add_f64 v[162:163], v[133:134], -v[162:163]
	s_delay_alu instid0(VALU_DEP_2) | instskip(SKIP_1) | instid1(VALU_DEP_3)
	v_add_f64 v[160:161], v[133:134], v[149:150]
	v_add_f64 v[147:148], v[149:150], -v[147:148]
	v_add_f64 v[145:146], v[145:146], -v[162:163]
	s_delay_alu instid0(VALU_DEP_3) | instskip(NEXT) | instid1(VALU_DEP_3)
	v_add_f64 v[164:165], v[160:161], -v[133:134]
	v_add_f64 v[131:132], v[131:132], -v[147:148]
	s_delay_alu instid0(VALU_DEP_2) | instskip(SKIP_1) | instid1(VALU_DEP_3)
	v_add_f64 v[209:210], v[160:161], -v[164:165]
	v_add_f64 v[147:148], v[149:150], -v[164:165]
	v_add_f64 v[149:150], v[145:146], v[131:132]
	s_delay_alu instid0(VALU_DEP_3) | instskip(NEXT) | instid1(VALU_DEP_1)
	v_add_f64 v[133:134], v[133:134], -v[209:210]
	v_add_f64 v[133:134], v[147:148], v[133:134]
	s_delay_alu instid0(VALU_DEP_3) | instskip(NEXT) | instid1(VALU_DEP_2)
	v_add_f64 v[147:148], v[149:150], -v[145:146]
	v_add_f64 v[133:134], v[149:150], v[133:134]
	s_delay_alu instid0(VALU_DEP_2) | instskip(SKIP_1) | instid1(VALU_DEP_3)
	v_add_f64 v[149:150], v[149:150], -v[147:148]
	v_add_f64 v[131:132], v[131:132], -v[147:148]
	v_add_f64 v[162:163], v[160:161], v[133:134]
	s_delay_alu instid0(VALU_DEP_3) | instskip(NEXT) | instid1(VALU_DEP_2)
	v_add_f64 v[145:146], v[145:146], -v[149:150]
	v_add_f64 v[147:148], v[162:163], -v[160:161]
	s_delay_alu instid0(VALU_DEP_2) | instskip(NEXT) | instid1(VALU_DEP_2)
	v_add_f64 v[131:132], v[131:132], v[145:146]
	v_add_f64 v[133:134], v[133:134], -v[147:148]
	s_delay_alu instid0(VALU_DEP_1) | instskip(NEXT) | instid1(VALU_DEP_1)
	v_add_f64 v[131:132], v[131:132], v[133:134]
	v_add_f64 v[131:132], v[162:163], v[131:132]
	s_delay_alu instid0(VALU_DEP_1) | instskip(NEXT) | instid1(VALU_DEP_2)
	v_cndmask_b32_e64 v131, v131, v129, s17
	v_cndmask_b32_e64 v132, v132, v130, s17
	v_cmp_ngt_f64_e64 s17, -1.0, v[129:130]
	s_delay_alu instid0(VALU_DEP_1) | instskip(SKIP_1) | instid1(VALU_DEP_1)
	v_cndmask_b32_e64 v132, 0x7ff80000, v132, s17
	v_cmp_nge_f64_e64 s17, -1.0, v[129:130]
	v_cndmask_b32_e64 v131, 0, v131, s17
	v_cmp_neq_f64_e64 s17, -1.0, v[129:130]
	s_delay_alu instid0(VALU_DEP_1) | instskip(NEXT) | instid1(VALU_DEP_1)
	v_cndmask_b32_e64 v132, 0xfff00000, v132, s17
	v_add_f64 v[129:130], v[48:49], v[131:132]
.LBB56_307:
	s_or_b32 exec_lo, exec_lo, s27
	s_delay_alu instid0(VALU_DEP_1)
	v_dual_mov_b32 v131, v129 :: v_dual_mov_b32 v132, v130
	v_dual_mov_b32 v48, v129 :: v_dual_mov_b32 v49, v130
.LBB56_308:
	s_or_b32 exec_lo, exec_lo, s26
	ds_swizzle_b32 v129, v131 offset:swizzle(BROADCAST,32,15)
	ds_swizzle_b32 v130, v132 offset:swizzle(BROADCAST,32,15)
	v_and_b32_e32 v131, 16, v144
	s_mov_b32 s26, exec_lo
	s_delay_alu instid0(VALU_DEP_1)
	v_cmpx_ne_u32_e32 0, v131
	s_cbranch_execz .LBB56_312
; %bb.309:
	s_waitcnt lgkmcnt(0)
	v_max_f64 v[131:132], v[129:130], v[129:130]
	v_max_f64 v[133:134], v[48:49], v[48:49]
	v_cmp_u_f64_e64 s17, v[129:130], v[129:130]
	v_cmp_u_f64_e64 s18, v[48:49], v[48:49]
	s_delay_alu instid0(VALU_DEP_3) | instskip(SKIP_1) | instid1(VALU_DEP_2)
	v_min_f64 v[145:146], v[131:132], v[133:134]
	v_max_f64 v[131:132], v[131:132], v[133:134]
	v_cndmask_b32_e64 v133, v145, v129, s17
	s_delay_alu instid0(VALU_DEP_3) | instskip(NEXT) | instid1(VALU_DEP_3)
	v_cndmask_b32_e64 v134, v146, v130, s17
	v_cndmask_b32_e64 v145, v132, v130, s17
	s_delay_alu instid0(VALU_DEP_4) | instskip(NEXT) | instid1(VALU_DEP_4)
	v_cndmask_b32_e64 v146, v131, v129, s17
	v_cndmask_b32_e64 v131, v133, v48, s18
	s_delay_alu instid0(VALU_DEP_4) | instskip(NEXT) | instid1(VALU_DEP_4)
	v_cndmask_b32_e64 v132, v134, v49, s18
	v_cndmask_b32_e64 v49, v145, v49, s18
	s_delay_alu instid0(VALU_DEP_4) | instskip(NEXT) | instid1(VALU_DEP_3)
	v_cndmask_b32_e64 v48, v146, v48, s18
	v_cmp_class_f64_e64 s18, v[131:132], 0x1f8
	s_delay_alu instid0(VALU_DEP_2) | instskip(NEXT) | instid1(VALU_DEP_1)
	v_cmp_neq_f64_e64 s17, v[131:132], v[48:49]
	s_or_b32 s17, s17, s18
	s_delay_alu instid0(SALU_CYCLE_1)
	s_and_saveexec_b32 s27, s17
	s_cbranch_execz .LBB56_311
; %bb.310:
	v_add_f64 v[129:130], v[131:132], -v[48:49]
	s_mov_b32 s18, 0x652b82fe
	s_mov_b32 s19, 0x3ff71547
	s_mov_b32 s21, 0xbfe62e42
	s_mov_b32 s20, 0xfefa39ef
	s_mov_b32 s25, 0xbc7abc9e
	s_mov_b32 s24, 0x3b39803f
	s_mov_b32 s28, 0x6a5dcb37
	s_mov_b32 s29, 0x3e5ade15
	s_mov_b32 s30, 0xbf559e2b
	s_mov_b32 s31, 0x3fc3ab76
	s_delay_alu instid0(VALU_DEP_1) | instskip(SKIP_3) | instid1(VALU_DEP_2)
	v_mul_f64 v[131:132], v[129:130], s[18:19]
	s_mov_b32 s18, 0xfca7ab0c
	s_mov_b32 s19, 0x3e928af3
	v_cmp_nlt_f64_e64 s17, 0x40900000, v[129:130]
	v_rndne_f64_e32 v[131:132], v[131:132]
	s_delay_alu instid0(VALU_DEP_1) | instskip(SKIP_2) | instid1(VALU_DEP_2)
	v_fma_f64 v[133:134], v[131:132], s[20:21], v[129:130]
	v_cvt_i32_f64_e32 v147, v[131:132]
	s_mov_b32 s21, 0x3fe62e42
	v_fma_f64 v[133:134], v[131:132], s[24:25], v[133:134]
	s_mov_b32 s25, 0x3c7abc9e
	s_delay_alu instid0(VALU_DEP_1) | instskip(SKIP_4) | instid1(VALU_DEP_1)
	v_fma_f64 v[145:146], v[133:134], s[28:29], s[18:19]
	s_mov_b32 s18, 0x623fde64
	s_mov_b32 s19, 0x3ec71dee
	;; [unrolled: 1-line block ×4, first 2 shown]
	v_fma_f64 v[145:146], v[133:134], v[145:146], s[18:19]
	s_mov_b32 s18, 0x7c89e6b0
	s_mov_b32 s19, 0x3efa0199
	s_delay_alu instid0(VALU_DEP_1) | instid1(SALU_CYCLE_1)
	v_fma_f64 v[145:146], v[133:134], v[145:146], s[18:19]
	s_mov_b32 s18, 0x14761f6e
	s_mov_b32 s19, 0x3f2a01a0
	s_delay_alu instid0(VALU_DEP_1) | instid1(SALU_CYCLE_1)
	;; [unrolled: 4-line block ×7, first 2 shown]
	v_fma_f64 v[145:146], v[133:134], v[145:146], s[18:19]
	v_cmp_ngt_f64_e64 s18, 0xc090cc00, v[129:130]
	s_mov_b32 s19, 0x3fe55555
	s_delay_alu instid0(VALU_DEP_2) | instskip(NEXT) | instid1(VALU_DEP_1)
	v_fma_f64 v[145:146], v[133:134], v[145:146], 1.0
	v_fma_f64 v[131:132], v[133:134], v[145:146], 1.0
	s_delay_alu instid0(VALU_DEP_1) | instskip(NEXT) | instid1(VALU_DEP_1)
	v_ldexp_f64 v[131:132], v[131:132], v147
	v_cndmask_b32_e64 v132, 0x7ff00000, v132, s17
	s_and_b32 s17, s18, s17
	s_delay_alu instid0(VALU_DEP_2) | instid1(SALU_CYCLE_1)
	v_cndmask_b32_e64 v129, 0, v131, s17
	s_delay_alu instid0(VALU_DEP_2) | instskip(SKIP_1) | instid1(VALU_DEP_1)
	v_cndmask_b32_e64 v130, 0, v132, s18
	s_mov_b32 s18, 0x55555555
	v_add_f64 v[131:132], v[129:130], 1.0
	s_delay_alu instid0(VALU_DEP_1) | instskip(SKIP_2) | instid1(VALU_DEP_3)
	v_frexp_mant_f64_e32 v[133:134], v[131:132]
	v_frexp_exp_i32_f64_e32 v147, v[131:132]
	v_add_f64 v[145:146], v[131:132], -1.0
	v_cmp_gt_f64_e64 s17, s[18:19], v[133:134]
	s_mov_b32 s18, 0x55555780
	s_delay_alu instid0(VALU_DEP_2) | instskip(SKIP_1) | instid1(VALU_DEP_3)
	v_add_f64 v[133:134], v[145:146], -v[131:132]
	v_add_f64 v[145:146], v[129:130], -v[145:146]
	v_subrev_co_ci_u32_e64 v151, s17, 0, v147, s17
	s_delay_alu instid0(VALU_DEP_3) | instskip(SKIP_1) | instid1(VALU_DEP_3)
	v_add_f64 v[133:134], v[133:134], 1.0
	v_cmp_eq_f64_e64 s17, 0x7ff00000, v[129:130]
	v_sub_nc_u32_e32 v149, 0, v151
	s_delay_alu instid0(VALU_DEP_1) | instskip(NEXT) | instid1(VALU_DEP_4)
	v_ldexp_f64 v[131:132], v[131:132], v149
	v_add_f64 v[133:134], v[145:146], v[133:134]
	s_delay_alu instid0(VALU_DEP_2) | instskip(SKIP_1) | instid1(VALU_DEP_3)
	v_add_f64 v[147:148], v[131:132], 1.0
	v_add_f64 v[162:163], v[131:132], -1.0
	v_ldexp_f64 v[133:134], v[133:134], v149
	s_delay_alu instid0(VALU_DEP_3) | instskip(NEXT) | instid1(VALU_DEP_3)
	v_add_f64 v[145:146], v[147:148], -1.0
	v_add_f64 v[164:165], v[162:163], 1.0
	s_delay_alu instid0(VALU_DEP_2) | instskip(NEXT) | instid1(VALU_DEP_2)
	v_add_f64 v[145:146], v[131:132], -v[145:146]
	v_add_f64 v[131:132], v[131:132], -v[164:165]
	s_delay_alu instid0(VALU_DEP_2) | instskip(NEXT) | instid1(VALU_DEP_2)
	v_add_f64 v[145:146], v[133:134], v[145:146]
	v_add_f64 v[131:132], v[133:134], v[131:132]
	s_delay_alu instid0(VALU_DEP_2) | instskip(NEXT) | instid1(VALU_DEP_2)
	v_add_f64 v[149:150], v[147:148], v[145:146]
	v_add_f64 v[164:165], v[162:163], v[131:132]
	s_delay_alu instid0(VALU_DEP_2) | instskip(SKIP_1) | instid1(VALU_DEP_2)
	v_rcp_f64_e32 v[160:161], v[149:150]
	v_add_f64 v[147:148], v[149:150], -v[147:148]
	v_add_f64 v[162:163], v[164:165], -v[162:163]
	s_delay_alu instid0(VALU_DEP_2) | instskip(SKIP_3) | instid1(VALU_DEP_2)
	v_add_f64 v[145:146], v[145:146], -v[147:148]
	s_waitcnt_depctr 0xfff
	v_fma_f64 v[209:210], -v[149:150], v[160:161], 1.0
	v_add_f64 v[131:132], v[131:132], -v[162:163]
	v_fma_f64 v[160:161], v[209:210], v[160:161], v[160:161]
	s_delay_alu instid0(VALU_DEP_1) | instskip(NEXT) | instid1(VALU_DEP_1)
	v_fma_f64 v[133:134], -v[149:150], v[160:161], 1.0
	v_fma_f64 v[133:134], v[133:134], v[160:161], v[160:161]
	s_delay_alu instid0(VALU_DEP_1) | instskip(NEXT) | instid1(VALU_DEP_1)
	v_mul_f64 v[160:161], v[164:165], v[133:134]
	v_mul_f64 v[209:210], v[149:150], v[160:161]
	s_delay_alu instid0(VALU_DEP_1) | instskip(NEXT) | instid1(VALU_DEP_1)
	v_fma_f64 v[147:148], v[160:161], v[149:150], -v[209:210]
	v_fma_f64 v[147:148], v[160:161], v[145:146], v[147:148]
	s_delay_alu instid0(VALU_DEP_1) | instskip(NEXT) | instid1(VALU_DEP_1)
	v_add_f64 v[211:212], v[209:210], v[147:148]
	v_add_f64 v[213:214], v[164:165], -v[211:212]
	v_add_f64 v[162:163], v[211:212], -v[209:210]
	s_delay_alu instid0(VALU_DEP_2) | instskip(NEXT) | instid1(VALU_DEP_2)
	v_add_f64 v[164:165], v[164:165], -v[213:214]
	v_add_f64 v[147:148], v[162:163], -v[147:148]
	s_delay_alu instid0(VALU_DEP_2) | instskip(NEXT) | instid1(VALU_DEP_1)
	v_add_f64 v[164:165], v[164:165], -v[211:212]
	v_add_f64 v[131:132], v[131:132], v[164:165]
	s_delay_alu instid0(VALU_DEP_1) | instskip(NEXT) | instid1(VALU_DEP_1)
	v_add_f64 v[131:132], v[147:148], v[131:132]
	v_add_f64 v[147:148], v[213:214], v[131:132]
	s_delay_alu instid0(VALU_DEP_1) | instskip(SKIP_1) | instid1(VALU_DEP_2)
	v_mul_f64 v[162:163], v[133:134], v[147:148]
	v_add_f64 v[211:212], v[213:214], -v[147:148]
	v_mul_f64 v[164:165], v[149:150], v[162:163]
	s_delay_alu instid0(VALU_DEP_2) | instskip(NEXT) | instid1(VALU_DEP_2)
	v_add_f64 v[131:132], v[131:132], v[211:212]
	v_fma_f64 v[149:150], v[162:163], v[149:150], -v[164:165]
	s_delay_alu instid0(VALU_DEP_1) | instskip(NEXT) | instid1(VALU_DEP_1)
	v_fma_f64 v[145:146], v[162:163], v[145:146], v[149:150]
	v_add_f64 v[149:150], v[164:165], v[145:146]
	s_delay_alu instid0(VALU_DEP_1) | instskip(SKIP_1) | instid1(VALU_DEP_2)
	v_add_f64 v[209:210], v[147:148], -v[149:150]
	v_add_f64 v[164:165], v[149:150], -v[164:165]
	;; [unrolled: 1-line block ×3, first 2 shown]
	s_delay_alu instid0(VALU_DEP_2) | instskip(NEXT) | instid1(VALU_DEP_2)
	v_add_f64 v[145:146], v[164:165], -v[145:146]
	v_add_f64 v[147:148], v[147:148], -v[149:150]
	s_delay_alu instid0(VALU_DEP_1) | instskip(SKIP_1) | instid1(VALU_DEP_2)
	v_add_f64 v[131:132], v[131:132], v[147:148]
	v_add_f64 v[147:148], v[160:161], v[162:163]
	;; [unrolled: 1-line block ×3, first 2 shown]
	s_delay_alu instid0(VALU_DEP_2) | instskip(NEXT) | instid1(VALU_DEP_2)
	v_add_f64 v[145:146], v[147:148], -v[160:161]
	v_add_f64 v[131:132], v[209:210], v[131:132]
	s_delay_alu instid0(VALU_DEP_2) | instskip(NEXT) | instid1(VALU_DEP_2)
	v_add_f64 v[145:146], v[162:163], -v[145:146]
	v_mul_f64 v[131:132], v[133:134], v[131:132]
	s_delay_alu instid0(VALU_DEP_1) | instskip(NEXT) | instid1(VALU_DEP_1)
	v_add_f64 v[131:132], v[145:146], v[131:132]
	v_add_f64 v[133:134], v[147:148], v[131:132]
	s_delay_alu instid0(VALU_DEP_1) | instskip(NEXT) | instid1(VALU_DEP_1)
	v_mul_f64 v[145:146], v[133:134], v[133:134]
	v_fma_f64 v[149:150], v[145:146], s[30:31], s[28:29]
	s_mov_b32 s28, 0xd7f4df2e
	s_mov_b32 s29, 0x3fc7474d
	v_mul_f64 v[160:161], v[133:134], v[145:146]
	s_delay_alu instid0(VALU_DEP_2)
	v_fma_f64 v[149:150], v[145:146], v[149:150], s[28:29]
	s_mov_b32 s28, 0x16291751
	s_mov_b32 s29, 0x3fcc71c0
	s_delay_alu instid0(VALU_DEP_1) | instid1(SALU_CYCLE_1)
	v_fma_f64 v[149:150], v[145:146], v[149:150], s[28:29]
	s_mov_b32 s28, 0x9b27acf1
	s_mov_b32 s29, 0x3fd24924
	s_delay_alu instid0(VALU_DEP_1) | instid1(SALU_CYCLE_1)
	;; [unrolled: 4-line block ×3, first 2 shown]
	v_fma_f64 v[149:150], v[145:146], v[149:150], s[28:29]
	s_delay_alu instid0(VALU_DEP_1) | instskip(SKIP_2) | instid1(VALU_DEP_3)
	v_fma_f64 v[145:146], v[145:146], v[149:150], s[18:19]
	v_ldexp_f64 v[149:150], v[133:134], 1
	v_add_f64 v[133:134], v[133:134], -v[147:148]
	v_mul_f64 v[145:146], v[160:161], v[145:146]
	v_cvt_f64_i32_e32 v[160:161], v151
	s_delay_alu instid0(VALU_DEP_3) | instskip(NEXT) | instid1(VALU_DEP_3)
	v_add_f64 v[131:132], v[131:132], -v[133:134]
	v_add_f64 v[147:148], v[149:150], v[145:146]
	s_delay_alu instid0(VALU_DEP_3) | instskip(NEXT) | instid1(VALU_DEP_3)
	v_mul_f64 v[162:163], v[160:161], s[20:21]
	v_ldexp_f64 v[131:132], v[131:132], 1
	s_delay_alu instid0(VALU_DEP_3) | instskip(NEXT) | instid1(VALU_DEP_3)
	v_add_f64 v[133:134], v[147:148], -v[149:150]
	v_fma_f64 v[149:150], v[160:161], s[20:21], -v[162:163]
	s_delay_alu instid0(VALU_DEP_2) | instskip(NEXT) | instid1(VALU_DEP_2)
	v_add_f64 v[133:134], v[145:146], -v[133:134]
	v_fma_f64 v[145:146], v[160:161], s[24:25], v[149:150]
	s_delay_alu instid0(VALU_DEP_2) | instskip(NEXT) | instid1(VALU_DEP_2)
	v_add_f64 v[131:132], v[131:132], v[133:134]
	v_add_f64 v[133:134], v[162:163], v[145:146]
	s_delay_alu instid0(VALU_DEP_2) | instskip(NEXT) | instid1(VALU_DEP_2)
	v_add_f64 v[149:150], v[147:148], v[131:132]
	v_add_f64 v[162:163], v[133:134], -v[162:163]
	s_delay_alu instid0(VALU_DEP_2) | instskip(SKIP_1) | instid1(VALU_DEP_3)
	v_add_f64 v[160:161], v[133:134], v[149:150]
	v_add_f64 v[147:148], v[149:150], -v[147:148]
	v_add_f64 v[145:146], v[145:146], -v[162:163]
	s_delay_alu instid0(VALU_DEP_3) | instskip(NEXT) | instid1(VALU_DEP_3)
	v_add_f64 v[164:165], v[160:161], -v[133:134]
	v_add_f64 v[131:132], v[131:132], -v[147:148]
	s_delay_alu instid0(VALU_DEP_2) | instskip(SKIP_1) | instid1(VALU_DEP_3)
	v_add_f64 v[209:210], v[160:161], -v[164:165]
	v_add_f64 v[147:148], v[149:150], -v[164:165]
	v_add_f64 v[149:150], v[145:146], v[131:132]
	s_delay_alu instid0(VALU_DEP_3) | instskip(NEXT) | instid1(VALU_DEP_1)
	v_add_f64 v[133:134], v[133:134], -v[209:210]
	v_add_f64 v[133:134], v[147:148], v[133:134]
	s_delay_alu instid0(VALU_DEP_3) | instskip(NEXT) | instid1(VALU_DEP_2)
	v_add_f64 v[147:148], v[149:150], -v[145:146]
	v_add_f64 v[133:134], v[149:150], v[133:134]
	s_delay_alu instid0(VALU_DEP_2) | instskip(SKIP_1) | instid1(VALU_DEP_3)
	v_add_f64 v[149:150], v[149:150], -v[147:148]
	v_add_f64 v[131:132], v[131:132], -v[147:148]
	v_add_f64 v[162:163], v[160:161], v[133:134]
	s_delay_alu instid0(VALU_DEP_3) | instskip(NEXT) | instid1(VALU_DEP_2)
	v_add_f64 v[145:146], v[145:146], -v[149:150]
	v_add_f64 v[147:148], v[162:163], -v[160:161]
	s_delay_alu instid0(VALU_DEP_2) | instskip(NEXT) | instid1(VALU_DEP_2)
	v_add_f64 v[131:132], v[131:132], v[145:146]
	v_add_f64 v[133:134], v[133:134], -v[147:148]
	s_delay_alu instid0(VALU_DEP_1) | instskip(NEXT) | instid1(VALU_DEP_1)
	v_add_f64 v[131:132], v[131:132], v[133:134]
	v_add_f64 v[131:132], v[162:163], v[131:132]
	s_delay_alu instid0(VALU_DEP_1) | instskip(NEXT) | instid1(VALU_DEP_2)
	v_cndmask_b32_e64 v131, v131, v129, s17
	v_cndmask_b32_e64 v132, v132, v130, s17
	v_cmp_ngt_f64_e64 s17, -1.0, v[129:130]
	s_delay_alu instid0(VALU_DEP_1) | instskip(SKIP_1) | instid1(VALU_DEP_1)
	v_cndmask_b32_e64 v132, 0x7ff80000, v132, s17
	v_cmp_nge_f64_e64 s17, -1.0, v[129:130]
	v_cndmask_b32_e64 v131, 0, v131, s17
	v_cmp_neq_f64_e64 s17, -1.0, v[129:130]
	s_delay_alu instid0(VALU_DEP_1) | instskip(NEXT) | instid1(VALU_DEP_1)
	v_cndmask_b32_e64 v132, 0xfff00000, v132, s17
	v_add_f64 v[129:130], v[48:49], v[131:132]
.LBB56_311:
	s_or_b32 exec_lo, exec_lo, s27
	s_delay_alu instid0(VALU_DEP_1)
	v_dual_mov_b32 v48, v129 :: v_dual_mov_b32 v49, v130
.LBB56_312:
	s_or_b32 exec_lo, exec_lo, s26
	s_waitcnt lgkmcnt(1)
	v_and_b32_e32 v129, 0x3e0, v128
	v_lshrrev_b32_e32 v145, 5, v128
	s_mov_b32 s18, exec_lo
	s_delay_alu instid0(VALU_DEP_2) | instskip(NEXT) | instid1(VALU_DEP_1)
	v_min_u32_e32 v129, 0xe0, v129
	v_or_b32_e32 v129, 31, v129
	s_delay_alu instid0(VALU_DEP_1)
	v_cmpx_eq_u32_e64 v129, v128
	s_cbranch_execz .LBB56_314
; %bb.313:
	v_lshlrev_b32_e32 v129, 3, v145
	ds_store_b64 v129, v[48:49]
.LBB56_314:
	s_or_b32 exec_lo, exec_lo, s18
	s_delay_alu instid0(SALU_CYCLE_1)
	s_mov_b32 s26, exec_lo
	s_waitcnt lgkmcnt(0)
	s_barrier
	buffer_gl0_inv
	v_cmpx_gt_u32_e32 8, v128
	s_cbranch_execz .LBB56_328
; %bb.315:
	ds_load_b64 v[129:130], v195
	v_and_b32_e32 v146, 7, v144
	s_mov_b32 s27, exec_lo
	s_waitcnt lgkmcnt(0)
	v_mov_b32_e32 v133, v129
	v_mov_b32_dpp v131, v129 row_shr:1 row_mask:0xf bank_mask:0xf
	v_mov_b32_dpp v132, v130 row_shr:1 row_mask:0xf bank_mask:0xf
	v_mov_b32_e32 v134, v130
	v_cmpx_ne_u32_e32 0, v146
	s_cbranch_execz .LBB56_319
; %bb.316:
	s_delay_alu instid0(VALU_DEP_3) | instskip(SKIP_3) | instid1(VALU_DEP_3)
	v_max_f64 v[133:134], v[131:132], v[131:132]
	v_max_f64 v[147:148], v[129:130], v[129:130]
	v_cmp_u_f64_e64 s17, v[131:132], v[131:132]
	v_cmp_u_f64_e64 s18, v[129:130], v[129:130]
	v_min_f64 v[149:150], v[133:134], v[147:148]
	v_max_f64 v[133:134], v[133:134], v[147:148]
	s_delay_alu instid0(VALU_DEP_2) | instskip(NEXT) | instid1(VALU_DEP_3)
	v_cndmask_b32_e64 v147, v149, v131, s17
	v_cndmask_b32_e64 v148, v150, v132, s17
	s_delay_alu instid0(VALU_DEP_3) | instskip(NEXT) | instid1(VALU_DEP_4)
	v_cndmask_b32_e64 v149, v134, v132, s17
	v_cndmask_b32_e64 v150, v133, v131, s17
	s_delay_alu instid0(VALU_DEP_4) | instskip(NEXT) | instid1(VALU_DEP_4)
	v_cndmask_b32_e64 v133, v147, v129, s18
	v_cndmask_b32_e64 v134, v148, v130, s18
	s_delay_alu instid0(VALU_DEP_4) | instskip(NEXT) | instid1(VALU_DEP_4)
	v_cndmask_b32_e64 v130, v149, v130, s18
	v_cndmask_b32_e64 v129, v150, v129, s18
	s_delay_alu instid0(VALU_DEP_3) | instskip(NEXT) | instid1(VALU_DEP_2)
	v_cmp_class_f64_e64 s18, v[133:134], 0x1f8
	v_cmp_neq_f64_e64 s17, v[133:134], v[129:130]
	s_delay_alu instid0(VALU_DEP_1) | instskip(NEXT) | instid1(SALU_CYCLE_1)
	s_or_b32 s17, s17, s18
	s_and_saveexec_b32 s28, s17
	s_cbranch_execz .LBB56_318
; %bb.317:
	v_add_f64 v[131:132], v[133:134], -v[129:130]
	s_mov_b32 s18, 0x652b82fe
	s_mov_b32 s19, 0x3ff71547
	;; [unrolled: 1-line block ×10, first 2 shown]
	s_delay_alu instid0(VALU_DEP_1) | instskip(SKIP_3) | instid1(VALU_DEP_2)
	v_mul_f64 v[133:134], v[131:132], s[18:19]
	s_mov_b32 s18, 0xfca7ab0c
	s_mov_b32 s19, 0x3e928af3
	v_cmp_nlt_f64_e64 s17, 0x40900000, v[131:132]
	v_rndne_f64_e32 v[133:134], v[133:134]
	s_delay_alu instid0(VALU_DEP_1) | instskip(SKIP_2) | instid1(VALU_DEP_2)
	v_fma_f64 v[147:148], v[133:134], s[20:21], v[131:132]
	v_cvt_i32_f64_e32 v151, v[133:134]
	s_mov_b32 s21, 0x3fe62e42
	v_fma_f64 v[147:148], v[133:134], s[24:25], v[147:148]
	s_mov_b32 s25, 0x3c7abc9e
	s_delay_alu instid0(VALU_DEP_1) | instskip(SKIP_4) | instid1(VALU_DEP_1)
	v_fma_f64 v[149:150], v[147:148], s[30:31], s[18:19]
	s_mov_b32 s18, 0x623fde64
	s_mov_b32 s19, 0x3ec71dee
	;; [unrolled: 1-line block ×4, first 2 shown]
	v_fma_f64 v[149:150], v[147:148], v[149:150], s[18:19]
	s_mov_b32 s18, 0x7c89e6b0
	s_mov_b32 s19, 0x3efa0199
	s_delay_alu instid0(VALU_DEP_1) | instid1(SALU_CYCLE_1)
	v_fma_f64 v[149:150], v[147:148], v[149:150], s[18:19]
	s_mov_b32 s18, 0x14761f6e
	s_mov_b32 s19, 0x3f2a01a0
	s_delay_alu instid0(VALU_DEP_1) | instid1(SALU_CYCLE_1)
	;; [unrolled: 4-line block ×7, first 2 shown]
	v_fma_f64 v[149:150], v[147:148], v[149:150], s[18:19]
	v_cmp_ngt_f64_e64 s18, 0xc090cc00, v[131:132]
	s_mov_b32 s19, 0x3fe55555
	s_delay_alu instid0(VALU_DEP_2) | instskip(NEXT) | instid1(VALU_DEP_1)
	v_fma_f64 v[149:150], v[147:148], v[149:150], 1.0
	v_fma_f64 v[133:134], v[147:148], v[149:150], 1.0
	s_delay_alu instid0(VALU_DEP_1) | instskip(NEXT) | instid1(VALU_DEP_1)
	v_ldexp_f64 v[133:134], v[133:134], v151
	v_cndmask_b32_e64 v134, 0x7ff00000, v134, s17
	s_and_b32 s17, s18, s17
	s_delay_alu instid0(VALU_DEP_2) | instid1(SALU_CYCLE_1)
	v_cndmask_b32_e64 v131, 0, v133, s17
	s_delay_alu instid0(VALU_DEP_2) | instskip(SKIP_1) | instid1(VALU_DEP_1)
	v_cndmask_b32_e64 v132, 0, v134, s18
	s_mov_b32 s18, 0x55555555
	v_add_f64 v[133:134], v[131:132], 1.0
	s_delay_alu instid0(VALU_DEP_1) | instskip(SKIP_2) | instid1(VALU_DEP_3)
	v_frexp_mant_f64_e32 v[147:148], v[133:134]
	v_frexp_exp_i32_f64_e32 v151, v[133:134]
	v_add_f64 v[149:150], v[133:134], -1.0
	v_cmp_gt_f64_e64 s17, s[18:19], v[147:148]
	s_mov_b32 s18, 0x55555780
	s_delay_alu instid0(VALU_DEP_2) | instskip(SKIP_1) | instid1(VALU_DEP_3)
	v_add_f64 v[147:148], v[149:150], -v[133:134]
	v_add_f64 v[149:150], v[131:132], -v[149:150]
	v_subrev_co_ci_u32_e64 v151, s17, 0, v151, s17
	s_delay_alu instid0(VALU_DEP_3) | instskip(SKIP_1) | instid1(VALU_DEP_3)
	v_add_f64 v[147:148], v[147:148], 1.0
	v_cmp_eq_f64_e64 s17, 0x7ff00000, v[131:132]
	v_sub_nc_u32_e32 v162, 0, v151
	s_delay_alu instid0(VALU_DEP_1) | instskip(NEXT) | instid1(VALU_DEP_4)
	v_ldexp_f64 v[133:134], v[133:134], v162
	v_add_f64 v[147:148], v[149:150], v[147:148]
	s_delay_alu instid0(VALU_DEP_2) | instskip(SKIP_1) | instid1(VALU_DEP_3)
	v_add_f64 v[160:161], v[133:134], 1.0
	v_add_f64 v[209:210], v[133:134], -1.0
	v_ldexp_f64 v[147:148], v[147:148], v162
	s_delay_alu instid0(VALU_DEP_3) | instskip(NEXT) | instid1(VALU_DEP_3)
	v_add_f64 v[149:150], v[160:161], -1.0
	v_add_f64 v[211:212], v[209:210], 1.0
	s_delay_alu instid0(VALU_DEP_2) | instskip(NEXT) | instid1(VALU_DEP_2)
	v_add_f64 v[149:150], v[133:134], -v[149:150]
	v_add_f64 v[133:134], v[133:134], -v[211:212]
	s_delay_alu instid0(VALU_DEP_2) | instskip(NEXT) | instid1(VALU_DEP_2)
	v_add_f64 v[149:150], v[147:148], v[149:150]
	v_add_f64 v[133:134], v[147:148], v[133:134]
	s_delay_alu instid0(VALU_DEP_2) | instskip(NEXT) | instid1(VALU_DEP_2)
	v_add_f64 v[162:163], v[160:161], v[149:150]
	v_add_f64 v[211:212], v[209:210], v[133:134]
	s_delay_alu instid0(VALU_DEP_2) | instskip(SKIP_1) | instid1(VALU_DEP_2)
	v_rcp_f64_e32 v[164:165], v[162:163]
	v_add_f64 v[160:161], v[162:163], -v[160:161]
	v_add_f64 v[209:210], v[211:212], -v[209:210]
	s_delay_alu instid0(VALU_DEP_2) | instskip(SKIP_3) | instid1(VALU_DEP_2)
	v_add_f64 v[149:150], v[149:150], -v[160:161]
	s_waitcnt_depctr 0xfff
	v_fma_f64 v[213:214], -v[162:163], v[164:165], 1.0
	v_add_f64 v[133:134], v[133:134], -v[209:210]
	v_fma_f64 v[164:165], v[213:214], v[164:165], v[164:165]
	s_delay_alu instid0(VALU_DEP_1) | instskip(NEXT) | instid1(VALU_DEP_1)
	v_fma_f64 v[147:148], -v[162:163], v[164:165], 1.0
	v_fma_f64 v[147:148], v[147:148], v[164:165], v[164:165]
	s_delay_alu instid0(VALU_DEP_1) | instskip(NEXT) | instid1(VALU_DEP_1)
	v_mul_f64 v[164:165], v[211:212], v[147:148]
	v_mul_f64 v[213:214], v[162:163], v[164:165]
	s_delay_alu instid0(VALU_DEP_1) | instskip(NEXT) | instid1(VALU_DEP_1)
	v_fma_f64 v[160:161], v[164:165], v[162:163], -v[213:214]
	v_fma_f64 v[160:161], v[164:165], v[149:150], v[160:161]
	s_delay_alu instid0(VALU_DEP_1) | instskip(NEXT) | instid1(VALU_DEP_1)
	v_add_f64 v[224:225], v[213:214], v[160:161]
	v_add_f64 v[226:227], v[211:212], -v[224:225]
	v_add_f64 v[209:210], v[224:225], -v[213:214]
	s_delay_alu instid0(VALU_DEP_2) | instskip(NEXT) | instid1(VALU_DEP_2)
	v_add_f64 v[211:212], v[211:212], -v[226:227]
	v_add_f64 v[160:161], v[209:210], -v[160:161]
	s_delay_alu instid0(VALU_DEP_2) | instskip(NEXT) | instid1(VALU_DEP_1)
	v_add_f64 v[211:212], v[211:212], -v[224:225]
	v_add_f64 v[133:134], v[133:134], v[211:212]
	s_delay_alu instid0(VALU_DEP_1) | instskip(NEXT) | instid1(VALU_DEP_1)
	v_add_f64 v[133:134], v[160:161], v[133:134]
	v_add_f64 v[160:161], v[226:227], v[133:134]
	s_delay_alu instid0(VALU_DEP_1) | instskip(SKIP_1) | instid1(VALU_DEP_2)
	v_mul_f64 v[209:210], v[147:148], v[160:161]
	v_add_f64 v[224:225], v[226:227], -v[160:161]
	v_mul_f64 v[211:212], v[162:163], v[209:210]
	s_delay_alu instid0(VALU_DEP_2) | instskip(NEXT) | instid1(VALU_DEP_2)
	v_add_f64 v[133:134], v[133:134], v[224:225]
	v_fma_f64 v[162:163], v[209:210], v[162:163], -v[211:212]
	s_delay_alu instid0(VALU_DEP_1) | instskip(NEXT) | instid1(VALU_DEP_1)
	v_fma_f64 v[149:150], v[209:210], v[149:150], v[162:163]
	v_add_f64 v[162:163], v[211:212], v[149:150]
	s_delay_alu instid0(VALU_DEP_1) | instskip(SKIP_1) | instid1(VALU_DEP_2)
	v_add_f64 v[213:214], v[160:161], -v[162:163]
	v_add_f64 v[211:212], v[162:163], -v[211:212]
	;; [unrolled: 1-line block ×3, first 2 shown]
	s_delay_alu instid0(VALU_DEP_2) | instskip(NEXT) | instid1(VALU_DEP_2)
	v_add_f64 v[149:150], v[211:212], -v[149:150]
	v_add_f64 v[160:161], v[160:161], -v[162:163]
	s_delay_alu instid0(VALU_DEP_1) | instskip(SKIP_1) | instid1(VALU_DEP_2)
	v_add_f64 v[133:134], v[133:134], v[160:161]
	v_add_f64 v[160:161], v[164:165], v[209:210]
	v_add_f64 v[133:134], v[149:150], v[133:134]
	s_delay_alu instid0(VALU_DEP_2) | instskip(NEXT) | instid1(VALU_DEP_2)
	v_add_f64 v[149:150], v[160:161], -v[164:165]
	v_add_f64 v[133:134], v[213:214], v[133:134]
	s_delay_alu instid0(VALU_DEP_2) | instskip(NEXT) | instid1(VALU_DEP_2)
	v_add_f64 v[149:150], v[209:210], -v[149:150]
	v_mul_f64 v[133:134], v[147:148], v[133:134]
	s_delay_alu instid0(VALU_DEP_1) | instskip(NEXT) | instid1(VALU_DEP_1)
	v_add_f64 v[133:134], v[149:150], v[133:134]
	v_add_f64 v[147:148], v[160:161], v[133:134]
	s_delay_alu instid0(VALU_DEP_1) | instskip(NEXT) | instid1(VALU_DEP_1)
	v_mul_f64 v[149:150], v[147:148], v[147:148]
	v_fma_f64 v[162:163], v[149:150], s[34:35], s[30:31]
	s_mov_b32 s30, 0xd7f4df2e
	s_mov_b32 s31, 0x3fc7474d
	v_mul_f64 v[164:165], v[147:148], v[149:150]
	s_delay_alu instid0(VALU_DEP_2)
	v_fma_f64 v[162:163], v[149:150], v[162:163], s[30:31]
	s_mov_b32 s30, 0x16291751
	s_mov_b32 s31, 0x3fcc71c0
	s_delay_alu instid0(VALU_DEP_1) | instid1(SALU_CYCLE_1)
	v_fma_f64 v[162:163], v[149:150], v[162:163], s[30:31]
	s_mov_b32 s30, 0x9b27acf1
	s_mov_b32 s31, 0x3fd24924
	s_delay_alu instid0(VALU_DEP_1) | instid1(SALU_CYCLE_1)
	;; [unrolled: 4-line block ×3, first 2 shown]
	v_fma_f64 v[162:163], v[149:150], v[162:163], s[30:31]
	s_delay_alu instid0(VALU_DEP_1) | instskip(SKIP_2) | instid1(VALU_DEP_3)
	v_fma_f64 v[149:150], v[149:150], v[162:163], s[18:19]
	v_ldexp_f64 v[162:163], v[147:148], 1
	v_add_f64 v[147:148], v[147:148], -v[160:161]
	v_mul_f64 v[149:150], v[164:165], v[149:150]
	v_cvt_f64_i32_e32 v[164:165], v151
	s_delay_alu instid0(VALU_DEP_3) | instskip(NEXT) | instid1(VALU_DEP_3)
	v_add_f64 v[133:134], v[133:134], -v[147:148]
	v_add_f64 v[160:161], v[162:163], v[149:150]
	s_delay_alu instid0(VALU_DEP_3) | instskip(NEXT) | instid1(VALU_DEP_3)
	v_mul_f64 v[209:210], v[164:165], s[20:21]
	v_ldexp_f64 v[133:134], v[133:134], 1
	s_delay_alu instid0(VALU_DEP_3) | instskip(NEXT) | instid1(VALU_DEP_3)
	v_add_f64 v[147:148], v[160:161], -v[162:163]
	v_fma_f64 v[162:163], v[164:165], s[20:21], -v[209:210]
	s_delay_alu instid0(VALU_DEP_2) | instskip(NEXT) | instid1(VALU_DEP_2)
	v_add_f64 v[147:148], v[149:150], -v[147:148]
	v_fma_f64 v[149:150], v[164:165], s[24:25], v[162:163]
	s_delay_alu instid0(VALU_DEP_2) | instskip(NEXT) | instid1(VALU_DEP_2)
	v_add_f64 v[133:134], v[133:134], v[147:148]
	v_add_f64 v[147:148], v[209:210], v[149:150]
	s_delay_alu instid0(VALU_DEP_2) | instskip(NEXT) | instid1(VALU_DEP_2)
	v_add_f64 v[162:163], v[160:161], v[133:134]
	v_add_f64 v[209:210], v[147:148], -v[209:210]
	s_delay_alu instid0(VALU_DEP_2) | instskip(SKIP_1) | instid1(VALU_DEP_3)
	v_add_f64 v[164:165], v[147:148], v[162:163]
	v_add_f64 v[160:161], v[162:163], -v[160:161]
	v_add_f64 v[149:150], v[149:150], -v[209:210]
	s_delay_alu instid0(VALU_DEP_3) | instskip(NEXT) | instid1(VALU_DEP_3)
	v_add_f64 v[211:212], v[164:165], -v[147:148]
	v_add_f64 v[133:134], v[133:134], -v[160:161]
	s_delay_alu instid0(VALU_DEP_2) | instskip(SKIP_1) | instid1(VALU_DEP_3)
	v_add_f64 v[213:214], v[164:165], -v[211:212]
	v_add_f64 v[160:161], v[162:163], -v[211:212]
	v_add_f64 v[162:163], v[149:150], v[133:134]
	s_delay_alu instid0(VALU_DEP_3) | instskip(NEXT) | instid1(VALU_DEP_1)
	v_add_f64 v[147:148], v[147:148], -v[213:214]
	v_add_f64 v[147:148], v[160:161], v[147:148]
	s_delay_alu instid0(VALU_DEP_3) | instskip(NEXT) | instid1(VALU_DEP_2)
	v_add_f64 v[160:161], v[162:163], -v[149:150]
	v_add_f64 v[147:148], v[162:163], v[147:148]
	s_delay_alu instid0(VALU_DEP_2) | instskip(SKIP_1) | instid1(VALU_DEP_3)
	v_add_f64 v[162:163], v[162:163], -v[160:161]
	v_add_f64 v[133:134], v[133:134], -v[160:161]
	v_add_f64 v[209:210], v[164:165], v[147:148]
	s_delay_alu instid0(VALU_DEP_3) | instskip(NEXT) | instid1(VALU_DEP_2)
	v_add_f64 v[149:150], v[149:150], -v[162:163]
	v_add_f64 v[160:161], v[209:210], -v[164:165]
	s_delay_alu instid0(VALU_DEP_2) | instskip(NEXT) | instid1(VALU_DEP_2)
	v_add_f64 v[133:134], v[133:134], v[149:150]
	v_add_f64 v[147:148], v[147:148], -v[160:161]
	s_delay_alu instid0(VALU_DEP_1) | instskip(NEXT) | instid1(VALU_DEP_1)
	v_add_f64 v[133:134], v[133:134], v[147:148]
	v_add_f64 v[133:134], v[209:210], v[133:134]
	s_delay_alu instid0(VALU_DEP_1) | instskip(NEXT) | instid1(VALU_DEP_2)
	v_cndmask_b32_e64 v133, v133, v131, s17
	v_cndmask_b32_e64 v134, v134, v132, s17
	v_cmp_ngt_f64_e64 s17, -1.0, v[131:132]
	s_delay_alu instid0(VALU_DEP_1) | instskip(SKIP_1) | instid1(VALU_DEP_1)
	v_cndmask_b32_e64 v134, 0x7ff80000, v134, s17
	v_cmp_nge_f64_e64 s17, -1.0, v[131:132]
	v_cndmask_b32_e64 v133, 0, v133, s17
	v_cmp_neq_f64_e64 s17, -1.0, v[131:132]
	s_delay_alu instid0(VALU_DEP_1) | instskip(NEXT) | instid1(VALU_DEP_1)
	v_cndmask_b32_e64 v134, 0xfff00000, v134, s17
	v_add_f64 v[131:132], v[129:130], v[133:134]
.LBB56_318:
	s_or_b32 exec_lo, exec_lo, s28
	s_delay_alu instid0(VALU_DEP_1)
	v_dual_mov_b32 v133, v131 :: v_dual_mov_b32 v134, v132
	v_dual_mov_b32 v129, v131 :: v_dual_mov_b32 v130, v132
.LBB56_319:
	s_or_b32 exec_lo, exec_lo, s27
	s_delay_alu instid0(VALU_DEP_2) | instskip(NEXT) | instid1(VALU_DEP_3)
	v_mov_b32_dpp v131, v133 row_shr:2 row_mask:0xf bank_mask:0xf
	v_mov_b32_dpp v132, v134 row_shr:2 row_mask:0xf bank_mask:0xf
	s_mov_b32 s27, exec_lo
	v_cmpx_lt_u32_e32 1, v146
	s_cbranch_execz .LBB56_323
; %bb.320:
	s_delay_alu instid0(VALU_DEP_2) | instskip(SKIP_3) | instid1(VALU_DEP_3)
	v_max_f64 v[133:134], v[131:132], v[131:132]
	v_max_f64 v[147:148], v[129:130], v[129:130]
	v_cmp_u_f64_e64 s17, v[131:132], v[131:132]
	v_cmp_u_f64_e64 s18, v[129:130], v[129:130]
	v_min_f64 v[149:150], v[133:134], v[147:148]
	v_max_f64 v[133:134], v[133:134], v[147:148]
	s_delay_alu instid0(VALU_DEP_2) | instskip(NEXT) | instid1(VALU_DEP_3)
	v_cndmask_b32_e64 v147, v149, v131, s17
	v_cndmask_b32_e64 v148, v150, v132, s17
	s_delay_alu instid0(VALU_DEP_3) | instskip(NEXT) | instid1(VALU_DEP_4)
	v_cndmask_b32_e64 v149, v134, v132, s17
	v_cndmask_b32_e64 v150, v133, v131, s17
	s_delay_alu instid0(VALU_DEP_4) | instskip(NEXT) | instid1(VALU_DEP_4)
	v_cndmask_b32_e64 v133, v147, v129, s18
	v_cndmask_b32_e64 v134, v148, v130, s18
	s_delay_alu instid0(VALU_DEP_4) | instskip(NEXT) | instid1(VALU_DEP_4)
	v_cndmask_b32_e64 v130, v149, v130, s18
	v_cndmask_b32_e64 v129, v150, v129, s18
	s_delay_alu instid0(VALU_DEP_3) | instskip(NEXT) | instid1(VALU_DEP_2)
	v_cmp_class_f64_e64 s18, v[133:134], 0x1f8
	v_cmp_neq_f64_e64 s17, v[133:134], v[129:130]
	s_delay_alu instid0(VALU_DEP_1) | instskip(NEXT) | instid1(SALU_CYCLE_1)
	s_or_b32 s17, s17, s18
	s_and_saveexec_b32 s28, s17
	s_cbranch_execz .LBB56_322
; %bb.321:
	v_add_f64 v[131:132], v[133:134], -v[129:130]
	s_mov_b32 s18, 0x652b82fe
	s_mov_b32 s19, 0x3ff71547
	;; [unrolled: 1-line block ×10, first 2 shown]
	s_delay_alu instid0(VALU_DEP_1) | instskip(SKIP_3) | instid1(VALU_DEP_2)
	v_mul_f64 v[133:134], v[131:132], s[18:19]
	s_mov_b32 s18, 0xfca7ab0c
	s_mov_b32 s19, 0x3e928af3
	v_cmp_nlt_f64_e64 s17, 0x40900000, v[131:132]
	v_rndne_f64_e32 v[133:134], v[133:134]
	s_delay_alu instid0(VALU_DEP_1) | instskip(SKIP_2) | instid1(VALU_DEP_2)
	v_fma_f64 v[147:148], v[133:134], s[20:21], v[131:132]
	v_cvt_i32_f64_e32 v151, v[133:134]
	s_mov_b32 s21, 0x3fe62e42
	v_fma_f64 v[147:148], v[133:134], s[24:25], v[147:148]
	s_mov_b32 s25, 0x3c7abc9e
	s_delay_alu instid0(VALU_DEP_1) | instskip(SKIP_4) | instid1(VALU_DEP_1)
	v_fma_f64 v[149:150], v[147:148], s[30:31], s[18:19]
	s_mov_b32 s18, 0x623fde64
	s_mov_b32 s19, 0x3ec71dee
	;; [unrolled: 1-line block ×4, first 2 shown]
	v_fma_f64 v[149:150], v[147:148], v[149:150], s[18:19]
	s_mov_b32 s18, 0x7c89e6b0
	s_mov_b32 s19, 0x3efa0199
	s_delay_alu instid0(VALU_DEP_1) | instid1(SALU_CYCLE_1)
	v_fma_f64 v[149:150], v[147:148], v[149:150], s[18:19]
	s_mov_b32 s18, 0x14761f6e
	s_mov_b32 s19, 0x3f2a01a0
	s_delay_alu instid0(VALU_DEP_1) | instid1(SALU_CYCLE_1)
	;; [unrolled: 4-line block ×7, first 2 shown]
	v_fma_f64 v[149:150], v[147:148], v[149:150], s[18:19]
	v_cmp_ngt_f64_e64 s18, 0xc090cc00, v[131:132]
	s_mov_b32 s19, 0x3fe55555
	s_delay_alu instid0(VALU_DEP_2) | instskip(NEXT) | instid1(VALU_DEP_1)
	v_fma_f64 v[149:150], v[147:148], v[149:150], 1.0
	v_fma_f64 v[133:134], v[147:148], v[149:150], 1.0
	s_delay_alu instid0(VALU_DEP_1) | instskip(NEXT) | instid1(VALU_DEP_1)
	v_ldexp_f64 v[133:134], v[133:134], v151
	v_cndmask_b32_e64 v134, 0x7ff00000, v134, s17
	s_and_b32 s17, s18, s17
	s_delay_alu instid0(VALU_DEP_2) | instid1(SALU_CYCLE_1)
	v_cndmask_b32_e64 v131, 0, v133, s17
	s_delay_alu instid0(VALU_DEP_2) | instskip(SKIP_1) | instid1(VALU_DEP_1)
	v_cndmask_b32_e64 v132, 0, v134, s18
	s_mov_b32 s18, 0x55555555
	v_add_f64 v[133:134], v[131:132], 1.0
	s_delay_alu instid0(VALU_DEP_1) | instskip(SKIP_2) | instid1(VALU_DEP_3)
	v_frexp_mant_f64_e32 v[147:148], v[133:134]
	v_frexp_exp_i32_f64_e32 v151, v[133:134]
	v_add_f64 v[149:150], v[133:134], -1.0
	v_cmp_gt_f64_e64 s17, s[18:19], v[147:148]
	s_mov_b32 s18, 0x55555780
	s_delay_alu instid0(VALU_DEP_2) | instskip(SKIP_1) | instid1(VALU_DEP_3)
	v_add_f64 v[147:148], v[149:150], -v[133:134]
	v_add_f64 v[149:150], v[131:132], -v[149:150]
	v_subrev_co_ci_u32_e64 v151, s17, 0, v151, s17
	s_delay_alu instid0(VALU_DEP_3) | instskip(SKIP_1) | instid1(VALU_DEP_3)
	v_add_f64 v[147:148], v[147:148], 1.0
	v_cmp_eq_f64_e64 s17, 0x7ff00000, v[131:132]
	v_sub_nc_u32_e32 v162, 0, v151
	s_delay_alu instid0(VALU_DEP_1) | instskip(NEXT) | instid1(VALU_DEP_4)
	v_ldexp_f64 v[133:134], v[133:134], v162
	v_add_f64 v[147:148], v[149:150], v[147:148]
	s_delay_alu instid0(VALU_DEP_2) | instskip(SKIP_1) | instid1(VALU_DEP_3)
	v_add_f64 v[160:161], v[133:134], 1.0
	v_add_f64 v[209:210], v[133:134], -1.0
	v_ldexp_f64 v[147:148], v[147:148], v162
	s_delay_alu instid0(VALU_DEP_3) | instskip(NEXT) | instid1(VALU_DEP_3)
	v_add_f64 v[149:150], v[160:161], -1.0
	v_add_f64 v[211:212], v[209:210], 1.0
	s_delay_alu instid0(VALU_DEP_2) | instskip(NEXT) | instid1(VALU_DEP_2)
	v_add_f64 v[149:150], v[133:134], -v[149:150]
	v_add_f64 v[133:134], v[133:134], -v[211:212]
	s_delay_alu instid0(VALU_DEP_2) | instskip(NEXT) | instid1(VALU_DEP_2)
	v_add_f64 v[149:150], v[147:148], v[149:150]
	v_add_f64 v[133:134], v[147:148], v[133:134]
	s_delay_alu instid0(VALU_DEP_2) | instskip(NEXT) | instid1(VALU_DEP_2)
	v_add_f64 v[162:163], v[160:161], v[149:150]
	v_add_f64 v[211:212], v[209:210], v[133:134]
	s_delay_alu instid0(VALU_DEP_2) | instskip(SKIP_1) | instid1(VALU_DEP_2)
	v_rcp_f64_e32 v[164:165], v[162:163]
	v_add_f64 v[160:161], v[162:163], -v[160:161]
	v_add_f64 v[209:210], v[211:212], -v[209:210]
	s_delay_alu instid0(VALU_DEP_2) | instskip(SKIP_3) | instid1(VALU_DEP_2)
	v_add_f64 v[149:150], v[149:150], -v[160:161]
	s_waitcnt_depctr 0xfff
	v_fma_f64 v[213:214], -v[162:163], v[164:165], 1.0
	v_add_f64 v[133:134], v[133:134], -v[209:210]
	v_fma_f64 v[164:165], v[213:214], v[164:165], v[164:165]
	s_delay_alu instid0(VALU_DEP_1) | instskip(NEXT) | instid1(VALU_DEP_1)
	v_fma_f64 v[147:148], -v[162:163], v[164:165], 1.0
	v_fma_f64 v[147:148], v[147:148], v[164:165], v[164:165]
	s_delay_alu instid0(VALU_DEP_1) | instskip(NEXT) | instid1(VALU_DEP_1)
	v_mul_f64 v[164:165], v[211:212], v[147:148]
	v_mul_f64 v[213:214], v[162:163], v[164:165]
	s_delay_alu instid0(VALU_DEP_1) | instskip(NEXT) | instid1(VALU_DEP_1)
	v_fma_f64 v[160:161], v[164:165], v[162:163], -v[213:214]
	v_fma_f64 v[160:161], v[164:165], v[149:150], v[160:161]
	s_delay_alu instid0(VALU_DEP_1) | instskip(NEXT) | instid1(VALU_DEP_1)
	v_add_f64 v[224:225], v[213:214], v[160:161]
	v_add_f64 v[226:227], v[211:212], -v[224:225]
	v_add_f64 v[209:210], v[224:225], -v[213:214]
	s_delay_alu instid0(VALU_DEP_2) | instskip(NEXT) | instid1(VALU_DEP_2)
	v_add_f64 v[211:212], v[211:212], -v[226:227]
	v_add_f64 v[160:161], v[209:210], -v[160:161]
	s_delay_alu instid0(VALU_DEP_2) | instskip(NEXT) | instid1(VALU_DEP_1)
	v_add_f64 v[211:212], v[211:212], -v[224:225]
	v_add_f64 v[133:134], v[133:134], v[211:212]
	s_delay_alu instid0(VALU_DEP_1) | instskip(NEXT) | instid1(VALU_DEP_1)
	v_add_f64 v[133:134], v[160:161], v[133:134]
	v_add_f64 v[160:161], v[226:227], v[133:134]
	s_delay_alu instid0(VALU_DEP_1) | instskip(SKIP_1) | instid1(VALU_DEP_2)
	v_mul_f64 v[209:210], v[147:148], v[160:161]
	v_add_f64 v[224:225], v[226:227], -v[160:161]
	v_mul_f64 v[211:212], v[162:163], v[209:210]
	s_delay_alu instid0(VALU_DEP_2) | instskip(NEXT) | instid1(VALU_DEP_2)
	v_add_f64 v[133:134], v[133:134], v[224:225]
	v_fma_f64 v[162:163], v[209:210], v[162:163], -v[211:212]
	s_delay_alu instid0(VALU_DEP_1) | instskip(NEXT) | instid1(VALU_DEP_1)
	v_fma_f64 v[149:150], v[209:210], v[149:150], v[162:163]
	v_add_f64 v[162:163], v[211:212], v[149:150]
	s_delay_alu instid0(VALU_DEP_1) | instskip(SKIP_1) | instid1(VALU_DEP_2)
	v_add_f64 v[213:214], v[160:161], -v[162:163]
	v_add_f64 v[211:212], v[162:163], -v[211:212]
	;; [unrolled: 1-line block ×3, first 2 shown]
	s_delay_alu instid0(VALU_DEP_2) | instskip(NEXT) | instid1(VALU_DEP_2)
	v_add_f64 v[149:150], v[211:212], -v[149:150]
	v_add_f64 v[160:161], v[160:161], -v[162:163]
	s_delay_alu instid0(VALU_DEP_1) | instskip(SKIP_1) | instid1(VALU_DEP_2)
	v_add_f64 v[133:134], v[133:134], v[160:161]
	v_add_f64 v[160:161], v[164:165], v[209:210]
	;; [unrolled: 1-line block ×3, first 2 shown]
	s_delay_alu instid0(VALU_DEP_2) | instskip(NEXT) | instid1(VALU_DEP_2)
	v_add_f64 v[149:150], v[160:161], -v[164:165]
	v_add_f64 v[133:134], v[213:214], v[133:134]
	s_delay_alu instid0(VALU_DEP_2) | instskip(NEXT) | instid1(VALU_DEP_2)
	v_add_f64 v[149:150], v[209:210], -v[149:150]
	v_mul_f64 v[133:134], v[147:148], v[133:134]
	s_delay_alu instid0(VALU_DEP_1) | instskip(NEXT) | instid1(VALU_DEP_1)
	v_add_f64 v[133:134], v[149:150], v[133:134]
	v_add_f64 v[147:148], v[160:161], v[133:134]
	s_delay_alu instid0(VALU_DEP_1) | instskip(NEXT) | instid1(VALU_DEP_1)
	v_mul_f64 v[149:150], v[147:148], v[147:148]
	v_fma_f64 v[162:163], v[149:150], s[34:35], s[30:31]
	s_mov_b32 s30, 0xd7f4df2e
	s_mov_b32 s31, 0x3fc7474d
	v_mul_f64 v[164:165], v[147:148], v[149:150]
	s_delay_alu instid0(VALU_DEP_2)
	v_fma_f64 v[162:163], v[149:150], v[162:163], s[30:31]
	s_mov_b32 s30, 0x16291751
	s_mov_b32 s31, 0x3fcc71c0
	s_delay_alu instid0(VALU_DEP_1) | instid1(SALU_CYCLE_1)
	v_fma_f64 v[162:163], v[149:150], v[162:163], s[30:31]
	s_mov_b32 s30, 0x9b27acf1
	s_mov_b32 s31, 0x3fd24924
	s_delay_alu instid0(VALU_DEP_1) | instid1(SALU_CYCLE_1)
	;; [unrolled: 4-line block ×3, first 2 shown]
	v_fma_f64 v[162:163], v[149:150], v[162:163], s[30:31]
	s_delay_alu instid0(VALU_DEP_1) | instskip(SKIP_2) | instid1(VALU_DEP_3)
	v_fma_f64 v[149:150], v[149:150], v[162:163], s[18:19]
	v_ldexp_f64 v[162:163], v[147:148], 1
	v_add_f64 v[147:148], v[147:148], -v[160:161]
	v_mul_f64 v[149:150], v[164:165], v[149:150]
	v_cvt_f64_i32_e32 v[164:165], v151
	s_delay_alu instid0(VALU_DEP_3) | instskip(NEXT) | instid1(VALU_DEP_3)
	v_add_f64 v[133:134], v[133:134], -v[147:148]
	v_add_f64 v[160:161], v[162:163], v[149:150]
	s_delay_alu instid0(VALU_DEP_3) | instskip(NEXT) | instid1(VALU_DEP_3)
	v_mul_f64 v[209:210], v[164:165], s[20:21]
	v_ldexp_f64 v[133:134], v[133:134], 1
	s_delay_alu instid0(VALU_DEP_3) | instskip(NEXT) | instid1(VALU_DEP_3)
	v_add_f64 v[147:148], v[160:161], -v[162:163]
	v_fma_f64 v[162:163], v[164:165], s[20:21], -v[209:210]
	s_delay_alu instid0(VALU_DEP_2) | instskip(NEXT) | instid1(VALU_DEP_2)
	v_add_f64 v[147:148], v[149:150], -v[147:148]
	v_fma_f64 v[149:150], v[164:165], s[24:25], v[162:163]
	s_delay_alu instid0(VALU_DEP_2) | instskip(NEXT) | instid1(VALU_DEP_2)
	v_add_f64 v[133:134], v[133:134], v[147:148]
	v_add_f64 v[147:148], v[209:210], v[149:150]
	s_delay_alu instid0(VALU_DEP_2) | instskip(NEXT) | instid1(VALU_DEP_2)
	v_add_f64 v[162:163], v[160:161], v[133:134]
	v_add_f64 v[209:210], v[147:148], -v[209:210]
	s_delay_alu instid0(VALU_DEP_2) | instskip(SKIP_1) | instid1(VALU_DEP_3)
	v_add_f64 v[164:165], v[147:148], v[162:163]
	v_add_f64 v[160:161], v[162:163], -v[160:161]
	v_add_f64 v[149:150], v[149:150], -v[209:210]
	s_delay_alu instid0(VALU_DEP_3) | instskip(NEXT) | instid1(VALU_DEP_3)
	v_add_f64 v[211:212], v[164:165], -v[147:148]
	v_add_f64 v[133:134], v[133:134], -v[160:161]
	s_delay_alu instid0(VALU_DEP_2) | instskip(SKIP_1) | instid1(VALU_DEP_3)
	v_add_f64 v[213:214], v[164:165], -v[211:212]
	v_add_f64 v[160:161], v[162:163], -v[211:212]
	v_add_f64 v[162:163], v[149:150], v[133:134]
	s_delay_alu instid0(VALU_DEP_3) | instskip(NEXT) | instid1(VALU_DEP_1)
	v_add_f64 v[147:148], v[147:148], -v[213:214]
	v_add_f64 v[147:148], v[160:161], v[147:148]
	s_delay_alu instid0(VALU_DEP_3) | instskip(NEXT) | instid1(VALU_DEP_2)
	v_add_f64 v[160:161], v[162:163], -v[149:150]
	v_add_f64 v[147:148], v[162:163], v[147:148]
	s_delay_alu instid0(VALU_DEP_2) | instskip(SKIP_1) | instid1(VALU_DEP_3)
	v_add_f64 v[162:163], v[162:163], -v[160:161]
	v_add_f64 v[133:134], v[133:134], -v[160:161]
	v_add_f64 v[209:210], v[164:165], v[147:148]
	s_delay_alu instid0(VALU_DEP_3) | instskip(NEXT) | instid1(VALU_DEP_2)
	v_add_f64 v[149:150], v[149:150], -v[162:163]
	v_add_f64 v[160:161], v[209:210], -v[164:165]
	s_delay_alu instid0(VALU_DEP_2) | instskip(NEXT) | instid1(VALU_DEP_2)
	v_add_f64 v[133:134], v[133:134], v[149:150]
	v_add_f64 v[147:148], v[147:148], -v[160:161]
	s_delay_alu instid0(VALU_DEP_1) | instskip(NEXT) | instid1(VALU_DEP_1)
	v_add_f64 v[133:134], v[133:134], v[147:148]
	v_add_f64 v[133:134], v[209:210], v[133:134]
	s_delay_alu instid0(VALU_DEP_1) | instskip(NEXT) | instid1(VALU_DEP_2)
	v_cndmask_b32_e64 v133, v133, v131, s17
	v_cndmask_b32_e64 v134, v134, v132, s17
	v_cmp_ngt_f64_e64 s17, -1.0, v[131:132]
	s_delay_alu instid0(VALU_DEP_1) | instskip(SKIP_1) | instid1(VALU_DEP_1)
	v_cndmask_b32_e64 v134, 0x7ff80000, v134, s17
	v_cmp_nge_f64_e64 s17, -1.0, v[131:132]
	v_cndmask_b32_e64 v133, 0, v133, s17
	v_cmp_neq_f64_e64 s17, -1.0, v[131:132]
	s_delay_alu instid0(VALU_DEP_1) | instskip(NEXT) | instid1(VALU_DEP_1)
	v_cndmask_b32_e64 v134, 0xfff00000, v134, s17
	v_add_f64 v[131:132], v[129:130], v[133:134]
.LBB56_322:
	s_or_b32 exec_lo, exec_lo, s28
	s_delay_alu instid0(VALU_DEP_1)
	v_dual_mov_b32 v133, v131 :: v_dual_mov_b32 v134, v132
	v_dual_mov_b32 v129, v131 :: v_dual_mov_b32 v130, v132
.LBB56_323:
	s_or_b32 exec_lo, exec_lo, s27
	s_delay_alu instid0(VALU_DEP_2) | instskip(NEXT) | instid1(VALU_DEP_3)
	v_mov_b32_dpp v131, v133 row_shr:4 row_mask:0xf bank_mask:0xf
	v_mov_b32_dpp v132, v134 row_shr:4 row_mask:0xf bank_mask:0xf
	s_mov_b32 s27, exec_lo
	v_cmpx_lt_u32_e32 3, v146
	s_cbranch_execz .LBB56_327
; %bb.324:
	s_delay_alu instid0(VALU_DEP_2) | instskip(SKIP_3) | instid1(VALU_DEP_3)
	v_max_f64 v[133:134], v[131:132], v[131:132]
	v_max_f64 v[146:147], v[129:130], v[129:130]
	v_cmp_u_f64_e64 s17, v[131:132], v[131:132]
	v_cmp_u_f64_e64 s18, v[129:130], v[129:130]
	v_min_f64 v[148:149], v[133:134], v[146:147]
	v_max_f64 v[133:134], v[133:134], v[146:147]
	s_delay_alu instid0(VALU_DEP_2) | instskip(NEXT) | instid1(VALU_DEP_3)
	v_cndmask_b32_e64 v146, v148, v131, s17
	v_cndmask_b32_e64 v147, v149, v132, s17
	s_delay_alu instid0(VALU_DEP_3) | instskip(NEXT) | instid1(VALU_DEP_4)
	v_cndmask_b32_e64 v148, v134, v132, s17
	v_cndmask_b32_e64 v149, v133, v131, s17
	s_delay_alu instid0(VALU_DEP_4) | instskip(NEXT) | instid1(VALU_DEP_4)
	v_cndmask_b32_e64 v133, v146, v129, s18
	v_cndmask_b32_e64 v134, v147, v130, s18
	s_delay_alu instid0(VALU_DEP_4) | instskip(NEXT) | instid1(VALU_DEP_4)
	v_cndmask_b32_e64 v130, v148, v130, s18
	v_cndmask_b32_e64 v129, v149, v129, s18
	s_delay_alu instid0(VALU_DEP_3) | instskip(NEXT) | instid1(VALU_DEP_2)
	v_cmp_class_f64_e64 s18, v[133:134], 0x1f8
	v_cmp_neq_f64_e64 s17, v[133:134], v[129:130]
	s_delay_alu instid0(VALU_DEP_1) | instskip(NEXT) | instid1(SALU_CYCLE_1)
	s_or_b32 s17, s17, s18
	s_and_saveexec_b32 s28, s17
	s_cbranch_execz .LBB56_326
; %bb.325:
	v_add_f64 v[131:132], v[133:134], -v[129:130]
	s_mov_b32 s18, 0x652b82fe
	s_mov_b32 s19, 0x3ff71547
	;; [unrolled: 1-line block ×10, first 2 shown]
	s_delay_alu instid0(VALU_DEP_1) | instskip(SKIP_3) | instid1(VALU_DEP_2)
	v_mul_f64 v[133:134], v[131:132], s[18:19]
	s_mov_b32 s18, 0xfca7ab0c
	s_mov_b32 s19, 0x3e928af3
	v_cmp_nlt_f64_e64 s17, 0x40900000, v[131:132]
	v_rndne_f64_e32 v[133:134], v[133:134]
	s_delay_alu instid0(VALU_DEP_1) | instskip(SKIP_2) | instid1(VALU_DEP_2)
	v_fma_f64 v[146:147], v[133:134], s[20:21], v[131:132]
	v_cvt_i32_f64_e32 v150, v[133:134]
	s_mov_b32 s21, 0x3fe62e42
	v_fma_f64 v[146:147], v[133:134], s[24:25], v[146:147]
	s_mov_b32 s25, 0x3c7abc9e
	s_delay_alu instid0(VALU_DEP_1) | instskip(SKIP_4) | instid1(VALU_DEP_1)
	v_fma_f64 v[148:149], v[146:147], s[30:31], s[18:19]
	s_mov_b32 s18, 0x623fde64
	s_mov_b32 s19, 0x3ec71dee
	;; [unrolled: 1-line block ×4, first 2 shown]
	v_fma_f64 v[148:149], v[146:147], v[148:149], s[18:19]
	s_mov_b32 s18, 0x7c89e6b0
	s_mov_b32 s19, 0x3efa0199
	s_delay_alu instid0(VALU_DEP_1) | instid1(SALU_CYCLE_1)
	v_fma_f64 v[148:149], v[146:147], v[148:149], s[18:19]
	s_mov_b32 s18, 0x14761f6e
	s_mov_b32 s19, 0x3f2a01a0
	s_delay_alu instid0(VALU_DEP_1) | instid1(SALU_CYCLE_1)
	;; [unrolled: 4-line block ×7, first 2 shown]
	v_fma_f64 v[148:149], v[146:147], v[148:149], s[18:19]
	v_cmp_ngt_f64_e64 s18, 0xc090cc00, v[131:132]
	s_mov_b32 s19, 0x3fe55555
	s_delay_alu instid0(VALU_DEP_2) | instskip(NEXT) | instid1(VALU_DEP_1)
	v_fma_f64 v[148:149], v[146:147], v[148:149], 1.0
	v_fma_f64 v[133:134], v[146:147], v[148:149], 1.0
	s_delay_alu instid0(VALU_DEP_1) | instskip(NEXT) | instid1(VALU_DEP_1)
	v_ldexp_f64 v[133:134], v[133:134], v150
	v_cndmask_b32_e64 v134, 0x7ff00000, v134, s17
	s_and_b32 s17, s18, s17
	s_delay_alu instid0(VALU_DEP_2) | instid1(SALU_CYCLE_1)
	v_cndmask_b32_e64 v131, 0, v133, s17
	s_delay_alu instid0(VALU_DEP_2) | instskip(SKIP_1) | instid1(VALU_DEP_1)
	v_cndmask_b32_e64 v132, 0, v134, s18
	s_mov_b32 s18, 0x55555555
	v_add_f64 v[133:134], v[131:132], 1.0
	s_delay_alu instid0(VALU_DEP_1) | instskip(SKIP_2) | instid1(VALU_DEP_3)
	v_frexp_mant_f64_e32 v[146:147], v[133:134]
	v_frexp_exp_i32_f64_e32 v150, v[133:134]
	v_add_f64 v[148:149], v[133:134], -1.0
	v_cmp_gt_f64_e64 s17, s[18:19], v[146:147]
	s_mov_b32 s18, 0x55555780
	s_delay_alu instid0(VALU_DEP_2) | instskip(SKIP_1) | instid1(VALU_DEP_3)
	v_add_f64 v[146:147], v[148:149], -v[133:134]
	v_add_f64 v[148:149], v[131:132], -v[148:149]
	v_subrev_co_ci_u32_e64 v166, s17, 0, v150, s17
	s_delay_alu instid0(VALU_DEP_3) | instskip(SKIP_1) | instid1(VALU_DEP_3)
	v_add_f64 v[146:147], v[146:147], 1.0
	v_cmp_eq_f64_e64 s17, 0x7ff00000, v[131:132]
	v_sub_nc_u32_e32 v160, 0, v166
	s_delay_alu instid0(VALU_DEP_1) | instskip(NEXT) | instid1(VALU_DEP_4)
	v_ldexp_f64 v[133:134], v[133:134], v160
	v_add_f64 v[146:147], v[148:149], v[146:147]
	s_delay_alu instid0(VALU_DEP_2) | instskip(SKIP_1) | instid1(VALU_DEP_3)
	v_add_f64 v[150:151], v[133:134], 1.0
	v_add_f64 v[164:165], v[133:134], -1.0
	v_ldexp_f64 v[146:147], v[146:147], v160
	s_delay_alu instid0(VALU_DEP_3) | instskip(NEXT) | instid1(VALU_DEP_3)
	v_add_f64 v[148:149], v[150:151], -1.0
	v_add_f64 v[209:210], v[164:165], 1.0
	s_delay_alu instid0(VALU_DEP_2) | instskip(NEXT) | instid1(VALU_DEP_2)
	v_add_f64 v[148:149], v[133:134], -v[148:149]
	v_add_f64 v[133:134], v[133:134], -v[209:210]
	s_delay_alu instid0(VALU_DEP_2) | instskip(NEXT) | instid1(VALU_DEP_2)
	v_add_f64 v[148:149], v[146:147], v[148:149]
	v_add_f64 v[133:134], v[146:147], v[133:134]
	s_delay_alu instid0(VALU_DEP_2) | instskip(NEXT) | instid1(VALU_DEP_2)
	v_add_f64 v[160:161], v[150:151], v[148:149]
	v_add_f64 v[209:210], v[164:165], v[133:134]
	s_delay_alu instid0(VALU_DEP_2) | instskip(SKIP_1) | instid1(VALU_DEP_2)
	v_rcp_f64_e32 v[162:163], v[160:161]
	v_add_f64 v[150:151], v[160:161], -v[150:151]
	v_add_f64 v[164:165], v[209:210], -v[164:165]
	s_delay_alu instid0(VALU_DEP_2) | instskip(SKIP_3) | instid1(VALU_DEP_2)
	v_add_f64 v[148:149], v[148:149], -v[150:151]
	s_waitcnt_depctr 0xfff
	v_fma_f64 v[211:212], -v[160:161], v[162:163], 1.0
	v_add_f64 v[133:134], v[133:134], -v[164:165]
	v_fma_f64 v[162:163], v[211:212], v[162:163], v[162:163]
	s_delay_alu instid0(VALU_DEP_1) | instskip(NEXT) | instid1(VALU_DEP_1)
	v_fma_f64 v[146:147], -v[160:161], v[162:163], 1.0
	v_fma_f64 v[146:147], v[146:147], v[162:163], v[162:163]
	s_delay_alu instid0(VALU_DEP_1) | instskip(NEXT) | instid1(VALU_DEP_1)
	v_mul_f64 v[162:163], v[209:210], v[146:147]
	v_mul_f64 v[211:212], v[160:161], v[162:163]
	s_delay_alu instid0(VALU_DEP_1) | instskip(NEXT) | instid1(VALU_DEP_1)
	v_fma_f64 v[150:151], v[162:163], v[160:161], -v[211:212]
	v_fma_f64 v[150:151], v[162:163], v[148:149], v[150:151]
	s_delay_alu instid0(VALU_DEP_1) | instskip(NEXT) | instid1(VALU_DEP_1)
	v_add_f64 v[213:214], v[211:212], v[150:151]
	v_add_f64 v[224:225], v[209:210], -v[213:214]
	v_add_f64 v[164:165], v[213:214], -v[211:212]
	s_delay_alu instid0(VALU_DEP_2) | instskip(NEXT) | instid1(VALU_DEP_2)
	v_add_f64 v[209:210], v[209:210], -v[224:225]
	v_add_f64 v[150:151], v[164:165], -v[150:151]
	s_delay_alu instid0(VALU_DEP_2) | instskip(NEXT) | instid1(VALU_DEP_1)
	v_add_f64 v[209:210], v[209:210], -v[213:214]
	v_add_f64 v[133:134], v[133:134], v[209:210]
	s_delay_alu instid0(VALU_DEP_1) | instskip(NEXT) | instid1(VALU_DEP_1)
	v_add_f64 v[133:134], v[150:151], v[133:134]
	v_add_f64 v[150:151], v[224:225], v[133:134]
	s_delay_alu instid0(VALU_DEP_1) | instskip(SKIP_1) | instid1(VALU_DEP_2)
	v_mul_f64 v[164:165], v[146:147], v[150:151]
	v_add_f64 v[213:214], v[224:225], -v[150:151]
	v_mul_f64 v[209:210], v[160:161], v[164:165]
	s_delay_alu instid0(VALU_DEP_2) | instskip(NEXT) | instid1(VALU_DEP_2)
	v_add_f64 v[133:134], v[133:134], v[213:214]
	v_fma_f64 v[160:161], v[164:165], v[160:161], -v[209:210]
	s_delay_alu instid0(VALU_DEP_1) | instskip(NEXT) | instid1(VALU_DEP_1)
	v_fma_f64 v[148:149], v[164:165], v[148:149], v[160:161]
	v_add_f64 v[160:161], v[209:210], v[148:149]
	s_delay_alu instid0(VALU_DEP_1) | instskip(SKIP_1) | instid1(VALU_DEP_2)
	v_add_f64 v[211:212], v[150:151], -v[160:161]
	v_add_f64 v[209:210], v[160:161], -v[209:210]
	;; [unrolled: 1-line block ×3, first 2 shown]
	s_delay_alu instid0(VALU_DEP_2) | instskip(NEXT) | instid1(VALU_DEP_2)
	v_add_f64 v[148:149], v[209:210], -v[148:149]
	v_add_f64 v[150:151], v[150:151], -v[160:161]
	s_delay_alu instid0(VALU_DEP_1) | instskip(SKIP_1) | instid1(VALU_DEP_2)
	v_add_f64 v[133:134], v[133:134], v[150:151]
	v_add_f64 v[150:151], v[162:163], v[164:165]
	;; [unrolled: 1-line block ×3, first 2 shown]
	s_delay_alu instid0(VALU_DEP_2) | instskip(NEXT) | instid1(VALU_DEP_2)
	v_add_f64 v[148:149], v[150:151], -v[162:163]
	v_add_f64 v[133:134], v[211:212], v[133:134]
	s_delay_alu instid0(VALU_DEP_2) | instskip(NEXT) | instid1(VALU_DEP_2)
	v_add_f64 v[148:149], v[164:165], -v[148:149]
	v_mul_f64 v[133:134], v[146:147], v[133:134]
	s_delay_alu instid0(VALU_DEP_1) | instskip(NEXT) | instid1(VALU_DEP_1)
	v_add_f64 v[133:134], v[148:149], v[133:134]
	v_add_f64 v[146:147], v[150:151], v[133:134]
	s_delay_alu instid0(VALU_DEP_1) | instskip(NEXT) | instid1(VALU_DEP_1)
	v_mul_f64 v[148:149], v[146:147], v[146:147]
	v_fma_f64 v[160:161], v[148:149], s[34:35], s[30:31]
	s_mov_b32 s30, 0xd7f4df2e
	s_mov_b32 s31, 0x3fc7474d
	v_mul_f64 v[162:163], v[146:147], v[148:149]
	s_delay_alu instid0(VALU_DEP_2)
	v_fma_f64 v[160:161], v[148:149], v[160:161], s[30:31]
	s_mov_b32 s30, 0x16291751
	s_mov_b32 s31, 0x3fcc71c0
	s_delay_alu instid0(VALU_DEP_1) | instid1(SALU_CYCLE_1)
	v_fma_f64 v[160:161], v[148:149], v[160:161], s[30:31]
	s_mov_b32 s30, 0x9b27acf1
	s_mov_b32 s31, 0x3fd24924
	s_delay_alu instid0(VALU_DEP_1) | instid1(SALU_CYCLE_1)
	;; [unrolled: 4-line block ×3, first 2 shown]
	v_fma_f64 v[160:161], v[148:149], v[160:161], s[30:31]
	s_delay_alu instid0(VALU_DEP_1) | instskip(SKIP_2) | instid1(VALU_DEP_3)
	v_fma_f64 v[148:149], v[148:149], v[160:161], s[18:19]
	v_ldexp_f64 v[160:161], v[146:147], 1
	v_add_f64 v[146:147], v[146:147], -v[150:151]
	v_mul_f64 v[148:149], v[162:163], v[148:149]
	v_cvt_f64_i32_e32 v[162:163], v166
	s_delay_alu instid0(VALU_DEP_3) | instskip(NEXT) | instid1(VALU_DEP_3)
	v_add_f64 v[133:134], v[133:134], -v[146:147]
	v_add_f64 v[150:151], v[160:161], v[148:149]
	s_delay_alu instid0(VALU_DEP_3) | instskip(NEXT) | instid1(VALU_DEP_3)
	v_mul_f64 v[164:165], v[162:163], s[20:21]
	v_ldexp_f64 v[133:134], v[133:134], 1
	s_delay_alu instid0(VALU_DEP_3) | instskip(NEXT) | instid1(VALU_DEP_3)
	v_add_f64 v[146:147], v[150:151], -v[160:161]
	v_fma_f64 v[160:161], v[162:163], s[20:21], -v[164:165]
	s_delay_alu instid0(VALU_DEP_2) | instskip(NEXT) | instid1(VALU_DEP_2)
	v_add_f64 v[146:147], v[148:149], -v[146:147]
	v_fma_f64 v[148:149], v[162:163], s[24:25], v[160:161]
	s_delay_alu instid0(VALU_DEP_2) | instskip(NEXT) | instid1(VALU_DEP_2)
	v_add_f64 v[133:134], v[133:134], v[146:147]
	v_add_f64 v[146:147], v[164:165], v[148:149]
	s_delay_alu instid0(VALU_DEP_2) | instskip(NEXT) | instid1(VALU_DEP_2)
	v_add_f64 v[160:161], v[150:151], v[133:134]
	v_add_f64 v[164:165], v[146:147], -v[164:165]
	s_delay_alu instid0(VALU_DEP_2) | instskip(SKIP_1) | instid1(VALU_DEP_3)
	v_add_f64 v[162:163], v[146:147], v[160:161]
	v_add_f64 v[150:151], v[160:161], -v[150:151]
	v_add_f64 v[148:149], v[148:149], -v[164:165]
	s_delay_alu instid0(VALU_DEP_3) | instskip(NEXT) | instid1(VALU_DEP_3)
	v_add_f64 v[209:210], v[162:163], -v[146:147]
	v_add_f64 v[133:134], v[133:134], -v[150:151]
	s_delay_alu instid0(VALU_DEP_2) | instskip(SKIP_1) | instid1(VALU_DEP_3)
	v_add_f64 v[211:212], v[162:163], -v[209:210]
	v_add_f64 v[150:151], v[160:161], -v[209:210]
	v_add_f64 v[160:161], v[148:149], v[133:134]
	s_delay_alu instid0(VALU_DEP_3) | instskip(NEXT) | instid1(VALU_DEP_1)
	v_add_f64 v[146:147], v[146:147], -v[211:212]
	v_add_f64 v[146:147], v[150:151], v[146:147]
	s_delay_alu instid0(VALU_DEP_3) | instskip(NEXT) | instid1(VALU_DEP_2)
	v_add_f64 v[150:151], v[160:161], -v[148:149]
	v_add_f64 v[146:147], v[160:161], v[146:147]
	s_delay_alu instid0(VALU_DEP_2) | instskip(SKIP_1) | instid1(VALU_DEP_3)
	v_add_f64 v[160:161], v[160:161], -v[150:151]
	v_add_f64 v[133:134], v[133:134], -v[150:151]
	v_add_f64 v[164:165], v[162:163], v[146:147]
	s_delay_alu instid0(VALU_DEP_3) | instskip(NEXT) | instid1(VALU_DEP_2)
	v_add_f64 v[148:149], v[148:149], -v[160:161]
	v_add_f64 v[150:151], v[164:165], -v[162:163]
	s_delay_alu instid0(VALU_DEP_2) | instskip(NEXT) | instid1(VALU_DEP_2)
	v_add_f64 v[133:134], v[133:134], v[148:149]
	v_add_f64 v[146:147], v[146:147], -v[150:151]
	s_delay_alu instid0(VALU_DEP_1) | instskip(NEXT) | instid1(VALU_DEP_1)
	v_add_f64 v[133:134], v[133:134], v[146:147]
	v_add_f64 v[133:134], v[164:165], v[133:134]
	s_delay_alu instid0(VALU_DEP_1) | instskip(NEXT) | instid1(VALU_DEP_2)
	v_cndmask_b32_e64 v133, v133, v131, s17
	v_cndmask_b32_e64 v134, v134, v132, s17
	v_cmp_ngt_f64_e64 s17, -1.0, v[131:132]
	s_delay_alu instid0(VALU_DEP_1) | instskip(SKIP_1) | instid1(VALU_DEP_1)
	v_cndmask_b32_e64 v134, 0x7ff80000, v134, s17
	v_cmp_nge_f64_e64 s17, -1.0, v[131:132]
	v_cndmask_b32_e64 v133, 0, v133, s17
	v_cmp_neq_f64_e64 s17, -1.0, v[131:132]
	s_delay_alu instid0(VALU_DEP_1) | instskip(NEXT) | instid1(VALU_DEP_1)
	v_cndmask_b32_e64 v134, 0xfff00000, v134, s17
	v_add_f64 v[131:132], v[129:130], v[133:134]
.LBB56_326:
	s_or_b32 exec_lo, exec_lo, s28
	s_delay_alu instid0(VALU_DEP_1)
	v_dual_mov_b32 v129, v131 :: v_dual_mov_b32 v130, v132
.LBB56_327:
	s_or_b32 exec_lo, exec_lo, s27
	ds_store_b64 v195, v[129:130]
.LBB56_328:
	s_or_b32 exec_lo, exec_lo, s26
	s_delay_alu instid0(SALU_CYCLE_1)
	s_mov_b32 s26, exec_lo
	s_waitcnt lgkmcnt(0)
	s_barrier
	buffer_gl0_inv
                                        ; implicit-def: $vgpr129_vgpr130
	v_cmpx_lt_u32_e32 31, v128
	s_cbranch_execz .LBB56_332
; %bb.329:
	v_lshl_add_u32 v129, v145, 3, -8
	v_max_f64 v[131:132], v[48:49], v[48:49]
	v_cmp_u_f64_e64 s18, v[48:49], v[48:49]
	ds_load_b64 v[129:130], v129
	s_waitcnt lgkmcnt(0)
	v_max_f64 v[133:134], v[129:130], v[129:130]
	v_cmp_u_f64_e64 s17, v[129:130], v[129:130]
	s_delay_alu instid0(VALU_DEP_2) | instskip(SKIP_1) | instid1(VALU_DEP_2)
	v_min_f64 v[145:146], v[133:134], v[131:132]
	v_max_f64 v[131:132], v[133:134], v[131:132]
	v_cndmask_b32_e64 v133, v145, v129, s17
	s_delay_alu instid0(VALU_DEP_3) | instskip(NEXT) | instid1(VALU_DEP_3)
	v_cndmask_b32_e64 v134, v146, v130, s17
	v_cndmask_b32_e64 v132, v132, v130, s17
	s_delay_alu instid0(VALU_DEP_4) | instskip(NEXT) | instid1(VALU_DEP_4)
	v_cndmask_b32_e64 v131, v131, v129, s17
	v_cndmask_b32_e64 v133, v133, v48, s18
	s_delay_alu instid0(VALU_DEP_4) | instskip(NEXT) | instid1(VALU_DEP_4)
	v_cndmask_b32_e64 v134, v134, v49, s18
	v_cndmask_b32_e64 v132, v132, v49, s18
	s_delay_alu instid0(VALU_DEP_4) | instskip(SKIP_1) | instid1(VALU_DEP_4)
	v_cndmask_b32_e64 v131, v131, v48, s18
	v_dual_mov_b32 v48, v129 :: v_dual_mov_b32 v49, v130
	v_cmp_class_f64_e64 s18, v[133:134], 0x1f8
	s_delay_alu instid0(VALU_DEP_3) | instskip(NEXT) | instid1(VALU_DEP_1)
	v_cmp_neq_f64_e64 s17, v[133:134], v[131:132]
	s_or_b32 s17, s17, s18
	s_delay_alu instid0(SALU_CYCLE_1)
	s_and_saveexec_b32 s27, s17
	s_cbranch_execz .LBB56_331
; %bb.330:
	v_add_f64 v[48:49], v[133:134], -v[131:132]
	s_mov_b32 s18, 0x652b82fe
	s_mov_b32 s19, 0x3ff71547
	;; [unrolled: 1-line block ×10, first 2 shown]
	s_delay_alu instid0(VALU_DEP_1) | instskip(SKIP_3) | instid1(VALU_DEP_2)
	v_mul_f64 v[133:134], v[48:49], s[18:19]
	s_mov_b32 s18, 0xfca7ab0c
	s_mov_b32 s19, 0x3e928af3
	v_cmp_nlt_f64_e64 s17, 0x40900000, v[48:49]
	v_rndne_f64_e32 v[133:134], v[133:134]
	s_delay_alu instid0(VALU_DEP_1) | instskip(SKIP_2) | instid1(VALU_DEP_2)
	v_fma_f64 v[145:146], v[133:134], s[20:21], v[48:49]
	v_cvt_i32_f64_e32 v149, v[133:134]
	s_mov_b32 s21, 0x3fe62e42
	v_fma_f64 v[145:146], v[133:134], s[24:25], v[145:146]
	s_mov_b32 s25, 0x3c7abc9e
	s_delay_alu instid0(VALU_DEP_1) | instskip(SKIP_4) | instid1(VALU_DEP_1)
	v_fma_f64 v[147:148], v[145:146], s[28:29], s[18:19]
	s_mov_b32 s18, 0x623fde64
	s_mov_b32 s19, 0x3ec71dee
	s_mov_b32 s28, 0x6b47b09a
	s_mov_b32 s29, 0x3fc38538
	v_fma_f64 v[147:148], v[145:146], v[147:148], s[18:19]
	s_mov_b32 s18, 0x7c89e6b0
	s_mov_b32 s19, 0x3efa0199
	s_delay_alu instid0(VALU_DEP_1) | instid1(SALU_CYCLE_1)
	v_fma_f64 v[147:148], v[145:146], v[147:148], s[18:19]
	s_mov_b32 s18, 0x14761f6e
	s_mov_b32 s19, 0x3f2a01a0
	s_delay_alu instid0(VALU_DEP_1) | instid1(SALU_CYCLE_1)
	;; [unrolled: 4-line block ×7, first 2 shown]
	v_fma_f64 v[147:148], v[145:146], v[147:148], s[18:19]
	v_cmp_ngt_f64_e64 s18, 0xc090cc00, v[48:49]
	s_mov_b32 s19, 0x3fe55555
	s_delay_alu instid0(VALU_DEP_2) | instskip(NEXT) | instid1(VALU_DEP_1)
	v_fma_f64 v[147:148], v[145:146], v[147:148], 1.0
	v_fma_f64 v[133:134], v[145:146], v[147:148], 1.0
	s_delay_alu instid0(VALU_DEP_1) | instskip(NEXT) | instid1(VALU_DEP_1)
	v_ldexp_f64 v[133:134], v[133:134], v149
	v_cndmask_b32_e64 v134, 0x7ff00000, v134, s17
	s_and_b32 s17, s18, s17
	s_delay_alu instid0(VALU_DEP_2) | instid1(SALU_CYCLE_1)
	v_cndmask_b32_e64 v48, 0, v133, s17
	s_delay_alu instid0(VALU_DEP_2) | instskip(SKIP_1) | instid1(VALU_DEP_1)
	v_cndmask_b32_e64 v49, 0, v134, s18
	s_mov_b32 s18, 0x55555555
	v_add_f64 v[133:134], v[48:49], 1.0
	s_delay_alu instid0(VALU_DEP_1) | instskip(SKIP_2) | instid1(VALU_DEP_3)
	v_frexp_mant_f64_e32 v[145:146], v[133:134]
	v_frexp_exp_i32_f64_e32 v149, v[133:134]
	v_add_f64 v[147:148], v[133:134], -1.0
	v_cmp_gt_f64_e64 s17, s[18:19], v[145:146]
	s_mov_b32 s18, 0x55555780
	s_delay_alu instid0(VALU_DEP_2) | instskip(SKIP_1) | instid1(VALU_DEP_3)
	v_add_f64 v[145:146], v[147:148], -v[133:134]
	v_add_f64 v[147:148], v[48:49], -v[147:148]
	v_subrev_co_ci_u32_e64 v151, s17, 0, v149, s17
	s_delay_alu instid0(VALU_DEP_3) | instskip(SKIP_1) | instid1(VALU_DEP_3)
	v_add_f64 v[145:146], v[145:146], 1.0
	v_cmp_eq_f64_e64 s17, 0x7ff00000, v[48:49]
	v_sub_nc_u32_e32 v160, 0, v151
	s_delay_alu instid0(VALU_DEP_1) | instskip(NEXT) | instid1(VALU_DEP_4)
	v_ldexp_f64 v[133:134], v[133:134], v160
	v_add_f64 v[145:146], v[147:148], v[145:146]
	s_delay_alu instid0(VALU_DEP_2) | instskip(SKIP_1) | instid1(VALU_DEP_3)
	v_add_f64 v[149:150], v[133:134], 1.0
	v_add_f64 v[164:165], v[133:134], -1.0
	v_ldexp_f64 v[145:146], v[145:146], v160
	s_delay_alu instid0(VALU_DEP_3) | instskip(NEXT) | instid1(VALU_DEP_3)
	v_add_f64 v[147:148], v[149:150], -1.0
	v_add_f64 v[209:210], v[164:165], 1.0
	s_delay_alu instid0(VALU_DEP_2) | instskip(NEXT) | instid1(VALU_DEP_2)
	v_add_f64 v[147:148], v[133:134], -v[147:148]
	v_add_f64 v[133:134], v[133:134], -v[209:210]
	s_delay_alu instid0(VALU_DEP_2) | instskip(NEXT) | instid1(VALU_DEP_2)
	v_add_f64 v[147:148], v[145:146], v[147:148]
	v_add_f64 v[133:134], v[145:146], v[133:134]
	s_delay_alu instid0(VALU_DEP_2) | instskip(NEXT) | instid1(VALU_DEP_2)
	v_add_f64 v[160:161], v[149:150], v[147:148]
	v_add_f64 v[209:210], v[164:165], v[133:134]
	s_delay_alu instid0(VALU_DEP_2) | instskip(SKIP_1) | instid1(VALU_DEP_2)
	v_rcp_f64_e32 v[162:163], v[160:161]
	v_add_f64 v[149:150], v[160:161], -v[149:150]
	v_add_f64 v[164:165], v[209:210], -v[164:165]
	s_delay_alu instid0(VALU_DEP_2) | instskip(SKIP_3) | instid1(VALU_DEP_2)
	v_add_f64 v[147:148], v[147:148], -v[149:150]
	s_waitcnt_depctr 0xfff
	v_fma_f64 v[211:212], -v[160:161], v[162:163], 1.0
	v_add_f64 v[133:134], v[133:134], -v[164:165]
	v_fma_f64 v[162:163], v[211:212], v[162:163], v[162:163]
	s_delay_alu instid0(VALU_DEP_1) | instskip(NEXT) | instid1(VALU_DEP_1)
	v_fma_f64 v[145:146], -v[160:161], v[162:163], 1.0
	v_fma_f64 v[145:146], v[145:146], v[162:163], v[162:163]
	s_delay_alu instid0(VALU_DEP_1) | instskip(NEXT) | instid1(VALU_DEP_1)
	v_mul_f64 v[162:163], v[209:210], v[145:146]
	v_mul_f64 v[211:212], v[160:161], v[162:163]
	s_delay_alu instid0(VALU_DEP_1) | instskip(NEXT) | instid1(VALU_DEP_1)
	v_fma_f64 v[149:150], v[162:163], v[160:161], -v[211:212]
	v_fma_f64 v[149:150], v[162:163], v[147:148], v[149:150]
	s_delay_alu instid0(VALU_DEP_1) | instskip(NEXT) | instid1(VALU_DEP_1)
	v_add_f64 v[213:214], v[211:212], v[149:150]
	v_add_f64 v[224:225], v[209:210], -v[213:214]
	v_add_f64 v[164:165], v[213:214], -v[211:212]
	s_delay_alu instid0(VALU_DEP_2) | instskip(NEXT) | instid1(VALU_DEP_2)
	v_add_f64 v[209:210], v[209:210], -v[224:225]
	v_add_f64 v[149:150], v[164:165], -v[149:150]
	s_delay_alu instid0(VALU_DEP_2) | instskip(NEXT) | instid1(VALU_DEP_1)
	v_add_f64 v[209:210], v[209:210], -v[213:214]
	v_add_f64 v[133:134], v[133:134], v[209:210]
	s_delay_alu instid0(VALU_DEP_1) | instskip(NEXT) | instid1(VALU_DEP_1)
	v_add_f64 v[133:134], v[149:150], v[133:134]
	v_add_f64 v[149:150], v[224:225], v[133:134]
	s_delay_alu instid0(VALU_DEP_1) | instskip(SKIP_1) | instid1(VALU_DEP_2)
	v_mul_f64 v[164:165], v[145:146], v[149:150]
	v_add_f64 v[213:214], v[224:225], -v[149:150]
	v_mul_f64 v[209:210], v[160:161], v[164:165]
	s_delay_alu instid0(VALU_DEP_2) | instskip(NEXT) | instid1(VALU_DEP_2)
	v_add_f64 v[133:134], v[133:134], v[213:214]
	v_fma_f64 v[160:161], v[164:165], v[160:161], -v[209:210]
	s_delay_alu instid0(VALU_DEP_1) | instskip(NEXT) | instid1(VALU_DEP_1)
	v_fma_f64 v[147:148], v[164:165], v[147:148], v[160:161]
	v_add_f64 v[160:161], v[209:210], v[147:148]
	s_delay_alu instid0(VALU_DEP_1) | instskip(SKIP_1) | instid1(VALU_DEP_2)
	v_add_f64 v[211:212], v[149:150], -v[160:161]
	v_add_f64 v[209:210], v[160:161], -v[209:210]
	;; [unrolled: 1-line block ×3, first 2 shown]
	s_delay_alu instid0(VALU_DEP_2) | instskip(NEXT) | instid1(VALU_DEP_2)
	v_add_f64 v[147:148], v[209:210], -v[147:148]
	v_add_f64 v[149:150], v[149:150], -v[160:161]
	s_delay_alu instid0(VALU_DEP_1) | instskip(SKIP_1) | instid1(VALU_DEP_2)
	v_add_f64 v[133:134], v[133:134], v[149:150]
	v_add_f64 v[149:150], v[162:163], v[164:165]
	;; [unrolled: 1-line block ×3, first 2 shown]
	s_delay_alu instid0(VALU_DEP_2) | instskip(NEXT) | instid1(VALU_DEP_2)
	v_add_f64 v[147:148], v[149:150], -v[162:163]
	v_add_f64 v[133:134], v[211:212], v[133:134]
	s_delay_alu instid0(VALU_DEP_2) | instskip(NEXT) | instid1(VALU_DEP_2)
	v_add_f64 v[147:148], v[164:165], -v[147:148]
	v_mul_f64 v[133:134], v[145:146], v[133:134]
	s_delay_alu instid0(VALU_DEP_1) | instskip(NEXT) | instid1(VALU_DEP_1)
	v_add_f64 v[133:134], v[147:148], v[133:134]
	v_add_f64 v[145:146], v[149:150], v[133:134]
	s_delay_alu instid0(VALU_DEP_1) | instskip(NEXT) | instid1(VALU_DEP_1)
	v_mul_f64 v[147:148], v[145:146], v[145:146]
	v_fma_f64 v[160:161], v[147:148], s[30:31], s[28:29]
	s_mov_b32 s28, 0xd7f4df2e
	s_mov_b32 s29, 0x3fc7474d
	v_mul_f64 v[162:163], v[145:146], v[147:148]
	s_delay_alu instid0(VALU_DEP_2)
	v_fma_f64 v[160:161], v[147:148], v[160:161], s[28:29]
	s_mov_b32 s28, 0x16291751
	s_mov_b32 s29, 0x3fcc71c0
	s_delay_alu instid0(VALU_DEP_1) | instid1(SALU_CYCLE_1)
	v_fma_f64 v[160:161], v[147:148], v[160:161], s[28:29]
	s_mov_b32 s28, 0x9b27acf1
	s_mov_b32 s29, 0x3fd24924
	s_delay_alu instid0(VALU_DEP_1) | instid1(SALU_CYCLE_1)
	;; [unrolled: 4-line block ×3, first 2 shown]
	v_fma_f64 v[160:161], v[147:148], v[160:161], s[28:29]
	s_delay_alu instid0(VALU_DEP_1) | instskip(SKIP_2) | instid1(VALU_DEP_3)
	v_fma_f64 v[147:148], v[147:148], v[160:161], s[18:19]
	v_ldexp_f64 v[160:161], v[145:146], 1
	v_add_f64 v[145:146], v[145:146], -v[149:150]
	v_mul_f64 v[147:148], v[162:163], v[147:148]
	v_cvt_f64_i32_e32 v[162:163], v151
	s_delay_alu instid0(VALU_DEP_3) | instskip(NEXT) | instid1(VALU_DEP_3)
	v_add_f64 v[133:134], v[133:134], -v[145:146]
	v_add_f64 v[149:150], v[160:161], v[147:148]
	s_delay_alu instid0(VALU_DEP_3) | instskip(NEXT) | instid1(VALU_DEP_3)
	v_mul_f64 v[164:165], v[162:163], s[20:21]
	v_ldexp_f64 v[133:134], v[133:134], 1
	s_delay_alu instid0(VALU_DEP_3) | instskip(NEXT) | instid1(VALU_DEP_3)
	v_add_f64 v[145:146], v[149:150], -v[160:161]
	v_fma_f64 v[160:161], v[162:163], s[20:21], -v[164:165]
	s_delay_alu instid0(VALU_DEP_2) | instskip(NEXT) | instid1(VALU_DEP_2)
	v_add_f64 v[145:146], v[147:148], -v[145:146]
	v_fma_f64 v[147:148], v[162:163], s[24:25], v[160:161]
	s_delay_alu instid0(VALU_DEP_2) | instskip(NEXT) | instid1(VALU_DEP_2)
	v_add_f64 v[133:134], v[133:134], v[145:146]
	v_add_f64 v[145:146], v[164:165], v[147:148]
	s_delay_alu instid0(VALU_DEP_2) | instskip(NEXT) | instid1(VALU_DEP_2)
	v_add_f64 v[160:161], v[149:150], v[133:134]
	v_add_f64 v[164:165], v[145:146], -v[164:165]
	s_delay_alu instid0(VALU_DEP_2) | instskip(SKIP_1) | instid1(VALU_DEP_3)
	v_add_f64 v[162:163], v[145:146], v[160:161]
	v_add_f64 v[149:150], v[160:161], -v[149:150]
	v_add_f64 v[147:148], v[147:148], -v[164:165]
	s_delay_alu instid0(VALU_DEP_3) | instskip(NEXT) | instid1(VALU_DEP_3)
	v_add_f64 v[209:210], v[162:163], -v[145:146]
	v_add_f64 v[133:134], v[133:134], -v[149:150]
	s_delay_alu instid0(VALU_DEP_2) | instskip(SKIP_1) | instid1(VALU_DEP_3)
	v_add_f64 v[211:212], v[162:163], -v[209:210]
	v_add_f64 v[149:150], v[160:161], -v[209:210]
	v_add_f64 v[160:161], v[147:148], v[133:134]
	s_delay_alu instid0(VALU_DEP_3) | instskip(NEXT) | instid1(VALU_DEP_1)
	v_add_f64 v[145:146], v[145:146], -v[211:212]
	v_add_f64 v[145:146], v[149:150], v[145:146]
	s_delay_alu instid0(VALU_DEP_3) | instskip(NEXT) | instid1(VALU_DEP_2)
	v_add_f64 v[149:150], v[160:161], -v[147:148]
	v_add_f64 v[145:146], v[160:161], v[145:146]
	s_delay_alu instid0(VALU_DEP_2) | instskip(SKIP_1) | instid1(VALU_DEP_3)
	v_add_f64 v[160:161], v[160:161], -v[149:150]
	v_add_f64 v[133:134], v[133:134], -v[149:150]
	v_add_f64 v[164:165], v[162:163], v[145:146]
	s_delay_alu instid0(VALU_DEP_3) | instskip(NEXT) | instid1(VALU_DEP_2)
	v_add_f64 v[147:148], v[147:148], -v[160:161]
	v_add_f64 v[149:150], v[164:165], -v[162:163]
	s_delay_alu instid0(VALU_DEP_2) | instskip(NEXT) | instid1(VALU_DEP_2)
	v_add_f64 v[133:134], v[133:134], v[147:148]
	v_add_f64 v[145:146], v[145:146], -v[149:150]
	s_delay_alu instid0(VALU_DEP_1) | instskip(NEXT) | instid1(VALU_DEP_1)
	v_add_f64 v[133:134], v[133:134], v[145:146]
	v_add_f64 v[133:134], v[164:165], v[133:134]
	s_delay_alu instid0(VALU_DEP_1) | instskip(NEXT) | instid1(VALU_DEP_2)
	v_cndmask_b32_e64 v133, v133, v48, s17
	v_cndmask_b32_e64 v134, v134, v49, s17
	v_cmp_ngt_f64_e64 s17, -1.0, v[48:49]
	s_delay_alu instid0(VALU_DEP_1) | instskip(SKIP_1) | instid1(VALU_DEP_1)
	v_cndmask_b32_e64 v134, 0x7ff80000, v134, s17
	v_cmp_nge_f64_e64 s17, -1.0, v[48:49]
	v_cndmask_b32_e64 v133, 0, v133, s17
	v_cmp_neq_f64_e64 s17, -1.0, v[48:49]
	s_delay_alu instid0(VALU_DEP_1) | instskip(NEXT) | instid1(VALU_DEP_1)
	v_cndmask_b32_e64 v134, 0xfff00000, v134, s17
	v_add_f64 v[48:49], v[131:132], v[133:134]
.LBB56_331:
	s_or_b32 exec_lo, exec_lo, s27
.LBB56_332:
	s_delay_alu instid0(SALU_CYCLE_1) | instskip(SKIP_1) | instid1(VALU_DEP_1)
	s_or_b32 exec_lo, exec_lo, s26
	v_add_nc_u32_e32 v131, -1, v144
	v_cmp_gt_i32_e64 s17, 0, v131
	s_delay_alu instid0(VALU_DEP_1) | instskip(NEXT) | instid1(VALU_DEP_1)
	v_cndmask_b32_e64 v131, v131, v144, s17
	v_lshlrev_b32_e32 v131, 2, v131
	ds_bpermute_b32 v48, v131, v48
	ds_bpermute_b32 v49, v131, v49
	s_and_saveexec_b32 s24, s1
	s_cbranch_execz .LBB56_336
; %bb.333:
	v_cmp_eq_u32_e64 s1, 0, v144
	s_waitcnt lgkmcnt(0)
	s_delay_alu instid0(VALU_DEP_1) | instskip(SKIP_1) | instid1(VALU_DEP_1)
	v_cndmask_b32_e64 v49, v49, v130, s1
	v_cndmask_b32_e64 v48, v48, v129, s1
	v_max_f64 v[34:35], v[48:49], v[48:49]
	v_cmp_u_f64_e64 s1, v[48:49], v[48:49]
	s_delay_alu instid0(VALU_DEP_2) | instskip(SKIP_1) | instid1(VALU_DEP_2)
	v_min_f64 v[36:37], v[34:35], v[32:33]
	v_max_f64 v[32:33], v[34:35], v[32:33]
	v_cndmask_b32_e64 v34, v36, v48, s1
	s_delay_alu instid0(VALU_DEP_3) | instskip(NEXT) | instid1(VALU_DEP_3)
	v_cndmask_b32_e64 v35, v37, v49, s1
	v_cndmask_b32_e64 v36, v33, v49, s1
	s_delay_alu instid0(VALU_DEP_4) | instskip(NEXT) | instid1(VALU_DEP_4)
	v_cndmask_b32_e64 v37, v32, v48, s1
	v_cndmask_b32_e64 v32, v34, v0, s16
	s_delay_alu instid0(VALU_DEP_4) | instskip(NEXT) | instid1(VALU_DEP_4)
	v_cndmask_b32_e64 v33, v35, v1, s16
	v_cndmask_b32_e64 v1, v36, v1, s16
	s_delay_alu instid0(VALU_DEP_4) | instskip(NEXT) | instid1(VALU_DEP_3)
	v_cndmask_b32_e64 v0, v37, v0, s16
	v_cmp_class_f64_e64 s16, v[32:33], 0x1f8
	s_delay_alu instid0(VALU_DEP_2) | instskip(NEXT) | instid1(VALU_DEP_1)
	v_cmp_neq_f64_e64 s1, v[32:33], v[0:1]
	s_or_b32 s1, s1, s16
	s_delay_alu instid0(SALU_CYCLE_1)
	s_and_saveexec_b32 s25, s1
	s_cbranch_execz .LBB56_335
; %bb.334:
	v_add_f64 v[32:33], v[32:33], -v[0:1]
	s_mov_b32 s16, 0x652b82fe
	s_mov_b32 s17, 0x3ff71547
	;; [unrolled: 1-line block ×10, first 2 shown]
	s_delay_alu instid0(VALU_DEP_1) | instskip(SKIP_3) | instid1(VALU_DEP_2)
	v_mul_f64 v[34:35], v[32:33], s[16:17]
	s_mov_b32 s16, 0xfca7ab0c
	s_mov_b32 s17, 0x3e928af3
	v_cmp_nlt_f64_e64 s1, 0x40900000, v[32:33]
	v_rndne_f64_e32 v[34:35], v[34:35]
	s_delay_alu instid0(VALU_DEP_1) | instskip(SKIP_2) | instid1(VALU_DEP_2)
	v_fma_f64 v[36:37], v[34:35], s[18:19], v[32:33]
	v_cvt_i32_f64_e32 v129, v[34:35]
	s_mov_b32 s19, 0x3fe62e42
	v_fma_f64 v[36:37], v[34:35], s[20:21], v[36:37]
	s_mov_b32 s21, 0x3c7abc9e
	s_delay_alu instid0(VALU_DEP_1) | instskip(SKIP_4) | instid1(VALU_DEP_1)
	v_fma_f64 v[48:49], v[36:37], s[26:27], s[16:17]
	s_mov_b32 s16, 0x623fde64
	s_mov_b32 s17, 0x3ec71dee
	;; [unrolled: 1-line block ×4, first 2 shown]
	v_fma_f64 v[48:49], v[36:37], v[48:49], s[16:17]
	s_mov_b32 s16, 0x7c89e6b0
	s_mov_b32 s17, 0x3efa0199
	s_delay_alu instid0(VALU_DEP_1) | instid1(SALU_CYCLE_1)
	v_fma_f64 v[48:49], v[36:37], v[48:49], s[16:17]
	s_mov_b32 s16, 0x14761f6e
	s_mov_b32 s17, 0x3f2a01a0
	s_delay_alu instid0(VALU_DEP_1) | instid1(SALU_CYCLE_1)
	;; [unrolled: 4-line block ×7, first 2 shown]
	v_fma_f64 v[48:49], v[36:37], v[48:49], s[16:17]
	v_cmp_ngt_f64_e64 s16, 0xc090cc00, v[32:33]
	s_mov_b32 s17, 0x3fe55555
	s_delay_alu instid0(VALU_DEP_2) | instskip(NEXT) | instid1(VALU_DEP_1)
	v_fma_f64 v[48:49], v[36:37], v[48:49], 1.0
	v_fma_f64 v[34:35], v[36:37], v[48:49], 1.0
	s_delay_alu instid0(VALU_DEP_1) | instskip(NEXT) | instid1(VALU_DEP_1)
	v_ldexp_f64 v[34:35], v[34:35], v129
	v_cndmask_b32_e64 v35, 0x7ff00000, v35, s1
	s_and_b32 s1, s16, s1
	s_delay_alu instid0(VALU_DEP_2) | instid1(SALU_CYCLE_1)
	v_cndmask_b32_e64 v32, 0, v34, s1
	s_delay_alu instid0(VALU_DEP_2) | instskip(SKIP_1) | instid1(VALU_DEP_1)
	v_cndmask_b32_e64 v33, 0, v35, s16
	s_mov_b32 s16, 0x55555555
	v_add_f64 v[34:35], v[32:33], 1.0
	s_delay_alu instid0(VALU_DEP_1) | instskip(SKIP_2) | instid1(VALU_DEP_3)
	v_frexp_mant_f64_e32 v[36:37], v[34:35]
	v_frexp_exp_i32_f64_e32 v129, v[34:35]
	v_add_f64 v[48:49], v[34:35], -1.0
	v_cmp_gt_f64_e64 s1, s[16:17], v[36:37]
	s_mov_b32 s16, 0x55555780
	s_delay_alu instid0(VALU_DEP_2) | instskip(SKIP_1) | instid1(VALU_DEP_3)
	v_add_f64 v[36:37], v[48:49], -v[34:35]
	v_add_f64 v[48:49], v[32:33], -v[48:49]
	v_subrev_co_ci_u32_e64 v162, s1, 0, v129, s1
	s_delay_alu instid0(VALU_DEP_3) | instskip(SKIP_1) | instid1(VALU_DEP_3)
	v_add_f64 v[36:37], v[36:37], 1.0
	v_cmp_eq_f64_e64 s1, 0x7ff00000, v[32:33]
	v_sub_nc_u32_e32 v131, 0, v162
	s_delay_alu instid0(VALU_DEP_1) | instskip(NEXT) | instid1(VALU_DEP_4)
	v_ldexp_f64 v[34:35], v[34:35], v131
	v_add_f64 v[36:37], v[48:49], v[36:37]
	s_delay_alu instid0(VALU_DEP_2) | instskip(SKIP_1) | instid1(VALU_DEP_3)
	v_add_f64 v[129:130], v[34:35], 1.0
	v_add_f64 v[144:145], v[34:35], -1.0
	v_ldexp_f64 v[36:37], v[36:37], v131
	s_delay_alu instid0(VALU_DEP_3) | instskip(NEXT) | instid1(VALU_DEP_3)
	v_add_f64 v[48:49], v[129:130], -1.0
	v_add_f64 v[146:147], v[144:145], 1.0
	s_delay_alu instid0(VALU_DEP_2) | instskip(NEXT) | instid1(VALU_DEP_2)
	v_add_f64 v[48:49], v[34:35], -v[48:49]
	v_add_f64 v[34:35], v[34:35], -v[146:147]
	s_delay_alu instid0(VALU_DEP_2) | instskip(NEXT) | instid1(VALU_DEP_2)
	v_add_f64 v[48:49], v[36:37], v[48:49]
	v_add_f64 v[34:35], v[36:37], v[34:35]
	s_delay_alu instid0(VALU_DEP_2) | instskip(NEXT) | instid1(VALU_DEP_2)
	v_add_f64 v[131:132], v[129:130], v[48:49]
	v_add_f64 v[146:147], v[144:145], v[34:35]
	s_delay_alu instid0(VALU_DEP_2) | instskip(SKIP_1) | instid1(VALU_DEP_2)
	v_rcp_f64_e32 v[133:134], v[131:132]
	v_add_f64 v[129:130], v[131:132], -v[129:130]
	v_add_f64 v[144:145], v[146:147], -v[144:145]
	s_delay_alu instid0(VALU_DEP_2) | instskip(SKIP_3) | instid1(VALU_DEP_2)
	v_add_f64 v[48:49], v[48:49], -v[129:130]
	s_waitcnt_depctr 0xfff
	v_fma_f64 v[148:149], -v[131:132], v[133:134], 1.0
	v_add_f64 v[34:35], v[34:35], -v[144:145]
	v_fma_f64 v[133:134], v[148:149], v[133:134], v[133:134]
	s_delay_alu instid0(VALU_DEP_1) | instskip(NEXT) | instid1(VALU_DEP_1)
	v_fma_f64 v[36:37], -v[131:132], v[133:134], 1.0
	v_fma_f64 v[36:37], v[36:37], v[133:134], v[133:134]
	s_delay_alu instid0(VALU_DEP_1) | instskip(NEXT) | instid1(VALU_DEP_1)
	v_mul_f64 v[133:134], v[146:147], v[36:37]
	v_mul_f64 v[148:149], v[131:132], v[133:134]
	s_delay_alu instid0(VALU_DEP_1) | instskip(NEXT) | instid1(VALU_DEP_1)
	v_fma_f64 v[129:130], v[133:134], v[131:132], -v[148:149]
	v_fma_f64 v[129:130], v[133:134], v[48:49], v[129:130]
	s_delay_alu instid0(VALU_DEP_1) | instskip(NEXT) | instid1(VALU_DEP_1)
	v_add_f64 v[150:151], v[148:149], v[129:130]
	v_add_f64 v[160:161], v[146:147], -v[150:151]
	v_add_f64 v[144:145], v[150:151], -v[148:149]
	s_delay_alu instid0(VALU_DEP_2) | instskip(NEXT) | instid1(VALU_DEP_2)
	v_add_f64 v[146:147], v[146:147], -v[160:161]
	v_add_f64 v[129:130], v[144:145], -v[129:130]
	s_delay_alu instid0(VALU_DEP_2) | instskip(NEXT) | instid1(VALU_DEP_1)
	v_add_f64 v[146:147], v[146:147], -v[150:151]
	v_add_f64 v[34:35], v[34:35], v[146:147]
	s_delay_alu instid0(VALU_DEP_1) | instskip(NEXT) | instid1(VALU_DEP_1)
	v_add_f64 v[34:35], v[129:130], v[34:35]
	v_add_f64 v[129:130], v[160:161], v[34:35]
	s_delay_alu instid0(VALU_DEP_1) | instskip(SKIP_1) | instid1(VALU_DEP_2)
	v_mul_f64 v[144:145], v[36:37], v[129:130]
	v_add_f64 v[150:151], v[160:161], -v[129:130]
	v_mul_f64 v[146:147], v[131:132], v[144:145]
	s_delay_alu instid0(VALU_DEP_2) | instskip(NEXT) | instid1(VALU_DEP_2)
	v_add_f64 v[34:35], v[34:35], v[150:151]
	v_fma_f64 v[131:132], v[144:145], v[131:132], -v[146:147]
	s_delay_alu instid0(VALU_DEP_1) | instskip(NEXT) | instid1(VALU_DEP_1)
	v_fma_f64 v[48:49], v[144:145], v[48:49], v[131:132]
	v_add_f64 v[131:132], v[146:147], v[48:49]
	s_delay_alu instid0(VALU_DEP_1) | instskip(SKIP_1) | instid1(VALU_DEP_2)
	v_add_f64 v[148:149], v[129:130], -v[131:132]
	v_add_f64 v[146:147], v[131:132], -v[146:147]
	;; [unrolled: 1-line block ×3, first 2 shown]
	s_delay_alu instid0(VALU_DEP_2) | instskip(NEXT) | instid1(VALU_DEP_2)
	v_add_f64 v[48:49], v[146:147], -v[48:49]
	v_add_f64 v[129:130], v[129:130], -v[131:132]
	s_delay_alu instid0(VALU_DEP_1) | instskip(SKIP_1) | instid1(VALU_DEP_2)
	v_add_f64 v[34:35], v[34:35], v[129:130]
	v_add_f64 v[129:130], v[133:134], v[144:145]
	;; [unrolled: 1-line block ×3, first 2 shown]
	s_delay_alu instid0(VALU_DEP_2) | instskip(NEXT) | instid1(VALU_DEP_2)
	v_add_f64 v[48:49], v[129:130], -v[133:134]
	v_add_f64 v[34:35], v[148:149], v[34:35]
	s_delay_alu instid0(VALU_DEP_2) | instskip(NEXT) | instid1(VALU_DEP_2)
	v_add_f64 v[48:49], v[144:145], -v[48:49]
	v_mul_f64 v[34:35], v[36:37], v[34:35]
	s_delay_alu instid0(VALU_DEP_1) | instskip(NEXT) | instid1(VALU_DEP_1)
	v_add_f64 v[34:35], v[48:49], v[34:35]
	v_add_f64 v[36:37], v[129:130], v[34:35]
	s_delay_alu instid0(VALU_DEP_1) | instskip(NEXT) | instid1(VALU_DEP_1)
	v_mul_f64 v[48:49], v[36:37], v[36:37]
	v_fma_f64 v[131:132], v[48:49], s[28:29], s[26:27]
	s_mov_b32 s26, 0xd7f4df2e
	s_mov_b32 s27, 0x3fc7474d
	v_mul_f64 v[133:134], v[36:37], v[48:49]
	s_delay_alu instid0(VALU_DEP_2)
	v_fma_f64 v[131:132], v[48:49], v[131:132], s[26:27]
	s_mov_b32 s26, 0x16291751
	s_mov_b32 s27, 0x3fcc71c0
	s_delay_alu instid0(VALU_DEP_1) | instid1(SALU_CYCLE_1)
	v_fma_f64 v[131:132], v[48:49], v[131:132], s[26:27]
	s_mov_b32 s26, 0x9b27acf1
	s_mov_b32 s27, 0x3fd24924
	s_delay_alu instid0(VALU_DEP_1) | instid1(SALU_CYCLE_1)
	;; [unrolled: 4-line block ×3, first 2 shown]
	v_fma_f64 v[131:132], v[48:49], v[131:132], s[26:27]
	s_delay_alu instid0(VALU_DEP_1) | instskip(SKIP_2) | instid1(VALU_DEP_3)
	v_fma_f64 v[48:49], v[48:49], v[131:132], s[16:17]
	v_ldexp_f64 v[131:132], v[36:37], 1
	v_add_f64 v[36:37], v[36:37], -v[129:130]
	v_mul_f64 v[48:49], v[133:134], v[48:49]
	v_cvt_f64_i32_e32 v[133:134], v162
	s_delay_alu instid0(VALU_DEP_3) | instskip(NEXT) | instid1(VALU_DEP_3)
	v_add_f64 v[34:35], v[34:35], -v[36:37]
	v_add_f64 v[129:130], v[131:132], v[48:49]
	s_delay_alu instid0(VALU_DEP_3) | instskip(NEXT) | instid1(VALU_DEP_3)
	v_mul_f64 v[144:145], v[133:134], s[18:19]
	v_ldexp_f64 v[34:35], v[34:35], 1
	s_delay_alu instid0(VALU_DEP_3) | instskip(NEXT) | instid1(VALU_DEP_3)
	v_add_f64 v[36:37], v[129:130], -v[131:132]
	v_fma_f64 v[131:132], v[133:134], s[18:19], -v[144:145]
	s_delay_alu instid0(VALU_DEP_2) | instskip(NEXT) | instid1(VALU_DEP_2)
	v_add_f64 v[36:37], v[48:49], -v[36:37]
	v_fma_f64 v[48:49], v[133:134], s[20:21], v[131:132]
	s_delay_alu instid0(VALU_DEP_2) | instskip(NEXT) | instid1(VALU_DEP_2)
	v_add_f64 v[34:35], v[34:35], v[36:37]
	v_add_f64 v[36:37], v[144:145], v[48:49]
	s_delay_alu instid0(VALU_DEP_2) | instskip(NEXT) | instid1(VALU_DEP_2)
	v_add_f64 v[131:132], v[129:130], v[34:35]
	v_add_f64 v[144:145], v[36:37], -v[144:145]
	s_delay_alu instid0(VALU_DEP_2) | instskip(SKIP_1) | instid1(VALU_DEP_3)
	v_add_f64 v[133:134], v[36:37], v[131:132]
	v_add_f64 v[129:130], v[131:132], -v[129:130]
	v_add_f64 v[48:49], v[48:49], -v[144:145]
	s_delay_alu instid0(VALU_DEP_3) | instskip(NEXT) | instid1(VALU_DEP_3)
	v_add_f64 v[146:147], v[133:134], -v[36:37]
	v_add_f64 v[34:35], v[34:35], -v[129:130]
	s_delay_alu instid0(VALU_DEP_2) | instskip(SKIP_1) | instid1(VALU_DEP_3)
	v_add_f64 v[148:149], v[133:134], -v[146:147]
	v_add_f64 v[129:130], v[131:132], -v[146:147]
	v_add_f64 v[131:132], v[48:49], v[34:35]
	s_delay_alu instid0(VALU_DEP_3) | instskip(NEXT) | instid1(VALU_DEP_1)
	v_add_f64 v[36:37], v[36:37], -v[148:149]
	v_add_f64 v[36:37], v[129:130], v[36:37]
	s_delay_alu instid0(VALU_DEP_3) | instskip(NEXT) | instid1(VALU_DEP_2)
	v_add_f64 v[129:130], v[131:132], -v[48:49]
	v_add_f64 v[36:37], v[131:132], v[36:37]
	s_delay_alu instid0(VALU_DEP_2) | instskip(SKIP_1) | instid1(VALU_DEP_3)
	v_add_f64 v[131:132], v[131:132], -v[129:130]
	v_add_f64 v[34:35], v[34:35], -v[129:130]
	v_add_f64 v[144:145], v[133:134], v[36:37]
	s_delay_alu instid0(VALU_DEP_3) | instskip(NEXT) | instid1(VALU_DEP_2)
	v_add_f64 v[48:49], v[48:49], -v[131:132]
	v_add_f64 v[129:130], v[144:145], -v[133:134]
	s_delay_alu instid0(VALU_DEP_2) | instskip(NEXT) | instid1(VALU_DEP_2)
	v_add_f64 v[34:35], v[34:35], v[48:49]
	v_add_f64 v[36:37], v[36:37], -v[129:130]
	s_delay_alu instid0(VALU_DEP_1) | instskip(NEXT) | instid1(VALU_DEP_1)
	v_add_f64 v[34:35], v[34:35], v[36:37]
	v_add_f64 v[34:35], v[144:145], v[34:35]
	s_delay_alu instid0(VALU_DEP_1) | instskip(NEXT) | instid1(VALU_DEP_2)
	v_cndmask_b32_e64 v34, v34, v32, s1
	v_cndmask_b32_e64 v35, v35, v33, s1
	v_cmp_ngt_f64_e64 s1, -1.0, v[32:33]
	s_delay_alu instid0(VALU_DEP_1) | instskip(SKIP_1) | instid1(VALU_DEP_1)
	v_cndmask_b32_e64 v35, 0x7ff80000, v35, s1
	v_cmp_nge_f64_e64 s1, -1.0, v[32:33]
	v_cndmask_b32_e64 v34, 0, v34, s1
	v_cmp_neq_f64_e64 s1, -1.0, v[32:33]
	s_delay_alu instid0(VALU_DEP_1) | instskip(NEXT) | instid1(VALU_DEP_1)
	v_cndmask_b32_e64 v35, 0xfff00000, v35, s1
	v_add_f64 v[48:49], v[0:1], v[34:35]
.LBB56_335:
	s_or_b32 exec_lo, exec_lo, s25
	s_delay_alu instid0(VALU_DEP_1) | instskip(SKIP_1) | instid1(VALU_DEP_1)
	v_max_f64 v[0:1], v[48:49], v[48:49]
	;;#ASMSTART
	;;#ASMEND
	v_min_f64 v[34:35], v[0:1], v[54:55]
	v_max_f64 v[36:37], v[0:1], v[54:55]
	v_dual_mov_b32 v0, v48 :: v_dual_mov_b32 v1, v49
.LBB56_336:
	s_or_b32 exec_lo, exec_lo, s24
	s_delay_alu instid0(VALU_DEP_1) | instskip(NEXT) | instid1(VALU_DEP_1)
	v_cmp_u_f64_e64 s1, v[0:1], v[0:1]
	v_cndmask_b32_e64 v32, v34, v0, s1
	v_cndmask_b32_e64 v33, v35, v1, s1
	;; [unrolled: 1-line block ×4, first 2 shown]
	s_delay_alu instid0(VALU_DEP_3) | instskip(NEXT) | instid1(VALU_DEP_2)
	v_dual_cndmask_b32 v34, v32, v2 :: v_dual_cndmask_b32 v35, v33, v3
	v_dual_cndmask_b32 v33, v37, v3 :: v_dual_cndmask_b32 v32, v36, v2
	v_dual_mov_b32 v3, v1 :: v_dual_mov_b32 v2, v0
	s_delay_alu instid0(VALU_DEP_3) | instskip(NEXT) | instid1(VALU_DEP_3)
	v_cmp_class_f64_e64 s1, v[34:35], 0x1f8
	v_cmp_neq_f64_e32 vcc_lo, v[34:35], v[32:33]
	s_delay_alu instid0(VALU_DEP_2) | instskip(NEXT) | instid1(SALU_CYCLE_1)
	s_or_b32 s1, vcc_lo, s1
	s_and_saveexec_b32 s24, s1
	s_cbranch_execz .LBB56_338
; %bb.337:
	v_add_f64 v[2:3], v[34:35], -v[32:33]
	s_mov_b32 s16, 0x652b82fe
	s_mov_b32 s17, 0x3ff71547
	;; [unrolled: 1-line block ×10, first 2 shown]
	s_delay_alu instid0(VALU_DEP_1) | instskip(SKIP_4) | instid1(VALU_DEP_3)
	v_mul_f64 v[34:35], v[2:3], s[16:17]
	s_mov_b32 s17, 0xbfe62e42
	s_mov_b32 s16, 0xfefa39ef
	v_cmp_nlt_f64_e32 vcc_lo, 0x40900000, v[2:3]
	v_cmp_ngt_f64_e64 s1, 0xc090cc00, v[2:3]
	v_rndne_f64_e32 v[34:35], v[34:35]
	s_delay_alu instid0(VALU_DEP_1) | instskip(SKIP_2) | instid1(VALU_DEP_2)
	v_fma_f64 v[36:37], v[34:35], s[16:17], v[2:3]
	v_cvt_i32_f64_e32 v54, v[34:35]
	s_mov_b32 s17, 0x3fe62e42
	v_fma_f64 v[36:37], v[34:35], s[18:19], v[36:37]
	s_mov_b32 s19, 0x3c7abc9e
	s_waitcnt lgkmcnt(0)
	s_delay_alu instid0(VALU_DEP_1) | instskip(SKIP_4) | instid1(VALU_DEP_1)
	v_fma_f64 v[48:49], v[36:37], s[26:27], s[20:21]
	s_mov_b32 s20, 0x623fde64
	s_mov_b32 s21, 0x3ec71dee
	;; [unrolled: 1-line block ×4, first 2 shown]
	v_fma_f64 v[48:49], v[36:37], v[48:49], s[20:21]
	s_mov_b32 s20, 0x7c89e6b0
	s_mov_b32 s21, 0x3efa0199
	s_delay_alu instid0(VALU_DEP_1) | instid1(SALU_CYCLE_1)
	v_fma_f64 v[48:49], v[36:37], v[48:49], s[20:21]
	s_mov_b32 s20, 0x14761f6e
	s_mov_b32 s21, 0x3f2a01a0
	s_delay_alu instid0(VALU_DEP_1) | instid1(SALU_CYCLE_1)
	;; [unrolled: 4-line block ×7, first 2 shown]
	v_fma_f64 v[48:49], v[36:37], v[48:49], s[20:21]
	s_mov_b32 s21, 0x3fe55555
	s_mov_b32 s20, 0x55555555
	s_delay_alu instid0(VALU_DEP_1) | instskip(NEXT) | instid1(VALU_DEP_1)
	v_fma_f64 v[48:49], v[36:37], v[48:49], 1.0
	v_fma_f64 v[34:35], v[36:37], v[48:49], 1.0
	s_delay_alu instid0(VALU_DEP_1) | instskip(NEXT) | instid1(VALU_DEP_1)
	v_ldexp_f64 v[34:35], v[34:35], v54
	v_cndmask_b32_e32 v35, 0x7ff00000, v35, vcc_lo
	s_and_b32 vcc_lo, s1, vcc_lo
	s_delay_alu instid0(VALU_DEP_1) | instskip(NEXT) | instid1(VALU_DEP_3)
	v_cndmask_b32_e64 v3, 0, v35, s1
	v_cndmask_b32_e32 v2, 0, v34, vcc_lo
	s_delay_alu instid0(VALU_DEP_1) | instskip(NEXT) | instid1(VALU_DEP_1)
	v_add_f64 v[34:35], v[2:3], 1.0
	v_frexp_mant_f64_e32 v[36:37], v[34:35]
	v_frexp_exp_i32_f64_e32 v54, v[34:35]
	v_add_f64 v[48:49], v[34:35], -1.0
	s_delay_alu instid0(VALU_DEP_3) | instskip(SKIP_1) | instid1(VALU_DEP_2)
	v_cmp_gt_f64_e32 vcc_lo, s[20:21], v[36:37]
	s_mov_b32 s20, 0x55555780
	v_add_f64 v[36:37], v[48:49], -v[34:35]
	v_add_f64 v[48:49], v[2:3], -v[48:49]
	v_subrev_co_ci_u32_e32 v160, vcc_lo, 0, v54, vcc_lo
	s_delay_alu instid0(VALU_DEP_3) | instskip(SKIP_1) | instid1(VALU_DEP_3)
	v_add_f64 v[36:37], v[36:37], 1.0
	v_cmp_eq_f64_e32 vcc_lo, 0x7ff00000, v[2:3]
	v_sub_nc_u32_e32 v129, 0, v160
	s_delay_alu instid0(VALU_DEP_1) | instskip(NEXT) | instid1(VALU_DEP_4)
	v_ldexp_f64 v[34:35], v[34:35], v129
	v_add_f64 v[36:37], v[48:49], v[36:37]
	s_delay_alu instid0(VALU_DEP_2) | instskip(SKIP_1) | instid1(VALU_DEP_3)
	v_add_f64 v[54:55], v[34:35], 1.0
	v_add_f64 v[133:134], v[34:35], -1.0
	v_ldexp_f64 v[36:37], v[36:37], v129
	s_delay_alu instid0(VALU_DEP_3) | instskip(NEXT) | instid1(VALU_DEP_3)
	v_add_f64 v[48:49], v[54:55], -1.0
	v_add_f64 v[144:145], v[133:134], 1.0
	s_delay_alu instid0(VALU_DEP_2) | instskip(NEXT) | instid1(VALU_DEP_2)
	v_add_f64 v[48:49], v[34:35], -v[48:49]
	v_add_f64 v[34:35], v[34:35], -v[144:145]
	s_delay_alu instid0(VALU_DEP_2) | instskip(NEXT) | instid1(VALU_DEP_2)
	v_add_f64 v[48:49], v[36:37], v[48:49]
	v_add_f64 v[34:35], v[36:37], v[34:35]
	s_delay_alu instid0(VALU_DEP_2) | instskip(NEXT) | instid1(VALU_DEP_2)
	v_add_f64 v[129:130], v[54:55], v[48:49]
	v_add_f64 v[144:145], v[133:134], v[34:35]
	s_delay_alu instid0(VALU_DEP_2) | instskip(SKIP_1) | instid1(VALU_DEP_2)
	v_rcp_f64_e32 v[131:132], v[129:130]
	v_add_f64 v[54:55], v[129:130], -v[54:55]
	v_add_f64 v[133:134], v[144:145], -v[133:134]
	s_delay_alu instid0(VALU_DEP_2) | instskip(SKIP_3) | instid1(VALU_DEP_2)
	v_add_f64 v[48:49], v[48:49], -v[54:55]
	s_waitcnt_depctr 0xfff
	v_fma_f64 v[146:147], -v[129:130], v[131:132], 1.0
	v_add_f64 v[34:35], v[34:35], -v[133:134]
	v_fma_f64 v[131:132], v[146:147], v[131:132], v[131:132]
	s_delay_alu instid0(VALU_DEP_1) | instskip(NEXT) | instid1(VALU_DEP_1)
	v_fma_f64 v[36:37], -v[129:130], v[131:132], 1.0
	v_fma_f64 v[36:37], v[36:37], v[131:132], v[131:132]
	s_delay_alu instid0(VALU_DEP_1) | instskip(NEXT) | instid1(VALU_DEP_1)
	v_mul_f64 v[131:132], v[144:145], v[36:37]
	v_mul_f64 v[146:147], v[129:130], v[131:132]
	s_delay_alu instid0(VALU_DEP_1) | instskip(NEXT) | instid1(VALU_DEP_1)
	v_fma_f64 v[54:55], v[131:132], v[129:130], -v[146:147]
	v_fma_f64 v[54:55], v[131:132], v[48:49], v[54:55]
	s_delay_alu instid0(VALU_DEP_1) | instskip(NEXT) | instid1(VALU_DEP_1)
	v_add_f64 v[148:149], v[146:147], v[54:55]
	v_add_f64 v[150:151], v[144:145], -v[148:149]
	v_add_f64 v[133:134], v[148:149], -v[146:147]
	s_delay_alu instid0(VALU_DEP_2) | instskip(NEXT) | instid1(VALU_DEP_2)
	v_add_f64 v[144:145], v[144:145], -v[150:151]
	v_add_f64 v[54:55], v[133:134], -v[54:55]
	s_delay_alu instid0(VALU_DEP_2) | instskip(NEXT) | instid1(VALU_DEP_1)
	v_add_f64 v[144:145], v[144:145], -v[148:149]
	v_add_f64 v[34:35], v[34:35], v[144:145]
	s_delay_alu instid0(VALU_DEP_1) | instskip(NEXT) | instid1(VALU_DEP_1)
	v_add_f64 v[34:35], v[54:55], v[34:35]
	v_add_f64 v[54:55], v[150:151], v[34:35]
	s_delay_alu instid0(VALU_DEP_1) | instskip(SKIP_1) | instid1(VALU_DEP_2)
	v_mul_f64 v[133:134], v[36:37], v[54:55]
	v_add_f64 v[148:149], v[150:151], -v[54:55]
	v_mul_f64 v[144:145], v[129:130], v[133:134]
	s_delay_alu instid0(VALU_DEP_2) | instskip(NEXT) | instid1(VALU_DEP_2)
	v_add_f64 v[34:35], v[34:35], v[148:149]
	v_fma_f64 v[129:130], v[133:134], v[129:130], -v[144:145]
	s_delay_alu instid0(VALU_DEP_1) | instskip(NEXT) | instid1(VALU_DEP_1)
	v_fma_f64 v[48:49], v[133:134], v[48:49], v[129:130]
	v_add_f64 v[129:130], v[144:145], v[48:49]
	s_delay_alu instid0(VALU_DEP_1) | instskip(SKIP_1) | instid1(VALU_DEP_2)
	v_add_f64 v[146:147], v[54:55], -v[129:130]
	v_add_f64 v[144:145], v[129:130], -v[144:145]
	;; [unrolled: 1-line block ×3, first 2 shown]
	s_delay_alu instid0(VALU_DEP_2) | instskip(NEXT) | instid1(VALU_DEP_2)
	v_add_f64 v[48:49], v[144:145], -v[48:49]
	v_add_f64 v[54:55], v[54:55], -v[129:130]
	s_delay_alu instid0(VALU_DEP_1) | instskip(SKIP_1) | instid1(VALU_DEP_2)
	v_add_f64 v[34:35], v[34:35], v[54:55]
	v_add_f64 v[54:55], v[131:132], v[133:134]
	;; [unrolled: 1-line block ×3, first 2 shown]
	s_delay_alu instid0(VALU_DEP_2) | instskip(NEXT) | instid1(VALU_DEP_2)
	v_add_f64 v[48:49], v[54:55], -v[131:132]
	v_add_f64 v[34:35], v[146:147], v[34:35]
	s_delay_alu instid0(VALU_DEP_2) | instskip(NEXT) | instid1(VALU_DEP_2)
	v_add_f64 v[48:49], v[133:134], -v[48:49]
	v_mul_f64 v[34:35], v[36:37], v[34:35]
	s_delay_alu instid0(VALU_DEP_1) | instskip(NEXT) | instid1(VALU_DEP_1)
	v_add_f64 v[34:35], v[48:49], v[34:35]
	v_add_f64 v[36:37], v[54:55], v[34:35]
	s_delay_alu instid0(VALU_DEP_1) | instskip(NEXT) | instid1(VALU_DEP_1)
	v_mul_f64 v[48:49], v[36:37], v[36:37]
	v_fma_f64 v[129:130], v[48:49], s[28:29], s[26:27]
	s_mov_b32 s26, 0xd7f4df2e
	s_mov_b32 s27, 0x3fc7474d
	v_mul_f64 v[131:132], v[36:37], v[48:49]
	s_delay_alu instid0(VALU_DEP_2)
	v_fma_f64 v[129:130], v[48:49], v[129:130], s[26:27]
	s_mov_b32 s26, 0x16291751
	s_mov_b32 s27, 0x3fcc71c0
	s_delay_alu instid0(VALU_DEP_1) | instid1(SALU_CYCLE_1)
	v_fma_f64 v[129:130], v[48:49], v[129:130], s[26:27]
	s_mov_b32 s26, 0x9b27acf1
	s_mov_b32 s27, 0x3fd24924
	s_delay_alu instid0(VALU_DEP_1) | instid1(SALU_CYCLE_1)
	;; [unrolled: 4-line block ×3, first 2 shown]
	v_fma_f64 v[129:130], v[48:49], v[129:130], s[26:27]
	s_delay_alu instid0(VALU_DEP_1) | instskip(SKIP_2) | instid1(VALU_DEP_3)
	v_fma_f64 v[48:49], v[48:49], v[129:130], s[20:21]
	v_ldexp_f64 v[129:130], v[36:37], 1
	v_add_f64 v[36:37], v[36:37], -v[54:55]
	v_mul_f64 v[48:49], v[131:132], v[48:49]
	v_cvt_f64_i32_e32 v[131:132], v160
	s_delay_alu instid0(VALU_DEP_3) | instskip(NEXT) | instid1(VALU_DEP_3)
	v_add_f64 v[34:35], v[34:35], -v[36:37]
	v_add_f64 v[54:55], v[129:130], v[48:49]
	s_delay_alu instid0(VALU_DEP_3) | instskip(NEXT) | instid1(VALU_DEP_3)
	v_mul_f64 v[133:134], v[131:132], s[16:17]
	v_ldexp_f64 v[34:35], v[34:35], 1
	s_delay_alu instid0(VALU_DEP_3) | instskip(NEXT) | instid1(VALU_DEP_3)
	v_add_f64 v[36:37], v[54:55], -v[129:130]
	v_fma_f64 v[129:130], v[131:132], s[16:17], -v[133:134]
	s_delay_alu instid0(VALU_DEP_2) | instskip(NEXT) | instid1(VALU_DEP_2)
	v_add_f64 v[36:37], v[48:49], -v[36:37]
	v_fma_f64 v[48:49], v[131:132], s[18:19], v[129:130]
	s_delay_alu instid0(VALU_DEP_2) | instskip(NEXT) | instid1(VALU_DEP_2)
	v_add_f64 v[34:35], v[34:35], v[36:37]
	v_add_f64 v[36:37], v[133:134], v[48:49]
	s_delay_alu instid0(VALU_DEP_2) | instskip(NEXT) | instid1(VALU_DEP_2)
	v_add_f64 v[129:130], v[54:55], v[34:35]
	v_add_f64 v[133:134], v[36:37], -v[133:134]
	s_delay_alu instid0(VALU_DEP_2) | instskip(SKIP_1) | instid1(VALU_DEP_3)
	v_add_f64 v[131:132], v[36:37], v[129:130]
	v_add_f64 v[54:55], v[129:130], -v[54:55]
	v_add_f64 v[48:49], v[48:49], -v[133:134]
	s_delay_alu instid0(VALU_DEP_3) | instskip(NEXT) | instid1(VALU_DEP_3)
	v_add_f64 v[144:145], v[131:132], -v[36:37]
	v_add_f64 v[34:35], v[34:35], -v[54:55]
	s_delay_alu instid0(VALU_DEP_2) | instskip(SKIP_1) | instid1(VALU_DEP_3)
	v_add_f64 v[146:147], v[131:132], -v[144:145]
	v_add_f64 v[54:55], v[129:130], -v[144:145]
	v_add_f64 v[129:130], v[48:49], v[34:35]
	s_delay_alu instid0(VALU_DEP_3) | instskip(NEXT) | instid1(VALU_DEP_1)
	v_add_f64 v[36:37], v[36:37], -v[146:147]
	v_add_f64 v[36:37], v[54:55], v[36:37]
	s_delay_alu instid0(VALU_DEP_3) | instskip(NEXT) | instid1(VALU_DEP_2)
	v_add_f64 v[54:55], v[129:130], -v[48:49]
	v_add_f64 v[36:37], v[129:130], v[36:37]
	s_delay_alu instid0(VALU_DEP_2) | instskip(SKIP_1) | instid1(VALU_DEP_3)
	v_add_f64 v[129:130], v[129:130], -v[54:55]
	v_add_f64 v[34:35], v[34:35], -v[54:55]
	v_add_f64 v[133:134], v[131:132], v[36:37]
	s_delay_alu instid0(VALU_DEP_3) | instskip(NEXT) | instid1(VALU_DEP_2)
	v_add_f64 v[48:49], v[48:49], -v[129:130]
	v_add_f64 v[54:55], v[133:134], -v[131:132]
	s_delay_alu instid0(VALU_DEP_2) | instskip(NEXT) | instid1(VALU_DEP_2)
	v_add_f64 v[34:35], v[34:35], v[48:49]
	v_add_f64 v[36:37], v[36:37], -v[54:55]
	s_delay_alu instid0(VALU_DEP_1) | instskip(NEXT) | instid1(VALU_DEP_1)
	v_add_f64 v[34:35], v[34:35], v[36:37]
	v_add_f64 v[34:35], v[133:134], v[34:35]
	s_delay_alu instid0(VALU_DEP_1) | instskip(SKIP_1) | instid1(VALU_DEP_2)
	v_dual_cndmask_b32 v35, v35, v3 :: v_dual_cndmask_b32 v34, v34, v2
	v_cmp_ngt_f64_e32 vcc_lo, -1.0, v[2:3]
	v_cndmask_b32_e32 v35, 0x7ff80000, v35, vcc_lo
	v_cmp_nge_f64_e32 vcc_lo, -1.0, v[2:3]
	s_delay_alu instid0(VALU_DEP_4) | instskip(SKIP_1) | instid1(VALU_DEP_4)
	v_cndmask_b32_e32 v34, 0, v34, vcc_lo
	v_cmp_neq_f64_e32 vcc_lo, -1.0, v[2:3]
	v_cndmask_b32_e32 v35, 0xfff00000, v35, vcc_lo
	s_delay_alu instid0(VALU_DEP_1)
	v_add_f64 v[2:3], v[32:33], v[34:35]
.LBB56_338:
	s_or_b32 exec_lo, exec_lo, s24
	s_delay_alu instid0(VALU_DEP_1) | instskip(SKIP_1) | instid1(VALU_DEP_2)
	v_max_f64 v[32:33], v[2:3], v[2:3]
	v_cmp_u_f64_e32 vcc_lo, v[2:3], v[2:3]
	v_min_f64 v[34:35], v[32:33], v[4:5]
	v_max_f64 v[4:5], v[32:33], v[4:5]
	s_delay_alu instid0(VALU_DEP_2) | instskip(NEXT) | instid1(VALU_DEP_2)
	v_dual_cndmask_b32 v32, v34, v2 :: v_dual_cndmask_b32 v33, v35, v3
	v_dual_cndmask_b32 v5, v5, v3 :: v_dual_cndmask_b32 v4, v4, v2
	s_delay_alu instid0(VALU_DEP_2) | instskip(NEXT) | instid1(VALU_DEP_3)
	v_cndmask_b32_e64 v34, v32, v112, s2
	v_cndmask_b32_e64 v35, v33, v113, s2
	s_delay_alu instid0(VALU_DEP_3) | instskip(NEXT) | instid1(VALU_DEP_4)
	v_cndmask_b32_e64 v33, v5, v113, s2
	v_cndmask_b32_e64 v32, v4, v112, s2
	v_dual_mov_b32 v5, v3 :: v_dual_mov_b32 v4, v2
	s_delay_alu instid0(VALU_DEP_4) | instskip(NEXT) | instid1(VALU_DEP_3)
	v_cmp_class_f64_e64 s1, v[34:35], 0x1f8
	v_cmp_neq_f64_e32 vcc_lo, v[34:35], v[32:33]
	s_delay_alu instid0(VALU_DEP_2) | instskip(NEXT) | instid1(SALU_CYCLE_1)
	s_or_b32 s1, vcc_lo, s1
	s_and_saveexec_b32 s2, s1
	s_cbranch_execz .LBB56_340
; %bb.339:
	v_add_f64 v[4:5], v[34:35], -v[32:33]
	s_mov_b32 s16, 0x652b82fe
	s_mov_b32 s17, 0x3ff71547
	;; [unrolled: 1-line block ×10, first 2 shown]
	s_delay_alu instid0(VALU_DEP_1) | instskip(SKIP_4) | instid1(VALU_DEP_3)
	v_mul_f64 v[34:35], v[4:5], s[16:17]
	s_mov_b32 s17, 0xbfe62e42
	s_mov_b32 s16, 0xfefa39ef
	v_cmp_nlt_f64_e32 vcc_lo, 0x40900000, v[4:5]
	v_cmp_ngt_f64_e64 s1, 0xc090cc00, v[4:5]
	v_rndne_f64_e32 v[34:35], v[34:35]
	s_delay_alu instid0(VALU_DEP_1) | instskip(SKIP_2) | instid1(VALU_DEP_2)
	v_fma_f64 v[36:37], v[34:35], s[16:17], v[4:5]
	v_cvt_i32_f64_e32 v54, v[34:35]
	s_mov_b32 s17, 0x3fe62e42
	v_fma_f64 v[36:37], v[34:35], s[18:19], v[36:37]
	s_mov_b32 s19, 0x3c7abc9e
	s_waitcnt lgkmcnt(0)
	s_delay_alu instid0(VALU_DEP_1) | instskip(SKIP_4) | instid1(VALU_DEP_1)
	v_fma_f64 v[48:49], v[36:37], s[24:25], s[20:21]
	s_mov_b32 s20, 0x623fde64
	s_mov_b32 s21, 0x3ec71dee
	s_mov_b32 s24, 0x6b47b09a
	s_mov_b32 s25, 0x3fc38538
	v_fma_f64 v[48:49], v[36:37], v[48:49], s[20:21]
	s_mov_b32 s20, 0x7c89e6b0
	s_mov_b32 s21, 0x3efa0199
	s_delay_alu instid0(VALU_DEP_1) | instid1(SALU_CYCLE_1)
	v_fma_f64 v[48:49], v[36:37], v[48:49], s[20:21]
	s_mov_b32 s20, 0x14761f6e
	s_mov_b32 s21, 0x3f2a01a0
	s_delay_alu instid0(VALU_DEP_1) | instid1(SALU_CYCLE_1)
	;; [unrolled: 4-line block ×7, first 2 shown]
	v_fma_f64 v[48:49], v[36:37], v[48:49], s[20:21]
	s_mov_b32 s21, 0x3fe55555
	s_mov_b32 s20, 0x55555555
	s_delay_alu instid0(VALU_DEP_1) | instskip(NEXT) | instid1(VALU_DEP_1)
	v_fma_f64 v[48:49], v[36:37], v[48:49], 1.0
	v_fma_f64 v[34:35], v[36:37], v[48:49], 1.0
	s_delay_alu instid0(VALU_DEP_1) | instskip(NEXT) | instid1(VALU_DEP_1)
	v_ldexp_f64 v[34:35], v[34:35], v54
	v_cndmask_b32_e32 v35, 0x7ff00000, v35, vcc_lo
	s_and_b32 vcc_lo, s1, vcc_lo
	s_delay_alu instid0(VALU_DEP_1) | instskip(NEXT) | instid1(VALU_DEP_3)
	v_cndmask_b32_e64 v5, 0, v35, s1
	v_cndmask_b32_e32 v4, 0, v34, vcc_lo
	s_delay_alu instid0(VALU_DEP_1) | instskip(NEXT) | instid1(VALU_DEP_1)
	v_add_f64 v[34:35], v[4:5], 1.0
	v_frexp_mant_f64_e32 v[36:37], v[34:35]
	v_frexp_exp_i32_f64_e32 v54, v[34:35]
	v_add_f64 v[48:49], v[34:35], -1.0
	s_delay_alu instid0(VALU_DEP_3) | instskip(SKIP_1) | instid1(VALU_DEP_2)
	v_cmp_gt_f64_e32 vcc_lo, s[20:21], v[36:37]
	s_mov_b32 s20, 0x55555780
	v_add_f64 v[36:37], v[48:49], -v[34:35]
	v_add_f64 v[48:49], v[4:5], -v[48:49]
	v_subrev_co_ci_u32_e32 v150, vcc_lo, 0, v54, vcc_lo
	s_delay_alu instid0(VALU_DEP_3) | instskip(SKIP_1) | instid1(VALU_DEP_3)
	v_add_f64 v[36:37], v[36:37], 1.0
	v_cmp_eq_f64_e32 vcc_lo, 0x7ff00000, v[4:5]
	v_sub_nc_u32_e32 v112, 0, v150
	s_delay_alu instid0(VALU_DEP_1) | instskip(NEXT) | instid1(VALU_DEP_4)
	v_ldexp_f64 v[34:35], v[34:35], v112
	v_add_f64 v[36:37], v[48:49], v[36:37]
	s_delay_alu instid0(VALU_DEP_2) | instskip(SKIP_1) | instid1(VALU_DEP_3)
	v_add_f64 v[54:55], v[34:35], 1.0
	v_add_f64 v[131:132], v[34:35], -1.0
	v_ldexp_f64 v[36:37], v[36:37], v112
	s_delay_alu instid0(VALU_DEP_3) | instskip(NEXT) | instid1(VALU_DEP_3)
	v_add_f64 v[48:49], v[54:55], -1.0
	v_add_f64 v[133:134], v[131:132], 1.0
	s_delay_alu instid0(VALU_DEP_2) | instskip(NEXT) | instid1(VALU_DEP_2)
	v_add_f64 v[48:49], v[34:35], -v[48:49]
	v_add_f64 v[34:35], v[34:35], -v[133:134]
	s_delay_alu instid0(VALU_DEP_2) | instskip(NEXT) | instid1(VALU_DEP_2)
	v_add_f64 v[48:49], v[36:37], v[48:49]
	v_add_f64 v[34:35], v[36:37], v[34:35]
	s_delay_alu instid0(VALU_DEP_2) | instskip(NEXT) | instid1(VALU_DEP_2)
	v_add_f64 v[112:113], v[54:55], v[48:49]
	v_add_f64 v[133:134], v[131:132], v[34:35]
	s_delay_alu instid0(VALU_DEP_2) | instskip(SKIP_1) | instid1(VALU_DEP_2)
	v_rcp_f64_e32 v[129:130], v[112:113]
	v_add_f64 v[54:55], v[112:113], -v[54:55]
	v_add_f64 v[131:132], v[133:134], -v[131:132]
	s_delay_alu instid0(VALU_DEP_2) | instskip(SKIP_3) | instid1(VALU_DEP_2)
	v_add_f64 v[48:49], v[48:49], -v[54:55]
	s_waitcnt_depctr 0xfff
	v_fma_f64 v[144:145], -v[112:113], v[129:130], 1.0
	v_add_f64 v[34:35], v[34:35], -v[131:132]
	v_fma_f64 v[129:130], v[144:145], v[129:130], v[129:130]
	s_delay_alu instid0(VALU_DEP_1) | instskip(NEXT) | instid1(VALU_DEP_1)
	v_fma_f64 v[36:37], -v[112:113], v[129:130], 1.0
	v_fma_f64 v[36:37], v[36:37], v[129:130], v[129:130]
	s_delay_alu instid0(VALU_DEP_1) | instskip(NEXT) | instid1(VALU_DEP_1)
	v_mul_f64 v[129:130], v[133:134], v[36:37]
	v_mul_f64 v[144:145], v[112:113], v[129:130]
	s_delay_alu instid0(VALU_DEP_1) | instskip(NEXT) | instid1(VALU_DEP_1)
	v_fma_f64 v[54:55], v[129:130], v[112:113], -v[144:145]
	v_fma_f64 v[54:55], v[129:130], v[48:49], v[54:55]
	s_delay_alu instid0(VALU_DEP_1) | instskip(NEXT) | instid1(VALU_DEP_1)
	v_add_f64 v[146:147], v[144:145], v[54:55]
	v_add_f64 v[148:149], v[133:134], -v[146:147]
	v_add_f64 v[131:132], v[146:147], -v[144:145]
	s_delay_alu instid0(VALU_DEP_2) | instskip(NEXT) | instid1(VALU_DEP_2)
	v_add_f64 v[133:134], v[133:134], -v[148:149]
	v_add_f64 v[54:55], v[131:132], -v[54:55]
	s_delay_alu instid0(VALU_DEP_2) | instskip(NEXT) | instid1(VALU_DEP_1)
	v_add_f64 v[133:134], v[133:134], -v[146:147]
	v_add_f64 v[34:35], v[34:35], v[133:134]
	s_delay_alu instid0(VALU_DEP_1) | instskip(NEXT) | instid1(VALU_DEP_1)
	v_add_f64 v[34:35], v[54:55], v[34:35]
	v_add_f64 v[54:55], v[148:149], v[34:35]
	s_delay_alu instid0(VALU_DEP_1) | instskip(SKIP_1) | instid1(VALU_DEP_2)
	v_mul_f64 v[131:132], v[36:37], v[54:55]
	v_add_f64 v[146:147], v[148:149], -v[54:55]
	v_mul_f64 v[133:134], v[112:113], v[131:132]
	s_delay_alu instid0(VALU_DEP_2) | instskip(NEXT) | instid1(VALU_DEP_2)
	v_add_f64 v[34:35], v[34:35], v[146:147]
	v_fma_f64 v[112:113], v[131:132], v[112:113], -v[133:134]
	s_delay_alu instid0(VALU_DEP_1) | instskip(NEXT) | instid1(VALU_DEP_1)
	v_fma_f64 v[48:49], v[131:132], v[48:49], v[112:113]
	v_add_f64 v[112:113], v[133:134], v[48:49]
	s_delay_alu instid0(VALU_DEP_1) | instskip(SKIP_1) | instid1(VALU_DEP_2)
	v_add_f64 v[144:145], v[54:55], -v[112:113]
	v_add_f64 v[133:134], v[112:113], -v[133:134]
	v_add_f64 v[54:55], v[54:55], -v[144:145]
	s_delay_alu instid0(VALU_DEP_2) | instskip(NEXT) | instid1(VALU_DEP_2)
	v_add_f64 v[48:49], v[133:134], -v[48:49]
	v_add_f64 v[54:55], v[54:55], -v[112:113]
	s_delay_alu instid0(VALU_DEP_1) | instskip(SKIP_1) | instid1(VALU_DEP_2)
	v_add_f64 v[34:35], v[34:35], v[54:55]
	v_add_f64 v[54:55], v[129:130], v[131:132]
	;; [unrolled: 1-line block ×3, first 2 shown]
	s_delay_alu instid0(VALU_DEP_2) | instskip(NEXT) | instid1(VALU_DEP_2)
	v_add_f64 v[48:49], v[54:55], -v[129:130]
	v_add_f64 v[34:35], v[144:145], v[34:35]
	s_delay_alu instid0(VALU_DEP_2) | instskip(NEXT) | instid1(VALU_DEP_2)
	v_add_f64 v[48:49], v[131:132], -v[48:49]
	v_mul_f64 v[34:35], v[36:37], v[34:35]
	s_delay_alu instid0(VALU_DEP_1) | instskip(NEXT) | instid1(VALU_DEP_1)
	v_add_f64 v[34:35], v[48:49], v[34:35]
	v_add_f64 v[36:37], v[54:55], v[34:35]
	s_delay_alu instid0(VALU_DEP_1) | instskip(NEXT) | instid1(VALU_DEP_1)
	v_mul_f64 v[48:49], v[36:37], v[36:37]
	v_fma_f64 v[112:113], v[48:49], s[26:27], s[24:25]
	s_mov_b32 s24, 0xd7f4df2e
	s_mov_b32 s25, 0x3fc7474d
	v_mul_f64 v[129:130], v[36:37], v[48:49]
	s_delay_alu instid0(VALU_DEP_2)
	v_fma_f64 v[112:113], v[48:49], v[112:113], s[24:25]
	s_mov_b32 s24, 0x16291751
	s_mov_b32 s25, 0x3fcc71c0
	s_delay_alu instid0(VALU_DEP_1) | instid1(SALU_CYCLE_1)
	v_fma_f64 v[112:113], v[48:49], v[112:113], s[24:25]
	s_mov_b32 s24, 0x9b27acf1
	s_mov_b32 s25, 0x3fd24924
	s_delay_alu instid0(VALU_DEP_1) | instid1(SALU_CYCLE_1)
	v_fma_f64 v[112:113], v[48:49], v[112:113], s[24:25]
	s_mov_b32 s24, 0x998ef7b6
	s_mov_b32 s25, 0x3fd99999
	s_delay_alu instid0(VALU_DEP_1) | instid1(SALU_CYCLE_1)
	v_fma_f64 v[112:113], v[48:49], v[112:113], s[24:25]
	s_delay_alu instid0(VALU_DEP_1) | instskip(SKIP_2) | instid1(VALU_DEP_3)
	v_fma_f64 v[48:49], v[48:49], v[112:113], s[20:21]
	v_ldexp_f64 v[112:113], v[36:37], 1
	v_add_f64 v[36:37], v[36:37], -v[54:55]
	v_mul_f64 v[48:49], v[129:130], v[48:49]
	v_cvt_f64_i32_e32 v[129:130], v150
	s_delay_alu instid0(VALU_DEP_3) | instskip(NEXT) | instid1(VALU_DEP_3)
	v_add_f64 v[34:35], v[34:35], -v[36:37]
	v_add_f64 v[54:55], v[112:113], v[48:49]
	s_delay_alu instid0(VALU_DEP_3) | instskip(NEXT) | instid1(VALU_DEP_3)
	v_mul_f64 v[131:132], v[129:130], s[16:17]
	v_ldexp_f64 v[34:35], v[34:35], 1
	s_delay_alu instid0(VALU_DEP_3) | instskip(NEXT) | instid1(VALU_DEP_3)
	v_add_f64 v[36:37], v[54:55], -v[112:113]
	v_fma_f64 v[112:113], v[129:130], s[16:17], -v[131:132]
	s_delay_alu instid0(VALU_DEP_2) | instskip(NEXT) | instid1(VALU_DEP_2)
	v_add_f64 v[36:37], v[48:49], -v[36:37]
	v_fma_f64 v[48:49], v[129:130], s[18:19], v[112:113]
	s_delay_alu instid0(VALU_DEP_2) | instskip(NEXT) | instid1(VALU_DEP_2)
	v_add_f64 v[34:35], v[34:35], v[36:37]
	v_add_f64 v[36:37], v[131:132], v[48:49]
	s_delay_alu instid0(VALU_DEP_2) | instskip(NEXT) | instid1(VALU_DEP_2)
	v_add_f64 v[112:113], v[54:55], v[34:35]
	v_add_f64 v[131:132], v[36:37], -v[131:132]
	s_delay_alu instid0(VALU_DEP_2) | instskip(SKIP_1) | instid1(VALU_DEP_3)
	v_add_f64 v[129:130], v[36:37], v[112:113]
	v_add_f64 v[54:55], v[112:113], -v[54:55]
	v_add_f64 v[48:49], v[48:49], -v[131:132]
	s_delay_alu instid0(VALU_DEP_3) | instskip(NEXT) | instid1(VALU_DEP_3)
	v_add_f64 v[133:134], v[129:130], -v[36:37]
	v_add_f64 v[34:35], v[34:35], -v[54:55]
	s_delay_alu instid0(VALU_DEP_2) | instskip(SKIP_1) | instid1(VALU_DEP_3)
	v_add_f64 v[144:145], v[129:130], -v[133:134]
	v_add_f64 v[54:55], v[112:113], -v[133:134]
	v_add_f64 v[112:113], v[48:49], v[34:35]
	s_delay_alu instid0(VALU_DEP_3) | instskip(NEXT) | instid1(VALU_DEP_1)
	v_add_f64 v[36:37], v[36:37], -v[144:145]
	v_add_f64 v[36:37], v[54:55], v[36:37]
	s_delay_alu instid0(VALU_DEP_3) | instskip(NEXT) | instid1(VALU_DEP_2)
	v_add_f64 v[54:55], v[112:113], -v[48:49]
	v_add_f64 v[36:37], v[112:113], v[36:37]
	s_delay_alu instid0(VALU_DEP_2) | instskip(SKIP_1) | instid1(VALU_DEP_3)
	v_add_f64 v[112:113], v[112:113], -v[54:55]
	v_add_f64 v[34:35], v[34:35], -v[54:55]
	v_add_f64 v[131:132], v[129:130], v[36:37]
	s_delay_alu instid0(VALU_DEP_3) | instskip(NEXT) | instid1(VALU_DEP_2)
	v_add_f64 v[48:49], v[48:49], -v[112:113]
	v_add_f64 v[54:55], v[131:132], -v[129:130]
	s_delay_alu instid0(VALU_DEP_2) | instskip(NEXT) | instid1(VALU_DEP_2)
	v_add_f64 v[34:35], v[34:35], v[48:49]
	v_add_f64 v[36:37], v[36:37], -v[54:55]
	s_delay_alu instid0(VALU_DEP_1) | instskip(NEXT) | instid1(VALU_DEP_1)
	v_add_f64 v[34:35], v[34:35], v[36:37]
	v_add_f64 v[34:35], v[131:132], v[34:35]
	s_delay_alu instid0(VALU_DEP_1) | instskip(SKIP_1) | instid1(VALU_DEP_2)
	v_dual_cndmask_b32 v35, v35, v5 :: v_dual_cndmask_b32 v34, v34, v4
	v_cmp_ngt_f64_e32 vcc_lo, -1.0, v[4:5]
	v_cndmask_b32_e32 v35, 0x7ff80000, v35, vcc_lo
	v_cmp_nge_f64_e32 vcc_lo, -1.0, v[4:5]
	s_delay_alu instid0(VALU_DEP_4) | instskip(SKIP_1) | instid1(VALU_DEP_4)
	v_cndmask_b32_e32 v34, 0, v34, vcc_lo
	v_cmp_neq_f64_e32 vcc_lo, -1.0, v[4:5]
	v_cndmask_b32_e32 v35, 0xfff00000, v35, vcc_lo
	s_delay_alu instid0(VALU_DEP_1)
	v_add_f64 v[4:5], v[32:33], v[34:35]
.LBB56_340:
	s_or_b32 exec_lo, exec_lo, s2
	s_delay_alu instid0(VALU_DEP_1) | instskip(SKIP_1) | instid1(VALU_DEP_2)
	v_max_f64 v[32:33], v[4:5], v[4:5]
	v_cmp_u_f64_e32 vcc_lo, v[4:5], v[4:5]
	v_min_f64 v[34:35], v[32:33], v[6:7]
	v_max_f64 v[6:7], v[32:33], v[6:7]
	s_delay_alu instid0(VALU_DEP_2) | instskip(NEXT) | instid1(VALU_DEP_2)
	v_dual_cndmask_b32 v32, v34, v4 :: v_dual_cndmask_b32 v33, v35, v5
	v_dual_cndmask_b32 v7, v7, v5 :: v_dual_cndmask_b32 v6, v6, v4
	s_delay_alu instid0(VALU_DEP_2) | instskip(NEXT) | instid1(VALU_DEP_3)
	v_cndmask_b32_e64 v34, v32, v114, s3
	v_cndmask_b32_e64 v35, v33, v115, s3
	s_delay_alu instid0(VALU_DEP_3) | instskip(NEXT) | instid1(VALU_DEP_4)
	v_cndmask_b32_e64 v33, v7, v115, s3
	v_cndmask_b32_e64 v32, v6, v114, s3
	v_dual_mov_b32 v7, v5 :: v_dual_mov_b32 v6, v4
	s_delay_alu instid0(VALU_DEP_4) | instskip(NEXT) | instid1(VALU_DEP_3)
	v_cmp_class_f64_e64 s1, v[34:35], 0x1f8
	v_cmp_neq_f64_e32 vcc_lo, v[34:35], v[32:33]
	s_delay_alu instid0(VALU_DEP_2) | instskip(NEXT) | instid1(SALU_CYCLE_1)
	s_or_b32 s1, vcc_lo, s1
	s_and_saveexec_b32 s20, s1
	s_cbranch_execz .LBB56_342
; %bb.341:
	v_add_f64 v[6:7], v[34:35], -v[32:33]
	s_mov_b32 s2, 0x652b82fe
	s_mov_b32 s3, 0x3ff71547
	;; [unrolled: 1-line block ×10, first 2 shown]
	s_delay_alu instid0(VALU_DEP_1) | instskip(SKIP_4) | instid1(VALU_DEP_3)
	v_mul_f64 v[34:35], v[6:7], s[2:3]
	s_mov_b32 s3, 0xbfe62e42
	s_mov_b32 s2, 0xfefa39ef
	v_cmp_nlt_f64_e32 vcc_lo, 0x40900000, v[6:7]
	v_cmp_ngt_f64_e64 s1, 0xc090cc00, v[6:7]
	v_rndne_f64_e32 v[34:35], v[34:35]
	s_delay_alu instid0(VALU_DEP_1) | instskip(SKIP_2) | instid1(VALU_DEP_2)
	v_fma_f64 v[36:37], v[34:35], s[2:3], v[6:7]
	v_cvt_i32_f64_e32 v54, v[34:35]
	s_mov_b32 s3, 0x3fe62e42
	v_fma_f64 v[36:37], v[34:35], s[16:17], v[36:37]
	s_mov_b32 s17, 0x3c7abc9e
	s_waitcnt lgkmcnt(0)
	s_delay_alu instid0(VALU_DEP_1) | instskip(SKIP_4) | instid1(VALU_DEP_1)
	v_fma_f64 v[48:49], v[36:37], s[24:25], s[18:19]
	s_mov_b32 s18, 0x623fde64
	s_mov_b32 s19, 0x3ec71dee
	;; [unrolled: 1-line block ×4, first 2 shown]
	v_fma_f64 v[48:49], v[36:37], v[48:49], s[18:19]
	s_mov_b32 s18, 0x7c89e6b0
	s_mov_b32 s19, 0x3efa0199
	s_delay_alu instid0(VALU_DEP_1) | instid1(SALU_CYCLE_1)
	v_fma_f64 v[48:49], v[36:37], v[48:49], s[18:19]
	s_mov_b32 s18, 0x14761f6e
	s_mov_b32 s19, 0x3f2a01a0
	s_delay_alu instid0(VALU_DEP_1) | instid1(SALU_CYCLE_1)
	;; [unrolled: 4-line block ×7, first 2 shown]
	v_fma_f64 v[48:49], v[36:37], v[48:49], s[18:19]
	s_mov_b32 s19, 0x3fe55555
	s_mov_b32 s18, 0x55555555
	s_delay_alu instid0(VALU_DEP_1) | instskip(NEXT) | instid1(VALU_DEP_1)
	v_fma_f64 v[48:49], v[36:37], v[48:49], 1.0
	v_fma_f64 v[34:35], v[36:37], v[48:49], 1.0
	s_delay_alu instid0(VALU_DEP_1) | instskip(NEXT) | instid1(VALU_DEP_1)
	v_ldexp_f64 v[34:35], v[34:35], v54
	v_cndmask_b32_e32 v35, 0x7ff00000, v35, vcc_lo
	s_and_b32 vcc_lo, s1, vcc_lo
	s_delay_alu instid0(VALU_DEP_1) | instskip(NEXT) | instid1(VALU_DEP_3)
	v_cndmask_b32_e64 v7, 0, v35, s1
	v_cndmask_b32_e32 v6, 0, v34, vcc_lo
	s_delay_alu instid0(VALU_DEP_1) | instskip(NEXT) | instid1(VALU_DEP_1)
	v_add_f64 v[34:35], v[6:7], 1.0
	v_frexp_mant_f64_e32 v[36:37], v[34:35]
	v_frexp_exp_i32_f64_e32 v54, v[34:35]
	v_add_f64 v[48:49], v[34:35], -1.0
	s_delay_alu instid0(VALU_DEP_3) | instskip(SKIP_1) | instid1(VALU_DEP_2)
	v_cmp_gt_f64_e32 vcc_lo, s[18:19], v[36:37]
	s_mov_b32 s18, 0x55555780
	v_add_f64 v[36:37], v[48:49], -v[34:35]
	v_add_f64 v[48:49], v[6:7], -v[48:49]
	v_subrev_co_ci_u32_e32 v148, vcc_lo, 0, v54, vcc_lo
	s_delay_alu instid0(VALU_DEP_3) | instskip(SKIP_1) | instid1(VALU_DEP_3)
	v_add_f64 v[36:37], v[36:37], 1.0
	v_cmp_eq_f64_e32 vcc_lo, 0x7ff00000, v[6:7]
	v_sub_nc_u32_e32 v112, 0, v148
	s_delay_alu instid0(VALU_DEP_1) | instskip(NEXT) | instid1(VALU_DEP_4)
	v_ldexp_f64 v[34:35], v[34:35], v112
	v_add_f64 v[36:37], v[48:49], v[36:37]
	s_delay_alu instid0(VALU_DEP_2) | instskip(SKIP_1) | instid1(VALU_DEP_3)
	v_add_f64 v[54:55], v[34:35], 1.0
	v_add_f64 v[129:130], v[34:35], -1.0
	v_ldexp_f64 v[36:37], v[36:37], v112
	s_delay_alu instid0(VALU_DEP_3) | instskip(NEXT) | instid1(VALU_DEP_3)
	v_add_f64 v[48:49], v[54:55], -1.0
	v_add_f64 v[131:132], v[129:130], 1.0
	s_delay_alu instid0(VALU_DEP_2) | instskip(NEXT) | instid1(VALU_DEP_2)
	v_add_f64 v[48:49], v[34:35], -v[48:49]
	v_add_f64 v[34:35], v[34:35], -v[131:132]
	s_delay_alu instid0(VALU_DEP_2) | instskip(NEXT) | instid1(VALU_DEP_2)
	v_add_f64 v[48:49], v[36:37], v[48:49]
	v_add_f64 v[34:35], v[36:37], v[34:35]
	s_delay_alu instid0(VALU_DEP_2) | instskip(NEXT) | instid1(VALU_DEP_2)
	v_add_f64 v[112:113], v[54:55], v[48:49]
	v_add_f64 v[131:132], v[129:130], v[34:35]
	s_delay_alu instid0(VALU_DEP_2) | instskip(SKIP_1) | instid1(VALU_DEP_2)
	v_rcp_f64_e32 v[114:115], v[112:113]
	v_add_f64 v[54:55], v[112:113], -v[54:55]
	v_add_f64 v[129:130], v[131:132], -v[129:130]
	s_delay_alu instid0(VALU_DEP_2) | instskip(SKIP_3) | instid1(VALU_DEP_2)
	v_add_f64 v[48:49], v[48:49], -v[54:55]
	s_waitcnt_depctr 0xfff
	v_fma_f64 v[133:134], -v[112:113], v[114:115], 1.0
	v_add_f64 v[34:35], v[34:35], -v[129:130]
	v_fma_f64 v[114:115], v[133:134], v[114:115], v[114:115]
	s_delay_alu instid0(VALU_DEP_1) | instskip(NEXT) | instid1(VALU_DEP_1)
	v_fma_f64 v[36:37], -v[112:113], v[114:115], 1.0
	v_fma_f64 v[36:37], v[36:37], v[114:115], v[114:115]
	s_delay_alu instid0(VALU_DEP_1) | instskip(NEXT) | instid1(VALU_DEP_1)
	v_mul_f64 v[114:115], v[131:132], v[36:37]
	v_mul_f64 v[133:134], v[112:113], v[114:115]
	s_delay_alu instid0(VALU_DEP_1) | instskip(NEXT) | instid1(VALU_DEP_1)
	v_fma_f64 v[54:55], v[114:115], v[112:113], -v[133:134]
	v_fma_f64 v[54:55], v[114:115], v[48:49], v[54:55]
	s_delay_alu instid0(VALU_DEP_1) | instskip(NEXT) | instid1(VALU_DEP_1)
	v_add_f64 v[144:145], v[133:134], v[54:55]
	v_add_f64 v[146:147], v[131:132], -v[144:145]
	v_add_f64 v[129:130], v[144:145], -v[133:134]
	s_delay_alu instid0(VALU_DEP_2) | instskip(NEXT) | instid1(VALU_DEP_2)
	v_add_f64 v[131:132], v[131:132], -v[146:147]
	v_add_f64 v[54:55], v[129:130], -v[54:55]
	s_delay_alu instid0(VALU_DEP_2) | instskip(NEXT) | instid1(VALU_DEP_1)
	v_add_f64 v[131:132], v[131:132], -v[144:145]
	v_add_f64 v[34:35], v[34:35], v[131:132]
	s_delay_alu instid0(VALU_DEP_1) | instskip(NEXT) | instid1(VALU_DEP_1)
	v_add_f64 v[34:35], v[54:55], v[34:35]
	v_add_f64 v[54:55], v[146:147], v[34:35]
	s_delay_alu instid0(VALU_DEP_1) | instskip(SKIP_1) | instid1(VALU_DEP_2)
	v_mul_f64 v[129:130], v[36:37], v[54:55]
	v_add_f64 v[144:145], v[146:147], -v[54:55]
	v_mul_f64 v[131:132], v[112:113], v[129:130]
	s_delay_alu instid0(VALU_DEP_2) | instskip(NEXT) | instid1(VALU_DEP_2)
	v_add_f64 v[34:35], v[34:35], v[144:145]
	v_fma_f64 v[112:113], v[129:130], v[112:113], -v[131:132]
	s_delay_alu instid0(VALU_DEP_1) | instskip(NEXT) | instid1(VALU_DEP_1)
	v_fma_f64 v[48:49], v[129:130], v[48:49], v[112:113]
	v_add_f64 v[112:113], v[131:132], v[48:49]
	s_delay_alu instid0(VALU_DEP_1) | instskip(SKIP_1) | instid1(VALU_DEP_2)
	v_add_f64 v[133:134], v[54:55], -v[112:113]
	v_add_f64 v[131:132], v[112:113], -v[131:132]
	;; [unrolled: 1-line block ×3, first 2 shown]
	s_delay_alu instid0(VALU_DEP_2) | instskip(NEXT) | instid1(VALU_DEP_2)
	v_add_f64 v[48:49], v[131:132], -v[48:49]
	v_add_f64 v[54:55], v[54:55], -v[112:113]
	s_delay_alu instid0(VALU_DEP_1) | instskip(SKIP_1) | instid1(VALU_DEP_2)
	v_add_f64 v[34:35], v[34:35], v[54:55]
	v_add_f64 v[54:55], v[114:115], v[129:130]
	;; [unrolled: 1-line block ×3, first 2 shown]
	s_delay_alu instid0(VALU_DEP_2) | instskip(NEXT) | instid1(VALU_DEP_2)
	v_add_f64 v[48:49], v[54:55], -v[114:115]
	v_add_f64 v[34:35], v[133:134], v[34:35]
	s_delay_alu instid0(VALU_DEP_2) | instskip(NEXT) | instid1(VALU_DEP_2)
	v_add_f64 v[48:49], v[129:130], -v[48:49]
	v_mul_f64 v[34:35], v[36:37], v[34:35]
	s_delay_alu instid0(VALU_DEP_1) | instskip(NEXT) | instid1(VALU_DEP_1)
	v_add_f64 v[34:35], v[48:49], v[34:35]
	v_add_f64 v[36:37], v[54:55], v[34:35]
	s_delay_alu instid0(VALU_DEP_1) | instskip(NEXT) | instid1(VALU_DEP_1)
	v_mul_f64 v[48:49], v[36:37], v[36:37]
	v_fma_f64 v[112:113], v[48:49], s[26:27], s[24:25]
	s_mov_b32 s24, 0xd7f4df2e
	s_mov_b32 s25, 0x3fc7474d
	v_mul_f64 v[114:115], v[36:37], v[48:49]
	s_delay_alu instid0(VALU_DEP_2)
	v_fma_f64 v[112:113], v[48:49], v[112:113], s[24:25]
	s_mov_b32 s24, 0x16291751
	s_mov_b32 s25, 0x3fcc71c0
	s_delay_alu instid0(VALU_DEP_1) | instid1(SALU_CYCLE_1)
	v_fma_f64 v[112:113], v[48:49], v[112:113], s[24:25]
	s_mov_b32 s24, 0x9b27acf1
	s_mov_b32 s25, 0x3fd24924
	s_delay_alu instid0(VALU_DEP_1) | instid1(SALU_CYCLE_1)
	;; [unrolled: 4-line block ×3, first 2 shown]
	v_fma_f64 v[112:113], v[48:49], v[112:113], s[24:25]
	s_delay_alu instid0(VALU_DEP_1) | instskip(SKIP_2) | instid1(VALU_DEP_3)
	v_fma_f64 v[48:49], v[48:49], v[112:113], s[18:19]
	v_ldexp_f64 v[112:113], v[36:37], 1
	v_add_f64 v[36:37], v[36:37], -v[54:55]
	v_mul_f64 v[48:49], v[114:115], v[48:49]
	v_cvt_f64_i32_e32 v[114:115], v148
	s_delay_alu instid0(VALU_DEP_3) | instskip(NEXT) | instid1(VALU_DEP_3)
	v_add_f64 v[34:35], v[34:35], -v[36:37]
	v_add_f64 v[54:55], v[112:113], v[48:49]
	s_delay_alu instid0(VALU_DEP_3) | instskip(NEXT) | instid1(VALU_DEP_3)
	v_mul_f64 v[129:130], v[114:115], s[2:3]
	v_ldexp_f64 v[34:35], v[34:35], 1
	s_delay_alu instid0(VALU_DEP_3) | instskip(NEXT) | instid1(VALU_DEP_3)
	v_add_f64 v[36:37], v[54:55], -v[112:113]
	v_fma_f64 v[112:113], v[114:115], s[2:3], -v[129:130]
	s_delay_alu instid0(VALU_DEP_2) | instskip(NEXT) | instid1(VALU_DEP_2)
	v_add_f64 v[36:37], v[48:49], -v[36:37]
	v_fma_f64 v[48:49], v[114:115], s[16:17], v[112:113]
	s_delay_alu instid0(VALU_DEP_2) | instskip(NEXT) | instid1(VALU_DEP_2)
	v_add_f64 v[34:35], v[34:35], v[36:37]
	v_add_f64 v[36:37], v[129:130], v[48:49]
	s_delay_alu instid0(VALU_DEP_2) | instskip(NEXT) | instid1(VALU_DEP_2)
	v_add_f64 v[112:113], v[54:55], v[34:35]
	v_add_f64 v[129:130], v[36:37], -v[129:130]
	s_delay_alu instid0(VALU_DEP_2) | instskip(SKIP_1) | instid1(VALU_DEP_3)
	v_add_f64 v[114:115], v[36:37], v[112:113]
	v_add_f64 v[54:55], v[112:113], -v[54:55]
	v_add_f64 v[48:49], v[48:49], -v[129:130]
	s_delay_alu instid0(VALU_DEP_3) | instskip(NEXT) | instid1(VALU_DEP_3)
	v_add_f64 v[131:132], v[114:115], -v[36:37]
	v_add_f64 v[34:35], v[34:35], -v[54:55]
	s_delay_alu instid0(VALU_DEP_2) | instskip(SKIP_1) | instid1(VALU_DEP_3)
	v_add_f64 v[133:134], v[114:115], -v[131:132]
	v_add_f64 v[54:55], v[112:113], -v[131:132]
	v_add_f64 v[112:113], v[48:49], v[34:35]
	s_delay_alu instid0(VALU_DEP_3) | instskip(NEXT) | instid1(VALU_DEP_1)
	v_add_f64 v[36:37], v[36:37], -v[133:134]
	v_add_f64 v[36:37], v[54:55], v[36:37]
	s_delay_alu instid0(VALU_DEP_3) | instskip(NEXT) | instid1(VALU_DEP_2)
	v_add_f64 v[54:55], v[112:113], -v[48:49]
	v_add_f64 v[36:37], v[112:113], v[36:37]
	s_delay_alu instid0(VALU_DEP_2) | instskip(SKIP_1) | instid1(VALU_DEP_3)
	v_add_f64 v[112:113], v[112:113], -v[54:55]
	v_add_f64 v[34:35], v[34:35], -v[54:55]
	v_add_f64 v[129:130], v[114:115], v[36:37]
	s_delay_alu instid0(VALU_DEP_3) | instskip(NEXT) | instid1(VALU_DEP_2)
	v_add_f64 v[48:49], v[48:49], -v[112:113]
	v_add_f64 v[54:55], v[129:130], -v[114:115]
	s_delay_alu instid0(VALU_DEP_2) | instskip(NEXT) | instid1(VALU_DEP_2)
	v_add_f64 v[34:35], v[34:35], v[48:49]
	v_add_f64 v[36:37], v[36:37], -v[54:55]
	s_delay_alu instid0(VALU_DEP_1) | instskip(NEXT) | instid1(VALU_DEP_1)
	v_add_f64 v[34:35], v[34:35], v[36:37]
	v_add_f64 v[34:35], v[129:130], v[34:35]
	s_delay_alu instid0(VALU_DEP_1) | instskip(SKIP_1) | instid1(VALU_DEP_2)
	v_dual_cndmask_b32 v35, v35, v7 :: v_dual_cndmask_b32 v34, v34, v6
	v_cmp_ngt_f64_e32 vcc_lo, -1.0, v[6:7]
	v_cndmask_b32_e32 v35, 0x7ff80000, v35, vcc_lo
	v_cmp_nge_f64_e32 vcc_lo, -1.0, v[6:7]
	s_delay_alu instid0(VALU_DEP_4) | instskip(SKIP_1) | instid1(VALU_DEP_4)
	v_cndmask_b32_e32 v34, 0, v34, vcc_lo
	v_cmp_neq_f64_e32 vcc_lo, -1.0, v[6:7]
	v_cndmask_b32_e32 v35, 0xfff00000, v35, vcc_lo
	s_delay_alu instid0(VALU_DEP_1)
	v_add_f64 v[6:7], v[32:33], v[34:35]
.LBB56_342:
	s_or_b32 exec_lo, exec_lo, s20
	s_delay_alu instid0(VALU_DEP_1) | instskip(SKIP_1) | instid1(VALU_DEP_2)
	v_max_f64 v[32:33], v[6:7], v[6:7]
	v_cmp_u_f64_e32 vcc_lo, v[6:7], v[6:7]
	v_min_f64 v[34:35], v[32:33], v[8:9]
	v_max_f64 v[8:9], v[32:33], v[8:9]
	s_delay_alu instid0(VALU_DEP_2) | instskip(NEXT) | instid1(VALU_DEP_2)
	v_dual_cndmask_b32 v32, v34, v6 :: v_dual_cndmask_b32 v33, v35, v7
	v_dual_cndmask_b32 v9, v9, v7 :: v_dual_cndmask_b32 v8, v8, v6
	s_delay_alu instid0(VALU_DEP_2) | instskip(NEXT) | instid1(VALU_DEP_3)
	v_cndmask_b32_e64 v34, v32, v100, s4
	v_cndmask_b32_e64 v35, v33, v101, s4
	s_delay_alu instid0(VALU_DEP_3) | instskip(NEXT) | instid1(VALU_DEP_4)
	v_cndmask_b32_e64 v33, v9, v101, s4
	v_cndmask_b32_e64 v32, v8, v100, s4
	v_dual_mov_b32 v9, v7 :: v_dual_mov_b32 v8, v6
	s_delay_alu instid0(VALU_DEP_4) | instskip(NEXT) | instid1(VALU_DEP_3)
	v_cmp_class_f64_e64 s1, v[34:35], 0x1f8
	v_cmp_neq_f64_e32 vcc_lo, v[34:35], v[32:33]
	s_delay_alu instid0(VALU_DEP_2) | instskip(NEXT) | instid1(SALU_CYCLE_1)
	s_or_b32 s1, vcc_lo, s1
	s_and_saveexec_b32 s4, s1
	s_cbranch_execz .LBB56_344
; %bb.343:
	v_add_f64 v[8:9], v[34:35], -v[32:33]
	s_mov_b32 s2, 0x652b82fe
	s_mov_b32 s3, 0x3ff71547
	s_mov_b32 s17, 0xbc7abc9e
	s_mov_b32 s16, 0x3b39803f
	s_mov_b32 s18, 0xfca7ab0c
	s_mov_b32 s20, 0x6a5dcb37
	s_mov_b32 s19, 0x3e928af3
	s_mov_b32 s21, 0x3e5ade15
	s_mov_b32 s24, 0xbf559e2b
	s_mov_b32 s25, 0x3fc3ab76
	s_delay_alu instid0(VALU_DEP_1) | instskip(SKIP_4) | instid1(VALU_DEP_3)
	v_mul_f64 v[34:35], v[8:9], s[2:3]
	s_mov_b32 s3, 0xbfe62e42
	s_mov_b32 s2, 0xfefa39ef
	v_cmp_nlt_f64_e32 vcc_lo, 0x40900000, v[8:9]
	v_cmp_ngt_f64_e64 s1, 0xc090cc00, v[8:9]
	v_rndne_f64_e32 v[34:35], v[34:35]
	s_delay_alu instid0(VALU_DEP_1) | instskip(SKIP_2) | instid1(VALU_DEP_2)
	v_fma_f64 v[36:37], v[34:35], s[2:3], v[8:9]
	v_cvt_i32_f64_e32 v54, v[34:35]
	s_mov_b32 s3, 0x3fe62e42
	v_fma_f64 v[36:37], v[34:35], s[16:17], v[36:37]
	s_mov_b32 s17, 0x3c7abc9e
	s_waitcnt lgkmcnt(0)
	s_delay_alu instid0(VALU_DEP_1) | instskip(SKIP_4) | instid1(VALU_DEP_1)
	v_fma_f64 v[48:49], v[36:37], s[20:21], s[18:19]
	s_mov_b32 s18, 0x623fde64
	s_mov_b32 s19, 0x3ec71dee
	;; [unrolled: 1-line block ×4, first 2 shown]
	v_fma_f64 v[48:49], v[36:37], v[48:49], s[18:19]
	s_mov_b32 s18, 0x7c89e6b0
	s_mov_b32 s19, 0x3efa0199
	s_delay_alu instid0(VALU_DEP_1) | instid1(SALU_CYCLE_1)
	v_fma_f64 v[48:49], v[36:37], v[48:49], s[18:19]
	s_mov_b32 s18, 0x14761f6e
	s_mov_b32 s19, 0x3f2a01a0
	s_delay_alu instid0(VALU_DEP_1) | instid1(SALU_CYCLE_1)
	;; [unrolled: 4-line block ×7, first 2 shown]
	v_fma_f64 v[48:49], v[36:37], v[48:49], s[18:19]
	s_mov_b32 s19, 0x3fe55555
	s_mov_b32 s18, 0x55555555
	s_delay_alu instid0(VALU_DEP_1) | instskip(NEXT) | instid1(VALU_DEP_1)
	v_fma_f64 v[48:49], v[36:37], v[48:49], 1.0
	v_fma_f64 v[34:35], v[36:37], v[48:49], 1.0
	s_delay_alu instid0(VALU_DEP_1) | instskip(NEXT) | instid1(VALU_DEP_1)
	v_ldexp_f64 v[34:35], v[34:35], v54
	v_cndmask_b32_e32 v35, 0x7ff00000, v35, vcc_lo
	s_and_b32 vcc_lo, s1, vcc_lo
	s_delay_alu instid0(VALU_DEP_1) | instskip(NEXT) | instid1(VALU_DEP_3)
	v_cndmask_b32_e64 v9, 0, v35, s1
	v_cndmask_b32_e32 v8, 0, v34, vcc_lo
	s_delay_alu instid0(VALU_DEP_1) | instskip(NEXT) | instid1(VALU_DEP_1)
	v_add_f64 v[34:35], v[8:9], 1.0
	v_frexp_mant_f64_e32 v[36:37], v[34:35]
	v_frexp_exp_i32_f64_e32 v54, v[34:35]
	v_add_f64 v[48:49], v[34:35], -1.0
	s_delay_alu instid0(VALU_DEP_3) | instskip(SKIP_1) | instid1(VALU_DEP_2)
	v_cmp_gt_f64_e32 vcc_lo, s[18:19], v[36:37]
	s_mov_b32 s18, 0x55555780
	v_add_f64 v[36:37], v[48:49], -v[34:35]
	v_add_f64 v[48:49], v[8:9], -v[48:49]
	v_subrev_co_ci_u32_e32 v146, vcc_lo, 0, v54, vcc_lo
	s_delay_alu instid0(VALU_DEP_3) | instskip(SKIP_1) | instid1(VALU_DEP_3)
	v_add_f64 v[36:37], v[36:37], 1.0
	v_cmp_eq_f64_e32 vcc_lo, 0x7ff00000, v[8:9]
	v_sub_nc_u32_e32 v100, 0, v146
	s_delay_alu instid0(VALU_DEP_1) | instskip(NEXT) | instid1(VALU_DEP_4)
	v_ldexp_f64 v[34:35], v[34:35], v100
	v_add_f64 v[36:37], v[48:49], v[36:37]
	s_delay_alu instid0(VALU_DEP_2) | instskip(SKIP_1) | instid1(VALU_DEP_3)
	v_add_f64 v[54:55], v[34:35], 1.0
	v_add_f64 v[114:115], v[34:35], -1.0
	v_ldexp_f64 v[36:37], v[36:37], v100
	s_delay_alu instid0(VALU_DEP_3) | instskip(NEXT) | instid1(VALU_DEP_3)
	v_add_f64 v[48:49], v[54:55], -1.0
	v_add_f64 v[129:130], v[114:115], 1.0
	s_delay_alu instid0(VALU_DEP_2) | instskip(NEXT) | instid1(VALU_DEP_2)
	v_add_f64 v[48:49], v[34:35], -v[48:49]
	v_add_f64 v[34:35], v[34:35], -v[129:130]
	s_delay_alu instid0(VALU_DEP_2) | instskip(NEXT) | instid1(VALU_DEP_2)
	v_add_f64 v[48:49], v[36:37], v[48:49]
	v_add_f64 v[34:35], v[36:37], v[34:35]
	s_delay_alu instid0(VALU_DEP_2) | instskip(NEXT) | instid1(VALU_DEP_2)
	v_add_f64 v[100:101], v[54:55], v[48:49]
	v_add_f64 v[129:130], v[114:115], v[34:35]
	s_delay_alu instid0(VALU_DEP_2) | instskip(SKIP_1) | instid1(VALU_DEP_2)
	v_rcp_f64_e32 v[112:113], v[100:101]
	v_add_f64 v[54:55], v[100:101], -v[54:55]
	v_add_f64 v[114:115], v[129:130], -v[114:115]
	s_delay_alu instid0(VALU_DEP_2) | instskip(SKIP_3) | instid1(VALU_DEP_2)
	v_add_f64 v[48:49], v[48:49], -v[54:55]
	s_waitcnt_depctr 0xfff
	v_fma_f64 v[131:132], -v[100:101], v[112:113], 1.0
	v_add_f64 v[34:35], v[34:35], -v[114:115]
	v_fma_f64 v[112:113], v[131:132], v[112:113], v[112:113]
	s_delay_alu instid0(VALU_DEP_1) | instskip(NEXT) | instid1(VALU_DEP_1)
	v_fma_f64 v[36:37], -v[100:101], v[112:113], 1.0
	v_fma_f64 v[36:37], v[36:37], v[112:113], v[112:113]
	s_delay_alu instid0(VALU_DEP_1) | instskip(NEXT) | instid1(VALU_DEP_1)
	v_mul_f64 v[112:113], v[129:130], v[36:37]
	v_mul_f64 v[131:132], v[100:101], v[112:113]
	s_delay_alu instid0(VALU_DEP_1) | instskip(NEXT) | instid1(VALU_DEP_1)
	v_fma_f64 v[54:55], v[112:113], v[100:101], -v[131:132]
	v_fma_f64 v[54:55], v[112:113], v[48:49], v[54:55]
	s_delay_alu instid0(VALU_DEP_1) | instskip(NEXT) | instid1(VALU_DEP_1)
	v_add_f64 v[133:134], v[131:132], v[54:55]
	v_add_f64 v[144:145], v[129:130], -v[133:134]
	v_add_f64 v[114:115], v[133:134], -v[131:132]
	s_delay_alu instid0(VALU_DEP_2) | instskip(NEXT) | instid1(VALU_DEP_2)
	v_add_f64 v[129:130], v[129:130], -v[144:145]
	v_add_f64 v[54:55], v[114:115], -v[54:55]
	s_delay_alu instid0(VALU_DEP_2) | instskip(NEXT) | instid1(VALU_DEP_1)
	v_add_f64 v[129:130], v[129:130], -v[133:134]
	v_add_f64 v[34:35], v[34:35], v[129:130]
	s_delay_alu instid0(VALU_DEP_1) | instskip(NEXT) | instid1(VALU_DEP_1)
	v_add_f64 v[34:35], v[54:55], v[34:35]
	v_add_f64 v[54:55], v[144:145], v[34:35]
	s_delay_alu instid0(VALU_DEP_1) | instskip(SKIP_1) | instid1(VALU_DEP_2)
	v_mul_f64 v[114:115], v[36:37], v[54:55]
	v_add_f64 v[133:134], v[144:145], -v[54:55]
	v_mul_f64 v[129:130], v[100:101], v[114:115]
	s_delay_alu instid0(VALU_DEP_2) | instskip(NEXT) | instid1(VALU_DEP_2)
	v_add_f64 v[34:35], v[34:35], v[133:134]
	v_fma_f64 v[100:101], v[114:115], v[100:101], -v[129:130]
	s_delay_alu instid0(VALU_DEP_1) | instskip(NEXT) | instid1(VALU_DEP_1)
	v_fma_f64 v[48:49], v[114:115], v[48:49], v[100:101]
	v_add_f64 v[100:101], v[129:130], v[48:49]
	s_delay_alu instid0(VALU_DEP_1) | instskip(SKIP_1) | instid1(VALU_DEP_2)
	v_add_f64 v[131:132], v[54:55], -v[100:101]
	v_add_f64 v[129:130], v[100:101], -v[129:130]
	;; [unrolled: 1-line block ×3, first 2 shown]
	s_delay_alu instid0(VALU_DEP_2) | instskip(NEXT) | instid1(VALU_DEP_2)
	v_add_f64 v[48:49], v[129:130], -v[48:49]
	v_add_f64 v[54:55], v[54:55], -v[100:101]
	s_delay_alu instid0(VALU_DEP_1) | instskip(SKIP_1) | instid1(VALU_DEP_2)
	v_add_f64 v[34:35], v[34:35], v[54:55]
	v_add_f64 v[54:55], v[112:113], v[114:115]
	;; [unrolled: 1-line block ×3, first 2 shown]
	s_delay_alu instid0(VALU_DEP_2) | instskip(NEXT) | instid1(VALU_DEP_2)
	v_add_f64 v[48:49], v[54:55], -v[112:113]
	v_add_f64 v[34:35], v[131:132], v[34:35]
	s_delay_alu instid0(VALU_DEP_2) | instskip(NEXT) | instid1(VALU_DEP_2)
	v_add_f64 v[48:49], v[114:115], -v[48:49]
	v_mul_f64 v[34:35], v[36:37], v[34:35]
	s_delay_alu instid0(VALU_DEP_1) | instskip(NEXT) | instid1(VALU_DEP_1)
	v_add_f64 v[34:35], v[48:49], v[34:35]
	v_add_f64 v[36:37], v[54:55], v[34:35]
	s_delay_alu instid0(VALU_DEP_1) | instskip(NEXT) | instid1(VALU_DEP_1)
	v_mul_f64 v[48:49], v[36:37], v[36:37]
	v_fma_f64 v[100:101], v[48:49], s[24:25], s[20:21]
	s_mov_b32 s20, 0xd7f4df2e
	s_mov_b32 s21, 0x3fc7474d
	v_mul_f64 v[112:113], v[36:37], v[48:49]
	s_delay_alu instid0(VALU_DEP_2)
	v_fma_f64 v[100:101], v[48:49], v[100:101], s[20:21]
	s_mov_b32 s20, 0x16291751
	s_mov_b32 s21, 0x3fcc71c0
	s_delay_alu instid0(VALU_DEP_1) | instid1(SALU_CYCLE_1)
	v_fma_f64 v[100:101], v[48:49], v[100:101], s[20:21]
	s_mov_b32 s20, 0x9b27acf1
	s_mov_b32 s21, 0x3fd24924
	s_delay_alu instid0(VALU_DEP_1) | instid1(SALU_CYCLE_1)
	;; [unrolled: 4-line block ×3, first 2 shown]
	v_fma_f64 v[100:101], v[48:49], v[100:101], s[20:21]
	s_delay_alu instid0(VALU_DEP_1) | instskip(SKIP_2) | instid1(VALU_DEP_3)
	v_fma_f64 v[48:49], v[48:49], v[100:101], s[18:19]
	v_ldexp_f64 v[100:101], v[36:37], 1
	v_add_f64 v[36:37], v[36:37], -v[54:55]
	v_mul_f64 v[48:49], v[112:113], v[48:49]
	v_cvt_f64_i32_e32 v[112:113], v146
	s_delay_alu instid0(VALU_DEP_3) | instskip(NEXT) | instid1(VALU_DEP_3)
	v_add_f64 v[34:35], v[34:35], -v[36:37]
	v_add_f64 v[54:55], v[100:101], v[48:49]
	s_delay_alu instid0(VALU_DEP_3) | instskip(NEXT) | instid1(VALU_DEP_3)
	v_mul_f64 v[114:115], v[112:113], s[2:3]
	v_ldexp_f64 v[34:35], v[34:35], 1
	s_delay_alu instid0(VALU_DEP_3) | instskip(NEXT) | instid1(VALU_DEP_3)
	v_add_f64 v[36:37], v[54:55], -v[100:101]
	v_fma_f64 v[100:101], v[112:113], s[2:3], -v[114:115]
	s_delay_alu instid0(VALU_DEP_2) | instskip(NEXT) | instid1(VALU_DEP_2)
	v_add_f64 v[36:37], v[48:49], -v[36:37]
	v_fma_f64 v[48:49], v[112:113], s[16:17], v[100:101]
	s_delay_alu instid0(VALU_DEP_2) | instskip(NEXT) | instid1(VALU_DEP_2)
	v_add_f64 v[34:35], v[34:35], v[36:37]
	v_add_f64 v[36:37], v[114:115], v[48:49]
	s_delay_alu instid0(VALU_DEP_2) | instskip(NEXT) | instid1(VALU_DEP_2)
	v_add_f64 v[100:101], v[54:55], v[34:35]
	v_add_f64 v[114:115], v[36:37], -v[114:115]
	s_delay_alu instid0(VALU_DEP_2) | instskip(SKIP_1) | instid1(VALU_DEP_3)
	v_add_f64 v[112:113], v[36:37], v[100:101]
	v_add_f64 v[54:55], v[100:101], -v[54:55]
	v_add_f64 v[48:49], v[48:49], -v[114:115]
	s_delay_alu instid0(VALU_DEP_3) | instskip(NEXT) | instid1(VALU_DEP_3)
	v_add_f64 v[129:130], v[112:113], -v[36:37]
	v_add_f64 v[34:35], v[34:35], -v[54:55]
	s_delay_alu instid0(VALU_DEP_2) | instskip(SKIP_1) | instid1(VALU_DEP_3)
	v_add_f64 v[131:132], v[112:113], -v[129:130]
	v_add_f64 v[54:55], v[100:101], -v[129:130]
	v_add_f64 v[100:101], v[48:49], v[34:35]
	s_delay_alu instid0(VALU_DEP_3) | instskip(NEXT) | instid1(VALU_DEP_1)
	v_add_f64 v[36:37], v[36:37], -v[131:132]
	v_add_f64 v[36:37], v[54:55], v[36:37]
	s_delay_alu instid0(VALU_DEP_3) | instskip(NEXT) | instid1(VALU_DEP_2)
	v_add_f64 v[54:55], v[100:101], -v[48:49]
	v_add_f64 v[36:37], v[100:101], v[36:37]
	s_delay_alu instid0(VALU_DEP_2) | instskip(SKIP_1) | instid1(VALU_DEP_3)
	v_add_f64 v[100:101], v[100:101], -v[54:55]
	v_add_f64 v[34:35], v[34:35], -v[54:55]
	v_add_f64 v[114:115], v[112:113], v[36:37]
	s_delay_alu instid0(VALU_DEP_3) | instskip(NEXT) | instid1(VALU_DEP_2)
	v_add_f64 v[48:49], v[48:49], -v[100:101]
	v_add_f64 v[54:55], v[114:115], -v[112:113]
	s_delay_alu instid0(VALU_DEP_2) | instskip(NEXT) | instid1(VALU_DEP_2)
	v_add_f64 v[34:35], v[34:35], v[48:49]
	v_add_f64 v[36:37], v[36:37], -v[54:55]
	s_delay_alu instid0(VALU_DEP_1) | instskip(NEXT) | instid1(VALU_DEP_1)
	v_add_f64 v[34:35], v[34:35], v[36:37]
	v_add_f64 v[34:35], v[114:115], v[34:35]
	s_delay_alu instid0(VALU_DEP_1) | instskip(SKIP_1) | instid1(VALU_DEP_2)
	v_dual_cndmask_b32 v35, v35, v9 :: v_dual_cndmask_b32 v34, v34, v8
	v_cmp_ngt_f64_e32 vcc_lo, -1.0, v[8:9]
	v_cndmask_b32_e32 v35, 0x7ff80000, v35, vcc_lo
	v_cmp_nge_f64_e32 vcc_lo, -1.0, v[8:9]
	s_delay_alu instid0(VALU_DEP_4) | instskip(SKIP_1) | instid1(VALU_DEP_4)
	v_cndmask_b32_e32 v34, 0, v34, vcc_lo
	v_cmp_neq_f64_e32 vcc_lo, -1.0, v[8:9]
	v_cndmask_b32_e32 v35, 0xfff00000, v35, vcc_lo
	s_delay_alu instid0(VALU_DEP_1)
	v_add_f64 v[8:9], v[32:33], v[34:35]
.LBB56_344:
	s_or_b32 exec_lo, exec_lo, s4
	s_delay_alu instid0(VALU_DEP_1) | instskip(SKIP_1) | instid1(VALU_DEP_2)
	v_max_f64 v[32:33], v[8:9], v[8:9]
	v_cmp_u_f64_e32 vcc_lo, v[8:9], v[8:9]
	v_min_f64 v[34:35], v[32:33], v[10:11]
	v_max_f64 v[10:11], v[32:33], v[10:11]
	s_delay_alu instid0(VALU_DEP_2) | instskip(NEXT) | instid1(VALU_DEP_2)
	v_dual_cndmask_b32 v32, v34, v8 :: v_dual_cndmask_b32 v33, v35, v9
	v_dual_cndmask_b32 v11, v11, v9 :: v_dual_cndmask_b32 v10, v10, v8
	s_delay_alu instid0(VALU_DEP_2) | instskip(NEXT) | instid1(VALU_DEP_3)
	v_cndmask_b32_e64 v34, v32, v102, s5
	v_cndmask_b32_e64 v35, v33, v103, s5
	s_delay_alu instid0(VALU_DEP_3) | instskip(NEXT) | instid1(VALU_DEP_4)
	v_cndmask_b32_e64 v33, v11, v103, s5
	v_cndmask_b32_e64 v32, v10, v102, s5
	v_dual_mov_b32 v11, v9 :: v_dual_mov_b32 v10, v8
	s_delay_alu instid0(VALU_DEP_4) | instskip(NEXT) | instid1(VALU_DEP_3)
	v_cmp_class_f64_e64 s1, v[34:35], 0x1f8
	v_cmp_neq_f64_e32 vcc_lo, v[34:35], v[32:33]
	s_delay_alu instid0(VALU_DEP_2) | instskip(NEXT) | instid1(SALU_CYCLE_1)
	s_or_b32 s1, vcc_lo, s1
	s_and_saveexec_b32 s18, s1
	s_cbranch_execz .LBB56_346
; %bb.345:
	v_add_f64 v[10:11], v[34:35], -v[32:33]
	s_mov_b32 s2, 0x652b82fe
	s_mov_b32 s3, 0x3ff71547
	;; [unrolled: 1-line block ×10, first 2 shown]
	s_delay_alu instid0(VALU_DEP_1) | instskip(SKIP_4) | instid1(VALU_DEP_3)
	v_mul_f64 v[34:35], v[10:11], s[2:3]
	s_mov_b32 s3, 0xbfe62e42
	s_mov_b32 s2, 0xfefa39ef
	v_cmp_nlt_f64_e32 vcc_lo, 0x40900000, v[10:11]
	v_cmp_ngt_f64_e64 s1, 0xc090cc00, v[10:11]
	v_rndne_f64_e32 v[34:35], v[34:35]
	s_delay_alu instid0(VALU_DEP_1) | instskip(SKIP_2) | instid1(VALU_DEP_2)
	v_fma_f64 v[36:37], v[34:35], s[2:3], v[10:11]
	v_cvt_i32_f64_e32 v54, v[34:35]
	s_mov_b32 s3, 0x3fe62e42
	v_fma_f64 v[36:37], v[34:35], s[4:5], v[36:37]
	s_mov_b32 s5, 0x3c7abc9e
	s_waitcnt lgkmcnt(0)
	s_delay_alu instid0(VALU_DEP_1) | instskip(SKIP_4) | instid1(VALU_DEP_1)
	v_fma_f64 v[48:49], v[36:37], s[20:21], s[16:17]
	s_mov_b32 s16, 0x623fde64
	s_mov_b32 s17, 0x3ec71dee
	;; [unrolled: 1-line block ×4, first 2 shown]
	v_fma_f64 v[48:49], v[36:37], v[48:49], s[16:17]
	s_mov_b32 s16, 0x7c89e6b0
	s_mov_b32 s17, 0x3efa0199
	s_delay_alu instid0(VALU_DEP_1) | instid1(SALU_CYCLE_1)
	v_fma_f64 v[48:49], v[36:37], v[48:49], s[16:17]
	s_mov_b32 s16, 0x14761f6e
	s_mov_b32 s17, 0x3f2a01a0
	s_delay_alu instid0(VALU_DEP_1) | instid1(SALU_CYCLE_1)
	;; [unrolled: 4-line block ×7, first 2 shown]
	v_fma_f64 v[48:49], v[36:37], v[48:49], s[16:17]
	s_mov_b32 s17, 0x3fe55555
	s_mov_b32 s16, 0x55555555
	s_delay_alu instid0(VALU_DEP_1) | instskip(NEXT) | instid1(VALU_DEP_1)
	v_fma_f64 v[48:49], v[36:37], v[48:49], 1.0
	v_fma_f64 v[34:35], v[36:37], v[48:49], 1.0
	s_delay_alu instid0(VALU_DEP_1) | instskip(NEXT) | instid1(VALU_DEP_1)
	v_ldexp_f64 v[34:35], v[34:35], v54
	v_cndmask_b32_e32 v35, 0x7ff00000, v35, vcc_lo
	s_and_b32 vcc_lo, s1, vcc_lo
	s_delay_alu instid0(VALU_DEP_1) | instskip(NEXT) | instid1(VALU_DEP_3)
	v_cndmask_b32_e64 v11, 0, v35, s1
	v_cndmask_b32_e32 v10, 0, v34, vcc_lo
	s_delay_alu instid0(VALU_DEP_1) | instskip(NEXT) | instid1(VALU_DEP_1)
	v_add_f64 v[34:35], v[10:11], 1.0
	v_frexp_mant_f64_e32 v[36:37], v[34:35]
	v_frexp_exp_i32_f64_e32 v54, v[34:35]
	v_add_f64 v[48:49], v[34:35], -1.0
	s_delay_alu instid0(VALU_DEP_3) | instskip(SKIP_1) | instid1(VALU_DEP_2)
	v_cmp_gt_f64_e32 vcc_lo, s[16:17], v[36:37]
	s_mov_b32 s16, 0x55555780
	v_add_f64 v[36:37], v[48:49], -v[34:35]
	v_add_f64 v[48:49], v[10:11], -v[48:49]
	v_subrev_co_ci_u32_e32 v144, vcc_lo, 0, v54, vcc_lo
	s_delay_alu instid0(VALU_DEP_3) | instskip(SKIP_1) | instid1(VALU_DEP_3)
	v_add_f64 v[36:37], v[36:37], 1.0
	v_cmp_eq_f64_e32 vcc_lo, 0x7ff00000, v[10:11]
	v_sub_nc_u32_e32 v100, 0, v144
	s_delay_alu instid0(VALU_DEP_1) | instskip(NEXT) | instid1(VALU_DEP_4)
	v_ldexp_f64 v[34:35], v[34:35], v100
	v_add_f64 v[36:37], v[48:49], v[36:37]
	s_delay_alu instid0(VALU_DEP_2) | instskip(SKIP_1) | instid1(VALU_DEP_3)
	v_add_f64 v[54:55], v[34:35], 1.0
	v_add_f64 v[112:113], v[34:35], -1.0
	v_ldexp_f64 v[36:37], v[36:37], v100
	s_delay_alu instid0(VALU_DEP_3) | instskip(NEXT) | instid1(VALU_DEP_3)
	v_add_f64 v[48:49], v[54:55], -1.0
	v_add_f64 v[114:115], v[112:113], 1.0
	s_delay_alu instid0(VALU_DEP_2) | instskip(NEXT) | instid1(VALU_DEP_2)
	v_add_f64 v[48:49], v[34:35], -v[48:49]
	v_add_f64 v[34:35], v[34:35], -v[114:115]
	s_delay_alu instid0(VALU_DEP_2) | instskip(NEXT) | instid1(VALU_DEP_2)
	v_add_f64 v[48:49], v[36:37], v[48:49]
	v_add_f64 v[34:35], v[36:37], v[34:35]
	s_delay_alu instid0(VALU_DEP_2) | instskip(NEXT) | instid1(VALU_DEP_2)
	v_add_f64 v[100:101], v[54:55], v[48:49]
	v_add_f64 v[114:115], v[112:113], v[34:35]
	s_delay_alu instid0(VALU_DEP_2) | instskip(SKIP_1) | instid1(VALU_DEP_2)
	v_rcp_f64_e32 v[102:103], v[100:101]
	v_add_f64 v[54:55], v[100:101], -v[54:55]
	v_add_f64 v[112:113], v[114:115], -v[112:113]
	s_delay_alu instid0(VALU_DEP_2) | instskip(SKIP_3) | instid1(VALU_DEP_2)
	v_add_f64 v[48:49], v[48:49], -v[54:55]
	s_waitcnt_depctr 0xfff
	v_fma_f64 v[129:130], -v[100:101], v[102:103], 1.0
	v_add_f64 v[34:35], v[34:35], -v[112:113]
	v_fma_f64 v[102:103], v[129:130], v[102:103], v[102:103]
	s_delay_alu instid0(VALU_DEP_1) | instskip(NEXT) | instid1(VALU_DEP_1)
	v_fma_f64 v[36:37], -v[100:101], v[102:103], 1.0
	v_fma_f64 v[36:37], v[36:37], v[102:103], v[102:103]
	s_delay_alu instid0(VALU_DEP_1) | instskip(NEXT) | instid1(VALU_DEP_1)
	v_mul_f64 v[102:103], v[114:115], v[36:37]
	v_mul_f64 v[129:130], v[100:101], v[102:103]
	s_delay_alu instid0(VALU_DEP_1) | instskip(NEXT) | instid1(VALU_DEP_1)
	v_fma_f64 v[54:55], v[102:103], v[100:101], -v[129:130]
	v_fma_f64 v[54:55], v[102:103], v[48:49], v[54:55]
	s_delay_alu instid0(VALU_DEP_1) | instskip(NEXT) | instid1(VALU_DEP_1)
	v_add_f64 v[131:132], v[129:130], v[54:55]
	v_add_f64 v[133:134], v[114:115], -v[131:132]
	v_add_f64 v[112:113], v[131:132], -v[129:130]
	s_delay_alu instid0(VALU_DEP_2) | instskip(NEXT) | instid1(VALU_DEP_2)
	v_add_f64 v[114:115], v[114:115], -v[133:134]
	v_add_f64 v[54:55], v[112:113], -v[54:55]
	s_delay_alu instid0(VALU_DEP_2) | instskip(NEXT) | instid1(VALU_DEP_1)
	v_add_f64 v[114:115], v[114:115], -v[131:132]
	v_add_f64 v[34:35], v[34:35], v[114:115]
	s_delay_alu instid0(VALU_DEP_1) | instskip(NEXT) | instid1(VALU_DEP_1)
	v_add_f64 v[34:35], v[54:55], v[34:35]
	v_add_f64 v[54:55], v[133:134], v[34:35]
	s_delay_alu instid0(VALU_DEP_1) | instskip(SKIP_1) | instid1(VALU_DEP_2)
	v_mul_f64 v[112:113], v[36:37], v[54:55]
	v_add_f64 v[131:132], v[133:134], -v[54:55]
	v_mul_f64 v[114:115], v[100:101], v[112:113]
	s_delay_alu instid0(VALU_DEP_2) | instskip(NEXT) | instid1(VALU_DEP_2)
	v_add_f64 v[34:35], v[34:35], v[131:132]
	v_fma_f64 v[100:101], v[112:113], v[100:101], -v[114:115]
	s_delay_alu instid0(VALU_DEP_1) | instskip(NEXT) | instid1(VALU_DEP_1)
	v_fma_f64 v[48:49], v[112:113], v[48:49], v[100:101]
	v_add_f64 v[100:101], v[114:115], v[48:49]
	s_delay_alu instid0(VALU_DEP_1) | instskip(SKIP_1) | instid1(VALU_DEP_2)
	v_add_f64 v[129:130], v[54:55], -v[100:101]
	v_add_f64 v[114:115], v[100:101], -v[114:115]
	;; [unrolled: 1-line block ×3, first 2 shown]
	s_delay_alu instid0(VALU_DEP_2) | instskip(NEXT) | instid1(VALU_DEP_2)
	v_add_f64 v[48:49], v[114:115], -v[48:49]
	v_add_f64 v[54:55], v[54:55], -v[100:101]
	s_delay_alu instid0(VALU_DEP_1) | instskip(SKIP_1) | instid1(VALU_DEP_2)
	v_add_f64 v[34:35], v[34:35], v[54:55]
	v_add_f64 v[54:55], v[102:103], v[112:113]
	;; [unrolled: 1-line block ×3, first 2 shown]
	s_delay_alu instid0(VALU_DEP_2) | instskip(NEXT) | instid1(VALU_DEP_2)
	v_add_f64 v[48:49], v[54:55], -v[102:103]
	v_add_f64 v[34:35], v[129:130], v[34:35]
	s_delay_alu instid0(VALU_DEP_2) | instskip(NEXT) | instid1(VALU_DEP_2)
	v_add_f64 v[48:49], v[112:113], -v[48:49]
	v_mul_f64 v[34:35], v[36:37], v[34:35]
	s_delay_alu instid0(VALU_DEP_1) | instskip(NEXT) | instid1(VALU_DEP_1)
	v_add_f64 v[34:35], v[48:49], v[34:35]
	v_add_f64 v[36:37], v[54:55], v[34:35]
	s_delay_alu instid0(VALU_DEP_1) | instskip(NEXT) | instid1(VALU_DEP_1)
	v_mul_f64 v[48:49], v[36:37], v[36:37]
	v_fma_f64 v[100:101], v[48:49], s[24:25], s[20:21]
	s_mov_b32 s20, 0xd7f4df2e
	s_mov_b32 s21, 0x3fc7474d
	v_mul_f64 v[102:103], v[36:37], v[48:49]
	s_delay_alu instid0(VALU_DEP_2)
	v_fma_f64 v[100:101], v[48:49], v[100:101], s[20:21]
	s_mov_b32 s20, 0x16291751
	s_mov_b32 s21, 0x3fcc71c0
	s_delay_alu instid0(VALU_DEP_1) | instid1(SALU_CYCLE_1)
	v_fma_f64 v[100:101], v[48:49], v[100:101], s[20:21]
	s_mov_b32 s20, 0x9b27acf1
	s_mov_b32 s21, 0x3fd24924
	s_delay_alu instid0(VALU_DEP_1) | instid1(SALU_CYCLE_1)
	;; [unrolled: 4-line block ×3, first 2 shown]
	v_fma_f64 v[100:101], v[48:49], v[100:101], s[20:21]
	s_delay_alu instid0(VALU_DEP_1) | instskip(SKIP_2) | instid1(VALU_DEP_3)
	v_fma_f64 v[48:49], v[48:49], v[100:101], s[16:17]
	v_ldexp_f64 v[100:101], v[36:37], 1
	v_add_f64 v[36:37], v[36:37], -v[54:55]
	v_mul_f64 v[48:49], v[102:103], v[48:49]
	v_cvt_f64_i32_e32 v[102:103], v144
	s_delay_alu instid0(VALU_DEP_3) | instskip(NEXT) | instid1(VALU_DEP_3)
	v_add_f64 v[34:35], v[34:35], -v[36:37]
	v_add_f64 v[54:55], v[100:101], v[48:49]
	s_delay_alu instid0(VALU_DEP_3) | instskip(NEXT) | instid1(VALU_DEP_3)
	v_mul_f64 v[112:113], v[102:103], s[2:3]
	v_ldexp_f64 v[34:35], v[34:35], 1
	s_delay_alu instid0(VALU_DEP_3) | instskip(NEXT) | instid1(VALU_DEP_3)
	v_add_f64 v[36:37], v[54:55], -v[100:101]
	v_fma_f64 v[100:101], v[102:103], s[2:3], -v[112:113]
	s_delay_alu instid0(VALU_DEP_2) | instskip(NEXT) | instid1(VALU_DEP_2)
	v_add_f64 v[36:37], v[48:49], -v[36:37]
	v_fma_f64 v[48:49], v[102:103], s[4:5], v[100:101]
	s_delay_alu instid0(VALU_DEP_2) | instskip(NEXT) | instid1(VALU_DEP_2)
	v_add_f64 v[34:35], v[34:35], v[36:37]
	v_add_f64 v[36:37], v[112:113], v[48:49]
	s_delay_alu instid0(VALU_DEP_2) | instskip(NEXT) | instid1(VALU_DEP_2)
	v_add_f64 v[100:101], v[54:55], v[34:35]
	v_add_f64 v[112:113], v[36:37], -v[112:113]
	s_delay_alu instid0(VALU_DEP_2) | instskip(SKIP_1) | instid1(VALU_DEP_3)
	v_add_f64 v[102:103], v[36:37], v[100:101]
	v_add_f64 v[54:55], v[100:101], -v[54:55]
	v_add_f64 v[48:49], v[48:49], -v[112:113]
	s_delay_alu instid0(VALU_DEP_3) | instskip(NEXT) | instid1(VALU_DEP_3)
	v_add_f64 v[114:115], v[102:103], -v[36:37]
	v_add_f64 v[34:35], v[34:35], -v[54:55]
	s_delay_alu instid0(VALU_DEP_2) | instskip(SKIP_1) | instid1(VALU_DEP_3)
	v_add_f64 v[129:130], v[102:103], -v[114:115]
	v_add_f64 v[54:55], v[100:101], -v[114:115]
	v_add_f64 v[100:101], v[48:49], v[34:35]
	s_delay_alu instid0(VALU_DEP_3) | instskip(NEXT) | instid1(VALU_DEP_1)
	v_add_f64 v[36:37], v[36:37], -v[129:130]
	v_add_f64 v[36:37], v[54:55], v[36:37]
	s_delay_alu instid0(VALU_DEP_3) | instskip(NEXT) | instid1(VALU_DEP_2)
	v_add_f64 v[54:55], v[100:101], -v[48:49]
	v_add_f64 v[36:37], v[100:101], v[36:37]
	s_delay_alu instid0(VALU_DEP_2) | instskip(SKIP_1) | instid1(VALU_DEP_3)
	v_add_f64 v[100:101], v[100:101], -v[54:55]
	v_add_f64 v[34:35], v[34:35], -v[54:55]
	v_add_f64 v[112:113], v[102:103], v[36:37]
	s_delay_alu instid0(VALU_DEP_3) | instskip(NEXT) | instid1(VALU_DEP_2)
	v_add_f64 v[48:49], v[48:49], -v[100:101]
	v_add_f64 v[54:55], v[112:113], -v[102:103]
	s_delay_alu instid0(VALU_DEP_2) | instskip(NEXT) | instid1(VALU_DEP_2)
	v_add_f64 v[34:35], v[34:35], v[48:49]
	v_add_f64 v[36:37], v[36:37], -v[54:55]
	s_delay_alu instid0(VALU_DEP_1) | instskip(NEXT) | instid1(VALU_DEP_1)
	v_add_f64 v[34:35], v[34:35], v[36:37]
	v_add_f64 v[34:35], v[112:113], v[34:35]
	s_delay_alu instid0(VALU_DEP_1) | instskip(SKIP_1) | instid1(VALU_DEP_2)
	v_dual_cndmask_b32 v35, v35, v11 :: v_dual_cndmask_b32 v34, v34, v10
	v_cmp_ngt_f64_e32 vcc_lo, -1.0, v[10:11]
	v_cndmask_b32_e32 v35, 0x7ff80000, v35, vcc_lo
	v_cmp_nge_f64_e32 vcc_lo, -1.0, v[10:11]
	s_delay_alu instid0(VALU_DEP_4) | instskip(SKIP_1) | instid1(VALU_DEP_4)
	v_cndmask_b32_e32 v34, 0, v34, vcc_lo
	v_cmp_neq_f64_e32 vcc_lo, -1.0, v[10:11]
	v_cndmask_b32_e32 v35, 0xfff00000, v35, vcc_lo
	s_delay_alu instid0(VALU_DEP_1)
	v_add_f64 v[10:11], v[32:33], v[34:35]
.LBB56_346:
	s_or_b32 exec_lo, exec_lo, s18
	s_delay_alu instid0(VALU_DEP_1) | instskip(SKIP_1) | instid1(VALU_DEP_2)
	v_max_f64 v[32:33], v[10:11], v[10:11]
	v_cmp_u_f64_e32 vcc_lo, v[10:11], v[10:11]
	v_min_f64 v[34:35], v[32:33], v[12:13]
	v_max_f64 v[12:13], v[32:33], v[12:13]
	s_delay_alu instid0(VALU_DEP_2) | instskip(NEXT) | instid1(VALU_DEP_2)
	v_dual_cndmask_b32 v32, v34, v10 :: v_dual_cndmask_b32 v33, v35, v11
	v_dual_cndmask_b32 v13, v13, v11 :: v_dual_cndmask_b32 v12, v12, v10
	s_delay_alu instid0(VALU_DEP_2) | instskip(NEXT) | instid1(VALU_DEP_3)
	v_cndmask_b32_e64 v34, v32, v96, s6
	v_cndmask_b32_e64 v35, v33, v97, s6
	s_delay_alu instid0(VALU_DEP_3) | instskip(NEXT) | instid1(VALU_DEP_4)
	v_cndmask_b32_e64 v33, v13, v97, s6
	v_cndmask_b32_e64 v32, v12, v96, s6
	v_dual_mov_b32 v13, v11 :: v_dual_mov_b32 v12, v10
	s_delay_alu instid0(VALU_DEP_4) | instskip(NEXT) | instid1(VALU_DEP_3)
	v_cmp_class_f64_e64 s1, v[34:35], 0x1f8
	v_cmp_neq_f64_e32 vcc_lo, v[34:35], v[32:33]
	s_delay_alu instid0(VALU_DEP_2) | instskip(NEXT) | instid1(SALU_CYCLE_1)
	s_or_b32 s1, vcc_lo, s1
	s_and_saveexec_b32 s6, s1
	s_cbranch_execz .LBB56_348
; %bb.347:
	v_add_f64 v[12:13], v[34:35], -v[32:33]
	s_mov_b32 s2, 0x652b82fe
	s_mov_b32 s3, 0x3ff71547
	;; [unrolled: 1-line block ×10, first 2 shown]
	s_delay_alu instid0(VALU_DEP_1) | instskip(SKIP_4) | instid1(VALU_DEP_3)
	v_mul_f64 v[34:35], v[12:13], s[2:3]
	s_mov_b32 s3, 0xbfe62e42
	s_mov_b32 s2, 0xfefa39ef
	v_cmp_nlt_f64_e32 vcc_lo, 0x40900000, v[12:13]
	v_cmp_ngt_f64_e64 s1, 0xc090cc00, v[12:13]
	v_rndne_f64_e32 v[34:35], v[34:35]
	s_delay_alu instid0(VALU_DEP_1) | instskip(SKIP_2) | instid1(VALU_DEP_2)
	v_fma_f64 v[36:37], v[34:35], s[2:3], v[12:13]
	v_cvt_i32_f64_e32 v54, v[34:35]
	s_mov_b32 s3, 0x3fe62e42
	v_fma_f64 v[36:37], v[34:35], s[4:5], v[36:37]
	s_mov_b32 s5, 0x3c7abc9e
	s_waitcnt lgkmcnt(0)
	s_delay_alu instid0(VALU_DEP_1) | instskip(SKIP_4) | instid1(VALU_DEP_1)
	v_fma_f64 v[48:49], v[36:37], s[18:19], s[16:17]
	s_mov_b32 s16, 0x623fde64
	s_mov_b32 s17, 0x3ec71dee
	;; [unrolled: 1-line block ×4, first 2 shown]
	v_fma_f64 v[48:49], v[36:37], v[48:49], s[16:17]
	s_mov_b32 s16, 0x7c89e6b0
	s_mov_b32 s17, 0x3efa0199
	s_delay_alu instid0(VALU_DEP_1) | instid1(SALU_CYCLE_1)
	v_fma_f64 v[48:49], v[36:37], v[48:49], s[16:17]
	s_mov_b32 s16, 0x14761f6e
	s_mov_b32 s17, 0x3f2a01a0
	s_delay_alu instid0(VALU_DEP_1) | instid1(SALU_CYCLE_1)
	;; [unrolled: 4-line block ×7, first 2 shown]
	v_fma_f64 v[48:49], v[36:37], v[48:49], s[16:17]
	s_mov_b32 s17, 0x3fe55555
	s_mov_b32 s16, 0x55555555
	s_delay_alu instid0(VALU_DEP_1) | instskip(NEXT) | instid1(VALU_DEP_1)
	v_fma_f64 v[48:49], v[36:37], v[48:49], 1.0
	v_fma_f64 v[34:35], v[36:37], v[48:49], 1.0
	s_delay_alu instid0(VALU_DEP_1) | instskip(NEXT) | instid1(VALU_DEP_1)
	v_ldexp_f64 v[34:35], v[34:35], v54
	v_cndmask_b32_e32 v35, 0x7ff00000, v35, vcc_lo
	s_and_b32 vcc_lo, s1, vcc_lo
	s_delay_alu instid0(VALU_DEP_1) | instskip(NEXT) | instid1(VALU_DEP_3)
	v_cndmask_b32_e64 v13, 0, v35, s1
	v_cndmask_b32_e32 v12, 0, v34, vcc_lo
	s_delay_alu instid0(VALU_DEP_1) | instskip(NEXT) | instid1(VALU_DEP_1)
	v_add_f64 v[34:35], v[12:13], 1.0
	v_frexp_mant_f64_e32 v[36:37], v[34:35]
	v_frexp_exp_i32_f64_e32 v54, v[34:35]
	v_add_f64 v[48:49], v[34:35], -1.0
	s_delay_alu instid0(VALU_DEP_3) | instskip(SKIP_1) | instid1(VALU_DEP_2)
	v_cmp_gt_f64_e32 vcc_lo, s[16:17], v[36:37]
	s_mov_b32 s16, 0x55555780
	v_add_f64 v[36:37], v[48:49], -v[34:35]
	v_add_f64 v[48:49], v[12:13], -v[48:49]
	v_subrev_co_ci_u32_e32 v133, vcc_lo, 0, v54, vcc_lo
	s_delay_alu instid0(VALU_DEP_3) | instskip(SKIP_1) | instid1(VALU_DEP_3)
	v_add_f64 v[36:37], v[36:37], 1.0
	v_cmp_eq_f64_e32 vcc_lo, 0x7ff00000, v[12:13]
	v_sub_nc_u32_e32 v96, 0, v133
	s_delay_alu instid0(VALU_DEP_1) | instskip(NEXT) | instid1(VALU_DEP_4)
	v_ldexp_f64 v[34:35], v[34:35], v96
	v_add_f64 v[36:37], v[48:49], v[36:37]
	s_delay_alu instid0(VALU_DEP_2) | instskip(SKIP_1) | instid1(VALU_DEP_3)
	v_add_f64 v[54:55], v[34:35], 1.0
	v_add_f64 v[102:103], v[34:35], -1.0
	v_ldexp_f64 v[36:37], v[36:37], v96
	s_delay_alu instid0(VALU_DEP_3) | instskip(NEXT) | instid1(VALU_DEP_3)
	v_add_f64 v[48:49], v[54:55], -1.0
	v_add_f64 v[112:113], v[102:103], 1.0
	s_delay_alu instid0(VALU_DEP_2) | instskip(NEXT) | instid1(VALU_DEP_2)
	v_add_f64 v[48:49], v[34:35], -v[48:49]
	v_add_f64 v[34:35], v[34:35], -v[112:113]
	s_delay_alu instid0(VALU_DEP_2) | instskip(NEXT) | instid1(VALU_DEP_2)
	v_add_f64 v[48:49], v[36:37], v[48:49]
	v_add_f64 v[34:35], v[36:37], v[34:35]
	s_delay_alu instid0(VALU_DEP_2) | instskip(NEXT) | instid1(VALU_DEP_2)
	v_add_f64 v[96:97], v[54:55], v[48:49]
	v_add_f64 v[112:113], v[102:103], v[34:35]
	s_delay_alu instid0(VALU_DEP_2) | instskip(SKIP_1) | instid1(VALU_DEP_2)
	v_rcp_f64_e32 v[100:101], v[96:97]
	v_add_f64 v[54:55], v[96:97], -v[54:55]
	v_add_f64 v[102:103], v[112:113], -v[102:103]
	s_delay_alu instid0(VALU_DEP_2) | instskip(SKIP_3) | instid1(VALU_DEP_2)
	v_add_f64 v[48:49], v[48:49], -v[54:55]
	s_waitcnt_depctr 0xfff
	v_fma_f64 v[114:115], -v[96:97], v[100:101], 1.0
	v_add_f64 v[34:35], v[34:35], -v[102:103]
	v_fma_f64 v[100:101], v[114:115], v[100:101], v[100:101]
	s_delay_alu instid0(VALU_DEP_1) | instskip(NEXT) | instid1(VALU_DEP_1)
	v_fma_f64 v[36:37], -v[96:97], v[100:101], 1.0
	v_fma_f64 v[36:37], v[36:37], v[100:101], v[100:101]
	s_delay_alu instid0(VALU_DEP_1) | instskip(NEXT) | instid1(VALU_DEP_1)
	v_mul_f64 v[100:101], v[112:113], v[36:37]
	v_mul_f64 v[114:115], v[96:97], v[100:101]
	s_delay_alu instid0(VALU_DEP_1) | instskip(NEXT) | instid1(VALU_DEP_1)
	v_fma_f64 v[54:55], v[100:101], v[96:97], -v[114:115]
	v_fma_f64 v[54:55], v[100:101], v[48:49], v[54:55]
	s_delay_alu instid0(VALU_DEP_1) | instskip(NEXT) | instid1(VALU_DEP_1)
	v_add_f64 v[129:130], v[114:115], v[54:55]
	v_add_f64 v[131:132], v[112:113], -v[129:130]
	v_add_f64 v[102:103], v[129:130], -v[114:115]
	s_delay_alu instid0(VALU_DEP_2) | instskip(NEXT) | instid1(VALU_DEP_2)
	v_add_f64 v[112:113], v[112:113], -v[131:132]
	v_add_f64 v[54:55], v[102:103], -v[54:55]
	s_delay_alu instid0(VALU_DEP_2) | instskip(NEXT) | instid1(VALU_DEP_1)
	v_add_f64 v[112:113], v[112:113], -v[129:130]
	v_add_f64 v[34:35], v[34:35], v[112:113]
	s_delay_alu instid0(VALU_DEP_1) | instskip(NEXT) | instid1(VALU_DEP_1)
	v_add_f64 v[34:35], v[54:55], v[34:35]
	v_add_f64 v[54:55], v[131:132], v[34:35]
	s_delay_alu instid0(VALU_DEP_1) | instskip(SKIP_1) | instid1(VALU_DEP_2)
	v_mul_f64 v[102:103], v[36:37], v[54:55]
	v_add_f64 v[129:130], v[131:132], -v[54:55]
	v_mul_f64 v[112:113], v[96:97], v[102:103]
	s_delay_alu instid0(VALU_DEP_2) | instskip(NEXT) | instid1(VALU_DEP_2)
	v_add_f64 v[34:35], v[34:35], v[129:130]
	v_fma_f64 v[96:97], v[102:103], v[96:97], -v[112:113]
	s_delay_alu instid0(VALU_DEP_1) | instskip(NEXT) | instid1(VALU_DEP_1)
	v_fma_f64 v[48:49], v[102:103], v[48:49], v[96:97]
	v_add_f64 v[96:97], v[112:113], v[48:49]
	s_delay_alu instid0(VALU_DEP_1) | instskip(SKIP_1) | instid1(VALU_DEP_2)
	v_add_f64 v[114:115], v[54:55], -v[96:97]
	v_add_f64 v[112:113], v[96:97], -v[112:113]
	;; [unrolled: 1-line block ×3, first 2 shown]
	s_delay_alu instid0(VALU_DEP_2) | instskip(NEXT) | instid1(VALU_DEP_2)
	v_add_f64 v[48:49], v[112:113], -v[48:49]
	v_add_f64 v[54:55], v[54:55], -v[96:97]
	s_delay_alu instid0(VALU_DEP_1) | instskip(SKIP_1) | instid1(VALU_DEP_2)
	v_add_f64 v[34:35], v[34:35], v[54:55]
	v_add_f64 v[54:55], v[100:101], v[102:103]
	;; [unrolled: 1-line block ×3, first 2 shown]
	s_delay_alu instid0(VALU_DEP_2) | instskip(NEXT) | instid1(VALU_DEP_2)
	v_add_f64 v[48:49], v[54:55], -v[100:101]
	v_add_f64 v[34:35], v[114:115], v[34:35]
	s_delay_alu instid0(VALU_DEP_2) | instskip(NEXT) | instid1(VALU_DEP_2)
	v_add_f64 v[48:49], v[102:103], -v[48:49]
	v_mul_f64 v[34:35], v[36:37], v[34:35]
	s_delay_alu instid0(VALU_DEP_1) | instskip(NEXT) | instid1(VALU_DEP_1)
	v_add_f64 v[34:35], v[48:49], v[34:35]
	v_add_f64 v[36:37], v[54:55], v[34:35]
	s_delay_alu instid0(VALU_DEP_1) | instskip(NEXT) | instid1(VALU_DEP_1)
	v_mul_f64 v[48:49], v[36:37], v[36:37]
	v_fma_f64 v[96:97], v[48:49], s[20:21], s[18:19]
	s_mov_b32 s18, 0xd7f4df2e
	s_mov_b32 s19, 0x3fc7474d
	v_mul_f64 v[100:101], v[36:37], v[48:49]
	s_delay_alu instid0(VALU_DEP_2)
	v_fma_f64 v[96:97], v[48:49], v[96:97], s[18:19]
	s_mov_b32 s18, 0x16291751
	s_mov_b32 s19, 0x3fcc71c0
	s_delay_alu instid0(VALU_DEP_1) | instid1(SALU_CYCLE_1)
	v_fma_f64 v[96:97], v[48:49], v[96:97], s[18:19]
	s_mov_b32 s18, 0x9b27acf1
	s_mov_b32 s19, 0x3fd24924
	s_delay_alu instid0(VALU_DEP_1) | instid1(SALU_CYCLE_1)
	;; [unrolled: 4-line block ×3, first 2 shown]
	v_fma_f64 v[96:97], v[48:49], v[96:97], s[18:19]
	s_delay_alu instid0(VALU_DEP_1) | instskip(SKIP_2) | instid1(VALU_DEP_3)
	v_fma_f64 v[48:49], v[48:49], v[96:97], s[16:17]
	v_ldexp_f64 v[96:97], v[36:37], 1
	v_add_f64 v[36:37], v[36:37], -v[54:55]
	v_mul_f64 v[48:49], v[100:101], v[48:49]
	v_cvt_f64_i32_e32 v[100:101], v133
	s_delay_alu instid0(VALU_DEP_3) | instskip(NEXT) | instid1(VALU_DEP_3)
	v_add_f64 v[34:35], v[34:35], -v[36:37]
	v_add_f64 v[54:55], v[96:97], v[48:49]
	s_delay_alu instid0(VALU_DEP_3) | instskip(NEXT) | instid1(VALU_DEP_3)
	v_mul_f64 v[102:103], v[100:101], s[2:3]
	v_ldexp_f64 v[34:35], v[34:35], 1
	s_delay_alu instid0(VALU_DEP_3) | instskip(NEXT) | instid1(VALU_DEP_3)
	v_add_f64 v[36:37], v[54:55], -v[96:97]
	v_fma_f64 v[96:97], v[100:101], s[2:3], -v[102:103]
	s_delay_alu instid0(VALU_DEP_2) | instskip(NEXT) | instid1(VALU_DEP_2)
	v_add_f64 v[36:37], v[48:49], -v[36:37]
	v_fma_f64 v[48:49], v[100:101], s[4:5], v[96:97]
	s_delay_alu instid0(VALU_DEP_2) | instskip(NEXT) | instid1(VALU_DEP_2)
	v_add_f64 v[34:35], v[34:35], v[36:37]
	v_add_f64 v[36:37], v[102:103], v[48:49]
	s_delay_alu instid0(VALU_DEP_2) | instskip(NEXT) | instid1(VALU_DEP_2)
	v_add_f64 v[96:97], v[54:55], v[34:35]
	v_add_f64 v[102:103], v[36:37], -v[102:103]
	s_delay_alu instid0(VALU_DEP_2) | instskip(SKIP_1) | instid1(VALU_DEP_3)
	v_add_f64 v[100:101], v[36:37], v[96:97]
	v_add_f64 v[54:55], v[96:97], -v[54:55]
	v_add_f64 v[48:49], v[48:49], -v[102:103]
	s_delay_alu instid0(VALU_DEP_3) | instskip(NEXT) | instid1(VALU_DEP_3)
	v_add_f64 v[112:113], v[100:101], -v[36:37]
	v_add_f64 v[34:35], v[34:35], -v[54:55]
	s_delay_alu instid0(VALU_DEP_2) | instskip(SKIP_1) | instid1(VALU_DEP_3)
	v_add_f64 v[114:115], v[100:101], -v[112:113]
	v_add_f64 v[54:55], v[96:97], -v[112:113]
	v_add_f64 v[96:97], v[48:49], v[34:35]
	s_delay_alu instid0(VALU_DEP_3) | instskip(NEXT) | instid1(VALU_DEP_1)
	v_add_f64 v[36:37], v[36:37], -v[114:115]
	v_add_f64 v[36:37], v[54:55], v[36:37]
	s_delay_alu instid0(VALU_DEP_3) | instskip(NEXT) | instid1(VALU_DEP_2)
	v_add_f64 v[54:55], v[96:97], -v[48:49]
	v_add_f64 v[36:37], v[96:97], v[36:37]
	s_delay_alu instid0(VALU_DEP_2) | instskip(SKIP_1) | instid1(VALU_DEP_3)
	v_add_f64 v[96:97], v[96:97], -v[54:55]
	v_add_f64 v[34:35], v[34:35], -v[54:55]
	v_add_f64 v[102:103], v[100:101], v[36:37]
	s_delay_alu instid0(VALU_DEP_3) | instskip(NEXT) | instid1(VALU_DEP_2)
	v_add_f64 v[48:49], v[48:49], -v[96:97]
	v_add_f64 v[54:55], v[102:103], -v[100:101]
	s_delay_alu instid0(VALU_DEP_2) | instskip(NEXT) | instid1(VALU_DEP_2)
	v_add_f64 v[34:35], v[34:35], v[48:49]
	v_add_f64 v[36:37], v[36:37], -v[54:55]
	s_delay_alu instid0(VALU_DEP_1) | instskip(NEXT) | instid1(VALU_DEP_1)
	v_add_f64 v[34:35], v[34:35], v[36:37]
	v_add_f64 v[34:35], v[102:103], v[34:35]
	s_delay_alu instid0(VALU_DEP_1) | instskip(SKIP_1) | instid1(VALU_DEP_2)
	v_dual_cndmask_b32 v35, v35, v13 :: v_dual_cndmask_b32 v34, v34, v12
	v_cmp_ngt_f64_e32 vcc_lo, -1.0, v[12:13]
	v_cndmask_b32_e32 v35, 0x7ff80000, v35, vcc_lo
	v_cmp_nge_f64_e32 vcc_lo, -1.0, v[12:13]
	s_delay_alu instid0(VALU_DEP_4) | instskip(SKIP_1) | instid1(VALU_DEP_4)
	v_cndmask_b32_e32 v34, 0, v34, vcc_lo
	v_cmp_neq_f64_e32 vcc_lo, -1.0, v[12:13]
	v_cndmask_b32_e32 v35, 0xfff00000, v35, vcc_lo
	s_delay_alu instid0(VALU_DEP_1)
	v_add_f64 v[12:13], v[32:33], v[34:35]
.LBB56_348:
	s_or_b32 exec_lo, exec_lo, s6
	s_delay_alu instid0(VALU_DEP_1) | instskip(SKIP_1) | instid1(VALU_DEP_2)
	v_max_f64 v[32:33], v[12:13], v[12:13]
	v_cmp_u_f64_e32 vcc_lo, v[12:13], v[12:13]
	v_min_f64 v[34:35], v[32:33], v[14:15]
	v_max_f64 v[14:15], v[32:33], v[14:15]
	s_delay_alu instid0(VALU_DEP_2) | instskip(NEXT) | instid1(VALU_DEP_2)
	v_dual_cndmask_b32 v32, v34, v12 :: v_dual_cndmask_b32 v33, v35, v13
	v_dual_cndmask_b32 v15, v15, v13 :: v_dual_cndmask_b32 v14, v14, v12
	s_delay_alu instid0(VALU_DEP_2) | instskip(NEXT) | instid1(VALU_DEP_3)
	v_cndmask_b32_e64 v34, v32, v98, s7
	v_cndmask_b32_e64 v35, v33, v99, s7
	s_delay_alu instid0(VALU_DEP_3) | instskip(NEXT) | instid1(VALU_DEP_4)
	v_cndmask_b32_e64 v33, v15, v99, s7
	v_cndmask_b32_e64 v32, v14, v98, s7
	v_dual_mov_b32 v15, v13 :: v_dual_mov_b32 v14, v12
	s_delay_alu instid0(VALU_DEP_4) | instskip(NEXT) | instid1(VALU_DEP_3)
	v_cmp_class_f64_e64 s1, v[34:35], 0x1f8
	v_cmp_neq_f64_e32 vcc_lo, v[34:35], v[32:33]
	s_delay_alu instid0(VALU_DEP_2) | instskip(NEXT) | instid1(SALU_CYCLE_1)
	s_or_b32 s1, vcc_lo, s1
	s_and_saveexec_b32 s16, s1
	s_cbranch_execz .LBB56_350
; %bb.349:
	v_add_f64 v[14:15], v[34:35], -v[32:33]
	s_mov_b32 s2, 0x652b82fe
	s_mov_b32 s3, 0x3ff71547
	;; [unrolled: 1-line block ×10, first 2 shown]
	s_delay_alu instid0(VALU_DEP_1) | instskip(SKIP_4) | instid1(VALU_DEP_3)
	v_mul_f64 v[34:35], v[14:15], s[2:3]
	s_mov_b32 s3, 0xbfe62e42
	s_mov_b32 s2, 0xfefa39ef
	v_cmp_nlt_f64_e32 vcc_lo, 0x40900000, v[14:15]
	v_cmp_ngt_f64_e64 s1, 0xc090cc00, v[14:15]
	v_rndne_f64_e32 v[34:35], v[34:35]
	s_delay_alu instid0(VALU_DEP_1) | instskip(SKIP_2) | instid1(VALU_DEP_2)
	v_fma_f64 v[36:37], v[34:35], s[2:3], v[14:15]
	v_cvt_i32_f64_e32 v54, v[34:35]
	s_mov_b32 s3, 0x3fe62e42
	v_fma_f64 v[36:37], v[34:35], s[4:5], v[36:37]
	s_mov_b32 s5, 0x3c7abc9e
	s_waitcnt lgkmcnt(0)
	s_delay_alu instid0(VALU_DEP_1) | instskip(SKIP_4) | instid1(VALU_DEP_1)
	v_fma_f64 v[48:49], v[36:37], s[18:19], s[6:7]
	s_mov_b32 s6, 0x623fde64
	s_mov_b32 s7, 0x3ec71dee
	;; [unrolled: 1-line block ×4, first 2 shown]
	v_fma_f64 v[48:49], v[36:37], v[48:49], s[6:7]
	s_mov_b32 s6, 0x7c89e6b0
	s_mov_b32 s7, 0x3efa0199
	s_delay_alu instid0(VALU_DEP_1) | instid1(SALU_CYCLE_1)
	v_fma_f64 v[48:49], v[36:37], v[48:49], s[6:7]
	s_mov_b32 s6, 0x14761f6e
	s_mov_b32 s7, 0x3f2a01a0
	s_delay_alu instid0(VALU_DEP_1) | instid1(SALU_CYCLE_1)
	;; [unrolled: 4-line block ×7, first 2 shown]
	v_fma_f64 v[48:49], v[36:37], v[48:49], s[6:7]
	s_mov_b32 s7, 0x3fe55555
	s_mov_b32 s6, 0x55555555
	s_delay_alu instid0(VALU_DEP_1) | instskip(NEXT) | instid1(VALU_DEP_1)
	v_fma_f64 v[48:49], v[36:37], v[48:49], 1.0
	v_fma_f64 v[34:35], v[36:37], v[48:49], 1.0
	s_delay_alu instid0(VALU_DEP_1) | instskip(NEXT) | instid1(VALU_DEP_1)
	v_ldexp_f64 v[34:35], v[34:35], v54
	v_cndmask_b32_e32 v35, 0x7ff00000, v35, vcc_lo
	s_and_b32 vcc_lo, s1, vcc_lo
	s_delay_alu instid0(VALU_DEP_1) | instskip(NEXT) | instid1(VALU_DEP_3)
	v_cndmask_b32_e64 v15, 0, v35, s1
	v_cndmask_b32_e32 v14, 0, v34, vcc_lo
	s_delay_alu instid0(VALU_DEP_1) | instskip(NEXT) | instid1(VALU_DEP_1)
	v_add_f64 v[34:35], v[14:15], 1.0
	v_frexp_mant_f64_e32 v[36:37], v[34:35]
	v_frexp_exp_i32_f64_e32 v54, v[34:35]
	v_add_f64 v[48:49], v[34:35], -1.0
	s_delay_alu instid0(VALU_DEP_3) | instskip(SKIP_1) | instid1(VALU_DEP_2)
	v_cmp_gt_f64_e32 vcc_lo, s[6:7], v[36:37]
	s_mov_b32 s6, 0x55555780
	v_add_f64 v[36:37], v[48:49], -v[34:35]
	v_add_f64 v[48:49], v[14:15], -v[48:49]
	v_subrev_co_ci_u32_e32 v131, vcc_lo, 0, v54, vcc_lo
	s_delay_alu instid0(VALU_DEP_3) | instskip(SKIP_1) | instid1(VALU_DEP_3)
	v_add_f64 v[36:37], v[36:37], 1.0
	v_cmp_eq_f64_e32 vcc_lo, 0x7ff00000, v[14:15]
	v_sub_nc_u32_e32 v96, 0, v131
	s_delay_alu instid0(VALU_DEP_1) | instskip(NEXT) | instid1(VALU_DEP_4)
	v_ldexp_f64 v[34:35], v[34:35], v96
	v_add_f64 v[36:37], v[48:49], v[36:37]
	s_delay_alu instid0(VALU_DEP_2) | instskip(SKIP_1) | instid1(VALU_DEP_3)
	v_add_f64 v[54:55], v[34:35], 1.0
	v_add_f64 v[100:101], v[34:35], -1.0
	v_ldexp_f64 v[36:37], v[36:37], v96
	s_delay_alu instid0(VALU_DEP_3) | instskip(NEXT) | instid1(VALU_DEP_3)
	v_add_f64 v[48:49], v[54:55], -1.0
	v_add_f64 v[102:103], v[100:101], 1.0
	s_delay_alu instid0(VALU_DEP_2) | instskip(NEXT) | instid1(VALU_DEP_2)
	v_add_f64 v[48:49], v[34:35], -v[48:49]
	v_add_f64 v[34:35], v[34:35], -v[102:103]
	s_delay_alu instid0(VALU_DEP_2) | instskip(NEXT) | instid1(VALU_DEP_2)
	v_add_f64 v[48:49], v[36:37], v[48:49]
	v_add_f64 v[34:35], v[36:37], v[34:35]
	s_delay_alu instid0(VALU_DEP_2) | instskip(NEXT) | instid1(VALU_DEP_2)
	v_add_f64 v[96:97], v[54:55], v[48:49]
	v_add_f64 v[102:103], v[100:101], v[34:35]
	s_delay_alu instid0(VALU_DEP_2) | instskip(SKIP_1) | instid1(VALU_DEP_2)
	v_rcp_f64_e32 v[98:99], v[96:97]
	v_add_f64 v[54:55], v[96:97], -v[54:55]
	v_add_f64 v[100:101], v[102:103], -v[100:101]
	s_delay_alu instid0(VALU_DEP_2) | instskip(SKIP_3) | instid1(VALU_DEP_2)
	v_add_f64 v[48:49], v[48:49], -v[54:55]
	s_waitcnt_depctr 0xfff
	v_fma_f64 v[112:113], -v[96:97], v[98:99], 1.0
	v_add_f64 v[34:35], v[34:35], -v[100:101]
	v_fma_f64 v[98:99], v[112:113], v[98:99], v[98:99]
	s_delay_alu instid0(VALU_DEP_1) | instskip(NEXT) | instid1(VALU_DEP_1)
	v_fma_f64 v[36:37], -v[96:97], v[98:99], 1.0
	v_fma_f64 v[36:37], v[36:37], v[98:99], v[98:99]
	s_delay_alu instid0(VALU_DEP_1) | instskip(NEXT) | instid1(VALU_DEP_1)
	v_mul_f64 v[98:99], v[102:103], v[36:37]
	v_mul_f64 v[112:113], v[96:97], v[98:99]
	s_delay_alu instid0(VALU_DEP_1) | instskip(NEXT) | instid1(VALU_DEP_1)
	v_fma_f64 v[54:55], v[98:99], v[96:97], -v[112:113]
	v_fma_f64 v[54:55], v[98:99], v[48:49], v[54:55]
	s_delay_alu instid0(VALU_DEP_1) | instskip(NEXT) | instid1(VALU_DEP_1)
	v_add_f64 v[114:115], v[112:113], v[54:55]
	v_add_f64 v[129:130], v[102:103], -v[114:115]
	v_add_f64 v[100:101], v[114:115], -v[112:113]
	s_delay_alu instid0(VALU_DEP_2) | instskip(NEXT) | instid1(VALU_DEP_2)
	v_add_f64 v[102:103], v[102:103], -v[129:130]
	v_add_f64 v[54:55], v[100:101], -v[54:55]
	s_delay_alu instid0(VALU_DEP_2) | instskip(NEXT) | instid1(VALU_DEP_1)
	v_add_f64 v[102:103], v[102:103], -v[114:115]
	v_add_f64 v[34:35], v[34:35], v[102:103]
	s_delay_alu instid0(VALU_DEP_1) | instskip(NEXT) | instid1(VALU_DEP_1)
	v_add_f64 v[34:35], v[54:55], v[34:35]
	v_add_f64 v[54:55], v[129:130], v[34:35]
	s_delay_alu instid0(VALU_DEP_1) | instskip(SKIP_1) | instid1(VALU_DEP_2)
	v_mul_f64 v[100:101], v[36:37], v[54:55]
	v_add_f64 v[114:115], v[129:130], -v[54:55]
	v_mul_f64 v[102:103], v[96:97], v[100:101]
	s_delay_alu instid0(VALU_DEP_2) | instskip(NEXT) | instid1(VALU_DEP_2)
	v_add_f64 v[34:35], v[34:35], v[114:115]
	v_fma_f64 v[96:97], v[100:101], v[96:97], -v[102:103]
	s_delay_alu instid0(VALU_DEP_1) | instskip(NEXT) | instid1(VALU_DEP_1)
	v_fma_f64 v[48:49], v[100:101], v[48:49], v[96:97]
	v_add_f64 v[96:97], v[102:103], v[48:49]
	s_delay_alu instid0(VALU_DEP_1) | instskip(SKIP_1) | instid1(VALU_DEP_2)
	v_add_f64 v[112:113], v[54:55], -v[96:97]
	v_add_f64 v[102:103], v[96:97], -v[102:103]
	;; [unrolled: 1-line block ×3, first 2 shown]
	s_delay_alu instid0(VALU_DEP_2) | instskip(NEXT) | instid1(VALU_DEP_2)
	v_add_f64 v[48:49], v[102:103], -v[48:49]
	v_add_f64 v[54:55], v[54:55], -v[96:97]
	s_delay_alu instid0(VALU_DEP_1) | instskip(SKIP_1) | instid1(VALU_DEP_2)
	v_add_f64 v[34:35], v[34:35], v[54:55]
	v_add_f64 v[54:55], v[98:99], v[100:101]
	;; [unrolled: 1-line block ×3, first 2 shown]
	s_delay_alu instid0(VALU_DEP_2) | instskip(NEXT) | instid1(VALU_DEP_2)
	v_add_f64 v[48:49], v[54:55], -v[98:99]
	v_add_f64 v[34:35], v[112:113], v[34:35]
	s_delay_alu instid0(VALU_DEP_2) | instskip(NEXT) | instid1(VALU_DEP_2)
	v_add_f64 v[48:49], v[100:101], -v[48:49]
	v_mul_f64 v[34:35], v[36:37], v[34:35]
	s_delay_alu instid0(VALU_DEP_1) | instskip(NEXT) | instid1(VALU_DEP_1)
	v_add_f64 v[34:35], v[48:49], v[34:35]
	v_add_f64 v[36:37], v[54:55], v[34:35]
	s_delay_alu instid0(VALU_DEP_1) | instskip(NEXT) | instid1(VALU_DEP_1)
	v_mul_f64 v[48:49], v[36:37], v[36:37]
	v_fma_f64 v[96:97], v[48:49], s[20:21], s[18:19]
	s_mov_b32 s18, 0xd7f4df2e
	s_mov_b32 s19, 0x3fc7474d
	v_mul_f64 v[98:99], v[36:37], v[48:49]
	s_delay_alu instid0(VALU_DEP_2)
	v_fma_f64 v[96:97], v[48:49], v[96:97], s[18:19]
	s_mov_b32 s18, 0x16291751
	s_mov_b32 s19, 0x3fcc71c0
	s_delay_alu instid0(VALU_DEP_1) | instid1(SALU_CYCLE_1)
	v_fma_f64 v[96:97], v[48:49], v[96:97], s[18:19]
	s_mov_b32 s18, 0x9b27acf1
	s_mov_b32 s19, 0x3fd24924
	s_delay_alu instid0(VALU_DEP_1) | instid1(SALU_CYCLE_1)
	;; [unrolled: 4-line block ×3, first 2 shown]
	v_fma_f64 v[96:97], v[48:49], v[96:97], s[18:19]
	s_delay_alu instid0(VALU_DEP_1) | instskip(SKIP_2) | instid1(VALU_DEP_3)
	v_fma_f64 v[48:49], v[48:49], v[96:97], s[6:7]
	v_ldexp_f64 v[96:97], v[36:37], 1
	v_add_f64 v[36:37], v[36:37], -v[54:55]
	v_mul_f64 v[48:49], v[98:99], v[48:49]
	v_cvt_f64_i32_e32 v[98:99], v131
	s_delay_alu instid0(VALU_DEP_3) | instskip(NEXT) | instid1(VALU_DEP_3)
	v_add_f64 v[34:35], v[34:35], -v[36:37]
	v_add_f64 v[54:55], v[96:97], v[48:49]
	s_delay_alu instid0(VALU_DEP_3) | instskip(NEXT) | instid1(VALU_DEP_3)
	v_mul_f64 v[100:101], v[98:99], s[2:3]
	v_ldexp_f64 v[34:35], v[34:35], 1
	s_delay_alu instid0(VALU_DEP_3) | instskip(NEXT) | instid1(VALU_DEP_3)
	v_add_f64 v[36:37], v[54:55], -v[96:97]
	v_fma_f64 v[96:97], v[98:99], s[2:3], -v[100:101]
	s_delay_alu instid0(VALU_DEP_2) | instskip(NEXT) | instid1(VALU_DEP_2)
	v_add_f64 v[36:37], v[48:49], -v[36:37]
	v_fma_f64 v[48:49], v[98:99], s[4:5], v[96:97]
	s_delay_alu instid0(VALU_DEP_2) | instskip(NEXT) | instid1(VALU_DEP_2)
	v_add_f64 v[34:35], v[34:35], v[36:37]
	v_add_f64 v[36:37], v[100:101], v[48:49]
	s_delay_alu instid0(VALU_DEP_2) | instskip(NEXT) | instid1(VALU_DEP_2)
	v_add_f64 v[96:97], v[54:55], v[34:35]
	v_add_f64 v[100:101], v[36:37], -v[100:101]
	s_delay_alu instid0(VALU_DEP_2) | instskip(SKIP_1) | instid1(VALU_DEP_3)
	v_add_f64 v[98:99], v[36:37], v[96:97]
	v_add_f64 v[54:55], v[96:97], -v[54:55]
	v_add_f64 v[48:49], v[48:49], -v[100:101]
	s_delay_alu instid0(VALU_DEP_3) | instskip(NEXT) | instid1(VALU_DEP_3)
	v_add_f64 v[102:103], v[98:99], -v[36:37]
	v_add_f64 v[34:35], v[34:35], -v[54:55]
	s_delay_alu instid0(VALU_DEP_2) | instskip(SKIP_1) | instid1(VALU_DEP_3)
	v_add_f64 v[112:113], v[98:99], -v[102:103]
	v_add_f64 v[54:55], v[96:97], -v[102:103]
	v_add_f64 v[96:97], v[48:49], v[34:35]
	s_delay_alu instid0(VALU_DEP_3) | instskip(NEXT) | instid1(VALU_DEP_1)
	v_add_f64 v[36:37], v[36:37], -v[112:113]
	v_add_f64 v[36:37], v[54:55], v[36:37]
	s_delay_alu instid0(VALU_DEP_3) | instskip(NEXT) | instid1(VALU_DEP_2)
	v_add_f64 v[54:55], v[96:97], -v[48:49]
	v_add_f64 v[36:37], v[96:97], v[36:37]
	s_delay_alu instid0(VALU_DEP_2) | instskip(SKIP_1) | instid1(VALU_DEP_3)
	v_add_f64 v[96:97], v[96:97], -v[54:55]
	v_add_f64 v[34:35], v[34:35], -v[54:55]
	v_add_f64 v[100:101], v[98:99], v[36:37]
	s_delay_alu instid0(VALU_DEP_3) | instskip(NEXT) | instid1(VALU_DEP_2)
	v_add_f64 v[48:49], v[48:49], -v[96:97]
	v_add_f64 v[54:55], v[100:101], -v[98:99]
	s_delay_alu instid0(VALU_DEP_2) | instskip(NEXT) | instid1(VALU_DEP_2)
	v_add_f64 v[34:35], v[34:35], v[48:49]
	v_add_f64 v[36:37], v[36:37], -v[54:55]
	s_delay_alu instid0(VALU_DEP_1) | instskip(NEXT) | instid1(VALU_DEP_1)
	v_add_f64 v[34:35], v[34:35], v[36:37]
	v_add_f64 v[34:35], v[100:101], v[34:35]
	s_delay_alu instid0(VALU_DEP_1) | instskip(SKIP_1) | instid1(VALU_DEP_2)
	v_dual_cndmask_b32 v35, v35, v15 :: v_dual_cndmask_b32 v34, v34, v14
	v_cmp_ngt_f64_e32 vcc_lo, -1.0, v[14:15]
	v_cndmask_b32_e32 v35, 0x7ff80000, v35, vcc_lo
	v_cmp_nge_f64_e32 vcc_lo, -1.0, v[14:15]
	s_delay_alu instid0(VALU_DEP_4) | instskip(SKIP_1) | instid1(VALU_DEP_4)
	v_cndmask_b32_e32 v34, 0, v34, vcc_lo
	v_cmp_neq_f64_e32 vcc_lo, -1.0, v[14:15]
	v_cndmask_b32_e32 v35, 0xfff00000, v35, vcc_lo
	s_delay_alu instid0(VALU_DEP_1)
	v_add_f64 v[14:15], v[32:33], v[34:35]
.LBB56_350:
	s_or_b32 exec_lo, exec_lo, s16
	s_delay_alu instid0(VALU_DEP_1) | instskip(SKIP_1) | instid1(VALU_DEP_2)
	v_max_f64 v[32:33], v[14:15], v[14:15]
	v_cmp_u_f64_e32 vcc_lo, v[14:15], v[14:15]
	v_min_f64 v[34:35], v[32:33], v[16:17]
	v_max_f64 v[16:17], v[32:33], v[16:17]
	s_delay_alu instid0(VALU_DEP_2) | instskip(NEXT) | instid1(VALU_DEP_2)
	v_dual_cndmask_b32 v32, v34, v14 :: v_dual_cndmask_b32 v33, v35, v15
	v_dual_cndmask_b32 v17, v17, v15 :: v_dual_cndmask_b32 v16, v16, v14
	s_delay_alu instid0(VALU_DEP_2) | instskip(NEXT) | instid1(VALU_DEP_3)
	v_cndmask_b32_e64 v34, v32, v84, s8
	v_cndmask_b32_e64 v35, v33, v85, s8
	s_delay_alu instid0(VALU_DEP_3) | instskip(NEXT) | instid1(VALU_DEP_4)
	v_cndmask_b32_e64 v33, v17, v85, s8
	v_cndmask_b32_e64 v32, v16, v84, s8
	v_dual_mov_b32 v17, v15 :: v_dual_mov_b32 v16, v14
	s_delay_alu instid0(VALU_DEP_4) | instskip(NEXT) | instid1(VALU_DEP_3)
	v_cmp_class_f64_e64 s1, v[34:35], 0x1f8
	v_cmp_neq_f64_e32 vcc_lo, v[34:35], v[32:33]
	s_delay_alu instid0(VALU_DEP_2) | instskip(NEXT) | instid1(SALU_CYCLE_1)
	s_or_b32 s1, vcc_lo, s1
	s_and_saveexec_b32 s8, s1
	s_cbranch_execz .LBB56_352
; %bb.351:
	v_add_f64 v[16:17], v[34:35], -v[32:33]
	s_mov_b32 s2, 0x652b82fe
	s_mov_b32 s3, 0x3ff71547
	;; [unrolled: 1-line block ×10, first 2 shown]
	s_delay_alu instid0(VALU_DEP_1) | instskip(SKIP_4) | instid1(VALU_DEP_3)
	v_mul_f64 v[34:35], v[16:17], s[2:3]
	s_mov_b32 s3, 0xbfe62e42
	s_mov_b32 s2, 0xfefa39ef
	v_cmp_nlt_f64_e32 vcc_lo, 0x40900000, v[16:17]
	v_cmp_ngt_f64_e64 s1, 0xc090cc00, v[16:17]
	v_rndne_f64_e32 v[34:35], v[34:35]
	s_delay_alu instid0(VALU_DEP_1) | instskip(SKIP_2) | instid1(VALU_DEP_2)
	v_fma_f64 v[36:37], v[34:35], s[2:3], v[16:17]
	v_cvt_i32_f64_e32 v54, v[34:35]
	s_mov_b32 s3, 0x3fe62e42
	v_fma_f64 v[36:37], v[34:35], s[4:5], v[36:37]
	s_mov_b32 s5, 0x3c7abc9e
	s_waitcnt lgkmcnt(0)
	s_delay_alu instid0(VALU_DEP_1) | instskip(SKIP_4) | instid1(VALU_DEP_1)
	v_fma_f64 v[48:49], v[36:37], s[16:17], s[6:7]
	s_mov_b32 s6, 0x623fde64
	s_mov_b32 s7, 0x3ec71dee
	;; [unrolled: 1-line block ×4, first 2 shown]
	v_fma_f64 v[48:49], v[36:37], v[48:49], s[6:7]
	s_mov_b32 s6, 0x7c89e6b0
	s_mov_b32 s7, 0x3efa0199
	s_delay_alu instid0(VALU_DEP_1) | instid1(SALU_CYCLE_1)
	v_fma_f64 v[48:49], v[36:37], v[48:49], s[6:7]
	s_mov_b32 s6, 0x14761f6e
	s_mov_b32 s7, 0x3f2a01a0
	s_delay_alu instid0(VALU_DEP_1) | instid1(SALU_CYCLE_1)
	;; [unrolled: 4-line block ×7, first 2 shown]
	v_fma_f64 v[48:49], v[36:37], v[48:49], s[6:7]
	s_mov_b32 s7, 0x3fe55555
	s_mov_b32 s6, 0x55555555
	s_delay_alu instid0(VALU_DEP_1) | instskip(NEXT) | instid1(VALU_DEP_1)
	v_fma_f64 v[48:49], v[36:37], v[48:49], 1.0
	v_fma_f64 v[34:35], v[36:37], v[48:49], 1.0
	s_delay_alu instid0(VALU_DEP_1) | instskip(NEXT) | instid1(VALU_DEP_1)
	v_ldexp_f64 v[34:35], v[34:35], v54
	v_cndmask_b32_e32 v35, 0x7ff00000, v35, vcc_lo
	s_and_b32 vcc_lo, s1, vcc_lo
	s_delay_alu instid0(VALU_DEP_1) | instskip(NEXT) | instid1(VALU_DEP_3)
	v_cndmask_b32_e64 v17, 0, v35, s1
	v_cndmask_b32_e32 v16, 0, v34, vcc_lo
	s_delay_alu instid0(VALU_DEP_1) | instskip(NEXT) | instid1(VALU_DEP_1)
	v_add_f64 v[34:35], v[16:17], 1.0
	v_frexp_mant_f64_e32 v[36:37], v[34:35]
	v_frexp_exp_i32_f64_e32 v54, v[34:35]
	v_add_f64 v[48:49], v[34:35], -1.0
	s_delay_alu instid0(VALU_DEP_3) | instskip(SKIP_1) | instid1(VALU_DEP_2)
	v_cmp_gt_f64_e32 vcc_lo, s[6:7], v[36:37]
	s_mov_b32 s6, 0x55555780
	v_add_f64 v[36:37], v[48:49], -v[34:35]
	v_add_f64 v[48:49], v[16:17], -v[48:49]
	v_subrev_co_ci_u32_e32 v129, vcc_lo, 0, v54, vcc_lo
	s_delay_alu instid0(VALU_DEP_3) | instskip(SKIP_1) | instid1(VALU_DEP_3)
	v_add_f64 v[36:37], v[36:37], 1.0
	v_cmp_eq_f64_e32 vcc_lo, 0x7ff00000, v[16:17]
	v_sub_nc_u32_e32 v84, 0, v129
	s_delay_alu instid0(VALU_DEP_1) | instskip(NEXT) | instid1(VALU_DEP_4)
	v_ldexp_f64 v[34:35], v[34:35], v84
	v_add_f64 v[36:37], v[48:49], v[36:37]
	s_delay_alu instid0(VALU_DEP_2) | instskip(SKIP_1) | instid1(VALU_DEP_3)
	v_add_f64 v[54:55], v[34:35], 1.0
	v_add_f64 v[98:99], v[34:35], -1.0
	v_ldexp_f64 v[36:37], v[36:37], v84
	s_delay_alu instid0(VALU_DEP_3) | instskip(NEXT) | instid1(VALU_DEP_3)
	v_add_f64 v[48:49], v[54:55], -1.0
	v_add_f64 v[100:101], v[98:99], 1.0
	s_delay_alu instid0(VALU_DEP_2) | instskip(NEXT) | instid1(VALU_DEP_2)
	v_add_f64 v[48:49], v[34:35], -v[48:49]
	v_add_f64 v[34:35], v[34:35], -v[100:101]
	s_delay_alu instid0(VALU_DEP_2) | instskip(NEXT) | instid1(VALU_DEP_2)
	v_add_f64 v[48:49], v[36:37], v[48:49]
	v_add_f64 v[34:35], v[36:37], v[34:35]
	s_delay_alu instid0(VALU_DEP_2) | instskip(NEXT) | instid1(VALU_DEP_2)
	v_add_f64 v[84:85], v[54:55], v[48:49]
	v_add_f64 v[100:101], v[98:99], v[34:35]
	s_delay_alu instid0(VALU_DEP_2) | instskip(SKIP_1) | instid1(VALU_DEP_2)
	v_rcp_f64_e32 v[96:97], v[84:85]
	v_add_f64 v[54:55], v[84:85], -v[54:55]
	v_add_f64 v[98:99], v[100:101], -v[98:99]
	s_delay_alu instid0(VALU_DEP_2) | instskip(SKIP_3) | instid1(VALU_DEP_2)
	v_add_f64 v[48:49], v[48:49], -v[54:55]
	s_waitcnt_depctr 0xfff
	v_fma_f64 v[102:103], -v[84:85], v[96:97], 1.0
	v_add_f64 v[34:35], v[34:35], -v[98:99]
	v_fma_f64 v[96:97], v[102:103], v[96:97], v[96:97]
	s_delay_alu instid0(VALU_DEP_1) | instskip(NEXT) | instid1(VALU_DEP_1)
	v_fma_f64 v[36:37], -v[84:85], v[96:97], 1.0
	v_fma_f64 v[36:37], v[36:37], v[96:97], v[96:97]
	s_delay_alu instid0(VALU_DEP_1) | instskip(NEXT) | instid1(VALU_DEP_1)
	v_mul_f64 v[96:97], v[100:101], v[36:37]
	v_mul_f64 v[102:103], v[84:85], v[96:97]
	s_delay_alu instid0(VALU_DEP_1) | instskip(NEXT) | instid1(VALU_DEP_1)
	v_fma_f64 v[54:55], v[96:97], v[84:85], -v[102:103]
	v_fma_f64 v[54:55], v[96:97], v[48:49], v[54:55]
	s_delay_alu instid0(VALU_DEP_1) | instskip(NEXT) | instid1(VALU_DEP_1)
	v_add_f64 v[112:113], v[102:103], v[54:55]
	v_add_f64 v[114:115], v[100:101], -v[112:113]
	v_add_f64 v[98:99], v[112:113], -v[102:103]
	s_delay_alu instid0(VALU_DEP_2) | instskip(NEXT) | instid1(VALU_DEP_2)
	v_add_f64 v[100:101], v[100:101], -v[114:115]
	v_add_f64 v[54:55], v[98:99], -v[54:55]
	s_delay_alu instid0(VALU_DEP_2) | instskip(NEXT) | instid1(VALU_DEP_1)
	v_add_f64 v[100:101], v[100:101], -v[112:113]
	v_add_f64 v[34:35], v[34:35], v[100:101]
	s_delay_alu instid0(VALU_DEP_1) | instskip(NEXT) | instid1(VALU_DEP_1)
	v_add_f64 v[34:35], v[54:55], v[34:35]
	v_add_f64 v[54:55], v[114:115], v[34:35]
	s_delay_alu instid0(VALU_DEP_1) | instskip(SKIP_1) | instid1(VALU_DEP_2)
	v_mul_f64 v[98:99], v[36:37], v[54:55]
	v_add_f64 v[112:113], v[114:115], -v[54:55]
	v_mul_f64 v[100:101], v[84:85], v[98:99]
	s_delay_alu instid0(VALU_DEP_2) | instskip(NEXT) | instid1(VALU_DEP_2)
	v_add_f64 v[34:35], v[34:35], v[112:113]
	v_fma_f64 v[84:85], v[98:99], v[84:85], -v[100:101]
	s_delay_alu instid0(VALU_DEP_1) | instskip(NEXT) | instid1(VALU_DEP_1)
	v_fma_f64 v[48:49], v[98:99], v[48:49], v[84:85]
	v_add_f64 v[84:85], v[100:101], v[48:49]
	s_delay_alu instid0(VALU_DEP_1) | instskip(SKIP_1) | instid1(VALU_DEP_2)
	v_add_f64 v[102:103], v[54:55], -v[84:85]
	v_add_f64 v[100:101], v[84:85], -v[100:101]
	;; [unrolled: 1-line block ×3, first 2 shown]
	s_delay_alu instid0(VALU_DEP_2) | instskip(NEXT) | instid1(VALU_DEP_2)
	v_add_f64 v[48:49], v[100:101], -v[48:49]
	v_add_f64 v[54:55], v[54:55], -v[84:85]
	s_delay_alu instid0(VALU_DEP_1) | instskip(SKIP_1) | instid1(VALU_DEP_2)
	v_add_f64 v[34:35], v[34:35], v[54:55]
	v_add_f64 v[54:55], v[96:97], v[98:99]
	;; [unrolled: 1-line block ×3, first 2 shown]
	s_delay_alu instid0(VALU_DEP_2) | instskip(NEXT) | instid1(VALU_DEP_2)
	v_add_f64 v[48:49], v[54:55], -v[96:97]
	v_add_f64 v[34:35], v[102:103], v[34:35]
	s_delay_alu instid0(VALU_DEP_2) | instskip(NEXT) | instid1(VALU_DEP_2)
	v_add_f64 v[48:49], v[98:99], -v[48:49]
	v_mul_f64 v[34:35], v[36:37], v[34:35]
	s_delay_alu instid0(VALU_DEP_1) | instskip(NEXT) | instid1(VALU_DEP_1)
	v_add_f64 v[34:35], v[48:49], v[34:35]
	v_add_f64 v[36:37], v[54:55], v[34:35]
	s_delay_alu instid0(VALU_DEP_1) | instskip(NEXT) | instid1(VALU_DEP_1)
	v_mul_f64 v[48:49], v[36:37], v[36:37]
	v_fma_f64 v[84:85], v[48:49], s[18:19], s[16:17]
	s_mov_b32 s16, 0xd7f4df2e
	s_mov_b32 s17, 0x3fc7474d
	v_mul_f64 v[96:97], v[36:37], v[48:49]
	s_delay_alu instid0(VALU_DEP_2)
	v_fma_f64 v[84:85], v[48:49], v[84:85], s[16:17]
	s_mov_b32 s16, 0x16291751
	s_mov_b32 s17, 0x3fcc71c0
	s_delay_alu instid0(VALU_DEP_1) | instid1(SALU_CYCLE_1)
	v_fma_f64 v[84:85], v[48:49], v[84:85], s[16:17]
	s_mov_b32 s16, 0x9b27acf1
	s_mov_b32 s17, 0x3fd24924
	s_delay_alu instid0(VALU_DEP_1) | instid1(SALU_CYCLE_1)
	;; [unrolled: 4-line block ×3, first 2 shown]
	v_fma_f64 v[84:85], v[48:49], v[84:85], s[16:17]
	s_delay_alu instid0(VALU_DEP_1) | instskip(SKIP_2) | instid1(VALU_DEP_3)
	v_fma_f64 v[48:49], v[48:49], v[84:85], s[6:7]
	v_ldexp_f64 v[84:85], v[36:37], 1
	v_add_f64 v[36:37], v[36:37], -v[54:55]
	v_mul_f64 v[48:49], v[96:97], v[48:49]
	v_cvt_f64_i32_e32 v[96:97], v129
	s_delay_alu instid0(VALU_DEP_3) | instskip(NEXT) | instid1(VALU_DEP_3)
	v_add_f64 v[34:35], v[34:35], -v[36:37]
	v_add_f64 v[54:55], v[84:85], v[48:49]
	s_delay_alu instid0(VALU_DEP_3) | instskip(NEXT) | instid1(VALU_DEP_3)
	v_mul_f64 v[98:99], v[96:97], s[2:3]
	v_ldexp_f64 v[34:35], v[34:35], 1
	s_delay_alu instid0(VALU_DEP_3) | instskip(NEXT) | instid1(VALU_DEP_3)
	v_add_f64 v[36:37], v[54:55], -v[84:85]
	v_fma_f64 v[84:85], v[96:97], s[2:3], -v[98:99]
	s_delay_alu instid0(VALU_DEP_2) | instskip(NEXT) | instid1(VALU_DEP_2)
	v_add_f64 v[36:37], v[48:49], -v[36:37]
	v_fma_f64 v[48:49], v[96:97], s[4:5], v[84:85]
	s_delay_alu instid0(VALU_DEP_2) | instskip(NEXT) | instid1(VALU_DEP_2)
	v_add_f64 v[34:35], v[34:35], v[36:37]
	v_add_f64 v[36:37], v[98:99], v[48:49]
	s_delay_alu instid0(VALU_DEP_2) | instskip(NEXT) | instid1(VALU_DEP_2)
	v_add_f64 v[84:85], v[54:55], v[34:35]
	v_add_f64 v[98:99], v[36:37], -v[98:99]
	s_delay_alu instid0(VALU_DEP_2) | instskip(SKIP_1) | instid1(VALU_DEP_3)
	v_add_f64 v[96:97], v[36:37], v[84:85]
	v_add_f64 v[54:55], v[84:85], -v[54:55]
	v_add_f64 v[48:49], v[48:49], -v[98:99]
	s_delay_alu instid0(VALU_DEP_3) | instskip(NEXT) | instid1(VALU_DEP_3)
	v_add_f64 v[100:101], v[96:97], -v[36:37]
	v_add_f64 v[34:35], v[34:35], -v[54:55]
	s_delay_alu instid0(VALU_DEP_2) | instskip(SKIP_1) | instid1(VALU_DEP_3)
	v_add_f64 v[102:103], v[96:97], -v[100:101]
	v_add_f64 v[54:55], v[84:85], -v[100:101]
	v_add_f64 v[84:85], v[48:49], v[34:35]
	s_delay_alu instid0(VALU_DEP_3) | instskip(NEXT) | instid1(VALU_DEP_1)
	v_add_f64 v[36:37], v[36:37], -v[102:103]
	v_add_f64 v[36:37], v[54:55], v[36:37]
	s_delay_alu instid0(VALU_DEP_3) | instskip(NEXT) | instid1(VALU_DEP_2)
	v_add_f64 v[54:55], v[84:85], -v[48:49]
	v_add_f64 v[36:37], v[84:85], v[36:37]
	s_delay_alu instid0(VALU_DEP_2) | instskip(SKIP_1) | instid1(VALU_DEP_3)
	v_add_f64 v[84:85], v[84:85], -v[54:55]
	v_add_f64 v[34:35], v[34:35], -v[54:55]
	v_add_f64 v[98:99], v[96:97], v[36:37]
	s_delay_alu instid0(VALU_DEP_3) | instskip(NEXT) | instid1(VALU_DEP_2)
	v_add_f64 v[48:49], v[48:49], -v[84:85]
	v_add_f64 v[54:55], v[98:99], -v[96:97]
	s_delay_alu instid0(VALU_DEP_2) | instskip(NEXT) | instid1(VALU_DEP_2)
	v_add_f64 v[34:35], v[34:35], v[48:49]
	v_add_f64 v[36:37], v[36:37], -v[54:55]
	s_delay_alu instid0(VALU_DEP_1) | instskip(NEXT) | instid1(VALU_DEP_1)
	v_add_f64 v[34:35], v[34:35], v[36:37]
	v_add_f64 v[34:35], v[98:99], v[34:35]
	s_delay_alu instid0(VALU_DEP_1) | instskip(SKIP_1) | instid1(VALU_DEP_2)
	v_dual_cndmask_b32 v35, v35, v17 :: v_dual_cndmask_b32 v34, v34, v16
	v_cmp_ngt_f64_e32 vcc_lo, -1.0, v[16:17]
	v_cndmask_b32_e32 v35, 0x7ff80000, v35, vcc_lo
	v_cmp_nge_f64_e32 vcc_lo, -1.0, v[16:17]
	s_delay_alu instid0(VALU_DEP_4) | instskip(SKIP_1) | instid1(VALU_DEP_4)
	v_cndmask_b32_e32 v34, 0, v34, vcc_lo
	v_cmp_neq_f64_e32 vcc_lo, -1.0, v[16:17]
	v_cndmask_b32_e32 v35, 0xfff00000, v35, vcc_lo
	s_delay_alu instid0(VALU_DEP_1)
	v_add_f64 v[16:17], v[32:33], v[34:35]
.LBB56_352:
	s_or_b32 exec_lo, exec_lo, s8
	s_delay_alu instid0(VALU_DEP_1) | instskip(SKIP_1) | instid1(VALU_DEP_2)
	v_max_f64 v[32:33], v[16:17], v[16:17]
	v_cmp_u_f64_e32 vcc_lo, v[16:17], v[16:17]
	v_min_f64 v[34:35], v[32:33], v[18:19]
	v_max_f64 v[18:19], v[32:33], v[18:19]
	s_delay_alu instid0(VALU_DEP_2) | instskip(NEXT) | instid1(VALU_DEP_2)
	v_dual_cndmask_b32 v32, v34, v16 :: v_dual_cndmask_b32 v33, v35, v17
	v_dual_cndmask_b32 v19, v19, v17 :: v_dual_cndmask_b32 v18, v18, v16
	s_delay_alu instid0(VALU_DEP_2) | instskip(NEXT) | instid1(VALU_DEP_3)
	v_cndmask_b32_e64 v34, v32, v86, s9
	v_cndmask_b32_e64 v35, v33, v87, s9
	s_delay_alu instid0(VALU_DEP_3) | instskip(NEXT) | instid1(VALU_DEP_4)
	v_cndmask_b32_e64 v33, v19, v87, s9
	v_cndmask_b32_e64 v32, v18, v86, s9
	v_dual_mov_b32 v19, v17 :: v_dual_mov_b32 v18, v16
	s_delay_alu instid0(VALU_DEP_4) | instskip(NEXT) | instid1(VALU_DEP_3)
	v_cmp_class_f64_e64 s1, v[34:35], 0x1f8
	v_cmp_neq_f64_e32 vcc_lo, v[34:35], v[32:33]
	s_delay_alu instid0(VALU_DEP_2) | instskip(NEXT) | instid1(SALU_CYCLE_1)
	s_or_b32 s1, vcc_lo, s1
	s_and_saveexec_b32 s8, s1
	s_cbranch_execz .LBB56_354
; %bb.353:
	v_add_f64 v[18:19], v[34:35], -v[32:33]
	s_mov_b32 s2, 0x652b82fe
	s_mov_b32 s3, 0x3ff71547
	s_mov_b32 s5, 0xbc7abc9e
	s_mov_b32 s4, 0x3b39803f
	s_mov_b32 s6, 0xfca7ab0c
	s_mov_b32 s16, 0x6a5dcb37
	s_mov_b32 s7, 0x3e928af3
	s_mov_b32 s17, 0x3e5ade15
	s_mov_b32 s18, 0xbf559e2b
	s_mov_b32 s19, 0x3fc3ab76
	s_delay_alu instid0(VALU_DEP_1) | instskip(SKIP_4) | instid1(VALU_DEP_3)
	v_mul_f64 v[34:35], v[18:19], s[2:3]
	s_mov_b32 s3, 0xbfe62e42
	s_mov_b32 s2, 0xfefa39ef
	v_cmp_nlt_f64_e32 vcc_lo, 0x40900000, v[18:19]
	v_cmp_ngt_f64_e64 s1, 0xc090cc00, v[18:19]
	v_rndne_f64_e32 v[34:35], v[34:35]
	s_delay_alu instid0(VALU_DEP_1) | instskip(SKIP_2) | instid1(VALU_DEP_2)
	v_fma_f64 v[36:37], v[34:35], s[2:3], v[18:19]
	v_cvt_i32_f64_e32 v54, v[34:35]
	s_mov_b32 s3, 0x3fe62e42
	v_fma_f64 v[36:37], v[34:35], s[4:5], v[36:37]
	s_mov_b32 s5, 0x3c7abc9e
	s_waitcnt lgkmcnt(0)
	s_delay_alu instid0(VALU_DEP_1) | instskip(SKIP_4) | instid1(VALU_DEP_1)
	v_fma_f64 v[48:49], v[36:37], s[16:17], s[6:7]
	s_mov_b32 s6, 0x623fde64
	s_mov_b32 s7, 0x3ec71dee
	;; [unrolled: 1-line block ×4, first 2 shown]
	v_fma_f64 v[48:49], v[36:37], v[48:49], s[6:7]
	s_mov_b32 s6, 0x7c89e6b0
	s_mov_b32 s7, 0x3efa0199
	s_delay_alu instid0(VALU_DEP_1) | instid1(SALU_CYCLE_1)
	v_fma_f64 v[48:49], v[36:37], v[48:49], s[6:7]
	s_mov_b32 s6, 0x14761f6e
	s_mov_b32 s7, 0x3f2a01a0
	s_delay_alu instid0(VALU_DEP_1) | instid1(SALU_CYCLE_1)
	;; [unrolled: 4-line block ×7, first 2 shown]
	v_fma_f64 v[48:49], v[36:37], v[48:49], s[6:7]
	s_mov_b32 s7, 0x3fe55555
	s_mov_b32 s6, 0x55555555
	s_delay_alu instid0(VALU_DEP_1) | instskip(NEXT) | instid1(VALU_DEP_1)
	v_fma_f64 v[48:49], v[36:37], v[48:49], 1.0
	v_fma_f64 v[34:35], v[36:37], v[48:49], 1.0
	s_delay_alu instid0(VALU_DEP_1) | instskip(NEXT) | instid1(VALU_DEP_1)
	v_ldexp_f64 v[34:35], v[34:35], v54
	v_cndmask_b32_e32 v35, 0x7ff00000, v35, vcc_lo
	s_and_b32 vcc_lo, s1, vcc_lo
	s_delay_alu instid0(VALU_DEP_1) | instskip(NEXT) | instid1(VALU_DEP_3)
	v_cndmask_b32_e64 v19, 0, v35, s1
	v_cndmask_b32_e32 v18, 0, v34, vcc_lo
	s_delay_alu instid0(VALU_DEP_1) | instskip(NEXT) | instid1(VALU_DEP_1)
	v_add_f64 v[34:35], v[18:19], 1.0
	v_frexp_mant_f64_e32 v[36:37], v[34:35]
	v_frexp_exp_i32_f64_e32 v54, v[34:35]
	v_add_f64 v[48:49], v[34:35], -1.0
	s_delay_alu instid0(VALU_DEP_3) | instskip(SKIP_1) | instid1(VALU_DEP_2)
	v_cmp_gt_f64_e32 vcc_lo, s[6:7], v[36:37]
	s_mov_b32 s6, 0x55555780
	v_add_f64 v[36:37], v[48:49], -v[34:35]
	v_add_f64 v[48:49], v[18:19], -v[48:49]
	v_subrev_co_ci_u32_e32 v114, vcc_lo, 0, v54, vcc_lo
	s_delay_alu instid0(VALU_DEP_3) | instskip(SKIP_1) | instid1(VALU_DEP_3)
	v_add_f64 v[36:37], v[36:37], 1.0
	v_cmp_eq_f64_e32 vcc_lo, 0x7ff00000, v[18:19]
	v_sub_nc_u32_e32 v84, 0, v114
	s_delay_alu instid0(VALU_DEP_1) | instskip(NEXT) | instid1(VALU_DEP_4)
	v_ldexp_f64 v[34:35], v[34:35], v84
	v_add_f64 v[36:37], v[48:49], v[36:37]
	s_delay_alu instid0(VALU_DEP_2) | instskip(SKIP_1) | instid1(VALU_DEP_3)
	v_add_f64 v[54:55], v[34:35], 1.0
	v_add_f64 v[96:97], v[34:35], -1.0
	v_ldexp_f64 v[36:37], v[36:37], v84
	s_delay_alu instid0(VALU_DEP_3) | instskip(NEXT) | instid1(VALU_DEP_3)
	v_add_f64 v[48:49], v[54:55], -1.0
	v_add_f64 v[98:99], v[96:97], 1.0
	s_delay_alu instid0(VALU_DEP_2) | instskip(NEXT) | instid1(VALU_DEP_2)
	v_add_f64 v[48:49], v[34:35], -v[48:49]
	v_add_f64 v[34:35], v[34:35], -v[98:99]
	s_delay_alu instid0(VALU_DEP_2) | instskip(NEXT) | instid1(VALU_DEP_2)
	v_add_f64 v[48:49], v[36:37], v[48:49]
	v_add_f64 v[34:35], v[36:37], v[34:35]
	s_delay_alu instid0(VALU_DEP_2) | instskip(NEXT) | instid1(VALU_DEP_2)
	v_add_f64 v[84:85], v[54:55], v[48:49]
	v_add_f64 v[98:99], v[96:97], v[34:35]
	s_delay_alu instid0(VALU_DEP_2) | instskip(SKIP_1) | instid1(VALU_DEP_2)
	v_rcp_f64_e32 v[86:87], v[84:85]
	v_add_f64 v[54:55], v[84:85], -v[54:55]
	v_add_f64 v[96:97], v[98:99], -v[96:97]
	s_delay_alu instid0(VALU_DEP_2) | instskip(SKIP_3) | instid1(VALU_DEP_2)
	v_add_f64 v[48:49], v[48:49], -v[54:55]
	s_waitcnt_depctr 0xfff
	v_fma_f64 v[100:101], -v[84:85], v[86:87], 1.0
	v_add_f64 v[34:35], v[34:35], -v[96:97]
	v_fma_f64 v[86:87], v[100:101], v[86:87], v[86:87]
	s_delay_alu instid0(VALU_DEP_1) | instskip(NEXT) | instid1(VALU_DEP_1)
	v_fma_f64 v[36:37], -v[84:85], v[86:87], 1.0
	v_fma_f64 v[36:37], v[36:37], v[86:87], v[86:87]
	s_delay_alu instid0(VALU_DEP_1) | instskip(NEXT) | instid1(VALU_DEP_1)
	v_mul_f64 v[86:87], v[98:99], v[36:37]
	v_mul_f64 v[100:101], v[84:85], v[86:87]
	s_delay_alu instid0(VALU_DEP_1) | instskip(NEXT) | instid1(VALU_DEP_1)
	v_fma_f64 v[54:55], v[86:87], v[84:85], -v[100:101]
	v_fma_f64 v[54:55], v[86:87], v[48:49], v[54:55]
	s_delay_alu instid0(VALU_DEP_1) | instskip(NEXT) | instid1(VALU_DEP_1)
	v_add_f64 v[102:103], v[100:101], v[54:55]
	v_add_f64 v[112:113], v[98:99], -v[102:103]
	v_add_f64 v[96:97], v[102:103], -v[100:101]
	s_delay_alu instid0(VALU_DEP_2) | instskip(NEXT) | instid1(VALU_DEP_2)
	v_add_f64 v[98:99], v[98:99], -v[112:113]
	v_add_f64 v[54:55], v[96:97], -v[54:55]
	s_delay_alu instid0(VALU_DEP_2) | instskip(NEXT) | instid1(VALU_DEP_1)
	v_add_f64 v[98:99], v[98:99], -v[102:103]
	v_add_f64 v[34:35], v[34:35], v[98:99]
	s_delay_alu instid0(VALU_DEP_1) | instskip(NEXT) | instid1(VALU_DEP_1)
	v_add_f64 v[34:35], v[54:55], v[34:35]
	v_add_f64 v[54:55], v[112:113], v[34:35]
	s_delay_alu instid0(VALU_DEP_1) | instskip(SKIP_1) | instid1(VALU_DEP_2)
	v_mul_f64 v[96:97], v[36:37], v[54:55]
	v_add_f64 v[102:103], v[112:113], -v[54:55]
	v_mul_f64 v[98:99], v[84:85], v[96:97]
	s_delay_alu instid0(VALU_DEP_2) | instskip(NEXT) | instid1(VALU_DEP_2)
	v_add_f64 v[34:35], v[34:35], v[102:103]
	v_fma_f64 v[84:85], v[96:97], v[84:85], -v[98:99]
	s_delay_alu instid0(VALU_DEP_1) | instskip(NEXT) | instid1(VALU_DEP_1)
	v_fma_f64 v[48:49], v[96:97], v[48:49], v[84:85]
	v_add_f64 v[84:85], v[98:99], v[48:49]
	s_delay_alu instid0(VALU_DEP_1) | instskip(SKIP_1) | instid1(VALU_DEP_2)
	v_add_f64 v[100:101], v[54:55], -v[84:85]
	v_add_f64 v[98:99], v[84:85], -v[98:99]
	;; [unrolled: 1-line block ×3, first 2 shown]
	s_delay_alu instid0(VALU_DEP_2) | instskip(NEXT) | instid1(VALU_DEP_2)
	v_add_f64 v[48:49], v[98:99], -v[48:49]
	v_add_f64 v[54:55], v[54:55], -v[84:85]
	s_delay_alu instid0(VALU_DEP_1) | instskip(SKIP_1) | instid1(VALU_DEP_2)
	v_add_f64 v[34:35], v[34:35], v[54:55]
	v_add_f64 v[54:55], v[86:87], v[96:97]
	;; [unrolled: 1-line block ×3, first 2 shown]
	s_delay_alu instid0(VALU_DEP_2) | instskip(NEXT) | instid1(VALU_DEP_2)
	v_add_f64 v[48:49], v[54:55], -v[86:87]
	v_add_f64 v[34:35], v[100:101], v[34:35]
	s_delay_alu instid0(VALU_DEP_2) | instskip(NEXT) | instid1(VALU_DEP_2)
	v_add_f64 v[48:49], v[96:97], -v[48:49]
	v_mul_f64 v[34:35], v[36:37], v[34:35]
	s_delay_alu instid0(VALU_DEP_1) | instskip(NEXT) | instid1(VALU_DEP_1)
	v_add_f64 v[34:35], v[48:49], v[34:35]
	v_add_f64 v[36:37], v[54:55], v[34:35]
	s_delay_alu instid0(VALU_DEP_1) | instskip(NEXT) | instid1(VALU_DEP_1)
	v_mul_f64 v[48:49], v[36:37], v[36:37]
	v_fma_f64 v[84:85], v[48:49], s[18:19], s[16:17]
	s_mov_b32 s16, 0xd7f4df2e
	s_mov_b32 s17, 0x3fc7474d
	v_mul_f64 v[86:87], v[36:37], v[48:49]
	s_delay_alu instid0(VALU_DEP_2)
	v_fma_f64 v[84:85], v[48:49], v[84:85], s[16:17]
	s_mov_b32 s16, 0x16291751
	s_mov_b32 s17, 0x3fcc71c0
	s_delay_alu instid0(VALU_DEP_1) | instid1(SALU_CYCLE_1)
	v_fma_f64 v[84:85], v[48:49], v[84:85], s[16:17]
	s_mov_b32 s16, 0x9b27acf1
	s_mov_b32 s17, 0x3fd24924
	s_delay_alu instid0(VALU_DEP_1) | instid1(SALU_CYCLE_1)
	;; [unrolled: 4-line block ×3, first 2 shown]
	v_fma_f64 v[84:85], v[48:49], v[84:85], s[16:17]
	s_delay_alu instid0(VALU_DEP_1) | instskip(SKIP_2) | instid1(VALU_DEP_3)
	v_fma_f64 v[48:49], v[48:49], v[84:85], s[6:7]
	v_ldexp_f64 v[84:85], v[36:37], 1
	v_add_f64 v[36:37], v[36:37], -v[54:55]
	v_mul_f64 v[48:49], v[86:87], v[48:49]
	v_cvt_f64_i32_e32 v[86:87], v114
	s_delay_alu instid0(VALU_DEP_3) | instskip(NEXT) | instid1(VALU_DEP_3)
	v_add_f64 v[34:35], v[34:35], -v[36:37]
	v_add_f64 v[54:55], v[84:85], v[48:49]
	s_delay_alu instid0(VALU_DEP_3) | instskip(NEXT) | instid1(VALU_DEP_3)
	v_mul_f64 v[96:97], v[86:87], s[2:3]
	v_ldexp_f64 v[34:35], v[34:35], 1
	s_delay_alu instid0(VALU_DEP_3) | instskip(NEXT) | instid1(VALU_DEP_3)
	v_add_f64 v[36:37], v[54:55], -v[84:85]
	v_fma_f64 v[84:85], v[86:87], s[2:3], -v[96:97]
	s_delay_alu instid0(VALU_DEP_2) | instskip(NEXT) | instid1(VALU_DEP_2)
	v_add_f64 v[36:37], v[48:49], -v[36:37]
	v_fma_f64 v[48:49], v[86:87], s[4:5], v[84:85]
	s_delay_alu instid0(VALU_DEP_2) | instskip(NEXT) | instid1(VALU_DEP_2)
	v_add_f64 v[34:35], v[34:35], v[36:37]
	v_add_f64 v[36:37], v[96:97], v[48:49]
	s_delay_alu instid0(VALU_DEP_2) | instskip(NEXT) | instid1(VALU_DEP_2)
	v_add_f64 v[84:85], v[54:55], v[34:35]
	v_add_f64 v[96:97], v[36:37], -v[96:97]
	s_delay_alu instid0(VALU_DEP_2) | instskip(SKIP_1) | instid1(VALU_DEP_3)
	v_add_f64 v[86:87], v[36:37], v[84:85]
	v_add_f64 v[54:55], v[84:85], -v[54:55]
	v_add_f64 v[48:49], v[48:49], -v[96:97]
	s_delay_alu instid0(VALU_DEP_3) | instskip(NEXT) | instid1(VALU_DEP_3)
	v_add_f64 v[98:99], v[86:87], -v[36:37]
	v_add_f64 v[34:35], v[34:35], -v[54:55]
	s_delay_alu instid0(VALU_DEP_2) | instskip(SKIP_1) | instid1(VALU_DEP_3)
	v_add_f64 v[100:101], v[86:87], -v[98:99]
	v_add_f64 v[54:55], v[84:85], -v[98:99]
	v_add_f64 v[84:85], v[48:49], v[34:35]
	s_delay_alu instid0(VALU_DEP_3) | instskip(NEXT) | instid1(VALU_DEP_1)
	v_add_f64 v[36:37], v[36:37], -v[100:101]
	v_add_f64 v[36:37], v[54:55], v[36:37]
	s_delay_alu instid0(VALU_DEP_3) | instskip(NEXT) | instid1(VALU_DEP_2)
	v_add_f64 v[54:55], v[84:85], -v[48:49]
	v_add_f64 v[36:37], v[84:85], v[36:37]
	s_delay_alu instid0(VALU_DEP_2) | instskip(SKIP_1) | instid1(VALU_DEP_3)
	v_add_f64 v[84:85], v[84:85], -v[54:55]
	v_add_f64 v[34:35], v[34:35], -v[54:55]
	v_add_f64 v[96:97], v[86:87], v[36:37]
	s_delay_alu instid0(VALU_DEP_3) | instskip(NEXT) | instid1(VALU_DEP_2)
	v_add_f64 v[48:49], v[48:49], -v[84:85]
	v_add_f64 v[54:55], v[96:97], -v[86:87]
	s_delay_alu instid0(VALU_DEP_2) | instskip(NEXT) | instid1(VALU_DEP_2)
	v_add_f64 v[34:35], v[34:35], v[48:49]
	v_add_f64 v[36:37], v[36:37], -v[54:55]
	s_delay_alu instid0(VALU_DEP_1) | instskip(NEXT) | instid1(VALU_DEP_1)
	v_add_f64 v[34:35], v[34:35], v[36:37]
	v_add_f64 v[34:35], v[96:97], v[34:35]
	s_delay_alu instid0(VALU_DEP_1) | instskip(SKIP_1) | instid1(VALU_DEP_2)
	v_dual_cndmask_b32 v35, v35, v19 :: v_dual_cndmask_b32 v34, v34, v18
	v_cmp_ngt_f64_e32 vcc_lo, -1.0, v[18:19]
	v_cndmask_b32_e32 v35, 0x7ff80000, v35, vcc_lo
	v_cmp_nge_f64_e32 vcc_lo, -1.0, v[18:19]
	s_delay_alu instid0(VALU_DEP_4) | instskip(SKIP_1) | instid1(VALU_DEP_4)
	v_cndmask_b32_e32 v34, 0, v34, vcc_lo
	v_cmp_neq_f64_e32 vcc_lo, -1.0, v[18:19]
	v_cndmask_b32_e32 v35, 0xfff00000, v35, vcc_lo
	s_delay_alu instid0(VALU_DEP_1)
	v_add_f64 v[18:19], v[32:33], v[34:35]
.LBB56_354:
	s_or_b32 exec_lo, exec_lo, s8
	s_delay_alu instid0(VALU_DEP_1) | instskip(SKIP_1) | instid1(VALU_DEP_2)
	v_max_f64 v[32:33], v[18:19], v[18:19]
	v_cmp_u_f64_e32 vcc_lo, v[18:19], v[18:19]
	v_min_f64 v[34:35], v[32:33], v[20:21]
	v_max_f64 v[20:21], v[32:33], v[20:21]
	s_delay_alu instid0(VALU_DEP_2) | instskip(NEXT) | instid1(VALU_DEP_2)
	v_dual_cndmask_b32 v32, v34, v18 :: v_dual_cndmask_b32 v33, v35, v19
	v_dual_cndmask_b32 v21, v21, v19 :: v_dual_cndmask_b32 v20, v20, v18
	s_delay_alu instid0(VALU_DEP_2) | instskip(NEXT) | instid1(VALU_DEP_3)
	v_cndmask_b32_e64 v34, v32, v80, s10
	v_cndmask_b32_e64 v35, v33, v81, s10
	s_delay_alu instid0(VALU_DEP_3) | instskip(NEXT) | instid1(VALU_DEP_4)
	v_cndmask_b32_e64 v33, v21, v81, s10
	v_cndmask_b32_e64 v32, v20, v80, s10
	v_dual_mov_b32 v21, v19 :: v_dual_mov_b32 v20, v18
	s_delay_alu instid0(VALU_DEP_4) | instskip(NEXT) | instid1(VALU_DEP_3)
	v_cmp_class_f64_e64 s1, v[34:35], 0x1f8
	v_cmp_neq_f64_e32 vcc_lo, v[34:35], v[32:33]
	s_delay_alu instid0(VALU_DEP_2) | instskip(NEXT) | instid1(SALU_CYCLE_1)
	s_or_b32 s1, vcc_lo, s1
	s_and_saveexec_b32 s8, s1
	s_cbranch_execz .LBB56_356
; %bb.355:
	v_add_f64 v[20:21], v[34:35], -v[32:33]
	s_mov_b32 s2, 0x652b82fe
	s_mov_b32 s3, 0x3ff71547
	;; [unrolled: 1-line block ×10, first 2 shown]
	s_delay_alu instid0(VALU_DEP_1) | instskip(SKIP_4) | instid1(VALU_DEP_3)
	v_mul_f64 v[34:35], v[20:21], s[2:3]
	s_mov_b32 s3, 0xbfe62e42
	s_mov_b32 s2, 0xfefa39ef
	v_cmp_nlt_f64_e32 vcc_lo, 0x40900000, v[20:21]
	v_cmp_ngt_f64_e64 s1, 0xc090cc00, v[20:21]
	v_rndne_f64_e32 v[34:35], v[34:35]
	s_delay_alu instid0(VALU_DEP_1) | instskip(SKIP_2) | instid1(VALU_DEP_2)
	v_fma_f64 v[36:37], v[34:35], s[2:3], v[20:21]
	v_cvt_i32_f64_e32 v54, v[34:35]
	s_mov_b32 s3, 0x3fe62e42
	v_fma_f64 v[36:37], v[34:35], s[4:5], v[36:37]
	s_mov_b32 s5, 0x3c7abc9e
	s_waitcnt lgkmcnt(0)
	s_delay_alu instid0(VALU_DEP_1) | instskip(SKIP_4) | instid1(VALU_DEP_1)
	v_fma_f64 v[48:49], v[36:37], s[16:17], s[6:7]
	s_mov_b32 s6, 0x623fde64
	s_mov_b32 s7, 0x3ec71dee
	;; [unrolled: 1-line block ×4, first 2 shown]
	v_fma_f64 v[48:49], v[36:37], v[48:49], s[6:7]
	s_mov_b32 s6, 0x7c89e6b0
	s_mov_b32 s7, 0x3efa0199
	s_delay_alu instid0(VALU_DEP_1) | instid1(SALU_CYCLE_1)
	v_fma_f64 v[48:49], v[36:37], v[48:49], s[6:7]
	s_mov_b32 s6, 0x14761f6e
	s_mov_b32 s7, 0x3f2a01a0
	s_delay_alu instid0(VALU_DEP_1) | instid1(SALU_CYCLE_1)
	;; [unrolled: 4-line block ×7, first 2 shown]
	v_fma_f64 v[48:49], v[36:37], v[48:49], s[6:7]
	s_mov_b32 s7, 0x3fe55555
	s_mov_b32 s6, 0x55555555
	s_delay_alu instid0(VALU_DEP_1) | instskip(NEXT) | instid1(VALU_DEP_1)
	v_fma_f64 v[48:49], v[36:37], v[48:49], 1.0
	v_fma_f64 v[34:35], v[36:37], v[48:49], 1.0
	s_delay_alu instid0(VALU_DEP_1) | instskip(NEXT) | instid1(VALU_DEP_1)
	v_ldexp_f64 v[34:35], v[34:35], v54
	v_cndmask_b32_e32 v35, 0x7ff00000, v35, vcc_lo
	s_and_b32 vcc_lo, s1, vcc_lo
	s_delay_alu instid0(VALU_DEP_1) | instskip(NEXT) | instid1(VALU_DEP_3)
	v_cndmask_b32_e64 v21, 0, v35, s1
	v_cndmask_b32_e32 v20, 0, v34, vcc_lo
	s_delay_alu instid0(VALU_DEP_1) | instskip(NEXT) | instid1(VALU_DEP_1)
	v_add_f64 v[34:35], v[20:21], 1.0
	v_frexp_mant_f64_e32 v[36:37], v[34:35]
	v_frexp_exp_i32_f64_e32 v54, v[34:35]
	v_add_f64 v[48:49], v[34:35], -1.0
	s_delay_alu instid0(VALU_DEP_3) | instskip(SKIP_1) | instid1(VALU_DEP_2)
	v_cmp_gt_f64_e32 vcc_lo, s[6:7], v[36:37]
	s_mov_b32 s6, 0x55555780
	v_add_f64 v[36:37], v[48:49], -v[34:35]
	v_add_f64 v[48:49], v[20:21], -v[48:49]
	v_subrev_co_ci_u32_e32 v112, vcc_lo, 0, v54, vcc_lo
	s_delay_alu instid0(VALU_DEP_3) | instskip(SKIP_1) | instid1(VALU_DEP_3)
	v_add_f64 v[36:37], v[36:37], 1.0
	v_cmp_eq_f64_e32 vcc_lo, 0x7ff00000, v[20:21]
	v_sub_nc_u32_e32 v80, 0, v112
	s_delay_alu instid0(VALU_DEP_1) | instskip(NEXT) | instid1(VALU_DEP_4)
	v_ldexp_f64 v[34:35], v[34:35], v80
	v_add_f64 v[36:37], v[48:49], v[36:37]
	s_delay_alu instid0(VALU_DEP_2) | instskip(SKIP_1) | instid1(VALU_DEP_3)
	v_add_f64 v[54:55], v[34:35], 1.0
	v_add_f64 v[86:87], v[34:35], -1.0
	v_ldexp_f64 v[36:37], v[36:37], v80
	s_delay_alu instid0(VALU_DEP_3) | instskip(NEXT) | instid1(VALU_DEP_3)
	v_add_f64 v[48:49], v[54:55], -1.0
	v_add_f64 v[96:97], v[86:87], 1.0
	s_delay_alu instid0(VALU_DEP_2) | instskip(NEXT) | instid1(VALU_DEP_2)
	v_add_f64 v[48:49], v[34:35], -v[48:49]
	v_add_f64 v[34:35], v[34:35], -v[96:97]
	s_delay_alu instid0(VALU_DEP_2) | instskip(NEXT) | instid1(VALU_DEP_2)
	v_add_f64 v[48:49], v[36:37], v[48:49]
	v_add_f64 v[34:35], v[36:37], v[34:35]
	s_delay_alu instid0(VALU_DEP_2) | instskip(NEXT) | instid1(VALU_DEP_2)
	v_add_f64 v[80:81], v[54:55], v[48:49]
	v_add_f64 v[96:97], v[86:87], v[34:35]
	s_delay_alu instid0(VALU_DEP_2) | instskip(SKIP_1) | instid1(VALU_DEP_2)
	v_rcp_f64_e32 v[84:85], v[80:81]
	v_add_f64 v[54:55], v[80:81], -v[54:55]
	v_add_f64 v[86:87], v[96:97], -v[86:87]
	s_delay_alu instid0(VALU_DEP_2) | instskip(SKIP_3) | instid1(VALU_DEP_2)
	v_add_f64 v[48:49], v[48:49], -v[54:55]
	s_waitcnt_depctr 0xfff
	v_fma_f64 v[98:99], -v[80:81], v[84:85], 1.0
	v_add_f64 v[34:35], v[34:35], -v[86:87]
	v_fma_f64 v[84:85], v[98:99], v[84:85], v[84:85]
	s_delay_alu instid0(VALU_DEP_1) | instskip(NEXT) | instid1(VALU_DEP_1)
	v_fma_f64 v[36:37], -v[80:81], v[84:85], 1.0
	v_fma_f64 v[36:37], v[36:37], v[84:85], v[84:85]
	s_delay_alu instid0(VALU_DEP_1) | instskip(NEXT) | instid1(VALU_DEP_1)
	v_mul_f64 v[84:85], v[96:97], v[36:37]
	v_mul_f64 v[98:99], v[80:81], v[84:85]
	s_delay_alu instid0(VALU_DEP_1) | instskip(NEXT) | instid1(VALU_DEP_1)
	v_fma_f64 v[54:55], v[84:85], v[80:81], -v[98:99]
	v_fma_f64 v[54:55], v[84:85], v[48:49], v[54:55]
	s_delay_alu instid0(VALU_DEP_1) | instskip(NEXT) | instid1(VALU_DEP_1)
	v_add_f64 v[100:101], v[98:99], v[54:55]
	v_add_f64 v[102:103], v[96:97], -v[100:101]
	v_add_f64 v[86:87], v[100:101], -v[98:99]
	s_delay_alu instid0(VALU_DEP_2) | instskip(NEXT) | instid1(VALU_DEP_2)
	v_add_f64 v[96:97], v[96:97], -v[102:103]
	v_add_f64 v[54:55], v[86:87], -v[54:55]
	s_delay_alu instid0(VALU_DEP_2) | instskip(NEXT) | instid1(VALU_DEP_1)
	v_add_f64 v[96:97], v[96:97], -v[100:101]
	v_add_f64 v[34:35], v[34:35], v[96:97]
	s_delay_alu instid0(VALU_DEP_1) | instskip(NEXT) | instid1(VALU_DEP_1)
	v_add_f64 v[34:35], v[54:55], v[34:35]
	v_add_f64 v[54:55], v[102:103], v[34:35]
	s_delay_alu instid0(VALU_DEP_1) | instskip(SKIP_1) | instid1(VALU_DEP_2)
	v_mul_f64 v[86:87], v[36:37], v[54:55]
	v_add_f64 v[100:101], v[102:103], -v[54:55]
	v_mul_f64 v[96:97], v[80:81], v[86:87]
	s_delay_alu instid0(VALU_DEP_2) | instskip(NEXT) | instid1(VALU_DEP_2)
	v_add_f64 v[34:35], v[34:35], v[100:101]
	v_fma_f64 v[80:81], v[86:87], v[80:81], -v[96:97]
	s_delay_alu instid0(VALU_DEP_1) | instskip(NEXT) | instid1(VALU_DEP_1)
	v_fma_f64 v[48:49], v[86:87], v[48:49], v[80:81]
	v_add_f64 v[80:81], v[96:97], v[48:49]
	s_delay_alu instid0(VALU_DEP_1) | instskip(SKIP_1) | instid1(VALU_DEP_2)
	v_add_f64 v[98:99], v[54:55], -v[80:81]
	v_add_f64 v[96:97], v[80:81], -v[96:97]
	;; [unrolled: 1-line block ×3, first 2 shown]
	s_delay_alu instid0(VALU_DEP_2) | instskip(NEXT) | instid1(VALU_DEP_2)
	v_add_f64 v[48:49], v[96:97], -v[48:49]
	v_add_f64 v[54:55], v[54:55], -v[80:81]
	s_delay_alu instid0(VALU_DEP_1) | instskip(SKIP_1) | instid1(VALU_DEP_2)
	v_add_f64 v[34:35], v[34:35], v[54:55]
	v_add_f64 v[54:55], v[84:85], v[86:87]
	;; [unrolled: 1-line block ×3, first 2 shown]
	s_delay_alu instid0(VALU_DEP_2) | instskip(NEXT) | instid1(VALU_DEP_2)
	v_add_f64 v[48:49], v[54:55], -v[84:85]
	v_add_f64 v[34:35], v[98:99], v[34:35]
	s_delay_alu instid0(VALU_DEP_2) | instskip(NEXT) | instid1(VALU_DEP_2)
	v_add_f64 v[48:49], v[86:87], -v[48:49]
	v_mul_f64 v[34:35], v[36:37], v[34:35]
	s_delay_alu instid0(VALU_DEP_1) | instskip(NEXT) | instid1(VALU_DEP_1)
	v_add_f64 v[34:35], v[48:49], v[34:35]
	v_add_f64 v[36:37], v[54:55], v[34:35]
	s_delay_alu instid0(VALU_DEP_1) | instskip(NEXT) | instid1(VALU_DEP_1)
	v_mul_f64 v[48:49], v[36:37], v[36:37]
	v_fma_f64 v[80:81], v[48:49], s[18:19], s[16:17]
	s_mov_b32 s16, 0xd7f4df2e
	s_mov_b32 s17, 0x3fc7474d
	v_mul_f64 v[84:85], v[36:37], v[48:49]
	s_delay_alu instid0(VALU_DEP_2)
	v_fma_f64 v[80:81], v[48:49], v[80:81], s[16:17]
	s_mov_b32 s16, 0x16291751
	s_mov_b32 s17, 0x3fcc71c0
	s_delay_alu instid0(VALU_DEP_1) | instid1(SALU_CYCLE_1)
	v_fma_f64 v[80:81], v[48:49], v[80:81], s[16:17]
	s_mov_b32 s16, 0x9b27acf1
	s_mov_b32 s17, 0x3fd24924
	s_delay_alu instid0(VALU_DEP_1) | instid1(SALU_CYCLE_1)
	;; [unrolled: 4-line block ×3, first 2 shown]
	v_fma_f64 v[80:81], v[48:49], v[80:81], s[16:17]
	s_delay_alu instid0(VALU_DEP_1) | instskip(SKIP_2) | instid1(VALU_DEP_3)
	v_fma_f64 v[48:49], v[48:49], v[80:81], s[6:7]
	v_ldexp_f64 v[80:81], v[36:37], 1
	v_add_f64 v[36:37], v[36:37], -v[54:55]
	v_mul_f64 v[48:49], v[84:85], v[48:49]
	v_cvt_f64_i32_e32 v[84:85], v112
	s_delay_alu instid0(VALU_DEP_3) | instskip(NEXT) | instid1(VALU_DEP_3)
	v_add_f64 v[34:35], v[34:35], -v[36:37]
	v_add_f64 v[54:55], v[80:81], v[48:49]
	s_delay_alu instid0(VALU_DEP_3) | instskip(NEXT) | instid1(VALU_DEP_3)
	v_mul_f64 v[86:87], v[84:85], s[2:3]
	v_ldexp_f64 v[34:35], v[34:35], 1
	s_delay_alu instid0(VALU_DEP_3) | instskip(NEXT) | instid1(VALU_DEP_3)
	v_add_f64 v[36:37], v[54:55], -v[80:81]
	v_fma_f64 v[80:81], v[84:85], s[2:3], -v[86:87]
	s_delay_alu instid0(VALU_DEP_2) | instskip(NEXT) | instid1(VALU_DEP_2)
	v_add_f64 v[36:37], v[48:49], -v[36:37]
	v_fma_f64 v[48:49], v[84:85], s[4:5], v[80:81]
	s_delay_alu instid0(VALU_DEP_2) | instskip(NEXT) | instid1(VALU_DEP_2)
	v_add_f64 v[34:35], v[34:35], v[36:37]
	v_add_f64 v[36:37], v[86:87], v[48:49]
	s_delay_alu instid0(VALU_DEP_2) | instskip(NEXT) | instid1(VALU_DEP_2)
	v_add_f64 v[80:81], v[54:55], v[34:35]
	v_add_f64 v[86:87], v[36:37], -v[86:87]
	s_delay_alu instid0(VALU_DEP_2) | instskip(SKIP_1) | instid1(VALU_DEP_3)
	v_add_f64 v[84:85], v[36:37], v[80:81]
	v_add_f64 v[54:55], v[80:81], -v[54:55]
	v_add_f64 v[48:49], v[48:49], -v[86:87]
	s_delay_alu instid0(VALU_DEP_3) | instskip(NEXT) | instid1(VALU_DEP_3)
	v_add_f64 v[96:97], v[84:85], -v[36:37]
	v_add_f64 v[34:35], v[34:35], -v[54:55]
	s_delay_alu instid0(VALU_DEP_2) | instskip(SKIP_1) | instid1(VALU_DEP_3)
	v_add_f64 v[98:99], v[84:85], -v[96:97]
	v_add_f64 v[54:55], v[80:81], -v[96:97]
	v_add_f64 v[80:81], v[48:49], v[34:35]
	s_delay_alu instid0(VALU_DEP_3) | instskip(NEXT) | instid1(VALU_DEP_1)
	v_add_f64 v[36:37], v[36:37], -v[98:99]
	v_add_f64 v[36:37], v[54:55], v[36:37]
	s_delay_alu instid0(VALU_DEP_3) | instskip(NEXT) | instid1(VALU_DEP_2)
	v_add_f64 v[54:55], v[80:81], -v[48:49]
	v_add_f64 v[36:37], v[80:81], v[36:37]
	s_delay_alu instid0(VALU_DEP_2) | instskip(SKIP_1) | instid1(VALU_DEP_3)
	v_add_f64 v[80:81], v[80:81], -v[54:55]
	v_add_f64 v[34:35], v[34:35], -v[54:55]
	v_add_f64 v[86:87], v[84:85], v[36:37]
	s_delay_alu instid0(VALU_DEP_3) | instskip(NEXT) | instid1(VALU_DEP_2)
	v_add_f64 v[48:49], v[48:49], -v[80:81]
	v_add_f64 v[54:55], v[86:87], -v[84:85]
	s_delay_alu instid0(VALU_DEP_2) | instskip(NEXT) | instid1(VALU_DEP_2)
	v_add_f64 v[34:35], v[34:35], v[48:49]
	v_add_f64 v[36:37], v[36:37], -v[54:55]
	s_delay_alu instid0(VALU_DEP_1) | instskip(NEXT) | instid1(VALU_DEP_1)
	v_add_f64 v[34:35], v[34:35], v[36:37]
	v_add_f64 v[34:35], v[86:87], v[34:35]
	s_delay_alu instid0(VALU_DEP_1) | instskip(SKIP_1) | instid1(VALU_DEP_2)
	v_dual_cndmask_b32 v35, v35, v21 :: v_dual_cndmask_b32 v34, v34, v20
	v_cmp_ngt_f64_e32 vcc_lo, -1.0, v[20:21]
	v_cndmask_b32_e32 v35, 0x7ff80000, v35, vcc_lo
	v_cmp_nge_f64_e32 vcc_lo, -1.0, v[20:21]
	s_delay_alu instid0(VALU_DEP_4) | instskip(SKIP_1) | instid1(VALU_DEP_4)
	v_cndmask_b32_e32 v34, 0, v34, vcc_lo
	v_cmp_neq_f64_e32 vcc_lo, -1.0, v[20:21]
	v_cndmask_b32_e32 v35, 0xfff00000, v35, vcc_lo
	s_delay_alu instid0(VALU_DEP_1)
	v_add_f64 v[20:21], v[32:33], v[34:35]
.LBB56_356:
	s_or_b32 exec_lo, exec_lo, s8
	s_delay_alu instid0(VALU_DEP_1) | instskip(SKIP_1) | instid1(VALU_DEP_2)
	v_max_f64 v[32:33], v[20:21], v[20:21]
	v_cmp_u_f64_e32 vcc_lo, v[20:21], v[20:21]
	v_min_f64 v[34:35], v[32:33], v[22:23]
	v_max_f64 v[22:23], v[32:33], v[22:23]
	s_delay_alu instid0(VALU_DEP_2) | instskip(NEXT) | instid1(VALU_DEP_2)
	v_dual_cndmask_b32 v32, v34, v20 :: v_dual_cndmask_b32 v33, v35, v21
	v_dual_cndmask_b32 v23, v23, v21 :: v_dual_cndmask_b32 v22, v22, v20
	s_delay_alu instid0(VALU_DEP_2) | instskip(NEXT) | instid1(VALU_DEP_3)
	v_cndmask_b32_e64 v34, v32, v82, s11
	v_cndmask_b32_e64 v35, v33, v83, s11
	s_delay_alu instid0(VALU_DEP_3) | instskip(NEXT) | instid1(VALU_DEP_4)
	v_cndmask_b32_e64 v33, v23, v83, s11
	v_cndmask_b32_e64 v32, v22, v82, s11
	v_dual_mov_b32 v23, v21 :: v_dual_mov_b32 v22, v20
	s_delay_alu instid0(VALU_DEP_4) | instskip(NEXT) | instid1(VALU_DEP_3)
	v_cmp_class_f64_e64 s1, v[34:35], 0x1f8
	v_cmp_neq_f64_e32 vcc_lo, v[34:35], v[32:33]
	s_delay_alu instid0(VALU_DEP_2) | instskip(NEXT) | instid1(SALU_CYCLE_1)
	s_or_b32 s1, vcc_lo, s1
	s_and_saveexec_b32 s8, s1
	s_cbranch_execz .LBB56_358
; %bb.357:
	v_add_f64 v[22:23], v[34:35], -v[32:33]
	s_mov_b32 s2, 0x652b82fe
	s_mov_b32 s3, 0x3ff71547
	;; [unrolled: 1-line block ×10, first 2 shown]
	s_delay_alu instid0(VALU_DEP_1) | instskip(SKIP_4) | instid1(VALU_DEP_3)
	v_mul_f64 v[34:35], v[22:23], s[2:3]
	s_mov_b32 s3, 0xbfe62e42
	s_mov_b32 s2, 0xfefa39ef
	v_cmp_nlt_f64_e32 vcc_lo, 0x40900000, v[22:23]
	v_cmp_ngt_f64_e64 s1, 0xc090cc00, v[22:23]
	v_rndne_f64_e32 v[34:35], v[34:35]
	s_delay_alu instid0(VALU_DEP_1) | instskip(SKIP_2) | instid1(VALU_DEP_2)
	v_fma_f64 v[36:37], v[34:35], s[2:3], v[22:23]
	v_cvt_i32_f64_e32 v54, v[34:35]
	s_mov_b32 s3, 0x3fe62e42
	v_fma_f64 v[36:37], v[34:35], s[4:5], v[36:37]
	s_mov_b32 s5, 0x3c7abc9e
	s_waitcnt lgkmcnt(0)
	s_delay_alu instid0(VALU_DEP_1) | instskip(SKIP_4) | instid1(VALU_DEP_1)
	v_fma_f64 v[48:49], v[36:37], s[10:11], s[6:7]
	s_mov_b32 s6, 0x623fde64
	s_mov_b32 s7, 0x3ec71dee
	s_mov_b32 s10, 0x6b47b09a
	s_mov_b32 s11, 0x3fc38538
	v_fma_f64 v[48:49], v[36:37], v[48:49], s[6:7]
	s_mov_b32 s6, 0x7c89e6b0
	s_mov_b32 s7, 0x3efa0199
	s_delay_alu instid0(VALU_DEP_1) | instid1(SALU_CYCLE_1)
	v_fma_f64 v[48:49], v[36:37], v[48:49], s[6:7]
	s_mov_b32 s6, 0x14761f6e
	s_mov_b32 s7, 0x3f2a01a0
	s_delay_alu instid0(VALU_DEP_1) | instid1(SALU_CYCLE_1)
	v_fma_f64 v[48:49], v[36:37], v[48:49], s[6:7]
	s_mov_b32 s6, 0x1852b7b0
	s_mov_b32 s7, 0x3f56c16c
	s_delay_alu instid0(VALU_DEP_1) | instid1(SALU_CYCLE_1)
	v_fma_f64 v[48:49], v[36:37], v[48:49], s[6:7]
	s_mov_b32 s6, 0x11122322
	s_mov_b32 s7, 0x3f811111
	s_delay_alu instid0(VALU_DEP_1) | instid1(SALU_CYCLE_1)
	v_fma_f64 v[48:49], v[36:37], v[48:49], s[6:7]
	s_mov_b32 s6, 0x555502a1
	s_mov_b32 s7, 0x3fa55555
	s_delay_alu instid0(VALU_DEP_1) | instid1(SALU_CYCLE_1)
	v_fma_f64 v[48:49], v[36:37], v[48:49], s[6:7]
	s_mov_b32 s6, 0x55555511
	s_mov_b32 s7, 0x3fc55555
	s_delay_alu instid0(VALU_DEP_1) | instid1(SALU_CYCLE_1)
	v_fma_f64 v[48:49], v[36:37], v[48:49], s[6:7]
	s_mov_b32 s6, 11
	s_mov_b32 s7, 0x3fe00000
	s_delay_alu instid0(VALU_DEP_1) | instid1(SALU_CYCLE_1)
	v_fma_f64 v[48:49], v[36:37], v[48:49], s[6:7]
	s_mov_b32 s7, 0x3fe55555
	s_mov_b32 s6, 0x55555555
	s_delay_alu instid0(VALU_DEP_1) | instskip(NEXT) | instid1(VALU_DEP_1)
	v_fma_f64 v[48:49], v[36:37], v[48:49], 1.0
	v_fma_f64 v[34:35], v[36:37], v[48:49], 1.0
	s_delay_alu instid0(VALU_DEP_1) | instskip(NEXT) | instid1(VALU_DEP_1)
	v_ldexp_f64 v[34:35], v[34:35], v54
	v_cndmask_b32_e32 v35, 0x7ff00000, v35, vcc_lo
	s_and_b32 vcc_lo, s1, vcc_lo
	s_delay_alu instid0(VALU_DEP_1) | instskip(NEXT) | instid1(VALU_DEP_3)
	v_cndmask_b32_e64 v23, 0, v35, s1
	v_cndmask_b32_e32 v22, 0, v34, vcc_lo
	s_delay_alu instid0(VALU_DEP_1) | instskip(NEXT) | instid1(VALU_DEP_1)
	v_add_f64 v[34:35], v[22:23], 1.0
	v_frexp_mant_f64_e32 v[36:37], v[34:35]
	v_frexp_exp_i32_f64_e32 v54, v[34:35]
	v_add_f64 v[48:49], v[34:35], -1.0
	s_delay_alu instid0(VALU_DEP_3) | instskip(SKIP_1) | instid1(VALU_DEP_2)
	v_cmp_gt_f64_e32 vcc_lo, s[6:7], v[36:37]
	s_mov_b32 s6, 0x55555780
	v_add_f64 v[36:37], v[48:49], -v[34:35]
	v_add_f64 v[48:49], v[22:23], -v[48:49]
	v_subrev_co_ci_u32_e32 v102, vcc_lo, 0, v54, vcc_lo
	s_delay_alu instid0(VALU_DEP_3) | instskip(SKIP_1) | instid1(VALU_DEP_3)
	v_add_f64 v[36:37], v[36:37], 1.0
	v_cmp_eq_f64_e32 vcc_lo, 0x7ff00000, v[22:23]
	v_sub_nc_u32_e32 v80, 0, v102
	s_delay_alu instid0(VALU_DEP_1) | instskip(NEXT) | instid1(VALU_DEP_4)
	v_ldexp_f64 v[34:35], v[34:35], v80
	v_add_f64 v[36:37], v[48:49], v[36:37]
	s_delay_alu instid0(VALU_DEP_2) | instskip(SKIP_1) | instid1(VALU_DEP_3)
	v_add_f64 v[54:55], v[34:35], 1.0
	v_add_f64 v[84:85], v[34:35], -1.0
	v_ldexp_f64 v[36:37], v[36:37], v80
	s_delay_alu instid0(VALU_DEP_3) | instskip(NEXT) | instid1(VALU_DEP_3)
	v_add_f64 v[48:49], v[54:55], -1.0
	v_add_f64 v[86:87], v[84:85], 1.0
	s_delay_alu instid0(VALU_DEP_2) | instskip(NEXT) | instid1(VALU_DEP_2)
	v_add_f64 v[48:49], v[34:35], -v[48:49]
	v_add_f64 v[34:35], v[34:35], -v[86:87]
	s_delay_alu instid0(VALU_DEP_2) | instskip(NEXT) | instid1(VALU_DEP_2)
	v_add_f64 v[48:49], v[36:37], v[48:49]
	v_add_f64 v[34:35], v[36:37], v[34:35]
	s_delay_alu instid0(VALU_DEP_2) | instskip(NEXT) | instid1(VALU_DEP_2)
	v_add_f64 v[80:81], v[54:55], v[48:49]
	v_add_f64 v[86:87], v[84:85], v[34:35]
	s_delay_alu instid0(VALU_DEP_2) | instskip(SKIP_1) | instid1(VALU_DEP_2)
	v_rcp_f64_e32 v[82:83], v[80:81]
	v_add_f64 v[54:55], v[80:81], -v[54:55]
	v_add_f64 v[84:85], v[86:87], -v[84:85]
	s_delay_alu instid0(VALU_DEP_2) | instskip(SKIP_3) | instid1(VALU_DEP_2)
	v_add_f64 v[48:49], v[48:49], -v[54:55]
	s_waitcnt_depctr 0xfff
	v_fma_f64 v[96:97], -v[80:81], v[82:83], 1.0
	v_add_f64 v[34:35], v[34:35], -v[84:85]
	v_fma_f64 v[82:83], v[96:97], v[82:83], v[82:83]
	s_delay_alu instid0(VALU_DEP_1) | instskip(NEXT) | instid1(VALU_DEP_1)
	v_fma_f64 v[36:37], -v[80:81], v[82:83], 1.0
	v_fma_f64 v[36:37], v[36:37], v[82:83], v[82:83]
	s_delay_alu instid0(VALU_DEP_1) | instskip(NEXT) | instid1(VALU_DEP_1)
	v_mul_f64 v[82:83], v[86:87], v[36:37]
	v_mul_f64 v[96:97], v[80:81], v[82:83]
	s_delay_alu instid0(VALU_DEP_1) | instskip(NEXT) | instid1(VALU_DEP_1)
	v_fma_f64 v[54:55], v[82:83], v[80:81], -v[96:97]
	v_fma_f64 v[54:55], v[82:83], v[48:49], v[54:55]
	s_delay_alu instid0(VALU_DEP_1) | instskip(NEXT) | instid1(VALU_DEP_1)
	v_add_f64 v[98:99], v[96:97], v[54:55]
	v_add_f64 v[100:101], v[86:87], -v[98:99]
	v_add_f64 v[84:85], v[98:99], -v[96:97]
	s_delay_alu instid0(VALU_DEP_2) | instskip(NEXT) | instid1(VALU_DEP_2)
	v_add_f64 v[86:87], v[86:87], -v[100:101]
	v_add_f64 v[54:55], v[84:85], -v[54:55]
	s_delay_alu instid0(VALU_DEP_2) | instskip(NEXT) | instid1(VALU_DEP_1)
	v_add_f64 v[86:87], v[86:87], -v[98:99]
	v_add_f64 v[34:35], v[34:35], v[86:87]
	s_delay_alu instid0(VALU_DEP_1) | instskip(NEXT) | instid1(VALU_DEP_1)
	v_add_f64 v[34:35], v[54:55], v[34:35]
	v_add_f64 v[54:55], v[100:101], v[34:35]
	s_delay_alu instid0(VALU_DEP_1) | instskip(SKIP_1) | instid1(VALU_DEP_2)
	v_mul_f64 v[84:85], v[36:37], v[54:55]
	v_add_f64 v[98:99], v[100:101], -v[54:55]
	v_mul_f64 v[86:87], v[80:81], v[84:85]
	s_delay_alu instid0(VALU_DEP_2) | instskip(NEXT) | instid1(VALU_DEP_2)
	v_add_f64 v[34:35], v[34:35], v[98:99]
	v_fma_f64 v[80:81], v[84:85], v[80:81], -v[86:87]
	s_delay_alu instid0(VALU_DEP_1) | instskip(NEXT) | instid1(VALU_DEP_1)
	v_fma_f64 v[48:49], v[84:85], v[48:49], v[80:81]
	v_add_f64 v[80:81], v[86:87], v[48:49]
	s_delay_alu instid0(VALU_DEP_1) | instskip(SKIP_1) | instid1(VALU_DEP_2)
	v_add_f64 v[96:97], v[54:55], -v[80:81]
	v_add_f64 v[86:87], v[80:81], -v[86:87]
	;; [unrolled: 1-line block ×3, first 2 shown]
	s_delay_alu instid0(VALU_DEP_2) | instskip(NEXT) | instid1(VALU_DEP_2)
	v_add_f64 v[48:49], v[86:87], -v[48:49]
	v_add_f64 v[54:55], v[54:55], -v[80:81]
	s_delay_alu instid0(VALU_DEP_1) | instskip(SKIP_1) | instid1(VALU_DEP_2)
	v_add_f64 v[34:35], v[34:35], v[54:55]
	v_add_f64 v[54:55], v[82:83], v[84:85]
	;; [unrolled: 1-line block ×3, first 2 shown]
	s_delay_alu instid0(VALU_DEP_2) | instskip(NEXT) | instid1(VALU_DEP_2)
	v_add_f64 v[48:49], v[54:55], -v[82:83]
	v_add_f64 v[34:35], v[96:97], v[34:35]
	s_delay_alu instid0(VALU_DEP_2) | instskip(NEXT) | instid1(VALU_DEP_2)
	v_add_f64 v[48:49], v[84:85], -v[48:49]
	v_mul_f64 v[34:35], v[36:37], v[34:35]
	s_delay_alu instid0(VALU_DEP_1) | instskip(NEXT) | instid1(VALU_DEP_1)
	v_add_f64 v[34:35], v[48:49], v[34:35]
	v_add_f64 v[36:37], v[54:55], v[34:35]
	s_delay_alu instid0(VALU_DEP_1) | instskip(NEXT) | instid1(VALU_DEP_1)
	v_mul_f64 v[48:49], v[36:37], v[36:37]
	v_fma_f64 v[80:81], v[48:49], s[16:17], s[10:11]
	s_mov_b32 s10, 0xd7f4df2e
	s_mov_b32 s11, 0x3fc7474d
	v_mul_f64 v[82:83], v[36:37], v[48:49]
	s_delay_alu instid0(VALU_DEP_2)
	v_fma_f64 v[80:81], v[48:49], v[80:81], s[10:11]
	s_mov_b32 s10, 0x16291751
	s_mov_b32 s11, 0x3fcc71c0
	s_delay_alu instid0(VALU_DEP_1) | instid1(SALU_CYCLE_1)
	v_fma_f64 v[80:81], v[48:49], v[80:81], s[10:11]
	s_mov_b32 s10, 0x9b27acf1
	s_mov_b32 s11, 0x3fd24924
	s_delay_alu instid0(VALU_DEP_1) | instid1(SALU_CYCLE_1)
	;; [unrolled: 4-line block ×3, first 2 shown]
	v_fma_f64 v[80:81], v[48:49], v[80:81], s[10:11]
	s_delay_alu instid0(VALU_DEP_1) | instskip(SKIP_2) | instid1(VALU_DEP_3)
	v_fma_f64 v[48:49], v[48:49], v[80:81], s[6:7]
	v_ldexp_f64 v[80:81], v[36:37], 1
	v_add_f64 v[36:37], v[36:37], -v[54:55]
	v_mul_f64 v[48:49], v[82:83], v[48:49]
	v_cvt_f64_i32_e32 v[82:83], v102
	s_delay_alu instid0(VALU_DEP_3) | instskip(NEXT) | instid1(VALU_DEP_3)
	v_add_f64 v[34:35], v[34:35], -v[36:37]
	v_add_f64 v[54:55], v[80:81], v[48:49]
	s_delay_alu instid0(VALU_DEP_3) | instskip(NEXT) | instid1(VALU_DEP_3)
	v_mul_f64 v[84:85], v[82:83], s[2:3]
	v_ldexp_f64 v[34:35], v[34:35], 1
	s_delay_alu instid0(VALU_DEP_3) | instskip(NEXT) | instid1(VALU_DEP_3)
	v_add_f64 v[36:37], v[54:55], -v[80:81]
	v_fma_f64 v[80:81], v[82:83], s[2:3], -v[84:85]
	s_delay_alu instid0(VALU_DEP_2) | instskip(NEXT) | instid1(VALU_DEP_2)
	v_add_f64 v[36:37], v[48:49], -v[36:37]
	v_fma_f64 v[48:49], v[82:83], s[4:5], v[80:81]
	s_delay_alu instid0(VALU_DEP_2) | instskip(NEXT) | instid1(VALU_DEP_2)
	v_add_f64 v[34:35], v[34:35], v[36:37]
	v_add_f64 v[36:37], v[84:85], v[48:49]
	s_delay_alu instid0(VALU_DEP_2) | instskip(NEXT) | instid1(VALU_DEP_2)
	v_add_f64 v[80:81], v[54:55], v[34:35]
	v_add_f64 v[84:85], v[36:37], -v[84:85]
	s_delay_alu instid0(VALU_DEP_2) | instskip(SKIP_1) | instid1(VALU_DEP_3)
	v_add_f64 v[82:83], v[36:37], v[80:81]
	v_add_f64 v[54:55], v[80:81], -v[54:55]
	v_add_f64 v[48:49], v[48:49], -v[84:85]
	s_delay_alu instid0(VALU_DEP_3) | instskip(NEXT) | instid1(VALU_DEP_3)
	v_add_f64 v[86:87], v[82:83], -v[36:37]
	v_add_f64 v[34:35], v[34:35], -v[54:55]
	s_delay_alu instid0(VALU_DEP_2) | instskip(SKIP_1) | instid1(VALU_DEP_3)
	v_add_f64 v[96:97], v[82:83], -v[86:87]
	v_add_f64 v[54:55], v[80:81], -v[86:87]
	v_add_f64 v[80:81], v[48:49], v[34:35]
	s_delay_alu instid0(VALU_DEP_3) | instskip(NEXT) | instid1(VALU_DEP_1)
	v_add_f64 v[36:37], v[36:37], -v[96:97]
	v_add_f64 v[36:37], v[54:55], v[36:37]
	s_delay_alu instid0(VALU_DEP_3) | instskip(NEXT) | instid1(VALU_DEP_2)
	v_add_f64 v[54:55], v[80:81], -v[48:49]
	v_add_f64 v[36:37], v[80:81], v[36:37]
	s_delay_alu instid0(VALU_DEP_2) | instskip(SKIP_1) | instid1(VALU_DEP_3)
	v_add_f64 v[80:81], v[80:81], -v[54:55]
	v_add_f64 v[34:35], v[34:35], -v[54:55]
	v_add_f64 v[84:85], v[82:83], v[36:37]
	s_delay_alu instid0(VALU_DEP_3) | instskip(NEXT) | instid1(VALU_DEP_2)
	v_add_f64 v[48:49], v[48:49], -v[80:81]
	v_add_f64 v[54:55], v[84:85], -v[82:83]
	s_delay_alu instid0(VALU_DEP_2) | instskip(NEXT) | instid1(VALU_DEP_2)
	v_add_f64 v[34:35], v[34:35], v[48:49]
	v_add_f64 v[36:37], v[36:37], -v[54:55]
	s_delay_alu instid0(VALU_DEP_1) | instskip(NEXT) | instid1(VALU_DEP_1)
	v_add_f64 v[34:35], v[34:35], v[36:37]
	v_add_f64 v[34:35], v[84:85], v[34:35]
	s_delay_alu instid0(VALU_DEP_1) | instskip(SKIP_1) | instid1(VALU_DEP_2)
	v_dual_cndmask_b32 v35, v35, v23 :: v_dual_cndmask_b32 v34, v34, v22
	v_cmp_ngt_f64_e32 vcc_lo, -1.0, v[22:23]
	v_cndmask_b32_e32 v35, 0x7ff80000, v35, vcc_lo
	v_cmp_nge_f64_e32 vcc_lo, -1.0, v[22:23]
	s_delay_alu instid0(VALU_DEP_4) | instskip(SKIP_1) | instid1(VALU_DEP_4)
	v_cndmask_b32_e32 v34, 0, v34, vcc_lo
	v_cmp_neq_f64_e32 vcc_lo, -1.0, v[22:23]
	v_cndmask_b32_e32 v35, 0xfff00000, v35, vcc_lo
	s_delay_alu instid0(VALU_DEP_1)
	v_add_f64 v[22:23], v[32:33], v[34:35]
.LBB56_358:
	s_or_b32 exec_lo, exec_lo, s8
	s_delay_alu instid0(VALU_DEP_1) | instskip(SKIP_1) | instid1(VALU_DEP_2)
	v_max_f64 v[32:33], v[22:23], v[22:23]
	v_cmp_u_f64_e32 vcc_lo, v[22:23], v[22:23]
	v_min_f64 v[34:35], v[32:33], v[24:25]
	v_max_f64 v[24:25], v[32:33], v[24:25]
	s_delay_alu instid0(VALU_DEP_2) | instskip(NEXT) | instid1(VALU_DEP_2)
	v_dual_cndmask_b32 v32, v34, v22 :: v_dual_cndmask_b32 v33, v35, v23
	v_dual_cndmask_b32 v25, v25, v23 :: v_dual_cndmask_b32 v24, v24, v22
	s_delay_alu instid0(VALU_DEP_2) | instskip(NEXT) | instid1(VALU_DEP_3)
	v_cndmask_b32_e64 v34, v32, v68, s12
	v_cndmask_b32_e64 v35, v33, v69, s12
	s_delay_alu instid0(VALU_DEP_3) | instskip(NEXT) | instid1(VALU_DEP_4)
	v_cndmask_b32_e64 v33, v25, v69, s12
	v_cndmask_b32_e64 v32, v24, v68, s12
	v_dual_mov_b32 v25, v23 :: v_dual_mov_b32 v24, v22
	s_delay_alu instid0(VALU_DEP_4) | instskip(NEXT) | instid1(VALU_DEP_3)
	v_cmp_class_f64_e64 s1, v[34:35], 0x1f8
	v_cmp_neq_f64_e32 vcc_lo, v[34:35], v[32:33]
	s_delay_alu instid0(VALU_DEP_2) | instskip(NEXT) | instid1(SALU_CYCLE_1)
	s_or_b32 s1, vcc_lo, s1
	s_and_saveexec_b32 s8, s1
	s_cbranch_execz .LBB56_360
; %bb.359:
	v_add_f64 v[24:25], v[34:35], -v[32:33]
	s_mov_b32 s2, 0x652b82fe
	s_mov_b32 s3, 0x3ff71547
	;; [unrolled: 1-line block ×10, first 2 shown]
	s_delay_alu instid0(VALU_DEP_1) | instskip(SKIP_4) | instid1(VALU_DEP_3)
	v_mul_f64 v[34:35], v[24:25], s[2:3]
	s_mov_b32 s3, 0xbfe62e42
	s_mov_b32 s2, 0xfefa39ef
	v_cmp_nlt_f64_e32 vcc_lo, 0x40900000, v[24:25]
	v_cmp_ngt_f64_e64 s1, 0xc090cc00, v[24:25]
	v_rndne_f64_e32 v[34:35], v[34:35]
	s_delay_alu instid0(VALU_DEP_1) | instskip(SKIP_2) | instid1(VALU_DEP_2)
	v_fma_f64 v[36:37], v[34:35], s[2:3], v[24:25]
	v_cvt_i32_f64_e32 v54, v[34:35]
	s_mov_b32 s3, 0x3fe62e42
	v_fma_f64 v[36:37], v[34:35], s[4:5], v[36:37]
	s_mov_b32 s5, 0x3c7abc9e
	s_waitcnt lgkmcnt(0)
	s_delay_alu instid0(VALU_DEP_1) | instskip(SKIP_4) | instid1(VALU_DEP_1)
	v_fma_f64 v[48:49], v[36:37], s[10:11], s[6:7]
	s_mov_b32 s6, 0x623fde64
	s_mov_b32 s7, 0x3ec71dee
	;; [unrolled: 1-line block ×4, first 2 shown]
	v_fma_f64 v[48:49], v[36:37], v[48:49], s[6:7]
	s_mov_b32 s6, 0x7c89e6b0
	s_mov_b32 s7, 0x3efa0199
	s_delay_alu instid0(VALU_DEP_1) | instid1(SALU_CYCLE_1)
	v_fma_f64 v[48:49], v[36:37], v[48:49], s[6:7]
	s_mov_b32 s6, 0x14761f6e
	s_mov_b32 s7, 0x3f2a01a0
	s_delay_alu instid0(VALU_DEP_1) | instid1(SALU_CYCLE_1)
	;; [unrolled: 4-line block ×7, first 2 shown]
	v_fma_f64 v[48:49], v[36:37], v[48:49], s[6:7]
	s_mov_b32 s7, 0x3fe55555
	s_mov_b32 s6, 0x55555555
	s_delay_alu instid0(VALU_DEP_1) | instskip(NEXT) | instid1(VALU_DEP_1)
	v_fma_f64 v[48:49], v[36:37], v[48:49], 1.0
	v_fma_f64 v[34:35], v[36:37], v[48:49], 1.0
	s_delay_alu instid0(VALU_DEP_1) | instskip(NEXT) | instid1(VALU_DEP_1)
	v_ldexp_f64 v[34:35], v[34:35], v54
	v_cndmask_b32_e32 v35, 0x7ff00000, v35, vcc_lo
	s_and_b32 vcc_lo, s1, vcc_lo
	s_delay_alu instid0(VALU_DEP_1) | instskip(NEXT) | instid1(VALU_DEP_3)
	v_cndmask_b32_e64 v25, 0, v35, s1
	v_cndmask_b32_e32 v24, 0, v34, vcc_lo
	s_delay_alu instid0(VALU_DEP_1) | instskip(NEXT) | instid1(VALU_DEP_1)
	v_add_f64 v[34:35], v[24:25], 1.0
	v_frexp_mant_f64_e32 v[36:37], v[34:35]
	v_frexp_exp_i32_f64_e32 v54, v[34:35]
	v_add_f64 v[48:49], v[34:35], -1.0
	s_delay_alu instid0(VALU_DEP_3) | instskip(SKIP_1) | instid1(VALU_DEP_2)
	v_cmp_gt_f64_e32 vcc_lo, s[6:7], v[36:37]
	s_mov_b32 s6, 0x55555780
	v_add_f64 v[36:37], v[48:49], -v[34:35]
	v_add_f64 v[48:49], v[24:25], -v[48:49]
	v_subrev_co_ci_u32_e32 v100, vcc_lo, 0, v54, vcc_lo
	s_delay_alu instid0(VALU_DEP_3) | instskip(SKIP_1) | instid1(VALU_DEP_3)
	v_add_f64 v[36:37], v[36:37], 1.0
	v_cmp_eq_f64_e32 vcc_lo, 0x7ff00000, v[24:25]
	v_sub_nc_u32_e32 v68, 0, v100
	s_delay_alu instid0(VALU_DEP_1) | instskip(NEXT) | instid1(VALU_DEP_4)
	v_ldexp_f64 v[34:35], v[34:35], v68
	v_add_f64 v[36:37], v[48:49], v[36:37]
	s_delay_alu instid0(VALU_DEP_2) | instskip(SKIP_1) | instid1(VALU_DEP_3)
	v_add_f64 v[54:55], v[34:35], 1.0
	v_add_f64 v[82:83], v[34:35], -1.0
	v_ldexp_f64 v[36:37], v[36:37], v68
	s_delay_alu instid0(VALU_DEP_3) | instskip(NEXT) | instid1(VALU_DEP_3)
	v_add_f64 v[48:49], v[54:55], -1.0
	v_add_f64 v[84:85], v[82:83], 1.0
	s_delay_alu instid0(VALU_DEP_2) | instskip(NEXT) | instid1(VALU_DEP_2)
	v_add_f64 v[48:49], v[34:35], -v[48:49]
	v_add_f64 v[34:35], v[34:35], -v[84:85]
	s_delay_alu instid0(VALU_DEP_2) | instskip(NEXT) | instid1(VALU_DEP_2)
	v_add_f64 v[48:49], v[36:37], v[48:49]
	v_add_f64 v[34:35], v[36:37], v[34:35]
	s_delay_alu instid0(VALU_DEP_2) | instskip(NEXT) | instid1(VALU_DEP_2)
	v_add_f64 v[68:69], v[54:55], v[48:49]
	v_add_f64 v[84:85], v[82:83], v[34:35]
	s_delay_alu instid0(VALU_DEP_2) | instskip(SKIP_1) | instid1(VALU_DEP_2)
	v_rcp_f64_e32 v[80:81], v[68:69]
	v_add_f64 v[54:55], v[68:69], -v[54:55]
	v_add_f64 v[82:83], v[84:85], -v[82:83]
	s_delay_alu instid0(VALU_DEP_2) | instskip(SKIP_3) | instid1(VALU_DEP_2)
	v_add_f64 v[48:49], v[48:49], -v[54:55]
	s_waitcnt_depctr 0xfff
	v_fma_f64 v[86:87], -v[68:69], v[80:81], 1.0
	v_add_f64 v[34:35], v[34:35], -v[82:83]
	v_fma_f64 v[80:81], v[86:87], v[80:81], v[80:81]
	s_delay_alu instid0(VALU_DEP_1) | instskip(NEXT) | instid1(VALU_DEP_1)
	v_fma_f64 v[36:37], -v[68:69], v[80:81], 1.0
	v_fma_f64 v[36:37], v[36:37], v[80:81], v[80:81]
	s_delay_alu instid0(VALU_DEP_1) | instskip(NEXT) | instid1(VALU_DEP_1)
	v_mul_f64 v[80:81], v[84:85], v[36:37]
	v_mul_f64 v[86:87], v[68:69], v[80:81]
	s_delay_alu instid0(VALU_DEP_1) | instskip(NEXT) | instid1(VALU_DEP_1)
	v_fma_f64 v[54:55], v[80:81], v[68:69], -v[86:87]
	v_fma_f64 v[54:55], v[80:81], v[48:49], v[54:55]
	s_delay_alu instid0(VALU_DEP_1) | instskip(NEXT) | instid1(VALU_DEP_1)
	v_add_f64 v[96:97], v[86:87], v[54:55]
	v_add_f64 v[98:99], v[84:85], -v[96:97]
	v_add_f64 v[82:83], v[96:97], -v[86:87]
	s_delay_alu instid0(VALU_DEP_2) | instskip(NEXT) | instid1(VALU_DEP_2)
	v_add_f64 v[84:85], v[84:85], -v[98:99]
	v_add_f64 v[54:55], v[82:83], -v[54:55]
	s_delay_alu instid0(VALU_DEP_2) | instskip(NEXT) | instid1(VALU_DEP_1)
	v_add_f64 v[84:85], v[84:85], -v[96:97]
	v_add_f64 v[34:35], v[34:35], v[84:85]
	s_delay_alu instid0(VALU_DEP_1) | instskip(NEXT) | instid1(VALU_DEP_1)
	v_add_f64 v[34:35], v[54:55], v[34:35]
	v_add_f64 v[54:55], v[98:99], v[34:35]
	s_delay_alu instid0(VALU_DEP_1) | instskip(SKIP_1) | instid1(VALU_DEP_2)
	v_mul_f64 v[82:83], v[36:37], v[54:55]
	v_add_f64 v[96:97], v[98:99], -v[54:55]
	v_mul_f64 v[84:85], v[68:69], v[82:83]
	s_delay_alu instid0(VALU_DEP_2) | instskip(NEXT) | instid1(VALU_DEP_2)
	v_add_f64 v[34:35], v[34:35], v[96:97]
	v_fma_f64 v[68:69], v[82:83], v[68:69], -v[84:85]
	s_delay_alu instid0(VALU_DEP_1) | instskip(NEXT) | instid1(VALU_DEP_1)
	v_fma_f64 v[48:49], v[82:83], v[48:49], v[68:69]
	v_add_f64 v[68:69], v[84:85], v[48:49]
	s_delay_alu instid0(VALU_DEP_1) | instskip(SKIP_1) | instid1(VALU_DEP_2)
	v_add_f64 v[86:87], v[54:55], -v[68:69]
	v_add_f64 v[84:85], v[68:69], -v[84:85]
	v_add_f64 v[54:55], v[54:55], -v[86:87]
	s_delay_alu instid0(VALU_DEP_2) | instskip(NEXT) | instid1(VALU_DEP_2)
	v_add_f64 v[48:49], v[84:85], -v[48:49]
	v_add_f64 v[54:55], v[54:55], -v[68:69]
	s_delay_alu instid0(VALU_DEP_1) | instskip(SKIP_1) | instid1(VALU_DEP_2)
	v_add_f64 v[34:35], v[34:35], v[54:55]
	v_add_f64 v[54:55], v[80:81], v[82:83]
	;; [unrolled: 1-line block ×3, first 2 shown]
	s_delay_alu instid0(VALU_DEP_2) | instskip(NEXT) | instid1(VALU_DEP_2)
	v_add_f64 v[48:49], v[54:55], -v[80:81]
	v_add_f64 v[34:35], v[86:87], v[34:35]
	s_delay_alu instid0(VALU_DEP_2) | instskip(NEXT) | instid1(VALU_DEP_2)
	v_add_f64 v[48:49], v[82:83], -v[48:49]
	v_mul_f64 v[34:35], v[36:37], v[34:35]
	s_delay_alu instid0(VALU_DEP_1) | instskip(NEXT) | instid1(VALU_DEP_1)
	v_add_f64 v[34:35], v[48:49], v[34:35]
	v_add_f64 v[36:37], v[54:55], v[34:35]
	s_delay_alu instid0(VALU_DEP_1) | instskip(NEXT) | instid1(VALU_DEP_1)
	v_mul_f64 v[48:49], v[36:37], v[36:37]
	v_fma_f64 v[68:69], v[48:49], s[16:17], s[10:11]
	s_mov_b32 s10, 0xd7f4df2e
	s_mov_b32 s11, 0x3fc7474d
	v_mul_f64 v[80:81], v[36:37], v[48:49]
	s_delay_alu instid0(VALU_DEP_2)
	v_fma_f64 v[68:69], v[48:49], v[68:69], s[10:11]
	s_mov_b32 s10, 0x16291751
	s_mov_b32 s11, 0x3fcc71c0
	s_delay_alu instid0(VALU_DEP_1) | instid1(SALU_CYCLE_1)
	v_fma_f64 v[68:69], v[48:49], v[68:69], s[10:11]
	s_mov_b32 s10, 0x9b27acf1
	s_mov_b32 s11, 0x3fd24924
	s_delay_alu instid0(VALU_DEP_1) | instid1(SALU_CYCLE_1)
	;; [unrolled: 4-line block ×3, first 2 shown]
	v_fma_f64 v[68:69], v[48:49], v[68:69], s[10:11]
	s_delay_alu instid0(VALU_DEP_1) | instskip(SKIP_2) | instid1(VALU_DEP_3)
	v_fma_f64 v[48:49], v[48:49], v[68:69], s[6:7]
	v_ldexp_f64 v[68:69], v[36:37], 1
	v_add_f64 v[36:37], v[36:37], -v[54:55]
	v_mul_f64 v[48:49], v[80:81], v[48:49]
	v_cvt_f64_i32_e32 v[80:81], v100
	s_delay_alu instid0(VALU_DEP_3) | instskip(NEXT) | instid1(VALU_DEP_3)
	v_add_f64 v[34:35], v[34:35], -v[36:37]
	v_add_f64 v[54:55], v[68:69], v[48:49]
	s_delay_alu instid0(VALU_DEP_3) | instskip(NEXT) | instid1(VALU_DEP_3)
	v_mul_f64 v[82:83], v[80:81], s[2:3]
	v_ldexp_f64 v[34:35], v[34:35], 1
	s_delay_alu instid0(VALU_DEP_3) | instskip(NEXT) | instid1(VALU_DEP_3)
	v_add_f64 v[36:37], v[54:55], -v[68:69]
	v_fma_f64 v[68:69], v[80:81], s[2:3], -v[82:83]
	s_delay_alu instid0(VALU_DEP_2) | instskip(NEXT) | instid1(VALU_DEP_2)
	v_add_f64 v[36:37], v[48:49], -v[36:37]
	v_fma_f64 v[48:49], v[80:81], s[4:5], v[68:69]
	s_delay_alu instid0(VALU_DEP_2) | instskip(NEXT) | instid1(VALU_DEP_2)
	v_add_f64 v[34:35], v[34:35], v[36:37]
	v_add_f64 v[36:37], v[82:83], v[48:49]
	s_delay_alu instid0(VALU_DEP_2) | instskip(NEXT) | instid1(VALU_DEP_2)
	v_add_f64 v[68:69], v[54:55], v[34:35]
	v_add_f64 v[82:83], v[36:37], -v[82:83]
	s_delay_alu instid0(VALU_DEP_2) | instskip(SKIP_1) | instid1(VALU_DEP_3)
	v_add_f64 v[80:81], v[36:37], v[68:69]
	v_add_f64 v[54:55], v[68:69], -v[54:55]
	v_add_f64 v[48:49], v[48:49], -v[82:83]
	s_delay_alu instid0(VALU_DEP_3) | instskip(NEXT) | instid1(VALU_DEP_3)
	v_add_f64 v[84:85], v[80:81], -v[36:37]
	v_add_f64 v[34:35], v[34:35], -v[54:55]
	s_delay_alu instid0(VALU_DEP_2) | instskip(SKIP_1) | instid1(VALU_DEP_3)
	v_add_f64 v[86:87], v[80:81], -v[84:85]
	v_add_f64 v[54:55], v[68:69], -v[84:85]
	v_add_f64 v[68:69], v[48:49], v[34:35]
	s_delay_alu instid0(VALU_DEP_3) | instskip(NEXT) | instid1(VALU_DEP_1)
	v_add_f64 v[36:37], v[36:37], -v[86:87]
	v_add_f64 v[36:37], v[54:55], v[36:37]
	s_delay_alu instid0(VALU_DEP_3) | instskip(NEXT) | instid1(VALU_DEP_2)
	v_add_f64 v[54:55], v[68:69], -v[48:49]
	v_add_f64 v[36:37], v[68:69], v[36:37]
	s_delay_alu instid0(VALU_DEP_2) | instskip(SKIP_1) | instid1(VALU_DEP_3)
	v_add_f64 v[68:69], v[68:69], -v[54:55]
	v_add_f64 v[34:35], v[34:35], -v[54:55]
	v_add_f64 v[82:83], v[80:81], v[36:37]
	s_delay_alu instid0(VALU_DEP_3) | instskip(NEXT) | instid1(VALU_DEP_2)
	v_add_f64 v[48:49], v[48:49], -v[68:69]
	v_add_f64 v[54:55], v[82:83], -v[80:81]
	s_delay_alu instid0(VALU_DEP_2) | instskip(NEXT) | instid1(VALU_DEP_2)
	v_add_f64 v[34:35], v[34:35], v[48:49]
	v_add_f64 v[36:37], v[36:37], -v[54:55]
	s_delay_alu instid0(VALU_DEP_1) | instskip(NEXT) | instid1(VALU_DEP_1)
	v_add_f64 v[34:35], v[34:35], v[36:37]
	v_add_f64 v[34:35], v[82:83], v[34:35]
	s_delay_alu instid0(VALU_DEP_1) | instskip(SKIP_1) | instid1(VALU_DEP_2)
	v_dual_cndmask_b32 v35, v35, v25 :: v_dual_cndmask_b32 v34, v34, v24
	v_cmp_ngt_f64_e32 vcc_lo, -1.0, v[24:25]
	v_cndmask_b32_e32 v35, 0x7ff80000, v35, vcc_lo
	v_cmp_nge_f64_e32 vcc_lo, -1.0, v[24:25]
	s_delay_alu instid0(VALU_DEP_4) | instskip(SKIP_1) | instid1(VALU_DEP_4)
	v_cndmask_b32_e32 v34, 0, v34, vcc_lo
	v_cmp_neq_f64_e32 vcc_lo, -1.0, v[24:25]
	v_cndmask_b32_e32 v35, 0xfff00000, v35, vcc_lo
	s_delay_alu instid0(VALU_DEP_1)
	v_add_f64 v[24:25], v[32:33], v[34:35]
.LBB56_360:
	s_or_b32 exec_lo, exec_lo, s8
	s_delay_alu instid0(VALU_DEP_1) | instskip(SKIP_1) | instid1(VALU_DEP_2)
	v_max_f64 v[32:33], v[24:25], v[24:25]
	v_cmp_u_f64_e32 vcc_lo, v[24:25], v[24:25]
	v_min_f64 v[34:35], v[32:33], v[26:27]
	v_max_f64 v[26:27], v[32:33], v[26:27]
	s_delay_alu instid0(VALU_DEP_2) | instskip(NEXT) | instid1(VALU_DEP_2)
	v_dual_cndmask_b32 v32, v34, v24 :: v_dual_cndmask_b32 v33, v35, v25
	v_dual_cndmask_b32 v27, v27, v25 :: v_dual_cndmask_b32 v26, v26, v24
	s_delay_alu instid0(VALU_DEP_2) | instskip(NEXT) | instid1(VALU_DEP_3)
	v_cndmask_b32_e64 v34, v32, v70, s13
	v_cndmask_b32_e64 v35, v33, v71, s13
	s_delay_alu instid0(VALU_DEP_3) | instskip(NEXT) | instid1(VALU_DEP_4)
	v_cndmask_b32_e64 v33, v27, v71, s13
	v_cndmask_b32_e64 v32, v26, v70, s13
	v_dual_mov_b32 v27, v25 :: v_dual_mov_b32 v26, v24
	s_delay_alu instid0(VALU_DEP_4) | instskip(NEXT) | instid1(VALU_DEP_3)
	v_cmp_class_f64_e64 s1, v[34:35], 0x1f8
	v_cmp_neq_f64_e32 vcc_lo, v[34:35], v[32:33]
	s_delay_alu instid0(VALU_DEP_2) | instskip(NEXT) | instid1(SALU_CYCLE_1)
	s_or_b32 s1, vcc_lo, s1
	s_and_saveexec_b32 s8, s1
	s_cbranch_execz .LBB56_362
; %bb.361:
	v_add_f64 v[26:27], v[34:35], -v[32:33]
	s_mov_b32 s2, 0x652b82fe
	s_mov_b32 s3, 0x3ff71547
	;; [unrolled: 1-line block ×10, first 2 shown]
	s_delay_alu instid0(VALU_DEP_1) | instskip(SKIP_4) | instid1(VALU_DEP_3)
	v_mul_f64 v[34:35], v[26:27], s[2:3]
	s_mov_b32 s3, 0xbfe62e42
	s_mov_b32 s2, 0xfefa39ef
	v_cmp_nlt_f64_e32 vcc_lo, 0x40900000, v[26:27]
	v_cmp_ngt_f64_e64 s1, 0xc090cc00, v[26:27]
	v_rndne_f64_e32 v[34:35], v[34:35]
	s_delay_alu instid0(VALU_DEP_1) | instskip(SKIP_2) | instid1(VALU_DEP_2)
	v_fma_f64 v[36:37], v[34:35], s[2:3], v[26:27]
	v_cvt_i32_f64_e32 v54, v[34:35]
	s_mov_b32 s3, 0x3fe62e42
	v_fma_f64 v[36:37], v[34:35], s[4:5], v[36:37]
	s_mov_b32 s5, 0x3c7abc9e
	s_waitcnt lgkmcnt(0)
	s_delay_alu instid0(VALU_DEP_1) | instskip(SKIP_4) | instid1(VALU_DEP_1)
	v_fma_f64 v[48:49], v[36:37], s[10:11], s[6:7]
	s_mov_b32 s6, 0x623fde64
	s_mov_b32 s7, 0x3ec71dee
	;; [unrolled: 1-line block ×4, first 2 shown]
	v_fma_f64 v[48:49], v[36:37], v[48:49], s[6:7]
	s_mov_b32 s6, 0x7c89e6b0
	s_mov_b32 s7, 0x3efa0199
	s_delay_alu instid0(VALU_DEP_1) | instid1(SALU_CYCLE_1)
	v_fma_f64 v[48:49], v[36:37], v[48:49], s[6:7]
	s_mov_b32 s6, 0x14761f6e
	s_mov_b32 s7, 0x3f2a01a0
	s_delay_alu instid0(VALU_DEP_1) | instid1(SALU_CYCLE_1)
	;; [unrolled: 4-line block ×7, first 2 shown]
	v_fma_f64 v[48:49], v[36:37], v[48:49], s[6:7]
	s_mov_b32 s7, 0x3fe55555
	s_mov_b32 s6, 0x55555555
	s_delay_alu instid0(VALU_DEP_1) | instskip(NEXT) | instid1(VALU_DEP_1)
	v_fma_f64 v[48:49], v[36:37], v[48:49], 1.0
	v_fma_f64 v[34:35], v[36:37], v[48:49], 1.0
	s_delay_alu instid0(VALU_DEP_1) | instskip(NEXT) | instid1(VALU_DEP_1)
	v_ldexp_f64 v[34:35], v[34:35], v54
	v_cndmask_b32_e32 v35, 0x7ff00000, v35, vcc_lo
	s_and_b32 vcc_lo, s1, vcc_lo
	s_delay_alu instid0(VALU_DEP_1) | instskip(NEXT) | instid1(VALU_DEP_3)
	v_cndmask_b32_e64 v27, 0, v35, s1
	v_cndmask_b32_e32 v26, 0, v34, vcc_lo
	s_delay_alu instid0(VALU_DEP_1) | instskip(NEXT) | instid1(VALU_DEP_1)
	v_add_f64 v[34:35], v[26:27], 1.0
	v_frexp_mant_f64_e32 v[36:37], v[34:35]
	v_frexp_exp_i32_f64_e32 v54, v[34:35]
	v_add_f64 v[48:49], v[34:35], -1.0
	s_delay_alu instid0(VALU_DEP_3) | instskip(SKIP_1) | instid1(VALU_DEP_2)
	v_cmp_gt_f64_e32 vcc_lo, s[6:7], v[36:37]
	s_mov_b32 s6, 0x55555780
	v_add_f64 v[36:37], v[48:49], -v[34:35]
	v_add_f64 v[48:49], v[26:27], -v[48:49]
	v_subrev_co_ci_u32_e32 v98, vcc_lo, 0, v54, vcc_lo
	s_delay_alu instid0(VALU_DEP_3) | instskip(SKIP_1) | instid1(VALU_DEP_3)
	v_add_f64 v[36:37], v[36:37], 1.0
	v_cmp_eq_f64_e32 vcc_lo, 0x7ff00000, v[26:27]
	v_sub_nc_u32_e32 v68, 0, v98
	s_delay_alu instid0(VALU_DEP_1) | instskip(NEXT) | instid1(VALU_DEP_4)
	v_ldexp_f64 v[34:35], v[34:35], v68
	v_add_f64 v[36:37], v[48:49], v[36:37]
	s_delay_alu instid0(VALU_DEP_2) | instskip(SKIP_1) | instid1(VALU_DEP_3)
	v_add_f64 v[54:55], v[34:35], 1.0
	v_add_f64 v[80:81], v[34:35], -1.0
	v_ldexp_f64 v[36:37], v[36:37], v68
	s_delay_alu instid0(VALU_DEP_3) | instskip(NEXT) | instid1(VALU_DEP_3)
	v_add_f64 v[48:49], v[54:55], -1.0
	v_add_f64 v[82:83], v[80:81], 1.0
	s_delay_alu instid0(VALU_DEP_2) | instskip(NEXT) | instid1(VALU_DEP_2)
	v_add_f64 v[48:49], v[34:35], -v[48:49]
	v_add_f64 v[34:35], v[34:35], -v[82:83]
	s_delay_alu instid0(VALU_DEP_2) | instskip(NEXT) | instid1(VALU_DEP_2)
	v_add_f64 v[48:49], v[36:37], v[48:49]
	v_add_f64 v[34:35], v[36:37], v[34:35]
	s_delay_alu instid0(VALU_DEP_2) | instskip(NEXT) | instid1(VALU_DEP_2)
	v_add_f64 v[68:69], v[54:55], v[48:49]
	v_add_f64 v[82:83], v[80:81], v[34:35]
	s_delay_alu instid0(VALU_DEP_2) | instskip(SKIP_1) | instid1(VALU_DEP_2)
	v_rcp_f64_e32 v[70:71], v[68:69]
	v_add_f64 v[54:55], v[68:69], -v[54:55]
	v_add_f64 v[80:81], v[82:83], -v[80:81]
	s_delay_alu instid0(VALU_DEP_2) | instskip(SKIP_3) | instid1(VALU_DEP_2)
	v_add_f64 v[48:49], v[48:49], -v[54:55]
	s_waitcnt_depctr 0xfff
	v_fma_f64 v[84:85], -v[68:69], v[70:71], 1.0
	v_add_f64 v[34:35], v[34:35], -v[80:81]
	v_fma_f64 v[70:71], v[84:85], v[70:71], v[70:71]
	s_delay_alu instid0(VALU_DEP_1) | instskip(NEXT) | instid1(VALU_DEP_1)
	v_fma_f64 v[36:37], -v[68:69], v[70:71], 1.0
	v_fma_f64 v[36:37], v[36:37], v[70:71], v[70:71]
	s_delay_alu instid0(VALU_DEP_1) | instskip(NEXT) | instid1(VALU_DEP_1)
	v_mul_f64 v[70:71], v[82:83], v[36:37]
	v_mul_f64 v[84:85], v[68:69], v[70:71]
	s_delay_alu instid0(VALU_DEP_1) | instskip(NEXT) | instid1(VALU_DEP_1)
	v_fma_f64 v[54:55], v[70:71], v[68:69], -v[84:85]
	v_fma_f64 v[54:55], v[70:71], v[48:49], v[54:55]
	s_delay_alu instid0(VALU_DEP_1) | instskip(NEXT) | instid1(VALU_DEP_1)
	v_add_f64 v[86:87], v[84:85], v[54:55]
	v_add_f64 v[96:97], v[82:83], -v[86:87]
	v_add_f64 v[80:81], v[86:87], -v[84:85]
	s_delay_alu instid0(VALU_DEP_2) | instskip(NEXT) | instid1(VALU_DEP_2)
	v_add_f64 v[82:83], v[82:83], -v[96:97]
	v_add_f64 v[54:55], v[80:81], -v[54:55]
	s_delay_alu instid0(VALU_DEP_2) | instskip(NEXT) | instid1(VALU_DEP_1)
	v_add_f64 v[82:83], v[82:83], -v[86:87]
	v_add_f64 v[34:35], v[34:35], v[82:83]
	s_delay_alu instid0(VALU_DEP_1) | instskip(NEXT) | instid1(VALU_DEP_1)
	v_add_f64 v[34:35], v[54:55], v[34:35]
	v_add_f64 v[54:55], v[96:97], v[34:35]
	s_delay_alu instid0(VALU_DEP_1) | instskip(SKIP_1) | instid1(VALU_DEP_2)
	v_mul_f64 v[80:81], v[36:37], v[54:55]
	v_add_f64 v[86:87], v[96:97], -v[54:55]
	v_mul_f64 v[82:83], v[68:69], v[80:81]
	s_delay_alu instid0(VALU_DEP_2) | instskip(NEXT) | instid1(VALU_DEP_2)
	v_add_f64 v[34:35], v[34:35], v[86:87]
	v_fma_f64 v[68:69], v[80:81], v[68:69], -v[82:83]
	s_delay_alu instid0(VALU_DEP_1) | instskip(NEXT) | instid1(VALU_DEP_1)
	v_fma_f64 v[48:49], v[80:81], v[48:49], v[68:69]
	v_add_f64 v[68:69], v[82:83], v[48:49]
	s_delay_alu instid0(VALU_DEP_1) | instskip(SKIP_1) | instid1(VALU_DEP_2)
	v_add_f64 v[84:85], v[54:55], -v[68:69]
	v_add_f64 v[82:83], v[68:69], -v[82:83]
	;; [unrolled: 1-line block ×3, first 2 shown]
	s_delay_alu instid0(VALU_DEP_2) | instskip(NEXT) | instid1(VALU_DEP_2)
	v_add_f64 v[48:49], v[82:83], -v[48:49]
	v_add_f64 v[54:55], v[54:55], -v[68:69]
	s_delay_alu instid0(VALU_DEP_1) | instskip(SKIP_1) | instid1(VALU_DEP_2)
	v_add_f64 v[34:35], v[34:35], v[54:55]
	v_add_f64 v[54:55], v[70:71], v[80:81]
	;; [unrolled: 1-line block ×3, first 2 shown]
	s_delay_alu instid0(VALU_DEP_2) | instskip(NEXT) | instid1(VALU_DEP_2)
	v_add_f64 v[48:49], v[54:55], -v[70:71]
	v_add_f64 v[34:35], v[84:85], v[34:35]
	s_delay_alu instid0(VALU_DEP_2) | instskip(NEXT) | instid1(VALU_DEP_2)
	v_add_f64 v[48:49], v[80:81], -v[48:49]
	v_mul_f64 v[34:35], v[36:37], v[34:35]
	s_delay_alu instid0(VALU_DEP_1) | instskip(NEXT) | instid1(VALU_DEP_1)
	v_add_f64 v[34:35], v[48:49], v[34:35]
	v_add_f64 v[36:37], v[54:55], v[34:35]
	s_delay_alu instid0(VALU_DEP_1) | instskip(NEXT) | instid1(VALU_DEP_1)
	v_mul_f64 v[48:49], v[36:37], v[36:37]
	v_fma_f64 v[68:69], v[48:49], s[12:13], s[10:11]
	s_mov_b32 s10, 0xd7f4df2e
	s_mov_b32 s11, 0x3fc7474d
	v_mul_f64 v[70:71], v[36:37], v[48:49]
	s_delay_alu instid0(VALU_DEP_2)
	v_fma_f64 v[68:69], v[48:49], v[68:69], s[10:11]
	s_mov_b32 s10, 0x16291751
	s_mov_b32 s11, 0x3fcc71c0
	s_delay_alu instid0(VALU_DEP_1) | instid1(SALU_CYCLE_1)
	v_fma_f64 v[68:69], v[48:49], v[68:69], s[10:11]
	s_mov_b32 s10, 0x9b27acf1
	s_mov_b32 s11, 0x3fd24924
	s_delay_alu instid0(VALU_DEP_1) | instid1(SALU_CYCLE_1)
	;; [unrolled: 4-line block ×3, first 2 shown]
	v_fma_f64 v[68:69], v[48:49], v[68:69], s[10:11]
	s_delay_alu instid0(VALU_DEP_1) | instskip(SKIP_2) | instid1(VALU_DEP_3)
	v_fma_f64 v[48:49], v[48:49], v[68:69], s[6:7]
	v_ldexp_f64 v[68:69], v[36:37], 1
	v_add_f64 v[36:37], v[36:37], -v[54:55]
	v_mul_f64 v[48:49], v[70:71], v[48:49]
	v_cvt_f64_i32_e32 v[70:71], v98
	s_delay_alu instid0(VALU_DEP_3) | instskip(NEXT) | instid1(VALU_DEP_3)
	v_add_f64 v[34:35], v[34:35], -v[36:37]
	v_add_f64 v[54:55], v[68:69], v[48:49]
	s_delay_alu instid0(VALU_DEP_3) | instskip(NEXT) | instid1(VALU_DEP_3)
	v_mul_f64 v[80:81], v[70:71], s[2:3]
	v_ldexp_f64 v[34:35], v[34:35], 1
	s_delay_alu instid0(VALU_DEP_3) | instskip(NEXT) | instid1(VALU_DEP_3)
	v_add_f64 v[36:37], v[54:55], -v[68:69]
	v_fma_f64 v[68:69], v[70:71], s[2:3], -v[80:81]
	s_delay_alu instid0(VALU_DEP_2) | instskip(NEXT) | instid1(VALU_DEP_2)
	v_add_f64 v[36:37], v[48:49], -v[36:37]
	v_fma_f64 v[48:49], v[70:71], s[4:5], v[68:69]
	s_delay_alu instid0(VALU_DEP_2) | instskip(NEXT) | instid1(VALU_DEP_2)
	v_add_f64 v[34:35], v[34:35], v[36:37]
	v_add_f64 v[36:37], v[80:81], v[48:49]
	s_delay_alu instid0(VALU_DEP_2) | instskip(NEXT) | instid1(VALU_DEP_2)
	v_add_f64 v[68:69], v[54:55], v[34:35]
	v_add_f64 v[80:81], v[36:37], -v[80:81]
	s_delay_alu instid0(VALU_DEP_2) | instskip(SKIP_1) | instid1(VALU_DEP_3)
	v_add_f64 v[70:71], v[36:37], v[68:69]
	v_add_f64 v[54:55], v[68:69], -v[54:55]
	v_add_f64 v[48:49], v[48:49], -v[80:81]
	s_delay_alu instid0(VALU_DEP_3) | instskip(NEXT) | instid1(VALU_DEP_3)
	v_add_f64 v[82:83], v[70:71], -v[36:37]
	v_add_f64 v[34:35], v[34:35], -v[54:55]
	s_delay_alu instid0(VALU_DEP_2) | instskip(SKIP_1) | instid1(VALU_DEP_3)
	v_add_f64 v[84:85], v[70:71], -v[82:83]
	v_add_f64 v[54:55], v[68:69], -v[82:83]
	v_add_f64 v[68:69], v[48:49], v[34:35]
	s_delay_alu instid0(VALU_DEP_3) | instskip(NEXT) | instid1(VALU_DEP_1)
	v_add_f64 v[36:37], v[36:37], -v[84:85]
	v_add_f64 v[36:37], v[54:55], v[36:37]
	s_delay_alu instid0(VALU_DEP_3) | instskip(NEXT) | instid1(VALU_DEP_2)
	v_add_f64 v[54:55], v[68:69], -v[48:49]
	v_add_f64 v[36:37], v[68:69], v[36:37]
	s_delay_alu instid0(VALU_DEP_2) | instskip(SKIP_1) | instid1(VALU_DEP_3)
	v_add_f64 v[68:69], v[68:69], -v[54:55]
	v_add_f64 v[34:35], v[34:35], -v[54:55]
	v_add_f64 v[80:81], v[70:71], v[36:37]
	s_delay_alu instid0(VALU_DEP_3) | instskip(NEXT) | instid1(VALU_DEP_2)
	v_add_f64 v[48:49], v[48:49], -v[68:69]
	v_add_f64 v[54:55], v[80:81], -v[70:71]
	s_delay_alu instid0(VALU_DEP_2) | instskip(NEXT) | instid1(VALU_DEP_2)
	v_add_f64 v[34:35], v[34:35], v[48:49]
	v_add_f64 v[36:37], v[36:37], -v[54:55]
	s_delay_alu instid0(VALU_DEP_1) | instskip(NEXT) | instid1(VALU_DEP_1)
	v_add_f64 v[34:35], v[34:35], v[36:37]
	v_add_f64 v[34:35], v[80:81], v[34:35]
	s_delay_alu instid0(VALU_DEP_1) | instskip(SKIP_1) | instid1(VALU_DEP_2)
	v_dual_cndmask_b32 v35, v35, v27 :: v_dual_cndmask_b32 v34, v34, v26
	v_cmp_ngt_f64_e32 vcc_lo, -1.0, v[26:27]
	v_cndmask_b32_e32 v35, 0x7ff80000, v35, vcc_lo
	v_cmp_nge_f64_e32 vcc_lo, -1.0, v[26:27]
	s_delay_alu instid0(VALU_DEP_4) | instskip(SKIP_1) | instid1(VALU_DEP_4)
	v_cndmask_b32_e32 v34, 0, v34, vcc_lo
	v_cmp_neq_f64_e32 vcc_lo, -1.0, v[26:27]
	v_cndmask_b32_e32 v35, 0xfff00000, v35, vcc_lo
	s_delay_alu instid0(VALU_DEP_1)
	v_add_f64 v[26:27], v[32:33], v[34:35]
.LBB56_362:
	s_or_b32 exec_lo, exec_lo, s8
	s_delay_alu instid0(VALU_DEP_1) | instskip(SKIP_1) | instid1(VALU_DEP_2)
	v_max_f64 v[32:33], v[26:27], v[26:27]
	v_cmp_u_f64_e32 vcc_lo, v[26:27], v[26:27]
	v_min_f64 v[34:35], v[32:33], v[28:29]
	v_max_f64 v[28:29], v[32:33], v[28:29]
	s_delay_alu instid0(VALU_DEP_2) | instskip(NEXT) | instid1(VALU_DEP_2)
	v_dual_cndmask_b32 v32, v34, v26 :: v_dual_cndmask_b32 v33, v35, v27
	v_dual_cndmask_b32 v29, v29, v27 :: v_dual_cndmask_b32 v28, v28, v26
	s_delay_alu instid0(VALU_DEP_2) | instskip(NEXT) | instid1(VALU_DEP_3)
	v_cndmask_b32_e64 v34, v32, v64, s14
	v_cndmask_b32_e64 v35, v33, v65, s14
	s_delay_alu instid0(VALU_DEP_3) | instskip(NEXT) | instid1(VALU_DEP_4)
	v_cndmask_b32_e64 v33, v29, v65, s14
	v_cndmask_b32_e64 v32, v28, v64, s14
	v_dual_mov_b32 v29, v27 :: v_dual_mov_b32 v28, v26
	s_delay_alu instid0(VALU_DEP_4) | instskip(NEXT) | instid1(VALU_DEP_3)
	v_cmp_class_f64_e64 s1, v[34:35], 0x1f8
	v_cmp_neq_f64_e32 vcc_lo, v[34:35], v[32:33]
	s_delay_alu instid0(VALU_DEP_2) | instskip(NEXT) | instid1(SALU_CYCLE_1)
	s_or_b32 s1, vcc_lo, s1
	s_and_saveexec_b32 s8, s1
	s_cbranch_execz .LBB56_364
; %bb.363:
	v_add_f64 v[28:29], v[34:35], -v[32:33]
	s_mov_b32 s2, 0x652b82fe
	s_mov_b32 s3, 0x3ff71547
	;; [unrolled: 1-line block ×10, first 2 shown]
	s_delay_alu instid0(VALU_DEP_1) | instskip(SKIP_4) | instid1(VALU_DEP_3)
	v_mul_f64 v[34:35], v[28:29], s[2:3]
	s_mov_b32 s3, 0xbfe62e42
	s_mov_b32 s2, 0xfefa39ef
	v_cmp_nlt_f64_e32 vcc_lo, 0x40900000, v[28:29]
	v_cmp_ngt_f64_e64 s1, 0xc090cc00, v[28:29]
	v_rndne_f64_e32 v[34:35], v[34:35]
	s_delay_alu instid0(VALU_DEP_1) | instskip(SKIP_2) | instid1(VALU_DEP_2)
	v_fma_f64 v[36:37], v[34:35], s[2:3], v[28:29]
	v_cvt_i32_f64_e32 v54, v[34:35]
	s_mov_b32 s3, 0x3fe62e42
	v_fma_f64 v[36:37], v[34:35], s[4:5], v[36:37]
	s_mov_b32 s5, 0x3c7abc9e
	s_waitcnt lgkmcnt(0)
	s_delay_alu instid0(VALU_DEP_1) | instskip(SKIP_4) | instid1(VALU_DEP_1)
	v_fma_f64 v[48:49], v[36:37], s[10:11], s[6:7]
	s_mov_b32 s6, 0x623fde64
	s_mov_b32 s7, 0x3ec71dee
	;; [unrolled: 1-line block ×4, first 2 shown]
	v_fma_f64 v[48:49], v[36:37], v[48:49], s[6:7]
	s_mov_b32 s6, 0x7c89e6b0
	s_mov_b32 s7, 0x3efa0199
	s_delay_alu instid0(VALU_DEP_1) | instid1(SALU_CYCLE_1)
	v_fma_f64 v[48:49], v[36:37], v[48:49], s[6:7]
	s_mov_b32 s6, 0x14761f6e
	s_mov_b32 s7, 0x3f2a01a0
	s_delay_alu instid0(VALU_DEP_1) | instid1(SALU_CYCLE_1)
	;; [unrolled: 4-line block ×7, first 2 shown]
	v_fma_f64 v[48:49], v[36:37], v[48:49], s[6:7]
	s_mov_b32 s7, 0x3fe55555
	s_mov_b32 s6, 0x55555555
	s_delay_alu instid0(VALU_DEP_1) | instskip(NEXT) | instid1(VALU_DEP_1)
	v_fma_f64 v[48:49], v[36:37], v[48:49], 1.0
	v_fma_f64 v[34:35], v[36:37], v[48:49], 1.0
	s_delay_alu instid0(VALU_DEP_1) | instskip(NEXT) | instid1(VALU_DEP_1)
	v_ldexp_f64 v[34:35], v[34:35], v54
	v_cndmask_b32_e32 v35, 0x7ff00000, v35, vcc_lo
	s_and_b32 vcc_lo, s1, vcc_lo
	s_delay_alu instid0(VALU_DEP_1) | instskip(NEXT) | instid1(VALU_DEP_3)
	v_cndmask_b32_e64 v29, 0, v35, s1
	v_cndmask_b32_e32 v28, 0, v34, vcc_lo
	s_delay_alu instid0(VALU_DEP_1) | instskip(NEXT) | instid1(VALU_DEP_1)
	v_add_f64 v[34:35], v[28:29], 1.0
	v_frexp_mant_f64_e32 v[36:37], v[34:35]
	v_frexp_exp_i32_f64_e32 v54, v[34:35]
	v_add_f64 v[48:49], v[34:35], -1.0
	s_delay_alu instid0(VALU_DEP_3) | instskip(SKIP_1) | instid1(VALU_DEP_2)
	v_cmp_gt_f64_e32 vcc_lo, s[6:7], v[36:37]
	s_mov_b32 s6, 0x55555780
	v_add_f64 v[36:37], v[48:49], -v[34:35]
	v_add_f64 v[48:49], v[28:29], -v[48:49]
	v_subrev_co_ci_u32_e32 v96, vcc_lo, 0, v54, vcc_lo
	s_delay_alu instid0(VALU_DEP_3) | instskip(SKIP_1) | instid1(VALU_DEP_3)
	v_add_f64 v[36:37], v[36:37], 1.0
	v_cmp_eq_f64_e32 vcc_lo, 0x7ff00000, v[28:29]
	v_sub_nc_u32_e32 v64, 0, v96
	s_delay_alu instid0(VALU_DEP_1) | instskip(NEXT) | instid1(VALU_DEP_4)
	v_ldexp_f64 v[34:35], v[34:35], v64
	v_add_f64 v[36:37], v[48:49], v[36:37]
	s_delay_alu instid0(VALU_DEP_2) | instskip(SKIP_1) | instid1(VALU_DEP_3)
	v_add_f64 v[54:55], v[34:35], 1.0
	v_add_f64 v[70:71], v[34:35], -1.0
	v_ldexp_f64 v[36:37], v[36:37], v64
	s_delay_alu instid0(VALU_DEP_3) | instskip(NEXT) | instid1(VALU_DEP_3)
	v_add_f64 v[48:49], v[54:55], -1.0
	v_add_f64 v[80:81], v[70:71], 1.0
	s_delay_alu instid0(VALU_DEP_2) | instskip(NEXT) | instid1(VALU_DEP_2)
	v_add_f64 v[48:49], v[34:35], -v[48:49]
	v_add_f64 v[34:35], v[34:35], -v[80:81]
	s_delay_alu instid0(VALU_DEP_2) | instskip(NEXT) | instid1(VALU_DEP_2)
	v_add_f64 v[48:49], v[36:37], v[48:49]
	v_add_f64 v[34:35], v[36:37], v[34:35]
	s_delay_alu instid0(VALU_DEP_2) | instskip(NEXT) | instid1(VALU_DEP_2)
	v_add_f64 v[64:65], v[54:55], v[48:49]
	v_add_f64 v[80:81], v[70:71], v[34:35]
	s_delay_alu instid0(VALU_DEP_2) | instskip(SKIP_1) | instid1(VALU_DEP_2)
	v_rcp_f64_e32 v[68:69], v[64:65]
	v_add_f64 v[54:55], v[64:65], -v[54:55]
	v_add_f64 v[70:71], v[80:81], -v[70:71]
	s_delay_alu instid0(VALU_DEP_2) | instskip(SKIP_3) | instid1(VALU_DEP_2)
	v_add_f64 v[48:49], v[48:49], -v[54:55]
	s_waitcnt_depctr 0xfff
	v_fma_f64 v[82:83], -v[64:65], v[68:69], 1.0
	v_add_f64 v[34:35], v[34:35], -v[70:71]
	v_fma_f64 v[68:69], v[82:83], v[68:69], v[68:69]
	s_delay_alu instid0(VALU_DEP_1) | instskip(NEXT) | instid1(VALU_DEP_1)
	v_fma_f64 v[36:37], -v[64:65], v[68:69], 1.0
	v_fma_f64 v[36:37], v[36:37], v[68:69], v[68:69]
	s_delay_alu instid0(VALU_DEP_1) | instskip(NEXT) | instid1(VALU_DEP_1)
	v_mul_f64 v[68:69], v[80:81], v[36:37]
	v_mul_f64 v[82:83], v[64:65], v[68:69]
	s_delay_alu instid0(VALU_DEP_1) | instskip(NEXT) | instid1(VALU_DEP_1)
	v_fma_f64 v[54:55], v[68:69], v[64:65], -v[82:83]
	v_fma_f64 v[54:55], v[68:69], v[48:49], v[54:55]
	s_delay_alu instid0(VALU_DEP_1) | instskip(NEXT) | instid1(VALU_DEP_1)
	v_add_f64 v[84:85], v[82:83], v[54:55]
	v_add_f64 v[86:87], v[80:81], -v[84:85]
	v_add_f64 v[70:71], v[84:85], -v[82:83]
	s_delay_alu instid0(VALU_DEP_2) | instskip(NEXT) | instid1(VALU_DEP_2)
	v_add_f64 v[80:81], v[80:81], -v[86:87]
	v_add_f64 v[54:55], v[70:71], -v[54:55]
	s_delay_alu instid0(VALU_DEP_2) | instskip(NEXT) | instid1(VALU_DEP_1)
	v_add_f64 v[80:81], v[80:81], -v[84:85]
	v_add_f64 v[34:35], v[34:35], v[80:81]
	s_delay_alu instid0(VALU_DEP_1) | instskip(NEXT) | instid1(VALU_DEP_1)
	v_add_f64 v[34:35], v[54:55], v[34:35]
	v_add_f64 v[54:55], v[86:87], v[34:35]
	s_delay_alu instid0(VALU_DEP_1) | instskip(SKIP_1) | instid1(VALU_DEP_2)
	v_mul_f64 v[70:71], v[36:37], v[54:55]
	v_add_f64 v[84:85], v[86:87], -v[54:55]
	v_mul_f64 v[80:81], v[64:65], v[70:71]
	s_delay_alu instid0(VALU_DEP_2) | instskip(NEXT) | instid1(VALU_DEP_2)
	v_add_f64 v[34:35], v[34:35], v[84:85]
	v_fma_f64 v[64:65], v[70:71], v[64:65], -v[80:81]
	s_delay_alu instid0(VALU_DEP_1) | instskip(NEXT) | instid1(VALU_DEP_1)
	v_fma_f64 v[48:49], v[70:71], v[48:49], v[64:65]
	v_add_f64 v[64:65], v[80:81], v[48:49]
	s_delay_alu instid0(VALU_DEP_1) | instskip(SKIP_1) | instid1(VALU_DEP_2)
	v_add_f64 v[82:83], v[54:55], -v[64:65]
	v_add_f64 v[80:81], v[64:65], -v[80:81]
	;; [unrolled: 1-line block ×3, first 2 shown]
	s_delay_alu instid0(VALU_DEP_2) | instskip(NEXT) | instid1(VALU_DEP_2)
	v_add_f64 v[48:49], v[80:81], -v[48:49]
	v_add_f64 v[54:55], v[54:55], -v[64:65]
	s_delay_alu instid0(VALU_DEP_1) | instskip(SKIP_1) | instid1(VALU_DEP_2)
	v_add_f64 v[34:35], v[34:35], v[54:55]
	v_add_f64 v[54:55], v[68:69], v[70:71]
	;; [unrolled: 1-line block ×3, first 2 shown]
	s_delay_alu instid0(VALU_DEP_2) | instskip(NEXT) | instid1(VALU_DEP_2)
	v_add_f64 v[48:49], v[54:55], -v[68:69]
	v_add_f64 v[34:35], v[82:83], v[34:35]
	s_delay_alu instid0(VALU_DEP_2) | instskip(NEXT) | instid1(VALU_DEP_2)
	v_add_f64 v[48:49], v[70:71], -v[48:49]
	v_mul_f64 v[34:35], v[36:37], v[34:35]
	s_delay_alu instid0(VALU_DEP_1) | instskip(NEXT) | instid1(VALU_DEP_1)
	v_add_f64 v[34:35], v[48:49], v[34:35]
	v_add_f64 v[36:37], v[54:55], v[34:35]
	s_delay_alu instid0(VALU_DEP_1) | instskip(NEXT) | instid1(VALU_DEP_1)
	v_mul_f64 v[48:49], v[36:37], v[36:37]
	v_fma_f64 v[64:65], v[48:49], s[12:13], s[10:11]
	s_mov_b32 s10, 0xd7f4df2e
	s_mov_b32 s11, 0x3fc7474d
	v_mul_f64 v[68:69], v[36:37], v[48:49]
	s_delay_alu instid0(VALU_DEP_2)
	v_fma_f64 v[64:65], v[48:49], v[64:65], s[10:11]
	s_mov_b32 s10, 0x16291751
	s_mov_b32 s11, 0x3fcc71c0
	s_delay_alu instid0(VALU_DEP_1) | instid1(SALU_CYCLE_1)
	v_fma_f64 v[64:65], v[48:49], v[64:65], s[10:11]
	s_mov_b32 s10, 0x9b27acf1
	s_mov_b32 s11, 0x3fd24924
	s_delay_alu instid0(VALU_DEP_1) | instid1(SALU_CYCLE_1)
	v_fma_f64 v[64:65], v[48:49], v[64:65], s[10:11]
	s_mov_b32 s10, 0x998ef7b6
	s_mov_b32 s11, 0x3fd99999
	s_delay_alu instid0(VALU_DEP_1) | instid1(SALU_CYCLE_1)
	v_fma_f64 v[64:65], v[48:49], v[64:65], s[10:11]
	s_delay_alu instid0(VALU_DEP_1) | instskip(SKIP_2) | instid1(VALU_DEP_3)
	v_fma_f64 v[48:49], v[48:49], v[64:65], s[6:7]
	v_ldexp_f64 v[64:65], v[36:37], 1
	v_add_f64 v[36:37], v[36:37], -v[54:55]
	v_mul_f64 v[48:49], v[68:69], v[48:49]
	v_cvt_f64_i32_e32 v[68:69], v96
	s_delay_alu instid0(VALU_DEP_3) | instskip(NEXT) | instid1(VALU_DEP_3)
	v_add_f64 v[34:35], v[34:35], -v[36:37]
	v_add_f64 v[54:55], v[64:65], v[48:49]
	s_delay_alu instid0(VALU_DEP_3) | instskip(NEXT) | instid1(VALU_DEP_3)
	v_mul_f64 v[70:71], v[68:69], s[2:3]
	v_ldexp_f64 v[34:35], v[34:35], 1
	s_delay_alu instid0(VALU_DEP_3) | instskip(NEXT) | instid1(VALU_DEP_3)
	v_add_f64 v[36:37], v[54:55], -v[64:65]
	v_fma_f64 v[64:65], v[68:69], s[2:3], -v[70:71]
	s_delay_alu instid0(VALU_DEP_2) | instskip(NEXT) | instid1(VALU_DEP_2)
	v_add_f64 v[36:37], v[48:49], -v[36:37]
	v_fma_f64 v[48:49], v[68:69], s[4:5], v[64:65]
	s_delay_alu instid0(VALU_DEP_2) | instskip(NEXT) | instid1(VALU_DEP_2)
	v_add_f64 v[34:35], v[34:35], v[36:37]
	v_add_f64 v[36:37], v[70:71], v[48:49]
	s_delay_alu instid0(VALU_DEP_2) | instskip(NEXT) | instid1(VALU_DEP_2)
	v_add_f64 v[64:65], v[54:55], v[34:35]
	v_add_f64 v[70:71], v[36:37], -v[70:71]
	s_delay_alu instid0(VALU_DEP_2) | instskip(SKIP_1) | instid1(VALU_DEP_3)
	v_add_f64 v[68:69], v[36:37], v[64:65]
	v_add_f64 v[54:55], v[64:65], -v[54:55]
	v_add_f64 v[48:49], v[48:49], -v[70:71]
	s_delay_alu instid0(VALU_DEP_3) | instskip(NEXT) | instid1(VALU_DEP_3)
	v_add_f64 v[80:81], v[68:69], -v[36:37]
	v_add_f64 v[34:35], v[34:35], -v[54:55]
	s_delay_alu instid0(VALU_DEP_2) | instskip(SKIP_1) | instid1(VALU_DEP_3)
	v_add_f64 v[82:83], v[68:69], -v[80:81]
	v_add_f64 v[54:55], v[64:65], -v[80:81]
	v_add_f64 v[64:65], v[48:49], v[34:35]
	s_delay_alu instid0(VALU_DEP_3) | instskip(NEXT) | instid1(VALU_DEP_1)
	v_add_f64 v[36:37], v[36:37], -v[82:83]
	v_add_f64 v[36:37], v[54:55], v[36:37]
	s_delay_alu instid0(VALU_DEP_3) | instskip(NEXT) | instid1(VALU_DEP_2)
	v_add_f64 v[54:55], v[64:65], -v[48:49]
	v_add_f64 v[36:37], v[64:65], v[36:37]
	s_delay_alu instid0(VALU_DEP_2) | instskip(SKIP_1) | instid1(VALU_DEP_3)
	v_add_f64 v[64:65], v[64:65], -v[54:55]
	v_add_f64 v[34:35], v[34:35], -v[54:55]
	v_add_f64 v[70:71], v[68:69], v[36:37]
	s_delay_alu instid0(VALU_DEP_3) | instskip(NEXT) | instid1(VALU_DEP_2)
	v_add_f64 v[48:49], v[48:49], -v[64:65]
	v_add_f64 v[54:55], v[70:71], -v[68:69]
	s_delay_alu instid0(VALU_DEP_2) | instskip(NEXT) | instid1(VALU_DEP_2)
	v_add_f64 v[34:35], v[34:35], v[48:49]
	v_add_f64 v[36:37], v[36:37], -v[54:55]
	s_delay_alu instid0(VALU_DEP_1) | instskip(NEXT) | instid1(VALU_DEP_1)
	v_add_f64 v[34:35], v[34:35], v[36:37]
	v_add_f64 v[34:35], v[70:71], v[34:35]
	s_delay_alu instid0(VALU_DEP_1) | instskip(SKIP_1) | instid1(VALU_DEP_2)
	v_dual_cndmask_b32 v35, v35, v29 :: v_dual_cndmask_b32 v34, v34, v28
	v_cmp_ngt_f64_e32 vcc_lo, -1.0, v[28:29]
	v_cndmask_b32_e32 v35, 0x7ff80000, v35, vcc_lo
	v_cmp_nge_f64_e32 vcc_lo, -1.0, v[28:29]
	s_delay_alu instid0(VALU_DEP_4) | instskip(SKIP_1) | instid1(VALU_DEP_4)
	v_cndmask_b32_e32 v34, 0, v34, vcc_lo
	v_cmp_neq_f64_e32 vcc_lo, -1.0, v[28:29]
	v_cndmask_b32_e32 v35, 0xfff00000, v35, vcc_lo
	s_delay_alu instid0(VALU_DEP_1)
	v_add_f64 v[28:29], v[32:33], v[34:35]
.LBB56_364:
	s_or_b32 exec_lo, exec_lo, s8
	s_delay_alu instid0(VALU_DEP_1) | instskip(SKIP_1) | instid1(VALU_DEP_2)
	v_max_f64 v[32:33], v[28:29], v[28:29]
	v_cmp_u_f64_e32 vcc_lo, v[28:29], v[28:29]
	v_min_f64 v[34:35], v[32:33], v[30:31]
	v_max_f64 v[30:31], v[32:33], v[30:31]
	s_delay_alu instid0(VALU_DEP_2) | instskip(NEXT) | instid1(VALU_DEP_2)
	v_dual_cndmask_b32 v32, v34, v28 :: v_dual_cndmask_b32 v33, v35, v29
	v_dual_cndmask_b32 v31, v31, v29 :: v_dual_cndmask_b32 v30, v30, v28
	s_delay_alu instid0(VALU_DEP_2) | instskip(NEXT) | instid1(VALU_DEP_3)
	v_cndmask_b32_e64 v34, v32, v66, s15
	v_cndmask_b32_e64 v35, v33, v67, s15
	s_delay_alu instid0(VALU_DEP_3) | instskip(NEXT) | instid1(VALU_DEP_4)
	v_cndmask_b32_e64 v33, v31, v67, s15
	v_cndmask_b32_e64 v32, v30, v66, s15
	v_dual_mov_b32 v31, v29 :: v_dual_mov_b32 v30, v28
	s_delay_alu instid0(VALU_DEP_4) | instskip(NEXT) | instid1(VALU_DEP_3)
	v_cmp_class_f64_e64 s1, v[34:35], 0x1f8
	v_cmp_neq_f64_e32 vcc_lo, v[34:35], v[32:33]
	s_delay_alu instid0(VALU_DEP_2) | instskip(NEXT) | instid1(SALU_CYCLE_1)
	s_or_b32 s1, vcc_lo, s1
	s_and_saveexec_b32 s8, s1
	s_cbranch_execz .LBB56_366
; %bb.365:
	v_add_f64 v[30:31], v[34:35], -v[32:33]
	s_mov_b32 s2, 0x652b82fe
	s_mov_b32 s3, 0x3ff71547
	;; [unrolled: 1-line block ×10, first 2 shown]
	s_delay_alu instid0(VALU_DEP_1) | instskip(SKIP_4) | instid1(VALU_DEP_3)
	v_mul_f64 v[34:35], v[30:31], s[2:3]
	s_mov_b32 s3, 0xbfe62e42
	s_mov_b32 s2, 0xfefa39ef
	v_cmp_nlt_f64_e32 vcc_lo, 0x40900000, v[30:31]
	v_cmp_ngt_f64_e64 s1, 0xc090cc00, v[30:31]
	v_rndne_f64_e32 v[34:35], v[34:35]
	s_delay_alu instid0(VALU_DEP_1) | instskip(SKIP_2) | instid1(VALU_DEP_2)
	v_fma_f64 v[36:37], v[34:35], s[2:3], v[30:31]
	v_cvt_i32_f64_e32 v54, v[34:35]
	s_mov_b32 s3, 0x3fe62e42
	v_fma_f64 v[36:37], v[34:35], s[4:5], v[36:37]
	s_mov_b32 s5, 0x3c7abc9e
	s_waitcnt lgkmcnt(0)
	s_delay_alu instid0(VALU_DEP_1) | instskip(SKIP_4) | instid1(VALU_DEP_1)
	v_fma_f64 v[48:49], v[36:37], s[10:11], s[6:7]
	s_mov_b32 s6, 0x623fde64
	s_mov_b32 s7, 0x3ec71dee
	;; [unrolled: 1-line block ×4, first 2 shown]
	v_fma_f64 v[48:49], v[36:37], v[48:49], s[6:7]
	s_mov_b32 s6, 0x7c89e6b0
	s_mov_b32 s7, 0x3efa0199
	s_delay_alu instid0(VALU_DEP_1) | instid1(SALU_CYCLE_1)
	v_fma_f64 v[48:49], v[36:37], v[48:49], s[6:7]
	s_mov_b32 s6, 0x14761f6e
	s_mov_b32 s7, 0x3f2a01a0
	s_delay_alu instid0(VALU_DEP_1) | instid1(SALU_CYCLE_1)
	;; [unrolled: 4-line block ×7, first 2 shown]
	v_fma_f64 v[48:49], v[36:37], v[48:49], s[6:7]
	s_mov_b32 s7, 0x3fe55555
	s_mov_b32 s6, 0x55555555
	s_delay_alu instid0(VALU_DEP_1) | instskip(NEXT) | instid1(VALU_DEP_1)
	v_fma_f64 v[48:49], v[36:37], v[48:49], 1.0
	v_fma_f64 v[34:35], v[36:37], v[48:49], 1.0
	s_delay_alu instid0(VALU_DEP_1) | instskip(NEXT) | instid1(VALU_DEP_1)
	v_ldexp_f64 v[34:35], v[34:35], v54
	v_cndmask_b32_e32 v35, 0x7ff00000, v35, vcc_lo
	s_and_b32 vcc_lo, s1, vcc_lo
	s_delay_alu instid0(VALU_DEP_1) | instskip(NEXT) | instid1(VALU_DEP_3)
	v_cndmask_b32_e64 v31, 0, v35, s1
	v_cndmask_b32_e32 v30, 0, v34, vcc_lo
	s_delay_alu instid0(VALU_DEP_1) | instskip(NEXT) | instid1(VALU_DEP_1)
	v_add_f64 v[34:35], v[30:31], 1.0
	v_frexp_mant_f64_e32 v[36:37], v[34:35]
	v_frexp_exp_i32_f64_e32 v54, v[34:35]
	v_add_f64 v[48:49], v[34:35], -1.0
	s_delay_alu instid0(VALU_DEP_3) | instskip(SKIP_1) | instid1(VALU_DEP_2)
	v_cmp_gt_f64_e32 vcc_lo, s[6:7], v[36:37]
	s_mov_b32 s6, 0x55555780
	v_add_f64 v[36:37], v[48:49], -v[34:35]
	v_add_f64 v[48:49], v[30:31], -v[48:49]
	v_subrev_co_ci_u32_e32 v86, vcc_lo, 0, v54, vcc_lo
	s_delay_alu instid0(VALU_DEP_3) | instskip(SKIP_1) | instid1(VALU_DEP_3)
	v_add_f64 v[36:37], v[36:37], 1.0
	v_cmp_eq_f64_e32 vcc_lo, 0x7ff00000, v[30:31]
	v_sub_nc_u32_e32 v64, 0, v86
	s_delay_alu instid0(VALU_DEP_1) | instskip(NEXT) | instid1(VALU_DEP_4)
	v_ldexp_f64 v[34:35], v[34:35], v64
	v_add_f64 v[36:37], v[48:49], v[36:37]
	s_delay_alu instid0(VALU_DEP_2) | instskip(SKIP_1) | instid1(VALU_DEP_3)
	v_add_f64 v[54:55], v[34:35], 1.0
	v_add_f64 v[68:69], v[34:35], -1.0
	v_ldexp_f64 v[36:37], v[36:37], v64
	s_delay_alu instid0(VALU_DEP_3) | instskip(NEXT) | instid1(VALU_DEP_3)
	v_add_f64 v[48:49], v[54:55], -1.0
	v_add_f64 v[70:71], v[68:69], 1.0
	s_delay_alu instid0(VALU_DEP_2) | instskip(NEXT) | instid1(VALU_DEP_2)
	v_add_f64 v[48:49], v[34:35], -v[48:49]
	v_add_f64 v[34:35], v[34:35], -v[70:71]
	s_delay_alu instid0(VALU_DEP_2) | instskip(NEXT) | instid1(VALU_DEP_2)
	v_add_f64 v[48:49], v[36:37], v[48:49]
	v_add_f64 v[34:35], v[36:37], v[34:35]
	s_delay_alu instid0(VALU_DEP_2) | instskip(NEXT) | instid1(VALU_DEP_2)
	v_add_f64 v[64:65], v[54:55], v[48:49]
	v_add_f64 v[70:71], v[68:69], v[34:35]
	s_delay_alu instid0(VALU_DEP_2) | instskip(SKIP_1) | instid1(VALU_DEP_2)
	v_rcp_f64_e32 v[66:67], v[64:65]
	v_add_f64 v[54:55], v[64:65], -v[54:55]
	v_add_f64 v[68:69], v[70:71], -v[68:69]
	s_delay_alu instid0(VALU_DEP_2) | instskip(SKIP_3) | instid1(VALU_DEP_2)
	v_add_f64 v[48:49], v[48:49], -v[54:55]
	s_waitcnt_depctr 0xfff
	v_fma_f64 v[80:81], -v[64:65], v[66:67], 1.0
	v_add_f64 v[34:35], v[34:35], -v[68:69]
	v_fma_f64 v[66:67], v[80:81], v[66:67], v[66:67]
	s_delay_alu instid0(VALU_DEP_1) | instskip(NEXT) | instid1(VALU_DEP_1)
	v_fma_f64 v[36:37], -v[64:65], v[66:67], 1.0
	v_fma_f64 v[36:37], v[36:37], v[66:67], v[66:67]
	s_delay_alu instid0(VALU_DEP_1) | instskip(NEXT) | instid1(VALU_DEP_1)
	v_mul_f64 v[66:67], v[70:71], v[36:37]
	v_mul_f64 v[80:81], v[64:65], v[66:67]
	s_delay_alu instid0(VALU_DEP_1) | instskip(NEXT) | instid1(VALU_DEP_1)
	v_fma_f64 v[54:55], v[66:67], v[64:65], -v[80:81]
	v_fma_f64 v[54:55], v[66:67], v[48:49], v[54:55]
	s_delay_alu instid0(VALU_DEP_1) | instskip(NEXT) | instid1(VALU_DEP_1)
	v_add_f64 v[82:83], v[80:81], v[54:55]
	v_add_f64 v[84:85], v[70:71], -v[82:83]
	v_add_f64 v[68:69], v[82:83], -v[80:81]
	s_delay_alu instid0(VALU_DEP_2) | instskip(NEXT) | instid1(VALU_DEP_2)
	v_add_f64 v[70:71], v[70:71], -v[84:85]
	v_add_f64 v[54:55], v[68:69], -v[54:55]
	s_delay_alu instid0(VALU_DEP_2) | instskip(NEXT) | instid1(VALU_DEP_1)
	v_add_f64 v[70:71], v[70:71], -v[82:83]
	v_add_f64 v[34:35], v[34:35], v[70:71]
	s_delay_alu instid0(VALU_DEP_1) | instskip(NEXT) | instid1(VALU_DEP_1)
	v_add_f64 v[34:35], v[54:55], v[34:35]
	v_add_f64 v[54:55], v[84:85], v[34:35]
	s_delay_alu instid0(VALU_DEP_1) | instskip(SKIP_1) | instid1(VALU_DEP_2)
	v_mul_f64 v[68:69], v[36:37], v[54:55]
	v_add_f64 v[82:83], v[84:85], -v[54:55]
	v_mul_f64 v[70:71], v[64:65], v[68:69]
	s_delay_alu instid0(VALU_DEP_2) | instskip(NEXT) | instid1(VALU_DEP_2)
	v_add_f64 v[34:35], v[34:35], v[82:83]
	v_fma_f64 v[64:65], v[68:69], v[64:65], -v[70:71]
	s_delay_alu instid0(VALU_DEP_1) | instskip(NEXT) | instid1(VALU_DEP_1)
	v_fma_f64 v[48:49], v[68:69], v[48:49], v[64:65]
	v_add_f64 v[64:65], v[70:71], v[48:49]
	s_delay_alu instid0(VALU_DEP_1) | instskip(SKIP_1) | instid1(VALU_DEP_2)
	v_add_f64 v[80:81], v[54:55], -v[64:65]
	v_add_f64 v[70:71], v[64:65], -v[70:71]
	;; [unrolled: 1-line block ×3, first 2 shown]
	s_delay_alu instid0(VALU_DEP_2) | instskip(NEXT) | instid1(VALU_DEP_2)
	v_add_f64 v[48:49], v[70:71], -v[48:49]
	v_add_f64 v[54:55], v[54:55], -v[64:65]
	s_delay_alu instid0(VALU_DEP_1) | instskip(SKIP_1) | instid1(VALU_DEP_2)
	v_add_f64 v[34:35], v[34:35], v[54:55]
	v_add_f64 v[54:55], v[66:67], v[68:69]
	;; [unrolled: 1-line block ×3, first 2 shown]
	s_delay_alu instid0(VALU_DEP_2) | instskip(NEXT) | instid1(VALU_DEP_2)
	v_add_f64 v[48:49], v[54:55], -v[66:67]
	v_add_f64 v[34:35], v[80:81], v[34:35]
	s_delay_alu instid0(VALU_DEP_2) | instskip(NEXT) | instid1(VALU_DEP_2)
	v_add_f64 v[48:49], v[68:69], -v[48:49]
	v_mul_f64 v[34:35], v[36:37], v[34:35]
	s_delay_alu instid0(VALU_DEP_1) | instskip(NEXT) | instid1(VALU_DEP_1)
	v_add_f64 v[34:35], v[48:49], v[34:35]
	v_add_f64 v[36:37], v[54:55], v[34:35]
	s_delay_alu instid0(VALU_DEP_1) | instskip(NEXT) | instid1(VALU_DEP_1)
	v_mul_f64 v[48:49], v[36:37], v[36:37]
	v_fma_f64 v[64:65], v[48:49], s[12:13], s[10:11]
	s_mov_b32 s10, 0xd7f4df2e
	s_mov_b32 s11, 0x3fc7474d
	v_mul_f64 v[66:67], v[36:37], v[48:49]
	s_delay_alu instid0(VALU_DEP_2)
	v_fma_f64 v[64:65], v[48:49], v[64:65], s[10:11]
	s_mov_b32 s10, 0x16291751
	s_mov_b32 s11, 0x3fcc71c0
	s_delay_alu instid0(VALU_DEP_1) | instid1(SALU_CYCLE_1)
	v_fma_f64 v[64:65], v[48:49], v[64:65], s[10:11]
	s_mov_b32 s10, 0x9b27acf1
	s_mov_b32 s11, 0x3fd24924
	s_delay_alu instid0(VALU_DEP_1) | instid1(SALU_CYCLE_1)
	;; [unrolled: 4-line block ×3, first 2 shown]
	v_fma_f64 v[64:65], v[48:49], v[64:65], s[10:11]
	s_delay_alu instid0(VALU_DEP_1) | instskip(SKIP_2) | instid1(VALU_DEP_3)
	v_fma_f64 v[48:49], v[48:49], v[64:65], s[6:7]
	v_ldexp_f64 v[64:65], v[36:37], 1
	v_add_f64 v[36:37], v[36:37], -v[54:55]
	v_mul_f64 v[48:49], v[66:67], v[48:49]
	v_cvt_f64_i32_e32 v[66:67], v86
	s_delay_alu instid0(VALU_DEP_3) | instskip(NEXT) | instid1(VALU_DEP_3)
	v_add_f64 v[34:35], v[34:35], -v[36:37]
	v_add_f64 v[54:55], v[64:65], v[48:49]
	s_delay_alu instid0(VALU_DEP_3) | instskip(NEXT) | instid1(VALU_DEP_3)
	v_mul_f64 v[68:69], v[66:67], s[2:3]
	v_ldexp_f64 v[34:35], v[34:35], 1
	s_delay_alu instid0(VALU_DEP_3) | instskip(NEXT) | instid1(VALU_DEP_3)
	v_add_f64 v[36:37], v[54:55], -v[64:65]
	v_fma_f64 v[64:65], v[66:67], s[2:3], -v[68:69]
	s_delay_alu instid0(VALU_DEP_2) | instskip(NEXT) | instid1(VALU_DEP_2)
	v_add_f64 v[36:37], v[48:49], -v[36:37]
	v_fma_f64 v[48:49], v[66:67], s[4:5], v[64:65]
	s_delay_alu instid0(VALU_DEP_2) | instskip(NEXT) | instid1(VALU_DEP_2)
	v_add_f64 v[34:35], v[34:35], v[36:37]
	v_add_f64 v[36:37], v[68:69], v[48:49]
	s_delay_alu instid0(VALU_DEP_2) | instskip(NEXT) | instid1(VALU_DEP_2)
	v_add_f64 v[64:65], v[54:55], v[34:35]
	v_add_f64 v[68:69], v[36:37], -v[68:69]
	s_delay_alu instid0(VALU_DEP_2) | instskip(SKIP_1) | instid1(VALU_DEP_3)
	v_add_f64 v[66:67], v[36:37], v[64:65]
	v_add_f64 v[54:55], v[64:65], -v[54:55]
	v_add_f64 v[48:49], v[48:49], -v[68:69]
	s_delay_alu instid0(VALU_DEP_3) | instskip(NEXT) | instid1(VALU_DEP_3)
	v_add_f64 v[70:71], v[66:67], -v[36:37]
	v_add_f64 v[34:35], v[34:35], -v[54:55]
	s_delay_alu instid0(VALU_DEP_2) | instskip(SKIP_1) | instid1(VALU_DEP_3)
	v_add_f64 v[80:81], v[66:67], -v[70:71]
	v_add_f64 v[54:55], v[64:65], -v[70:71]
	v_add_f64 v[64:65], v[48:49], v[34:35]
	s_delay_alu instid0(VALU_DEP_3) | instskip(NEXT) | instid1(VALU_DEP_1)
	v_add_f64 v[36:37], v[36:37], -v[80:81]
	v_add_f64 v[36:37], v[54:55], v[36:37]
	s_delay_alu instid0(VALU_DEP_3) | instskip(NEXT) | instid1(VALU_DEP_2)
	v_add_f64 v[54:55], v[64:65], -v[48:49]
	v_add_f64 v[36:37], v[64:65], v[36:37]
	s_delay_alu instid0(VALU_DEP_2) | instskip(SKIP_1) | instid1(VALU_DEP_3)
	v_add_f64 v[64:65], v[64:65], -v[54:55]
	v_add_f64 v[34:35], v[34:35], -v[54:55]
	v_add_f64 v[68:69], v[66:67], v[36:37]
	s_delay_alu instid0(VALU_DEP_3) | instskip(NEXT) | instid1(VALU_DEP_2)
	v_add_f64 v[48:49], v[48:49], -v[64:65]
	v_add_f64 v[54:55], v[68:69], -v[66:67]
	s_delay_alu instid0(VALU_DEP_2) | instskip(NEXT) | instid1(VALU_DEP_2)
	v_add_f64 v[34:35], v[34:35], v[48:49]
	v_add_f64 v[36:37], v[36:37], -v[54:55]
	s_delay_alu instid0(VALU_DEP_1) | instskip(NEXT) | instid1(VALU_DEP_1)
	v_add_f64 v[34:35], v[34:35], v[36:37]
	v_add_f64 v[34:35], v[68:69], v[34:35]
	s_delay_alu instid0(VALU_DEP_1) | instskip(SKIP_1) | instid1(VALU_DEP_2)
	v_dual_cndmask_b32 v35, v35, v31 :: v_dual_cndmask_b32 v34, v34, v30
	v_cmp_ngt_f64_e32 vcc_lo, -1.0, v[30:31]
	v_cndmask_b32_e32 v35, 0x7ff80000, v35, vcc_lo
	v_cmp_nge_f64_e32 vcc_lo, -1.0, v[30:31]
	s_delay_alu instid0(VALU_DEP_4) | instskip(SKIP_1) | instid1(VALU_DEP_4)
	v_cndmask_b32_e32 v34, 0, v34, vcc_lo
	v_cmp_neq_f64_e32 vcc_lo, -1.0, v[30:31]
	v_cndmask_b32_e32 v35, 0xfff00000, v35, vcc_lo
	s_delay_alu instid0(VALU_DEP_1)
	v_add_f64 v[30:31], v[32:33], v[34:35]
.LBB56_366:
	s_or_b32 exec_lo, exec_lo, s8
	s_delay_alu instid0(SALU_CYCLE_1)
	s_mov_b32 s1, exec_lo
	v_cmpx_eq_u32_e32 0xff, v128
	s_cbranch_execz .LBB56_376
; %bb.367:
	v_add_co_u32 v32, vcc_lo, 0x200, v116
	v_add_co_ci_u32_e32 v33, vcc_lo, 0, v117, vcc_lo
	s_mov_b64 s[2:3], src_shared_base
	s_mov_b32 s2, exec_lo
	s_delay_alu instid0(VALU_DEP_1)
	v_cmpx_ne_u32_e64 s3, v33
	s_xor_b32 s2, exec_lo, s2
	s_cbranch_execz .LBB56_373
; %bb.368:
	s_mov_b64 s[4:5], src_private_base
	s_mov_b32 s3, exec_lo
	v_cmpx_ne_u32_e64 s5, v33
	s_xor_b32 s3, exec_lo, s3
	s_cbranch_execz .LBB56_370
; %bb.369:
	v_dual_mov_b32 v37, 0 :: v_dual_mov_b32 v36, 2
	v_dual_mov_b32 v34, v30 :: v_dual_mov_b32 v35, v31
	;;#ASMSTART
	global_store_dwordx4 v[32:33], v[34:37] off	
s_waitcnt vmcnt(0)
	;;#ASMEND
                                        ; implicit-def: $vgpr32_vgpr33
.LBB56_370:
	s_and_not1_saveexec_b32 s3, s3
	s_cbranch_execz .LBB56_372
; %bb.371:
	v_dual_mov_b32 v37, 0 :: v_dual_mov_b32 v36, 2
	v_dual_mov_b32 v34, v30 :: v_dual_mov_b32 v35, v31
	;;#ASMSTART
	flat_store_dwordx4 v[32:33], v[34:37] 	
s_waitcnt vmcnt(0)
	;;#ASMEND
.LBB56_372:
	s_or_b32 exec_lo, exec_lo, s3
                                        ; implicit-def: $vgpr32_vgpr33
.LBB56_373:
	s_and_not1_saveexec_b32 s2, s2
	s_cbranch_execz .LBB56_375
; %bb.374:
	v_cmp_ne_u64_e32 vcc_lo, 0, v[32:33]
	v_dual_mov_b32 v34, 2 :: v_dual_mov_b32 v33, v31
	v_dual_mov_b32 v35, 0 :: v_dual_cndmask_b32 v36, -1, v32
	v_mov_b32_e32 v32, v30
	;;#ASMSTART
	ds_write_b128 v36, v[32:35] 	
s_waitcnt lgkmcnt(0)
	;;#ASMEND
.LBB56_375:
	s_or_b32 exec_lo, exec_lo, s2
.LBB56_376:
	s_delay_alu instid0(SALU_CYCLE_1) | instskip(NEXT) | instid1(VALU_DEP_2)
	s_or_b32 exec_lo, exec_lo, s1
	v_mov_b32_e32 v35, v31
	s_delay_alu instid0(VALU_DEP_3)
	v_dual_mov_b32 v34, v30 :: v_dual_mov_b32 v33, v29
	v_dual_mov_b32 v32, v28 :: v_dual_mov_b32 v31, v27
	v_mov_b32_e32 v30, v26
	v_mov_b32_e32 v29, v25
	;; [unrolled: 1-line block ×27, first 2 shown]
.LBB56_377:
	v_add_co_u32 v0, vcc_lo, v52, v118
	v_add_co_ci_u32_e32 v1, vcc_lo, v53, v119, vcc_lo
	s_waitcnt lgkmcnt(0)
	s_delay_alu instid0(VALU_DEP_2) | instskip(NEXT) | instid1(VALU_DEP_2)
	v_add_co_u32 v36, vcc_lo, v0, s22
	v_add_co_ci_u32_e32 v37, vcc_lo, s23, v1, vcc_lo
	v_lshlrev_b32_e32 v1, 7, v128
	v_lshrrev_b32_e32 v0, 5, v128
	s_barrier
	buffer_gl0_inv
	s_and_saveexec_b32 s1, s0
	s_delay_alu instid0(SALU_CYCLE_1)
	s_xor_b32 s0, exec_lo, s1
	s_cbranch_execz .LBB56_379
; %bb.378:
	v_lshl_add_u32 v1, v208, 3, v1
	v_lshrrev_b32_e32 v2, 5, v198
	v_lshrrev_b32_e32 v3, 5, v197
	v_add_lshl_u32 v0, v0, v128, 3
                                        ; implicit-def: $vgpr48_vgpr49_vgpr50_vgpr51
                                        ; implicit-def: $vgpr208
                                        ; implicit-def: $vgpr181
                                        ; implicit-def: $vgpr182
                                        ; implicit-def: $vgpr198
                                        ; implicit-def: $vgpr197
	ds_store_2addr_b64 v1, v[4:5], v[6:7] offset1:1
	ds_store_2addr_b64 v1, v[8:9], v[10:11] offset0:2 offset1:3
	ds_store_2addr_b64 v1, v[12:13], v[14:15] offset0:4 offset1:5
	;; [unrolled: 1-line block ×7, first 2 shown]
	v_lshrrev_b32_e32 v8, 5, v196
	v_lshrrev_b32_e32 v1, 5, v199
	;; [unrolled: 1-line block ×5, first 2 shown]
	v_add_lshl_u32 v8, v8, v128, 3
	v_add_lshl_u32 v4, v1, v128, 3
	;; [unrolled: 1-line block ×7, first 2 shown]
	s_waitcnt lgkmcnt(0)
	s_barrier
	buffer_gl0_inv
	ds_load_b64 v[0:1], v0
	ds_load_b64 v[2:3], v4 offset:2048
	ds_load_b64 v[4:5], v5 offset:4096
	;; [unrolled: 1-line block ×7, first 2 shown]
	v_lshrrev_b32_e32 v24, 5, v177
	v_lshrrev_b32_e32 v16, 5, v183
	;; [unrolled: 1-line block ×8, first 2 shown]
	v_add_lshl_u32 v28, v24, v128, 3
	v_add_co_u32 v24, vcc_lo, v36, v195
	v_add_lshl_u32 v16, v16, v128, 3
	v_add_lshl_u32 v20, v17, v128, 3
	;; [unrolled: 1-line block ×3, first 2 shown]
	v_add_co_ci_u32_e32 v25, vcc_lo, 0, v37, vcc_lo
	v_add_lshl_u32 v21, v18, v128, 3
	v_add_lshl_u32 v30, v26, v128, 3
	;; [unrolled: 1-line block ×4, first 2 shown]
	v_add_co_u32 v34, vcc_lo, 0x1000, v24
	ds_load_b64 v[16:17], v16 offset:16384
	ds_load_b64 v[18:19], v20 offset:18432
	;; [unrolled: 1-line block ×8, first 2 shown]
	v_add_co_ci_u32_e32 v35, vcc_lo, 0, v25, vcc_lo
	v_add_co_u32 v36, vcc_lo, 0x2000, v24
	v_add_co_ci_u32_e32 v37, vcc_lo, 0, v25, vcc_lo
	v_add_co_u32 v38, vcc_lo, 0x3000, v24
	v_add_co_ci_u32_e32 v39, vcc_lo, 0, v25, vcc_lo
	s_waitcnt lgkmcnt(15)
	flat_store_b64 v[24:25], v[0:1]
	s_waitcnt lgkmcnt(15)
	flat_store_b64 v[24:25], v[2:3] offset:2048
	s_waitcnt lgkmcnt(15)
	flat_store_b64 v[34:35], v[4:5]
	s_waitcnt lgkmcnt(15)
	flat_store_b64 v[34:35], v[6:7] offset:2048
	;; [unrolled: 4-line block ×4, first 2 shown]
	v_add_co_u32 v0, vcc_lo, 0x4000, v24
	v_add_co_ci_u32_e32 v1, vcc_lo, 0, v25, vcc_lo
	v_add_co_u32 v2, vcc_lo, 0x5000, v24
	v_add_co_ci_u32_e32 v3, vcc_lo, 0, v25, vcc_lo
	;; [unrolled: 2-line block ×4, first 2 shown]
                                        ; implicit-def: $vgpr36_vgpr37_vgpr38_vgpr39
	s_waitcnt lgkmcnt(15)
	flat_store_b64 v[0:1], v[16:17]
	s_waitcnt lgkmcnt(15)
	flat_store_b64 v[0:1], v[18:19] offset:2048
	s_waitcnt lgkmcnt(15)
	flat_store_b64 v[2:3], v[20:21]
	s_waitcnt lgkmcnt(15)
	flat_store_b64 v[2:3], v[22:23] offset:2048
	;; [unrolled: 4-line block ×4, first 2 shown]
                                        ; implicit-def: $vgpr128
                                        ; implicit-def: $vgpr4_vgpr5_vgpr6_vgpr7_vgpr8_vgpr9_vgpr10_vgpr11_vgpr12_vgpr13_vgpr14_vgpr15_vgpr16_vgpr17_vgpr18_vgpr19_vgpr20_vgpr21_vgpr22_vgpr23_vgpr24_vgpr25_vgpr26_vgpr27_vgpr28_vgpr29_vgpr30_vgpr31_vgpr32_vgpr33_vgpr34_vgpr35
                                        ; implicit-def: $vgpr36
                                        ; implicit-def: $vgpr37
                                        ; implicit-def: $vgpr1
                                        ; implicit-def: $vgpr0
                                        ; implicit-def: $vgpr195
                                        ; implicit-def: $vgpr199
                                        ; implicit-def: $vgpr196
                                        ; implicit-def: $vgpr194
                                        ; implicit-def: $vgpr193
                                        ; implicit-def: $vgpr192
                                        ; implicit-def: $vgpr183
                                        ; implicit-def: $vgpr180
                                        ; implicit-def: $vgpr179
                                        ; implicit-def: $vgpr178
                                        ; implicit-def: $vgpr177
                                        ; implicit-def: $vgpr176
                                        ; implicit-def: $vgpr167
                                        ; implicit-def: $vgpr135
.LBB56_379:
	s_and_not1_saveexec_b32 s0, s0
	s_cbranch_execz .LBB56_457
; %bb.380:
	v_lshl_add_u32 v1, v208, 3, v1
	v_lshrrev_b32_e32 v2, 5, v198
	v_lshrrev_b32_e32 v3, 5, v197
	v_add_lshl_u32 v0, v0, v128, 3
	v_mov_b32_e32 v129, 0
	ds_store_2addr_b64 v1, v[4:5], v[6:7] offset1:1
	ds_store_2addr_b64 v1, v[8:9], v[10:11] offset0:2 offset1:3
	ds_store_2addr_b64 v1, v[12:13], v[14:15] offset0:4 offset1:5
	;; [unrolled: 1-line block ×7, first 2 shown]
	v_lshrrev_b32_e32 v17, 5, v180
	v_lshrrev_b32_e32 v18, 5, v179
	;; [unrolled: 1-line block ×8, first 2 shown]
	v_add_lshl_u32 v19, v17, v128, 3
	v_lshrrev_b32_e32 v17, 5, v178
	v_add_lshl_u32 v20, v18, v128, 3
	v_lshrrev_b32_e32 v18, 5, v177
	v_lshrrev_b32_e32 v21, 5, v176
	;; [unrolled: 1-line block ×4, first 2 shown]
	v_add_lshl_u32 v8, v8, v128, 3
	v_add_lshl_u32 v16, v16, v128, 3
	;; [unrolled: 1-line block ×13, first 2 shown]
	s_waitcnt lgkmcnt(0)
	s_waitcnt_vscnt null, 0x0
	s_barrier
	buffer_gl0_inv
	ds_load_b64 v[2:3], v0
	ds_load_b64 v[0:1], v1 offset:2048
	ds_load_b64 v[4:5], v4 offset:4096
	;; [unrolled: 1-line block ×15, first 2 shown]
	v_add_co_u32 v32, vcc_lo, v36, v195
	v_add_co_ci_u32_e32 v33, vcc_lo, 0, v37, vcc_lo
	s_mov_b32 s1, exec_lo
	v_cmpx_lt_u32_e64 v128, v181
	s_cbranch_execnz .LBB56_458
; %bb.381:
	s_or_b32 exec_lo, exec_lo, s1
	s_delay_alu instid0(SALU_CYCLE_1)
	s_mov_b32 s1, exec_lo
	v_cmpx_lt_u32_e64 v199, v181
	s_cbranch_execnz .LBB56_459
.LBB56_382:
	s_or_b32 exec_lo, exec_lo, s1
	s_delay_alu instid0(SALU_CYCLE_1)
	s_mov_b32 s1, exec_lo
	v_cmpx_lt_u32_e64 v198, v181
	s_cbranch_execnz .LBB56_460
.LBB56_383:
	s_or_b32 exec_lo, exec_lo, s1
	s_delay_alu instid0(SALU_CYCLE_1)
	s_mov_b32 s1, exec_lo
	v_cmpx_lt_u32_e64 v197, v181
	s_cbranch_execnz .LBB56_461
.LBB56_384:
	s_or_b32 exec_lo, exec_lo, s1
	s_delay_alu instid0(SALU_CYCLE_1)
	s_mov_b32 s1, exec_lo
	v_cmpx_lt_u32_e64 v196, v181
	s_cbranch_execnz .LBB56_462
.LBB56_385:
	s_or_b32 exec_lo, exec_lo, s1
	s_delay_alu instid0(SALU_CYCLE_1)
	s_mov_b32 s1, exec_lo
	v_cmpx_lt_u32_e64 v194, v181
	s_cbranch_execnz .LBB56_463
.LBB56_386:
	s_or_b32 exec_lo, exec_lo, s1
	s_delay_alu instid0(SALU_CYCLE_1)
	s_mov_b32 s1, exec_lo
	v_cmpx_lt_u32_e64 v193, v181
	s_cbranch_execnz .LBB56_464
.LBB56_387:
	s_or_b32 exec_lo, exec_lo, s1
	s_delay_alu instid0(SALU_CYCLE_1)
	s_mov_b32 s1, exec_lo
	v_cmpx_lt_u32_e64 v192, v181
	s_cbranch_execnz .LBB56_465
.LBB56_388:
	s_or_b32 exec_lo, exec_lo, s1
	s_delay_alu instid0(SALU_CYCLE_1)
	s_mov_b32 s1, exec_lo
	v_cmpx_lt_u32_e64 v183, v181
	s_cbranch_execnz .LBB56_466
.LBB56_389:
	s_or_b32 exec_lo, exec_lo, s1
	s_delay_alu instid0(SALU_CYCLE_1)
	s_mov_b32 s1, exec_lo
	v_cmpx_lt_u32_e64 v180, v181
	s_cbranch_execnz .LBB56_467
.LBB56_390:
	s_or_b32 exec_lo, exec_lo, s1
	s_delay_alu instid0(SALU_CYCLE_1)
	s_mov_b32 s1, exec_lo
	v_cmpx_lt_u32_e64 v179, v181
	s_cbranch_execnz .LBB56_468
.LBB56_391:
	s_or_b32 exec_lo, exec_lo, s1
	s_delay_alu instid0(SALU_CYCLE_1)
	s_mov_b32 s1, exec_lo
	v_cmpx_lt_u32_e64 v178, v181
	s_cbranch_execnz .LBB56_469
.LBB56_392:
	s_or_b32 exec_lo, exec_lo, s1
	s_delay_alu instid0(SALU_CYCLE_1)
	s_mov_b32 s1, exec_lo
	v_cmpx_lt_u32_e64 v177, v181
	s_cbranch_execnz .LBB56_470
.LBB56_393:
	s_or_b32 exec_lo, exec_lo, s1
	s_delay_alu instid0(SALU_CYCLE_1)
	s_mov_b32 s1, exec_lo
	v_cmpx_lt_u32_e64 v176, v181
	s_cbranch_execnz .LBB56_471
.LBB56_394:
	s_or_b32 exec_lo, exec_lo, s1
	s_delay_alu instid0(SALU_CYCLE_1)
	s_mov_b32 s1, exec_lo
	v_cmpx_lt_u32_e64 v167, v181
	s_cbranch_execnz .LBB56_472
.LBB56_395:
	s_or_b32 exec_lo, exec_lo, s1
	s_delay_alu instid0(SALU_CYCLE_1)
	s_mov_b32 s1, exec_lo
	v_cmpx_lt_u32_e64 v135, v181
	s_cbranch_execz .LBB56_397
.LBB56_396:
	v_add_co_u32 v32, vcc_lo, 0x7000, v32
	v_add_co_ci_u32_e32 v33, vcc_lo, 0, v33, vcc_lo
	s_waitcnt lgkmcnt(0)
	flat_store_b64 v[32:33], v[30:31] offset:2048
.LBB56_397:
	s_or_b32 exec_lo, exec_lo, s1
	s_delay_alu instid0(SALU_CYCLE_1)
	s_mov_b32 s1, exec_lo
	v_cmpx_lt_u64_e32 1, v[50:51]
	s_cbranch_execz .LBB56_456
; %bb.398:
	v_add_co_u32 v32, vcc_lo, v181, -1
	v_add_co_ci_u32_e32 v33, vcc_lo, -1, v182, vcc_lo
	s_delay_alu instid0(VALU_DEP_1) | instskip(NEXT) | instid1(VALU_DEP_1)
	v_lshrrev_b64 v[33:34], 4, v[32:33]
	v_cmp_eq_u64_e32 vcc_lo, v[33:34], v[128:129]
	s_and_b32 exec_lo, exec_lo, vcc_lo
	s_cbranch_execz .LBB56_456
; %bb.399:
	v_dual_mov_b32 v33, 0 :: v_dual_and_b32 v32, 15, v32
	s_mov_b32 s2, exec_lo
	s_delay_alu instid0(VALU_DEP_1)
	v_cmpx_lt_i64_e32 7, v[32:33]
	s_xor_b32 s2, exec_lo, s2
	s_cbranch_execz .LBB56_429
; %bb.400:
	s_mov_b32 s3, exec_lo
	v_cmpx_lt_i64_e32 11, v[32:33]
	s_xor_b32 s3, exec_lo, s3
	s_cbranch_execz .LBB56_414
; %bb.401:
	s_mov_b32 s4, exec_lo
	;; [unrolled: 5-line block ×3, first 2 shown]
	v_cmpx_lt_i64_e32 14, v[32:33]
	s_xor_b32 s5, exec_lo, s5
	s_cbranch_execz .LBB56_404
; %bb.403:
	s_waitcnt lgkmcnt(0)
	flat_store_b64 v[38:39], v[30:31]
                                        ; implicit-def: $vgpr38_vgpr39
                                        ; implicit-def: $vgpr28_vgpr29
.LBB56_404:
	s_and_not1_saveexec_b32 s5, s5
	s_cbranch_execz .LBB56_406
; %bb.405:
	s_waitcnt lgkmcnt(1)
	flat_store_b64 v[38:39], v[28:29]
.LBB56_406:
	s_or_b32 exec_lo, exec_lo, s5
                                        ; implicit-def: $vgpr38_vgpr39
                                        ; implicit-def: $vgpr22_vgpr23
                                        ; implicit-def: $vgpr32_vgpr33
                                        ; implicit-def: $vgpr26_vgpr27
.LBB56_407:
	s_and_not1_saveexec_b32 s4, s4
	s_cbranch_execz .LBB56_413
; %bb.408:
	s_mov_b32 s5, exec_lo
	v_cmpx_lt_i64_e32 12, v[32:33]
	s_xor_b32 s5, exec_lo, s5
	s_cbranch_execz .LBB56_410
; %bb.409:
	s_waitcnt lgkmcnt(2)
	flat_store_b64 v[38:39], v[26:27]
                                        ; implicit-def: $vgpr38_vgpr39
                                        ; implicit-def: $vgpr22_vgpr23
.LBB56_410:
	s_and_not1_saveexec_b32 s5, s5
	s_cbranch_execz .LBB56_412
; %bb.411:
	s_waitcnt lgkmcnt(3)
	flat_store_b64 v[38:39], v[22:23]
.LBB56_412:
	s_or_b32 exec_lo, exec_lo, s5
.LBB56_413:
	s_delay_alu instid0(SALU_CYCLE_1)
	s_or_b32 exec_lo, exec_lo, s4
                                        ; implicit-def: $vgpr32_vgpr33
                                        ; implicit-def: $vgpr38_vgpr39
                                        ; implicit-def: $vgpr16_vgpr17
                                        ; implicit-def: $vgpr20_vgpr21
                                        ; implicit-def: $vgpr18_vgpr19
                                        ; implicit-def: $vgpr24_vgpr25
.LBB56_414:
	s_and_not1_saveexec_b32 s3, s3
	s_cbranch_execz .LBB56_428
; %bb.415:
	s_mov_b32 s4, exec_lo
	v_cmpx_lt_i64_e32 9, v[32:33]
	s_xor_b32 s4, exec_lo, s4
	s_cbranch_execz .LBB56_421
; %bb.416:
	s_mov_b32 s5, exec_lo
	v_cmpx_lt_i64_e32 10, v[32:33]
	s_xor_b32 s5, exec_lo, s5
	s_cbranch_execz .LBB56_418
; %bb.417:
	s_waitcnt lgkmcnt(4)
	flat_store_b64 v[38:39], v[24:25]
                                        ; implicit-def: $vgpr38_vgpr39
                                        ; implicit-def: $vgpr20_vgpr21
.LBB56_418:
	s_and_not1_saveexec_b32 s5, s5
	s_cbranch_execz .LBB56_420
; %bb.419:
	s_waitcnt lgkmcnt(5)
	flat_store_b64 v[38:39], v[20:21]
.LBB56_420:
	s_or_b32 exec_lo, exec_lo, s5
                                        ; implicit-def: $vgpr38_vgpr39
                                        ; implicit-def: $vgpr16_vgpr17
                                        ; implicit-def: $vgpr32_vgpr33
                                        ; implicit-def: $vgpr18_vgpr19
.LBB56_421:
	s_and_not1_saveexec_b32 s4, s4
	s_cbranch_execz .LBB56_427
; %bb.422:
	s_mov_b32 s5, exec_lo
	v_cmpx_lt_i64_e32 8, v[32:33]
	s_xor_b32 s5, exec_lo, s5
	s_cbranch_execz .LBB56_424
; %bb.423:
	s_waitcnt lgkmcnt(6)
	flat_store_b64 v[38:39], v[18:19]
                                        ; implicit-def: $vgpr38_vgpr39
                                        ; implicit-def: $vgpr16_vgpr17
.LBB56_424:
	s_and_not1_saveexec_b32 s5, s5
	s_cbranch_execz .LBB56_426
; %bb.425:
	s_waitcnt lgkmcnt(7)
	flat_store_b64 v[38:39], v[16:17]
.LBB56_426:
	s_or_b32 exec_lo, exec_lo, s5
.LBB56_427:
	s_delay_alu instid0(SALU_CYCLE_1)
	s_or_b32 exec_lo, exec_lo, s4
.LBB56_428:
	s_delay_alu instid0(SALU_CYCLE_1)
	s_or_b32 exec_lo, exec_lo, s3
                                        ; implicit-def: $vgpr2_vgpr3
                                        ; implicit-def: $vgpr0_vgpr1
                                        ; implicit-def: $vgpr4_vgpr5
                                        ; implicit-def: $vgpr6_vgpr7
                                        ; implicit-def: $vgpr8_vgpr9
                                        ; implicit-def: $vgpr10_vgpr11
                                        ; implicit-def: $vgpr12_vgpr13
                                        ; implicit-def: $vgpr14_vgpr15
                                        ; implicit-def: $vgpr38_vgpr39
                                        ; implicit-def: $vgpr32_vgpr33
.LBB56_429:
	s_and_not1_saveexec_b32 s2, s2
	s_cbranch_execz .LBB56_456
; %bb.430:
	s_mov_b32 s2, exec_lo
	v_cmpx_lt_i64_e32 3, v[32:33]
	s_xor_b32 s2, exec_lo, s2
	s_cbranch_execz .LBB56_444
; %bb.431:
	s_mov_b32 s3, exec_lo
	v_cmpx_lt_i64_e32 5, v[32:33]
	s_xor_b32 s3, exec_lo, s3
	;; [unrolled: 5-line block ×3, first 2 shown]
	s_cbranch_execz .LBB56_434
; %bb.433:
	s_waitcnt lgkmcnt(8)
	flat_store_b64 v[38:39], v[14:15]
                                        ; implicit-def: $vgpr38_vgpr39
                                        ; implicit-def: $vgpr12_vgpr13
.LBB56_434:
	s_and_not1_saveexec_b32 s4, s4
	s_cbranch_execz .LBB56_436
; %bb.435:
	s_waitcnt lgkmcnt(9)
	flat_store_b64 v[38:39], v[12:13]
.LBB56_436:
	s_or_b32 exec_lo, exec_lo, s4
                                        ; implicit-def: $vgpr38_vgpr39
                                        ; implicit-def: $vgpr8_vgpr9
                                        ; implicit-def: $vgpr32_vgpr33
                                        ; implicit-def: $vgpr10_vgpr11
.LBB56_437:
	s_and_not1_saveexec_b32 s3, s3
	s_cbranch_execz .LBB56_443
; %bb.438:
	s_mov_b32 s4, exec_lo
	v_cmpx_lt_i64_e32 4, v[32:33]
	s_xor_b32 s4, exec_lo, s4
	s_cbranch_execz .LBB56_440
; %bb.439:
	s_waitcnt lgkmcnt(10)
	flat_store_b64 v[38:39], v[10:11]
                                        ; implicit-def: $vgpr38_vgpr39
                                        ; implicit-def: $vgpr8_vgpr9
.LBB56_440:
	s_and_not1_saveexec_b32 s4, s4
	s_cbranch_execz .LBB56_442
; %bb.441:
	s_waitcnt lgkmcnt(11)
	flat_store_b64 v[38:39], v[8:9]
.LBB56_442:
	s_or_b32 exec_lo, exec_lo, s4
.LBB56_443:
	s_delay_alu instid0(SALU_CYCLE_1)
	s_or_b32 exec_lo, exec_lo, s3
                                        ; implicit-def: $vgpr32_vgpr33
                                        ; implicit-def: $vgpr38_vgpr39
                                        ; implicit-def: $vgpr0_vgpr1
                                        ; implicit-def: $vgpr4_vgpr5
                                        ; implicit-def: $vgpr2_vgpr3
                                        ; implicit-def: $vgpr6_vgpr7
.LBB56_444:
	s_and_not1_saveexec_b32 s2, s2
	s_cbranch_execz .LBB56_456
; %bb.445:
	s_mov_b32 s2, exec_lo
	v_cmpx_lt_i64_e32 1, v[32:33]
	s_xor_b32 s2, exec_lo, s2
	s_cbranch_execz .LBB56_451
; %bb.446:
	s_mov_b32 s3, exec_lo
	v_cmpx_lt_i64_e32 2, v[32:33]
	s_xor_b32 s3, exec_lo, s3
	s_cbranch_execz .LBB56_448
; %bb.447:
	s_waitcnt lgkmcnt(12)
	flat_store_b64 v[38:39], v[6:7]
                                        ; implicit-def: $vgpr38_vgpr39
                                        ; implicit-def: $vgpr4_vgpr5
.LBB56_448:
	s_and_not1_saveexec_b32 s3, s3
	s_cbranch_execz .LBB56_450
; %bb.449:
	s_waitcnt lgkmcnt(13)
	flat_store_b64 v[38:39], v[4:5]
.LBB56_450:
	s_or_b32 exec_lo, exec_lo, s3
                                        ; implicit-def: $vgpr38_vgpr39
                                        ; implicit-def: $vgpr0_vgpr1
                                        ; implicit-def: $vgpr32_vgpr33
                                        ; implicit-def: $vgpr2_vgpr3
.LBB56_451:
	s_and_not1_saveexec_b32 s2, s2
	s_cbranch_execz .LBB56_456
; %bb.452:
	s_mov_b32 s2, exec_lo
	v_cmpx_ne_u64_e32 1, v[32:33]
	s_xor_b32 s2, exec_lo, s2
	s_cbranch_execz .LBB56_454
; %bb.453:
	s_waitcnt lgkmcnt(15)
	flat_store_b64 v[38:39], v[2:3]
                                        ; implicit-def: $vgpr38_vgpr39
                                        ; implicit-def: $vgpr0_vgpr1
.LBB56_454:
	s_and_not1_saveexec_b32 s2, s2
	s_cbranch_execz .LBB56_456
; %bb.455:
	s_waitcnt lgkmcnt(14)
	flat_store_b64 v[38:39], v[0:1]
.LBB56_456:
	s_or_b32 exec_lo, exec_lo, s1
.LBB56_457:
	s_delay_alu instid0(SALU_CYCLE_1)
	s_or_b32 exec_lo, exec_lo, s0
	v_readlane_b32 s30, v44, 0
	v_readlane_b32 s31, v44, 1
	s_or_saveexec_b32 s0, -1
	scratch_load_b32 v44, off, s32          ; 4-byte Folded Reload
	s_mov_b32 exec_lo, s0
	s_waitcnt vmcnt(0) lgkmcnt(0)
	s_setpc_b64 s[30:31]
.LBB56_458:
	s_waitcnt lgkmcnt(15)
	flat_store_b64 v[32:33], v[2:3]
	s_or_b32 exec_lo, exec_lo, s1
	s_delay_alu instid0(SALU_CYCLE_1)
	s_mov_b32 s1, exec_lo
	v_cmpx_lt_u32_e64 v199, v181
	s_cbranch_execz .LBB56_382
.LBB56_459:
	s_waitcnt lgkmcnt(14)
	flat_store_b64 v[32:33], v[0:1] offset:2048
	s_or_b32 exec_lo, exec_lo, s1
	s_delay_alu instid0(SALU_CYCLE_1)
	s_mov_b32 s1, exec_lo
	v_cmpx_lt_u32_e64 v198, v181
	s_cbranch_execz .LBB56_383
.LBB56_460:
	v_add_co_u32 v34, vcc_lo, 0x1000, v32
	v_add_co_ci_u32_e32 v35, vcc_lo, 0, v33, vcc_lo
	s_waitcnt lgkmcnt(13)
	flat_store_b64 v[34:35], v[4:5]
	s_or_b32 exec_lo, exec_lo, s1
	s_delay_alu instid0(SALU_CYCLE_1)
	s_mov_b32 s1, exec_lo
	v_cmpx_lt_u32_e64 v197, v181
	s_cbranch_execz .LBB56_384
.LBB56_461:
	v_add_co_u32 v34, vcc_lo, 0x1000, v32
	v_add_co_ci_u32_e32 v35, vcc_lo, 0, v33, vcc_lo
	s_waitcnt lgkmcnt(12)
	flat_store_b64 v[34:35], v[6:7] offset:2048
	s_or_b32 exec_lo, exec_lo, s1
	s_delay_alu instid0(SALU_CYCLE_1)
	s_mov_b32 s1, exec_lo
	v_cmpx_lt_u32_e64 v196, v181
	s_cbranch_execz .LBB56_385
.LBB56_462:
	v_add_co_u32 v34, vcc_lo, 0x2000, v32
	v_add_co_ci_u32_e32 v35, vcc_lo, 0, v33, vcc_lo
	s_waitcnt lgkmcnt(11)
	flat_store_b64 v[34:35], v[8:9]
	s_or_b32 exec_lo, exec_lo, s1
	s_delay_alu instid0(SALU_CYCLE_1)
	s_mov_b32 s1, exec_lo
	v_cmpx_lt_u32_e64 v194, v181
	s_cbranch_execz .LBB56_386
.LBB56_463:
	v_add_co_u32 v34, vcc_lo, 0x2000, v32
	v_add_co_ci_u32_e32 v35, vcc_lo, 0, v33, vcc_lo
	s_waitcnt lgkmcnt(10)
	flat_store_b64 v[34:35], v[10:11] offset:2048
	s_or_b32 exec_lo, exec_lo, s1
	s_delay_alu instid0(SALU_CYCLE_1)
	s_mov_b32 s1, exec_lo
	v_cmpx_lt_u32_e64 v193, v181
	s_cbranch_execz .LBB56_387
.LBB56_464:
	v_add_co_u32 v34, vcc_lo, 0x3000, v32
	v_add_co_ci_u32_e32 v35, vcc_lo, 0, v33, vcc_lo
	s_waitcnt lgkmcnt(9)
	flat_store_b64 v[34:35], v[12:13]
	s_or_b32 exec_lo, exec_lo, s1
	s_delay_alu instid0(SALU_CYCLE_1)
	s_mov_b32 s1, exec_lo
	v_cmpx_lt_u32_e64 v192, v181
	s_cbranch_execz .LBB56_388
.LBB56_465:
	v_add_co_u32 v34, vcc_lo, 0x3000, v32
	v_add_co_ci_u32_e32 v35, vcc_lo, 0, v33, vcc_lo
	s_waitcnt lgkmcnt(8)
	flat_store_b64 v[34:35], v[14:15] offset:2048
	s_or_b32 exec_lo, exec_lo, s1
	s_delay_alu instid0(SALU_CYCLE_1)
	s_mov_b32 s1, exec_lo
	v_cmpx_lt_u32_e64 v183, v181
	s_cbranch_execz .LBB56_389
.LBB56_466:
	v_add_co_u32 v34, vcc_lo, 0x4000, v32
	v_add_co_ci_u32_e32 v35, vcc_lo, 0, v33, vcc_lo
	s_waitcnt lgkmcnt(7)
	flat_store_b64 v[34:35], v[16:17]
	s_or_b32 exec_lo, exec_lo, s1
	s_delay_alu instid0(SALU_CYCLE_1)
	s_mov_b32 s1, exec_lo
	v_cmpx_lt_u32_e64 v180, v181
	s_cbranch_execz .LBB56_390
.LBB56_467:
	v_add_co_u32 v34, vcc_lo, 0x4000, v32
	v_add_co_ci_u32_e32 v35, vcc_lo, 0, v33, vcc_lo
	s_waitcnt lgkmcnt(6)
	flat_store_b64 v[34:35], v[18:19] offset:2048
	s_or_b32 exec_lo, exec_lo, s1
	s_delay_alu instid0(SALU_CYCLE_1)
	s_mov_b32 s1, exec_lo
	v_cmpx_lt_u32_e64 v179, v181
	s_cbranch_execz .LBB56_391
.LBB56_468:
	v_add_co_u32 v34, vcc_lo, 0x5000, v32
	v_add_co_ci_u32_e32 v35, vcc_lo, 0, v33, vcc_lo
	s_waitcnt lgkmcnt(5)
	flat_store_b64 v[34:35], v[20:21]
	s_or_b32 exec_lo, exec_lo, s1
	s_delay_alu instid0(SALU_CYCLE_1)
	s_mov_b32 s1, exec_lo
	v_cmpx_lt_u32_e64 v178, v181
	s_cbranch_execz .LBB56_392
.LBB56_469:
	v_add_co_u32 v34, vcc_lo, 0x5000, v32
	v_add_co_ci_u32_e32 v35, vcc_lo, 0, v33, vcc_lo
	s_waitcnt lgkmcnt(4)
	flat_store_b64 v[34:35], v[24:25] offset:2048
	s_or_b32 exec_lo, exec_lo, s1
	s_delay_alu instid0(SALU_CYCLE_1)
	s_mov_b32 s1, exec_lo
	v_cmpx_lt_u32_e64 v177, v181
	s_cbranch_execz .LBB56_393
.LBB56_470:
	v_add_co_u32 v34, vcc_lo, 0x6000, v32
	v_add_co_ci_u32_e32 v35, vcc_lo, 0, v33, vcc_lo
	s_waitcnt lgkmcnt(3)
	flat_store_b64 v[34:35], v[22:23]
	s_or_b32 exec_lo, exec_lo, s1
	s_delay_alu instid0(SALU_CYCLE_1)
	s_mov_b32 s1, exec_lo
	v_cmpx_lt_u32_e64 v176, v181
	s_cbranch_execz .LBB56_394
.LBB56_471:
	v_add_co_u32 v34, vcc_lo, 0x6000, v32
	v_add_co_ci_u32_e32 v35, vcc_lo, 0, v33, vcc_lo
	s_waitcnt lgkmcnt(2)
	flat_store_b64 v[34:35], v[26:27] offset:2048
	s_or_b32 exec_lo, exec_lo, s1
	s_delay_alu instid0(SALU_CYCLE_1)
	s_mov_b32 s1, exec_lo
	v_cmpx_lt_u32_e64 v167, v181
	s_cbranch_execz .LBB56_395
.LBB56_472:
	v_add_co_u32 v34, vcc_lo, 0x7000, v32
	v_add_co_ci_u32_e32 v35, vcc_lo, 0, v33, vcc_lo
	s_waitcnt lgkmcnt(1)
	flat_store_b64 v[34:35], v[28:29]
	s_or_b32 exec_lo, exec_lo, s1
	s_delay_alu instid0(SALU_CYCLE_1)
	s_mov_b32 s1, exec_lo
	v_cmpx_lt_u32_e64 v135, v181
	s_cbranch_execnz .LBB56_396
	s_branch .LBB56_397
.Lfunc_end56:
	.size	_ZZZN7rocprim17ROCPRIM_400000_NS6detail9scan_implILNS1_25lookback_scan_determinismE0ELb0ELb0ENS0_14default_configEPKdPddZZZN2at6native31launch_logcumsumexp_cuda_kernelERKNS8_10TensorBaseESC_lENKUlvE_clEvENKUlvE_clEvEUlddE_dEEDaPvRmT3_T4_T5_mT6_P12ihipStream_tbENKUlT_T0_E_clISt17integral_constantIbLb1EESS_IbLb0EEEEDaSO_SP_ENKUlSO_E_clINS1_13target_configIS4_NS1_20scan_config_selectorIdEENS1_11comp_targetILNS1_3genE9ELNS1_11target_archE1100ELNS1_3gpuE3ELNS1_3repE0EEELNS0_4arch9wavefront6targetE0EEEEEDaSO_, .Lfunc_end56-_ZZZN7rocprim17ROCPRIM_400000_NS6detail9scan_implILNS1_25lookback_scan_determinismE0ELb0ELb0ENS0_14default_configEPKdPddZZZN2at6native31launch_logcumsumexp_cuda_kernelERKNS8_10TensorBaseESC_lENKUlvE_clEvENKUlvE_clEvEUlddE_dEEDaPvRmT3_T4_T5_mT6_P12ihipStream_tbENKUlT_T0_E_clISt17integral_constantIbLb1EESS_IbLb0EEEEDaSO_SP_ENKUlSO_E_clINS1_13target_configIS4_NS1_20scan_config_selectorIdEENS1_11comp_targetILNS1_3genE9ELNS1_11target_archE1100ELNS1_3gpuE3ELNS1_3repE0EEELNS0_4arch9wavefront6targetE0EEEEEDaSO_
                                        ; -- End function
	.section	.AMDGPU.csdata,"",@progbits
; Function info:
; codeLenInByte = 185720
; NumSgprs: 78
; NumVgprs: 248
; ScratchSize: 8
; MemoryBound: 0
	.section	.text._ZN7rocprim17ROCPRIM_400000_NS6detail17trampoline_kernelINS0_14default_configENS1_20scan_config_selectorIdEEZZNS1_9scan_implILNS1_25lookback_scan_determinismE0ELb0ELb0ES3_PKdPddZZZN2at6native31launch_logcumsumexp_cuda_kernelERKNSB_10TensorBaseESF_lENKUlvE_clEvENKUlvE_clEvEUlddE_dEEDaPvRmT3_T4_T5_mT6_P12ihipStream_tbENKUlT_T0_E_clISt17integral_constantIbLb1EESV_IbLb0EEEEDaSR_SS_EUlSR_E_NS1_11comp_targetILNS1_3genE9ELNS1_11target_archE1100ELNS1_3gpuE3ELNS1_3repE0EEENS1_30default_config_static_selectorELNS0_4arch9wavefront6targetE0EEEvT1_,"axG",@progbits,_ZN7rocprim17ROCPRIM_400000_NS6detail17trampoline_kernelINS0_14default_configENS1_20scan_config_selectorIdEEZZNS1_9scan_implILNS1_25lookback_scan_determinismE0ELb0ELb0ES3_PKdPddZZZN2at6native31launch_logcumsumexp_cuda_kernelERKNSB_10TensorBaseESF_lENKUlvE_clEvENKUlvE_clEvEUlddE_dEEDaPvRmT3_T4_T5_mT6_P12ihipStream_tbENKUlT_T0_E_clISt17integral_constantIbLb1EESV_IbLb0EEEEDaSR_SS_EUlSR_E_NS1_11comp_targetILNS1_3genE9ELNS1_11target_archE1100ELNS1_3gpuE3ELNS1_3repE0EEENS1_30default_config_static_selectorELNS0_4arch9wavefront6targetE0EEEvT1_,comdat
	.globl	_ZN7rocprim17ROCPRIM_400000_NS6detail17trampoline_kernelINS0_14default_configENS1_20scan_config_selectorIdEEZZNS1_9scan_implILNS1_25lookback_scan_determinismE0ELb0ELb0ES3_PKdPddZZZN2at6native31launch_logcumsumexp_cuda_kernelERKNSB_10TensorBaseESF_lENKUlvE_clEvENKUlvE_clEvEUlddE_dEEDaPvRmT3_T4_T5_mT6_P12ihipStream_tbENKUlT_T0_E_clISt17integral_constantIbLb1EESV_IbLb0EEEEDaSR_SS_EUlSR_E_NS1_11comp_targetILNS1_3genE9ELNS1_11target_archE1100ELNS1_3gpuE3ELNS1_3repE0EEENS1_30default_config_static_selectorELNS0_4arch9wavefront6targetE0EEEvT1_ ; -- Begin function _ZN7rocprim17ROCPRIM_400000_NS6detail17trampoline_kernelINS0_14default_configENS1_20scan_config_selectorIdEEZZNS1_9scan_implILNS1_25lookback_scan_determinismE0ELb0ELb0ES3_PKdPddZZZN2at6native31launch_logcumsumexp_cuda_kernelERKNSB_10TensorBaseESF_lENKUlvE_clEvENKUlvE_clEvEUlddE_dEEDaPvRmT3_T4_T5_mT6_P12ihipStream_tbENKUlT_T0_E_clISt17integral_constantIbLb1EESV_IbLb0EEEEDaSR_SS_EUlSR_E_NS1_11comp_targetILNS1_3genE9ELNS1_11target_archE1100ELNS1_3gpuE3ELNS1_3repE0EEENS1_30default_config_static_selectorELNS0_4arch9wavefront6targetE0EEEvT1_
	.p2align	8
	.type	_ZN7rocprim17ROCPRIM_400000_NS6detail17trampoline_kernelINS0_14default_configENS1_20scan_config_selectorIdEEZZNS1_9scan_implILNS1_25lookback_scan_determinismE0ELb0ELb0ES3_PKdPddZZZN2at6native31launch_logcumsumexp_cuda_kernelERKNSB_10TensorBaseESF_lENKUlvE_clEvENKUlvE_clEvEUlddE_dEEDaPvRmT3_T4_T5_mT6_P12ihipStream_tbENKUlT_T0_E_clISt17integral_constantIbLb1EESV_IbLb0EEEEDaSR_SS_EUlSR_E_NS1_11comp_targetILNS1_3genE9ELNS1_11target_archE1100ELNS1_3gpuE3ELNS1_3repE0EEENS1_30default_config_static_selectorELNS0_4arch9wavefront6targetE0EEEvT1_,@function
_ZN7rocprim17ROCPRIM_400000_NS6detail17trampoline_kernelINS0_14default_configENS1_20scan_config_selectorIdEEZZNS1_9scan_implILNS1_25lookback_scan_determinismE0ELb0ELb0ES3_PKdPddZZZN2at6native31launch_logcumsumexp_cuda_kernelERKNSB_10TensorBaseESF_lENKUlvE_clEvENKUlvE_clEvEUlddE_dEEDaPvRmT3_T4_T5_mT6_P12ihipStream_tbENKUlT_T0_E_clISt17integral_constantIbLb1EESV_IbLb0EEEEDaSR_SS_EUlSR_E_NS1_11comp_targetILNS1_3genE9ELNS1_11target_archE1100ELNS1_3gpuE3ELNS1_3repE0EEENS1_30default_config_static_selectorELNS0_4arch9wavefront6targetE0EEEvT1_: ; @_ZN7rocprim17ROCPRIM_400000_NS6detail17trampoline_kernelINS0_14default_configENS1_20scan_config_selectorIdEEZZNS1_9scan_implILNS1_25lookback_scan_determinismE0ELb0ELb0ES3_PKdPddZZZN2at6native31launch_logcumsumexp_cuda_kernelERKNSB_10TensorBaseESF_lENKUlvE_clEvENKUlvE_clEvEUlddE_dEEDaPvRmT3_T4_T5_mT6_P12ihipStream_tbENKUlT_T0_E_clISt17integral_constantIbLb1EESV_IbLb0EEEEDaSR_SS_EUlSR_E_NS1_11comp_targetILNS1_3genE9ELNS1_11target_archE1100ELNS1_3gpuE3ELNS1_3repE0EEENS1_30default_config_static_selectorELNS0_4arch9wavefront6targetE0EEEvT1_
; %bb.0:
	s_clause 0x3
	s_load_b256 s[16:23], s[0:1], 0x0
	s_load_b256 s[24:31], s[0:1], 0x20
	;; [unrolled: 1-line block ×3, first 2 shown]
	s_load_b64 s[2:3], s[0:1], 0x60
	v_mov_b32_e32 v31, v0
	s_mov_b64 s[4:5], src_private_base
	s_add_u32 s8, s0, 0x68
	s_mov_b32 s12, s15
	s_addc_u32 s9, s1, 0
	s_movk_i32 s32, 0x70
	s_getpc_b64 s[0:1]
	s_add_u32 s0, s0, _ZZZN7rocprim17ROCPRIM_400000_NS6detail9scan_implILNS1_25lookback_scan_determinismE0ELb0ELb0ENS0_14default_configEPKdPddZZZN2at6native31launch_logcumsumexp_cuda_kernelERKNS8_10TensorBaseESC_lENKUlvE_clEvENKUlvE_clEvEUlddE_dEEDaPvRmT3_T4_T5_mT6_P12ihipStream_tbENKUlT_T0_E_clISt17integral_constantIbLb1EESS_IbLb0EEEEDaSO_SP_ENKUlSO_E_clINS1_13target_configIS4_NS1_20scan_config_selectorIdEENS1_11comp_targetILNS1_3genE9ELNS1_11target_archE1100ELNS1_3gpuE3ELNS1_3repE0EEELNS0_4arch9wavefront6targetE0EEEEEDaSO_@rel32@lo+4
	s_addc_u32 s1, s1, _ZZZN7rocprim17ROCPRIM_400000_NS6detail9scan_implILNS1_25lookback_scan_determinismE0ELb0ELb0ENS0_14default_configEPKdPddZZZN2at6native31launch_logcumsumexp_cuda_kernelERKNS8_10TensorBaseESC_lENKUlvE_clEvENKUlvE_clEvEUlddE_dEEDaPvRmT3_T4_T5_mT6_P12ihipStream_tbENKUlT_T0_E_clISt17integral_constantIbLb1EESS_IbLb0EEEEDaSO_SP_ENKUlSO_E_clINS1_13target_configIS4_NS1_20scan_config_selectorIdEENS1_11comp_targetILNS1_3genE9ELNS1_11target_archE1100ELNS1_3gpuE3ELNS1_3repE0EEELNS0_4arch9wavefront6targetE0EEEEEDaSO_@rel32@hi+12
	s_waitcnt lgkmcnt(0)
	v_dual_mov_b32 v0, s16 :: v_dual_mov_b32 v1, s17
	v_dual_mov_b32 v2, s18 :: v_dual_mov_b32 v3, s19
	;; [unrolled: 1-line block ×13, first 2 shown]
	s_clause 0x6
	scratch_store_b128 off, v[0:3], off
	scratch_store_b128 off, v[4:7], off offset:16
	scratch_store_b128 off, v[8:11], off offset:32
	;; [unrolled: 1-line block ×5, first 2 shown]
	scratch_store_b64 off, v[24:25], off offset:96
	v_dual_mov_b32 v0, 0 :: v_dual_mov_b32 v1, s5
	s_swappc_b64 s[30:31], s[0:1]
	s_endpgm
	.section	.rodata,"a",@progbits
	.p2align	6, 0x0
	.amdhsa_kernel _ZN7rocprim17ROCPRIM_400000_NS6detail17trampoline_kernelINS0_14default_configENS1_20scan_config_selectorIdEEZZNS1_9scan_implILNS1_25lookback_scan_determinismE0ELb0ELb0ES3_PKdPddZZZN2at6native31launch_logcumsumexp_cuda_kernelERKNSB_10TensorBaseESF_lENKUlvE_clEvENKUlvE_clEvEUlddE_dEEDaPvRmT3_T4_T5_mT6_P12ihipStream_tbENKUlT_T0_E_clISt17integral_constantIbLb1EESV_IbLb0EEEEDaSR_SS_EUlSR_E_NS1_11comp_targetILNS1_3genE9ELNS1_11target_archE1100ELNS1_3gpuE3ELNS1_3repE0EEENS1_30default_config_static_selectorELNS0_4arch9wavefront6targetE0EEEvT1_
		.amdhsa_group_segment_fixed_size 33792
		.amdhsa_private_segment_fixed_size 120
		.amdhsa_kernarg_size 360
		.amdhsa_user_sgpr_count 15
		.amdhsa_user_sgpr_dispatch_ptr 0
		.amdhsa_user_sgpr_queue_ptr 0
		.amdhsa_user_sgpr_kernarg_segment_ptr 1
		.amdhsa_user_sgpr_dispatch_id 0
		.amdhsa_user_sgpr_private_segment_size 0
		.amdhsa_wavefront_size32 1
		.amdhsa_uses_dynamic_stack 0
		.amdhsa_enable_private_segment 1
		.amdhsa_system_sgpr_workgroup_id_x 1
		.amdhsa_system_sgpr_workgroup_id_y 0
		.amdhsa_system_sgpr_workgroup_id_z 0
		.amdhsa_system_sgpr_workgroup_info 0
		.amdhsa_system_vgpr_workitem_id 0
		.amdhsa_next_free_vgpr 248
		.amdhsa_next_free_sgpr 76
		.amdhsa_reserve_vcc 1
		.amdhsa_float_round_mode_32 0
		.amdhsa_float_round_mode_16_64 0
		.amdhsa_float_denorm_mode_32 3
		.amdhsa_float_denorm_mode_16_64 3
		.amdhsa_dx10_clamp 1
		.amdhsa_ieee_mode 1
		.amdhsa_fp16_overflow 0
		.amdhsa_workgroup_processor_mode 1
		.amdhsa_memory_ordered 1
		.amdhsa_forward_progress 0
		.amdhsa_shared_vgpr_count 0
		.amdhsa_exception_fp_ieee_invalid_op 0
		.amdhsa_exception_fp_denorm_src 0
		.amdhsa_exception_fp_ieee_div_zero 0
		.amdhsa_exception_fp_ieee_overflow 0
		.amdhsa_exception_fp_ieee_underflow 0
		.amdhsa_exception_fp_ieee_inexact 0
		.amdhsa_exception_int_div_zero 0
	.end_amdhsa_kernel
	.section	.text._ZN7rocprim17ROCPRIM_400000_NS6detail17trampoline_kernelINS0_14default_configENS1_20scan_config_selectorIdEEZZNS1_9scan_implILNS1_25lookback_scan_determinismE0ELb0ELb0ES3_PKdPddZZZN2at6native31launch_logcumsumexp_cuda_kernelERKNSB_10TensorBaseESF_lENKUlvE_clEvENKUlvE_clEvEUlddE_dEEDaPvRmT3_T4_T5_mT6_P12ihipStream_tbENKUlT_T0_E_clISt17integral_constantIbLb1EESV_IbLb0EEEEDaSR_SS_EUlSR_E_NS1_11comp_targetILNS1_3genE9ELNS1_11target_archE1100ELNS1_3gpuE3ELNS1_3repE0EEENS1_30default_config_static_selectorELNS0_4arch9wavefront6targetE0EEEvT1_,"axG",@progbits,_ZN7rocprim17ROCPRIM_400000_NS6detail17trampoline_kernelINS0_14default_configENS1_20scan_config_selectorIdEEZZNS1_9scan_implILNS1_25lookback_scan_determinismE0ELb0ELb0ES3_PKdPddZZZN2at6native31launch_logcumsumexp_cuda_kernelERKNSB_10TensorBaseESF_lENKUlvE_clEvENKUlvE_clEvEUlddE_dEEDaPvRmT3_T4_T5_mT6_P12ihipStream_tbENKUlT_T0_E_clISt17integral_constantIbLb1EESV_IbLb0EEEEDaSR_SS_EUlSR_E_NS1_11comp_targetILNS1_3genE9ELNS1_11target_archE1100ELNS1_3gpuE3ELNS1_3repE0EEENS1_30default_config_static_selectorELNS0_4arch9wavefront6targetE0EEEvT1_,comdat
.Lfunc_end57:
	.size	_ZN7rocprim17ROCPRIM_400000_NS6detail17trampoline_kernelINS0_14default_configENS1_20scan_config_selectorIdEEZZNS1_9scan_implILNS1_25lookback_scan_determinismE0ELb0ELb0ES3_PKdPddZZZN2at6native31launch_logcumsumexp_cuda_kernelERKNSB_10TensorBaseESF_lENKUlvE_clEvENKUlvE_clEvEUlddE_dEEDaPvRmT3_T4_T5_mT6_P12ihipStream_tbENKUlT_T0_E_clISt17integral_constantIbLb1EESV_IbLb0EEEEDaSR_SS_EUlSR_E_NS1_11comp_targetILNS1_3genE9ELNS1_11target_archE1100ELNS1_3gpuE3ELNS1_3repE0EEENS1_30default_config_static_selectorELNS0_4arch9wavefront6targetE0EEEvT1_, .Lfunc_end57-_ZN7rocprim17ROCPRIM_400000_NS6detail17trampoline_kernelINS0_14default_configENS1_20scan_config_selectorIdEEZZNS1_9scan_implILNS1_25lookback_scan_determinismE0ELb0ELb0ES3_PKdPddZZZN2at6native31launch_logcumsumexp_cuda_kernelERKNSB_10TensorBaseESF_lENKUlvE_clEvENKUlvE_clEvEUlddE_dEEDaPvRmT3_T4_T5_mT6_P12ihipStream_tbENKUlT_T0_E_clISt17integral_constantIbLb1EESV_IbLb0EEEEDaSR_SS_EUlSR_E_NS1_11comp_targetILNS1_3genE9ELNS1_11target_archE1100ELNS1_3gpuE3ELNS1_3repE0EEENS1_30default_config_static_selectorELNS0_4arch9wavefront6targetE0EEEvT1_
                                        ; -- End function
	.section	.AMDGPU.csdata,"",@progbits
; Kernel info:
; codeLenInByte = 268
; NumSgprs: 78
; NumVgprs: 248
; ScratchSize: 120
; MemoryBound: 0
; FloatMode: 240
; IeeeMode: 1
; LDSByteSize: 33792 bytes/workgroup (compile time only)
; SGPRBlocks: 9
; VGPRBlocks: 30
; NumSGPRsForWavesPerEU: 78
; NumVGPRsForWavesPerEU: 248
; Occupancy: 5
; WaveLimiterHint : 1
; COMPUTE_PGM_RSRC2:SCRATCH_EN: 1
; COMPUTE_PGM_RSRC2:USER_SGPR: 15
; COMPUTE_PGM_RSRC2:TRAP_HANDLER: 0
; COMPUTE_PGM_RSRC2:TGID_X_EN: 1
; COMPUTE_PGM_RSRC2:TGID_Y_EN: 0
; COMPUTE_PGM_RSRC2:TGID_Z_EN: 0
; COMPUTE_PGM_RSRC2:TIDIG_COMP_CNT: 0
	.section	.text._ZN7rocprim17ROCPRIM_400000_NS6detail17trampoline_kernelINS0_14default_configENS1_20scan_config_selectorIdEEZZNS1_9scan_implILNS1_25lookback_scan_determinismE0ELb0ELb0ES3_PKdPddZZZN2at6native31launch_logcumsumexp_cuda_kernelERKNSB_10TensorBaseESF_lENKUlvE_clEvENKUlvE_clEvEUlddE_dEEDaPvRmT3_T4_T5_mT6_P12ihipStream_tbENKUlT_T0_E_clISt17integral_constantIbLb1EESV_IbLb0EEEEDaSR_SS_EUlSR_E_NS1_11comp_targetILNS1_3genE8ELNS1_11target_archE1030ELNS1_3gpuE2ELNS1_3repE0EEENS1_30default_config_static_selectorELNS0_4arch9wavefront6targetE0EEEvT1_,"axG",@progbits,_ZN7rocprim17ROCPRIM_400000_NS6detail17trampoline_kernelINS0_14default_configENS1_20scan_config_selectorIdEEZZNS1_9scan_implILNS1_25lookback_scan_determinismE0ELb0ELb0ES3_PKdPddZZZN2at6native31launch_logcumsumexp_cuda_kernelERKNSB_10TensorBaseESF_lENKUlvE_clEvENKUlvE_clEvEUlddE_dEEDaPvRmT3_T4_T5_mT6_P12ihipStream_tbENKUlT_T0_E_clISt17integral_constantIbLb1EESV_IbLb0EEEEDaSR_SS_EUlSR_E_NS1_11comp_targetILNS1_3genE8ELNS1_11target_archE1030ELNS1_3gpuE2ELNS1_3repE0EEENS1_30default_config_static_selectorELNS0_4arch9wavefront6targetE0EEEvT1_,comdat
	.globl	_ZN7rocprim17ROCPRIM_400000_NS6detail17trampoline_kernelINS0_14default_configENS1_20scan_config_selectorIdEEZZNS1_9scan_implILNS1_25lookback_scan_determinismE0ELb0ELb0ES3_PKdPddZZZN2at6native31launch_logcumsumexp_cuda_kernelERKNSB_10TensorBaseESF_lENKUlvE_clEvENKUlvE_clEvEUlddE_dEEDaPvRmT3_T4_T5_mT6_P12ihipStream_tbENKUlT_T0_E_clISt17integral_constantIbLb1EESV_IbLb0EEEEDaSR_SS_EUlSR_E_NS1_11comp_targetILNS1_3genE8ELNS1_11target_archE1030ELNS1_3gpuE2ELNS1_3repE0EEENS1_30default_config_static_selectorELNS0_4arch9wavefront6targetE0EEEvT1_ ; -- Begin function _ZN7rocprim17ROCPRIM_400000_NS6detail17trampoline_kernelINS0_14default_configENS1_20scan_config_selectorIdEEZZNS1_9scan_implILNS1_25lookback_scan_determinismE0ELb0ELb0ES3_PKdPddZZZN2at6native31launch_logcumsumexp_cuda_kernelERKNSB_10TensorBaseESF_lENKUlvE_clEvENKUlvE_clEvEUlddE_dEEDaPvRmT3_T4_T5_mT6_P12ihipStream_tbENKUlT_T0_E_clISt17integral_constantIbLb1EESV_IbLb0EEEEDaSR_SS_EUlSR_E_NS1_11comp_targetILNS1_3genE8ELNS1_11target_archE1030ELNS1_3gpuE2ELNS1_3repE0EEENS1_30default_config_static_selectorELNS0_4arch9wavefront6targetE0EEEvT1_
	.p2align	8
	.type	_ZN7rocprim17ROCPRIM_400000_NS6detail17trampoline_kernelINS0_14default_configENS1_20scan_config_selectorIdEEZZNS1_9scan_implILNS1_25lookback_scan_determinismE0ELb0ELb0ES3_PKdPddZZZN2at6native31launch_logcumsumexp_cuda_kernelERKNSB_10TensorBaseESF_lENKUlvE_clEvENKUlvE_clEvEUlddE_dEEDaPvRmT3_T4_T5_mT6_P12ihipStream_tbENKUlT_T0_E_clISt17integral_constantIbLb1EESV_IbLb0EEEEDaSR_SS_EUlSR_E_NS1_11comp_targetILNS1_3genE8ELNS1_11target_archE1030ELNS1_3gpuE2ELNS1_3repE0EEENS1_30default_config_static_selectorELNS0_4arch9wavefront6targetE0EEEvT1_,@function
_ZN7rocprim17ROCPRIM_400000_NS6detail17trampoline_kernelINS0_14default_configENS1_20scan_config_selectorIdEEZZNS1_9scan_implILNS1_25lookback_scan_determinismE0ELb0ELb0ES3_PKdPddZZZN2at6native31launch_logcumsumexp_cuda_kernelERKNSB_10TensorBaseESF_lENKUlvE_clEvENKUlvE_clEvEUlddE_dEEDaPvRmT3_T4_T5_mT6_P12ihipStream_tbENKUlT_T0_E_clISt17integral_constantIbLb1EESV_IbLb0EEEEDaSR_SS_EUlSR_E_NS1_11comp_targetILNS1_3genE8ELNS1_11target_archE1030ELNS1_3gpuE2ELNS1_3repE0EEENS1_30default_config_static_selectorELNS0_4arch9wavefront6targetE0EEEvT1_: ; @_ZN7rocprim17ROCPRIM_400000_NS6detail17trampoline_kernelINS0_14default_configENS1_20scan_config_selectorIdEEZZNS1_9scan_implILNS1_25lookback_scan_determinismE0ELb0ELb0ES3_PKdPddZZZN2at6native31launch_logcumsumexp_cuda_kernelERKNSB_10TensorBaseESF_lENKUlvE_clEvENKUlvE_clEvEUlddE_dEEDaPvRmT3_T4_T5_mT6_P12ihipStream_tbENKUlT_T0_E_clISt17integral_constantIbLb1EESV_IbLb0EEEEDaSR_SS_EUlSR_E_NS1_11comp_targetILNS1_3genE8ELNS1_11target_archE1030ELNS1_3gpuE2ELNS1_3repE0EEENS1_30default_config_static_selectorELNS0_4arch9wavefront6targetE0EEEvT1_
; %bb.0:
	.section	.rodata,"a",@progbits
	.p2align	6, 0x0
	.amdhsa_kernel _ZN7rocprim17ROCPRIM_400000_NS6detail17trampoline_kernelINS0_14default_configENS1_20scan_config_selectorIdEEZZNS1_9scan_implILNS1_25lookback_scan_determinismE0ELb0ELb0ES3_PKdPddZZZN2at6native31launch_logcumsumexp_cuda_kernelERKNSB_10TensorBaseESF_lENKUlvE_clEvENKUlvE_clEvEUlddE_dEEDaPvRmT3_T4_T5_mT6_P12ihipStream_tbENKUlT_T0_E_clISt17integral_constantIbLb1EESV_IbLb0EEEEDaSR_SS_EUlSR_E_NS1_11comp_targetILNS1_3genE8ELNS1_11target_archE1030ELNS1_3gpuE2ELNS1_3repE0EEENS1_30default_config_static_selectorELNS0_4arch9wavefront6targetE0EEEvT1_
		.amdhsa_group_segment_fixed_size 0
		.amdhsa_private_segment_fixed_size 0
		.amdhsa_kernarg_size 104
		.amdhsa_user_sgpr_count 15
		.amdhsa_user_sgpr_dispatch_ptr 0
		.amdhsa_user_sgpr_queue_ptr 0
		.amdhsa_user_sgpr_kernarg_segment_ptr 1
		.amdhsa_user_sgpr_dispatch_id 0
		.amdhsa_user_sgpr_private_segment_size 0
		.amdhsa_wavefront_size32 1
		.amdhsa_uses_dynamic_stack 0
		.amdhsa_enable_private_segment 0
		.amdhsa_system_sgpr_workgroup_id_x 1
		.amdhsa_system_sgpr_workgroup_id_y 0
		.amdhsa_system_sgpr_workgroup_id_z 0
		.amdhsa_system_sgpr_workgroup_info 0
		.amdhsa_system_vgpr_workitem_id 0
		.amdhsa_next_free_vgpr 1
		.amdhsa_next_free_sgpr 1
		.amdhsa_reserve_vcc 0
		.amdhsa_float_round_mode_32 0
		.amdhsa_float_round_mode_16_64 0
		.amdhsa_float_denorm_mode_32 3
		.amdhsa_float_denorm_mode_16_64 3
		.amdhsa_dx10_clamp 1
		.amdhsa_ieee_mode 1
		.amdhsa_fp16_overflow 0
		.amdhsa_workgroup_processor_mode 1
		.amdhsa_memory_ordered 1
		.amdhsa_forward_progress 0
		.amdhsa_shared_vgpr_count 0
		.amdhsa_exception_fp_ieee_invalid_op 0
		.amdhsa_exception_fp_denorm_src 0
		.amdhsa_exception_fp_ieee_div_zero 0
		.amdhsa_exception_fp_ieee_overflow 0
		.amdhsa_exception_fp_ieee_underflow 0
		.amdhsa_exception_fp_ieee_inexact 0
		.amdhsa_exception_int_div_zero 0
	.end_amdhsa_kernel
	.section	.text._ZN7rocprim17ROCPRIM_400000_NS6detail17trampoline_kernelINS0_14default_configENS1_20scan_config_selectorIdEEZZNS1_9scan_implILNS1_25lookback_scan_determinismE0ELb0ELb0ES3_PKdPddZZZN2at6native31launch_logcumsumexp_cuda_kernelERKNSB_10TensorBaseESF_lENKUlvE_clEvENKUlvE_clEvEUlddE_dEEDaPvRmT3_T4_T5_mT6_P12ihipStream_tbENKUlT_T0_E_clISt17integral_constantIbLb1EESV_IbLb0EEEEDaSR_SS_EUlSR_E_NS1_11comp_targetILNS1_3genE8ELNS1_11target_archE1030ELNS1_3gpuE2ELNS1_3repE0EEENS1_30default_config_static_selectorELNS0_4arch9wavefront6targetE0EEEvT1_,"axG",@progbits,_ZN7rocprim17ROCPRIM_400000_NS6detail17trampoline_kernelINS0_14default_configENS1_20scan_config_selectorIdEEZZNS1_9scan_implILNS1_25lookback_scan_determinismE0ELb0ELb0ES3_PKdPddZZZN2at6native31launch_logcumsumexp_cuda_kernelERKNSB_10TensorBaseESF_lENKUlvE_clEvENKUlvE_clEvEUlddE_dEEDaPvRmT3_T4_T5_mT6_P12ihipStream_tbENKUlT_T0_E_clISt17integral_constantIbLb1EESV_IbLb0EEEEDaSR_SS_EUlSR_E_NS1_11comp_targetILNS1_3genE8ELNS1_11target_archE1030ELNS1_3gpuE2ELNS1_3repE0EEENS1_30default_config_static_selectorELNS0_4arch9wavefront6targetE0EEEvT1_,comdat
.Lfunc_end58:
	.size	_ZN7rocprim17ROCPRIM_400000_NS6detail17trampoline_kernelINS0_14default_configENS1_20scan_config_selectorIdEEZZNS1_9scan_implILNS1_25lookback_scan_determinismE0ELb0ELb0ES3_PKdPddZZZN2at6native31launch_logcumsumexp_cuda_kernelERKNSB_10TensorBaseESF_lENKUlvE_clEvENKUlvE_clEvEUlddE_dEEDaPvRmT3_T4_T5_mT6_P12ihipStream_tbENKUlT_T0_E_clISt17integral_constantIbLb1EESV_IbLb0EEEEDaSR_SS_EUlSR_E_NS1_11comp_targetILNS1_3genE8ELNS1_11target_archE1030ELNS1_3gpuE2ELNS1_3repE0EEENS1_30default_config_static_selectorELNS0_4arch9wavefront6targetE0EEEvT1_, .Lfunc_end58-_ZN7rocprim17ROCPRIM_400000_NS6detail17trampoline_kernelINS0_14default_configENS1_20scan_config_selectorIdEEZZNS1_9scan_implILNS1_25lookback_scan_determinismE0ELb0ELb0ES3_PKdPddZZZN2at6native31launch_logcumsumexp_cuda_kernelERKNSB_10TensorBaseESF_lENKUlvE_clEvENKUlvE_clEvEUlddE_dEEDaPvRmT3_T4_T5_mT6_P12ihipStream_tbENKUlT_T0_E_clISt17integral_constantIbLb1EESV_IbLb0EEEEDaSR_SS_EUlSR_E_NS1_11comp_targetILNS1_3genE8ELNS1_11target_archE1030ELNS1_3gpuE2ELNS1_3repE0EEENS1_30default_config_static_selectorELNS0_4arch9wavefront6targetE0EEEvT1_
                                        ; -- End function
	.section	.AMDGPU.csdata,"",@progbits
; Kernel info:
; codeLenInByte = 0
; NumSgprs: 0
; NumVgprs: 0
; ScratchSize: 0
; MemoryBound: 0
; FloatMode: 240
; IeeeMode: 1
; LDSByteSize: 0 bytes/workgroup (compile time only)
; SGPRBlocks: 0
; VGPRBlocks: 0
; NumSGPRsForWavesPerEU: 1
; NumVGPRsForWavesPerEU: 1
; Occupancy: 16
; WaveLimiterHint : 0
; COMPUTE_PGM_RSRC2:SCRATCH_EN: 0
; COMPUTE_PGM_RSRC2:USER_SGPR: 15
; COMPUTE_PGM_RSRC2:TRAP_HANDLER: 0
; COMPUTE_PGM_RSRC2:TGID_X_EN: 1
; COMPUTE_PGM_RSRC2:TGID_Y_EN: 0
; COMPUTE_PGM_RSRC2:TGID_Z_EN: 0
; COMPUTE_PGM_RSRC2:TIDIG_COMP_CNT: 0
	.section	.text._ZN7rocprim17ROCPRIM_400000_NS6detail17trampoline_kernelINS0_14default_configENS1_20scan_config_selectorIdEEZZNS1_9scan_implILNS1_25lookback_scan_determinismE0ELb0ELb0ES3_PKdPddZZZN2at6native31launch_logcumsumexp_cuda_kernelERKNSB_10TensorBaseESF_lENKUlvE_clEvENKUlvE_clEvEUlddE_dEEDaPvRmT3_T4_T5_mT6_P12ihipStream_tbENKUlT_T0_E_clISt17integral_constantIbLb1EESV_IbLb0EEEEDaSR_SS_EUlSR_E0_NS1_11comp_targetILNS1_3genE0ELNS1_11target_archE4294967295ELNS1_3gpuE0ELNS1_3repE0EEENS1_30default_config_static_selectorELNS0_4arch9wavefront6targetE0EEEvT1_,"axG",@progbits,_ZN7rocprim17ROCPRIM_400000_NS6detail17trampoline_kernelINS0_14default_configENS1_20scan_config_selectorIdEEZZNS1_9scan_implILNS1_25lookback_scan_determinismE0ELb0ELb0ES3_PKdPddZZZN2at6native31launch_logcumsumexp_cuda_kernelERKNSB_10TensorBaseESF_lENKUlvE_clEvENKUlvE_clEvEUlddE_dEEDaPvRmT3_T4_T5_mT6_P12ihipStream_tbENKUlT_T0_E_clISt17integral_constantIbLb1EESV_IbLb0EEEEDaSR_SS_EUlSR_E0_NS1_11comp_targetILNS1_3genE0ELNS1_11target_archE4294967295ELNS1_3gpuE0ELNS1_3repE0EEENS1_30default_config_static_selectorELNS0_4arch9wavefront6targetE0EEEvT1_,comdat
	.globl	_ZN7rocprim17ROCPRIM_400000_NS6detail17trampoline_kernelINS0_14default_configENS1_20scan_config_selectorIdEEZZNS1_9scan_implILNS1_25lookback_scan_determinismE0ELb0ELb0ES3_PKdPddZZZN2at6native31launch_logcumsumexp_cuda_kernelERKNSB_10TensorBaseESF_lENKUlvE_clEvENKUlvE_clEvEUlddE_dEEDaPvRmT3_T4_T5_mT6_P12ihipStream_tbENKUlT_T0_E_clISt17integral_constantIbLb1EESV_IbLb0EEEEDaSR_SS_EUlSR_E0_NS1_11comp_targetILNS1_3genE0ELNS1_11target_archE4294967295ELNS1_3gpuE0ELNS1_3repE0EEENS1_30default_config_static_selectorELNS0_4arch9wavefront6targetE0EEEvT1_ ; -- Begin function _ZN7rocprim17ROCPRIM_400000_NS6detail17trampoline_kernelINS0_14default_configENS1_20scan_config_selectorIdEEZZNS1_9scan_implILNS1_25lookback_scan_determinismE0ELb0ELb0ES3_PKdPddZZZN2at6native31launch_logcumsumexp_cuda_kernelERKNSB_10TensorBaseESF_lENKUlvE_clEvENKUlvE_clEvEUlddE_dEEDaPvRmT3_T4_T5_mT6_P12ihipStream_tbENKUlT_T0_E_clISt17integral_constantIbLb1EESV_IbLb0EEEEDaSR_SS_EUlSR_E0_NS1_11comp_targetILNS1_3genE0ELNS1_11target_archE4294967295ELNS1_3gpuE0ELNS1_3repE0EEENS1_30default_config_static_selectorELNS0_4arch9wavefront6targetE0EEEvT1_
	.p2align	8
	.type	_ZN7rocprim17ROCPRIM_400000_NS6detail17trampoline_kernelINS0_14default_configENS1_20scan_config_selectorIdEEZZNS1_9scan_implILNS1_25lookback_scan_determinismE0ELb0ELb0ES3_PKdPddZZZN2at6native31launch_logcumsumexp_cuda_kernelERKNSB_10TensorBaseESF_lENKUlvE_clEvENKUlvE_clEvEUlddE_dEEDaPvRmT3_T4_T5_mT6_P12ihipStream_tbENKUlT_T0_E_clISt17integral_constantIbLb1EESV_IbLb0EEEEDaSR_SS_EUlSR_E0_NS1_11comp_targetILNS1_3genE0ELNS1_11target_archE4294967295ELNS1_3gpuE0ELNS1_3repE0EEENS1_30default_config_static_selectorELNS0_4arch9wavefront6targetE0EEEvT1_,@function
_ZN7rocprim17ROCPRIM_400000_NS6detail17trampoline_kernelINS0_14default_configENS1_20scan_config_selectorIdEEZZNS1_9scan_implILNS1_25lookback_scan_determinismE0ELb0ELb0ES3_PKdPddZZZN2at6native31launch_logcumsumexp_cuda_kernelERKNSB_10TensorBaseESF_lENKUlvE_clEvENKUlvE_clEvEUlddE_dEEDaPvRmT3_T4_T5_mT6_P12ihipStream_tbENKUlT_T0_E_clISt17integral_constantIbLb1EESV_IbLb0EEEEDaSR_SS_EUlSR_E0_NS1_11comp_targetILNS1_3genE0ELNS1_11target_archE4294967295ELNS1_3gpuE0ELNS1_3repE0EEENS1_30default_config_static_selectorELNS0_4arch9wavefront6targetE0EEEvT1_: ; @_ZN7rocprim17ROCPRIM_400000_NS6detail17trampoline_kernelINS0_14default_configENS1_20scan_config_selectorIdEEZZNS1_9scan_implILNS1_25lookback_scan_determinismE0ELb0ELb0ES3_PKdPddZZZN2at6native31launch_logcumsumexp_cuda_kernelERKNSB_10TensorBaseESF_lENKUlvE_clEvENKUlvE_clEvEUlddE_dEEDaPvRmT3_T4_T5_mT6_P12ihipStream_tbENKUlT_T0_E_clISt17integral_constantIbLb1EESV_IbLb0EEEEDaSR_SS_EUlSR_E0_NS1_11comp_targetILNS1_3genE0ELNS1_11target_archE4294967295ELNS1_3gpuE0ELNS1_3repE0EEENS1_30default_config_static_selectorELNS0_4arch9wavefront6targetE0EEEvT1_
; %bb.0:
	.section	.rodata,"a",@progbits
	.p2align	6, 0x0
	.amdhsa_kernel _ZN7rocprim17ROCPRIM_400000_NS6detail17trampoline_kernelINS0_14default_configENS1_20scan_config_selectorIdEEZZNS1_9scan_implILNS1_25lookback_scan_determinismE0ELb0ELb0ES3_PKdPddZZZN2at6native31launch_logcumsumexp_cuda_kernelERKNSB_10TensorBaseESF_lENKUlvE_clEvENKUlvE_clEvEUlddE_dEEDaPvRmT3_T4_T5_mT6_P12ihipStream_tbENKUlT_T0_E_clISt17integral_constantIbLb1EESV_IbLb0EEEEDaSR_SS_EUlSR_E0_NS1_11comp_targetILNS1_3genE0ELNS1_11target_archE4294967295ELNS1_3gpuE0ELNS1_3repE0EEENS1_30default_config_static_selectorELNS0_4arch9wavefront6targetE0EEEvT1_
		.amdhsa_group_segment_fixed_size 0
		.amdhsa_private_segment_fixed_size 0
		.amdhsa_kernarg_size 40
		.amdhsa_user_sgpr_count 15
		.amdhsa_user_sgpr_dispatch_ptr 0
		.amdhsa_user_sgpr_queue_ptr 0
		.amdhsa_user_sgpr_kernarg_segment_ptr 1
		.amdhsa_user_sgpr_dispatch_id 0
		.amdhsa_user_sgpr_private_segment_size 0
		.amdhsa_wavefront_size32 1
		.amdhsa_uses_dynamic_stack 0
		.amdhsa_enable_private_segment 0
		.amdhsa_system_sgpr_workgroup_id_x 1
		.amdhsa_system_sgpr_workgroup_id_y 0
		.amdhsa_system_sgpr_workgroup_id_z 0
		.amdhsa_system_sgpr_workgroup_info 0
		.amdhsa_system_vgpr_workitem_id 0
		.amdhsa_next_free_vgpr 1
		.amdhsa_next_free_sgpr 1
		.amdhsa_reserve_vcc 0
		.amdhsa_float_round_mode_32 0
		.amdhsa_float_round_mode_16_64 0
		.amdhsa_float_denorm_mode_32 3
		.amdhsa_float_denorm_mode_16_64 3
		.amdhsa_dx10_clamp 1
		.amdhsa_ieee_mode 1
		.amdhsa_fp16_overflow 0
		.amdhsa_workgroup_processor_mode 1
		.amdhsa_memory_ordered 1
		.amdhsa_forward_progress 0
		.amdhsa_shared_vgpr_count 0
		.amdhsa_exception_fp_ieee_invalid_op 0
		.amdhsa_exception_fp_denorm_src 0
		.amdhsa_exception_fp_ieee_div_zero 0
		.amdhsa_exception_fp_ieee_overflow 0
		.amdhsa_exception_fp_ieee_underflow 0
		.amdhsa_exception_fp_ieee_inexact 0
		.amdhsa_exception_int_div_zero 0
	.end_amdhsa_kernel
	.section	.text._ZN7rocprim17ROCPRIM_400000_NS6detail17trampoline_kernelINS0_14default_configENS1_20scan_config_selectorIdEEZZNS1_9scan_implILNS1_25lookback_scan_determinismE0ELb0ELb0ES3_PKdPddZZZN2at6native31launch_logcumsumexp_cuda_kernelERKNSB_10TensorBaseESF_lENKUlvE_clEvENKUlvE_clEvEUlddE_dEEDaPvRmT3_T4_T5_mT6_P12ihipStream_tbENKUlT_T0_E_clISt17integral_constantIbLb1EESV_IbLb0EEEEDaSR_SS_EUlSR_E0_NS1_11comp_targetILNS1_3genE0ELNS1_11target_archE4294967295ELNS1_3gpuE0ELNS1_3repE0EEENS1_30default_config_static_selectorELNS0_4arch9wavefront6targetE0EEEvT1_,"axG",@progbits,_ZN7rocprim17ROCPRIM_400000_NS6detail17trampoline_kernelINS0_14default_configENS1_20scan_config_selectorIdEEZZNS1_9scan_implILNS1_25lookback_scan_determinismE0ELb0ELb0ES3_PKdPddZZZN2at6native31launch_logcumsumexp_cuda_kernelERKNSB_10TensorBaseESF_lENKUlvE_clEvENKUlvE_clEvEUlddE_dEEDaPvRmT3_T4_T5_mT6_P12ihipStream_tbENKUlT_T0_E_clISt17integral_constantIbLb1EESV_IbLb0EEEEDaSR_SS_EUlSR_E0_NS1_11comp_targetILNS1_3genE0ELNS1_11target_archE4294967295ELNS1_3gpuE0ELNS1_3repE0EEENS1_30default_config_static_selectorELNS0_4arch9wavefront6targetE0EEEvT1_,comdat
.Lfunc_end59:
	.size	_ZN7rocprim17ROCPRIM_400000_NS6detail17trampoline_kernelINS0_14default_configENS1_20scan_config_selectorIdEEZZNS1_9scan_implILNS1_25lookback_scan_determinismE0ELb0ELb0ES3_PKdPddZZZN2at6native31launch_logcumsumexp_cuda_kernelERKNSB_10TensorBaseESF_lENKUlvE_clEvENKUlvE_clEvEUlddE_dEEDaPvRmT3_T4_T5_mT6_P12ihipStream_tbENKUlT_T0_E_clISt17integral_constantIbLb1EESV_IbLb0EEEEDaSR_SS_EUlSR_E0_NS1_11comp_targetILNS1_3genE0ELNS1_11target_archE4294967295ELNS1_3gpuE0ELNS1_3repE0EEENS1_30default_config_static_selectorELNS0_4arch9wavefront6targetE0EEEvT1_, .Lfunc_end59-_ZN7rocprim17ROCPRIM_400000_NS6detail17trampoline_kernelINS0_14default_configENS1_20scan_config_selectorIdEEZZNS1_9scan_implILNS1_25lookback_scan_determinismE0ELb0ELb0ES3_PKdPddZZZN2at6native31launch_logcumsumexp_cuda_kernelERKNSB_10TensorBaseESF_lENKUlvE_clEvENKUlvE_clEvEUlddE_dEEDaPvRmT3_T4_T5_mT6_P12ihipStream_tbENKUlT_T0_E_clISt17integral_constantIbLb1EESV_IbLb0EEEEDaSR_SS_EUlSR_E0_NS1_11comp_targetILNS1_3genE0ELNS1_11target_archE4294967295ELNS1_3gpuE0ELNS1_3repE0EEENS1_30default_config_static_selectorELNS0_4arch9wavefront6targetE0EEEvT1_
                                        ; -- End function
	.section	.AMDGPU.csdata,"",@progbits
; Kernel info:
; codeLenInByte = 0
; NumSgprs: 0
; NumVgprs: 0
; ScratchSize: 0
; MemoryBound: 0
; FloatMode: 240
; IeeeMode: 1
; LDSByteSize: 0 bytes/workgroup (compile time only)
; SGPRBlocks: 0
; VGPRBlocks: 0
; NumSGPRsForWavesPerEU: 1
; NumVGPRsForWavesPerEU: 1
; Occupancy: 16
; WaveLimiterHint : 0
; COMPUTE_PGM_RSRC2:SCRATCH_EN: 0
; COMPUTE_PGM_RSRC2:USER_SGPR: 15
; COMPUTE_PGM_RSRC2:TRAP_HANDLER: 0
; COMPUTE_PGM_RSRC2:TGID_X_EN: 1
; COMPUTE_PGM_RSRC2:TGID_Y_EN: 0
; COMPUTE_PGM_RSRC2:TGID_Z_EN: 0
; COMPUTE_PGM_RSRC2:TIDIG_COMP_CNT: 0
	.section	.text._ZN7rocprim17ROCPRIM_400000_NS6detail17trampoline_kernelINS0_14default_configENS1_20scan_config_selectorIdEEZZNS1_9scan_implILNS1_25lookback_scan_determinismE0ELb0ELb0ES3_PKdPddZZZN2at6native31launch_logcumsumexp_cuda_kernelERKNSB_10TensorBaseESF_lENKUlvE_clEvENKUlvE_clEvEUlddE_dEEDaPvRmT3_T4_T5_mT6_P12ihipStream_tbENKUlT_T0_E_clISt17integral_constantIbLb1EESV_IbLb0EEEEDaSR_SS_EUlSR_E0_NS1_11comp_targetILNS1_3genE5ELNS1_11target_archE942ELNS1_3gpuE9ELNS1_3repE0EEENS1_30default_config_static_selectorELNS0_4arch9wavefront6targetE0EEEvT1_,"axG",@progbits,_ZN7rocprim17ROCPRIM_400000_NS6detail17trampoline_kernelINS0_14default_configENS1_20scan_config_selectorIdEEZZNS1_9scan_implILNS1_25lookback_scan_determinismE0ELb0ELb0ES3_PKdPddZZZN2at6native31launch_logcumsumexp_cuda_kernelERKNSB_10TensorBaseESF_lENKUlvE_clEvENKUlvE_clEvEUlddE_dEEDaPvRmT3_T4_T5_mT6_P12ihipStream_tbENKUlT_T0_E_clISt17integral_constantIbLb1EESV_IbLb0EEEEDaSR_SS_EUlSR_E0_NS1_11comp_targetILNS1_3genE5ELNS1_11target_archE942ELNS1_3gpuE9ELNS1_3repE0EEENS1_30default_config_static_selectorELNS0_4arch9wavefront6targetE0EEEvT1_,comdat
	.globl	_ZN7rocprim17ROCPRIM_400000_NS6detail17trampoline_kernelINS0_14default_configENS1_20scan_config_selectorIdEEZZNS1_9scan_implILNS1_25lookback_scan_determinismE0ELb0ELb0ES3_PKdPddZZZN2at6native31launch_logcumsumexp_cuda_kernelERKNSB_10TensorBaseESF_lENKUlvE_clEvENKUlvE_clEvEUlddE_dEEDaPvRmT3_T4_T5_mT6_P12ihipStream_tbENKUlT_T0_E_clISt17integral_constantIbLb1EESV_IbLb0EEEEDaSR_SS_EUlSR_E0_NS1_11comp_targetILNS1_3genE5ELNS1_11target_archE942ELNS1_3gpuE9ELNS1_3repE0EEENS1_30default_config_static_selectorELNS0_4arch9wavefront6targetE0EEEvT1_ ; -- Begin function _ZN7rocprim17ROCPRIM_400000_NS6detail17trampoline_kernelINS0_14default_configENS1_20scan_config_selectorIdEEZZNS1_9scan_implILNS1_25lookback_scan_determinismE0ELb0ELb0ES3_PKdPddZZZN2at6native31launch_logcumsumexp_cuda_kernelERKNSB_10TensorBaseESF_lENKUlvE_clEvENKUlvE_clEvEUlddE_dEEDaPvRmT3_T4_T5_mT6_P12ihipStream_tbENKUlT_T0_E_clISt17integral_constantIbLb1EESV_IbLb0EEEEDaSR_SS_EUlSR_E0_NS1_11comp_targetILNS1_3genE5ELNS1_11target_archE942ELNS1_3gpuE9ELNS1_3repE0EEENS1_30default_config_static_selectorELNS0_4arch9wavefront6targetE0EEEvT1_
	.p2align	8
	.type	_ZN7rocprim17ROCPRIM_400000_NS6detail17trampoline_kernelINS0_14default_configENS1_20scan_config_selectorIdEEZZNS1_9scan_implILNS1_25lookback_scan_determinismE0ELb0ELb0ES3_PKdPddZZZN2at6native31launch_logcumsumexp_cuda_kernelERKNSB_10TensorBaseESF_lENKUlvE_clEvENKUlvE_clEvEUlddE_dEEDaPvRmT3_T4_T5_mT6_P12ihipStream_tbENKUlT_T0_E_clISt17integral_constantIbLb1EESV_IbLb0EEEEDaSR_SS_EUlSR_E0_NS1_11comp_targetILNS1_3genE5ELNS1_11target_archE942ELNS1_3gpuE9ELNS1_3repE0EEENS1_30default_config_static_selectorELNS0_4arch9wavefront6targetE0EEEvT1_,@function
_ZN7rocprim17ROCPRIM_400000_NS6detail17trampoline_kernelINS0_14default_configENS1_20scan_config_selectorIdEEZZNS1_9scan_implILNS1_25lookback_scan_determinismE0ELb0ELb0ES3_PKdPddZZZN2at6native31launch_logcumsumexp_cuda_kernelERKNSB_10TensorBaseESF_lENKUlvE_clEvENKUlvE_clEvEUlddE_dEEDaPvRmT3_T4_T5_mT6_P12ihipStream_tbENKUlT_T0_E_clISt17integral_constantIbLb1EESV_IbLb0EEEEDaSR_SS_EUlSR_E0_NS1_11comp_targetILNS1_3genE5ELNS1_11target_archE942ELNS1_3gpuE9ELNS1_3repE0EEENS1_30default_config_static_selectorELNS0_4arch9wavefront6targetE0EEEvT1_: ; @_ZN7rocprim17ROCPRIM_400000_NS6detail17trampoline_kernelINS0_14default_configENS1_20scan_config_selectorIdEEZZNS1_9scan_implILNS1_25lookback_scan_determinismE0ELb0ELb0ES3_PKdPddZZZN2at6native31launch_logcumsumexp_cuda_kernelERKNSB_10TensorBaseESF_lENKUlvE_clEvENKUlvE_clEvEUlddE_dEEDaPvRmT3_T4_T5_mT6_P12ihipStream_tbENKUlT_T0_E_clISt17integral_constantIbLb1EESV_IbLb0EEEEDaSR_SS_EUlSR_E0_NS1_11comp_targetILNS1_3genE5ELNS1_11target_archE942ELNS1_3gpuE9ELNS1_3repE0EEENS1_30default_config_static_selectorELNS0_4arch9wavefront6targetE0EEEvT1_
; %bb.0:
	.section	.rodata,"a",@progbits
	.p2align	6, 0x0
	.amdhsa_kernel _ZN7rocprim17ROCPRIM_400000_NS6detail17trampoline_kernelINS0_14default_configENS1_20scan_config_selectorIdEEZZNS1_9scan_implILNS1_25lookback_scan_determinismE0ELb0ELb0ES3_PKdPddZZZN2at6native31launch_logcumsumexp_cuda_kernelERKNSB_10TensorBaseESF_lENKUlvE_clEvENKUlvE_clEvEUlddE_dEEDaPvRmT3_T4_T5_mT6_P12ihipStream_tbENKUlT_T0_E_clISt17integral_constantIbLb1EESV_IbLb0EEEEDaSR_SS_EUlSR_E0_NS1_11comp_targetILNS1_3genE5ELNS1_11target_archE942ELNS1_3gpuE9ELNS1_3repE0EEENS1_30default_config_static_selectorELNS0_4arch9wavefront6targetE0EEEvT1_
		.amdhsa_group_segment_fixed_size 0
		.amdhsa_private_segment_fixed_size 0
		.amdhsa_kernarg_size 40
		.amdhsa_user_sgpr_count 15
		.amdhsa_user_sgpr_dispatch_ptr 0
		.amdhsa_user_sgpr_queue_ptr 0
		.amdhsa_user_sgpr_kernarg_segment_ptr 1
		.amdhsa_user_sgpr_dispatch_id 0
		.amdhsa_user_sgpr_private_segment_size 0
		.amdhsa_wavefront_size32 1
		.amdhsa_uses_dynamic_stack 0
		.amdhsa_enable_private_segment 0
		.amdhsa_system_sgpr_workgroup_id_x 1
		.amdhsa_system_sgpr_workgroup_id_y 0
		.amdhsa_system_sgpr_workgroup_id_z 0
		.amdhsa_system_sgpr_workgroup_info 0
		.amdhsa_system_vgpr_workitem_id 0
		.amdhsa_next_free_vgpr 1
		.amdhsa_next_free_sgpr 1
		.amdhsa_reserve_vcc 0
		.amdhsa_float_round_mode_32 0
		.amdhsa_float_round_mode_16_64 0
		.amdhsa_float_denorm_mode_32 3
		.amdhsa_float_denorm_mode_16_64 3
		.amdhsa_dx10_clamp 1
		.amdhsa_ieee_mode 1
		.amdhsa_fp16_overflow 0
		.amdhsa_workgroup_processor_mode 1
		.amdhsa_memory_ordered 1
		.amdhsa_forward_progress 0
		.amdhsa_shared_vgpr_count 0
		.amdhsa_exception_fp_ieee_invalid_op 0
		.amdhsa_exception_fp_denorm_src 0
		.amdhsa_exception_fp_ieee_div_zero 0
		.amdhsa_exception_fp_ieee_overflow 0
		.amdhsa_exception_fp_ieee_underflow 0
		.amdhsa_exception_fp_ieee_inexact 0
		.amdhsa_exception_int_div_zero 0
	.end_amdhsa_kernel
	.section	.text._ZN7rocprim17ROCPRIM_400000_NS6detail17trampoline_kernelINS0_14default_configENS1_20scan_config_selectorIdEEZZNS1_9scan_implILNS1_25lookback_scan_determinismE0ELb0ELb0ES3_PKdPddZZZN2at6native31launch_logcumsumexp_cuda_kernelERKNSB_10TensorBaseESF_lENKUlvE_clEvENKUlvE_clEvEUlddE_dEEDaPvRmT3_T4_T5_mT6_P12ihipStream_tbENKUlT_T0_E_clISt17integral_constantIbLb1EESV_IbLb0EEEEDaSR_SS_EUlSR_E0_NS1_11comp_targetILNS1_3genE5ELNS1_11target_archE942ELNS1_3gpuE9ELNS1_3repE0EEENS1_30default_config_static_selectorELNS0_4arch9wavefront6targetE0EEEvT1_,"axG",@progbits,_ZN7rocprim17ROCPRIM_400000_NS6detail17trampoline_kernelINS0_14default_configENS1_20scan_config_selectorIdEEZZNS1_9scan_implILNS1_25lookback_scan_determinismE0ELb0ELb0ES3_PKdPddZZZN2at6native31launch_logcumsumexp_cuda_kernelERKNSB_10TensorBaseESF_lENKUlvE_clEvENKUlvE_clEvEUlddE_dEEDaPvRmT3_T4_T5_mT6_P12ihipStream_tbENKUlT_T0_E_clISt17integral_constantIbLb1EESV_IbLb0EEEEDaSR_SS_EUlSR_E0_NS1_11comp_targetILNS1_3genE5ELNS1_11target_archE942ELNS1_3gpuE9ELNS1_3repE0EEENS1_30default_config_static_selectorELNS0_4arch9wavefront6targetE0EEEvT1_,comdat
.Lfunc_end60:
	.size	_ZN7rocprim17ROCPRIM_400000_NS6detail17trampoline_kernelINS0_14default_configENS1_20scan_config_selectorIdEEZZNS1_9scan_implILNS1_25lookback_scan_determinismE0ELb0ELb0ES3_PKdPddZZZN2at6native31launch_logcumsumexp_cuda_kernelERKNSB_10TensorBaseESF_lENKUlvE_clEvENKUlvE_clEvEUlddE_dEEDaPvRmT3_T4_T5_mT6_P12ihipStream_tbENKUlT_T0_E_clISt17integral_constantIbLb1EESV_IbLb0EEEEDaSR_SS_EUlSR_E0_NS1_11comp_targetILNS1_3genE5ELNS1_11target_archE942ELNS1_3gpuE9ELNS1_3repE0EEENS1_30default_config_static_selectorELNS0_4arch9wavefront6targetE0EEEvT1_, .Lfunc_end60-_ZN7rocprim17ROCPRIM_400000_NS6detail17trampoline_kernelINS0_14default_configENS1_20scan_config_selectorIdEEZZNS1_9scan_implILNS1_25lookback_scan_determinismE0ELb0ELb0ES3_PKdPddZZZN2at6native31launch_logcumsumexp_cuda_kernelERKNSB_10TensorBaseESF_lENKUlvE_clEvENKUlvE_clEvEUlddE_dEEDaPvRmT3_T4_T5_mT6_P12ihipStream_tbENKUlT_T0_E_clISt17integral_constantIbLb1EESV_IbLb0EEEEDaSR_SS_EUlSR_E0_NS1_11comp_targetILNS1_3genE5ELNS1_11target_archE942ELNS1_3gpuE9ELNS1_3repE0EEENS1_30default_config_static_selectorELNS0_4arch9wavefront6targetE0EEEvT1_
                                        ; -- End function
	.section	.AMDGPU.csdata,"",@progbits
; Kernel info:
; codeLenInByte = 0
; NumSgprs: 0
; NumVgprs: 0
; ScratchSize: 0
; MemoryBound: 0
; FloatMode: 240
; IeeeMode: 1
; LDSByteSize: 0 bytes/workgroup (compile time only)
; SGPRBlocks: 0
; VGPRBlocks: 0
; NumSGPRsForWavesPerEU: 1
; NumVGPRsForWavesPerEU: 1
; Occupancy: 16
; WaveLimiterHint : 0
; COMPUTE_PGM_RSRC2:SCRATCH_EN: 0
; COMPUTE_PGM_RSRC2:USER_SGPR: 15
; COMPUTE_PGM_RSRC2:TRAP_HANDLER: 0
; COMPUTE_PGM_RSRC2:TGID_X_EN: 1
; COMPUTE_PGM_RSRC2:TGID_Y_EN: 0
; COMPUTE_PGM_RSRC2:TGID_Z_EN: 0
; COMPUTE_PGM_RSRC2:TIDIG_COMP_CNT: 0
	.section	.text._ZN7rocprim17ROCPRIM_400000_NS6detail17trampoline_kernelINS0_14default_configENS1_20scan_config_selectorIdEEZZNS1_9scan_implILNS1_25lookback_scan_determinismE0ELb0ELb0ES3_PKdPddZZZN2at6native31launch_logcumsumexp_cuda_kernelERKNSB_10TensorBaseESF_lENKUlvE_clEvENKUlvE_clEvEUlddE_dEEDaPvRmT3_T4_T5_mT6_P12ihipStream_tbENKUlT_T0_E_clISt17integral_constantIbLb1EESV_IbLb0EEEEDaSR_SS_EUlSR_E0_NS1_11comp_targetILNS1_3genE4ELNS1_11target_archE910ELNS1_3gpuE8ELNS1_3repE0EEENS1_30default_config_static_selectorELNS0_4arch9wavefront6targetE0EEEvT1_,"axG",@progbits,_ZN7rocprim17ROCPRIM_400000_NS6detail17trampoline_kernelINS0_14default_configENS1_20scan_config_selectorIdEEZZNS1_9scan_implILNS1_25lookback_scan_determinismE0ELb0ELb0ES3_PKdPddZZZN2at6native31launch_logcumsumexp_cuda_kernelERKNSB_10TensorBaseESF_lENKUlvE_clEvENKUlvE_clEvEUlddE_dEEDaPvRmT3_T4_T5_mT6_P12ihipStream_tbENKUlT_T0_E_clISt17integral_constantIbLb1EESV_IbLb0EEEEDaSR_SS_EUlSR_E0_NS1_11comp_targetILNS1_3genE4ELNS1_11target_archE910ELNS1_3gpuE8ELNS1_3repE0EEENS1_30default_config_static_selectorELNS0_4arch9wavefront6targetE0EEEvT1_,comdat
	.globl	_ZN7rocprim17ROCPRIM_400000_NS6detail17trampoline_kernelINS0_14default_configENS1_20scan_config_selectorIdEEZZNS1_9scan_implILNS1_25lookback_scan_determinismE0ELb0ELb0ES3_PKdPddZZZN2at6native31launch_logcumsumexp_cuda_kernelERKNSB_10TensorBaseESF_lENKUlvE_clEvENKUlvE_clEvEUlddE_dEEDaPvRmT3_T4_T5_mT6_P12ihipStream_tbENKUlT_T0_E_clISt17integral_constantIbLb1EESV_IbLb0EEEEDaSR_SS_EUlSR_E0_NS1_11comp_targetILNS1_3genE4ELNS1_11target_archE910ELNS1_3gpuE8ELNS1_3repE0EEENS1_30default_config_static_selectorELNS0_4arch9wavefront6targetE0EEEvT1_ ; -- Begin function _ZN7rocprim17ROCPRIM_400000_NS6detail17trampoline_kernelINS0_14default_configENS1_20scan_config_selectorIdEEZZNS1_9scan_implILNS1_25lookback_scan_determinismE0ELb0ELb0ES3_PKdPddZZZN2at6native31launch_logcumsumexp_cuda_kernelERKNSB_10TensorBaseESF_lENKUlvE_clEvENKUlvE_clEvEUlddE_dEEDaPvRmT3_T4_T5_mT6_P12ihipStream_tbENKUlT_T0_E_clISt17integral_constantIbLb1EESV_IbLb0EEEEDaSR_SS_EUlSR_E0_NS1_11comp_targetILNS1_3genE4ELNS1_11target_archE910ELNS1_3gpuE8ELNS1_3repE0EEENS1_30default_config_static_selectorELNS0_4arch9wavefront6targetE0EEEvT1_
	.p2align	8
	.type	_ZN7rocprim17ROCPRIM_400000_NS6detail17trampoline_kernelINS0_14default_configENS1_20scan_config_selectorIdEEZZNS1_9scan_implILNS1_25lookback_scan_determinismE0ELb0ELb0ES3_PKdPddZZZN2at6native31launch_logcumsumexp_cuda_kernelERKNSB_10TensorBaseESF_lENKUlvE_clEvENKUlvE_clEvEUlddE_dEEDaPvRmT3_T4_T5_mT6_P12ihipStream_tbENKUlT_T0_E_clISt17integral_constantIbLb1EESV_IbLb0EEEEDaSR_SS_EUlSR_E0_NS1_11comp_targetILNS1_3genE4ELNS1_11target_archE910ELNS1_3gpuE8ELNS1_3repE0EEENS1_30default_config_static_selectorELNS0_4arch9wavefront6targetE0EEEvT1_,@function
_ZN7rocprim17ROCPRIM_400000_NS6detail17trampoline_kernelINS0_14default_configENS1_20scan_config_selectorIdEEZZNS1_9scan_implILNS1_25lookback_scan_determinismE0ELb0ELb0ES3_PKdPddZZZN2at6native31launch_logcumsumexp_cuda_kernelERKNSB_10TensorBaseESF_lENKUlvE_clEvENKUlvE_clEvEUlddE_dEEDaPvRmT3_T4_T5_mT6_P12ihipStream_tbENKUlT_T0_E_clISt17integral_constantIbLb1EESV_IbLb0EEEEDaSR_SS_EUlSR_E0_NS1_11comp_targetILNS1_3genE4ELNS1_11target_archE910ELNS1_3gpuE8ELNS1_3repE0EEENS1_30default_config_static_selectorELNS0_4arch9wavefront6targetE0EEEvT1_: ; @_ZN7rocprim17ROCPRIM_400000_NS6detail17trampoline_kernelINS0_14default_configENS1_20scan_config_selectorIdEEZZNS1_9scan_implILNS1_25lookback_scan_determinismE0ELb0ELb0ES3_PKdPddZZZN2at6native31launch_logcumsumexp_cuda_kernelERKNSB_10TensorBaseESF_lENKUlvE_clEvENKUlvE_clEvEUlddE_dEEDaPvRmT3_T4_T5_mT6_P12ihipStream_tbENKUlT_T0_E_clISt17integral_constantIbLb1EESV_IbLb0EEEEDaSR_SS_EUlSR_E0_NS1_11comp_targetILNS1_3genE4ELNS1_11target_archE910ELNS1_3gpuE8ELNS1_3repE0EEENS1_30default_config_static_selectorELNS0_4arch9wavefront6targetE0EEEvT1_
; %bb.0:
	.section	.rodata,"a",@progbits
	.p2align	6, 0x0
	.amdhsa_kernel _ZN7rocprim17ROCPRIM_400000_NS6detail17trampoline_kernelINS0_14default_configENS1_20scan_config_selectorIdEEZZNS1_9scan_implILNS1_25lookback_scan_determinismE0ELb0ELb0ES3_PKdPddZZZN2at6native31launch_logcumsumexp_cuda_kernelERKNSB_10TensorBaseESF_lENKUlvE_clEvENKUlvE_clEvEUlddE_dEEDaPvRmT3_T4_T5_mT6_P12ihipStream_tbENKUlT_T0_E_clISt17integral_constantIbLb1EESV_IbLb0EEEEDaSR_SS_EUlSR_E0_NS1_11comp_targetILNS1_3genE4ELNS1_11target_archE910ELNS1_3gpuE8ELNS1_3repE0EEENS1_30default_config_static_selectorELNS0_4arch9wavefront6targetE0EEEvT1_
		.amdhsa_group_segment_fixed_size 0
		.amdhsa_private_segment_fixed_size 0
		.amdhsa_kernarg_size 40
		.amdhsa_user_sgpr_count 15
		.amdhsa_user_sgpr_dispatch_ptr 0
		.amdhsa_user_sgpr_queue_ptr 0
		.amdhsa_user_sgpr_kernarg_segment_ptr 1
		.amdhsa_user_sgpr_dispatch_id 0
		.amdhsa_user_sgpr_private_segment_size 0
		.amdhsa_wavefront_size32 1
		.amdhsa_uses_dynamic_stack 0
		.amdhsa_enable_private_segment 0
		.amdhsa_system_sgpr_workgroup_id_x 1
		.amdhsa_system_sgpr_workgroup_id_y 0
		.amdhsa_system_sgpr_workgroup_id_z 0
		.amdhsa_system_sgpr_workgroup_info 0
		.amdhsa_system_vgpr_workitem_id 0
		.amdhsa_next_free_vgpr 1
		.amdhsa_next_free_sgpr 1
		.amdhsa_reserve_vcc 0
		.amdhsa_float_round_mode_32 0
		.amdhsa_float_round_mode_16_64 0
		.amdhsa_float_denorm_mode_32 3
		.amdhsa_float_denorm_mode_16_64 3
		.amdhsa_dx10_clamp 1
		.amdhsa_ieee_mode 1
		.amdhsa_fp16_overflow 0
		.amdhsa_workgroup_processor_mode 1
		.amdhsa_memory_ordered 1
		.amdhsa_forward_progress 0
		.amdhsa_shared_vgpr_count 0
		.amdhsa_exception_fp_ieee_invalid_op 0
		.amdhsa_exception_fp_denorm_src 0
		.amdhsa_exception_fp_ieee_div_zero 0
		.amdhsa_exception_fp_ieee_overflow 0
		.amdhsa_exception_fp_ieee_underflow 0
		.amdhsa_exception_fp_ieee_inexact 0
		.amdhsa_exception_int_div_zero 0
	.end_amdhsa_kernel
	.section	.text._ZN7rocprim17ROCPRIM_400000_NS6detail17trampoline_kernelINS0_14default_configENS1_20scan_config_selectorIdEEZZNS1_9scan_implILNS1_25lookback_scan_determinismE0ELb0ELb0ES3_PKdPddZZZN2at6native31launch_logcumsumexp_cuda_kernelERKNSB_10TensorBaseESF_lENKUlvE_clEvENKUlvE_clEvEUlddE_dEEDaPvRmT3_T4_T5_mT6_P12ihipStream_tbENKUlT_T0_E_clISt17integral_constantIbLb1EESV_IbLb0EEEEDaSR_SS_EUlSR_E0_NS1_11comp_targetILNS1_3genE4ELNS1_11target_archE910ELNS1_3gpuE8ELNS1_3repE0EEENS1_30default_config_static_selectorELNS0_4arch9wavefront6targetE0EEEvT1_,"axG",@progbits,_ZN7rocprim17ROCPRIM_400000_NS6detail17trampoline_kernelINS0_14default_configENS1_20scan_config_selectorIdEEZZNS1_9scan_implILNS1_25lookback_scan_determinismE0ELb0ELb0ES3_PKdPddZZZN2at6native31launch_logcumsumexp_cuda_kernelERKNSB_10TensorBaseESF_lENKUlvE_clEvENKUlvE_clEvEUlddE_dEEDaPvRmT3_T4_T5_mT6_P12ihipStream_tbENKUlT_T0_E_clISt17integral_constantIbLb1EESV_IbLb0EEEEDaSR_SS_EUlSR_E0_NS1_11comp_targetILNS1_3genE4ELNS1_11target_archE910ELNS1_3gpuE8ELNS1_3repE0EEENS1_30default_config_static_selectorELNS0_4arch9wavefront6targetE0EEEvT1_,comdat
.Lfunc_end61:
	.size	_ZN7rocprim17ROCPRIM_400000_NS6detail17trampoline_kernelINS0_14default_configENS1_20scan_config_selectorIdEEZZNS1_9scan_implILNS1_25lookback_scan_determinismE0ELb0ELb0ES3_PKdPddZZZN2at6native31launch_logcumsumexp_cuda_kernelERKNSB_10TensorBaseESF_lENKUlvE_clEvENKUlvE_clEvEUlddE_dEEDaPvRmT3_T4_T5_mT6_P12ihipStream_tbENKUlT_T0_E_clISt17integral_constantIbLb1EESV_IbLb0EEEEDaSR_SS_EUlSR_E0_NS1_11comp_targetILNS1_3genE4ELNS1_11target_archE910ELNS1_3gpuE8ELNS1_3repE0EEENS1_30default_config_static_selectorELNS0_4arch9wavefront6targetE0EEEvT1_, .Lfunc_end61-_ZN7rocprim17ROCPRIM_400000_NS6detail17trampoline_kernelINS0_14default_configENS1_20scan_config_selectorIdEEZZNS1_9scan_implILNS1_25lookback_scan_determinismE0ELb0ELb0ES3_PKdPddZZZN2at6native31launch_logcumsumexp_cuda_kernelERKNSB_10TensorBaseESF_lENKUlvE_clEvENKUlvE_clEvEUlddE_dEEDaPvRmT3_T4_T5_mT6_P12ihipStream_tbENKUlT_T0_E_clISt17integral_constantIbLb1EESV_IbLb0EEEEDaSR_SS_EUlSR_E0_NS1_11comp_targetILNS1_3genE4ELNS1_11target_archE910ELNS1_3gpuE8ELNS1_3repE0EEENS1_30default_config_static_selectorELNS0_4arch9wavefront6targetE0EEEvT1_
                                        ; -- End function
	.section	.AMDGPU.csdata,"",@progbits
; Kernel info:
; codeLenInByte = 0
; NumSgprs: 0
; NumVgprs: 0
; ScratchSize: 0
; MemoryBound: 0
; FloatMode: 240
; IeeeMode: 1
; LDSByteSize: 0 bytes/workgroup (compile time only)
; SGPRBlocks: 0
; VGPRBlocks: 0
; NumSGPRsForWavesPerEU: 1
; NumVGPRsForWavesPerEU: 1
; Occupancy: 16
; WaveLimiterHint : 0
; COMPUTE_PGM_RSRC2:SCRATCH_EN: 0
; COMPUTE_PGM_RSRC2:USER_SGPR: 15
; COMPUTE_PGM_RSRC2:TRAP_HANDLER: 0
; COMPUTE_PGM_RSRC2:TGID_X_EN: 1
; COMPUTE_PGM_RSRC2:TGID_Y_EN: 0
; COMPUTE_PGM_RSRC2:TGID_Z_EN: 0
; COMPUTE_PGM_RSRC2:TIDIG_COMP_CNT: 0
	.section	.text._ZN7rocprim17ROCPRIM_400000_NS6detail17trampoline_kernelINS0_14default_configENS1_20scan_config_selectorIdEEZZNS1_9scan_implILNS1_25lookback_scan_determinismE0ELb0ELb0ES3_PKdPddZZZN2at6native31launch_logcumsumexp_cuda_kernelERKNSB_10TensorBaseESF_lENKUlvE_clEvENKUlvE_clEvEUlddE_dEEDaPvRmT3_T4_T5_mT6_P12ihipStream_tbENKUlT_T0_E_clISt17integral_constantIbLb1EESV_IbLb0EEEEDaSR_SS_EUlSR_E0_NS1_11comp_targetILNS1_3genE3ELNS1_11target_archE908ELNS1_3gpuE7ELNS1_3repE0EEENS1_30default_config_static_selectorELNS0_4arch9wavefront6targetE0EEEvT1_,"axG",@progbits,_ZN7rocprim17ROCPRIM_400000_NS6detail17trampoline_kernelINS0_14default_configENS1_20scan_config_selectorIdEEZZNS1_9scan_implILNS1_25lookback_scan_determinismE0ELb0ELb0ES3_PKdPddZZZN2at6native31launch_logcumsumexp_cuda_kernelERKNSB_10TensorBaseESF_lENKUlvE_clEvENKUlvE_clEvEUlddE_dEEDaPvRmT3_T4_T5_mT6_P12ihipStream_tbENKUlT_T0_E_clISt17integral_constantIbLb1EESV_IbLb0EEEEDaSR_SS_EUlSR_E0_NS1_11comp_targetILNS1_3genE3ELNS1_11target_archE908ELNS1_3gpuE7ELNS1_3repE0EEENS1_30default_config_static_selectorELNS0_4arch9wavefront6targetE0EEEvT1_,comdat
	.globl	_ZN7rocprim17ROCPRIM_400000_NS6detail17trampoline_kernelINS0_14default_configENS1_20scan_config_selectorIdEEZZNS1_9scan_implILNS1_25lookback_scan_determinismE0ELb0ELb0ES3_PKdPddZZZN2at6native31launch_logcumsumexp_cuda_kernelERKNSB_10TensorBaseESF_lENKUlvE_clEvENKUlvE_clEvEUlddE_dEEDaPvRmT3_T4_T5_mT6_P12ihipStream_tbENKUlT_T0_E_clISt17integral_constantIbLb1EESV_IbLb0EEEEDaSR_SS_EUlSR_E0_NS1_11comp_targetILNS1_3genE3ELNS1_11target_archE908ELNS1_3gpuE7ELNS1_3repE0EEENS1_30default_config_static_selectorELNS0_4arch9wavefront6targetE0EEEvT1_ ; -- Begin function _ZN7rocprim17ROCPRIM_400000_NS6detail17trampoline_kernelINS0_14default_configENS1_20scan_config_selectorIdEEZZNS1_9scan_implILNS1_25lookback_scan_determinismE0ELb0ELb0ES3_PKdPddZZZN2at6native31launch_logcumsumexp_cuda_kernelERKNSB_10TensorBaseESF_lENKUlvE_clEvENKUlvE_clEvEUlddE_dEEDaPvRmT3_T4_T5_mT6_P12ihipStream_tbENKUlT_T0_E_clISt17integral_constantIbLb1EESV_IbLb0EEEEDaSR_SS_EUlSR_E0_NS1_11comp_targetILNS1_3genE3ELNS1_11target_archE908ELNS1_3gpuE7ELNS1_3repE0EEENS1_30default_config_static_selectorELNS0_4arch9wavefront6targetE0EEEvT1_
	.p2align	8
	.type	_ZN7rocprim17ROCPRIM_400000_NS6detail17trampoline_kernelINS0_14default_configENS1_20scan_config_selectorIdEEZZNS1_9scan_implILNS1_25lookback_scan_determinismE0ELb0ELb0ES3_PKdPddZZZN2at6native31launch_logcumsumexp_cuda_kernelERKNSB_10TensorBaseESF_lENKUlvE_clEvENKUlvE_clEvEUlddE_dEEDaPvRmT3_T4_T5_mT6_P12ihipStream_tbENKUlT_T0_E_clISt17integral_constantIbLb1EESV_IbLb0EEEEDaSR_SS_EUlSR_E0_NS1_11comp_targetILNS1_3genE3ELNS1_11target_archE908ELNS1_3gpuE7ELNS1_3repE0EEENS1_30default_config_static_selectorELNS0_4arch9wavefront6targetE0EEEvT1_,@function
_ZN7rocprim17ROCPRIM_400000_NS6detail17trampoline_kernelINS0_14default_configENS1_20scan_config_selectorIdEEZZNS1_9scan_implILNS1_25lookback_scan_determinismE0ELb0ELb0ES3_PKdPddZZZN2at6native31launch_logcumsumexp_cuda_kernelERKNSB_10TensorBaseESF_lENKUlvE_clEvENKUlvE_clEvEUlddE_dEEDaPvRmT3_T4_T5_mT6_P12ihipStream_tbENKUlT_T0_E_clISt17integral_constantIbLb1EESV_IbLb0EEEEDaSR_SS_EUlSR_E0_NS1_11comp_targetILNS1_3genE3ELNS1_11target_archE908ELNS1_3gpuE7ELNS1_3repE0EEENS1_30default_config_static_selectorELNS0_4arch9wavefront6targetE0EEEvT1_: ; @_ZN7rocprim17ROCPRIM_400000_NS6detail17trampoline_kernelINS0_14default_configENS1_20scan_config_selectorIdEEZZNS1_9scan_implILNS1_25lookback_scan_determinismE0ELb0ELb0ES3_PKdPddZZZN2at6native31launch_logcumsumexp_cuda_kernelERKNSB_10TensorBaseESF_lENKUlvE_clEvENKUlvE_clEvEUlddE_dEEDaPvRmT3_T4_T5_mT6_P12ihipStream_tbENKUlT_T0_E_clISt17integral_constantIbLb1EESV_IbLb0EEEEDaSR_SS_EUlSR_E0_NS1_11comp_targetILNS1_3genE3ELNS1_11target_archE908ELNS1_3gpuE7ELNS1_3repE0EEENS1_30default_config_static_selectorELNS0_4arch9wavefront6targetE0EEEvT1_
; %bb.0:
	.section	.rodata,"a",@progbits
	.p2align	6, 0x0
	.amdhsa_kernel _ZN7rocprim17ROCPRIM_400000_NS6detail17trampoline_kernelINS0_14default_configENS1_20scan_config_selectorIdEEZZNS1_9scan_implILNS1_25lookback_scan_determinismE0ELb0ELb0ES3_PKdPddZZZN2at6native31launch_logcumsumexp_cuda_kernelERKNSB_10TensorBaseESF_lENKUlvE_clEvENKUlvE_clEvEUlddE_dEEDaPvRmT3_T4_T5_mT6_P12ihipStream_tbENKUlT_T0_E_clISt17integral_constantIbLb1EESV_IbLb0EEEEDaSR_SS_EUlSR_E0_NS1_11comp_targetILNS1_3genE3ELNS1_11target_archE908ELNS1_3gpuE7ELNS1_3repE0EEENS1_30default_config_static_selectorELNS0_4arch9wavefront6targetE0EEEvT1_
		.amdhsa_group_segment_fixed_size 0
		.amdhsa_private_segment_fixed_size 0
		.amdhsa_kernarg_size 40
		.amdhsa_user_sgpr_count 15
		.amdhsa_user_sgpr_dispatch_ptr 0
		.amdhsa_user_sgpr_queue_ptr 0
		.amdhsa_user_sgpr_kernarg_segment_ptr 1
		.amdhsa_user_sgpr_dispatch_id 0
		.amdhsa_user_sgpr_private_segment_size 0
		.amdhsa_wavefront_size32 1
		.amdhsa_uses_dynamic_stack 0
		.amdhsa_enable_private_segment 0
		.amdhsa_system_sgpr_workgroup_id_x 1
		.amdhsa_system_sgpr_workgroup_id_y 0
		.amdhsa_system_sgpr_workgroup_id_z 0
		.amdhsa_system_sgpr_workgroup_info 0
		.amdhsa_system_vgpr_workitem_id 0
		.amdhsa_next_free_vgpr 1
		.amdhsa_next_free_sgpr 1
		.amdhsa_reserve_vcc 0
		.amdhsa_float_round_mode_32 0
		.amdhsa_float_round_mode_16_64 0
		.amdhsa_float_denorm_mode_32 3
		.amdhsa_float_denorm_mode_16_64 3
		.amdhsa_dx10_clamp 1
		.amdhsa_ieee_mode 1
		.amdhsa_fp16_overflow 0
		.amdhsa_workgroup_processor_mode 1
		.amdhsa_memory_ordered 1
		.amdhsa_forward_progress 0
		.amdhsa_shared_vgpr_count 0
		.amdhsa_exception_fp_ieee_invalid_op 0
		.amdhsa_exception_fp_denorm_src 0
		.amdhsa_exception_fp_ieee_div_zero 0
		.amdhsa_exception_fp_ieee_overflow 0
		.amdhsa_exception_fp_ieee_underflow 0
		.amdhsa_exception_fp_ieee_inexact 0
		.amdhsa_exception_int_div_zero 0
	.end_amdhsa_kernel
	.section	.text._ZN7rocprim17ROCPRIM_400000_NS6detail17trampoline_kernelINS0_14default_configENS1_20scan_config_selectorIdEEZZNS1_9scan_implILNS1_25lookback_scan_determinismE0ELb0ELb0ES3_PKdPddZZZN2at6native31launch_logcumsumexp_cuda_kernelERKNSB_10TensorBaseESF_lENKUlvE_clEvENKUlvE_clEvEUlddE_dEEDaPvRmT3_T4_T5_mT6_P12ihipStream_tbENKUlT_T0_E_clISt17integral_constantIbLb1EESV_IbLb0EEEEDaSR_SS_EUlSR_E0_NS1_11comp_targetILNS1_3genE3ELNS1_11target_archE908ELNS1_3gpuE7ELNS1_3repE0EEENS1_30default_config_static_selectorELNS0_4arch9wavefront6targetE0EEEvT1_,"axG",@progbits,_ZN7rocprim17ROCPRIM_400000_NS6detail17trampoline_kernelINS0_14default_configENS1_20scan_config_selectorIdEEZZNS1_9scan_implILNS1_25lookback_scan_determinismE0ELb0ELb0ES3_PKdPddZZZN2at6native31launch_logcumsumexp_cuda_kernelERKNSB_10TensorBaseESF_lENKUlvE_clEvENKUlvE_clEvEUlddE_dEEDaPvRmT3_T4_T5_mT6_P12ihipStream_tbENKUlT_T0_E_clISt17integral_constantIbLb1EESV_IbLb0EEEEDaSR_SS_EUlSR_E0_NS1_11comp_targetILNS1_3genE3ELNS1_11target_archE908ELNS1_3gpuE7ELNS1_3repE0EEENS1_30default_config_static_selectorELNS0_4arch9wavefront6targetE0EEEvT1_,comdat
.Lfunc_end62:
	.size	_ZN7rocprim17ROCPRIM_400000_NS6detail17trampoline_kernelINS0_14default_configENS1_20scan_config_selectorIdEEZZNS1_9scan_implILNS1_25lookback_scan_determinismE0ELb0ELb0ES3_PKdPddZZZN2at6native31launch_logcumsumexp_cuda_kernelERKNSB_10TensorBaseESF_lENKUlvE_clEvENKUlvE_clEvEUlddE_dEEDaPvRmT3_T4_T5_mT6_P12ihipStream_tbENKUlT_T0_E_clISt17integral_constantIbLb1EESV_IbLb0EEEEDaSR_SS_EUlSR_E0_NS1_11comp_targetILNS1_3genE3ELNS1_11target_archE908ELNS1_3gpuE7ELNS1_3repE0EEENS1_30default_config_static_selectorELNS0_4arch9wavefront6targetE0EEEvT1_, .Lfunc_end62-_ZN7rocprim17ROCPRIM_400000_NS6detail17trampoline_kernelINS0_14default_configENS1_20scan_config_selectorIdEEZZNS1_9scan_implILNS1_25lookback_scan_determinismE0ELb0ELb0ES3_PKdPddZZZN2at6native31launch_logcumsumexp_cuda_kernelERKNSB_10TensorBaseESF_lENKUlvE_clEvENKUlvE_clEvEUlddE_dEEDaPvRmT3_T4_T5_mT6_P12ihipStream_tbENKUlT_T0_E_clISt17integral_constantIbLb1EESV_IbLb0EEEEDaSR_SS_EUlSR_E0_NS1_11comp_targetILNS1_3genE3ELNS1_11target_archE908ELNS1_3gpuE7ELNS1_3repE0EEENS1_30default_config_static_selectorELNS0_4arch9wavefront6targetE0EEEvT1_
                                        ; -- End function
	.section	.AMDGPU.csdata,"",@progbits
; Kernel info:
; codeLenInByte = 0
; NumSgprs: 0
; NumVgprs: 0
; ScratchSize: 0
; MemoryBound: 0
; FloatMode: 240
; IeeeMode: 1
; LDSByteSize: 0 bytes/workgroup (compile time only)
; SGPRBlocks: 0
; VGPRBlocks: 0
; NumSGPRsForWavesPerEU: 1
; NumVGPRsForWavesPerEU: 1
; Occupancy: 16
; WaveLimiterHint : 0
; COMPUTE_PGM_RSRC2:SCRATCH_EN: 0
; COMPUTE_PGM_RSRC2:USER_SGPR: 15
; COMPUTE_PGM_RSRC2:TRAP_HANDLER: 0
; COMPUTE_PGM_RSRC2:TGID_X_EN: 1
; COMPUTE_PGM_RSRC2:TGID_Y_EN: 0
; COMPUTE_PGM_RSRC2:TGID_Z_EN: 0
; COMPUTE_PGM_RSRC2:TIDIG_COMP_CNT: 0
	.section	.text._ZN7rocprim17ROCPRIM_400000_NS6detail17trampoline_kernelINS0_14default_configENS1_20scan_config_selectorIdEEZZNS1_9scan_implILNS1_25lookback_scan_determinismE0ELb0ELb0ES3_PKdPddZZZN2at6native31launch_logcumsumexp_cuda_kernelERKNSB_10TensorBaseESF_lENKUlvE_clEvENKUlvE_clEvEUlddE_dEEDaPvRmT3_T4_T5_mT6_P12ihipStream_tbENKUlT_T0_E_clISt17integral_constantIbLb1EESV_IbLb0EEEEDaSR_SS_EUlSR_E0_NS1_11comp_targetILNS1_3genE2ELNS1_11target_archE906ELNS1_3gpuE6ELNS1_3repE0EEENS1_30default_config_static_selectorELNS0_4arch9wavefront6targetE0EEEvT1_,"axG",@progbits,_ZN7rocprim17ROCPRIM_400000_NS6detail17trampoline_kernelINS0_14default_configENS1_20scan_config_selectorIdEEZZNS1_9scan_implILNS1_25lookback_scan_determinismE0ELb0ELb0ES3_PKdPddZZZN2at6native31launch_logcumsumexp_cuda_kernelERKNSB_10TensorBaseESF_lENKUlvE_clEvENKUlvE_clEvEUlddE_dEEDaPvRmT3_T4_T5_mT6_P12ihipStream_tbENKUlT_T0_E_clISt17integral_constantIbLb1EESV_IbLb0EEEEDaSR_SS_EUlSR_E0_NS1_11comp_targetILNS1_3genE2ELNS1_11target_archE906ELNS1_3gpuE6ELNS1_3repE0EEENS1_30default_config_static_selectorELNS0_4arch9wavefront6targetE0EEEvT1_,comdat
	.globl	_ZN7rocprim17ROCPRIM_400000_NS6detail17trampoline_kernelINS0_14default_configENS1_20scan_config_selectorIdEEZZNS1_9scan_implILNS1_25lookback_scan_determinismE0ELb0ELb0ES3_PKdPddZZZN2at6native31launch_logcumsumexp_cuda_kernelERKNSB_10TensorBaseESF_lENKUlvE_clEvENKUlvE_clEvEUlddE_dEEDaPvRmT3_T4_T5_mT6_P12ihipStream_tbENKUlT_T0_E_clISt17integral_constantIbLb1EESV_IbLb0EEEEDaSR_SS_EUlSR_E0_NS1_11comp_targetILNS1_3genE2ELNS1_11target_archE906ELNS1_3gpuE6ELNS1_3repE0EEENS1_30default_config_static_selectorELNS0_4arch9wavefront6targetE0EEEvT1_ ; -- Begin function _ZN7rocprim17ROCPRIM_400000_NS6detail17trampoline_kernelINS0_14default_configENS1_20scan_config_selectorIdEEZZNS1_9scan_implILNS1_25lookback_scan_determinismE0ELb0ELb0ES3_PKdPddZZZN2at6native31launch_logcumsumexp_cuda_kernelERKNSB_10TensorBaseESF_lENKUlvE_clEvENKUlvE_clEvEUlddE_dEEDaPvRmT3_T4_T5_mT6_P12ihipStream_tbENKUlT_T0_E_clISt17integral_constantIbLb1EESV_IbLb0EEEEDaSR_SS_EUlSR_E0_NS1_11comp_targetILNS1_3genE2ELNS1_11target_archE906ELNS1_3gpuE6ELNS1_3repE0EEENS1_30default_config_static_selectorELNS0_4arch9wavefront6targetE0EEEvT1_
	.p2align	8
	.type	_ZN7rocprim17ROCPRIM_400000_NS6detail17trampoline_kernelINS0_14default_configENS1_20scan_config_selectorIdEEZZNS1_9scan_implILNS1_25lookback_scan_determinismE0ELb0ELb0ES3_PKdPddZZZN2at6native31launch_logcumsumexp_cuda_kernelERKNSB_10TensorBaseESF_lENKUlvE_clEvENKUlvE_clEvEUlddE_dEEDaPvRmT3_T4_T5_mT6_P12ihipStream_tbENKUlT_T0_E_clISt17integral_constantIbLb1EESV_IbLb0EEEEDaSR_SS_EUlSR_E0_NS1_11comp_targetILNS1_3genE2ELNS1_11target_archE906ELNS1_3gpuE6ELNS1_3repE0EEENS1_30default_config_static_selectorELNS0_4arch9wavefront6targetE0EEEvT1_,@function
_ZN7rocprim17ROCPRIM_400000_NS6detail17trampoline_kernelINS0_14default_configENS1_20scan_config_selectorIdEEZZNS1_9scan_implILNS1_25lookback_scan_determinismE0ELb0ELb0ES3_PKdPddZZZN2at6native31launch_logcumsumexp_cuda_kernelERKNSB_10TensorBaseESF_lENKUlvE_clEvENKUlvE_clEvEUlddE_dEEDaPvRmT3_T4_T5_mT6_P12ihipStream_tbENKUlT_T0_E_clISt17integral_constantIbLb1EESV_IbLb0EEEEDaSR_SS_EUlSR_E0_NS1_11comp_targetILNS1_3genE2ELNS1_11target_archE906ELNS1_3gpuE6ELNS1_3repE0EEENS1_30default_config_static_selectorELNS0_4arch9wavefront6targetE0EEEvT1_: ; @_ZN7rocprim17ROCPRIM_400000_NS6detail17trampoline_kernelINS0_14default_configENS1_20scan_config_selectorIdEEZZNS1_9scan_implILNS1_25lookback_scan_determinismE0ELb0ELb0ES3_PKdPddZZZN2at6native31launch_logcumsumexp_cuda_kernelERKNSB_10TensorBaseESF_lENKUlvE_clEvENKUlvE_clEvEUlddE_dEEDaPvRmT3_T4_T5_mT6_P12ihipStream_tbENKUlT_T0_E_clISt17integral_constantIbLb1EESV_IbLb0EEEEDaSR_SS_EUlSR_E0_NS1_11comp_targetILNS1_3genE2ELNS1_11target_archE906ELNS1_3gpuE6ELNS1_3repE0EEENS1_30default_config_static_selectorELNS0_4arch9wavefront6targetE0EEEvT1_
; %bb.0:
	.section	.rodata,"a",@progbits
	.p2align	6, 0x0
	.amdhsa_kernel _ZN7rocprim17ROCPRIM_400000_NS6detail17trampoline_kernelINS0_14default_configENS1_20scan_config_selectorIdEEZZNS1_9scan_implILNS1_25lookback_scan_determinismE0ELb0ELb0ES3_PKdPddZZZN2at6native31launch_logcumsumexp_cuda_kernelERKNSB_10TensorBaseESF_lENKUlvE_clEvENKUlvE_clEvEUlddE_dEEDaPvRmT3_T4_T5_mT6_P12ihipStream_tbENKUlT_T0_E_clISt17integral_constantIbLb1EESV_IbLb0EEEEDaSR_SS_EUlSR_E0_NS1_11comp_targetILNS1_3genE2ELNS1_11target_archE906ELNS1_3gpuE6ELNS1_3repE0EEENS1_30default_config_static_selectorELNS0_4arch9wavefront6targetE0EEEvT1_
		.amdhsa_group_segment_fixed_size 0
		.amdhsa_private_segment_fixed_size 0
		.amdhsa_kernarg_size 40
		.amdhsa_user_sgpr_count 15
		.amdhsa_user_sgpr_dispatch_ptr 0
		.amdhsa_user_sgpr_queue_ptr 0
		.amdhsa_user_sgpr_kernarg_segment_ptr 1
		.amdhsa_user_sgpr_dispatch_id 0
		.amdhsa_user_sgpr_private_segment_size 0
		.amdhsa_wavefront_size32 1
		.amdhsa_uses_dynamic_stack 0
		.amdhsa_enable_private_segment 0
		.amdhsa_system_sgpr_workgroup_id_x 1
		.amdhsa_system_sgpr_workgroup_id_y 0
		.amdhsa_system_sgpr_workgroup_id_z 0
		.amdhsa_system_sgpr_workgroup_info 0
		.amdhsa_system_vgpr_workitem_id 0
		.amdhsa_next_free_vgpr 1
		.amdhsa_next_free_sgpr 1
		.amdhsa_reserve_vcc 0
		.amdhsa_float_round_mode_32 0
		.amdhsa_float_round_mode_16_64 0
		.amdhsa_float_denorm_mode_32 3
		.amdhsa_float_denorm_mode_16_64 3
		.amdhsa_dx10_clamp 1
		.amdhsa_ieee_mode 1
		.amdhsa_fp16_overflow 0
		.amdhsa_workgroup_processor_mode 1
		.amdhsa_memory_ordered 1
		.amdhsa_forward_progress 0
		.amdhsa_shared_vgpr_count 0
		.amdhsa_exception_fp_ieee_invalid_op 0
		.amdhsa_exception_fp_denorm_src 0
		.amdhsa_exception_fp_ieee_div_zero 0
		.amdhsa_exception_fp_ieee_overflow 0
		.amdhsa_exception_fp_ieee_underflow 0
		.amdhsa_exception_fp_ieee_inexact 0
		.amdhsa_exception_int_div_zero 0
	.end_amdhsa_kernel
	.section	.text._ZN7rocprim17ROCPRIM_400000_NS6detail17trampoline_kernelINS0_14default_configENS1_20scan_config_selectorIdEEZZNS1_9scan_implILNS1_25lookback_scan_determinismE0ELb0ELb0ES3_PKdPddZZZN2at6native31launch_logcumsumexp_cuda_kernelERKNSB_10TensorBaseESF_lENKUlvE_clEvENKUlvE_clEvEUlddE_dEEDaPvRmT3_T4_T5_mT6_P12ihipStream_tbENKUlT_T0_E_clISt17integral_constantIbLb1EESV_IbLb0EEEEDaSR_SS_EUlSR_E0_NS1_11comp_targetILNS1_3genE2ELNS1_11target_archE906ELNS1_3gpuE6ELNS1_3repE0EEENS1_30default_config_static_selectorELNS0_4arch9wavefront6targetE0EEEvT1_,"axG",@progbits,_ZN7rocprim17ROCPRIM_400000_NS6detail17trampoline_kernelINS0_14default_configENS1_20scan_config_selectorIdEEZZNS1_9scan_implILNS1_25lookback_scan_determinismE0ELb0ELb0ES3_PKdPddZZZN2at6native31launch_logcumsumexp_cuda_kernelERKNSB_10TensorBaseESF_lENKUlvE_clEvENKUlvE_clEvEUlddE_dEEDaPvRmT3_T4_T5_mT6_P12ihipStream_tbENKUlT_T0_E_clISt17integral_constantIbLb1EESV_IbLb0EEEEDaSR_SS_EUlSR_E0_NS1_11comp_targetILNS1_3genE2ELNS1_11target_archE906ELNS1_3gpuE6ELNS1_3repE0EEENS1_30default_config_static_selectorELNS0_4arch9wavefront6targetE0EEEvT1_,comdat
.Lfunc_end63:
	.size	_ZN7rocprim17ROCPRIM_400000_NS6detail17trampoline_kernelINS0_14default_configENS1_20scan_config_selectorIdEEZZNS1_9scan_implILNS1_25lookback_scan_determinismE0ELb0ELb0ES3_PKdPddZZZN2at6native31launch_logcumsumexp_cuda_kernelERKNSB_10TensorBaseESF_lENKUlvE_clEvENKUlvE_clEvEUlddE_dEEDaPvRmT3_T4_T5_mT6_P12ihipStream_tbENKUlT_T0_E_clISt17integral_constantIbLb1EESV_IbLb0EEEEDaSR_SS_EUlSR_E0_NS1_11comp_targetILNS1_3genE2ELNS1_11target_archE906ELNS1_3gpuE6ELNS1_3repE0EEENS1_30default_config_static_selectorELNS0_4arch9wavefront6targetE0EEEvT1_, .Lfunc_end63-_ZN7rocprim17ROCPRIM_400000_NS6detail17trampoline_kernelINS0_14default_configENS1_20scan_config_selectorIdEEZZNS1_9scan_implILNS1_25lookback_scan_determinismE0ELb0ELb0ES3_PKdPddZZZN2at6native31launch_logcumsumexp_cuda_kernelERKNSB_10TensorBaseESF_lENKUlvE_clEvENKUlvE_clEvEUlddE_dEEDaPvRmT3_T4_T5_mT6_P12ihipStream_tbENKUlT_T0_E_clISt17integral_constantIbLb1EESV_IbLb0EEEEDaSR_SS_EUlSR_E0_NS1_11comp_targetILNS1_3genE2ELNS1_11target_archE906ELNS1_3gpuE6ELNS1_3repE0EEENS1_30default_config_static_selectorELNS0_4arch9wavefront6targetE0EEEvT1_
                                        ; -- End function
	.section	.AMDGPU.csdata,"",@progbits
; Kernel info:
; codeLenInByte = 0
; NumSgprs: 0
; NumVgprs: 0
; ScratchSize: 0
; MemoryBound: 0
; FloatMode: 240
; IeeeMode: 1
; LDSByteSize: 0 bytes/workgroup (compile time only)
; SGPRBlocks: 0
; VGPRBlocks: 0
; NumSGPRsForWavesPerEU: 1
; NumVGPRsForWavesPerEU: 1
; Occupancy: 16
; WaveLimiterHint : 0
; COMPUTE_PGM_RSRC2:SCRATCH_EN: 0
; COMPUTE_PGM_RSRC2:USER_SGPR: 15
; COMPUTE_PGM_RSRC2:TRAP_HANDLER: 0
; COMPUTE_PGM_RSRC2:TGID_X_EN: 1
; COMPUTE_PGM_RSRC2:TGID_Y_EN: 0
; COMPUTE_PGM_RSRC2:TGID_Z_EN: 0
; COMPUTE_PGM_RSRC2:TIDIG_COMP_CNT: 0
	.section	.text._ZN7rocprim17ROCPRIM_400000_NS6detail17trampoline_kernelINS0_14default_configENS1_20scan_config_selectorIdEEZZNS1_9scan_implILNS1_25lookback_scan_determinismE0ELb0ELb0ES3_PKdPddZZZN2at6native31launch_logcumsumexp_cuda_kernelERKNSB_10TensorBaseESF_lENKUlvE_clEvENKUlvE_clEvEUlddE_dEEDaPvRmT3_T4_T5_mT6_P12ihipStream_tbENKUlT_T0_E_clISt17integral_constantIbLb1EESV_IbLb0EEEEDaSR_SS_EUlSR_E0_NS1_11comp_targetILNS1_3genE10ELNS1_11target_archE1201ELNS1_3gpuE5ELNS1_3repE0EEENS1_30default_config_static_selectorELNS0_4arch9wavefront6targetE0EEEvT1_,"axG",@progbits,_ZN7rocprim17ROCPRIM_400000_NS6detail17trampoline_kernelINS0_14default_configENS1_20scan_config_selectorIdEEZZNS1_9scan_implILNS1_25lookback_scan_determinismE0ELb0ELb0ES3_PKdPddZZZN2at6native31launch_logcumsumexp_cuda_kernelERKNSB_10TensorBaseESF_lENKUlvE_clEvENKUlvE_clEvEUlddE_dEEDaPvRmT3_T4_T5_mT6_P12ihipStream_tbENKUlT_T0_E_clISt17integral_constantIbLb1EESV_IbLb0EEEEDaSR_SS_EUlSR_E0_NS1_11comp_targetILNS1_3genE10ELNS1_11target_archE1201ELNS1_3gpuE5ELNS1_3repE0EEENS1_30default_config_static_selectorELNS0_4arch9wavefront6targetE0EEEvT1_,comdat
	.globl	_ZN7rocprim17ROCPRIM_400000_NS6detail17trampoline_kernelINS0_14default_configENS1_20scan_config_selectorIdEEZZNS1_9scan_implILNS1_25lookback_scan_determinismE0ELb0ELb0ES3_PKdPddZZZN2at6native31launch_logcumsumexp_cuda_kernelERKNSB_10TensorBaseESF_lENKUlvE_clEvENKUlvE_clEvEUlddE_dEEDaPvRmT3_T4_T5_mT6_P12ihipStream_tbENKUlT_T0_E_clISt17integral_constantIbLb1EESV_IbLb0EEEEDaSR_SS_EUlSR_E0_NS1_11comp_targetILNS1_3genE10ELNS1_11target_archE1201ELNS1_3gpuE5ELNS1_3repE0EEENS1_30default_config_static_selectorELNS0_4arch9wavefront6targetE0EEEvT1_ ; -- Begin function _ZN7rocprim17ROCPRIM_400000_NS6detail17trampoline_kernelINS0_14default_configENS1_20scan_config_selectorIdEEZZNS1_9scan_implILNS1_25lookback_scan_determinismE0ELb0ELb0ES3_PKdPddZZZN2at6native31launch_logcumsumexp_cuda_kernelERKNSB_10TensorBaseESF_lENKUlvE_clEvENKUlvE_clEvEUlddE_dEEDaPvRmT3_T4_T5_mT6_P12ihipStream_tbENKUlT_T0_E_clISt17integral_constantIbLb1EESV_IbLb0EEEEDaSR_SS_EUlSR_E0_NS1_11comp_targetILNS1_3genE10ELNS1_11target_archE1201ELNS1_3gpuE5ELNS1_3repE0EEENS1_30default_config_static_selectorELNS0_4arch9wavefront6targetE0EEEvT1_
	.p2align	8
	.type	_ZN7rocprim17ROCPRIM_400000_NS6detail17trampoline_kernelINS0_14default_configENS1_20scan_config_selectorIdEEZZNS1_9scan_implILNS1_25lookback_scan_determinismE0ELb0ELb0ES3_PKdPddZZZN2at6native31launch_logcumsumexp_cuda_kernelERKNSB_10TensorBaseESF_lENKUlvE_clEvENKUlvE_clEvEUlddE_dEEDaPvRmT3_T4_T5_mT6_P12ihipStream_tbENKUlT_T0_E_clISt17integral_constantIbLb1EESV_IbLb0EEEEDaSR_SS_EUlSR_E0_NS1_11comp_targetILNS1_3genE10ELNS1_11target_archE1201ELNS1_3gpuE5ELNS1_3repE0EEENS1_30default_config_static_selectorELNS0_4arch9wavefront6targetE0EEEvT1_,@function
_ZN7rocprim17ROCPRIM_400000_NS6detail17trampoline_kernelINS0_14default_configENS1_20scan_config_selectorIdEEZZNS1_9scan_implILNS1_25lookback_scan_determinismE0ELb0ELb0ES3_PKdPddZZZN2at6native31launch_logcumsumexp_cuda_kernelERKNSB_10TensorBaseESF_lENKUlvE_clEvENKUlvE_clEvEUlddE_dEEDaPvRmT3_T4_T5_mT6_P12ihipStream_tbENKUlT_T0_E_clISt17integral_constantIbLb1EESV_IbLb0EEEEDaSR_SS_EUlSR_E0_NS1_11comp_targetILNS1_3genE10ELNS1_11target_archE1201ELNS1_3gpuE5ELNS1_3repE0EEENS1_30default_config_static_selectorELNS0_4arch9wavefront6targetE0EEEvT1_: ; @_ZN7rocprim17ROCPRIM_400000_NS6detail17trampoline_kernelINS0_14default_configENS1_20scan_config_selectorIdEEZZNS1_9scan_implILNS1_25lookback_scan_determinismE0ELb0ELb0ES3_PKdPddZZZN2at6native31launch_logcumsumexp_cuda_kernelERKNSB_10TensorBaseESF_lENKUlvE_clEvENKUlvE_clEvEUlddE_dEEDaPvRmT3_T4_T5_mT6_P12ihipStream_tbENKUlT_T0_E_clISt17integral_constantIbLb1EESV_IbLb0EEEEDaSR_SS_EUlSR_E0_NS1_11comp_targetILNS1_3genE10ELNS1_11target_archE1201ELNS1_3gpuE5ELNS1_3repE0EEENS1_30default_config_static_selectorELNS0_4arch9wavefront6targetE0EEEvT1_
; %bb.0:
	.section	.rodata,"a",@progbits
	.p2align	6, 0x0
	.amdhsa_kernel _ZN7rocprim17ROCPRIM_400000_NS6detail17trampoline_kernelINS0_14default_configENS1_20scan_config_selectorIdEEZZNS1_9scan_implILNS1_25lookback_scan_determinismE0ELb0ELb0ES3_PKdPddZZZN2at6native31launch_logcumsumexp_cuda_kernelERKNSB_10TensorBaseESF_lENKUlvE_clEvENKUlvE_clEvEUlddE_dEEDaPvRmT3_T4_T5_mT6_P12ihipStream_tbENKUlT_T0_E_clISt17integral_constantIbLb1EESV_IbLb0EEEEDaSR_SS_EUlSR_E0_NS1_11comp_targetILNS1_3genE10ELNS1_11target_archE1201ELNS1_3gpuE5ELNS1_3repE0EEENS1_30default_config_static_selectorELNS0_4arch9wavefront6targetE0EEEvT1_
		.amdhsa_group_segment_fixed_size 0
		.amdhsa_private_segment_fixed_size 0
		.amdhsa_kernarg_size 40
		.amdhsa_user_sgpr_count 15
		.amdhsa_user_sgpr_dispatch_ptr 0
		.amdhsa_user_sgpr_queue_ptr 0
		.amdhsa_user_sgpr_kernarg_segment_ptr 1
		.amdhsa_user_sgpr_dispatch_id 0
		.amdhsa_user_sgpr_private_segment_size 0
		.amdhsa_wavefront_size32 1
		.amdhsa_uses_dynamic_stack 0
		.amdhsa_enable_private_segment 0
		.amdhsa_system_sgpr_workgroup_id_x 1
		.amdhsa_system_sgpr_workgroup_id_y 0
		.amdhsa_system_sgpr_workgroup_id_z 0
		.amdhsa_system_sgpr_workgroup_info 0
		.amdhsa_system_vgpr_workitem_id 0
		.amdhsa_next_free_vgpr 1
		.amdhsa_next_free_sgpr 1
		.amdhsa_reserve_vcc 0
		.amdhsa_float_round_mode_32 0
		.amdhsa_float_round_mode_16_64 0
		.amdhsa_float_denorm_mode_32 3
		.amdhsa_float_denorm_mode_16_64 3
		.amdhsa_dx10_clamp 1
		.amdhsa_ieee_mode 1
		.amdhsa_fp16_overflow 0
		.amdhsa_workgroup_processor_mode 1
		.amdhsa_memory_ordered 1
		.amdhsa_forward_progress 0
		.amdhsa_shared_vgpr_count 0
		.amdhsa_exception_fp_ieee_invalid_op 0
		.amdhsa_exception_fp_denorm_src 0
		.amdhsa_exception_fp_ieee_div_zero 0
		.amdhsa_exception_fp_ieee_overflow 0
		.amdhsa_exception_fp_ieee_underflow 0
		.amdhsa_exception_fp_ieee_inexact 0
		.amdhsa_exception_int_div_zero 0
	.end_amdhsa_kernel
	.section	.text._ZN7rocprim17ROCPRIM_400000_NS6detail17trampoline_kernelINS0_14default_configENS1_20scan_config_selectorIdEEZZNS1_9scan_implILNS1_25lookback_scan_determinismE0ELb0ELb0ES3_PKdPddZZZN2at6native31launch_logcumsumexp_cuda_kernelERKNSB_10TensorBaseESF_lENKUlvE_clEvENKUlvE_clEvEUlddE_dEEDaPvRmT3_T4_T5_mT6_P12ihipStream_tbENKUlT_T0_E_clISt17integral_constantIbLb1EESV_IbLb0EEEEDaSR_SS_EUlSR_E0_NS1_11comp_targetILNS1_3genE10ELNS1_11target_archE1201ELNS1_3gpuE5ELNS1_3repE0EEENS1_30default_config_static_selectorELNS0_4arch9wavefront6targetE0EEEvT1_,"axG",@progbits,_ZN7rocprim17ROCPRIM_400000_NS6detail17trampoline_kernelINS0_14default_configENS1_20scan_config_selectorIdEEZZNS1_9scan_implILNS1_25lookback_scan_determinismE0ELb0ELb0ES3_PKdPddZZZN2at6native31launch_logcumsumexp_cuda_kernelERKNSB_10TensorBaseESF_lENKUlvE_clEvENKUlvE_clEvEUlddE_dEEDaPvRmT3_T4_T5_mT6_P12ihipStream_tbENKUlT_T0_E_clISt17integral_constantIbLb1EESV_IbLb0EEEEDaSR_SS_EUlSR_E0_NS1_11comp_targetILNS1_3genE10ELNS1_11target_archE1201ELNS1_3gpuE5ELNS1_3repE0EEENS1_30default_config_static_selectorELNS0_4arch9wavefront6targetE0EEEvT1_,comdat
.Lfunc_end64:
	.size	_ZN7rocprim17ROCPRIM_400000_NS6detail17trampoline_kernelINS0_14default_configENS1_20scan_config_selectorIdEEZZNS1_9scan_implILNS1_25lookback_scan_determinismE0ELb0ELb0ES3_PKdPddZZZN2at6native31launch_logcumsumexp_cuda_kernelERKNSB_10TensorBaseESF_lENKUlvE_clEvENKUlvE_clEvEUlddE_dEEDaPvRmT3_T4_T5_mT6_P12ihipStream_tbENKUlT_T0_E_clISt17integral_constantIbLb1EESV_IbLb0EEEEDaSR_SS_EUlSR_E0_NS1_11comp_targetILNS1_3genE10ELNS1_11target_archE1201ELNS1_3gpuE5ELNS1_3repE0EEENS1_30default_config_static_selectorELNS0_4arch9wavefront6targetE0EEEvT1_, .Lfunc_end64-_ZN7rocprim17ROCPRIM_400000_NS6detail17trampoline_kernelINS0_14default_configENS1_20scan_config_selectorIdEEZZNS1_9scan_implILNS1_25lookback_scan_determinismE0ELb0ELb0ES3_PKdPddZZZN2at6native31launch_logcumsumexp_cuda_kernelERKNSB_10TensorBaseESF_lENKUlvE_clEvENKUlvE_clEvEUlddE_dEEDaPvRmT3_T4_T5_mT6_P12ihipStream_tbENKUlT_T0_E_clISt17integral_constantIbLb1EESV_IbLb0EEEEDaSR_SS_EUlSR_E0_NS1_11comp_targetILNS1_3genE10ELNS1_11target_archE1201ELNS1_3gpuE5ELNS1_3repE0EEENS1_30default_config_static_selectorELNS0_4arch9wavefront6targetE0EEEvT1_
                                        ; -- End function
	.section	.AMDGPU.csdata,"",@progbits
; Kernel info:
; codeLenInByte = 0
; NumSgprs: 0
; NumVgprs: 0
; ScratchSize: 0
; MemoryBound: 0
; FloatMode: 240
; IeeeMode: 1
; LDSByteSize: 0 bytes/workgroup (compile time only)
; SGPRBlocks: 0
; VGPRBlocks: 0
; NumSGPRsForWavesPerEU: 1
; NumVGPRsForWavesPerEU: 1
; Occupancy: 16
; WaveLimiterHint : 0
; COMPUTE_PGM_RSRC2:SCRATCH_EN: 0
; COMPUTE_PGM_RSRC2:USER_SGPR: 15
; COMPUTE_PGM_RSRC2:TRAP_HANDLER: 0
; COMPUTE_PGM_RSRC2:TGID_X_EN: 1
; COMPUTE_PGM_RSRC2:TGID_Y_EN: 0
; COMPUTE_PGM_RSRC2:TGID_Z_EN: 0
; COMPUTE_PGM_RSRC2:TIDIG_COMP_CNT: 0
	.section	.text._ZN7rocprim17ROCPRIM_400000_NS6detail17trampoline_kernelINS0_14default_configENS1_20scan_config_selectorIdEEZZNS1_9scan_implILNS1_25lookback_scan_determinismE0ELb0ELb0ES3_PKdPddZZZN2at6native31launch_logcumsumexp_cuda_kernelERKNSB_10TensorBaseESF_lENKUlvE_clEvENKUlvE_clEvEUlddE_dEEDaPvRmT3_T4_T5_mT6_P12ihipStream_tbENKUlT_T0_E_clISt17integral_constantIbLb1EESV_IbLb0EEEEDaSR_SS_EUlSR_E0_NS1_11comp_targetILNS1_3genE10ELNS1_11target_archE1200ELNS1_3gpuE4ELNS1_3repE0EEENS1_30default_config_static_selectorELNS0_4arch9wavefront6targetE0EEEvT1_,"axG",@progbits,_ZN7rocprim17ROCPRIM_400000_NS6detail17trampoline_kernelINS0_14default_configENS1_20scan_config_selectorIdEEZZNS1_9scan_implILNS1_25lookback_scan_determinismE0ELb0ELb0ES3_PKdPddZZZN2at6native31launch_logcumsumexp_cuda_kernelERKNSB_10TensorBaseESF_lENKUlvE_clEvENKUlvE_clEvEUlddE_dEEDaPvRmT3_T4_T5_mT6_P12ihipStream_tbENKUlT_T0_E_clISt17integral_constantIbLb1EESV_IbLb0EEEEDaSR_SS_EUlSR_E0_NS1_11comp_targetILNS1_3genE10ELNS1_11target_archE1200ELNS1_3gpuE4ELNS1_3repE0EEENS1_30default_config_static_selectorELNS0_4arch9wavefront6targetE0EEEvT1_,comdat
	.globl	_ZN7rocprim17ROCPRIM_400000_NS6detail17trampoline_kernelINS0_14default_configENS1_20scan_config_selectorIdEEZZNS1_9scan_implILNS1_25lookback_scan_determinismE0ELb0ELb0ES3_PKdPddZZZN2at6native31launch_logcumsumexp_cuda_kernelERKNSB_10TensorBaseESF_lENKUlvE_clEvENKUlvE_clEvEUlddE_dEEDaPvRmT3_T4_T5_mT6_P12ihipStream_tbENKUlT_T0_E_clISt17integral_constantIbLb1EESV_IbLb0EEEEDaSR_SS_EUlSR_E0_NS1_11comp_targetILNS1_3genE10ELNS1_11target_archE1200ELNS1_3gpuE4ELNS1_3repE0EEENS1_30default_config_static_selectorELNS0_4arch9wavefront6targetE0EEEvT1_ ; -- Begin function _ZN7rocprim17ROCPRIM_400000_NS6detail17trampoline_kernelINS0_14default_configENS1_20scan_config_selectorIdEEZZNS1_9scan_implILNS1_25lookback_scan_determinismE0ELb0ELb0ES3_PKdPddZZZN2at6native31launch_logcumsumexp_cuda_kernelERKNSB_10TensorBaseESF_lENKUlvE_clEvENKUlvE_clEvEUlddE_dEEDaPvRmT3_T4_T5_mT6_P12ihipStream_tbENKUlT_T0_E_clISt17integral_constantIbLb1EESV_IbLb0EEEEDaSR_SS_EUlSR_E0_NS1_11comp_targetILNS1_3genE10ELNS1_11target_archE1200ELNS1_3gpuE4ELNS1_3repE0EEENS1_30default_config_static_selectorELNS0_4arch9wavefront6targetE0EEEvT1_
	.p2align	8
	.type	_ZN7rocprim17ROCPRIM_400000_NS6detail17trampoline_kernelINS0_14default_configENS1_20scan_config_selectorIdEEZZNS1_9scan_implILNS1_25lookback_scan_determinismE0ELb0ELb0ES3_PKdPddZZZN2at6native31launch_logcumsumexp_cuda_kernelERKNSB_10TensorBaseESF_lENKUlvE_clEvENKUlvE_clEvEUlddE_dEEDaPvRmT3_T4_T5_mT6_P12ihipStream_tbENKUlT_T0_E_clISt17integral_constantIbLb1EESV_IbLb0EEEEDaSR_SS_EUlSR_E0_NS1_11comp_targetILNS1_3genE10ELNS1_11target_archE1200ELNS1_3gpuE4ELNS1_3repE0EEENS1_30default_config_static_selectorELNS0_4arch9wavefront6targetE0EEEvT1_,@function
_ZN7rocprim17ROCPRIM_400000_NS6detail17trampoline_kernelINS0_14default_configENS1_20scan_config_selectorIdEEZZNS1_9scan_implILNS1_25lookback_scan_determinismE0ELb0ELb0ES3_PKdPddZZZN2at6native31launch_logcumsumexp_cuda_kernelERKNSB_10TensorBaseESF_lENKUlvE_clEvENKUlvE_clEvEUlddE_dEEDaPvRmT3_T4_T5_mT6_P12ihipStream_tbENKUlT_T0_E_clISt17integral_constantIbLb1EESV_IbLb0EEEEDaSR_SS_EUlSR_E0_NS1_11comp_targetILNS1_3genE10ELNS1_11target_archE1200ELNS1_3gpuE4ELNS1_3repE0EEENS1_30default_config_static_selectorELNS0_4arch9wavefront6targetE0EEEvT1_: ; @_ZN7rocprim17ROCPRIM_400000_NS6detail17trampoline_kernelINS0_14default_configENS1_20scan_config_selectorIdEEZZNS1_9scan_implILNS1_25lookback_scan_determinismE0ELb0ELb0ES3_PKdPddZZZN2at6native31launch_logcumsumexp_cuda_kernelERKNSB_10TensorBaseESF_lENKUlvE_clEvENKUlvE_clEvEUlddE_dEEDaPvRmT3_T4_T5_mT6_P12ihipStream_tbENKUlT_T0_E_clISt17integral_constantIbLb1EESV_IbLb0EEEEDaSR_SS_EUlSR_E0_NS1_11comp_targetILNS1_3genE10ELNS1_11target_archE1200ELNS1_3gpuE4ELNS1_3repE0EEENS1_30default_config_static_selectorELNS0_4arch9wavefront6targetE0EEEvT1_
; %bb.0:
	.section	.rodata,"a",@progbits
	.p2align	6, 0x0
	.amdhsa_kernel _ZN7rocprim17ROCPRIM_400000_NS6detail17trampoline_kernelINS0_14default_configENS1_20scan_config_selectorIdEEZZNS1_9scan_implILNS1_25lookback_scan_determinismE0ELb0ELb0ES3_PKdPddZZZN2at6native31launch_logcumsumexp_cuda_kernelERKNSB_10TensorBaseESF_lENKUlvE_clEvENKUlvE_clEvEUlddE_dEEDaPvRmT3_T4_T5_mT6_P12ihipStream_tbENKUlT_T0_E_clISt17integral_constantIbLb1EESV_IbLb0EEEEDaSR_SS_EUlSR_E0_NS1_11comp_targetILNS1_3genE10ELNS1_11target_archE1200ELNS1_3gpuE4ELNS1_3repE0EEENS1_30default_config_static_selectorELNS0_4arch9wavefront6targetE0EEEvT1_
		.amdhsa_group_segment_fixed_size 0
		.amdhsa_private_segment_fixed_size 0
		.amdhsa_kernarg_size 40
		.amdhsa_user_sgpr_count 15
		.amdhsa_user_sgpr_dispatch_ptr 0
		.amdhsa_user_sgpr_queue_ptr 0
		.amdhsa_user_sgpr_kernarg_segment_ptr 1
		.amdhsa_user_sgpr_dispatch_id 0
		.amdhsa_user_sgpr_private_segment_size 0
		.amdhsa_wavefront_size32 1
		.amdhsa_uses_dynamic_stack 0
		.amdhsa_enable_private_segment 0
		.amdhsa_system_sgpr_workgroup_id_x 1
		.amdhsa_system_sgpr_workgroup_id_y 0
		.amdhsa_system_sgpr_workgroup_id_z 0
		.amdhsa_system_sgpr_workgroup_info 0
		.amdhsa_system_vgpr_workitem_id 0
		.amdhsa_next_free_vgpr 1
		.amdhsa_next_free_sgpr 1
		.amdhsa_reserve_vcc 0
		.amdhsa_float_round_mode_32 0
		.amdhsa_float_round_mode_16_64 0
		.amdhsa_float_denorm_mode_32 3
		.amdhsa_float_denorm_mode_16_64 3
		.amdhsa_dx10_clamp 1
		.amdhsa_ieee_mode 1
		.amdhsa_fp16_overflow 0
		.amdhsa_workgroup_processor_mode 1
		.amdhsa_memory_ordered 1
		.amdhsa_forward_progress 0
		.amdhsa_shared_vgpr_count 0
		.amdhsa_exception_fp_ieee_invalid_op 0
		.amdhsa_exception_fp_denorm_src 0
		.amdhsa_exception_fp_ieee_div_zero 0
		.amdhsa_exception_fp_ieee_overflow 0
		.amdhsa_exception_fp_ieee_underflow 0
		.amdhsa_exception_fp_ieee_inexact 0
		.amdhsa_exception_int_div_zero 0
	.end_amdhsa_kernel
	.section	.text._ZN7rocprim17ROCPRIM_400000_NS6detail17trampoline_kernelINS0_14default_configENS1_20scan_config_selectorIdEEZZNS1_9scan_implILNS1_25lookback_scan_determinismE0ELb0ELb0ES3_PKdPddZZZN2at6native31launch_logcumsumexp_cuda_kernelERKNSB_10TensorBaseESF_lENKUlvE_clEvENKUlvE_clEvEUlddE_dEEDaPvRmT3_T4_T5_mT6_P12ihipStream_tbENKUlT_T0_E_clISt17integral_constantIbLb1EESV_IbLb0EEEEDaSR_SS_EUlSR_E0_NS1_11comp_targetILNS1_3genE10ELNS1_11target_archE1200ELNS1_3gpuE4ELNS1_3repE0EEENS1_30default_config_static_selectorELNS0_4arch9wavefront6targetE0EEEvT1_,"axG",@progbits,_ZN7rocprim17ROCPRIM_400000_NS6detail17trampoline_kernelINS0_14default_configENS1_20scan_config_selectorIdEEZZNS1_9scan_implILNS1_25lookback_scan_determinismE0ELb0ELb0ES3_PKdPddZZZN2at6native31launch_logcumsumexp_cuda_kernelERKNSB_10TensorBaseESF_lENKUlvE_clEvENKUlvE_clEvEUlddE_dEEDaPvRmT3_T4_T5_mT6_P12ihipStream_tbENKUlT_T0_E_clISt17integral_constantIbLb1EESV_IbLb0EEEEDaSR_SS_EUlSR_E0_NS1_11comp_targetILNS1_3genE10ELNS1_11target_archE1200ELNS1_3gpuE4ELNS1_3repE0EEENS1_30default_config_static_selectorELNS0_4arch9wavefront6targetE0EEEvT1_,comdat
.Lfunc_end65:
	.size	_ZN7rocprim17ROCPRIM_400000_NS6detail17trampoline_kernelINS0_14default_configENS1_20scan_config_selectorIdEEZZNS1_9scan_implILNS1_25lookback_scan_determinismE0ELb0ELb0ES3_PKdPddZZZN2at6native31launch_logcumsumexp_cuda_kernelERKNSB_10TensorBaseESF_lENKUlvE_clEvENKUlvE_clEvEUlddE_dEEDaPvRmT3_T4_T5_mT6_P12ihipStream_tbENKUlT_T0_E_clISt17integral_constantIbLb1EESV_IbLb0EEEEDaSR_SS_EUlSR_E0_NS1_11comp_targetILNS1_3genE10ELNS1_11target_archE1200ELNS1_3gpuE4ELNS1_3repE0EEENS1_30default_config_static_selectorELNS0_4arch9wavefront6targetE0EEEvT1_, .Lfunc_end65-_ZN7rocprim17ROCPRIM_400000_NS6detail17trampoline_kernelINS0_14default_configENS1_20scan_config_selectorIdEEZZNS1_9scan_implILNS1_25lookback_scan_determinismE0ELb0ELb0ES3_PKdPddZZZN2at6native31launch_logcumsumexp_cuda_kernelERKNSB_10TensorBaseESF_lENKUlvE_clEvENKUlvE_clEvEUlddE_dEEDaPvRmT3_T4_T5_mT6_P12ihipStream_tbENKUlT_T0_E_clISt17integral_constantIbLb1EESV_IbLb0EEEEDaSR_SS_EUlSR_E0_NS1_11comp_targetILNS1_3genE10ELNS1_11target_archE1200ELNS1_3gpuE4ELNS1_3repE0EEENS1_30default_config_static_selectorELNS0_4arch9wavefront6targetE0EEEvT1_
                                        ; -- End function
	.section	.AMDGPU.csdata,"",@progbits
; Kernel info:
; codeLenInByte = 0
; NumSgprs: 0
; NumVgprs: 0
; ScratchSize: 0
; MemoryBound: 0
; FloatMode: 240
; IeeeMode: 1
; LDSByteSize: 0 bytes/workgroup (compile time only)
; SGPRBlocks: 0
; VGPRBlocks: 0
; NumSGPRsForWavesPerEU: 1
; NumVGPRsForWavesPerEU: 1
; Occupancy: 16
; WaveLimiterHint : 0
; COMPUTE_PGM_RSRC2:SCRATCH_EN: 0
; COMPUTE_PGM_RSRC2:USER_SGPR: 15
; COMPUTE_PGM_RSRC2:TRAP_HANDLER: 0
; COMPUTE_PGM_RSRC2:TGID_X_EN: 1
; COMPUTE_PGM_RSRC2:TGID_Y_EN: 0
; COMPUTE_PGM_RSRC2:TGID_Z_EN: 0
; COMPUTE_PGM_RSRC2:TIDIG_COMP_CNT: 0
	.section	.text._ZN7rocprim17ROCPRIM_400000_NS6detail17trampoline_kernelINS0_14default_configENS1_20scan_config_selectorIdEEZZNS1_9scan_implILNS1_25lookback_scan_determinismE0ELb0ELb0ES3_PKdPddZZZN2at6native31launch_logcumsumexp_cuda_kernelERKNSB_10TensorBaseESF_lENKUlvE_clEvENKUlvE_clEvEUlddE_dEEDaPvRmT3_T4_T5_mT6_P12ihipStream_tbENKUlT_T0_E_clISt17integral_constantIbLb1EESV_IbLb0EEEEDaSR_SS_EUlSR_E0_NS1_11comp_targetILNS1_3genE9ELNS1_11target_archE1100ELNS1_3gpuE3ELNS1_3repE0EEENS1_30default_config_static_selectorELNS0_4arch9wavefront6targetE0EEEvT1_,"axG",@progbits,_ZN7rocprim17ROCPRIM_400000_NS6detail17trampoline_kernelINS0_14default_configENS1_20scan_config_selectorIdEEZZNS1_9scan_implILNS1_25lookback_scan_determinismE0ELb0ELb0ES3_PKdPddZZZN2at6native31launch_logcumsumexp_cuda_kernelERKNSB_10TensorBaseESF_lENKUlvE_clEvENKUlvE_clEvEUlddE_dEEDaPvRmT3_T4_T5_mT6_P12ihipStream_tbENKUlT_T0_E_clISt17integral_constantIbLb1EESV_IbLb0EEEEDaSR_SS_EUlSR_E0_NS1_11comp_targetILNS1_3genE9ELNS1_11target_archE1100ELNS1_3gpuE3ELNS1_3repE0EEENS1_30default_config_static_selectorELNS0_4arch9wavefront6targetE0EEEvT1_,comdat
	.globl	_ZN7rocprim17ROCPRIM_400000_NS6detail17trampoline_kernelINS0_14default_configENS1_20scan_config_selectorIdEEZZNS1_9scan_implILNS1_25lookback_scan_determinismE0ELb0ELb0ES3_PKdPddZZZN2at6native31launch_logcumsumexp_cuda_kernelERKNSB_10TensorBaseESF_lENKUlvE_clEvENKUlvE_clEvEUlddE_dEEDaPvRmT3_T4_T5_mT6_P12ihipStream_tbENKUlT_T0_E_clISt17integral_constantIbLb1EESV_IbLb0EEEEDaSR_SS_EUlSR_E0_NS1_11comp_targetILNS1_3genE9ELNS1_11target_archE1100ELNS1_3gpuE3ELNS1_3repE0EEENS1_30default_config_static_selectorELNS0_4arch9wavefront6targetE0EEEvT1_ ; -- Begin function _ZN7rocprim17ROCPRIM_400000_NS6detail17trampoline_kernelINS0_14default_configENS1_20scan_config_selectorIdEEZZNS1_9scan_implILNS1_25lookback_scan_determinismE0ELb0ELb0ES3_PKdPddZZZN2at6native31launch_logcumsumexp_cuda_kernelERKNSB_10TensorBaseESF_lENKUlvE_clEvENKUlvE_clEvEUlddE_dEEDaPvRmT3_T4_T5_mT6_P12ihipStream_tbENKUlT_T0_E_clISt17integral_constantIbLb1EESV_IbLb0EEEEDaSR_SS_EUlSR_E0_NS1_11comp_targetILNS1_3genE9ELNS1_11target_archE1100ELNS1_3gpuE3ELNS1_3repE0EEENS1_30default_config_static_selectorELNS0_4arch9wavefront6targetE0EEEvT1_
	.p2align	8
	.type	_ZN7rocprim17ROCPRIM_400000_NS6detail17trampoline_kernelINS0_14default_configENS1_20scan_config_selectorIdEEZZNS1_9scan_implILNS1_25lookback_scan_determinismE0ELb0ELb0ES3_PKdPddZZZN2at6native31launch_logcumsumexp_cuda_kernelERKNSB_10TensorBaseESF_lENKUlvE_clEvENKUlvE_clEvEUlddE_dEEDaPvRmT3_T4_T5_mT6_P12ihipStream_tbENKUlT_T0_E_clISt17integral_constantIbLb1EESV_IbLb0EEEEDaSR_SS_EUlSR_E0_NS1_11comp_targetILNS1_3genE9ELNS1_11target_archE1100ELNS1_3gpuE3ELNS1_3repE0EEENS1_30default_config_static_selectorELNS0_4arch9wavefront6targetE0EEEvT1_,@function
_ZN7rocprim17ROCPRIM_400000_NS6detail17trampoline_kernelINS0_14default_configENS1_20scan_config_selectorIdEEZZNS1_9scan_implILNS1_25lookback_scan_determinismE0ELb0ELb0ES3_PKdPddZZZN2at6native31launch_logcumsumexp_cuda_kernelERKNSB_10TensorBaseESF_lENKUlvE_clEvENKUlvE_clEvEUlddE_dEEDaPvRmT3_T4_T5_mT6_P12ihipStream_tbENKUlT_T0_E_clISt17integral_constantIbLb1EESV_IbLb0EEEEDaSR_SS_EUlSR_E0_NS1_11comp_targetILNS1_3genE9ELNS1_11target_archE1100ELNS1_3gpuE3ELNS1_3repE0EEENS1_30default_config_static_selectorELNS0_4arch9wavefront6targetE0EEEvT1_: ; @_ZN7rocprim17ROCPRIM_400000_NS6detail17trampoline_kernelINS0_14default_configENS1_20scan_config_selectorIdEEZZNS1_9scan_implILNS1_25lookback_scan_determinismE0ELb0ELb0ES3_PKdPddZZZN2at6native31launch_logcumsumexp_cuda_kernelERKNSB_10TensorBaseESF_lENKUlvE_clEvENKUlvE_clEvEUlddE_dEEDaPvRmT3_T4_T5_mT6_P12ihipStream_tbENKUlT_T0_E_clISt17integral_constantIbLb1EESV_IbLb0EEEEDaSR_SS_EUlSR_E0_NS1_11comp_targetILNS1_3genE9ELNS1_11target_archE1100ELNS1_3gpuE3ELNS1_3repE0EEENS1_30default_config_static_selectorELNS0_4arch9wavefront6targetE0EEEvT1_
; %bb.0:
	s_load_b128 s[20:23], s[0:1], 0x0
	v_lshlrev_b32_e32 v77, 3, v0
	s_waitcnt lgkmcnt(0)
	s_load_b64 s[18:19], s[20:21], 0x0
	v_cmp_gt_u32_e32 vcc_lo, s22, v0
	s_waitcnt lgkmcnt(0)
	v_dual_mov_b32 v1, s18 :: v_dual_mov_b32 v2, s19
	s_and_saveexec_b32 s2, vcc_lo
	s_cbranch_execz .LBB66_2
; %bb.1:
	global_load_b64 v[1:2], v77, s[20:21]
.LBB66_2:
	s_or_b32 exec_lo, exec_lo, s2
	v_or_b32_e32 v33, 0x100, v0
	v_dual_mov_b32 v3, s18 :: v_dual_mov_b32 v4, s19
	s_delay_alu instid0(VALU_DEP_2) | instskip(NEXT) | instid1(VALU_DEP_1)
	v_cmp_gt_u32_e64 s2, s22, v33
	s_and_saveexec_b32 s3, s2
	s_cbranch_execz .LBB66_4
; %bb.3:
	global_load_b64 v[3:4], v77, s[20:21] offset:2048
.LBB66_4:
	s_or_b32 exec_lo, exec_lo, s3
	v_or_b32_e32 v34, 0x200, v0
	v_dual_mov_b32 v5, s18 :: v_dual_mov_b32 v6, s19
	s_delay_alu instid0(VALU_DEP_2) | instskip(NEXT) | instid1(VALU_DEP_1)
	v_cmp_gt_u32_e64 s3, s22, v34
	s_and_saveexec_b32 s4, s3
	s_cbranch_execz .LBB66_6
; %bb.5:
	v_lshlrev_b32_e32 v5, 3, v34
	global_load_b64 v[5:6], v5, s[20:21]
.LBB66_6:
	s_or_b32 exec_lo, exec_lo, s4
	v_or_b32_e32 v35, 0x300, v0
	v_dual_mov_b32 v9, s18 :: v_dual_mov_b32 v10, s19
	s_delay_alu instid0(VALU_DEP_2) | instskip(NEXT) | instid1(VALU_DEP_1)
	v_cmp_gt_u32_e64 s4, s22, v35
	s_and_saveexec_b32 s5, s4
	s_cbranch_execz .LBB66_8
; %bb.7:
	v_lshlrev_b32_e32 v7, 3, v35
	global_load_b64 v[9:10], v7, s[20:21]
.LBB66_8:
	;; [unrolled: 11-line block ×14, first 2 shown]
	s_or_b32 exec_lo, exec_lo, s17
	v_lshrrev_b32_e32 v48, 2, v0
	v_lshrrev_b32_e32 v34, 2, v34
	;; [unrolled: 1-line block ×5, first 2 shown]
	v_and_b32_e32 v95, 56, v48
	v_and_b32_e32 v34, 0xf8, v34
	;; [unrolled: 1-line block ×4, first 2 shown]
	s_delay_alu instid0(VALU_DEP_4) | instskip(NEXT) | instid1(VALU_DEP_4)
	v_add_nc_u32_e32 v78, v95, v77
	v_add_nc_u32_e32 v80, v34, v77
	v_and_b32_e32 v34, 0x1f8, v36
	v_lshrrev_b32_e32 v36, 2, v39
	v_add_nc_u32_e32 v79, v33, v77
	v_add_nc_u32_e32 v81, v35, v77
	s_waitcnt vmcnt(0)
	ds_store_b64 v78, v[1:2]
	ds_store_b64 v79, v[3:4] offset:2048
	ds_store_b64 v80, v[5:6] offset:4096
	;; [unrolled: 1-line block ×3, first 2 shown]
	v_and_b32_e32 v1, 0x1f8, v36
	v_lshrrev_b32_e32 v2, 2, v40
	v_lshrrev_b32_e32 v3, 2, v41
	;; [unrolled: 1-line block ×4, first 2 shown]
	v_add_nc_u32_e32 v85, v1, v77
	v_and_b32_e32 v1, 0x3f8, v2
	v_and_b32_e32 v2, 0x3f8, v3
	;; [unrolled: 1-line block ×4, first 2 shown]
	v_lshrrev_b32_e32 v33, 2, v37
	v_add_nc_u32_e32 v86, v1, v77
	v_lshrrev_b32_e32 v1, 2, v44
	v_add_nc_u32_e32 v87, v2, v77
	v_lshrrev_b32_e32 v2, 2, v45
	v_lshrrev_b32_e32 v37, 2, v38
	v_add_nc_u32_e32 v88, v3, v77
	v_lshrrev_b32_e32 v3, 2, v46
	v_add_nc_u32_e32 v89, v4, v77
	v_lshrrev_b32_e32 v4, 2, v47
	v_and_b32_e32 v1, 0x3f8, v1
	v_lshlrev_b32_e32 v5, 4, v0
	v_lshrrev_b32_e32 v6, 1, v0
	v_and_b32_e32 v33, 0x1f8, v33
	v_and_b32_e32 v2, 0x3f8, v2
	;; [unrolled: 1-line block ×5, first 2 shown]
	v_add_nc_u32_e32 v82, v34, v77
	v_add_nc_u32_e32 v90, v1, v77
	v_add_lshl_u32 v94, v6, v5, 3
	v_add_nc_u32_e32 v83, v33, v77
	v_add_nc_u32_e32 v91, v2, v77
	;; [unrolled: 1-line block ×5, first 2 shown]
	ds_store_b64 v82, v[7:8] offset:8192
	ds_store_b64 v83, v[11:12] offset:10240
	;; [unrolled: 1-line block ×12, first 2 shown]
	s_waitcnt lgkmcnt(0)
	s_barrier
	buffer_gl0_inv
	ds_load_2addr_b64 v[1:4], v94 offset1:1
	ds_load_2addr_b64 v[29:32], v94 offset0:2 offset1:3
	s_waitcnt lgkmcnt(1)
	v_max_f64 v[35:36], v[3:4], v[3:4]
	v_max_f64 v[63:64], v[1:2], v[1:2]
	v_cmp_u_f64_e64 s33, v[1:2], v[1:2]
	v_cmp_u_f64_e64 s17, v[3:4], v[3:4]
	v_dual_mov_b32 v70, v2 :: v_dual_mov_b32 v69, v1
	s_delay_alu instid0(VALU_DEP_4) | instskip(SKIP_1) | instid1(VALU_DEP_2)
	v_min_f64 v[65:66], v[63:64], v[35:36]
	v_max_f64 v[67:68], v[63:64], v[35:36]
	v_cndmask_b32_e64 v5, v65, v1, s33
	s_delay_alu instid0(VALU_DEP_3) | instskip(NEXT) | instid1(VALU_DEP_3)
	v_cndmask_b32_e64 v6, v66, v2, s33
	v_cndmask_b32_e64 v7, v68, v2, s33
	s_delay_alu instid0(VALU_DEP_4) | instskip(NEXT) | instid1(VALU_DEP_4)
	v_cndmask_b32_e64 v8, v67, v1, s33
	v_cndmask_b32_e64 v37, v5, v3, s17
	s_delay_alu instid0(VALU_DEP_4) | instskip(NEXT) | instid1(VALU_DEP_4)
	v_cndmask_b32_e64 v38, v6, v4, s17
	v_cndmask_b32_e64 v34, v7, v4, s17
	s_delay_alu instid0(VALU_DEP_4)
	v_cndmask_b32_e64 v33, v8, v3, s17
	ds_load_2addr_b64 v[25:28], v94 offset0:4 offset1:5
	ds_load_2addr_b64 v[21:24], v94 offset0:6 offset1:7
	;; [unrolled: 1-line block ×6, first 2 shown]
	s_waitcnt lgkmcnt(0)
	v_cmp_class_f64_e64 s19, v[37:38], 0x1f8
	s_barrier
	v_cmp_neq_f64_e64 s18, v[37:38], v[33:34]
	buffer_gl0_inv
	s_or_b32 s18, s18, s19
	s_delay_alu instid0(SALU_CYCLE_1)
	s_and_saveexec_b32 s24, s18
	s_cbranch_execz .LBB66_34
; %bb.33:
	v_add_f64 v[37:38], v[37:38], -v[33:34]
	s_mov_b32 s18, 0x652b82fe
	s_mov_b32 s19, 0x3ff71547
	;; [unrolled: 1-line block ×10, first 2 shown]
	s_delay_alu instid0(VALU_DEP_1) | instskip(SKIP_2) | instid1(VALU_DEP_1)
	v_mul_f64 v[39:40], v[37:38], s[18:19]
	s_mov_b32 s18, 0xfca7ab0c
	s_mov_b32 s19, 0x3e928af3
	v_rndne_f64_e32 v[39:40], v[39:40]
	s_delay_alu instid0(VALU_DEP_1) | instskip(SKIP_2) | instid1(VALU_DEP_2)
	v_fma_f64 v[41:42], v[39:40], s[20:21], v[37:38]
	v_cvt_i32_f64_e32 v45, v[39:40]
	s_mov_b32 s21, 0x3fe62e42
	v_fma_f64 v[41:42], v[39:40], s[22:23], v[41:42]
	s_mov_b32 s23, 0x3c7abc9e
	s_delay_alu instid0(VALU_DEP_1) | instskip(SKIP_4) | instid1(VALU_DEP_1)
	v_fma_f64 v[43:44], v[41:42], s[26:27], s[18:19]
	s_mov_b32 s18, 0x623fde64
	s_mov_b32 s19, 0x3ec71dee
	;; [unrolled: 1-line block ×4, first 2 shown]
	v_fma_f64 v[43:44], v[41:42], v[43:44], s[18:19]
	s_mov_b32 s18, 0x7c89e6b0
	s_mov_b32 s19, 0x3efa0199
	s_delay_alu instid0(VALU_DEP_1) | instid1(SALU_CYCLE_1)
	v_fma_f64 v[43:44], v[41:42], v[43:44], s[18:19]
	s_mov_b32 s18, 0x14761f6e
	s_mov_b32 s19, 0x3f2a01a0
	s_delay_alu instid0(VALU_DEP_1) | instid1(SALU_CYCLE_1)
	;; [unrolled: 4-line block ×7, first 2 shown]
	v_fma_f64 v[43:44], v[41:42], v[43:44], s[18:19]
	v_cmp_nlt_f64_e64 s18, 0x40900000, v[37:38]
	v_cmp_ngt_f64_e64 s19, 0xc090cc00, v[37:38]
	s_delay_alu instid0(VALU_DEP_3) | instskip(NEXT) | instid1(VALU_DEP_1)
	v_fma_f64 v[43:44], v[41:42], v[43:44], 1.0
	v_fma_f64 v[39:40], v[41:42], v[43:44], 1.0
	s_delay_alu instid0(VALU_DEP_1) | instskip(NEXT) | instid1(VALU_DEP_1)
	v_ldexp_f64 v[39:40], v[39:40], v45
	v_cndmask_b32_e64 v40, 0x7ff00000, v40, s18
	s_and_b32 s18, s19, s18
	s_delay_alu instid0(VALU_DEP_2) | instid1(SALU_CYCLE_1)
	v_cndmask_b32_e64 v37, 0, v39, s18
	s_mov_b32 s18, 0x55555555
	s_delay_alu instid0(VALU_DEP_2) | instskip(SKIP_1) | instid1(VALU_DEP_1)
	v_cndmask_b32_e64 v38, 0, v40, s19
	s_mov_b32 s19, 0x3fe55555
	v_add_f64 v[39:40], v[37:38], 1.0
	s_delay_alu instid0(VALU_DEP_1) | instskip(SKIP_2) | instid1(VALU_DEP_3)
	v_frexp_mant_f64_e32 v[41:42], v[39:40]
	v_frexp_exp_i32_f64_e32 v45, v[39:40]
	v_add_f64 v[43:44], v[39:40], -1.0
	v_cmp_gt_f64_e64 s18, s[18:19], v[41:42]
	s_delay_alu instid0(VALU_DEP_2) | instskip(SKIP_1) | instid1(VALU_DEP_3)
	v_add_f64 v[41:42], v[43:44], -v[39:40]
	v_add_f64 v[43:44], v[37:38], -v[43:44]
	v_subrev_co_ci_u32_e64 v61, s18, 0, v45, s18
	s_delay_alu instid0(VALU_DEP_3) | instskip(SKIP_1) | instid1(VALU_DEP_2)
	v_add_f64 v[41:42], v[41:42], 1.0
	s_mov_b32 s18, 0x55555780
	v_sub_nc_u32_e32 v47, 0, v61
	s_delay_alu instid0(VALU_DEP_1) | instskip(NEXT) | instid1(VALU_DEP_3)
	v_ldexp_f64 v[39:40], v[39:40], v47
	v_add_f64 v[41:42], v[43:44], v[41:42]
	s_delay_alu instid0(VALU_DEP_2) | instskip(SKIP_1) | instid1(VALU_DEP_3)
	v_add_f64 v[45:46], v[39:40], 1.0
	v_add_f64 v[51:52], v[39:40], -1.0
	v_ldexp_f64 v[41:42], v[41:42], v47
	s_delay_alu instid0(VALU_DEP_3) | instskip(NEXT) | instid1(VALU_DEP_3)
	v_add_f64 v[43:44], v[45:46], -1.0
	v_add_f64 v[53:54], v[51:52], 1.0
	s_delay_alu instid0(VALU_DEP_2) | instskip(NEXT) | instid1(VALU_DEP_2)
	v_add_f64 v[43:44], v[39:40], -v[43:44]
	v_add_f64 v[39:40], v[39:40], -v[53:54]
	s_delay_alu instid0(VALU_DEP_2) | instskip(NEXT) | instid1(VALU_DEP_2)
	v_add_f64 v[43:44], v[41:42], v[43:44]
	v_add_f64 v[39:40], v[41:42], v[39:40]
	s_delay_alu instid0(VALU_DEP_2) | instskip(NEXT) | instid1(VALU_DEP_2)
	v_add_f64 v[47:48], v[45:46], v[43:44]
	v_add_f64 v[53:54], v[51:52], v[39:40]
	s_delay_alu instid0(VALU_DEP_2) | instskip(SKIP_1) | instid1(VALU_DEP_2)
	v_rcp_f64_e32 v[49:50], v[47:48]
	v_add_f64 v[45:46], v[47:48], -v[45:46]
	v_add_f64 v[51:52], v[53:54], -v[51:52]
	s_delay_alu instid0(VALU_DEP_2) | instskip(SKIP_3) | instid1(VALU_DEP_2)
	v_add_f64 v[43:44], v[43:44], -v[45:46]
	s_waitcnt_depctr 0xfff
	v_fma_f64 v[55:56], -v[47:48], v[49:50], 1.0
	v_add_f64 v[39:40], v[39:40], -v[51:52]
	v_fma_f64 v[49:50], v[55:56], v[49:50], v[49:50]
	s_delay_alu instid0(VALU_DEP_1) | instskip(NEXT) | instid1(VALU_DEP_1)
	v_fma_f64 v[41:42], -v[47:48], v[49:50], 1.0
	v_fma_f64 v[41:42], v[41:42], v[49:50], v[49:50]
	s_delay_alu instid0(VALU_DEP_1) | instskip(NEXT) | instid1(VALU_DEP_1)
	v_mul_f64 v[49:50], v[53:54], v[41:42]
	v_mul_f64 v[55:56], v[47:48], v[49:50]
	s_delay_alu instid0(VALU_DEP_1) | instskip(NEXT) | instid1(VALU_DEP_1)
	v_fma_f64 v[45:46], v[49:50], v[47:48], -v[55:56]
	v_fma_f64 v[45:46], v[49:50], v[43:44], v[45:46]
	s_delay_alu instid0(VALU_DEP_1) | instskip(NEXT) | instid1(VALU_DEP_1)
	v_add_f64 v[57:58], v[55:56], v[45:46]
	v_add_f64 v[59:60], v[53:54], -v[57:58]
	v_add_f64 v[51:52], v[57:58], -v[55:56]
	s_delay_alu instid0(VALU_DEP_2) | instskip(NEXT) | instid1(VALU_DEP_2)
	v_add_f64 v[53:54], v[53:54], -v[59:60]
	v_add_f64 v[45:46], v[51:52], -v[45:46]
	s_delay_alu instid0(VALU_DEP_2) | instskip(NEXT) | instid1(VALU_DEP_1)
	v_add_f64 v[53:54], v[53:54], -v[57:58]
	v_add_f64 v[39:40], v[39:40], v[53:54]
	s_delay_alu instid0(VALU_DEP_1) | instskip(NEXT) | instid1(VALU_DEP_1)
	v_add_f64 v[39:40], v[45:46], v[39:40]
	v_add_f64 v[45:46], v[59:60], v[39:40]
	s_delay_alu instid0(VALU_DEP_1) | instskip(SKIP_1) | instid1(VALU_DEP_2)
	v_mul_f64 v[51:52], v[41:42], v[45:46]
	v_add_f64 v[57:58], v[59:60], -v[45:46]
	v_mul_f64 v[53:54], v[47:48], v[51:52]
	s_delay_alu instid0(VALU_DEP_2) | instskip(NEXT) | instid1(VALU_DEP_2)
	v_add_f64 v[39:40], v[39:40], v[57:58]
	v_fma_f64 v[47:48], v[51:52], v[47:48], -v[53:54]
	s_delay_alu instid0(VALU_DEP_1) | instskip(NEXT) | instid1(VALU_DEP_1)
	v_fma_f64 v[43:44], v[51:52], v[43:44], v[47:48]
	v_add_f64 v[47:48], v[53:54], v[43:44]
	s_delay_alu instid0(VALU_DEP_1) | instskip(SKIP_1) | instid1(VALU_DEP_2)
	v_add_f64 v[55:56], v[45:46], -v[47:48]
	v_add_f64 v[53:54], v[47:48], -v[53:54]
	;; [unrolled: 1-line block ×3, first 2 shown]
	s_delay_alu instid0(VALU_DEP_2) | instskip(NEXT) | instid1(VALU_DEP_2)
	v_add_f64 v[43:44], v[53:54], -v[43:44]
	v_add_f64 v[45:46], v[45:46], -v[47:48]
	s_delay_alu instid0(VALU_DEP_1) | instskip(SKIP_1) | instid1(VALU_DEP_2)
	v_add_f64 v[39:40], v[39:40], v[45:46]
	v_add_f64 v[45:46], v[49:50], v[51:52]
	;; [unrolled: 1-line block ×3, first 2 shown]
	s_delay_alu instid0(VALU_DEP_2) | instskip(NEXT) | instid1(VALU_DEP_2)
	v_add_f64 v[43:44], v[45:46], -v[49:50]
	v_add_f64 v[39:40], v[55:56], v[39:40]
	s_delay_alu instid0(VALU_DEP_2) | instskip(NEXT) | instid1(VALU_DEP_2)
	v_add_f64 v[43:44], v[51:52], -v[43:44]
	v_mul_f64 v[39:40], v[41:42], v[39:40]
	s_delay_alu instid0(VALU_DEP_1) | instskip(NEXT) | instid1(VALU_DEP_1)
	v_add_f64 v[39:40], v[43:44], v[39:40]
	v_add_f64 v[41:42], v[45:46], v[39:40]
	s_delay_alu instid0(VALU_DEP_1) | instskip(NEXT) | instid1(VALU_DEP_1)
	v_mul_f64 v[43:44], v[41:42], v[41:42]
	v_fma_f64 v[47:48], v[43:44], s[28:29], s[26:27]
	s_mov_b32 s26, 0xd7f4df2e
	s_mov_b32 s27, 0x3fc7474d
	v_mul_f64 v[49:50], v[41:42], v[43:44]
	s_delay_alu instid0(VALU_DEP_2)
	v_fma_f64 v[47:48], v[43:44], v[47:48], s[26:27]
	s_mov_b32 s26, 0x16291751
	s_mov_b32 s27, 0x3fcc71c0
	s_delay_alu instid0(VALU_DEP_1) | instid1(SALU_CYCLE_1)
	v_fma_f64 v[47:48], v[43:44], v[47:48], s[26:27]
	s_mov_b32 s26, 0x9b27acf1
	s_mov_b32 s27, 0x3fd24924
	s_delay_alu instid0(VALU_DEP_1) | instid1(SALU_CYCLE_1)
	;; [unrolled: 4-line block ×3, first 2 shown]
	v_fma_f64 v[47:48], v[43:44], v[47:48], s[26:27]
	s_delay_alu instid0(VALU_DEP_1) | instskip(SKIP_3) | instid1(VALU_DEP_4)
	v_fma_f64 v[43:44], v[43:44], v[47:48], s[18:19]
	v_ldexp_f64 v[47:48], v[41:42], 1
	v_add_f64 v[41:42], v[41:42], -v[45:46]
	v_cmp_eq_f64_e64 s18, 0x7ff00000, v[37:38]
	v_mul_f64 v[43:44], v[49:50], v[43:44]
	v_cvt_f64_i32_e32 v[49:50], v61
	s_delay_alu instid0(VALU_DEP_4) | instskip(NEXT) | instid1(VALU_DEP_3)
	v_add_f64 v[39:40], v[39:40], -v[41:42]
	v_add_f64 v[45:46], v[47:48], v[43:44]
	s_delay_alu instid0(VALU_DEP_3) | instskip(NEXT) | instid1(VALU_DEP_3)
	v_mul_f64 v[51:52], v[49:50], s[20:21]
	v_ldexp_f64 v[39:40], v[39:40], 1
	s_delay_alu instid0(VALU_DEP_3) | instskip(NEXT) | instid1(VALU_DEP_3)
	v_add_f64 v[41:42], v[45:46], -v[47:48]
	v_fma_f64 v[47:48], v[49:50], s[20:21], -v[51:52]
	s_delay_alu instid0(VALU_DEP_2) | instskip(NEXT) | instid1(VALU_DEP_2)
	v_add_f64 v[41:42], v[43:44], -v[41:42]
	v_fma_f64 v[43:44], v[49:50], s[22:23], v[47:48]
	s_delay_alu instid0(VALU_DEP_2) | instskip(NEXT) | instid1(VALU_DEP_2)
	v_add_f64 v[39:40], v[39:40], v[41:42]
	v_add_f64 v[41:42], v[51:52], v[43:44]
	s_delay_alu instid0(VALU_DEP_2) | instskip(NEXT) | instid1(VALU_DEP_2)
	v_add_f64 v[47:48], v[45:46], v[39:40]
	v_add_f64 v[51:52], v[41:42], -v[51:52]
	s_delay_alu instid0(VALU_DEP_2) | instskip(SKIP_1) | instid1(VALU_DEP_3)
	v_add_f64 v[49:50], v[41:42], v[47:48]
	v_add_f64 v[45:46], v[47:48], -v[45:46]
	v_add_f64 v[43:44], v[43:44], -v[51:52]
	s_delay_alu instid0(VALU_DEP_3) | instskip(NEXT) | instid1(VALU_DEP_3)
	v_add_f64 v[53:54], v[49:50], -v[41:42]
	v_add_f64 v[39:40], v[39:40], -v[45:46]
	s_delay_alu instid0(VALU_DEP_2) | instskip(SKIP_1) | instid1(VALU_DEP_3)
	v_add_f64 v[55:56], v[49:50], -v[53:54]
	v_add_f64 v[45:46], v[47:48], -v[53:54]
	v_add_f64 v[47:48], v[43:44], v[39:40]
	s_delay_alu instid0(VALU_DEP_3) | instskip(NEXT) | instid1(VALU_DEP_1)
	v_add_f64 v[41:42], v[41:42], -v[55:56]
	v_add_f64 v[41:42], v[45:46], v[41:42]
	s_delay_alu instid0(VALU_DEP_3) | instskip(NEXT) | instid1(VALU_DEP_2)
	v_add_f64 v[45:46], v[47:48], -v[43:44]
	v_add_f64 v[41:42], v[47:48], v[41:42]
	s_delay_alu instid0(VALU_DEP_2) | instskip(SKIP_1) | instid1(VALU_DEP_3)
	v_add_f64 v[47:48], v[47:48], -v[45:46]
	v_add_f64 v[39:40], v[39:40], -v[45:46]
	v_add_f64 v[51:52], v[49:50], v[41:42]
	s_delay_alu instid0(VALU_DEP_3) | instskip(NEXT) | instid1(VALU_DEP_2)
	v_add_f64 v[43:44], v[43:44], -v[47:48]
	v_add_f64 v[45:46], v[51:52], -v[49:50]
	s_delay_alu instid0(VALU_DEP_2) | instskip(NEXT) | instid1(VALU_DEP_2)
	v_add_f64 v[39:40], v[39:40], v[43:44]
	v_add_f64 v[41:42], v[41:42], -v[45:46]
	s_delay_alu instid0(VALU_DEP_1) | instskip(NEXT) | instid1(VALU_DEP_1)
	v_add_f64 v[39:40], v[39:40], v[41:42]
	v_add_f64 v[39:40], v[51:52], v[39:40]
	s_delay_alu instid0(VALU_DEP_1) | instskip(NEXT) | instid1(VALU_DEP_2)
	v_cndmask_b32_e64 v39, v39, v37, s18
	v_cndmask_b32_e64 v40, v40, v38, s18
	v_cmp_ngt_f64_e64 s18, -1.0, v[37:38]
	s_delay_alu instid0(VALU_DEP_1) | instskip(SKIP_1) | instid1(VALU_DEP_1)
	v_cndmask_b32_e64 v40, 0x7ff80000, v40, s18
	v_cmp_nge_f64_e64 s18, -1.0, v[37:38]
	v_cndmask_b32_e64 v39, 0, v39, s18
	v_cmp_neq_f64_e64 s18, -1.0, v[37:38]
	s_delay_alu instid0(VALU_DEP_1) | instskip(NEXT) | instid1(VALU_DEP_1)
	v_cndmask_b32_e64 v40, 0xfff00000, v40, s18
	v_add_f64 v[69:70], v[33:34], v[39:40]
.LBB66_34:
	s_or_b32 exec_lo, exec_lo, s24
	v_max_f64 v[33:34], v[29:30], v[29:30]
	s_delay_alu instid0(VALU_DEP_2) | instskip(SKIP_2) | instid1(VALU_DEP_3)
	v_max_f64 v[37:38], v[69:70], v[69:70]
	v_cmp_u_f64_e64 s19, v[69:70], v[69:70]
	v_cmp_u_f64_e64 s18, v[29:30], v[29:30]
	v_min_f64 v[39:40], v[37:38], v[33:34]
	v_max_f64 v[37:38], v[37:38], v[33:34]
	s_delay_alu instid0(VALU_DEP_2) | instskip(NEXT) | instid1(VALU_DEP_3)
	v_cndmask_b32_e64 v39, v39, v69, s19
	v_cndmask_b32_e64 v40, v40, v70, s19
	s_delay_alu instid0(VALU_DEP_3) | instskip(NEXT) | instid1(VALU_DEP_4)
	v_cndmask_b32_e64 v38, v38, v70, s19
	v_cndmask_b32_e64 v37, v37, v69, s19
	s_delay_alu instid0(VALU_DEP_4) | instskip(NEXT) | instid1(VALU_DEP_4)
	v_cndmask_b32_e64 v39, v39, v29, s18
	v_cndmask_b32_e64 v40, v40, v30, s18
	s_delay_alu instid0(VALU_DEP_4) | instskip(NEXT) | instid1(VALU_DEP_4)
	v_cndmask_b32_e64 v38, v38, v30, s18
	v_cndmask_b32_e64 v37, v37, v29, s18
	s_delay_alu instid0(VALU_DEP_3) | instskip(NEXT) | instid1(VALU_DEP_2)
	v_cmp_class_f64_e64 s20, v[39:40], 0x1f8
	v_cmp_neq_f64_e64 s19, v[39:40], v[37:38]
	s_delay_alu instid0(VALU_DEP_1) | instskip(NEXT) | instid1(SALU_CYCLE_1)
	s_or_b32 s19, s19, s20
	s_and_saveexec_b32 s26, s19
	s_cbranch_execz .LBB66_36
; %bb.35:
	v_add_f64 v[39:40], v[39:40], -v[37:38]
	s_mov_b32 s20, 0x652b82fe
	s_mov_b32 s21, 0x3ff71547
	;; [unrolled: 1-line block ×10, first 2 shown]
	s_delay_alu instid0(VALU_DEP_1) | instskip(SKIP_3) | instid1(VALU_DEP_2)
	v_mul_f64 v[41:42], v[39:40], s[20:21]
	s_mov_b32 s20, 0xfca7ab0c
	s_mov_b32 s21, 0x3e928af3
	v_cmp_nlt_f64_e64 s19, 0x40900000, v[39:40]
	v_rndne_f64_e32 v[41:42], v[41:42]
	s_delay_alu instid0(VALU_DEP_1) | instskip(SKIP_2) | instid1(VALU_DEP_2)
	v_fma_f64 v[43:44], v[41:42], s[22:23], v[39:40]
	v_cvt_i32_f64_e32 v47, v[41:42]
	s_mov_b32 s23, 0x3fe62e42
	v_fma_f64 v[43:44], v[41:42], s[24:25], v[43:44]
	s_mov_b32 s25, 0x3c7abc9e
	s_delay_alu instid0(VALU_DEP_1) | instskip(SKIP_4) | instid1(VALU_DEP_1)
	v_fma_f64 v[45:46], v[43:44], s[28:29], s[20:21]
	s_mov_b32 s20, 0x623fde64
	s_mov_b32 s21, 0x3ec71dee
	;; [unrolled: 1-line block ×4, first 2 shown]
	v_fma_f64 v[45:46], v[43:44], v[45:46], s[20:21]
	s_mov_b32 s20, 0x7c89e6b0
	s_mov_b32 s21, 0x3efa0199
	s_delay_alu instid0(VALU_DEP_1) | instid1(SALU_CYCLE_1)
	v_fma_f64 v[45:46], v[43:44], v[45:46], s[20:21]
	s_mov_b32 s20, 0x14761f6e
	s_mov_b32 s21, 0x3f2a01a0
	s_delay_alu instid0(VALU_DEP_1) | instid1(SALU_CYCLE_1)
	;; [unrolled: 4-line block ×7, first 2 shown]
	v_fma_f64 v[45:46], v[43:44], v[45:46], s[20:21]
	v_cmp_ngt_f64_e64 s20, 0xc090cc00, v[39:40]
	s_mov_b32 s21, 0x3fe55555
	s_delay_alu instid0(VALU_DEP_2) | instskip(NEXT) | instid1(VALU_DEP_1)
	v_fma_f64 v[45:46], v[43:44], v[45:46], 1.0
	v_fma_f64 v[41:42], v[43:44], v[45:46], 1.0
	s_delay_alu instid0(VALU_DEP_1) | instskip(NEXT) | instid1(VALU_DEP_1)
	v_ldexp_f64 v[41:42], v[41:42], v47
	v_cndmask_b32_e64 v42, 0x7ff00000, v42, s19
	s_and_b32 s19, s20, s19
	s_delay_alu instid0(VALU_DEP_2) | instid1(SALU_CYCLE_1)
	v_cndmask_b32_e64 v39, 0, v41, s19
	s_delay_alu instid0(VALU_DEP_2) | instskip(SKIP_1) | instid1(VALU_DEP_1)
	v_cndmask_b32_e64 v40, 0, v42, s20
	s_mov_b32 s20, 0x55555555
	v_add_f64 v[41:42], v[39:40], 1.0
	s_delay_alu instid0(VALU_DEP_1) | instskip(SKIP_2) | instid1(VALU_DEP_3)
	v_frexp_mant_f64_e32 v[43:44], v[41:42]
	v_frexp_exp_i32_f64_e32 v47, v[41:42]
	v_add_f64 v[45:46], v[41:42], -1.0
	v_cmp_gt_f64_e64 s19, s[20:21], v[43:44]
	s_mov_b32 s20, 0x55555780
	s_delay_alu instid0(VALU_DEP_2) | instskip(SKIP_1) | instid1(VALU_DEP_3)
	v_add_f64 v[43:44], v[45:46], -v[41:42]
	v_add_f64 v[45:46], v[39:40], -v[45:46]
	v_subrev_co_ci_u32_e64 v69, s19, 0, v47, s19
	s_delay_alu instid0(VALU_DEP_3) | instskip(SKIP_1) | instid1(VALU_DEP_3)
	v_add_f64 v[43:44], v[43:44], 1.0
	v_cmp_eq_f64_e64 s19, 0x7ff00000, v[39:40]
	v_sub_nc_u32_e32 v49, 0, v69
	s_delay_alu instid0(VALU_DEP_1) | instskip(NEXT) | instid1(VALU_DEP_4)
	v_ldexp_f64 v[41:42], v[41:42], v49
	v_add_f64 v[43:44], v[45:46], v[43:44]
	s_delay_alu instid0(VALU_DEP_2) | instskip(SKIP_1) | instid1(VALU_DEP_3)
	v_add_f64 v[47:48], v[41:42], 1.0
	v_add_f64 v[53:54], v[41:42], -1.0
	v_ldexp_f64 v[43:44], v[43:44], v49
	s_delay_alu instid0(VALU_DEP_3) | instskip(NEXT) | instid1(VALU_DEP_3)
	v_add_f64 v[45:46], v[47:48], -1.0
	v_add_f64 v[55:56], v[53:54], 1.0
	s_delay_alu instid0(VALU_DEP_2) | instskip(NEXT) | instid1(VALU_DEP_2)
	v_add_f64 v[45:46], v[41:42], -v[45:46]
	v_add_f64 v[41:42], v[41:42], -v[55:56]
	s_delay_alu instid0(VALU_DEP_2) | instskip(NEXT) | instid1(VALU_DEP_2)
	v_add_f64 v[45:46], v[43:44], v[45:46]
	v_add_f64 v[41:42], v[43:44], v[41:42]
	s_delay_alu instid0(VALU_DEP_2) | instskip(NEXT) | instid1(VALU_DEP_2)
	v_add_f64 v[49:50], v[47:48], v[45:46]
	v_add_f64 v[55:56], v[53:54], v[41:42]
	s_delay_alu instid0(VALU_DEP_2) | instskip(SKIP_1) | instid1(VALU_DEP_2)
	v_rcp_f64_e32 v[51:52], v[49:50]
	v_add_f64 v[47:48], v[49:50], -v[47:48]
	v_add_f64 v[53:54], v[55:56], -v[53:54]
	s_delay_alu instid0(VALU_DEP_2) | instskip(SKIP_3) | instid1(VALU_DEP_2)
	v_add_f64 v[45:46], v[45:46], -v[47:48]
	s_waitcnt_depctr 0xfff
	v_fma_f64 v[57:58], -v[49:50], v[51:52], 1.0
	v_add_f64 v[41:42], v[41:42], -v[53:54]
	v_fma_f64 v[51:52], v[57:58], v[51:52], v[51:52]
	s_delay_alu instid0(VALU_DEP_1) | instskip(NEXT) | instid1(VALU_DEP_1)
	v_fma_f64 v[43:44], -v[49:50], v[51:52], 1.0
	v_fma_f64 v[43:44], v[43:44], v[51:52], v[51:52]
	s_delay_alu instid0(VALU_DEP_1) | instskip(NEXT) | instid1(VALU_DEP_1)
	v_mul_f64 v[51:52], v[55:56], v[43:44]
	v_mul_f64 v[57:58], v[49:50], v[51:52]
	s_delay_alu instid0(VALU_DEP_1) | instskip(NEXT) | instid1(VALU_DEP_1)
	v_fma_f64 v[47:48], v[51:52], v[49:50], -v[57:58]
	v_fma_f64 v[47:48], v[51:52], v[45:46], v[47:48]
	s_delay_alu instid0(VALU_DEP_1) | instskip(NEXT) | instid1(VALU_DEP_1)
	v_add_f64 v[59:60], v[57:58], v[47:48]
	v_add_f64 v[61:62], v[55:56], -v[59:60]
	v_add_f64 v[53:54], v[59:60], -v[57:58]
	s_delay_alu instid0(VALU_DEP_2) | instskip(NEXT) | instid1(VALU_DEP_2)
	v_add_f64 v[55:56], v[55:56], -v[61:62]
	v_add_f64 v[47:48], v[53:54], -v[47:48]
	s_delay_alu instid0(VALU_DEP_2) | instskip(NEXT) | instid1(VALU_DEP_1)
	v_add_f64 v[55:56], v[55:56], -v[59:60]
	v_add_f64 v[41:42], v[41:42], v[55:56]
	s_delay_alu instid0(VALU_DEP_1) | instskip(NEXT) | instid1(VALU_DEP_1)
	v_add_f64 v[41:42], v[47:48], v[41:42]
	v_add_f64 v[47:48], v[61:62], v[41:42]
	s_delay_alu instid0(VALU_DEP_1) | instskip(SKIP_1) | instid1(VALU_DEP_2)
	v_mul_f64 v[53:54], v[43:44], v[47:48]
	v_add_f64 v[59:60], v[61:62], -v[47:48]
	v_mul_f64 v[55:56], v[49:50], v[53:54]
	s_delay_alu instid0(VALU_DEP_2) | instskip(NEXT) | instid1(VALU_DEP_2)
	v_add_f64 v[41:42], v[41:42], v[59:60]
	v_fma_f64 v[49:50], v[53:54], v[49:50], -v[55:56]
	s_delay_alu instid0(VALU_DEP_1) | instskip(NEXT) | instid1(VALU_DEP_1)
	v_fma_f64 v[45:46], v[53:54], v[45:46], v[49:50]
	v_add_f64 v[49:50], v[55:56], v[45:46]
	s_delay_alu instid0(VALU_DEP_1) | instskip(SKIP_1) | instid1(VALU_DEP_2)
	v_add_f64 v[57:58], v[47:48], -v[49:50]
	v_add_f64 v[55:56], v[49:50], -v[55:56]
	;; [unrolled: 1-line block ×3, first 2 shown]
	s_delay_alu instid0(VALU_DEP_2) | instskip(NEXT) | instid1(VALU_DEP_2)
	v_add_f64 v[45:46], v[55:56], -v[45:46]
	v_add_f64 v[47:48], v[47:48], -v[49:50]
	s_delay_alu instid0(VALU_DEP_1) | instskip(SKIP_1) | instid1(VALU_DEP_2)
	v_add_f64 v[41:42], v[41:42], v[47:48]
	v_add_f64 v[47:48], v[51:52], v[53:54]
	;; [unrolled: 1-line block ×3, first 2 shown]
	s_delay_alu instid0(VALU_DEP_2) | instskip(NEXT) | instid1(VALU_DEP_2)
	v_add_f64 v[45:46], v[47:48], -v[51:52]
	v_add_f64 v[41:42], v[57:58], v[41:42]
	s_delay_alu instid0(VALU_DEP_2) | instskip(NEXT) | instid1(VALU_DEP_2)
	v_add_f64 v[45:46], v[53:54], -v[45:46]
	v_mul_f64 v[41:42], v[43:44], v[41:42]
	s_delay_alu instid0(VALU_DEP_1) | instskip(NEXT) | instid1(VALU_DEP_1)
	v_add_f64 v[41:42], v[45:46], v[41:42]
	v_add_f64 v[43:44], v[47:48], v[41:42]
	s_delay_alu instid0(VALU_DEP_1) | instskip(NEXT) | instid1(VALU_DEP_1)
	v_mul_f64 v[45:46], v[43:44], v[43:44]
	v_fma_f64 v[49:50], v[45:46], s[30:31], s[28:29]
	s_mov_b32 s28, 0xd7f4df2e
	s_mov_b32 s29, 0x3fc7474d
	v_mul_f64 v[51:52], v[43:44], v[45:46]
	s_delay_alu instid0(VALU_DEP_2)
	v_fma_f64 v[49:50], v[45:46], v[49:50], s[28:29]
	s_mov_b32 s28, 0x16291751
	s_mov_b32 s29, 0x3fcc71c0
	s_delay_alu instid0(VALU_DEP_1) | instid1(SALU_CYCLE_1)
	v_fma_f64 v[49:50], v[45:46], v[49:50], s[28:29]
	s_mov_b32 s28, 0x9b27acf1
	s_mov_b32 s29, 0x3fd24924
	s_delay_alu instid0(VALU_DEP_1) | instid1(SALU_CYCLE_1)
	;; [unrolled: 4-line block ×3, first 2 shown]
	v_fma_f64 v[49:50], v[45:46], v[49:50], s[28:29]
	s_delay_alu instid0(VALU_DEP_1) | instskip(SKIP_2) | instid1(VALU_DEP_3)
	v_fma_f64 v[45:46], v[45:46], v[49:50], s[20:21]
	v_ldexp_f64 v[49:50], v[43:44], 1
	v_add_f64 v[43:44], v[43:44], -v[47:48]
	v_mul_f64 v[45:46], v[51:52], v[45:46]
	v_cvt_f64_i32_e32 v[51:52], v69
	s_delay_alu instid0(VALU_DEP_3) | instskip(NEXT) | instid1(VALU_DEP_3)
	v_add_f64 v[41:42], v[41:42], -v[43:44]
	v_add_f64 v[47:48], v[49:50], v[45:46]
	s_delay_alu instid0(VALU_DEP_3) | instskip(NEXT) | instid1(VALU_DEP_3)
	v_mul_f64 v[53:54], v[51:52], s[22:23]
	v_ldexp_f64 v[41:42], v[41:42], 1
	s_delay_alu instid0(VALU_DEP_3) | instskip(NEXT) | instid1(VALU_DEP_3)
	v_add_f64 v[43:44], v[47:48], -v[49:50]
	v_fma_f64 v[49:50], v[51:52], s[22:23], -v[53:54]
	s_delay_alu instid0(VALU_DEP_2) | instskip(NEXT) | instid1(VALU_DEP_2)
	v_add_f64 v[43:44], v[45:46], -v[43:44]
	v_fma_f64 v[45:46], v[51:52], s[24:25], v[49:50]
	s_delay_alu instid0(VALU_DEP_2) | instskip(NEXT) | instid1(VALU_DEP_2)
	v_add_f64 v[41:42], v[41:42], v[43:44]
	v_add_f64 v[43:44], v[53:54], v[45:46]
	s_delay_alu instid0(VALU_DEP_2) | instskip(NEXT) | instid1(VALU_DEP_2)
	v_add_f64 v[49:50], v[47:48], v[41:42]
	v_add_f64 v[53:54], v[43:44], -v[53:54]
	s_delay_alu instid0(VALU_DEP_2) | instskip(SKIP_1) | instid1(VALU_DEP_3)
	v_add_f64 v[51:52], v[43:44], v[49:50]
	v_add_f64 v[47:48], v[49:50], -v[47:48]
	v_add_f64 v[45:46], v[45:46], -v[53:54]
	s_delay_alu instid0(VALU_DEP_3) | instskip(NEXT) | instid1(VALU_DEP_3)
	v_add_f64 v[55:56], v[51:52], -v[43:44]
	v_add_f64 v[41:42], v[41:42], -v[47:48]
	s_delay_alu instid0(VALU_DEP_2) | instskip(SKIP_1) | instid1(VALU_DEP_3)
	v_add_f64 v[57:58], v[51:52], -v[55:56]
	v_add_f64 v[47:48], v[49:50], -v[55:56]
	v_add_f64 v[49:50], v[45:46], v[41:42]
	s_delay_alu instid0(VALU_DEP_3) | instskip(NEXT) | instid1(VALU_DEP_1)
	v_add_f64 v[43:44], v[43:44], -v[57:58]
	v_add_f64 v[43:44], v[47:48], v[43:44]
	s_delay_alu instid0(VALU_DEP_3) | instskip(NEXT) | instid1(VALU_DEP_2)
	v_add_f64 v[47:48], v[49:50], -v[45:46]
	v_add_f64 v[43:44], v[49:50], v[43:44]
	s_delay_alu instid0(VALU_DEP_2) | instskip(SKIP_1) | instid1(VALU_DEP_3)
	v_add_f64 v[49:50], v[49:50], -v[47:48]
	v_add_f64 v[41:42], v[41:42], -v[47:48]
	v_add_f64 v[53:54], v[51:52], v[43:44]
	s_delay_alu instid0(VALU_DEP_3) | instskip(NEXT) | instid1(VALU_DEP_2)
	v_add_f64 v[45:46], v[45:46], -v[49:50]
	v_add_f64 v[47:48], v[53:54], -v[51:52]
	s_delay_alu instid0(VALU_DEP_2) | instskip(NEXT) | instid1(VALU_DEP_2)
	v_add_f64 v[41:42], v[41:42], v[45:46]
	v_add_f64 v[43:44], v[43:44], -v[47:48]
	s_delay_alu instid0(VALU_DEP_1) | instskip(NEXT) | instid1(VALU_DEP_1)
	v_add_f64 v[41:42], v[41:42], v[43:44]
	v_add_f64 v[41:42], v[53:54], v[41:42]
	s_delay_alu instid0(VALU_DEP_1) | instskip(NEXT) | instid1(VALU_DEP_2)
	v_cndmask_b32_e64 v41, v41, v39, s19
	v_cndmask_b32_e64 v42, v42, v40, s19
	v_cmp_ngt_f64_e64 s19, -1.0, v[39:40]
	s_delay_alu instid0(VALU_DEP_1) | instskip(SKIP_1) | instid1(VALU_DEP_1)
	v_cndmask_b32_e64 v42, 0x7ff80000, v42, s19
	v_cmp_nge_f64_e64 s19, -1.0, v[39:40]
	v_cndmask_b32_e64 v41, 0, v41, s19
	v_cmp_neq_f64_e64 s19, -1.0, v[39:40]
	s_delay_alu instid0(VALU_DEP_1) | instskip(NEXT) | instid1(VALU_DEP_1)
	v_cndmask_b32_e64 v42, 0xfff00000, v42, s19
	v_add_f64 v[69:70], v[37:38], v[41:42]
.LBB66_36:
	s_or_b32 exec_lo, exec_lo, s26
	v_max_f64 v[37:38], v[31:32], v[31:32]
	s_delay_alu instid0(VALU_DEP_2) | instskip(SKIP_2) | instid1(VALU_DEP_3)
	v_max_f64 v[39:40], v[69:70], v[69:70]
	v_cmp_u_f64_e64 s20, v[69:70], v[69:70]
	v_cmp_u_f64_e64 s19, v[31:32], v[31:32]
	v_min_f64 v[41:42], v[39:40], v[37:38]
	v_max_f64 v[39:40], v[39:40], v[37:38]
	s_delay_alu instid0(VALU_DEP_2) | instskip(NEXT) | instid1(VALU_DEP_3)
	v_cndmask_b32_e64 v41, v41, v69, s20
	v_cndmask_b32_e64 v42, v42, v70, s20
	s_delay_alu instid0(VALU_DEP_3) | instskip(NEXT) | instid1(VALU_DEP_4)
	v_cndmask_b32_e64 v40, v40, v70, s20
	v_cndmask_b32_e64 v39, v39, v69, s20
	s_delay_alu instid0(VALU_DEP_4) | instskip(NEXT) | instid1(VALU_DEP_4)
	v_cndmask_b32_e64 v41, v41, v31, s19
	v_cndmask_b32_e64 v42, v42, v32, s19
	s_delay_alu instid0(VALU_DEP_4) | instskip(NEXT) | instid1(VALU_DEP_4)
	v_cndmask_b32_e64 v40, v40, v32, s19
	v_cndmask_b32_e64 v39, v39, v31, s19
	s_delay_alu instid0(VALU_DEP_3) | instskip(NEXT) | instid1(VALU_DEP_2)
	v_cmp_class_f64_e64 s21, v[41:42], 0x1f8
	v_cmp_neq_f64_e64 s20, v[41:42], v[39:40]
	s_delay_alu instid0(VALU_DEP_1) | instskip(NEXT) | instid1(SALU_CYCLE_1)
	s_or_b32 s20, s20, s21
	s_and_saveexec_b32 s26, s20
	s_cbranch_execz .LBB66_38
; %bb.37:
	v_add_f64 v[41:42], v[41:42], -v[39:40]
	s_mov_b32 s20, 0x652b82fe
	s_mov_b32 s21, 0x3ff71547
	;; [unrolled: 1-line block ×10, first 2 shown]
	s_delay_alu instid0(VALU_DEP_1) | instskip(SKIP_2) | instid1(VALU_DEP_1)
	v_mul_f64 v[43:44], v[41:42], s[20:21]
	s_mov_b32 s20, 0xfca7ab0c
	s_mov_b32 s21, 0x3e928af3
	v_rndne_f64_e32 v[43:44], v[43:44]
	s_delay_alu instid0(VALU_DEP_1) | instskip(SKIP_2) | instid1(VALU_DEP_2)
	v_fma_f64 v[45:46], v[43:44], s[22:23], v[41:42]
	v_cvt_i32_f64_e32 v49, v[43:44]
	s_mov_b32 s23, 0x3fe62e42
	v_fma_f64 v[45:46], v[43:44], s[24:25], v[45:46]
	s_mov_b32 s25, 0x3c7abc9e
	s_delay_alu instid0(VALU_DEP_1) | instskip(SKIP_4) | instid1(VALU_DEP_1)
	v_fma_f64 v[47:48], v[45:46], s[28:29], s[20:21]
	s_mov_b32 s20, 0x623fde64
	s_mov_b32 s21, 0x3ec71dee
	;; [unrolled: 1-line block ×4, first 2 shown]
	v_fma_f64 v[47:48], v[45:46], v[47:48], s[20:21]
	s_mov_b32 s20, 0x7c89e6b0
	s_mov_b32 s21, 0x3efa0199
	s_delay_alu instid0(VALU_DEP_1) | instid1(SALU_CYCLE_1)
	v_fma_f64 v[47:48], v[45:46], v[47:48], s[20:21]
	s_mov_b32 s20, 0x14761f6e
	s_mov_b32 s21, 0x3f2a01a0
	s_delay_alu instid0(VALU_DEP_1) | instid1(SALU_CYCLE_1)
	;; [unrolled: 4-line block ×7, first 2 shown]
	v_fma_f64 v[47:48], v[45:46], v[47:48], s[20:21]
	v_cmp_nlt_f64_e64 s20, 0x40900000, v[41:42]
	v_cmp_ngt_f64_e64 s21, 0xc090cc00, v[41:42]
	s_delay_alu instid0(VALU_DEP_3) | instskip(NEXT) | instid1(VALU_DEP_1)
	v_fma_f64 v[47:48], v[45:46], v[47:48], 1.0
	v_fma_f64 v[43:44], v[45:46], v[47:48], 1.0
	s_delay_alu instid0(VALU_DEP_1) | instskip(NEXT) | instid1(VALU_DEP_1)
	v_ldexp_f64 v[43:44], v[43:44], v49
	v_cndmask_b32_e64 v44, 0x7ff00000, v44, s20
	s_and_b32 s20, s21, s20
	s_delay_alu instid0(VALU_DEP_2) | instid1(SALU_CYCLE_1)
	v_cndmask_b32_e64 v41, 0, v43, s20
	s_mov_b32 s20, 0x55555555
	s_delay_alu instid0(VALU_DEP_2) | instskip(SKIP_1) | instid1(VALU_DEP_1)
	v_cndmask_b32_e64 v42, 0, v44, s21
	s_mov_b32 s21, 0x3fe55555
	v_add_f64 v[43:44], v[41:42], 1.0
	s_delay_alu instid0(VALU_DEP_1) | instskip(SKIP_2) | instid1(VALU_DEP_3)
	v_frexp_mant_f64_e32 v[45:46], v[43:44]
	v_frexp_exp_i32_f64_e32 v49, v[43:44]
	v_add_f64 v[47:48], v[43:44], -1.0
	v_cmp_gt_f64_e64 s20, s[20:21], v[45:46]
	s_delay_alu instid0(VALU_DEP_2) | instskip(SKIP_1) | instid1(VALU_DEP_3)
	v_add_f64 v[45:46], v[47:48], -v[43:44]
	v_add_f64 v[47:48], v[41:42], -v[47:48]
	v_subrev_co_ci_u32_e64 v71, s20, 0, v49, s20
	s_delay_alu instid0(VALU_DEP_3) | instskip(SKIP_1) | instid1(VALU_DEP_2)
	v_add_f64 v[45:46], v[45:46], 1.0
	s_mov_b32 s20, 0x55555780
	v_sub_nc_u32_e32 v51, 0, v71
	s_delay_alu instid0(VALU_DEP_1) | instskip(NEXT) | instid1(VALU_DEP_3)
	v_ldexp_f64 v[43:44], v[43:44], v51
	v_add_f64 v[45:46], v[47:48], v[45:46]
	s_delay_alu instid0(VALU_DEP_2) | instskip(SKIP_1) | instid1(VALU_DEP_3)
	v_add_f64 v[49:50], v[43:44], 1.0
	v_add_f64 v[55:56], v[43:44], -1.0
	v_ldexp_f64 v[45:46], v[45:46], v51
	s_delay_alu instid0(VALU_DEP_3) | instskip(NEXT) | instid1(VALU_DEP_3)
	v_add_f64 v[47:48], v[49:50], -1.0
	v_add_f64 v[57:58], v[55:56], 1.0
	s_delay_alu instid0(VALU_DEP_2) | instskip(NEXT) | instid1(VALU_DEP_2)
	v_add_f64 v[47:48], v[43:44], -v[47:48]
	v_add_f64 v[43:44], v[43:44], -v[57:58]
	s_delay_alu instid0(VALU_DEP_2) | instskip(NEXT) | instid1(VALU_DEP_2)
	v_add_f64 v[47:48], v[45:46], v[47:48]
	v_add_f64 v[43:44], v[45:46], v[43:44]
	s_delay_alu instid0(VALU_DEP_2) | instskip(NEXT) | instid1(VALU_DEP_2)
	v_add_f64 v[51:52], v[49:50], v[47:48]
	v_add_f64 v[57:58], v[55:56], v[43:44]
	s_delay_alu instid0(VALU_DEP_2) | instskip(SKIP_1) | instid1(VALU_DEP_2)
	v_rcp_f64_e32 v[53:54], v[51:52]
	v_add_f64 v[49:50], v[51:52], -v[49:50]
	v_add_f64 v[55:56], v[57:58], -v[55:56]
	s_delay_alu instid0(VALU_DEP_2) | instskip(SKIP_3) | instid1(VALU_DEP_2)
	v_add_f64 v[47:48], v[47:48], -v[49:50]
	s_waitcnt_depctr 0xfff
	v_fma_f64 v[59:60], -v[51:52], v[53:54], 1.0
	v_add_f64 v[43:44], v[43:44], -v[55:56]
	v_fma_f64 v[53:54], v[59:60], v[53:54], v[53:54]
	s_delay_alu instid0(VALU_DEP_1) | instskip(NEXT) | instid1(VALU_DEP_1)
	v_fma_f64 v[45:46], -v[51:52], v[53:54], 1.0
	v_fma_f64 v[45:46], v[45:46], v[53:54], v[53:54]
	s_delay_alu instid0(VALU_DEP_1) | instskip(NEXT) | instid1(VALU_DEP_1)
	v_mul_f64 v[53:54], v[57:58], v[45:46]
	v_mul_f64 v[59:60], v[51:52], v[53:54]
	s_delay_alu instid0(VALU_DEP_1) | instskip(NEXT) | instid1(VALU_DEP_1)
	v_fma_f64 v[49:50], v[53:54], v[51:52], -v[59:60]
	v_fma_f64 v[49:50], v[53:54], v[47:48], v[49:50]
	s_delay_alu instid0(VALU_DEP_1) | instskip(NEXT) | instid1(VALU_DEP_1)
	v_add_f64 v[61:62], v[59:60], v[49:50]
	v_add_f64 v[69:70], v[57:58], -v[61:62]
	v_add_f64 v[55:56], v[61:62], -v[59:60]
	s_delay_alu instid0(VALU_DEP_2) | instskip(NEXT) | instid1(VALU_DEP_2)
	v_add_f64 v[57:58], v[57:58], -v[69:70]
	v_add_f64 v[49:50], v[55:56], -v[49:50]
	s_delay_alu instid0(VALU_DEP_2) | instskip(NEXT) | instid1(VALU_DEP_1)
	v_add_f64 v[57:58], v[57:58], -v[61:62]
	v_add_f64 v[43:44], v[43:44], v[57:58]
	s_delay_alu instid0(VALU_DEP_1) | instskip(NEXT) | instid1(VALU_DEP_1)
	v_add_f64 v[43:44], v[49:50], v[43:44]
	v_add_f64 v[49:50], v[69:70], v[43:44]
	s_delay_alu instid0(VALU_DEP_1) | instskip(SKIP_1) | instid1(VALU_DEP_2)
	v_mul_f64 v[55:56], v[45:46], v[49:50]
	v_add_f64 v[61:62], v[69:70], -v[49:50]
	v_mul_f64 v[57:58], v[51:52], v[55:56]
	s_delay_alu instid0(VALU_DEP_2) | instskip(NEXT) | instid1(VALU_DEP_2)
	v_add_f64 v[43:44], v[43:44], v[61:62]
	v_fma_f64 v[51:52], v[55:56], v[51:52], -v[57:58]
	s_delay_alu instid0(VALU_DEP_1) | instskip(NEXT) | instid1(VALU_DEP_1)
	v_fma_f64 v[47:48], v[55:56], v[47:48], v[51:52]
	v_add_f64 v[51:52], v[57:58], v[47:48]
	s_delay_alu instid0(VALU_DEP_1) | instskip(SKIP_1) | instid1(VALU_DEP_2)
	v_add_f64 v[59:60], v[49:50], -v[51:52]
	v_add_f64 v[57:58], v[51:52], -v[57:58]
	;; [unrolled: 1-line block ×3, first 2 shown]
	s_delay_alu instid0(VALU_DEP_2) | instskip(NEXT) | instid1(VALU_DEP_2)
	v_add_f64 v[47:48], v[57:58], -v[47:48]
	v_add_f64 v[49:50], v[49:50], -v[51:52]
	s_delay_alu instid0(VALU_DEP_1) | instskip(SKIP_1) | instid1(VALU_DEP_2)
	v_add_f64 v[43:44], v[43:44], v[49:50]
	v_add_f64 v[49:50], v[53:54], v[55:56]
	v_add_f64 v[43:44], v[47:48], v[43:44]
	s_delay_alu instid0(VALU_DEP_2) | instskip(NEXT) | instid1(VALU_DEP_2)
	v_add_f64 v[47:48], v[49:50], -v[53:54]
	v_add_f64 v[43:44], v[59:60], v[43:44]
	s_delay_alu instid0(VALU_DEP_2) | instskip(NEXT) | instid1(VALU_DEP_2)
	v_add_f64 v[47:48], v[55:56], -v[47:48]
	v_mul_f64 v[43:44], v[45:46], v[43:44]
	s_delay_alu instid0(VALU_DEP_1) | instskip(NEXT) | instid1(VALU_DEP_1)
	v_add_f64 v[43:44], v[47:48], v[43:44]
	v_add_f64 v[45:46], v[49:50], v[43:44]
	s_delay_alu instid0(VALU_DEP_1) | instskip(NEXT) | instid1(VALU_DEP_1)
	v_mul_f64 v[47:48], v[45:46], v[45:46]
	v_fma_f64 v[51:52], v[47:48], s[30:31], s[28:29]
	s_mov_b32 s28, 0xd7f4df2e
	s_mov_b32 s29, 0x3fc7474d
	v_mul_f64 v[53:54], v[45:46], v[47:48]
	s_delay_alu instid0(VALU_DEP_2)
	v_fma_f64 v[51:52], v[47:48], v[51:52], s[28:29]
	s_mov_b32 s28, 0x16291751
	s_mov_b32 s29, 0x3fcc71c0
	s_delay_alu instid0(VALU_DEP_1) | instid1(SALU_CYCLE_1)
	v_fma_f64 v[51:52], v[47:48], v[51:52], s[28:29]
	s_mov_b32 s28, 0x9b27acf1
	s_mov_b32 s29, 0x3fd24924
	s_delay_alu instid0(VALU_DEP_1) | instid1(SALU_CYCLE_1)
	;; [unrolled: 4-line block ×3, first 2 shown]
	v_fma_f64 v[51:52], v[47:48], v[51:52], s[28:29]
	s_delay_alu instid0(VALU_DEP_1) | instskip(SKIP_3) | instid1(VALU_DEP_4)
	v_fma_f64 v[47:48], v[47:48], v[51:52], s[20:21]
	v_ldexp_f64 v[51:52], v[45:46], 1
	v_add_f64 v[45:46], v[45:46], -v[49:50]
	v_cmp_eq_f64_e64 s20, 0x7ff00000, v[41:42]
	v_mul_f64 v[47:48], v[53:54], v[47:48]
	v_cvt_f64_i32_e32 v[53:54], v71
	s_delay_alu instid0(VALU_DEP_4) | instskip(NEXT) | instid1(VALU_DEP_3)
	v_add_f64 v[43:44], v[43:44], -v[45:46]
	v_add_f64 v[49:50], v[51:52], v[47:48]
	s_delay_alu instid0(VALU_DEP_3) | instskip(NEXT) | instid1(VALU_DEP_3)
	v_mul_f64 v[55:56], v[53:54], s[22:23]
	v_ldexp_f64 v[43:44], v[43:44], 1
	s_delay_alu instid0(VALU_DEP_3) | instskip(NEXT) | instid1(VALU_DEP_3)
	v_add_f64 v[45:46], v[49:50], -v[51:52]
	v_fma_f64 v[51:52], v[53:54], s[22:23], -v[55:56]
	s_delay_alu instid0(VALU_DEP_2) | instskip(NEXT) | instid1(VALU_DEP_2)
	v_add_f64 v[45:46], v[47:48], -v[45:46]
	v_fma_f64 v[47:48], v[53:54], s[24:25], v[51:52]
	s_delay_alu instid0(VALU_DEP_2) | instskip(NEXT) | instid1(VALU_DEP_2)
	v_add_f64 v[43:44], v[43:44], v[45:46]
	v_add_f64 v[45:46], v[55:56], v[47:48]
	s_delay_alu instid0(VALU_DEP_2) | instskip(NEXT) | instid1(VALU_DEP_2)
	v_add_f64 v[51:52], v[49:50], v[43:44]
	v_add_f64 v[55:56], v[45:46], -v[55:56]
	s_delay_alu instid0(VALU_DEP_2) | instskip(SKIP_1) | instid1(VALU_DEP_3)
	v_add_f64 v[53:54], v[45:46], v[51:52]
	v_add_f64 v[49:50], v[51:52], -v[49:50]
	v_add_f64 v[47:48], v[47:48], -v[55:56]
	s_delay_alu instid0(VALU_DEP_3) | instskip(NEXT) | instid1(VALU_DEP_3)
	v_add_f64 v[57:58], v[53:54], -v[45:46]
	v_add_f64 v[43:44], v[43:44], -v[49:50]
	s_delay_alu instid0(VALU_DEP_2) | instskip(SKIP_1) | instid1(VALU_DEP_3)
	v_add_f64 v[59:60], v[53:54], -v[57:58]
	v_add_f64 v[49:50], v[51:52], -v[57:58]
	v_add_f64 v[51:52], v[47:48], v[43:44]
	s_delay_alu instid0(VALU_DEP_3) | instskip(NEXT) | instid1(VALU_DEP_1)
	v_add_f64 v[45:46], v[45:46], -v[59:60]
	v_add_f64 v[45:46], v[49:50], v[45:46]
	s_delay_alu instid0(VALU_DEP_3) | instskip(NEXT) | instid1(VALU_DEP_2)
	v_add_f64 v[49:50], v[51:52], -v[47:48]
	v_add_f64 v[45:46], v[51:52], v[45:46]
	s_delay_alu instid0(VALU_DEP_2) | instskip(SKIP_1) | instid1(VALU_DEP_3)
	v_add_f64 v[51:52], v[51:52], -v[49:50]
	v_add_f64 v[43:44], v[43:44], -v[49:50]
	v_add_f64 v[55:56], v[53:54], v[45:46]
	s_delay_alu instid0(VALU_DEP_3) | instskip(NEXT) | instid1(VALU_DEP_2)
	v_add_f64 v[47:48], v[47:48], -v[51:52]
	v_add_f64 v[49:50], v[55:56], -v[53:54]
	s_delay_alu instid0(VALU_DEP_2) | instskip(NEXT) | instid1(VALU_DEP_2)
	v_add_f64 v[43:44], v[43:44], v[47:48]
	v_add_f64 v[45:46], v[45:46], -v[49:50]
	s_delay_alu instid0(VALU_DEP_1) | instskip(NEXT) | instid1(VALU_DEP_1)
	v_add_f64 v[43:44], v[43:44], v[45:46]
	v_add_f64 v[43:44], v[55:56], v[43:44]
	s_delay_alu instid0(VALU_DEP_1) | instskip(NEXT) | instid1(VALU_DEP_2)
	v_cndmask_b32_e64 v43, v43, v41, s20
	v_cndmask_b32_e64 v44, v44, v42, s20
	v_cmp_ngt_f64_e64 s20, -1.0, v[41:42]
	s_delay_alu instid0(VALU_DEP_1) | instskip(SKIP_1) | instid1(VALU_DEP_1)
	v_cndmask_b32_e64 v44, 0x7ff80000, v44, s20
	v_cmp_nge_f64_e64 s20, -1.0, v[41:42]
	v_cndmask_b32_e64 v43, 0, v43, s20
	v_cmp_neq_f64_e64 s20, -1.0, v[41:42]
	s_delay_alu instid0(VALU_DEP_1) | instskip(NEXT) | instid1(VALU_DEP_1)
	v_cndmask_b32_e64 v44, 0xfff00000, v44, s20
	v_add_f64 v[69:70], v[39:40], v[43:44]
.LBB66_38:
	s_or_b32 exec_lo, exec_lo, s26
	v_max_f64 v[39:40], v[25:26], v[25:26]
	s_delay_alu instid0(VALU_DEP_2) | instskip(SKIP_2) | instid1(VALU_DEP_3)
	v_max_f64 v[41:42], v[69:70], v[69:70]
	v_cmp_u_f64_e64 s21, v[69:70], v[69:70]
	v_cmp_u_f64_e64 s20, v[25:26], v[25:26]
	v_min_f64 v[43:44], v[41:42], v[39:40]
	v_max_f64 v[41:42], v[41:42], v[39:40]
	s_delay_alu instid0(VALU_DEP_2) | instskip(NEXT) | instid1(VALU_DEP_3)
	v_cndmask_b32_e64 v43, v43, v69, s21
	v_cndmask_b32_e64 v44, v44, v70, s21
	s_delay_alu instid0(VALU_DEP_3) | instskip(NEXT) | instid1(VALU_DEP_4)
	v_cndmask_b32_e64 v42, v42, v70, s21
	v_cndmask_b32_e64 v41, v41, v69, s21
	s_delay_alu instid0(VALU_DEP_4) | instskip(NEXT) | instid1(VALU_DEP_4)
	v_cndmask_b32_e64 v43, v43, v25, s20
	v_cndmask_b32_e64 v44, v44, v26, s20
	s_delay_alu instid0(VALU_DEP_4) | instskip(NEXT) | instid1(VALU_DEP_4)
	v_cndmask_b32_e64 v42, v42, v26, s20
	v_cndmask_b32_e64 v41, v41, v25, s20
	s_delay_alu instid0(VALU_DEP_3) | instskip(NEXT) | instid1(VALU_DEP_2)
	v_cmp_class_f64_e64 s22, v[43:44], 0x1f8
	v_cmp_neq_f64_e64 s21, v[43:44], v[41:42]
	s_delay_alu instid0(VALU_DEP_1) | instskip(NEXT) | instid1(SALU_CYCLE_1)
	s_or_b32 s21, s21, s22
	s_and_saveexec_b32 s28, s21
	s_cbranch_execz .LBB66_40
; %bb.39:
	v_add_f64 v[43:44], v[43:44], -v[41:42]
	s_mov_b32 s22, 0x652b82fe
	s_mov_b32 s23, 0x3ff71547
	;; [unrolled: 1-line block ×10, first 2 shown]
	s_delay_alu instid0(VALU_DEP_1) | instskip(SKIP_3) | instid1(VALU_DEP_2)
	v_mul_f64 v[45:46], v[43:44], s[22:23]
	s_mov_b32 s22, 0xfca7ab0c
	s_mov_b32 s23, 0x3e928af3
	v_cmp_nlt_f64_e64 s21, 0x40900000, v[43:44]
	v_rndne_f64_e32 v[45:46], v[45:46]
	s_delay_alu instid0(VALU_DEP_1) | instskip(SKIP_2) | instid1(VALU_DEP_2)
	v_fma_f64 v[47:48], v[45:46], s[24:25], v[43:44]
	v_cvt_i32_f64_e32 v51, v[45:46]
	s_mov_b32 s25, 0x3fe62e42
	v_fma_f64 v[47:48], v[45:46], s[26:27], v[47:48]
	s_mov_b32 s27, 0x3c7abc9e
	s_delay_alu instid0(VALU_DEP_1) | instskip(SKIP_4) | instid1(VALU_DEP_1)
	v_fma_f64 v[49:50], v[47:48], s[30:31], s[22:23]
	s_mov_b32 s22, 0x623fde64
	s_mov_b32 s23, 0x3ec71dee
	;; [unrolled: 1-line block ×4, first 2 shown]
	v_fma_f64 v[49:50], v[47:48], v[49:50], s[22:23]
	s_mov_b32 s22, 0x7c89e6b0
	s_mov_b32 s23, 0x3efa0199
	s_delay_alu instid0(VALU_DEP_1) | instid1(SALU_CYCLE_1)
	v_fma_f64 v[49:50], v[47:48], v[49:50], s[22:23]
	s_mov_b32 s22, 0x14761f6e
	s_mov_b32 s23, 0x3f2a01a0
	s_delay_alu instid0(VALU_DEP_1) | instid1(SALU_CYCLE_1)
	;; [unrolled: 4-line block ×7, first 2 shown]
	v_fma_f64 v[49:50], v[47:48], v[49:50], s[22:23]
	v_cmp_ngt_f64_e64 s22, 0xc090cc00, v[43:44]
	s_mov_b32 s23, 0x3fe55555
	s_delay_alu instid0(VALU_DEP_2) | instskip(NEXT) | instid1(VALU_DEP_1)
	v_fma_f64 v[49:50], v[47:48], v[49:50], 1.0
	v_fma_f64 v[45:46], v[47:48], v[49:50], 1.0
	s_delay_alu instid0(VALU_DEP_1) | instskip(NEXT) | instid1(VALU_DEP_1)
	v_ldexp_f64 v[45:46], v[45:46], v51
	v_cndmask_b32_e64 v46, 0x7ff00000, v46, s21
	s_and_b32 s21, s22, s21
	s_delay_alu instid0(VALU_DEP_2) | instid1(SALU_CYCLE_1)
	v_cndmask_b32_e64 v43, 0, v45, s21
	s_delay_alu instid0(VALU_DEP_2) | instskip(SKIP_1) | instid1(VALU_DEP_1)
	v_cndmask_b32_e64 v44, 0, v46, s22
	s_mov_b32 s22, 0x55555555
	v_add_f64 v[45:46], v[43:44], 1.0
	s_delay_alu instid0(VALU_DEP_1) | instskip(SKIP_2) | instid1(VALU_DEP_3)
	v_frexp_mant_f64_e32 v[47:48], v[45:46]
	v_frexp_exp_i32_f64_e32 v51, v[45:46]
	v_add_f64 v[49:50], v[45:46], -1.0
	v_cmp_gt_f64_e64 s21, s[22:23], v[47:48]
	s_mov_b32 s22, 0x55555780
	s_delay_alu instid0(VALU_DEP_2) | instskip(SKIP_1) | instid1(VALU_DEP_3)
	v_add_f64 v[47:48], v[49:50], -v[45:46]
	v_add_f64 v[49:50], v[43:44], -v[49:50]
	v_subrev_co_ci_u32_e64 v73, s21, 0, v51, s21
	s_delay_alu instid0(VALU_DEP_3) | instskip(SKIP_1) | instid1(VALU_DEP_3)
	v_add_f64 v[47:48], v[47:48], 1.0
	v_cmp_eq_f64_e64 s21, 0x7ff00000, v[43:44]
	v_sub_nc_u32_e32 v53, 0, v73
	s_delay_alu instid0(VALU_DEP_1) | instskip(NEXT) | instid1(VALU_DEP_4)
	v_ldexp_f64 v[45:46], v[45:46], v53
	v_add_f64 v[47:48], v[49:50], v[47:48]
	s_delay_alu instid0(VALU_DEP_2) | instskip(SKIP_1) | instid1(VALU_DEP_3)
	v_add_f64 v[51:52], v[45:46], 1.0
	v_add_f64 v[57:58], v[45:46], -1.0
	v_ldexp_f64 v[47:48], v[47:48], v53
	s_delay_alu instid0(VALU_DEP_3) | instskip(NEXT) | instid1(VALU_DEP_3)
	v_add_f64 v[49:50], v[51:52], -1.0
	v_add_f64 v[59:60], v[57:58], 1.0
	s_delay_alu instid0(VALU_DEP_2) | instskip(NEXT) | instid1(VALU_DEP_2)
	v_add_f64 v[49:50], v[45:46], -v[49:50]
	v_add_f64 v[45:46], v[45:46], -v[59:60]
	s_delay_alu instid0(VALU_DEP_2) | instskip(NEXT) | instid1(VALU_DEP_2)
	v_add_f64 v[49:50], v[47:48], v[49:50]
	v_add_f64 v[45:46], v[47:48], v[45:46]
	s_delay_alu instid0(VALU_DEP_2) | instskip(NEXT) | instid1(VALU_DEP_2)
	v_add_f64 v[53:54], v[51:52], v[49:50]
	v_add_f64 v[59:60], v[57:58], v[45:46]
	s_delay_alu instid0(VALU_DEP_2) | instskip(SKIP_1) | instid1(VALU_DEP_2)
	v_rcp_f64_e32 v[55:56], v[53:54]
	v_add_f64 v[51:52], v[53:54], -v[51:52]
	v_add_f64 v[57:58], v[59:60], -v[57:58]
	s_delay_alu instid0(VALU_DEP_2) | instskip(SKIP_3) | instid1(VALU_DEP_2)
	v_add_f64 v[49:50], v[49:50], -v[51:52]
	s_waitcnt_depctr 0xfff
	v_fma_f64 v[61:62], -v[53:54], v[55:56], 1.0
	v_add_f64 v[45:46], v[45:46], -v[57:58]
	v_fma_f64 v[55:56], v[61:62], v[55:56], v[55:56]
	s_delay_alu instid0(VALU_DEP_1) | instskip(NEXT) | instid1(VALU_DEP_1)
	v_fma_f64 v[47:48], -v[53:54], v[55:56], 1.0
	v_fma_f64 v[47:48], v[47:48], v[55:56], v[55:56]
	s_delay_alu instid0(VALU_DEP_1) | instskip(NEXT) | instid1(VALU_DEP_1)
	v_mul_f64 v[55:56], v[59:60], v[47:48]
	v_mul_f64 v[61:62], v[53:54], v[55:56]
	s_delay_alu instid0(VALU_DEP_1) | instskip(NEXT) | instid1(VALU_DEP_1)
	v_fma_f64 v[51:52], v[55:56], v[53:54], -v[61:62]
	v_fma_f64 v[51:52], v[55:56], v[49:50], v[51:52]
	s_delay_alu instid0(VALU_DEP_1) | instskip(NEXT) | instid1(VALU_DEP_1)
	v_add_f64 v[69:70], v[61:62], v[51:52]
	v_add_f64 v[71:72], v[59:60], -v[69:70]
	v_add_f64 v[57:58], v[69:70], -v[61:62]
	s_delay_alu instid0(VALU_DEP_2) | instskip(NEXT) | instid1(VALU_DEP_2)
	v_add_f64 v[59:60], v[59:60], -v[71:72]
	v_add_f64 v[51:52], v[57:58], -v[51:52]
	s_delay_alu instid0(VALU_DEP_2) | instskip(NEXT) | instid1(VALU_DEP_1)
	v_add_f64 v[59:60], v[59:60], -v[69:70]
	v_add_f64 v[45:46], v[45:46], v[59:60]
	s_delay_alu instid0(VALU_DEP_1) | instskip(NEXT) | instid1(VALU_DEP_1)
	v_add_f64 v[45:46], v[51:52], v[45:46]
	v_add_f64 v[51:52], v[71:72], v[45:46]
	s_delay_alu instid0(VALU_DEP_1) | instskip(SKIP_1) | instid1(VALU_DEP_2)
	v_mul_f64 v[57:58], v[47:48], v[51:52]
	v_add_f64 v[69:70], v[71:72], -v[51:52]
	v_mul_f64 v[59:60], v[53:54], v[57:58]
	s_delay_alu instid0(VALU_DEP_2) | instskip(NEXT) | instid1(VALU_DEP_2)
	v_add_f64 v[45:46], v[45:46], v[69:70]
	v_fma_f64 v[53:54], v[57:58], v[53:54], -v[59:60]
	s_delay_alu instid0(VALU_DEP_1) | instskip(NEXT) | instid1(VALU_DEP_1)
	v_fma_f64 v[49:50], v[57:58], v[49:50], v[53:54]
	v_add_f64 v[53:54], v[59:60], v[49:50]
	s_delay_alu instid0(VALU_DEP_1) | instskip(SKIP_1) | instid1(VALU_DEP_2)
	v_add_f64 v[61:62], v[51:52], -v[53:54]
	v_add_f64 v[59:60], v[53:54], -v[59:60]
	;; [unrolled: 1-line block ×3, first 2 shown]
	s_delay_alu instid0(VALU_DEP_2) | instskip(NEXT) | instid1(VALU_DEP_2)
	v_add_f64 v[49:50], v[59:60], -v[49:50]
	v_add_f64 v[51:52], v[51:52], -v[53:54]
	s_delay_alu instid0(VALU_DEP_1) | instskip(SKIP_1) | instid1(VALU_DEP_2)
	v_add_f64 v[45:46], v[45:46], v[51:52]
	v_add_f64 v[51:52], v[55:56], v[57:58]
	;; [unrolled: 1-line block ×3, first 2 shown]
	s_delay_alu instid0(VALU_DEP_2) | instskip(NEXT) | instid1(VALU_DEP_2)
	v_add_f64 v[49:50], v[51:52], -v[55:56]
	v_add_f64 v[45:46], v[61:62], v[45:46]
	s_delay_alu instid0(VALU_DEP_2) | instskip(NEXT) | instid1(VALU_DEP_2)
	v_add_f64 v[49:50], v[57:58], -v[49:50]
	v_mul_f64 v[45:46], v[47:48], v[45:46]
	s_delay_alu instid0(VALU_DEP_1) | instskip(NEXT) | instid1(VALU_DEP_1)
	v_add_f64 v[45:46], v[49:50], v[45:46]
	v_add_f64 v[47:48], v[51:52], v[45:46]
	s_delay_alu instid0(VALU_DEP_1) | instskip(NEXT) | instid1(VALU_DEP_1)
	v_mul_f64 v[49:50], v[47:48], v[47:48]
	v_fma_f64 v[53:54], v[49:50], s[34:35], s[30:31]
	s_mov_b32 s30, 0xd7f4df2e
	s_mov_b32 s31, 0x3fc7474d
	v_mul_f64 v[55:56], v[47:48], v[49:50]
	s_delay_alu instid0(VALU_DEP_2)
	v_fma_f64 v[53:54], v[49:50], v[53:54], s[30:31]
	s_mov_b32 s30, 0x16291751
	s_mov_b32 s31, 0x3fcc71c0
	s_delay_alu instid0(VALU_DEP_1) | instid1(SALU_CYCLE_1)
	v_fma_f64 v[53:54], v[49:50], v[53:54], s[30:31]
	s_mov_b32 s30, 0x9b27acf1
	s_mov_b32 s31, 0x3fd24924
	s_delay_alu instid0(VALU_DEP_1) | instid1(SALU_CYCLE_1)
	v_fma_f64 v[53:54], v[49:50], v[53:54], s[30:31]
	s_mov_b32 s30, 0x998ef7b6
	s_mov_b32 s31, 0x3fd99999
	s_delay_alu instid0(VALU_DEP_1) | instid1(SALU_CYCLE_1)
	v_fma_f64 v[53:54], v[49:50], v[53:54], s[30:31]
	s_delay_alu instid0(VALU_DEP_1) | instskip(SKIP_2) | instid1(VALU_DEP_3)
	v_fma_f64 v[49:50], v[49:50], v[53:54], s[22:23]
	v_ldexp_f64 v[53:54], v[47:48], 1
	v_add_f64 v[47:48], v[47:48], -v[51:52]
	v_mul_f64 v[49:50], v[55:56], v[49:50]
	v_cvt_f64_i32_e32 v[55:56], v73
	s_delay_alu instid0(VALU_DEP_3) | instskip(NEXT) | instid1(VALU_DEP_3)
	v_add_f64 v[45:46], v[45:46], -v[47:48]
	v_add_f64 v[51:52], v[53:54], v[49:50]
	s_delay_alu instid0(VALU_DEP_3) | instskip(NEXT) | instid1(VALU_DEP_3)
	v_mul_f64 v[57:58], v[55:56], s[24:25]
	v_ldexp_f64 v[45:46], v[45:46], 1
	s_delay_alu instid0(VALU_DEP_3) | instskip(NEXT) | instid1(VALU_DEP_3)
	v_add_f64 v[47:48], v[51:52], -v[53:54]
	v_fma_f64 v[53:54], v[55:56], s[24:25], -v[57:58]
	s_delay_alu instid0(VALU_DEP_2) | instskip(NEXT) | instid1(VALU_DEP_2)
	v_add_f64 v[47:48], v[49:50], -v[47:48]
	v_fma_f64 v[49:50], v[55:56], s[26:27], v[53:54]
	s_delay_alu instid0(VALU_DEP_2) | instskip(NEXT) | instid1(VALU_DEP_2)
	v_add_f64 v[45:46], v[45:46], v[47:48]
	v_add_f64 v[47:48], v[57:58], v[49:50]
	s_delay_alu instid0(VALU_DEP_2) | instskip(NEXT) | instid1(VALU_DEP_2)
	v_add_f64 v[53:54], v[51:52], v[45:46]
	v_add_f64 v[57:58], v[47:48], -v[57:58]
	s_delay_alu instid0(VALU_DEP_2) | instskip(SKIP_1) | instid1(VALU_DEP_3)
	v_add_f64 v[55:56], v[47:48], v[53:54]
	v_add_f64 v[51:52], v[53:54], -v[51:52]
	v_add_f64 v[49:50], v[49:50], -v[57:58]
	s_delay_alu instid0(VALU_DEP_3) | instskip(NEXT) | instid1(VALU_DEP_3)
	v_add_f64 v[59:60], v[55:56], -v[47:48]
	v_add_f64 v[45:46], v[45:46], -v[51:52]
	s_delay_alu instid0(VALU_DEP_2) | instskip(SKIP_1) | instid1(VALU_DEP_3)
	v_add_f64 v[61:62], v[55:56], -v[59:60]
	v_add_f64 v[51:52], v[53:54], -v[59:60]
	v_add_f64 v[53:54], v[49:50], v[45:46]
	s_delay_alu instid0(VALU_DEP_3) | instskip(NEXT) | instid1(VALU_DEP_1)
	v_add_f64 v[47:48], v[47:48], -v[61:62]
	v_add_f64 v[47:48], v[51:52], v[47:48]
	s_delay_alu instid0(VALU_DEP_3) | instskip(NEXT) | instid1(VALU_DEP_2)
	v_add_f64 v[51:52], v[53:54], -v[49:50]
	v_add_f64 v[47:48], v[53:54], v[47:48]
	s_delay_alu instid0(VALU_DEP_2) | instskip(SKIP_1) | instid1(VALU_DEP_3)
	v_add_f64 v[53:54], v[53:54], -v[51:52]
	v_add_f64 v[45:46], v[45:46], -v[51:52]
	v_add_f64 v[57:58], v[55:56], v[47:48]
	s_delay_alu instid0(VALU_DEP_3) | instskip(NEXT) | instid1(VALU_DEP_2)
	v_add_f64 v[49:50], v[49:50], -v[53:54]
	v_add_f64 v[51:52], v[57:58], -v[55:56]
	s_delay_alu instid0(VALU_DEP_2) | instskip(NEXT) | instid1(VALU_DEP_2)
	v_add_f64 v[45:46], v[45:46], v[49:50]
	v_add_f64 v[47:48], v[47:48], -v[51:52]
	s_delay_alu instid0(VALU_DEP_1) | instskip(NEXT) | instid1(VALU_DEP_1)
	v_add_f64 v[45:46], v[45:46], v[47:48]
	v_add_f64 v[45:46], v[57:58], v[45:46]
	s_delay_alu instid0(VALU_DEP_1) | instskip(NEXT) | instid1(VALU_DEP_2)
	v_cndmask_b32_e64 v45, v45, v43, s21
	v_cndmask_b32_e64 v46, v46, v44, s21
	v_cmp_ngt_f64_e64 s21, -1.0, v[43:44]
	s_delay_alu instid0(VALU_DEP_1) | instskip(SKIP_1) | instid1(VALU_DEP_1)
	v_cndmask_b32_e64 v46, 0x7ff80000, v46, s21
	v_cmp_nge_f64_e64 s21, -1.0, v[43:44]
	v_cndmask_b32_e64 v45, 0, v45, s21
	v_cmp_neq_f64_e64 s21, -1.0, v[43:44]
	s_delay_alu instid0(VALU_DEP_1) | instskip(NEXT) | instid1(VALU_DEP_1)
	v_cndmask_b32_e64 v46, 0xfff00000, v46, s21
	v_add_f64 v[69:70], v[41:42], v[45:46]
.LBB66_40:
	s_or_b32 exec_lo, exec_lo, s28
	v_max_f64 v[41:42], v[27:28], v[27:28]
	s_delay_alu instid0(VALU_DEP_2) | instskip(SKIP_2) | instid1(VALU_DEP_3)
	v_max_f64 v[43:44], v[69:70], v[69:70]
	v_cmp_u_f64_e64 s22, v[69:70], v[69:70]
	v_cmp_u_f64_e64 s21, v[27:28], v[27:28]
	v_min_f64 v[45:46], v[43:44], v[41:42]
	v_max_f64 v[43:44], v[43:44], v[41:42]
	s_delay_alu instid0(VALU_DEP_2) | instskip(NEXT) | instid1(VALU_DEP_3)
	v_cndmask_b32_e64 v45, v45, v69, s22
	v_cndmask_b32_e64 v46, v46, v70, s22
	s_delay_alu instid0(VALU_DEP_3) | instskip(NEXT) | instid1(VALU_DEP_4)
	v_cndmask_b32_e64 v44, v44, v70, s22
	v_cndmask_b32_e64 v43, v43, v69, s22
	s_delay_alu instid0(VALU_DEP_4) | instskip(NEXT) | instid1(VALU_DEP_4)
	v_cndmask_b32_e64 v45, v45, v27, s21
	v_cndmask_b32_e64 v46, v46, v28, s21
	s_delay_alu instid0(VALU_DEP_4) | instskip(NEXT) | instid1(VALU_DEP_4)
	v_cndmask_b32_e64 v44, v44, v28, s21
	v_cndmask_b32_e64 v43, v43, v27, s21
	s_delay_alu instid0(VALU_DEP_3) | instskip(NEXT) | instid1(VALU_DEP_2)
	v_cmp_class_f64_e64 s23, v[45:46], 0x1f8
	v_cmp_neq_f64_e64 s22, v[45:46], v[43:44]
	s_delay_alu instid0(VALU_DEP_1) | instskip(NEXT) | instid1(SALU_CYCLE_1)
	s_or_b32 s22, s22, s23
	s_and_saveexec_b32 s28, s22
	s_cbranch_execz .LBB66_42
; %bb.41:
	v_add_f64 v[45:46], v[45:46], -v[43:44]
	s_mov_b32 s22, 0x652b82fe
	s_mov_b32 s23, 0x3ff71547
	;; [unrolled: 1-line block ×10, first 2 shown]
	s_delay_alu instid0(VALU_DEP_1) | instskip(SKIP_2) | instid1(VALU_DEP_1)
	v_mul_f64 v[47:48], v[45:46], s[22:23]
	s_mov_b32 s22, 0xfca7ab0c
	s_mov_b32 s23, 0x3e928af3
	v_rndne_f64_e32 v[47:48], v[47:48]
	s_delay_alu instid0(VALU_DEP_1) | instskip(SKIP_2) | instid1(VALU_DEP_2)
	v_fma_f64 v[49:50], v[47:48], s[24:25], v[45:46]
	v_cvt_i32_f64_e32 v53, v[47:48]
	s_mov_b32 s25, 0x3fe62e42
	v_fma_f64 v[49:50], v[47:48], s[26:27], v[49:50]
	s_mov_b32 s27, 0x3c7abc9e
	s_delay_alu instid0(VALU_DEP_1) | instskip(SKIP_4) | instid1(VALU_DEP_1)
	v_fma_f64 v[51:52], v[49:50], s[30:31], s[22:23]
	s_mov_b32 s22, 0x623fde64
	s_mov_b32 s23, 0x3ec71dee
	;; [unrolled: 1-line block ×4, first 2 shown]
	v_fma_f64 v[51:52], v[49:50], v[51:52], s[22:23]
	s_mov_b32 s22, 0x7c89e6b0
	s_mov_b32 s23, 0x3efa0199
	s_delay_alu instid0(VALU_DEP_1) | instid1(SALU_CYCLE_1)
	v_fma_f64 v[51:52], v[49:50], v[51:52], s[22:23]
	s_mov_b32 s22, 0x14761f6e
	s_mov_b32 s23, 0x3f2a01a0
	s_delay_alu instid0(VALU_DEP_1) | instid1(SALU_CYCLE_1)
	;; [unrolled: 4-line block ×7, first 2 shown]
	v_fma_f64 v[51:52], v[49:50], v[51:52], s[22:23]
	v_cmp_nlt_f64_e64 s22, 0x40900000, v[45:46]
	v_cmp_ngt_f64_e64 s23, 0xc090cc00, v[45:46]
	s_delay_alu instid0(VALU_DEP_3) | instskip(NEXT) | instid1(VALU_DEP_1)
	v_fma_f64 v[51:52], v[49:50], v[51:52], 1.0
	v_fma_f64 v[47:48], v[49:50], v[51:52], 1.0
	s_delay_alu instid0(VALU_DEP_1) | instskip(NEXT) | instid1(VALU_DEP_1)
	v_ldexp_f64 v[47:48], v[47:48], v53
	v_cndmask_b32_e64 v48, 0x7ff00000, v48, s22
	s_and_b32 s22, s23, s22
	s_delay_alu instid0(VALU_DEP_2) | instid1(SALU_CYCLE_1)
	v_cndmask_b32_e64 v45, 0, v47, s22
	s_mov_b32 s22, 0x55555555
	s_delay_alu instid0(VALU_DEP_2) | instskip(SKIP_1) | instid1(VALU_DEP_1)
	v_cndmask_b32_e64 v46, 0, v48, s23
	s_mov_b32 s23, 0x3fe55555
	v_add_f64 v[47:48], v[45:46], 1.0
	s_delay_alu instid0(VALU_DEP_1) | instskip(SKIP_2) | instid1(VALU_DEP_3)
	v_frexp_mant_f64_e32 v[49:50], v[47:48]
	v_frexp_exp_i32_f64_e32 v53, v[47:48]
	v_add_f64 v[51:52], v[47:48], -1.0
	v_cmp_gt_f64_e64 s22, s[22:23], v[49:50]
	s_delay_alu instid0(VALU_DEP_2) | instskip(SKIP_1) | instid1(VALU_DEP_3)
	v_add_f64 v[49:50], v[51:52], -v[47:48]
	v_add_f64 v[51:52], v[45:46], -v[51:52]
	v_subrev_co_ci_u32_e64 v75, s22, 0, v53, s22
	s_delay_alu instid0(VALU_DEP_3) | instskip(SKIP_1) | instid1(VALU_DEP_2)
	v_add_f64 v[49:50], v[49:50], 1.0
	s_mov_b32 s22, 0x55555780
	v_sub_nc_u32_e32 v55, 0, v75
	s_delay_alu instid0(VALU_DEP_1) | instskip(NEXT) | instid1(VALU_DEP_3)
	v_ldexp_f64 v[47:48], v[47:48], v55
	v_add_f64 v[49:50], v[51:52], v[49:50]
	s_delay_alu instid0(VALU_DEP_2) | instskip(SKIP_1) | instid1(VALU_DEP_3)
	v_add_f64 v[53:54], v[47:48], 1.0
	v_add_f64 v[59:60], v[47:48], -1.0
	v_ldexp_f64 v[49:50], v[49:50], v55
	s_delay_alu instid0(VALU_DEP_3) | instskip(NEXT) | instid1(VALU_DEP_3)
	v_add_f64 v[51:52], v[53:54], -1.0
	v_add_f64 v[61:62], v[59:60], 1.0
	s_delay_alu instid0(VALU_DEP_2) | instskip(NEXT) | instid1(VALU_DEP_2)
	v_add_f64 v[51:52], v[47:48], -v[51:52]
	v_add_f64 v[47:48], v[47:48], -v[61:62]
	s_delay_alu instid0(VALU_DEP_2) | instskip(NEXT) | instid1(VALU_DEP_2)
	v_add_f64 v[51:52], v[49:50], v[51:52]
	v_add_f64 v[47:48], v[49:50], v[47:48]
	s_delay_alu instid0(VALU_DEP_2) | instskip(NEXT) | instid1(VALU_DEP_2)
	v_add_f64 v[55:56], v[53:54], v[51:52]
	v_add_f64 v[61:62], v[59:60], v[47:48]
	s_delay_alu instid0(VALU_DEP_2) | instskip(SKIP_1) | instid1(VALU_DEP_2)
	v_rcp_f64_e32 v[57:58], v[55:56]
	v_add_f64 v[53:54], v[55:56], -v[53:54]
	v_add_f64 v[59:60], v[61:62], -v[59:60]
	s_delay_alu instid0(VALU_DEP_2) | instskip(SKIP_3) | instid1(VALU_DEP_2)
	v_add_f64 v[51:52], v[51:52], -v[53:54]
	s_waitcnt_depctr 0xfff
	v_fma_f64 v[69:70], -v[55:56], v[57:58], 1.0
	v_add_f64 v[47:48], v[47:48], -v[59:60]
	v_fma_f64 v[57:58], v[69:70], v[57:58], v[57:58]
	s_delay_alu instid0(VALU_DEP_1) | instskip(NEXT) | instid1(VALU_DEP_1)
	v_fma_f64 v[49:50], -v[55:56], v[57:58], 1.0
	v_fma_f64 v[49:50], v[49:50], v[57:58], v[57:58]
	s_delay_alu instid0(VALU_DEP_1) | instskip(NEXT) | instid1(VALU_DEP_1)
	v_mul_f64 v[57:58], v[61:62], v[49:50]
	v_mul_f64 v[69:70], v[55:56], v[57:58]
	s_delay_alu instid0(VALU_DEP_1) | instskip(NEXT) | instid1(VALU_DEP_1)
	v_fma_f64 v[53:54], v[57:58], v[55:56], -v[69:70]
	v_fma_f64 v[53:54], v[57:58], v[51:52], v[53:54]
	s_delay_alu instid0(VALU_DEP_1) | instskip(NEXT) | instid1(VALU_DEP_1)
	v_add_f64 v[71:72], v[69:70], v[53:54]
	v_add_f64 v[73:74], v[61:62], -v[71:72]
	v_add_f64 v[59:60], v[71:72], -v[69:70]
	s_delay_alu instid0(VALU_DEP_2) | instskip(NEXT) | instid1(VALU_DEP_2)
	v_add_f64 v[61:62], v[61:62], -v[73:74]
	v_add_f64 v[53:54], v[59:60], -v[53:54]
	s_delay_alu instid0(VALU_DEP_2) | instskip(NEXT) | instid1(VALU_DEP_1)
	v_add_f64 v[61:62], v[61:62], -v[71:72]
	v_add_f64 v[47:48], v[47:48], v[61:62]
	s_delay_alu instid0(VALU_DEP_1) | instskip(NEXT) | instid1(VALU_DEP_1)
	v_add_f64 v[47:48], v[53:54], v[47:48]
	v_add_f64 v[53:54], v[73:74], v[47:48]
	s_delay_alu instid0(VALU_DEP_1) | instskip(SKIP_1) | instid1(VALU_DEP_2)
	v_mul_f64 v[59:60], v[49:50], v[53:54]
	v_add_f64 v[71:72], v[73:74], -v[53:54]
	v_mul_f64 v[61:62], v[55:56], v[59:60]
	s_delay_alu instid0(VALU_DEP_2) | instskip(NEXT) | instid1(VALU_DEP_2)
	v_add_f64 v[47:48], v[47:48], v[71:72]
	v_fma_f64 v[55:56], v[59:60], v[55:56], -v[61:62]
	s_delay_alu instid0(VALU_DEP_1) | instskip(NEXT) | instid1(VALU_DEP_1)
	v_fma_f64 v[51:52], v[59:60], v[51:52], v[55:56]
	v_add_f64 v[55:56], v[61:62], v[51:52]
	s_delay_alu instid0(VALU_DEP_1) | instskip(SKIP_1) | instid1(VALU_DEP_2)
	v_add_f64 v[69:70], v[53:54], -v[55:56]
	v_add_f64 v[61:62], v[55:56], -v[61:62]
	;; [unrolled: 1-line block ×3, first 2 shown]
	s_delay_alu instid0(VALU_DEP_2) | instskip(NEXT) | instid1(VALU_DEP_2)
	v_add_f64 v[51:52], v[61:62], -v[51:52]
	v_add_f64 v[53:54], v[53:54], -v[55:56]
	s_delay_alu instid0(VALU_DEP_1) | instskip(SKIP_1) | instid1(VALU_DEP_2)
	v_add_f64 v[47:48], v[47:48], v[53:54]
	v_add_f64 v[53:54], v[57:58], v[59:60]
	;; [unrolled: 1-line block ×3, first 2 shown]
	s_delay_alu instid0(VALU_DEP_2) | instskip(NEXT) | instid1(VALU_DEP_2)
	v_add_f64 v[51:52], v[53:54], -v[57:58]
	v_add_f64 v[47:48], v[69:70], v[47:48]
	s_delay_alu instid0(VALU_DEP_2) | instskip(NEXT) | instid1(VALU_DEP_2)
	v_add_f64 v[51:52], v[59:60], -v[51:52]
	v_mul_f64 v[47:48], v[49:50], v[47:48]
	s_delay_alu instid0(VALU_DEP_1) | instskip(NEXT) | instid1(VALU_DEP_1)
	v_add_f64 v[47:48], v[51:52], v[47:48]
	v_add_f64 v[49:50], v[53:54], v[47:48]
	s_delay_alu instid0(VALU_DEP_1) | instskip(NEXT) | instid1(VALU_DEP_1)
	v_mul_f64 v[51:52], v[49:50], v[49:50]
	v_fma_f64 v[55:56], v[51:52], s[34:35], s[30:31]
	s_mov_b32 s30, 0xd7f4df2e
	s_mov_b32 s31, 0x3fc7474d
	v_mul_f64 v[57:58], v[49:50], v[51:52]
	s_delay_alu instid0(VALU_DEP_2)
	v_fma_f64 v[55:56], v[51:52], v[55:56], s[30:31]
	s_mov_b32 s30, 0x16291751
	s_mov_b32 s31, 0x3fcc71c0
	s_delay_alu instid0(VALU_DEP_1) | instid1(SALU_CYCLE_1)
	v_fma_f64 v[55:56], v[51:52], v[55:56], s[30:31]
	s_mov_b32 s30, 0x9b27acf1
	s_mov_b32 s31, 0x3fd24924
	s_delay_alu instid0(VALU_DEP_1) | instid1(SALU_CYCLE_1)
	;; [unrolled: 4-line block ×3, first 2 shown]
	v_fma_f64 v[55:56], v[51:52], v[55:56], s[30:31]
	s_delay_alu instid0(VALU_DEP_1) | instskip(SKIP_3) | instid1(VALU_DEP_4)
	v_fma_f64 v[51:52], v[51:52], v[55:56], s[22:23]
	v_ldexp_f64 v[55:56], v[49:50], 1
	v_add_f64 v[49:50], v[49:50], -v[53:54]
	v_cmp_eq_f64_e64 s22, 0x7ff00000, v[45:46]
	v_mul_f64 v[51:52], v[57:58], v[51:52]
	v_cvt_f64_i32_e32 v[57:58], v75
	s_delay_alu instid0(VALU_DEP_4) | instskip(NEXT) | instid1(VALU_DEP_3)
	v_add_f64 v[47:48], v[47:48], -v[49:50]
	v_add_f64 v[53:54], v[55:56], v[51:52]
	s_delay_alu instid0(VALU_DEP_3) | instskip(NEXT) | instid1(VALU_DEP_3)
	v_mul_f64 v[59:60], v[57:58], s[24:25]
	v_ldexp_f64 v[47:48], v[47:48], 1
	s_delay_alu instid0(VALU_DEP_3) | instskip(NEXT) | instid1(VALU_DEP_3)
	v_add_f64 v[49:50], v[53:54], -v[55:56]
	v_fma_f64 v[55:56], v[57:58], s[24:25], -v[59:60]
	s_delay_alu instid0(VALU_DEP_2) | instskip(NEXT) | instid1(VALU_DEP_2)
	v_add_f64 v[49:50], v[51:52], -v[49:50]
	v_fma_f64 v[51:52], v[57:58], s[26:27], v[55:56]
	s_delay_alu instid0(VALU_DEP_2) | instskip(NEXT) | instid1(VALU_DEP_2)
	v_add_f64 v[47:48], v[47:48], v[49:50]
	v_add_f64 v[49:50], v[59:60], v[51:52]
	s_delay_alu instid0(VALU_DEP_2) | instskip(NEXT) | instid1(VALU_DEP_2)
	v_add_f64 v[55:56], v[53:54], v[47:48]
	v_add_f64 v[59:60], v[49:50], -v[59:60]
	s_delay_alu instid0(VALU_DEP_2) | instskip(SKIP_1) | instid1(VALU_DEP_3)
	v_add_f64 v[57:58], v[49:50], v[55:56]
	v_add_f64 v[53:54], v[55:56], -v[53:54]
	v_add_f64 v[51:52], v[51:52], -v[59:60]
	s_delay_alu instid0(VALU_DEP_3) | instskip(NEXT) | instid1(VALU_DEP_3)
	v_add_f64 v[61:62], v[57:58], -v[49:50]
	v_add_f64 v[47:48], v[47:48], -v[53:54]
	s_delay_alu instid0(VALU_DEP_2) | instskip(SKIP_1) | instid1(VALU_DEP_3)
	v_add_f64 v[69:70], v[57:58], -v[61:62]
	v_add_f64 v[53:54], v[55:56], -v[61:62]
	v_add_f64 v[55:56], v[51:52], v[47:48]
	s_delay_alu instid0(VALU_DEP_3) | instskip(NEXT) | instid1(VALU_DEP_1)
	v_add_f64 v[49:50], v[49:50], -v[69:70]
	v_add_f64 v[49:50], v[53:54], v[49:50]
	s_delay_alu instid0(VALU_DEP_3) | instskip(NEXT) | instid1(VALU_DEP_2)
	v_add_f64 v[53:54], v[55:56], -v[51:52]
	v_add_f64 v[49:50], v[55:56], v[49:50]
	s_delay_alu instid0(VALU_DEP_2) | instskip(SKIP_1) | instid1(VALU_DEP_3)
	v_add_f64 v[55:56], v[55:56], -v[53:54]
	v_add_f64 v[47:48], v[47:48], -v[53:54]
	v_add_f64 v[59:60], v[57:58], v[49:50]
	s_delay_alu instid0(VALU_DEP_3) | instskip(NEXT) | instid1(VALU_DEP_2)
	v_add_f64 v[51:52], v[51:52], -v[55:56]
	v_add_f64 v[53:54], v[59:60], -v[57:58]
	s_delay_alu instid0(VALU_DEP_2) | instskip(NEXT) | instid1(VALU_DEP_2)
	v_add_f64 v[47:48], v[47:48], v[51:52]
	v_add_f64 v[49:50], v[49:50], -v[53:54]
	s_delay_alu instid0(VALU_DEP_1) | instskip(NEXT) | instid1(VALU_DEP_1)
	v_add_f64 v[47:48], v[47:48], v[49:50]
	v_add_f64 v[47:48], v[59:60], v[47:48]
	s_delay_alu instid0(VALU_DEP_1) | instskip(NEXT) | instid1(VALU_DEP_2)
	v_cndmask_b32_e64 v47, v47, v45, s22
	v_cndmask_b32_e64 v48, v48, v46, s22
	v_cmp_ngt_f64_e64 s22, -1.0, v[45:46]
	s_delay_alu instid0(VALU_DEP_1) | instskip(SKIP_1) | instid1(VALU_DEP_1)
	v_cndmask_b32_e64 v48, 0x7ff80000, v48, s22
	v_cmp_nge_f64_e64 s22, -1.0, v[45:46]
	v_cndmask_b32_e64 v47, 0, v47, s22
	v_cmp_neq_f64_e64 s22, -1.0, v[45:46]
	s_delay_alu instid0(VALU_DEP_1) | instskip(NEXT) | instid1(VALU_DEP_1)
	v_cndmask_b32_e64 v48, 0xfff00000, v48, s22
	v_add_f64 v[69:70], v[43:44], v[47:48]
.LBB66_42:
	s_or_b32 exec_lo, exec_lo, s28
	v_max_f64 v[43:44], v[21:22], v[21:22]
	s_delay_alu instid0(VALU_DEP_2) | instskip(SKIP_2) | instid1(VALU_DEP_3)
	v_max_f64 v[45:46], v[69:70], v[69:70]
	v_cmp_u_f64_e64 s23, v[69:70], v[69:70]
	v_cmp_u_f64_e64 s22, v[21:22], v[21:22]
	v_min_f64 v[47:48], v[45:46], v[43:44]
	v_max_f64 v[45:46], v[45:46], v[43:44]
	s_delay_alu instid0(VALU_DEP_2) | instskip(NEXT) | instid1(VALU_DEP_3)
	v_cndmask_b32_e64 v47, v47, v69, s23
	v_cndmask_b32_e64 v48, v48, v70, s23
	s_delay_alu instid0(VALU_DEP_3) | instskip(NEXT) | instid1(VALU_DEP_4)
	v_cndmask_b32_e64 v46, v46, v70, s23
	v_cndmask_b32_e64 v45, v45, v69, s23
	s_delay_alu instid0(VALU_DEP_4) | instskip(NEXT) | instid1(VALU_DEP_4)
	v_cndmask_b32_e64 v47, v47, v21, s22
	v_cndmask_b32_e64 v48, v48, v22, s22
	s_delay_alu instid0(VALU_DEP_4) | instskip(NEXT) | instid1(VALU_DEP_4)
	v_cndmask_b32_e64 v46, v46, v22, s22
	v_cndmask_b32_e64 v45, v45, v21, s22
	s_delay_alu instid0(VALU_DEP_3) | instskip(NEXT) | instid1(VALU_DEP_2)
	v_cmp_class_f64_e64 s24, v[47:48], 0x1f8
	v_cmp_neq_f64_e64 s23, v[47:48], v[45:46]
	s_delay_alu instid0(VALU_DEP_1) | instskip(NEXT) | instid1(SALU_CYCLE_1)
	s_or_b32 s23, s23, s24
	s_and_saveexec_b32 s30, s23
	s_cbranch_execz .LBB66_44
; %bb.43:
	v_add_f64 v[47:48], v[47:48], -v[45:46]
	s_mov_b32 s24, 0x652b82fe
	s_mov_b32 s25, 0x3ff71547
	;; [unrolled: 1-line block ×10, first 2 shown]
	s_delay_alu instid0(VALU_DEP_1) | instskip(SKIP_3) | instid1(VALU_DEP_2)
	v_mul_f64 v[49:50], v[47:48], s[24:25]
	s_mov_b32 s24, 0xfca7ab0c
	s_mov_b32 s25, 0x3e928af3
	v_cmp_nlt_f64_e64 s23, 0x40900000, v[47:48]
	v_rndne_f64_e32 v[49:50], v[49:50]
	s_delay_alu instid0(VALU_DEP_1) | instskip(SKIP_2) | instid1(VALU_DEP_2)
	v_fma_f64 v[51:52], v[49:50], s[26:27], v[47:48]
	v_cvt_i32_f64_e32 v55, v[49:50]
	s_mov_b32 s27, 0x3fe62e42
	v_fma_f64 v[51:52], v[49:50], s[28:29], v[51:52]
	s_mov_b32 s29, 0x3c7abc9e
	s_delay_alu instid0(VALU_DEP_1) | instskip(SKIP_4) | instid1(VALU_DEP_1)
	v_fma_f64 v[53:54], v[51:52], s[34:35], s[24:25]
	s_mov_b32 s24, 0x623fde64
	s_mov_b32 s25, 0x3ec71dee
	;; [unrolled: 1-line block ×4, first 2 shown]
	v_fma_f64 v[53:54], v[51:52], v[53:54], s[24:25]
	s_mov_b32 s24, 0x7c89e6b0
	s_mov_b32 s25, 0x3efa0199
	s_delay_alu instid0(VALU_DEP_1) | instid1(SALU_CYCLE_1)
	v_fma_f64 v[53:54], v[51:52], v[53:54], s[24:25]
	s_mov_b32 s24, 0x14761f6e
	s_mov_b32 s25, 0x3f2a01a0
	s_delay_alu instid0(VALU_DEP_1) | instid1(SALU_CYCLE_1)
	;; [unrolled: 4-line block ×7, first 2 shown]
	v_fma_f64 v[53:54], v[51:52], v[53:54], s[24:25]
	v_cmp_ngt_f64_e64 s24, 0xc090cc00, v[47:48]
	s_mov_b32 s25, 0x3fe55555
	s_delay_alu instid0(VALU_DEP_2) | instskip(NEXT) | instid1(VALU_DEP_1)
	v_fma_f64 v[53:54], v[51:52], v[53:54], 1.0
	v_fma_f64 v[49:50], v[51:52], v[53:54], 1.0
	s_delay_alu instid0(VALU_DEP_1) | instskip(NEXT) | instid1(VALU_DEP_1)
	v_ldexp_f64 v[49:50], v[49:50], v55
	v_cndmask_b32_e64 v50, 0x7ff00000, v50, s23
	s_and_b32 s23, s24, s23
	s_delay_alu instid0(VALU_DEP_2) | instid1(SALU_CYCLE_1)
	v_cndmask_b32_e64 v47, 0, v49, s23
	s_delay_alu instid0(VALU_DEP_2) | instskip(SKIP_1) | instid1(VALU_DEP_1)
	v_cndmask_b32_e64 v48, 0, v50, s24
	s_mov_b32 s24, 0x55555555
	v_add_f64 v[49:50], v[47:48], 1.0
	s_delay_alu instid0(VALU_DEP_1) | instskip(SKIP_2) | instid1(VALU_DEP_3)
	v_frexp_mant_f64_e32 v[51:52], v[49:50]
	v_frexp_exp_i32_f64_e32 v55, v[49:50]
	v_add_f64 v[53:54], v[49:50], -1.0
	v_cmp_gt_f64_e64 s23, s[24:25], v[51:52]
	s_mov_b32 s24, 0x55555780
	s_delay_alu instid0(VALU_DEP_2) | instskip(SKIP_1) | instid1(VALU_DEP_3)
	v_add_f64 v[51:52], v[53:54], -v[49:50]
	v_add_f64 v[53:54], v[47:48], -v[53:54]
	v_subrev_co_ci_u32_e64 v96, s23, 0, v55, s23
	s_delay_alu instid0(VALU_DEP_3) | instskip(SKIP_1) | instid1(VALU_DEP_3)
	v_add_f64 v[51:52], v[51:52], 1.0
	v_cmp_eq_f64_e64 s23, 0x7ff00000, v[47:48]
	v_sub_nc_u32_e32 v57, 0, v96
	s_delay_alu instid0(VALU_DEP_1) | instskip(NEXT) | instid1(VALU_DEP_4)
	v_ldexp_f64 v[49:50], v[49:50], v57
	v_add_f64 v[51:52], v[53:54], v[51:52]
	s_delay_alu instid0(VALU_DEP_2) | instskip(SKIP_1) | instid1(VALU_DEP_3)
	v_add_f64 v[55:56], v[49:50], 1.0
	v_add_f64 v[61:62], v[49:50], -1.0
	v_ldexp_f64 v[51:52], v[51:52], v57
	s_delay_alu instid0(VALU_DEP_3) | instskip(NEXT) | instid1(VALU_DEP_3)
	v_add_f64 v[53:54], v[55:56], -1.0
	v_add_f64 v[69:70], v[61:62], 1.0
	s_delay_alu instid0(VALU_DEP_2) | instskip(NEXT) | instid1(VALU_DEP_2)
	v_add_f64 v[53:54], v[49:50], -v[53:54]
	v_add_f64 v[49:50], v[49:50], -v[69:70]
	s_delay_alu instid0(VALU_DEP_2) | instskip(NEXT) | instid1(VALU_DEP_2)
	v_add_f64 v[53:54], v[51:52], v[53:54]
	v_add_f64 v[49:50], v[51:52], v[49:50]
	s_delay_alu instid0(VALU_DEP_2) | instskip(NEXT) | instid1(VALU_DEP_2)
	v_add_f64 v[57:58], v[55:56], v[53:54]
	v_add_f64 v[69:70], v[61:62], v[49:50]
	s_delay_alu instid0(VALU_DEP_2) | instskip(SKIP_1) | instid1(VALU_DEP_2)
	v_rcp_f64_e32 v[59:60], v[57:58]
	v_add_f64 v[55:56], v[57:58], -v[55:56]
	v_add_f64 v[61:62], v[69:70], -v[61:62]
	s_delay_alu instid0(VALU_DEP_2) | instskip(SKIP_3) | instid1(VALU_DEP_2)
	v_add_f64 v[53:54], v[53:54], -v[55:56]
	s_waitcnt_depctr 0xfff
	v_fma_f64 v[71:72], -v[57:58], v[59:60], 1.0
	v_add_f64 v[49:50], v[49:50], -v[61:62]
	v_fma_f64 v[59:60], v[71:72], v[59:60], v[59:60]
	s_delay_alu instid0(VALU_DEP_1) | instskip(NEXT) | instid1(VALU_DEP_1)
	v_fma_f64 v[51:52], -v[57:58], v[59:60], 1.0
	v_fma_f64 v[51:52], v[51:52], v[59:60], v[59:60]
	s_delay_alu instid0(VALU_DEP_1) | instskip(NEXT) | instid1(VALU_DEP_1)
	v_mul_f64 v[59:60], v[69:70], v[51:52]
	v_mul_f64 v[71:72], v[57:58], v[59:60]
	s_delay_alu instid0(VALU_DEP_1) | instskip(NEXT) | instid1(VALU_DEP_1)
	v_fma_f64 v[55:56], v[59:60], v[57:58], -v[71:72]
	v_fma_f64 v[55:56], v[59:60], v[53:54], v[55:56]
	s_delay_alu instid0(VALU_DEP_1) | instskip(NEXT) | instid1(VALU_DEP_1)
	v_add_f64 v[73:74], v[71:72], v[55:56]
	v_add_f64 v[75:76], v[69:70], -v[73:74]
	v_add_f64 v[61:62], v[73:74], -v[71:72]
	s_delay_alu instid0(VALU_DEP_2) | instskip(NEXT) | instid1(VALU_DEP_2)
	v_add_f64 v[69:70], v[69:70], -v[75:76]
	v_add_f64 v[55:56], v[61:62], -v[55:56]
	s_delay_alu instid0(VALU_DEP_2) | instskip(NEXT) | instid1(VALU_DEP_1)
	v_add_f64 v[69:70], v[69:70], -v[73:74]
	v_add_f64 v[49:50], v[49:50], v[69:70]
	s_delay_alu instid0(VALU_DEP_1) | instskip(NEXT) | instid1(VALU_DEP_1)
	v_add_f64 v[49:50], v[55:56], v[49:50]
	v_add_f64 v[55:56], v[75:76], v[49:50]
	s_delay_alu instid0(VALU_DEP_1) | instskip(SKIP_1) | instid1(VALU_DEP_2)
	v_mul_f64 v[61:62], v[51:52], v[55:56]
	v_add_f64 v[73:74], v[75:76], -v[55:56]
	v_mul_f64 v[69:70], v[57:58], v[61:62]
	s_delay_alu instid0(VALU_DEP_2) | instskip(NEXT) | instid1(VALU_DEP_2)
	v_add_f64 v[49:50], v[49:50], v[73:74]
	v_fma_f64 v[57:58], v[61:62], v[57:58], -v[69:70]
	s_delay_alu instid0(VALU_DEP_1) | instskip(NEXT) | instid1(VALU_DEP_1)
	v_fma_f64 v[53:54], v[61:62], v[53:54], v[57:58]
	v_add_f64 v[57:58], v[69:70], v[53:54]
	s_delay_alu instid0(VALU_DEP_1) | instskip(SKIP_1) | instid1(VALU_DEP_2)
	v_add_f64 v[71:72], v[55:56], -v[57:58]
	v_add_f64 v[69:70], v[57:58], -v[69:70]
	v_add_f64 v[55:56], v[55:56], -v[71:72]
	s_delay_alu instid0(VALU_DEP_2) | instskip(NEXT) | instid1(VALU_DEP_2)
	v_add_f64 v[53:54], v[69:70], -v[53:54]
	v_add_f64 v[55:56], v[55:56], -v[57:58]
	s_delay_alu instid0(VALU_DEP_1) | instskip(SKIP_1) | instid1(VALU_DEP_2)
	v_add_f64 v[49:50], v[49:50], v[55:56]
	v_add_f64 v[55:56], v[59:60], v[61:62]
	;; [unrolled: 1-line block ×3, first 2 shown]
	s_delay_alu instid0(VALU_DEP_2) | instskip(NEXT) | instid1(VALU_DEP_2)
	v_add_f64 v[53:54], v[55:56], -v[59:60]
	v_add_f64 v[49:50], v[71:72], v[49:50]
	s_delay_alu instid0(VALU_DEP_2) | instskip(NEXT) | instid1(VALU_DEP_2)
	v_add_f64 v[53:54], v[61:62], -v[53:54]
	v_mul_f64 v[49:50], v[51:52], v[49:50]
	s_delay_alu instid0(VALU_DEP_1) | instskip(NEXT) | instid1(VALU_DEP_1)
	v_add_f64 v[49:50], v[53:54], v[49:50]
	v_add_f64 v[51:52], v[55:56], v[49:50]
	s_delay_alu instid0(VALU_DEP_1) | instskip(NEXT) | instid1(VALU_DEP_1)
	v_mul_f64 v[53:54], v[51:52], v[51:52]
	v_fma_f64 v[57:58], v[53:54], s[36:37], s[34:35]
	s_mov_b32 s34, 0xd7f4df2e
	s_mov_b32 s35, 0x3fc7474d
	v_mul_f64 v[59:60], v[51:52], v[53:54]
	s_delay_alu instid0(VALU_DEP_2)
	v_fma_f64 v[57:58], v[53:54], v[57:58], s[34:35]
	s_mov_b32 s34, 0x16291751
	s_mov_b32 s35, 0x3fcc71c0
	s_delay_alu instid0(VALU_DEP_1) | instid1(SALU_CYCLE_1)
	v_fma_f64 v[57:58], v[53:54], v[57:58], s[34:35]
	s_mov_b32 s34, 0x9b27acf1
	s_mov_b32 s35, 0x3fd24924
	s_delay_alu instid0(VALU_DEP_1) | instid1(SALU_CYCLE_1)
	;; [unrolled: 4-line block ×3, first 2 shown]
	v_fma_f64 v[57:58], v[53:54], v[57:58], s[34:35]
	s_delay_alu instid0(VALU_DEP_1) | instskip(SKIP_2) | instid1(VALU_DEP_3)
	v_fma_f64 v[53:54], v[53:54], v[57:58], s[24:25]
	v_ldexp_f64 v[57:58], v[51:52], 1
	v_add_f64 v[51:52], v[51:52], -v[55:56]
	v_mul_f64 v[53:54], v[59:60], v[53:54]
	v_cvt_f64_i32_e32 v[59:60], v96
	s_delay_alu instid0(VALU_DEP_3) | instskip(NEXT) | instid1(VALU_DEP_3)
	v_add_f64 v[49:50], v[49:50], -v[51:52]
	v_add_f64 v[55:56], v[57:58], v[53:54]
	s_delay_alu instid0(VALU_DEP_3) | instskip(NEXT) | instid1(VALU_DEP_3)
	v_mul_f64 v[61:62], v[59:60], s[26:27]
	v_ldexp_f64 v[49:50], v[49:50], 1
	s_delay_alu instid0(VALU_DEP_3) | instskip(NEXT) | instid1(VALU_DEP_3)
	v_add_f64 v[51:52], v[55:56], -v[57:58]
	v_fma_f64 v[57:58], v[59:60], s[26:27], -v[61:62]
	s_delay_alu instid0(VALU_DEP_2) | instskip(NEXT) | instid1(VALU_DEP_2)
	v_add_f64 v[51:52], v[53:54], -v[51:52]
	v_fma_f64 v[53:54], v[59:60], s[28:29], v[57:58]
	s_delay_alu instid0(VALU_DEP_2) | instskip(NEXT) | instid1(VALU_DEP_2)
	v_add_f64 v[49:50], v[49:50], v[51:52]
	v_add_f64 v[51:52], v[61:62], v[53:54]
	s_delay_alu instid0(VALU_DEP_2) | instskip(NEXT) | instid1(VALU_DEP_2)
	v_add_f64 v[57:58], v[55:56], v[49:50]
	v_add_f64 v[61:62], v[51:52], -v[61:62]
	s_delay_alu instid0(VALU_DEP_2) | instskip(SKIP_1) | instid1(VALU_DEP_3)
	v_add_f64 v[59:60], v[51:52], v[57:58]
	v_add_f64 v[55:56], v[57:58], -v[55:56]
	v_add_f64 v[53:54], v[53:54], -v[61:62]
	s_delay_alu instid0(VALU_DEP_3) | instskip(NEXT) | instid1(VALU_DEP_3)
	v_add_f64 v[69:70], v[59:60], -v[51:52]
	v_add_f64 v[49:50], v[49:50], -v[55:56]
	s_delay_alu instid0(VALU_DEP_2) | instskip(SKIP_1) | instid1(VALU_DEP_3)
	v_add_f64 v[71:72], v[59:60], -v[69:70]
	v_add_f64 v[55:56], v[57:58], -v[69:70]
	v_add_f64 v[57:58], v[53:54], v[49:50]
	s_delay_alu instid0(VALU_DEP_3) | instskip(NEXT) | instid1(VALU_DEP_1)
	v_add_f64 v[51:52], v[51:52], -v[71:72]
	v_add_f64 v[51:52], v[55:56], v[51:52]
	s_delay_alu instid0(VALU_DEP_3) | instskip(NEXT) | instid1(VALU_DEP_2)
	v_add_f64 v[55:56], v[57:58], -v[53:54]
	v_add_f64 v[51:52], v[57:58], v[51:52]
	s_delay_alu instid0(VALU_DEP_2) | instskip(SKIP_1) | instid1(VALU_DEP_3)
	v_add_f64 v[57:58], v[57:58], -v[55:56]
	v_add_f64 v[49:50], v[49:50], -v[55:56]
	v_add_f64 v[61:62], v[59:60], v[51:52]
	s_delay_alu instid0(VALU_DEP_3) | instskip(NEXT) | instid1(VALU_DEP_2)
	v_add_f64 v[53:54], v[53:54], -v[57:58]
	v_add_f64 v[55:56], v[61:62], -v[59:60]
	s_delay_alu instid0(VALU_DEP_2) | instskip(NEXT) | instid1(VALU_DEP_2)
	v_add_f64 v[49:50], v[49:50], v[53:54]
	v_add_f64 v[51:52], v[51:52], -v[55:56]
	s_delay_alu instid0(VALU_DEP_1) | instskip(NEXT) | instid1(VALU_DEP_1)
	v_add_f64 v[49:50], v[49:50], v[51:52]
	v_add_f64 v[49:50], v[61:62], v[49:50]
	s_delay_alu instid0(VALU_DEP_1) | instskip(NEXT) | instid1(VALU_DEP_2)
	v_cndmask_b32_e64 v49, v49, v47, s23
	v_cndmask_b32_e64 v50, v50, v48, s23
	v_cmp_ngt_f64_e64 s23, -1.0, v[47:48]
	s_delay_alu instid0(VALU_DEP_1) | instskip(SKIP_1) | instid1(VALU_DEP_1)
	v_cndmask_b32_e64 v50, 0x7ff80000, v50, s23
	v_cmp_nge_f64_e64 s23, -1.0, v[47:48]
	v_cndmask_b32_e64 v49, 0, v49, s23
	v_cmp_neq_f64_e64 s23, -1.0, v[47:48]
	s_delay_alu instid0(VALU_DEP_1) | instskip(NEXT) | instid1(VALU_DEP_1)
	v_cndmask_b32_e64 v50, 0xfff00000, v50, s23
	v_add_f64 v[69:70], v[45:46], v[49:50]
.LBB66_44:
	s_or_b32 exec_lo, exec_lo, s30
	v_max_f64 v[45:46], v[23:24], v[23:24]
	s_delay_alu instid0(VALU_DEP_2) | instskip(SKIP_2) | instid1(VALU_DEP_3)
	v_max_f64 v[47:48], v[69:70], v[69:70]
	v_cmp_u_f64_e64 s24, v[69:70], v[69:70]
	v_cmp_u_f64_e64 s23, v[23:24], v[23:24]
	v_min_f64 v[49:50], v[47:48], v[45:46]
	v_max_f64 v[47:48], v[47:48], v[45:46]
	s_delay_alu instid0(VALU_DEP_2) | instskip(NEXT) | instid1(VALU_DEP_3)
	v_cndmask_b32_e64 v49, v49, v69, s24
	v_cndmask_b32_e64 v50, v50, v70, s24
	s_delay_alu instid0(VALU_DEP_3) | instskip(NEXT) | instid1(VALU_DEP_4)
	v_cndmask_b32_e64 v48, v48, v70, s24
	v_cndmask_b32_e64 v47, v47, v69, s24
	s_delay_alu instid0(VALU_DEP_4) | instskip(NEXT) | instid1(VALU_DEP_4)
	v_cndmask_b32_e64 v49, v49, v23, s23
	v_cndmask_b32_e64 v50, v50, v24, s23
	s_delay_alu instid0(VALU_DEP_4) | instskip(NEXT) | instid1(VALU_DEP_4)
	v_cndmask_b32_e64 v48, v48, v24, s23
	v_cndmask_b32_e64 v47, v47, v23, s23
	s_delay_alu instid0(VALU_DEP_3) | instskip(NEXT) | instid1(VALU_DEP_2)
	v_cmp_class_f64_e64 s25, v[49:50], 0x1f8
	v_cmp_neq_f64_e64 s24, v[49:50], v[47:48]
	s_delay_alu instid0(VALU_DEP_1) | instskip(NEXT) | instid1(SALU_CYCLE_1)
	s_or_b32 s24, s24, s25
	s_and_saveexec_b32 s30, s24
	s_cbranch_execz .LBB66_46
; %bb.45:
	v_add_f64 v[49:50], v[49:50], -v[47:48]
	s_mov_b32 s24, 0x652b82fe
	s_mov_b32 s25, 0x3ff71547
	;; [unrolled: 1-line block ×10, first 2 shown]
	s_delay_alu instid0(VALU_DEP_1) | instskip(SKIP_2) | instid1(VALU_DEP_1)
	v_mul_f64 v[51:52], v[49:50], s[24:25]
	s_mov_b32 s24, 0xfca7ab0c
	s_mov_b32 s25, 0x3e928af3
	v_rndne_f64_e32 v[51:52], v[51:52]
	s_delay_alu instid0(VALU_DEP_1) | instskip(SKIP_2) | instid1(VALU_DEP_2)
	v_fma_f64 v[53:54], v[51:52], s[26:27], v[49:50]
	v_cvt_i32_f64_e32 v57, v[51:52]
	s_mov_b32 s27, 0x3fe62e42
	v_fma_f64 v[53:54], v[51:52], s[28:29], v[53:54]
	s_mov_b32 s29, 0x3c7abc9e
	s_delay_alu instid0(VALU_DEP_1) | instskip(SKIP_4) | instid1(VALU_DEP_1)
	v_fma_f64 v[55:56], v[53:54], s[34:35], s[24:25]
	s_mov_b32 s24, 0x623fde64
	s_mov_b32 s25, 0x3ec71dee
	;; [unrolled: 1-line block ×4, first 2 shown]
	v_fma_f64 v[55:56], v[53:54], v[55:56], s[24:25]
	s_mov_b32 s24, 0x7c89e6b0
	s_mov_b32 s25, 0x3efa0199
	s_delay_alu instid0(VALU_DEP_1) | instid1(SALU_CYCLE_1)
	v_fma_f64 v[55:56], v[53:54], v[55:56], s[24:25]
	s_mov_b32 s24, 0x14761f6e
	s_mov_b32 s25, 0x3f2a01a0
	s_delay_alu instid0(VALU_DEP_1) | instid1(SALU_CYCLE_1)
	;; [unrolled: 4-line block ×7, first 2 shown]
	v_fma_f64 v[55:56], v[53:54], v[55:56], s[24:25]
	v_cmp_nlt_f64_e64 s24, 0x40900000, v[49:50]
	v_cmp_ngt_f64_e64 s25, 0xc090cc00, v[49:50]
	s_delay_alu instid0(VALU_DEP_3) | instskip(NEXT) | instid1(VALU_DEP_1)
	v_fma_f64 v[55:56], v[53:54], v[55:56], 1.0
	v_fma_f64 v[51:52], v[53:54], v[55:56], 1.0
	s_delay_alu instid0(VALU_DEP_1) | instskip(NEXT) | instid1(VALU_DEP_1)
	v_ldexp_f64 v[51:52], v[51:52], v57
	v_cndmask_b32_e64 v52, 0x7ff00000, v52, s24
	s_and_b32 s24, s25, s24
	s_delay_alu instid0(VALU_DEP_2) | instid1(SALU_CYCLE_1)
	v_cndmask_b32_e64 v49, 0, v51, s24
	s_mov_b32 s24, 0x55555555
	s_delay_alu instid0(VALU_DEP_2) | instskip(SKIP_1) | instid1(VALU_DEP_1)
	v_cndmask_b32_e64 v50, 0, v52, s25
	s_mov_b32 s25, 0x3fe55555
	v_add_f64 v[51:52], v[49:50], 1.0
	s_delay_alu instid0(VALU_DEP_1) | instskip(SKIP_2) | instid1(VALU_DEP_3)
	v_frexp_mant_f64_e32 v[53:54], v[51:52]
	v_frexp_exp_i32_f64_e32 v57, v[51:52]
	v_add_f64 v[55:56], v[51:52], -1.0
	v_cmp_gt_f64_e64 s24, s[24:25], v[53:54]
	s_delay_alu instid0(VALU_DEP_2) | instskip(SKIP_1) | instid1(VALU_DEP_3)
	v_add_f64 v[53:54], v[55:56], -v[51:52]
	v_add_f64 v[55:56], v[49:50], -v[55:56]
	v_subrev_co_ci_u32_e64 v98, s24, 0, v57, s24
	s_delay_alu instid0(VALU_DEP_3) | instskip(SKIP_1) | instid1(VALU_DEP_2)
	v_add_f64 v[53:54], v[53:54], 1.0
	s_mov_b32 s24, 0x55555780
	v_sub_nc_u32_e32 v59, 0, v98
	s_delay_alu instid0(VALU_DEP_1) | instskip(NEXT) | instid1(VALU_DEP_3)
	v_ldexp_f64 v[51:52], v[51:52], v59
	v_add_f64 v[53:54], v[55:56], v[53:54]
	s_delay_alu instid0(VALU_DEP_2) | instskip(SKIP_1) | instid1(VALU_DEP_3)
	v_add_f64 v[57:58], v[51:52], 1.0
	v_add_f64 v[69:70], v[51:52], -1.0
	v_ldexp_f64 v[53:54], v[53:54], v59
	s_delay_alu instid0(VALU_DEP_3) | instskip(NEXT) | instid1(VALU_DEP_3)
	v_add_f64 v[55:56], v[57:58], -1.0
	v_add_f64 v[71:72], v[69:70], 1.0
	s_delay_alu instid0(VALU_DEP_2) | instskip(NEXT) | instid1(VALU_DEP_2)
	v_add_f64 v[55:56], v[51:52], -v[55:56]
	v_add_f64 v[51:52], v[51:52], -v[71:72]
	s_delay_alu instid0(VALU_DEP_2) | instskip(NEXT) | instid1(VALU_DEP_2)
	v_add_f64 v[55:56], v[53:54], v[55:56]
	v_add_f64 v[51:52], v[53:54], v[51:52]
	s_delay_alu instid0(VALU_DEP_2) | instskip(NEXT) | instid1(VALU_DEP_2)
	v_add_f64 v[59:60], v[57:58], v[55:56]
	v_add_f64 v[71:72], v[69:70], v[51:52]
	s_delay_alu instid0(VALU_DEP_2) | instskip(SKIP_1) | instid1(VALU_DEP_2)
	v_rcp_f64_e32 v[61:62], v[59:60]
	v_add_f64 v[57:58], v[59:60], -v[57:58]
	v_add_f64 v[69:70], v[71:72], -v[69:70]
	s_delay_alu instid0(VALU_DEP_2) | instskip(SKIP_3) | instid1(VALU_DEP_2)
	v_add_f64 v[55:56], v[55:56], -v[57:58]
	s_waitcnt_depctr 0xfff
	v_fma_f64 v[73:74], -v[59:60], v[61:62], 1.0
	v_add_f64 v[51:52], v[51:52], -v[69:70]
	v_fma_f64 v[61:62], v[73:74], v[61:62], v[61:62]
	s_delay_alu instid0(VALU_DEP_1) | instskip(NEXT) | instid1(VALU_DEP_1)
	v_fma_f64 v[53:54], -v[59:60], v[61:62], 1.0
	v_fma_f64 v[53:54], v[53:54], v[61:62], v[61:62]
	s_delay_alu instid0(VALU_DEP_1) | instskip(NEXT) | instid1(VALU_DEP_1)
	v_mul_f64 v[61:62], v[71:72], v[53:54]
	v_mul_f64 v[73:74], v[59:60], v[61:62]
	s_delay_alu instid0(VALU_DEP_1) | instskip(NEXT) | instid1(VALU_DEP_1)
	v_fma_f64 v[57:58], v[61:62], v[59:60], -v[73:74]
	v_fma_f64 v[57:58], v[61:62], v[55:56], v[57:58]
	s_delay_alu instid0(VALU_DEP_1) | instskip(NEXT) | instid1(VALU_DEP_1)
	v_add_f64 v[75:76], v[73:74], v[57:58]
	v_add_f64 v[96:97], v[71:72], -v[75:76]
	v_add_f64 v[69:70], v[75:76], -v[73:74]
	s_delay_alu instid0(VALU_DEP_2) | instskip(NEXT) | instid1(VALU_DEP_2)
	v_add_f64 v[71:72], v[71:72], -v[96:97]
	v_add_f64 v[57:58], v[69:70], -v[57:58]
	s_delay_alu instid0(VALU_DEP_2) | instskip(NEXT) | instid1(VALU_DEP_1)
	v_add_f64 v[71:72], v[71:72], -v[75:76]
	v_add_f64 v[51:52], v[51:52], v[71:72]
	s_delay_alu instid0(VALU_DEP_1) | instskip(NEXT) | instid1(VALU_DEP_1)
	v_add_f64 v[51:52], v[57:58], v[51:52]
	v_add_f64 v[57:58], v[96:97], v[51:52]
	s_delay_alu instid0(VALU_DEP_1) | instskip(SKIP_1) | instid1(VALU_DEP_2)
	v_mul_f64 v[69:70], v[53:54], v[57:58]
	v_add_f64 v[75:76], v[96:97], -v[57:58]
	v_mul_f64 v[71:72], v[59:60], v[69:70]
	s_delay_alu instid0(VALU_DEP_2) | instskip(NEXT) | instid1(VALU_DEP_2)
	v_add_f64 v[51:52], v[51:52], v[75:76]
	v_fma_f64 v[59:60], v[69:70], v[59:60], -v[71:72]
	s_delay_alu instid0(VALU_DEP_1) | instskip(NEXT) | instid1(VALU_DEP_1)
	v_fma_f64 v[55:56], v[69:70], v[55:56], v[59:60]
	v_add_f64 v[59:60], v[71:72], v[55:56]
	s_delay_alu instid0(VALU_DEP_1) | instskip(SKIP_1) | instid1(VALU_DEP_2)
	v_add_f64 v[73:74], v[57:58], -v[59:60]
	v_add_f64 v[71:72], v[59:60], -v[71:72]
	;; [unrolled: 1-line block ×3, first 2 shown]
	s_delay_alu instid0(VALU_DEP_2) | instskip(NEXT) | instid1(VALU_DEP_2)
	v_add_f64 v[55:56], v[71:72], -v[55:56]
	v_add_f64 v[57:58], v[57:58], -v[59:60]
	s_delay_alu instid0(VALU_DEP_1) | instskip(SKIP_1) | instid1(VALU_DEP_2)
	v_add_f64 v[51:52], v[51:52], v[57:58]
	v_add_f64 v[57:58], v[61:62], v[69:70]
	;; [unrolled: 1-line block ×3, first 2 shown]
	s_delay_alu instid0(VALU_DEP_2) | instskip(NEXT) | instid1(VALU_DEP_2)
	v_add_f64 v[55:56], v[57:58], -v[61:62]
	v_add_f64 v[51:52], v[73:74], v[51:52]
	s_delay_alu instid0(VALU_DEP_2) | instskip(NEXT) | instid1(VALU_DEP_2)
	v_add_f64 v[55:56], v[69:70], -v[55:56]
	v_mul_f64 v[51:52], v[53:54], v[51:52]
	s_delay_alu instid0(VALU_DEP_1) | instskip(NEXT) | instid1(VALU_DEP_1)
	v_add_f64 v[51:52], v[55:56], v[51:52]
	v_add_f64 v[53:54], v[57:58], v[51:52]
	s_delay_alu instid0(VALU_DEP_1) | instskip(NEXT) | instid1(VALU_DEP_1)
	v_mul_f64 v[55:56], v[53:54], v[53:54]
	v_fma_f64 v[59:60], v[55:56], s[36:37], s[34:35]
	s_mov_b32 s34, 0xd7f4df2e
	s_mov_b32 s35, 0x3fc7474d
	v_mul_f64 v[61:62], v[53:54], v[55:56]
	s_delay_alu instid0(VALU_DEP_2)
	v_fma_f64 v[59:60], v[55:56], v[59:60], s[34:35]
	s_mov_b32 s34, 0x16291751
	s_mov_b32 s35, 0x3fcc71c0
	s_delay_alu instid0(VALU_DEP_1) | instid1(SALU_CYCLE_1)
	v_fma_f64 v[59:60], v[55:56], v[59:60], s[34:35]
	s_mov_b32 s34, 0x9b27acf1
	s_mov_b32 s35, 0x3fd24924
	s_delay_alu instid0(VALU_DEP_1) | instid1(SALU_CYCLE_1)
	;; [unrolled: 4-line block ×3, first 2 shown]
	v_fma_f64 v[59:60], v[55:56], v[59:60], s[34:35]
	s_delay_alu instid0(VALU_DEP_1) | instskip(SKIP_3) | instid1(VALU_DEP_4)
	v_fma_f64 v[55:56], v[55:56], v[59:60], s[24:25]
	v_ldexp_f64 v[59:60], v[53:54], 1
	v_add_f64 v[53:54], v[53:54], -v[57:58]
	v_cmp_eq_f64_e64 s24, 0x7ff00000, v[49:50]
	v_mul_f64 v[55:56], v[61:62], v[55:56]
	v_cvt_f64_i32_e32 v[61:62], v98
	s_delay_alu instid0(VALU_DEP_4) | instskip(NEXT) | instid1(VALU_DEP_3)
	v_add_f64 v[51:52], v[51:52], -v[53:54]
	v_add_f64 v[57:58], v[59:60], v[55:56]
	s_delay_alu instid0(VALU_DEP_3) | instskip(NEXT) | instid1(VALU_DEP_3)
	v_mul_f64 v[69:70], v[61:62], s[26:27]
	v_ldexp_f64 v[51:52], v[51:52], 1
	s_delay_alu instid0(VALU_DEP_3) | instskip(NEXT) | instid1(VALU_DEP_3)
	v_add_f64 v[53:54], v[57:58], -v[59:60]
	v_fma_f64 v[59:60], v[61:62], s[26:27], -v[69:70]
	s_delay_alu instid0(VALU_DEP_2) | instskip(NEXT) | instid1(VALU_DEP_2)
	v_add_f64 v[53:54], v[55:56], -v[53:54]
	v_fma_f64 v[55:56], v[61:62], s[28:29], v[59:60]
	s_delay_alu instid0(VALU_DEP_2) | instskip(NEXT) | instid1(VALU_DEP_2)
	v_add_f64 v[51:52], v[51:52], v[53:54]
	v_add_f64 v[53:54], v[69:70], v[55:56]
	s_delay_alu instid0(VALU_DEP_2) | instskip(NEXT) | instid1(VALU_DEP_2)
	v_add_f64 v[59:60], v[57:58], v[51:52]
	v_add_f64 v[69:70], v[53:54], -v[69:70]
	s_delay_alu instid0(VALU_DEP_2) | instskip(SKIP_1) | instid1(VALU_DEP_3)
	v_add_f64 v[61:62], v[53:54], v[59:60]
	v_add_f64 v[57:58], v[59:60], -v[57:58]
	v_add_f64 v[55:56], v[55:56], -v[69:70]
	s_delay_alu instid0(VALU_DEP_3) | instskip(NEXT) | instid1(VALU_DEP_3)
	v_add_f64 v[71:72], v[61:62], -v[53:54]
	v_add_f64 v[51:52], v[51:52], -v[57:58]
	s_delay_alu instid0(VALU_DEP_2) | instskip(SKIP_1) | instid1(VALU_DEP_3)
	v_add_f64 v[73:74], v[61:62], -v[71:72]
	v_add_f64 v[57:58], v[59:60], -v[71:72]
	v_add_f64 v[59:60], v[55:56], v[51:52]
	s_delay_alu instid0(VALU_DEP_3) | instskip(NEXT) | instid1(VALU_DEP_1)
	v_add_f64 v[53:54], v[53:54], -v[73:74]
	v_add_f64 v[53:54], v[57:58], v[53:54]
	s_delay_alu instid0(VALU_DEP_3) | instskip(NEXT) | instid1(VALU_DEP_2)
	v_add_f64 v[57:58], v[59:60], -v[55:56]
	v_add_f64 v[53:54], v[59:60], v[53:54]
	s_delay_alu instid0(VALU_DEP_2) | instskip(SKIP_1) | instid1(VALU_DEP_3)
	v_add_f64 v[59:60], v[59:60], -v[57:58]
	v_add_f64 v[51:52], v[51:52], -v[57:58]
	v_add_f64 v[69:70], v[61:62], v[53:54]
	s_delay_alu instid0(VALU_DEP_3) | instskip(NEXT) | instid1(VALU_DEP_2)
	v_add_f64 v[55:56], v[55:56], -v[59:60]
	v_add_f64 v[57:58], v[69:70], -v[61:62]
	s_delay_alu instid0(VALU_DEP_2) | instskip(NEXT) | instid1(VALU_DEP_2)
	v_add_f64 v[51:52], v[51:52], v[55:56]
	v_add_f64 v[53:54], v[53:54], -v[57:58]
	s_delay_alu instid0(VALU_DEP_1) | instskip(NEXT) | instid1(VALU_DEP_1)
	v_add_f64 v[51:52], v[51:52], v[53:54]
	v_add_f64 v[51:52], v[69:70], v[51:52]
	s_delay_alu instid0(VALU_DEP_1) | instskip(NEXT) | instid1(VALU_DEP_2)
	v_cndmask_b32_e64 v51, v51, v49, s24
	v_cndmask_b32_e64 v52, v52, v50, s24
	v_cmp_ngt_f64_e64 s24, -1.0, v[49:50]
	s_delay_alu instid0(VALU_DEP_1) | instskip(SKIP_1) | instid1(VALU_DEP_1)
	v_cndmask_b32_e64 v52, 0x7ff80000, v52, s24
	v_cmp_nge_f64_e64 s24, -1.0, v[49:50]
	v_cndmask_b32_e64 v51, 0, v51, s24
	v_cmp_neq_f64_e64 s24, -1.0, v[49:50]
	s_delay_alu instid0(VALU_DEP_1) | instskip(NEXT) | instid1(VALU_DEP_1)
	v_cndmask_b32_e64 v52, 0xfff00000, v52, s24
	v_add_f64 v[69:70], v[47:48], v[51:52]
.LBB66_46:
	s_or_b32 exec_lo, exec_lo, s30
	v_max_f64 v[47:48], v[17:18], v[17:18]
	s_delay_alu instid0(VALU_DEP_2) | instskip(SKIP_2) | instid1(VALU_DEP_3)
	v_max_f64 v[49:50], v[69:70], v[69:70]
	v_cmp_u_f64_e64 s25, v[69:70], v[69:70]
	v_cmp_u_f64_e64 s24, v[17:18], v[17:18]
	v_min_f64 v[51:52], v[49:50], v[47:48]
	v_max_f64 v[49:50], v[49:50], v[47:48]
	s_delay_alu instid0(VALU_DEP_2) | instskip(NEXT) | instid1(VALU_DEP_3)
	v_cndmask_b32_e64 v51, v51, v69, s25
	v_cndmask_b32_e64 v52, v52, v70, s25
	s_delay_alu instid0(VALU_DEP_3) | instskip(NEXT) | instid1(VALU_DEP_4)
	v_cndmask_b32_e64 v50, v50, v70, s25
	v_cndmask_b32_e64 v49, v49, v69, s25
	s_delay_alu instid0(VALU_DEP_4) | instskip(NEXT) | instid1(VALU_DEP_4)
	v_cndmask_b32_e64 v51, v51, v17, s24
	v_cndmask_b32_e64 v52, v52, v18, s24
	s_delay_alu instid0(VALU_DEP_4) | instskip(NEXT) | instid1(VALU_DEP_4)
	v_cndmask_b32_e64 v50, v50, v18, s24
	v_cndmask_b32_e64 v49, v49, v17, s24
	s_delay_alu instid0(VALU_DEP_3) | instskip(NEXT) | instid1(VALU_DEP_2)
	v_cmp_class_f64_e64 s26, v[51:52], 0x1f8
	v_cmp_neq_f64_e64 s25, v[51:52], v[49:50]
	s_delay_alu instid0(VALU_DEP_1) | instskip(NEXT) | instid1(SALU_CYCLE_1)
	s_or_b32 s25, s25, s26
	s_and_saveexec_b32 s34, s25
	s_cbranch_execz .LBB66_48
; %bb.47:
	v_add_f64 v[51:52], v[51:52], -v[49:50]
	s_mov_b32 s26, 0x652b82fe
	s_mov_b32 s27, 0x3ff71547
	;; [unrolled: 1-line block ×10, first 2 shown]
	s_delay_alu instid0(VALU_DEP_1) | instskip(SKIP_3) | instid1(VALU_DEP_2)
	v_mul_f64 v[53:54], v[51:52], s[26:27]
	s_mov_b32 s26, 0xfca7ab0c
	s_mov_b32 s27, 0x3e928af3
	v_cmp_nlt_f64_e64 s25, 0x40900000, v[51:52]
	v_rndne_f64_e32 v[53:54], v[53:54]
	s_delay_alu instid0(VALU_DEP_1) | instskip(SKIP_2) | instid1(VALU_DEP_2)
	v_fma_f64 v[55:56], v[53:54], s[28:29], v[51:52]
	v_cvt_i32_f64_e32 v59, v[53:54]
	s_mov_b32 s29, 0x3fe62e42
	v_fma_f64 v[55:56], v[53:54], s[30:31], v[55:56]
	s_mov_b32 s31, 0x3c7abc9e
	s_delay_alu instid0(VALU_DEP_1) | instskip(SKIP_4) | instid1(VALU_DEP_1)
	v_fma_f64 v[57:58], v[55:56], s[36:37], s[26:27]
	s_mov_b32 s26, 0x623fde64
	s_mov_b32 s27, 0x3ec71dee
	;; [unrolled: 1-line block ×4, first 2 shown]
	v_fma_f64 v[57:58], v[55:56], v[57:58], s[26:27]
	s_mov_b32 s26, 0x7c89e6b0
	s_mov_b32 s27, 0x3efa0199
	s_delay_alu instid0(VALU_DEP_1) | instid1(SALU_CYCLE_1)
	v_fma_f64 v[57:58], v[55:56], v[57:58], s[26:27]
	s_mov_b32 s26, 0x14761f6e
	s_mov_b32 s27, 0x3f2a01a0
	s_delay_alu instid0(VALU_DEP_1) | instid1(SALU_CYCLE_1)
	;; [unrolled: 4-line block ×7, first 2 shown]
	v_fma_f64 v[57:58], v[55:56], v[57:58], s[26:27]
	v_cmp_ngt_f64_e64 s26, 0xc090cc00, v[51:52]
	s_mov_b32 s27, 0x3fe55555
	s_delay_alu instid0(VALU_DEP_2) | instskip(NEXT) | instid1(VALU_DEP_1)
	v_fma_f64 v[57:58], v[55:56], v[57:58], 1.0
	v_fma_f64 v[53:54], v[55:56], v[57:58], 1.0
	s_delay_alu instid0(VALU_DEP_1) | instskip(NEXT) | instid1(VALU_DEP_1)
	v_ldexp_f64 v[53:54], v[53:54], v59
	v_cndmask_b32_e64 v54, 0x7ff00000, v54, s25
	s_and_b32 s25, s26, s25
	s_delay_alu instid0(VALU_DEP_2) | instid1(SALU_CYCLE_1)
	v_cndmask_b32_e64 v51, 0, v53, s25
	s_delay_alu instid0(VALU_DEP_2) | instskip(SKIP_1) | instid1(VALU_DEP_1)
	v_cndmask_b32_e64 v52, 0, v54, s26
	s_mov_b32 s26, 0x55555555
	v_add_f64 v[53:54], v[51:52], 1.0
	s_delay_alu instid0(VALU_DEP_1) | instskip(SKIP_2) | instid1(VALU_DEP_3)
	v_frexp_mant_f64_e32 v[55:56], v[53:54]
	v_frexp_exp_i32_f64_e32 v59, v[53:54]
	v_add_f64 v[57:58], v[53:54], -1.0
	v_cmp_gt_f64_e64 s25, s[26:27], v[55:56]
	s_mov_b32 s26, 0x55555780
	s_delay_alu instid0(VALU_DEP_2) | instskip(SKIP_1) | instid1(VALU_DEP_3)
	v_add_f64 v[55:56], v[57:58], -v[53:54]
	v_add_f64 v[57:58], v[51:52], -v[57:58]
	v_subrev_co_ci_u32_e64 v100, s25, 0, v59, s25
	s_delay_alu instid0(VALU_DEP_3) | instskip(SKIP_1) | instid1(VALU_DEP_3)
	v_add_f64 v[55:56], v[55:56], 1.0
	v_cmp_eq_f64_e64 s25, 0x7ff00000, v[51:52]
	v_sub_nc_u32_e32 v61, 0, v100
	s_delay_alu instid0(VALU_DEP_1) | instskip(NEXT) | instid1(VALU_DEP_4)
	v_ldexp_f64 v[53:54], v[53:54], v61
	v_add_f64 v[55:56], v[57:58], v[55:56]
	s_delay_alu instid0(VALU_DEP_2) | instskip(SKIP_1) | instid1(VALU_DEP_3)
	v_add_f64 v[59:60], v[53:54], 1.0
	v_add_f64 v[71:72], v[53:54], -1.0
	v_ldexp_f64 v[55:56], v[55:56], v61
	s_delay_alu instid0(VALU_DEP_3) | instskip(NEXT) | instid1(VALU_DEP_3)
	v_add_f64 v[57:58], v[59:60], -1.0
	v_add_f64 v[73:74], v[71:72], 1.0
	s_delay_alu instid0(VALU_DEP_2) | instskip(NEXT) | instid1(VALU_DEP_2)
	v_add_f64 v[57:58], v[53:54], -v[57:58]
	v_add_f64 v[53:54], v[53:54], -v[73:74]
	s_delay_alu instid0(VALU_DEP_2) | instskip(NEXT) | instid1(VALU_DEP_2)
	v_add_f64 v[57:58], v[55:56], v[57:58]
	v_add_f64 v[53:54], v[55:56], v[53:54]
	s_delay_alu instid0(VALU_DEP_2) | instskip(NEXT) | instid1(VALU_DEP_2)
	v_add_f64 v[61:62], v[59:60], v[57:58]
	v_add_f64 v[73:74], v[71:72], v[53:54]
	s_delay_alu instid0(VALU_DEP_2) | instskip(SKIP_1) | instid1(VALU_DEP_2)
	v_rcp_f64_e32 v[69:70], v[61:62]
	v_add_f64 v[59:60], v[61:62], -v[59:60]
	v_add_f64 v[71:72], v[73:74], -v[71:72]
	s_delay_alu instid0(VALU_DEP_2) | instskip(SKIP_3) | instid1(VALU_DEP_2)
	v_add_f64 v[57:58], v[57:58], -v[59:60]
	s_waitcnt_depctr 0xfff
	v_fma_f64 v[75:76], -v[61:62], v[69:70], 1.0
	v_add_f64 v[53:54], v[53:54], -v[71:72]
	v_fma_f64 v[69:70], v[75:76], v[69:70], v[69:70]
	s_delay_alu instid0(VALU_DEP_1) | instskip(NEXT) | instid1(VALU_DEP_1)
	v_fma_f64 v[55:56], -v[61:62], v[69:70], 1.0
	v_fma_f64 v[55:56], v[55:56], v[69:70], v[69:70]
	s_delay_alu instid0(VALU_DEP_1) | instskip(NEXT) | instid1(VALU_DEP_1)
	v_mul_f64 v[69:70], v[73:74], v[55:56]
	v_mul_f64 v[75:76], v[61:62], v[69:70]
	s_delay_alu instid0(VALU_DEP_1) | instskip(NEXT) | instid1(VALU_DEP_1)
	v_fma_f64 v[59:60], v[69:70], v[61:62], -v[75:76]
	v_fma_f64 v[59:60], v[69:70], v[57:58], v[59:60]
	s_delay_alu instid0(VALU_DEP_1) | instskip(NEXT) | instid1(VALU_DEP_1)
	v_add_f64 v[96:97], v[75:76], v[59:60]
	v_add_f64 v[98:99], v[73:74], -v[96:97]
	v_add_f64 v[71:72], v[96:97], -v[75:76]
	s_delay_alu instid0(VALU_DEP_2) | instskip(NEXT) | instid1(VALU_DEP_2)
	v_add_f64 v[73:74], v[73:74], -v[98:99]
	v_add_f64 v[59:60], v[71:72], -v[59:60]
	s_delay_alu instid0(VALU_DEP_2) | instskip(NEXT) | instid1(VALU_DEP_1)
	v_add_f64 v[73:74], v[73:74], -v[96:97]
	v_add_f64 v[53:54], v[53:54], v[73:74]
	s_delay_alu instid0(VALU_DEP_1) | instskip(NEXT) | instid1(VALU_DEP_1)
	v_add_f64 v[53:54], v[59:60], v[53:54]
	v_add_f64 v[59:60], v[98:99], v[53:54]
	s_delay_alu instid0(VALU_DEP_1) | instskip(SKIP_1) | instid1(VALU_DEP_2)
	v_mul_f64 v[71:72], v[55:56], v[59:60]
	v_add_f64 v[96:97], v[98:99], -v[59:60]
	v_mul_f64 v[73:74], v[61:62], v[71:72]
	s_delay_alu instid0(VALU_DEP_2) | instskip(NEXT) | instid1(VALU_DEP_2)
	v_add_f64 v[53:54], v[53:54], v[96:97]
	v_fma_f64 v[61:62], v[71:72], v[61:62], -v[73:74]
	s_delay_alu instid0(VALU_DEP_1) | instskip(NEXT) | instid1(VALU_DEP_1)
	v_fma_f64 v[57:58], v[71:72], v[57:58], v[61:62]
	v_add_f64 v[61:62], v[73:74], v[57:58]
	s_delay_alu instid0(VALU_DEP_1) | instskip(SKIP_1) | instid1(VALU_DEP_2)
	v_add_f64 v[75:76], v[59:60], -v[61:62]
	v_add_f64 v[73:74], v[61:62], -v[73:74]
	;; [unrolled: 1-line block ×3, first 2 shown]
	s_delay_alu instid0(VALU_DEP_2) | instskip(NEXT) | instid1(VALU_DEP_2)
	v_add_f64 v[57:58], v[73:74], -v[57:58]
	v_add_f64 v[59:60], v[59:60], -v[61:62]
	s_delay_alu instid0(VALU_DEP_1) | instskip(SKIP_1) | instid1(VALU_DEP_2)
	v_add_f64 v[53:54], v[53:54], v[59:60]
	v_add_f64 v[59:60], v[69:70], v[71:72]
	;; [unrolled: 1-line block ×3, first 2 shown]
	s_delay_alu instid0(VALU_DEP_2) | instskip(NEXT) | instid1(VALU_DEP_2)
	v_add_f64 v[57:58], v[59:60], -v[69:70]
	v_add_f64 v[53:54], v[75:76], v[53:54]
	s_delay_alu instid0(VALU_DEP_2) | instskip(NEXT) | instid1(VALU_DEP_2)
	v_add_f64 v[57:58], v[71:72], -v[57:58]
	v_mul_f64 v[53:54], v[55:56], v[53:54]
	s_delay_alu instid0(VALU_DEP_1) | instskip(NEXT) | instid1(VALU_DEP_1)
	v_add_f64 v[53:54], v[57:58], v[53:54]
	v_add_f64 v[55:56], v[59:60], v[53:54]
	s_delay_alu instid0(VALU_DEP_1) | instskip(NEXT) | instid1(VALU_DEP_1)
	v_mul_f64 v[57:58], v[55:56], v[55:56]
	v_fma_f64 v[61:62], v[57:58], s[38:39], s[36:37]
	s_mov_b32 s36, 0xd7f4df2e
	s_mov_b32 s37, 0x3fc7474d
	v_mul_f64 v[69:70], v[55:56], v[57:58]
	s_delay_alu instid0(VALU_DEP_2)
	v_fma_f64 v[61:62], v[57:58], v[61:62], s[36:37]
	s_mov_b32 s36, 0x16291751
	s_mov_b32 s37, 0x3fcc71c0
	s_delay_alu instid0(VALU_DEP_1) | instid1(SALU_CYCLE_1)
	v_fma_f64 v[61:62], v[57:58], v[61:62], s[36:37]
	s_mov_b32 s36, 0x9b27acf1
	s_mov_b32 s37, 0x3fd24924
	s_delay_alu instid0(VALU_DEP_1) | instid1(SALU_CYCLE_1)
	;; [unrolled: 4-line block ×3, first 2 shown]
	v_fma_f64 v[61:62], v[57:58], v[61:62], s[36:37]
	s_delay_alu instid0(VALU_DEP_1) | instskip(SKIP_2) | instid1(VALU_DEP_3)
	v_fma_f64 v[57:58], v[57:58], v[61:62], s[26:27]
	v_ldexp_f64 v[61:62], v[55:56], 1
	v_add_f64 v[55:56], v[55:56], -v[59:60]
	v_mul_f64 v[57:58], v[69:70], v[57:58]
	v_cvt_f64_i32_e32 v[69:70], v100
	s_delay_alu instid0(VALU_DEP_3) | instskip(NEXT) | instid1(VALU_DEP_3)
	v_add_f64 v[53:54], v[53:54], -v[55:56]
	v_add_f64 v[59:60], v[61:62], v[57:58]
	s_delay_alu instid0(VALU_DEP_3) | instskip(NEXT) | instid1(VALU_DEP_3)
	v_mul_f64 v[71:72], v[69:70], s[28:29]
	v_ldexp_f64 v[53:54], v[53:54], 1
	s_delay_alu instid0(VALU_DEP_3) | instskip(NEXT) | instid1(VALU_DEP_3)
	v_add_f64 v[55:56], v[59:60], -v[61:62]
	v_fma_f64 v[61:62], v[69:70], s[28:29], -v[71:72]
	s_delay_alu instid0(VALU_DEP_2) | instskip(NEXT) | instid1(VALU_DEP_2)
	v_add_f64 v[55:56], v[57:58], -v[55:56]
	v_fma_f64 v[57:58], v[69:70], s[30:31], v[61:62]
	s_delay_alu instid0(VALU_DEP_2) | instskip(NEXT) | instid1(VALU_DEP_2)
	v_add_f64 v[53:54], v[53:54], v[55:56]
	v_add_f64 v[55:56], v[71:72], v[57:58]
	s_delay_alu instid0(VALU_DEP_2) | instskip(NEXT) | instid1(VALU_DEP_2)
	v_add_f64 v[61:62], v[59:60], v[53:54]
	v_add_f64 v[71:72], v[55:56], -v[71:72]
	s_delay_alu instid0(VALU_DEP_2) | instskip(SKIP_1) | instid1(VALU_DEP_3)
	v_add_f64 v[69:70], v[55:56], v[61:62]
	v_add_f64 v[59:60], v[61:62], -v[59:60]
	v_add_f64 v[57:58], v[57:58], -v[71:72]
	s_delay_alu instid0(VALU_DEP_3) | instskip(NEXT) | instid1(VALU_DEP_3)
	v_add_f64 v[73:74], v[69:70], -v[55:56]
	v_add_f64 v[53:54], v[53:54], -v[59:60]
	s_delay_alu instid0(VALU_DEP_2) | instskip(SKIP_1) | instid1(VALU_DEP_3)
	v_add_f64 v[75:76], v[69:70], -v[73:74]
	v_add_f64 v[59:60], v[61:62], -v[73:74]
	v_add_f64 v[61:62], v[57:58], v[53:54]
	s_delay_alu instid0(VALU_DEP_3) | instskip(NEXT) | instid1(VALU_DEP_1)
	v_add_f64 v[55:56], v[55:56], -v[75:76]
	v_add_f64 v[55:56], v[59:60], v[55:56]
	s_delay_alu instid0(VALU_DEP_3) | instskip(NEXT) | instid1(VALU_DEP_2)
	v_add_f64 v[59:60], v[61:62], -v[57:58]
	v_add_f64 v[55:56], v[61:62], v[55:56]
	s_delay_alu instid0(VALU_DEP_2) | instskip(SKIP_1) | instid1(VALU_DEP_3)
	v_add_f64 v[61:62], v[61:62], -v[59:60]
	v_add_f64 v[53:54], v[53:54], -v[59:60]
	v_add_f64 v[71:72], v[69:70], v[55:56]
	s_delay_alu instid0(VALU_DEP_3) | instskip(NEXT) | instid1(VALU_DEP_2)
	v_add_f64 v[57:58], v[57:58], -v[61:62]
	v_add_f64 v[59:60], v[71:72], -v[69:70]
	s_delay_alu instid0(VALU_DEP_2) | instskip(NEXT) | instid1(VALU_DEP_2)
	v_add_f64 v[53:54], v[53:54], v[57:58]
	v_add_f64 v[55:56], v[55:56], -v[59:60]
	s_delay_alu instid0(VALU_DEP_1) | instskip(NEXT) | instid1(VALU_DEP_1)
	v_add_f64 v[53:54], v[53:54], v[55:56]
	v_add_f64 v[53:54], v[71:72], v[53:54]
	s_delay_alu instid0(VALU_DEP_1) | instskip(NEXT) | instid1(VALU_DEP_2)
	v_cndmask_b32_e64 v53, v53, v51, s25
	v_cndmask_b32_e64 v54, v54, v52, s25
	v_cmp_ngt_f64_e64 s25, -1.0, v[51:52]
	s_delay_alu instid0(VALU_DEP_1) | instskip(SKIP_1) | instid1(VALU_DEP_1)
	v_cndmask_b32_e64 v54, 0x7ff80000, v54, s25
	v_cmp_nge_f64_e64 s25, -1.0, v[51:52]
	v_cndmask_b32_e64 v53, 0, v53, s25
	v_cmp_neq_f64_e64 s25, -1.0, v[51:52]
	s_delay_alu instid0(VALU_DEP_1) | instskip(NEXT) | instid1(VALU_DEP_1)
	v_cndmask_b32_e64 v54, 0xfff00000, v54, s25
	v_add_f64 v[69:70], v[49:50], v[53:54]
.LBB66_48:
	s_or_b32 exec_lo, exec_lo, s34
	v_max_f64 v[49:50], v[19:20], v[19:20]
	s_delay_alu instid0(VALU_DEP_2) | instskip(SKIP_2) | instid1(VALU_DEP_3)
	v_max_f64 v[51:52], v[69:70], v[69:70]
	v_cmp_u_f64_e64 s26, v[69:70], v[69:70]
	v_cmp_u_f64_e64 s25, v[19:20], v[19:20]
	v_min_f64 v[53:54], v[51:52], v[49:50]
	v_max_f64 v[51:52], v[51:52], v[49:50]
	s_delay_alu instid0(VALU_DEP_2) | instskip(NEXT) | instid1(VALU_DEP_3)
	v_cndmask_b32_e64 v53, v53, v69, s26
	v_cndmask_b32_e64 v54, v54, v70, s26
	s_delay_alu instid0(VALU_DEP_3) | instskip(NEXT) | instid1(VALU_DEP_4)
	v_cndmask_b32_e64 v52, v52, v70, s26
	v_cndmask_b32_e64 v51, v51, v69, s26
	s_delay_alu instid0(VALU_DEP_4) | instskip(NEXT) | instid1(VALU_DEP_4)
	v_cndmask_b32_e64 v53, v53, v19, s25
	v_cndmask_b32_e64 v54, v54, v20, s25
	s_delay_alu instid0(VALU_DEP_4) | instskip(NEXT) | instid1(VALU_DEP_4)
	v_cndmask_b32_e64 v52, v52, v20, s25
	v_cndmask_b32_e64 v51, v51, v19, s25
	s_delay_alu instid0(VALU_DEP_3) | instskip(NEXT) | instid1(VALU_DEP_2)
	v_cmp_class_f64_e64 s27, v[53:54], 0x1f8
	v_cmp_neq_f64_e64 s26, v[53:54], v[51:52]
	s_delay_alu instid0(VALU_DEP_1) | instskip(NEXT) | instid1(SALU_CYCLE_1)
	s_or_b32 s26, s26, s27
	s_and_saveexec_b32 s34, s26
	s_cbranch_execz .LBB66_50
; %bb.49:
	v_add_f64 v[53:54], v[53:54], -v[51:52]
	s_mov_b32 s26, 0x652b82fe
	s_mov_b32 s27, 0x3ff71547
	;; [unrolled: 1-line block ×10, first 2 shown]
	s_delay_alu instid0(VALU_DEP_1) | instskip(SKIP_2) | instid1(VALU_DEP_1)
	v_mul_f64 v[55:56], v[53:54], s[26:27]
	s_mov_b32 s26, 0xfca7ab0c
	s_mov_b32 s27, 0x3e928af3
	v_rndne_f64_e32 v[55:56], v[55:56]
	s_delay_alu instid0(VALU_DEP_1) | instskip(SKIP_2) | instid1(VALU_DEP_2)
	v_fma_f64 v[57:58], v[55:56], s[28:29], v[53:54]
	v_cvt_i32_f64_e32 v61, v[55:56]
	s_mov_b32 s29, 0x3fe62e42
	v_fma_f64 v[57:58], v[55:56], s[30:31], v[57:58]
	s_mov_b32 s31, 0x3c7abc9e
	s_delay_alu instid0(VALU_DEP_1) | instskip(SKIP_4) | instid1(VALU_DEP_1)
	v_fma_f64 v[59:60], v[57:58], s[36:37], s[26:27]
	s_mov_b32 s26, 0x623fde64
	s_mov_b32 s27, 0x3ec71dee
	;; [unrolled: 1-line block ×4, first 2 shown]
	v_fma_f64 v[59:60], v[57:58], v[59:60], s[26:27]
	s_mov_b32 s26, 0x7c89e6b0
	s_mov_b32 s27, 0x3efa0199
	s_delay_alu instid0(VALU_DEP_1) | instid1(SALU_CYCLE_1)
	v_fma_f64 v[59:60], v[57:58], v[59:60], s[26:27]
	s_mov_b32 s26, 0x14761f6e
	s_mov_b32 s27, 0x3f2a01a0
	s_delay_alu instid0(VALU_DEP_1) | instid1(SALU_CYCLE_1)
	;; [unrolled: 4-line block ×7, first 2 shown]
	v_fma_f64 v[59:60], v[57:58], v[59:60], s[26:27]
	v_cmp_nlt_f64_e64 s26, 0x40900000, v[53:54]
	v_cmp_ngt_f64_e64 s27, 0xc090cc00, v[53:54]
	s_delay_alu instid0(VALU_DEP_3) | instskip(NEXT) | instid1(VALU_DEP_1)
	v_fma_f64 v[59:60], v[57:58], v[59:60], 1.0
	v_fma_f64 v[55:56], v[57:58], v[59:60], 1.0
	s_delay_alu instid0(VALU_DEP_1) | instskip(NEXT) | instid1(VALU_DEP_1)
	v_ldexp_f64 v[55:56], v[55:56], v61
	v_cndmask_b32_e64 v56, 0x7ff00000, v56, s26
	s_and_b32 s26, s27, s26
	s_delay_alu instid0(VALU_DEP_2) | instid1(SALU_CYCLE_1)
	v_cndmask_b32_e64 v53, 0, v55, s26
	s_mov_b32 s26, 0x55555555
	s_delay_alu instid0(VALU_DEP_2) | instskip(SKIP_1) | instid1(VALU_DEP_1)
	v_cndmask_b32_e64 v54, 0, v56, s27
	s_mov_b32 s27, 0x3fe55555
	v_add_f64 v[55:56], v[53:54], 1.0
	s_delay_alu instid0(VALU_DEP_1) | instskip(SKIP_2) | instid1(VALU_DEP_3)
	v_frexp_mant_f64_e32 v[57:58], v[55:56]
	v_frexp_exp_i32_f64_e32 v61, v[55:56]
	v_add_f64 v[59:60], v[55:56], -1.0
	v_cmp_gt_f64_e64 s26, s[26:27], v[57:58]
	s_delay_alu instid0(VALU_DEP_2) | instskip(SKIP_1) | instid1(VALU_DEP_3)
	v_add_f64 v[57:58], v[59:60], -v[55:56]
	v_add_f64 v[59:60], v[53:54], -v[59:60]
	v_subrev_co_ci_u32_e64 v102, s26, 0, v61, s26
	s_delay_alu instid0(VALU_DEP_3) | instskip(SKIP_1) | instid1(VALU_DEP_2)
	v_add_f64 v[57:58], v[57:58], 1.0
	s_mov_b32 s26, 0x55555780
	v_sub_nc_u32_e32 v69, 0, v102
	s_delay_alu instid0(VALU_DEP_1) | instskip(NEXT) | instid1(VALU_DEP_3)
	v_ldexp_f64 v[55:56], v[55:56], v69
	v_add_f64 v[57:58], v[59:60], v[57:58]
	s_delay_alu instid0(VALU_DEP_2) | instskip(SKIP_1) | instid1(VALU_DEP_3)
	v_add_f64 v[61:62], v[55:56], 1.0
	v_add_f64 v[73:74], v[55:56], -1.0
	v_ldexp_f64 v[57:58], v[57:58], v69
	s_delay_alu instid0(VALU_DEP_3) | instskip(NEXT) | instid1(VALU_DEP_3)
	v_add_f64 v[59:60], v[61:62], -1.0
	v_add_f64 v[75:76], v[73:74], 1.0
	s_delay_alu instid0(VALU_DEP_2) | instskip(NEXT) | instid1(VALU_DEP_2)
	v_add_f64 v[59:60], v[55:56], -v[59:60]
	v_add_f64 v[55:56], v[55:56], -v[75:76]
	s_delay_alu instid0(VALU_DEP_2) | instskip(NEXT) | instid1(VALU_DEP_2)
	v_add_f64 v[59:60], v[57:58], v[59:60]
	v_add_f64 v[55:56], v[57:58], v[55:56]
	s_delay_alu instid0(VALU_DEP_2) | instskip(NEXT) | instid1(VALU_DEP_2)
	v_add_f64 v[69:70], v[61:62], v[59:60]
	v_add_f64 v[75:76], v[73:74], v[55:56]
	s_delay_alu instid0(VALU_DEP_2) | instskip(SKIP_1) | instid1(VALU_DEP_2)
	v_rcp_f64_e32 v[71:72], v[69:70]
	v_add_f64 v[61:62], v[69:70], -v[61:62]
	v_add_f64 v[73:74], v[75:76], -v[73:74]
	s_delay_alu instid0(VALU_DEP_2) | instskip(SKIP_3) | instid1(VALU_DEP_2)
	v_add_f64 v[59:60], v[59:60], -v[61:62]
	s_waitcnt_depctr 0xfff
	v_fma_f64 v[96:97], -v[69:70], v[71:72], 1.0
	v_add_f64 v[55:56], v[55:56], -v[73:74]
	v_fma_f64 v[71:72], v[96:97], v[71:72], v[71:72]
	s_delay_alu instid0(VALU_DEP_1) | instskip(NEXT) | instid1(VALU_DEP_1)
	v_fma_f64 v[57:58], -v[69:70], v[71:72], 1.0
	v_fma_f64 v[57:58], v[57:58], v[71:72], v[71:72]
	s_delay_alu instid0(VALU_DEP_1) | instskip(NEXT) | instid1(VALU_DEP_1)
	v_mul_f64 v[71:72], v[75:76], v[57:58]
	v_mul_f64 v[96:97], v[69:70], v[71:72]
	s_delay_alu instid0(VALU_DEP_1) | instskip(NEXT) | instid1(VALU_DEP_1)
	v_fma_f64 v[61:62], v[71:72], v[69:70], -v[96:97]
	v_fma_f64 v[61:62], v[71:72], v[59:60], v[61:62]
	s_delay_alu instid0(VALU_DEP_1) | instskip(NEXT) | instid1(VALU_DEP_1)
	v_add_f64 v[98:99], v[96:97], v[61:62]
	v_add_f64 v[100:101], v[75:76], -v[98:99]
	v_add_f64 v[73:74], v[98:99], -v[96:97]
	s_delay_alu instid0(VALU_DEP_2) | instskip(NEXT) | instid1(VALU_DEP_2)
	v_add_f64 v[75:76], v[75:76], -v[100:101]
	v_add_f64 v[61:62], v[73:74], -v[61:62]
	s_delay_alu instid0(VALU_DEP_2) | instskip(NEXT) | instid1(VALU_DEP_1)
	v_add_f64 v[75:76], v[75:76], -v[98:99]
	v_add_f64 v[55:56], v[55:56], v[75:76]
	s_delay_alu instid0(VALU_DEP_1) | instskip(NEXT) | instid1(VALU_DEP_1)
	v_add_f64 v[55:56], v[61:62], v[55:56]
	v_add_f64 v[61:62], v[100:101], v[55:56]
	s_delay_alu instid0(VALU_DEP_1) | instskip(SKIP_1) | instid1(VALU_DEP_2)
	v_mul_f64 v[73:74], v[57:58], v[61:62]
	v_add_f64 v[98:99], v[100:101], -v[61:62]
	v_mul_f64 v[75:76], v[69:70], v[73:74]
	s_delay_alu instid0(VALU_DEP_2) | instskip(NEXT) | instid1(VALU_DEP_2)
	v_add_f64 v[55:56], v[55:56], v[98:99]
	v_fma_f64 v[69:70], v[73:74], v[69:70], -v[75:76]
	s_delay_alu instid0(VALU_DEP_1) | instskip(NEXT) | instid1(VALU_DEP_1)
	v_fma_f64 v[59:60], v[73:74], v[59:60], v[69:70]
	v_add_f64 v[69:70], v[75:76], v[59:60]
	s_delay_alu instid0(VALU_DEP_1) | instskip(SKIP_1) | instid1(VALU_DEP_2)
	v_add_f64 v[96:97], v[61:62], -v[69:70]
	v_add_f64 v[75:76], v[69:70], -v[75:76]
	;; [unrolled: 1-line block ×3, first 2 shown]
	s_delay_alu instid0(VALU_DEP_2) | instskip(NEXT) | instid1(VALU_DEP_2)
	v_add_f64 v[59:60], v[75:76], -v[59:60]
	v_add_f64 v[61:62], v[61:62], -v[69:70]
	s_delay_alu instid0(VALU_DEP_1) | instskip(SKIP_1) | instid1(VALU_DEP_2)
	v_add_f64 v[55:56], v[55:56], v[61:62]
	v_add_f64 v[61:62], v[71:72], v[73:74]
	;; [unrolled: 1-line block ×3, first 2 shown]
	s_delay_alu instid0(VALU_DEP_2) | instskip(NEXT) | instid1(VALU_DEP_2)
	v_add_f64 v[59:60], v[61:62], -v[71:72]
	v_add_f64 v[55:56], v[96:97], v[55:56]
	s_delay_alu instid0(VALU_DEP_2) | instskip(NEXT) | instid1(VALU_DEP_2)
	v_add_f64 v[59:60], v[73:74], -v[59:60]
	v_mul_f64 v[55:56], v[57:58], v[55:56]
	s_delay_alu instid0(VALU_DEP_1) | instskip(NEXT) | instid1(VALU_DEP_1)
	v_add_f64 v[55:56], v[59:60], v[55:56]
	v_add_f64 v[57:58], v[61:62], v[55:56]
	s_delay_alu instid0(VALU_DEP_1) | instskip(NEXT) | instid1(VALU_DEP_1)
	v_mul_f64 v[59:60], v[57:58], v[57:58]
	v_fma_f64 v[69:70], v[59:60], s[38:39], s[36:37]
	s_mov_b32 s36, 0xd7f4df2e
	s_mov_b32 s37, 0x3fc7474d
	v_mul_f64 v[71:72], v[57:58], v[59:60]
	s_delay_alu instid0(VALU_DEP_2)
	v_fma_f64 v[69:70], v[59:60], v[69:70], s[36:37]
	s_mov_b32 s36, 0x16291751
	s_mov_b32 s37, 0x3fcc71c0
	s_delay_alu instid0(VALU_DEP_1) | instid1(SALU_CYCLE_1)
	v_fma_f64 v[69:70], v[59:60], v[69:70], s[36:37]
	s_mov_b32 s36, 0x9b27acf1
	s_mov_b32 s37, 0x3fd24924
	s_delay_alu instid0(VALU_DEP_1) | instid1(SALU_CYCLE_1)
	;; [unrolled: 4-line block ×3, first 2 shown]
	v_fma_f64 v[69:70], v[59:60], v[69:70], s[36:37]
	s_delay_alu instid0(VALU_DEP_1) | instskip(SKIP_3) | instid1(VALU_DEP_4)
	v_fma_f64 v[59:60], v[59:60], v[69:70], s[26:27]
	v_ldexp_f64 v[69:70], v[57:58], 1
	v_add_f64 v[57:58], v[57:58], -v[61:62]
	v_cmp_eq_f64_e64 s26, 0x7ff00000, v[53:54]
	v_mul_f64 v[59:60], v[71:72], v[59:60]
	v_cvt_f64_i32_e32 v[71:72], v102
	s_delay_alu instid0(VALU_DEP_4) | instskip(NEXT) | instid1(VALU_DEP_3)
	v_add_f64 v[55:56], v[55:56], -v[57:58]
	v_add_f64 v[61:62], v[69:70], v[59:60]
	s_delay_alu instid0(VALU_DEP_3) | instskip(NEXT) | instid1(VALU_DEP_3)
	v_mul_f64 v[73:74], v[71:72], s[28:29]
	v_ldexp_f64 v[55:56], v[55:56], 1
	s_delay_alu instid0(VALU_DEP_3) | instskip(NEXT) | instid1(VALU_DEP_3)
	v_add_f64 v[57:58], v[61:62], -v[69:70]
	v_fma_f64 v[69:70], v[71:72], s[28:29], -v[73:74]
	s_delay_alu instid0(VALU_DEP_2) | instskip(NEXT) | instid1(VALU_DEP_2)
	v_add_f64 v[57:58], v[59:60], -v[57:58]
	v_fma_f64 v[59:60], v[71:72], s[30:31], v[69:70]
	s_delay_alu instid0(VALU_DEP_2) | instskip(NEXT) | instid1(VALU_DEP_2)
	v_add_f64 v[55:56], v[55:56], v[57:58]
	v_add_f64 v[57:58], v[73:74], v[59:60]
	s_delay_alu instid0(VALU_DEP_2) | instskip(NEXT) | instid1(VALU_DEP_2)
	v_add_f64 v[69:70], v[61:62], v[55:56]
	v_add_f64 v[73:74], v[57:58], -v[73:74]
	s_delay_alu instid0(VALU_DEP_2) | instskip(SKIP_1) | instid1(VALU_DEP_3)
	v_add_f64 v[71:72], v[57:58], v[69:70]
	v_add_f64 v[61:62], v[69:70], -v[61:62]
	v_add_f64 v[59:60], v[59:60], -v[73:74]
	s_delay_alu instid0(VALU_DEP_3) | instskip(NEXT) | instid1(VALU_DEP_3)
	v_add_f64 v[75:76], v[71:72], -v[57:58]
	v_add_f64 v[55:56], v[55:56], -v[61:62]
	s_delay_alu instid0(VALU_DEP_2) | instskip(SKIP_1) | instid1(VALU_DEP_3)
	v_add_f64 v[96:97], v[71:72], -v[75:76]
	v_add_f64 v[61:62], v[69:70], -v[75:76]
	v_add_f64 v[69:70], v[59:60], v[55:56]
	s_delay_alu instid0(VALU_DEP_3) | instskip(NEXT) | instid1(VALU_DEP_1)
	v_add_f64 v[57:58], v[57:58], -v[96:97]
	v_add_f64 v[57:58], v[61:62], v[57:58]
	s_delay_alu instid0(VALU_DEP_3) | instskip(NEXT) | instid1(VALU_DEP_2)
	v_add_f64 v[61:62], v[69:70], -v[59:60]
	v_add_f64 v[57:58], v[69:70], v[57:58]
	s_delay_alu instid0(VALU_DEP_2) | instskip(SKIP_1) | instid1(VALU_DEP_3)
	v_add_f64 v[69:70], v[69:70], -v[61:62]
	v_add_f64 v[55:56], v[55:56], -v[61:62]
	v_add_f64 v[73:74], v[71:72], v[57:58]
	s_delay_alu instid0(VALU_DEP_3) | instskip(NEXT) | instid1(VALU_DEP_2)
	v_add_f64 v[59:60], v[59:60], -v[69:70]
	v_add_f64 v[61:62], v[73:74], -v[71:72]
	s_delay_alu instid0(VALU_DEP_2) | instskip(NEXT) | instid1(VALU_DEP_2)
	v_add_f64 v[55:56], v[55:56], v[59:60]
	v_add_f64 v[57:58], v[57:58], -v[61:62]
	s_delay_alu instid0(VALU_DEP_1) | instskip(NEXT) | instid1(VALU_DEP_1)
	v_add_f64 v[55:56], v[55:56], v[57:58]
	v_add_f64 v[55:56], v[73:74], v[55:56]
	s_delay_alu instid0(VALU_DEP_1) | instskip(NEXT) | instid1(VALU_DEP_2)
	v_cndmask_b32_e64 v55, v55, v53, s26
	v_cndmask_b32_e64 v56, v56, v54, s26
	v_cmp_ngt_f64_e64 s26, -1.0, v[53:54]
	s_delay_alu instid0(VALU_DEP_1) | instskip(SKIP_1) | instid1(VALU_DEP_1)
	v_cndmask_b32_e64 v56, 0x7ff80000, v56, s26
	v_cmp_nge_f64_e64 s26, -1.0, v[53:54]
	v_cndmask_b32_e64 v55, 0, v55, s26
	v_cmp_neq_f64_e64 s26, -1.0, v[53:54]
	s_delay_alu instid0(VALU_DEP_1) | instskip(NEXT) | instid1(VALU_DEP_1)
	v_cndmask_b32_e64 v56, 0xfff00000, v56, s26
	v_add_f64 v[69:70], v[51:52], v[55:56]
.LBB66_50:
	s_or_b32 exec_lo, exec_lo, s34
	v_max_f64 v[51:52], v[13:14], v[13:14]
	s_delay_alu instid0(VALU_DEP_2) | instskip(SKIP_2) | instid1(VALU_DEP_3)
	v_max_f64 v[53:54], v[69:70], v[69:70]
	v_cmp_u_f64_e64 s27, v[69:70], v[69:70]
	v_cmp_u_f64_e64 s26, v[13:14], v[13:14]
	v_min_f64 v[55:56], v[53:54], v[51:52]
	v_max_f64 v[53:54], v[53:54], v[51:52]
	s_delay_alu instid0(VALU_DEP_2) | instskip(NEXT) | instid1(VALU_DEP_3)
	v_cndmask_b32_e64 v55, v55, v69, s27
	v_cndmask_b32_e64 v56, v56, v70, s27
	s_delay_alu instid0(VALU_DEP_3) | instskip(NEXT) | instid1(VALU_DEP_4)
	v_cndmask_b32_e64 v54, v54, v70, s27
	v_cndmask_b32_e64 v53, v53, v69, s27
	s_delay_alu instid0(VALU_DEP_4) | instskip(NEXT) | instid1(VALU_DEP_4)
	v_cndmask_b32_e64 v55, v55, v13, s26
	v_cndmask_b32_e64 v56, v56, v14, s26
	s_delay_alu instid0(VALU_DEP_4) | instskip(NEXT) | instid1(VALU_DEP_4)
	v_cndmask_b32_e64 v54, v54, v14, s26
	v_cndmask_b32_e64 v53, v53, v13, s26
	s_delay_alu instid0(VALU_DEP_3) | instskip(NEXT) | instid1(VALU_DEP_2)
	v_cmp_class_f64_e64 s28, v[55:56], 0x1f8
	v_cmp_neq_f64_e64 s27, v[55:56], v[53:54]
	s_delay_alu instid0(VALU_DEP_1) | instskip(NEXT) | instid1(SALU_CYCLE_1)
	s_or_b32 s27, s27, s28
	s_and_saveexec_b32 s36, s27
	s_cbranch_execz .LBB66_52
; %bb.51:
	v_add_f64 v[55:56], v[55:56], -v[53:54]
	s_mov_b32 s28, 0x652b82fe
	s_mov_b32 s29, 0x3ff71547
	;; [unrolled: 1-line block ×10, first 2 shown]
	s_delay_alu instid0(VALU_DEP_1) | instskip(SKIP_3) | instid1(VALU_DEP_2)
	v_mul_f64 v[57:58], v[55:56], s[28:29]
	s_mov_b32 s28, 0xfca7ab0c
	s_mov_b32 s29, 0x3e928af3
	v_cmp_nlt_f64_e64 s27, 0x40900000, v[55:56]
	v_rndne_f64_e32 v[57:58], v[57:58]
	s_delay_alu instid0(VALU_DEP_1) | instskip(SKIP_2) | instid1(VALU_DEP_2)
	v_fma_f64 v[59:60], v[57:58], s[30:31], v[55:56]
	v_cvt_i32_f64_e32 v69, v[57:58]
	s_mov_b32 s31, 0x3fe62e42
	v_fma_f64 v[59:60], v[57:58], s[34:35], v[59:60]
	s_mov_b32 s35, 0x3c7abc9e
	s_delay_alu instid0(VALU_DEP_1) | instskip(SKIP_4) | instid1(VALU_DEP_1)
	v_fma_f64 v[61:62], v[59:60], s[38:39], s[28:29]
	s_mov_b32 s28, 0x623fde64
	s_mov_b32 s29, 0x3ec71dee
	;; [unrolled: 1-line block ×4, first 2 shown]
	v_fma_f64 v[61:62], v[59:60], v[61:62], s[28:29]
	s_mov_b32 s28, 0x7c89e6b0
	s_mov_b32 s29, 0x3efa0199
	s_delay_alu instid0(VALU_DEP_1) | instid1(SALU_CYCLE_1)
	v_fma_f64 v[61:62], v[59:60], v[61:62], s[28:29]
	s_mov_b32 s28, 0x14761f6e
	s_mov_b32 s29, 0x3f2a01a0
	s_delay_alu instid0(VALU_DEP_1) | instid1(SALU_CYCLE_1)
	v_fma_f64 v[61:62], v[59:60], v[61:62], s[28:29]
	s_mov_b32 s28, 0x1852b7b0
	s_mov_b32 s29, 0x3f56c16c
	s_delay_alu instid0(VALU_DEP_1) | instid1(SALU_CYCLE_1)
	v_fma_f64 v[61:62], v[59:60], v[61:62], s[28:29]
	s_mov_b32 s28, 0x11122322
	s_mov_b32 s29, 0x3f811111
	s_delay_alu instid0(VALU_DEP_1) | instid1(SALU_CYCLE_1)
	v_fma_f64 v[61:62], v[59:60], v[61:62], s[28:29]
	s_mov_b32 s28, 0x555502a1
	s_mov_b32 s29, 0x3fa55555
	s_delay_alu instid0(VALU_DEP_1) | instid1(SALU_CYCLE_1)
	v_fma_f64 v[61:62], v[59:60], v[61:62], s[28:29]
	s_mov_b32 s28, 0x55555511
	s_mov_b32 s29, 0x3fc55555
	s_delay_alu instid0(VALU_DEP_1) | instid1(SALU_CYCLE_1)
	v_fma_f64 v[61:62], v[59:60], v[61:62], s[28:29]
	s_mov_b32 s28, 11
	s_mov_b32 s29, 0x3fe00000
	s_delay_alu instid0(VALU_DEP_1) | instid1(SALU_CYCLE_1)
	v_fma_f64 v[61:62], v[59:60], v[61:62], s[28:29]
	v_cmp_ngt_f64_e64 s28, 0xc090cc00, v[55:56]
	s_mov_b32 s29, 0x3fe55555
	s_delay_alu instid0(VALU_DEP_2) | instskip(NEXT) | instid1(VALU_DEP_1)
	v_fma_f64 v[61:62], v[59:60], v[61:62], 1.0
	v_fma_f64 v[57:58], v[59:60], v[61:62], 1.0
	s_delay_alu instid0(VALU_DEP_1) | instskip(NEXT) | instid1(VALU_DEP_1)
	v_ldexp_f64 v[57:58], v[57:58], v69
	v_cndmask_b32_e64 v58, 0x7ff00000, v58, s27
	s_and_b32 s27, s28, s27
	s_delay_alu instid0(VALU_DEP_2) | instid1(SALU_CYCLE_1)
	v_cndmask_b32_e64 v55, 0, v57, s27
	s_delay_alu instid0(VALU_DEP_2) | instskip(SKIP_1) | instid1(VALU_DEP_1)
	v_cndmask_b32_e64 v56, 0, v58, s28
	s_mov_b32 s28, 0x55555555
	v_add_f64 v[57:58], v[55:56], 1.0
	s_delay_alu instid0(VALU_DEP_1) | instskip(SKIP_2) | instid1(VALU_DEP_3)
	v_frexp_mant_f64_e32 v[59:60], v[57:58]
	v_frexp_exp_i32_f64_e32 v69, v[57:58]
	v_add_f64 v[61:62], v[57:58], -1.0
	v_cmp_gt_f64_e64 s27, s[28:29], v[59:60]
	s_mov_b32 s28, 0x55555780
	s_delay_alu instid0(VALU_DEP_2) | instskip(SKIP_1) | instid1(VALU_DEP_3)
	v_add_f64 v[59:60], v[61:62], -v[57:58]
	v_add_f64 v[61:62], v[55:56], -v[61:62]
	v_subrev_co_ci_u32_e64 v104, s27, 0, v69, s27
	s_delay_alu instid0(VALU_DEP_3) | instskip(SKIP_1) | instid1(VALU_DEP_3)
	v_add_f64 v[59:60], v[59:60], 1.0
	v_cmp_eq_f64_e64 s27, 0x7ff00000, v[55:56]
	v_sub_nc_u32_e32 v71, 0, v104
	s_delay_alu instid0(VALU_DEP_1) | instskip(NEXT) | instid1(VALU_DEP_4)
	v_ldexp_f64 v[57:58], v[57:58], v71
	v_add_f64 v[59:60], v[61:62], v[59:60]
	s_delay_alu instid0(VALU_DEP_2) | instskip(SKIP_1) | instid1(VALU_DEP_3)
	v_add_f64 v[69:70], v[57:58], 1.0
	v_add_f64 v[75:76], v[57:58], -1.0
	v_ldexp_f64 v[59:60], v[59:60], v71
	s_delay_alu instid0(VALU_DEP_3) | instskip(NEXT) | instid1(VALU_DEP_3)
	v_add_f64 v[61:62], v[69:70], -1.0
	v_add_f64 v[96:97], v[75:76], 1.0
	s_delay_alu instid0(VALU_DEP_2) | instskip(NEXT) | instid1(VALU_DEP_2)
	v_add_f64 v[61:62], v[57:58], -v[61:62]
	v_add_f64 v[57:58], v[57:58], -v[96:97]
	s_delay_alu instid0(VALU_DEP_2) | instskip(NEXT) | instid1(VALU_DEP_2)
	v_add_f64 v[61:62], v[59:60], v[61:62]
	v_add_f64 v[57:58], v[59:60], v[57:58]
	s_delay_alu instid0(VALU_DEP_2) | instskip(NEXT) | instid1(VALU_DEP_2)
	v_add_f64 v[71:72], v[69:70], v[61:62]
	v_add_f64 v[96:97], v[75:76], v[57:58]
	s_delay_alu instid0(VALU_DEP_2) | instskip(SKIP_1) | instid1(VALU_DEP_2)
	v_rcp_f64_e32 v[73:74], v[71:72]
	v_add_f64 v[69:70], v[71:72], -v[69:70]
	v_add_f64 v[75:76], v[96:97], -v[75:76]
	s_delay_alu instid0(VALU_DEP_2) | instskip(SKIP_3) | instid1(VALU_DEP_2)
	v_add_f64 v[61:62], v[61:62], -v[69:70]
	s_waitcnt_depctr 0xfff
	v_fma_f64 v[98:99], -v[71:72], v[73:74], 1.0
	v_add_f64 v[57:58], v[57:58], -v[75:76]
	v_fma_f64 v[73:74], v[98:99], v[73:74], v[73:74]
	s_delay_alu instid0(VALU_DEP_1) | instskip(NEXT) | instid1(VALU_DEP_1)
	v_fma_f64 v[59:60], -v[71:72], v[73:74], 1.0
	v_fma_f64 v[59:60], v[59:60], v[73:74], v[73:74]
	s_delay_alu instid0(VALU_DEP_1) | instskip(NEXT) | instid1(VALU_DEP_1)
	v_mul_f64 v[73:74], v[96:97], v[59:60]
	v_mul_f64 v[98:99], v[71:72], v[73:74]
	s_delay_alu instid0(VALU_DEP_1) | instskip(NEXT) | instid1(VALU_DEP_1)
	v_fma_f64 v[69:70], v[73:74], v[71:72], -v[98:99]
	v_fma_f64 v[69:70], v[73:74], v[61:62], v[69:70]
	s_delay_alu instid0(VALU_DEP_1) | instskip(NEXT) | instid1(VALU_DEP_1)
	v_add_f64 v[100:101], v[98:99], v[69:70]
	v_add_f64 v[102:103], v[96:97], -v[100:101]
	v_add_f64 v[75:76], v[100:101], -v[98:99]
	s_delay_alu instid0(VALU_DEP_2) | instskip(NEXT) | instid1(VALU_DEP_2)
	v_add_f64 v[96:97], v[96:97], -v[102:103]
	v_add_f64 v[69:70], v[75:76], -v[69:70]
	s_delay_alu instid0(VALU_DEP_2) | instskip(NEXT) | instid1(VALU_DEP_1)
	v_add_f64 v[96:97], v[96:97], -v[100:101]
	v_add_f64 v[57:58], v[57:58], v[96:97]
	s_delay_alu instid0(VALU_DEP_1) | instskip(NEXT) | instid1(VALU_DEP_1)
	v_add_f64 v[57:58], v[69:70], v[57:58]
	v_add_f64 v[69:70], v[102:103], v[57:58]
	s_delay_alu instid0(VALU_DEP_1) | instskip(SKIP_1) | instid1(VALU_DEP_2)
	v_mul_f64 v[75:76], v[59:60], v[69:70]
	v_add_f64 v[100:101], v[102:103], -v[69:70]
	v_mul_f64 v[96:97], v[71:72], v[75:76]
	s_delay_alu instid0(VALU_DEP_2) | instskip(NEXT) | instid1(VALU_DEP_2)
	v_add_f64 v[57:58], v[57:58], v[100:101]
	v_fma_f64 v[71:72], v[75:76], v[71:72], -v[96:97]
	s_delay_alu instid0(VALU_DEP_1) | instskip(NEXT) | instid1(VALU_DEP_1)
	v_fma_f64 v[61:62], v[75:76], v[61:62], v[71:72]
	v_add_f64 v[71:72], v[96:97], v[61:62]
	s_delay_alu instid0(VALU_DEP_1) | instskip(SKIP_1) | instid1(VALU_DEP_2)
	v_add_f64 v[98:99], v[69:70], -v[71:72]
	v_add_f64 v[96:97], v[71:72], -v[96:97]
	v_add_f64 v[69:70], v[69:70], -v[98:99]
	s_delay_alu instid0(VALU_DEP_2) | instskip(NEXT) | instid1(VALU_DEP_2)
	v_add_f64 v[61:62], v[96:97], -v[61:62]
	v_add_f64 v[69:70], v[69:70], -v[71:72]
	s_delay_alu instid0(VALU_DEP_1) | instskip(SKIP_1) | instid1(VALU_DEP_2)
	v_add_f64 v[57:58], v[57:58], v[69:70]
	v_add_f64 v[69:70], v[73:74], v[75:76]
	;; [unrolled: 1-line block ×3, first 2 shown]
	s_delay_alu instid0(VALU_DEP_2) | instskip(NEXT) | instid1(VALU_DEP_2)
	v_add_f64 v[61:62], v[69:70], -v[73:74]
	v_add_f64 v[57:58], v[98:99], v[57:58]
	s_delay_alu instid0(VALU_DEP_2) | instskip(NEXT) | instid1(VALU_DEP_2)
	v_add_f64 v[61:62], v[75:76], -v[61:62]
	v_mul_f64 v[57:58], v[59:60], v[57:58]
	s_delay_alu instid0(VALU_DEP_1) | instskip(NEXT) | instid1(VALU_DEP_1)
	v_add_f64 v[57:58], v[61:62], v[57:58]
	v_add_f64 v[59:60], v[69:70], v[57:58]
	s_delay_alu instid0(VALU_DEP_1) | instskip(NEXT) | instid1(VALU_DEP_1)
	v_mul_f64 v[61:62], v[59:60], v[59:60]
	v_fma_f64 v[71:72], v[61:62], s[40:41], s[38:39]
	s_mov_b32 s38, 0xd7f4df2e
	s_mov_b32 s39, 0x3fc7474d
	v_mul_f64 v[73:74], v[59:60], v[61:62]
	s_delay_alu instid0(VALU_DEP_2)
	v_fma_f64 v[71:72], v[61:62], v[71:72], s[38:39]
	s_mov_b32 s38, 0x16291751
	s_mov_b32 s39, 0x3fcc71c0
	s_delay_alu instid0(VALU_DEP_1) | instid1(SALU_CYCLE_1)
	v_fma_f64 v[71:72], v[61:62], v[71:72], s[38:39]
	s_mov_b32 s38, 0x9b27acf1
	s_mov_b32 s39, 0x3fd24924
	s_delay_alu instid0(VALU_DEP_1) | instid1(SALU_CYCLE_1)
	;; [unrolled: 4-line block ×3, first 2 shown]
	v_fma_f64 v[71:72], v[61:62], v[71:72], s[38:39]
	s_delay_alu instid0(VALU_DEP_1) | instskip(SKIP_2) | instid1(VALU_DEP_3)
	v_fma_f64 v[61:62], v[61:62], v[71:72], s[28:29]
	v_ldexp_f64 v[71:72], v[59:60], 1
	v_add_f64 v[59:60], v[59:60], -v[69:70]
	v_mul_f64 v[61:62], v[73:74], v[61:62]
	v_cvt_f64_i32_e32 v[73:74], v104
	s_delay_alu instid0(VALU_DEP_3) | instskip(NEXT) | instid1(VALU_DEP_3)
	v_add_f64 v[57:58], v[57:58], -v[59:60]
	v_add_f64 v[69:70], v[71:72], v[61:62]
	s_delay_alu instid0(VALU_DEP_3) | instskip(NEXT) | instid1(VALU_DEP_3)
	v_mul_f64 v[75:76], v[73:74], s[30:31]
	v_ldexp_f64 v[57:58], v[57:58], 1
	s_delay_alu instid0(VALU_DEP_3) | instskip(NEXT) | instid1(VALU_DEP_3)
	v_add_f64 v[59:60], v[69:70], -v[71:72]
	v_fma_f64 v[71:72], v[73:74], s[30:31], -v[75:76]
	s_delay_alu instid0(VALU_DEP_2) | instskip(NEXT) | instid1(VALU_DEP_2)
	v_add_f64 v[59:60], v[61:62], -v[59:60]
	v_fma_f64 v[61:62], v[73:74], s[34:35], v[71:72]
	s_delay_alu instid0(VALU_DEP_2) | instskip(NEXT) | instid1(VALU_DEP_2)
	v_add_f64 v[57:58], v[57:58], v[59:60]
	v_add_f64 v[59:60], v[75:76], v[61:62]
	s_delay_alu instid0(VALU_DEP_2) | instskip(NEXT) | instid1(VALU_DEP_2)
	v_add_f64 v[71:72], v[69:70], v[57:58]
	v_add_f64 v[75:76], v[59:60], -v[75:76]
	s_delay_alu instid0(VALU_DEP_2) | instskip(SKIP_1) | instid1(VALU_DEP_3)
	v_add_f64 v[73:74], v[59:60], v[71:72]
	v_add_f64 v[69:70], v[71:72], -v[69:70]
	v_add_f64 v[61:62], v[61:62], -v[75:76]
	s_delay_alu instid0(VALU_DEP_3) | instskip(NEXT) | instid1(VALU_DEP_3)
	v_add_f64 v[96:97], v[73:74], -v[59:60]
	v_add_f64 v[57:58], v[57:58], -v[69:70]
	s_delay_alu instid0(VALU_DEP_2) | instskip(SKIP_1) | instid1(VALU_DEP_3)
	v_add_f64 v[98:99], v[73:74], -v[96:97]
	v_add_f64 v[69:70], v[71:72], -v[96:97]
	v_add_f64 v[71:72], v[61:62], v[57:58]
	s_delay_alu instid0(VALU_DEP_3) | instskip(NEXT) | instid1(VALU_DEP_1)
	v_add_f64 v[59:60], v[59:60], -v[98:99]
	v_add_f64 v[59:60], v[69:70], v[59:60]
	s_delay_alu instid0(VALU_DEP_3) | instskip(NEXT) | instid1(VALU_DEP_2)
	v_add_f64 v[69:70], v[71:72], -v[61:62]
	v_add_f64 v[59:60], v[71:72], v[59:60]
	s_delay_alu instid0(VALU_DEP_2) | instskip(SKIP_1) | instid1(VALU_DEP_3)
	v_add_f64 v[71:72], v[71:72], -v[69:70]
	v_add_f64 v[57:58], v[57:58], -v[69:70]
	v_add_f64 v[75:76], v[73:74], v[59:60]
	s_delay_alu instid0(VALU_DEP_3) | instskip(NEXT) | instid1(VALU_DEP_2)
	v_add_f64 v[61:62], v[61:62], -v[71:72]
	v_add_f64 v[69:70], v[75:76], -v[73:74]
	s_delay_alu instid0(VALU_DEP_2) | instskip(NEXT) | instid1(VALU_DEP_2)
	v_add_f64 v[57:58], v[57:58], v[61:62]
	v_add_f64 v[59:60], v[59:60], -v[69:70]
	s_delay_alu instid0(VALU_DEP_1) | instskip(NEXT) | instid1(VALU_DEP_1)
	v_add_f64 v[57:58], v[57:58], v[59:60]
	v_add_f64 v[57:58], v[75:76], v[57:58]
	s_delay_alu instid0(VALU_DEP_1) | instskip(NEXT) | instid1(VALU_DEP_2)
	v_cndmask_b32_e64 v57, v57, v55, s27
	v_cndmask_b32_e64 v58, v58, v56, s27
	v_cmp_ngt_f64_e64 s27, -1.0, v[55:56]
	s_delay_alu instid0(VALU_DEP_1) | instskip(SKIP_1) | instid1(VALU_DEP_1)
	v_cndmask_b32_e64 v58, 0x7ff80000, v58, s27
	v_cmp_nge_f64_e64 s27, -1.0, v[55:56]
	v_cndmask_b32_e64 v57, 0, v57, s27
	v_cmp_neq_f64_e64 s27, -1.0, v[55:56]
	s_delay_alu instid0(VALU_DEP_1) | instskip(NEXT) | instid1(VALU_DEP_1)
	v_cndmask_b32_e64 v58, 0xfff00000, v58, s27
	v_add_f64 v[69:70], v[53:54], v[57:58]
.LBB66_52:
	s_or_b32 exec_lo, exec_lo, s36
	v_max_f64 v[53:54], v[15:16], v[15:16]
	s_delay_alu instid0(VALU_DEP_2) | instskip(SKIP_2) | instid1(VALU_DEP_3)
	v_max_f64 v[55:56], v[69:70], v[69:70]
	v_cmp_u_f64_e64 s28, v[69:70], v[69:70]
	v_cmp_u_f64_e64 s27, v[15:16], v[15:16]
	v_min_f64 v[57:58], v[55:56], v[53:54]
	v_max_f64 v[55:56], v[55:56], v[53:54]
	s_delay_alu instid0(VALU_DEP_2) | instskip(NEXT) | instid1(VALU_DEP_3)
	v_cndmask_b32_e64 v57, v57, v69, s28
	v_cndmask_b32_e64 v58, v58, v70, s28
	s_delay_alu instid0(VALU_DEP_3) | instskip(NEXT) | instid1(VALU_DEP_4)
	v_cndmask_b32_e64 v56, v56, v70, s28
	v_cndmask_b32_e64 v55, v55, v69, s28
	s_delay_alu instid0(VALU_DEP_4) | instskip(NEXT) | instid1(VALU_DEP_4)
	v_cndmask_b32_e64 v57, v57, v15, s27
	v_cndmask_b32_e64 v58, v58, v16, s27
	s_delay_alu instid0(VALU_DEP_4) | instskip(NEXT) | instid1(VALU_DEP_4)
	v_cndmask_b32_e64 v56, v56, v16, s27
	v_cndmask_b32_e64 v55, v55, v15, s27
	s_delay_alu instid0(VALU_DEP_3) | instskip(NEXT) | instid1(VALU_DEP_2)
	v_cmp_class_f64_e64 s29, v[57:58], 0x1f8
	v_cmp_neq_f64_e64 s28, v[57:58], v[55:56]
	s_delay_alu instid0(VALU_DEP_1) | instskip(NEXT) | instid1(SALU_CYCLE_1)
	s_or_b32 s28, s28, s29
	s_and_saveexec_b32 s36, s28
	s_cbranch_execz .LBB66_54
; %bb.53:
	v_add_f64 v[57:58], v[57:58], -v[55:56]
	s_mov_b32 s28, 0x652b82fe
	s_mov_b32 s29, 0x3ff71547
	;; [unrolled: 1-line block ×10, first 2 shown]
	s_delay_alu instid0(VALU_DEP_1) | instskip(SKIP_2) | instid1(VALU_DEP_1)
	v_mul_f64 v[59:60], v[57:58], s[28:29]
	s_mov_b32 s28, 0xfca7ab0c
	s_mov_b32 s29, 0x3e928af3
	v_rndne_f64_e32 v[59:60], v[59:60]
	s_delay_alu instid0(VALU_DEP_1) | instskip(SKIP_2) | instid1(VALU_DEP_2)
	v_fma_f64 v[61:62], v[59:60], s[30:31], v[57:58]
	v_cvt_i32_f64_e32 v71, v[59:60]
	s_mov_b32 s31, 0x3fe62e42
	v_fma_f64 v[61:62], v[59:60], s[34:35], v[61:62]
	s_mov_b32 s35, 0x3c7abc9e
	s_delay_alu instid0(VALU_DEP_1) | instskip(SKIP_4) | instid1(VALU_DEP_1)
	v_fma_f64 v[69:70], v[61:62], s[38:39], s[28:29]
	s_mov_b32 s28, 0x623fde64
	s_mov_b32 s29, 0x3ec71dee
	s_mov_b32 s38, 0x6b47b09a
	s_mov_b32 s39, 0x3fc38538
	v_fma_f64 v[69:70], v[61:62], v[69:70], s[28:29]
	s_mov_b32 s28, 0x7c89e6b0
	s_mov_b32 s29, 0x3efa0199
	s_delay_alu instid0(VALU_DEP_1) | instid1(SALU_CYCLE_1)
	v_fma_f64 v[69:70], v[61:62], v[69:70], s[28:29]
	s_mov_b32 s28, 0x14761f6e
	s_mov_b32 s29, 0x3f2a01a0
	s_delay_alu instid0(VALU_DEP_1) | instid1(SALU_CYCLE_1)
	;; [unrolled: 4-line block ×7, first 2 shown]
	v_fma_f64 v[69:70], v[61:62], v[69:70], s[28:29]
	v_cmp_nlt_f64_e64 s28, 0x40900000, v[57:58]
	v_cmp_ngt_f64_e64 s29, 0xc090cc00, v[57:58]
	s_delay_alu instid0(VALU_DEP_3) | instskip(NEXT) | instid1(VALU_DEP_1)
	v_fma_f64 v[69:70], v[61:62], v[69:70], 1.0
	v_fma_f64 v[59:60], v[61:62], v[69:70], 1.0
	s_delay_alu instid0(VALU_DEP_1) | instskip(NEXT) | instid1(VALU_DEP_1)
	v_ldexp_f64 v[59:60], v[59:60], v71
	v_cndmask_b32_e64 v60, 0x7ff00000, v60, s28
	s_and_b32 s28, s29, s28
	s_delay_alu instid0(VALU_DEP_2) | instid1(SALU_CYCLE_1)
	v_cndmask_b32_e64 v57, 0, v59, s28
	s_mov_b32 s28, 0x55555555
	s_delay_alu instid0(VALU_DEP_2) | instskip(SKIP_1) | instid1(VALU_DEP_1)
	v_cndmask_b32_e64 v58, 0, v60, s29
	s_mov_b32 s29, 0x3fe55555
	v_add_f64 v[59:60], v[57:58], 1.0
	s_delay_alu instid0(VALU_DEP_1) | instskip(SKIP_2) | instid1(VALU_DEP_3)
	v_frexp_mant_f64_e32 v[61:62], v[59:60]
	v_frexp_exp_i32_f64_e32 v71, v[59:60]
	v_add_f64 v[69:70], v[59:60], -1.0
	v_cmp_gt_f64_e64 s28, s[28:29], v[61:62]
	s_delay_alu instid0(VALU_DEP_2) | instskip(SKIP_1) | instid1(VALU_DEP_3)
	v_add_f64 v[61:62], v[69:70], -v[59:60]
	v_add_f64 v[69:70], v[57:58], -v[69:70]
	v_subrev_co_ci_u32_e64 v106, s28, 0, v71, s28
	s_delay_alu instid0(VALU_DEP_3) | instskip(SKIP_1) | instid1(VALU_DEP_2)
	v_add_f64 v[61:62], v[61:62], 1.0
	s_mov_b32 s28, 0x55555780
	v_sub_nc_u32_e32 v73, 0, v106
	s_delay_alu instid0(VALU_DEP_1) | instskip(NEXT) | instid1(VALU_DEP_3)
	v_ldexp_f64 v[59:60], v[59:60], v73
	v_add_f64 v[61:62], v[69:70], v[61:62]
	s_delay_alu instid0(VALU_DEP_2) | instskip(SKIP_1) | instid1(VALU_DEP_3)
	v_add_f64 v[71:72], v[59:60], 1.0
	v_add_f64 v[96:97], v[59:60], -1.0
	v_ldexp_f64 v[61:62], v[61:62], v73
	s_delay_alu instid0(VALU_DEP_3) | instskip(NEXT) | instid1(VALU_DEP_3)
	v_add_f64 v[69:70], v[71:72], -1.0
	v_add_f64 v[98:99], v[96:97], 1.0
	s_delay_alu instid0(VALU_DEP_2) | instskip(NEXT) | instid1(VALU_DEP_2)
	v_add_f64 v[69:70], v[59:60], -v[69:70]
	v_add_f64 v[59:60], v[59:60], -v[98:99]
	s_delay_alu instid0(VALU_DEP_2) | instskip(NEXT) | instid1(VALU_DEP_2)
	v_add_f64 v[69:70], v[61:62], v[69:70]
	v_add_f64 v[59:60], v[61:62], v[59:60]
	s_delay_alu instid0(VALU_DEP_2) | instskip(NEXT) | instid1(VALU_DEP_2)
	v_add_f64 v[73:74], v[71:72], v[69:70]
	v_add_f64 v[98:99], v[96:97], v[59:60]
	s_delay_alu instid0(VALU_DEP_2) | instskip(SKIP_1) | instid1(VALU_DEP_2)
	v_rcp_f64_e32 v[75:76], v[73:74]
	v_add_f64 v[71:72], v[73:74], -v[71:72]
	v_add_f64 v[96:97], v[98:99], -v[96:97]
	s_delay_alu instid0(VALU_DEP_2) | instskip(SKIP_3) | instid1(VALU_DEP_2)
	v_add_f64 v[69:70], v[69:70], -v[71:72]
	s_waitcnt_depctr 0xfff
	v_fma_f64 v[100:101], -v[73:74], v[75:76], 1.0
	v_add_f64 v[59:60], v[59:60], -v[96:97]
	v_fma_f64 v[75:76], v[100:101], v[75:76], v[75:76]
	s_delay_alu instid0(VALU_DEP_1) | instskip(NEXT) | instid1(VALU_DEP_1)
	v_fma_f64 v[61:62], -v[73:74], v[75:76], 1.0
	v_fma_f64 v[61:62], v[61:62], v[75:76], v[75:76]
	s_delay_alu instid0(VALU_DEP_1) | instskip(NEXT) | instid1(VALU_DEP_1)
	v_mul_f64 v[75:76], v[98:99], v[61:62]
	v_mul_f64 v[100:101], v[73:74], v[75:76]
	s_delay_alu instid0(VALU_DEP_1) | instskip(NEXT) | instid1(VALU_DEP_1)
	v_fma_f64 v[71:72], v[75:76], v[73:74], -v[100:101]
	v_fma_f64 v[71:72], v[75:76], v[69:70], v[71:72]
	s_delay_alu instid0(VALU_DEP_1) | instskip(NEXT) | instid1(VALU_DEP_1)
	v_add_f64 v[102:103], v[100:101], v[71:72]
	v_add_f64 v[104:105], v[98:99], -v[102:103]
	v_add_f64 v[96:97], v[102:103], -v[100:101]
	s_delay_alu instid0(VALU_DEP_2) | instskip(NEXT) | instid1(VALU_DEP_2)
	v_add_f64 v[98:99], v[98:99], -v[104:105]
	v_add_f64 v[71:72], v[96:97], -v[71:72]
	s_delay_alu instid0(VALU_DEP_2) | instskip(NEXT) | instid1(VALU_DEP_1)
	v_add_f64 v[98:99], v[98:99], -v[102:103]
	v_add_f64 v[59:60], v[59:60], v[98:99]
	s_delay_alu instid0(VALU_DEP_1) | instskip(NEXT) | instid1(VALU_DEP_1)
	v_add_f64 v[59:60], v[71:72], v[59:60]
	v_add_f64 v[71:72], v[104:105], v[59:60]
	s_delay_alu instid0(VALU_DEP_1) | instskip(SKIP_1) | instid1(VALU_DEP_2)
	v_mul_f64 v[96:97], v[61:62], v[71:72]
	v_add_f64 v[102:103], v[104:105], -v[71:72]
	v_mul_f64 v[98:99], v[73:74], v[96:97]
	s_delay_alu instid0(VALU_DEP_2) | instskip(NEXT) | instid1(VALU_DEP_2)
	v_add_f64 v[59:60], v[59:60], v[102:103]
	v_fma_f64 v[73:74], v[96:97], v[73:74], -v[98:99]
	s_delay_alu instid0(VALU_DEP_1) | instskip(NEXT) | instid1(VALU_DEP_1)
	v_fma_f64 v[69:70], v[96:97], v[69:70], v[73:74]
	v_add_f64 v[73:74], v[98:99], v[69:70]
	s_delay_alu instid0(VALU_DEP_1) | instskip(SKIP_1) | instid1(VALU_DEP_2)
	v_add_f64 v[100:101], v[71:72], -v[73:74]
	v_add_f64 v[98:99], v[73:74], -v[98:99]
	;; [unrolled: 1-line block ×3, first 2 shown]
	s_delay_alu instid0(VALU_DEP_2) | instskip(NEXT) | instid1(VALU_DEP_2)
	v_add_f64 v[69:70], v[98:99], -v[69:70]
	v_add_f64 v[71:72], v[71:72], -v[73:74]
	s_delay_alu instid0(VALU_DEP_1) | instskip(SKIP_1) | instid1(VALU_DEP_2)
	v_add_f64 v[59:60], v[59:60], v[71:72]
	v_add_f64 v[71:72], v[75:76], v[96:97]
	;; [unrolled: 1-line block ×3, first 2 shown]
	s_delay_alu instid0(VALU_DEP_2) | instskip(NEXT) | instid1(VALU_DEP_2)
	v_add_f64 v[69:70], v[71:72], -v[75:76]
	v_add_f64 v[59:60], v[100:101], v[59:60]
	s_delay_alu instid0(VALU_DEP_2) | instskip(NEXT) | instid1(VALU_DEP_2)
	v_add_f64 v[69:70], v[96:97], -v[69:70]
	v_mul_f64 v[59:60], v[61:62], v[59:60]
	s_delay_alu instid0(VALU_DEP_1) | instskip(NEXT) | instid1(VALU_DEP_1)
	v_add_f64 v[59:60], v[69:70], v[59:60]
	v_add_f64 v[61:62], v[71:72], v[59:60]
	s_delay_alu instid0(VALU_DEP_1) | instskip(NEXT) | instid1(VALU_DEP_1)
	v_mul_f64 v[69:70], v[61:62], v[61:62]
	v_fma_f64 v[73:74], v[69:70], s[40:41], s[38:39]
	s_mov_b32 s38, 0xd7f4df2e
	s_mov_b32 s39, 0x3fc7474d
	v_mul_f64 v[75:76], v[61:62], v[69:70]
	s_delay_alu instid0(VALU_DEP_2)
	v_fma_f64 v[73:74], v[69:70], v[73:74], s[38:39]
	s_mov_b32 s38, 0x16291751
	s_mov_b32 s39, 0x3fcc71c0
	s_delay_alu instid0(VALU_DEP_1) | instid1(SALU_CYCLE_1)
	v_fma_f64 v[73:74], v[69:70], v[73:74], s[38:39]
	s_mov_b32 s38, 0x9b27acf1
	s_mov_b32 s39, 0x3fd24924
	s_delay_alu instid0(VALU_DEP_1) | instid1(SALU_CYCLE_1)
	;; [unrolled: 4-line block ×3, first 2 shown]
	v_fma_f64 v[73:74], v[69:70], v[73:74], s[38:39]
	s_delay_alu instid0(VALU_DEP_1) | instskip(SKIP_3) | instid1(VALU_DEP_4)
	v_fma_f64 v[69:70], v[69:70], v[73:74], s[28:29]
	v_ldexp_f64 v[73:74], v[61:62], 1
	v_add_f64 v[61:62], v[61:62], -v[71:72]
	v_cmp_eq_f64_e64 s28, 0x7ff00000, v[57:58]
	v_mul_f64 v[69:70], v[75:76], v[69:70]
	v_cvt_f64_i32_e32 v[75:76], v106
	s_delay_alu instid0(VALU_DEP_4) | instskip(NEXT) | instid1(VALU_DEP_3)
	v_add_f64 v[59:60], v[59:60], -v[61:62]
	v_add_f64 v[71:72], v[73:74], v[69:70]
	s_delay_alu instid0(VALU_DEP_3) | instskip(NEXT) | instid1(VALU_DEP_3)
	v_mul_f64 v[96:97], v[75:76], s[30:31]
	v_ldexp_f64 v[59:60], v[59:60], 1
	s_delay_alu instid0(VALU_DEP_3) | instskip(NEXT) | instid1(VALU_DEP_3)
	v_add_f64 v[61:62], v[71:72], -v[73:74]
	v_fma_f64 v[73:74], v[75:76], s[30:31], -v[96:97]
	s_delay_alu instid0(VALU_DEP_2) | instskip(NEXT) | instid1(VALU_DEP_2)
	v_add_f64 v[61:62], v[69:70], -v[61:62]
	v_fma_f64 v[69:70], v[75:76], s[34:35], v[73:74]
	s_delay_alu instid0(VALU_DEP_2) | instskip(NEXT) | instid1(VALU_DEP_2)
	v_add_f64 v[59:60], v[59:60], v[61:62]
	v_add_f64 v[61:62], v[96:97], v[69:70]
	s_delay_alu instid0(VALU_DEP_2) | instskip(NEXT) | instid1(VALU_DEP_2)
	v_add_f64 v[73:74], v[71:72], v[59:60]
	v_add_f64 v[96:97], v[61:62], -v[96:97]
	s_delay_alu instid0(VALU_DEP_2) | instskip(SKIP_1) | instid1(VALU_DEP_3)
	v_add_f64 v[75:76], v[61:62], v[73:74]
	v_add_f64 v[71:72], v[73:74], -v[71:72]
	v_add_f64 v[69:70], v[69:70], -v[96:97]
	s_delay_alu instid0(VALU_DEP_3) | instskip(NEXT) | instid1(VALU_DEP_3)
	v_add_f64 v[98:99], v[75:76], -v[61:62]
	v_add_f64 v[59:60], v[59:60], -v[71:72]
	s_delay_alu instid0(VALU_DEP_2) | instskip(SKIP_1) | instid1(VALU_DEP_3)
	v_add_f64 v[100:101], v[75:76], -v[98:99]
	v_add_f64 v[71:72], v[73:74], -v[98:99]
	v_add_f64 v[73:74], v[69:70], v[59:60]
	s_delay_alu instid0(VALU_DEP_3) | instskip(NEXT) | instid1(VALU_DEP_1)
	v_add_f64 v[61:62], v[61:62], -v[100:101]
	v_add_f64 v[61:62], v[71:72], v[61:62]
	s_delay_alu instid0(VALU_DEP_3) | instskip(NEXT) | instid1(VALU_DEP_2)
	v_add_f64 v[71:72], v[73:74], -v[69:70]
	v_add_f64 v[61:62], v[73:74], v[61:62]
	s_delay_alu instid0(VALU_DEP_2) | instskip(SKIP_1) | instid1(VALU_DEP_3)
	v_add_f64 v[73:74], v[73:74], -v[71:72]
	v_add_f64 v[59:60], v[59:60], -v[71:72]
	v_add_f64 v[96:97], v[75:76], v[61:62]
	s_delay_alu instid0(VALU_DEP_3) | instskip(NEXT) | instid1(VALU_DEP_2)
	v_add_f64 v[69:70], v[69:70], -v[73:74]
	v_add_f64 v[71:72], v[96:97], -v[75:76]
	s_delay_alu instid0(VALU_DEP_2) | instskip(NEXT) | instid1(VALU_DEP_2)
	v_add_f64 v[59:60], v[59:60], v[69:70]
	v_add_f64 v[61:62], v[61:62], -v[71:72]
	s_delay_alu instid0(VALU_DEP_1) | instskip(NEXT) | instid1(VALU_DEP_1)
	v_add_f64 v[59:60], v[59:60], v[61:62]
	v_add_f64 v[59:60], v[96:97], v[59:60]
	s_delay_alu instid0(VALU_DEP_1) | instskip(NEXT) | instid1(VALU_DEP_2)
	v_cndmask_b32_e64 v59, v59, v57, s28
	v_cndmask_b32_e64 v60, v60, v58, s28
	v_cmp_ngt_f64_e64 s28, -1.0, v[57:58]
	s_delay_alu instid0(VALU_DEP_1) | instskip(SKIP_1) | instid1(VALU_DEP_1)
	v_cndmask_b32_e64 v60, 0x7ff80000, v60, s28
	v_cmp_nge_f64_e64 s28, -1.0, v[57:58]
	v_cndmask_b32_e64 v59, 0, v59, s28
	v_cmp_neq_f64_e64 s28, -1.0, v[57:58]
	s_delay_alu instid0(VALU_DEP_1) | instskip(NEXT) | instid1(VALU_DEP_1)
	v_cndmask_b32_e64 v60, 0xfff00000, v60, s28
	v_add_f64 v[69:70], v[55:56], v[59:60]
.LBB66_54:
	s_or_b32 exec_lo, exec_lo, s36
	v_max_f64 v[55:56], v[9:10], v[9:10]
	s_delay_alu instid0(VALU_DEP_2) | instskip(SKIP_2) | instid1(VALU_DEP_3)
	v_max_f64 v[57:58], v[69:70], v[69:70]
	v_cmp_u_f64_e64 s29, v[69:70], v[69:70]
	v_cmp_u_f64_e64 s28, v[9:10], v[9:10]
	v_min_f64 v[59:60], v[57:58], v[55:56]
	v_max_f64 v[57:58], v[57:58], v[55:56]
	s_delay_alu instid0(VALU_DEP_2) | instskip(NEXT) | instid1(VALU_DEP_3)
	v_cndmask_b32_e64 v59, v59, v69, s29
	v_cndmask_b32_e64 v60, v60, v70, s29
	s_delay_alu instid0(VALU_DEP_3) | instskip(NEXT) | instid1(VALU_DEP_4)
	v_cndmask_b32_e64 v58, v58, v70, s29
	v_cndmask_b32_e64 v57, v57, v69, s29
	s_delay_alu instid0(VALU_DEP_4) | instskip(NEXT) | instid1(VALU_DEP_4)
	v_cndmask_b32_e64 v59, v59, v9, s28
	v_cndmask_b32_e64 v60, v60, v10, s28
	s_delay_alu instid0(VALU_DEP_4) | instskip(NEXT) | instid1(VALU_DEP_4)
	v_cndmask_b32_e64 v58, v58, v10, s28
	v_cndmask_b32_e64 v57, v57, v9, s28
	s_delay_alu instid0(VALU_DEP_3) | instskip(NEXT) | instid1(VALU_DEP_2)
	v_cmp_class_f64_e64 s30, v[59:60], 0x1f8
	v_cmp_neq_f64_e64 s29, v[59:60], v[57:58]
	s_delay_alu instid0(VALU_DEP_1) | instskip(NEXT) | instid1(SALU_CYCLE_1)
	s_or_b32 s29, s29, s30
	s_and_saveexec_b32 s38, s29
	s_cbranch_execz .LBB66_56
; %bb.55:
	v_add_f64 v[59:60], v[59:60], -v[57:58]
	s_mov_b32 s30, 0x652b82fe
	s_mov_b32 s31, 0x3ff71547
	;; [unrolled: 1-line block ×10, first 2 shown]
	s_delay_alu instid0(VALU_DEP_1) | instskip(SKIP_3) | instid1(VALU_DEP_2)
	v_mul_f64 v[61:62], v[59:60], s[30:31]
	s_mov_b32 s30, 0xfca7ab0c
	s_mov_b32 s31, 0x3e928af3
	v_cmp_nlt_f64_e64 s29, 0x40900000, v[59:60]
	v_rndne_f64_e32 v[61:62], v[61:62]
	s_delay_alu instid0(VALU_DEP_1) | instskip(SKIP_2) | instid1(VALU_DEP_2)
	v_fma_f64 v[69:70], v[61:62], s[34:35], v[59:60]
	v_cvt_i32_f64_e32 v73, v[61:62]
	s_mov_b32 s35, 0x3fe62e42
	v_fma_f64 v[69:70], v[61:62], s[36:37], v[69:70]
	s_mov_b32 s37, 0x3c7abc9e
	s_delay_alu instid0(VALU_DEP_1) | instskip(SKIP_4) | instid1(VALU_DEP_1)
	v_fma_f64 v[71:72], v[69:70], s[40:41], s[30:31]
	s_mov_b32 s30, 0x623fde64
	s_mov_b32 s31, 0x3ec71dee
	;; [unrolled: 1-line block ×4, first 2 shown]
	v_fma_f64 v[71:72], v[69:70], v[71:72], s[30:31]
	s_mov_b32 s30, 0x7c89e6b0
	s_mov_b32 s31, 0x3efa0199
	s_delay_alu instid0(VALU_DEP_1) | instid1(SALU_CYCLE_1)
	v_fma_f64 v[71:72], v[69:70], v[71:72], s[30:31]
	s_mov_b32 s30, 0x14761f6e
	s_mov_b32 s31, 0x3f2a01a0
	s_delay_alu instid0(VALU_DEP_1) | instid1(SALU_CYCLE_1)
	;; [unrolled: 4-line block ×7, first 2 shown]
	v_fma_f64 v[71:72], v[69:70], v[71:72], s[30:31]
	v_cmp_ngt_f64_e64 s30, 0xc090cc00, v[59:60]
	s_mov_b32 s31, 0x3fe55555
	s_delay_alu instid0(VALU_DEP_2) | instskip(NEXT) | instid1(VALU_DEP_1)
	v_fma_f64 v[71:72], v[69:70], v[71:72], 1.0
	v_fma_f64 v[61:62], v[69:70], v[71:72], 1.0
	s_delay_alu instid0(VALU_DEP_1) | instskip(NEXT) | instid1(VALU_DEP_1)
	v_ldexp_f64 v[61:62], v[61:62], v73
	v_cndmask_b32_e64 v62, 0x7ff00000, v62, s29
	s_and_b32 s29, s30, s29
	s_delay_alu instid0(VALU_DEP_2) | instid1(SALU_CYCLE_1)
	v_cndmask_b32_e64 v59, 0, v61, s29
	s_delay_alu instid0(VALU_DEP_2) | instskip(SKIP_1) | instid1(VALU_DEP_1)
	v_cndmask_b32_e64 v60, 0, v62, s30
	s_mov_b32 s30, 0x55555555
	v_add_f64 v[61:62], v[59:60], 1.0
	s_delay_alu instid0(VALU_DEP_1) | instskip(SKIP_2) | instid1(VALU_DEP_3)
	v_frexp_mant_f64_e32 v[69:70], v[61:62]
	v_frexp_exp_i32_f64_e32 v73, v[61:62]
	v_add_f64 v[71:72], v[61:62], -1.0
	v_cmp_gt_f64_e64 s29, s[30:31], v[69:70]
	s_mov_b32 s30, 0x55555780
	s_delay_alu instid0(VALU_DEP_2) | instskip(SKIP_1) | instid1(VALU_DEP_3)
	v_add_f64 v[69:70], v[71:72], -v[61:62]
	v_add_f64 v[71:72], v[59:60], -v[71:72]
	v_subrev_co_ci_u32_e64 v108, s29, 0, v73, s29
	s_delay_alu instid0(VALU_DEP_3) | instskip(SKIP_1) | instid1(VALU_DEP_3)
	v_add_f64 v[69:70], v[69:70], 1.0
	v_cmp_eq_f64_e64 s29, 0x7ff00000, v[59:60]
	v_sub_nc_u32_e32 v75, 0, v108
	s_delay_alu instid0(VALU_DEP_1) | instskip(NEXT) | instid1(VALU_DEP_4)
	v_ldexp_f64 v[61:62], v[61:62], v75
	v_add_f64 v[69:70], v[71:72], v[69:70]
	s_delay_alu instid0(VALU_DEP_2) | instskip(SKIP_1) | instid1(VALU_DEP_3)
	v_add_f64 v[73:74], v[61:62], 1.0
	v_add_f64 v[98:99], v[61:62], -1.0
	v_ldexp_f64 v[69:70], v[69:70], v75
	s_delay_alu instid0(VALU_DEP_3) | instskip(NEXT) | instid1(VALU_DEP_3)
	v_add_f64 v[71:72], v[73:74], -1.0
	v_add_f64 v[100:101], v[98:99], 1.0
	s_delay_alu instid0(VALU_DEP_2) | instskip(NEXT) | instid1(VALU_DEP_2)
	v_add_f64 v[71:72], v[61:62], -v[71:72]
	v_add_f64 v[61:62], v[61:62], -v[100:101]
	s_delay_alu instid0(VALU_DEP_2) | instskip(NEXT) | instid1(VALU_DEP_2)
	v_add_f64 v[71:72], v[69:70], v[71:72]
	v_add_f64 v[61:62], v[69:70], v[61:62]
	s_delay_alu instid0(VALU_DEP_2) | instskip(NEXT) | instid1(VALU_DEP_2)
	v_add_f64 v[75:76], v[73:74], v[71:72]
	v_add_f64 v[100:101], v[98:99], v[61:62]
	s_delay_alu instid0(VALU_DEP_2) | instskip(SKIP_1) | instid1(VALU_DEP_2)
	v_rcp_f64_e32 v[96:97], v[75:76]
	v_add_f64 v[73:74], v[75:76], -v[73:74]
	v_add_f64 v[98:99], v[100:101], -v[98:99]
	s_delay_alu instid0(VALU_DEP_2) | instskip(SKIP_3) | instid1(VALU_DEP_2)
	v_add_f64 v[71:72], v[71:72], -v[73:74]
	s_waitcnt_depctr 0xfff
	v_fma_f64 v[102:103], -v[75:76], v[96:97], 1.0
	v_add_f64 v[61:62], v[61:62], -v[98:99]
	v_fma_f64 v[96:97], v[102:103], v[96:97], v[96:97]
	s_delay_alu instid0(VALU_DEP_1) | instskip(NEXT) | instid1(VALU_DEP_1)
	v_fma_f64 v[69:70], -v[75:76], v[96:97], 1.0
	v_fma_f64 v[69:70], v[69:70], v[96:97], v[96:97]
	s_delay_alu instid0(VALU_DEP_1) | instskip(NEXT) | instid1(VALU_DEP_1)
	v_mul_f64 v[96:97], v[100:101], v[69:70]
	v_mul_f64 v[102:103], v[75:76], v[96:97]
	s_delay_alu instid0(VALU_DEP_1) | instskip(NEXT) | instid1(VALU_DEP_1)
	v_fma_f64 v[73:74], v[96:97], v[75:76], -v[102:103]
	v_fma_f64 v[73:74], v[96:97], v[71:72], v[73:74]
	s_delay_alu instid0(VALU_DEP_1) | instskip(NEXT) | instid1(VALU_DEP_1)
	v_add_f64 v[104:105], v[102:103], v[73:74]
	v_add_f64 v[106:107], v[100:101], -v[104:105]
	v_add_f64 v[98:99], v[104:105], -v[102:103]
	s_delay_alu instid0(VALU_DEP_2) | instskip(NEXT) | instid1(VALU_DEP_2)
	v_add_f64 v[100:101], v[100:101], -v[106:107]
	v_add_f64 v[73:74], v[98:99], -v[73:74]
	s_delay_alu instid0(VALU_DEP_2) | instskip(NEXT) | instid1(VALU_DEP_1)
	v_add_f64 v[100:101], v[100:101], -v[104:105]
	v_add_f64 v[61:62], v[61:62], v[100:101]
	s_delay_alu instid0(VALU_DEP_1) | instskip(NEXT) | instid1(VALU_DEP_1)
	v_add_f64 v[61:62], v[73:74], v[61:62]
	v_add_f64 v[73:74], v[106:107], v[61:62]
	s_delay_alu instid0(VALU_DEP_1) | instskip(SKIP_1) | instid1(VALU_DEP_2)
	v_mul_f64 v[98:99], v[69:70], v[73:74]
	v_add_f64 v[104:105], v[106:107], -v[73:74]
	v_mul_f64 v[100:101], v[75:76], v[98:99]
	s_delay_alu instid0(VALU_DEP_2) | instskip(NEXT) | instid1(VALU_DEP_2)
	v_add_f64 v[61:62], v[61:62], v[104:105]
	v_fma_f64 v[75:76], v[98:99], v[75:76], -v[100:101]
	s_delay_alu instid0(VALU_DEP_1) | instskip(NEXT) | instid1(VALU_DEP_1)
	v_fma_f64 v[71:72], v[98:99], v[71:72], v[75:76]
	v_add_f64 v[75:76], v[100:101], v[71:72]
	s_delay_alu instid0(VALU_DEP_1) | instskip(SKIP_1) | instid1(VALU_DEP_2)
	v_add_f64 v[102:103], v[73:74], -v[75:76]
	v_add_f64 v[100:101], v[75:76], -v[100:101]
	;; [unrolled: 1-line block ×3, first 2 shown]
	s_delay_alu instid0(VALU_DEP_2) | instskip(NEXT) | instid1(VALU_DEP_2)
	v_add_f64 v[71:72], v[100:101], -v[71:72]
	v_add_f64 v[73:74], v[73:74], -v[75:76]
	s_delay_alu instid0(VALU_DEP_1) | instskip(SKIP_1) | instid1(VALU_DEP_2)
	v_add_f64 v[61:62], v[61:62], v[73:74]
	v_add_f64 v[73:74], v[96:97], v[98:99]
	;; [unrolled: 1-line block ×3, first 2 shown]
	s_delay_alu instid0(VALU_DEP_2) | instskip(NEXT) | instid1(VALU_DEP_2)
	v_add_f64 v[71:72], v[73:74], -v[96:97]
	v_add_f64 v[61:62], v[102:103], v[61:62]
	s_delay_alu instid0(VALU_DEP_2) | instskip(NEXT) | instid1(VALU_DEP_2)
	v_add_f64 v[71:72], v[98:99], -v[71:72]
	v_mul_f64 v[61:62], v[69:70], v[61:62]
	s_delay_alu instid0(VALU_DEP_1) | instskip(NEXT) | instid1(VALU_DEP_1)
	v_add_f64 v[61:62], v[71:72], v[61:62]
	v_add_f64 v[69:70], v[73:74], v[61:62]
	s_delay_alu instid0(VALU_DEP_1) | instskip(NEXT) | instid1(VALU_DEP_1)
	v_mul_f64 v[71:72], v[69:70], v[69:70]
	v_fma_f64 v[75:76], v[71:72], s[42:43], s[40:41]
	s_mov_b32 s40, 0xd7f4df2e
	s_mov_b32 s41, 0x3fc7474d
	v_mul_f64 v[96:97], v[69:70], v[71:72]
	s_delay_alu instid0(VALU_DEP_2)
	v_fma_f64 v[75:76], v[71:72], v[75:76], s[40:41]
	s_mov_b32 s40, 0x16291751
	s_mov_b32 s41, 0x3fcc71c0
	s_delay_alu instid0(VALU_DEP_1) | instid1(SALU_CYCLE_1)
	v_fma_f64 v[75:76], v[71:72], v[75:76], s[40:41]
	s_mov_b32 s40, 0x9b27acf1
	s_mov_b32 s41, 0x3fd24924
	s_delay_alu instid0(VALU_DEP_1) | instid1(SALU_CYCLE_1)
	;; [unrolled: 4-line block ×3, first 2 shown]
	v_fma_f64 v[75:76], v[71:72], v[75:76], s[40:41]
	s_delay_alu instid0(VALU_DEP_1) | instskip(SKIP_2) | instid1(VALU_DEP_3)
	v_fma_f64 v[71:72], v[71:72], v[75:76], s[30:31]
	v_ldexp_f64 v[75:76], v[69:70], 1
	v_add_f64 v[69:70], v[69:70], -v[73:74]
	v_mul_f64 v[71:72], v[96:97], v[71:72]
	v_cvt_f64_i32_e32 v[96:97], v108
	s_delay_alu instid0(VALU_DEP_3) | instskip(NEXT) | instid1(VALU_DEP_3)
	v_add_f64 v[61:62], v[61:62], -v[69:70]
	v_add_f64 v[73:74], v[75:76], v[71:72]
	s_delay_alu instid0(VALU_DEP_3) | instskip(NEXT) | instid1(VALU_DEP_3)
	v_mul_f64 v[98:99], v[96:97], s[34:35]
	v_ldexp_f64 v[61:62], v[61:62], 1
	s_delay_alu instid0(VALU_DEP_3) | instskip(NEXT) | instid1(VALU_DEP_3)
	v_add_f64 v[69:70], v[73:74], -v[75:76]
	v_fma_f64 v[75:76], v[96:97], s[34:35], -v[98:99]
	s_delay_alu instid0(VALU_DEP_2) | instskip(NEXT) | instid1(VALU_DEP_2)
	v_add_f64 v[69:70], v[71:72], -v[69:70]
	v_fma_f64 v[71:72], v[96:97], s[36:37], v[75:76]
	s_delay_alu instid0(VALU_DEP_2) | instskip(NEXT) | instid1(VALU_DEP_2)
	v_add_f64 v[61:62], v[61:62], v[69:70]
	v_add_f64 v[69:70], v[98:99], v[71:72]
	s_delay_alu instid0(VALU_DEP_2) | instskip(NEXT) | instid1(VALU_DEP_2)
	v_add_f64 v[75:76], v[73:74], v[61:62]
	v_add_f64 v[98:99], v[69:70], -v[98:99]
	s_delay_alu instid0(VALU_DEP_2) | instskip(SKIP_1) | instid1(VALU_DEP_3)
	v_add_f64 v[96:97], v[69:70], v[75:76]
	v_add_f64 v[73:74], v[75:76], -v[73:74]
	v_add_f64 v[71:72], v[71:72], -v[98:99]
	s_delay_alu instid0(VALU_DEP_3) | instskip(NEXT) | instid1(VALU_DEP_3)
	v_add_f64 v[100:101], v[96:97], -v[69:70]
	v_add_f64 v[61:62], v[61:62], -v[73:74]
	s_delay_alu instid0(VALU_DEP_2) | instskip(SKIP_1) | instid1(VALU_DEP_3)
	v_add_f64 v[102:103], v[96:97], -v[100:101]
	v_add_f64 v[73:74], v[75:76], -v[100:101]
	v_add_f64 v[75:76], v[71:72], v[61:62]
	s_delay_alu instid0(VALU_DEP_3) | instskip(NEXT) | instid1(VALU_DEP_1)
	v_add_f64 v[69:70], v[69:70], -v[102:103]
	v_add_f64 v[69:70], v[73:74], v[69:70]
	s_delay_alu instid0(VALU_DEP_3) | instskip(NEXT) | instid1(VALU_DEP_2)
	v_add_f64 v[73:74], v[75:76], -v[71:72]
	v_add_f64 v[69:70], v[75:76], v[69:70]
	s_delay_alu instid0(VALU_DEP_2) | instskip(SKIP_1) | instid1(VALU_DEP_3)
	v_add_f64 v[75:76], v[75:76], -v[73:74]
	v_add_f64 v[61:62], v[61:62], -v[73:74]
	v_add_f64 v[98:99], v[96:97], v[69:70]
	s_delay_alu instid0(VALU_DEP_3) | instskip(NEXT) | instid1(VALU_DEP_2)
	v_add_f64 v[71:72], v[71:72], -v[75:76]
	v_add_f64 v[73:74], v[98:99], -v[96:97]
	s_delay_alu instid0(VALU_DEP_2) | instskip(NEXT) | instid1(VALU_DEP_2)
	v_add_f64 v[61:62], v[61:62], v[71:72]
	v_add_f64 v[69:70], v[69:70], -v[73:74]
	s_delay_alu instid0(VALU_DEP_1) | instskip(NEXT) | instid1(VALU_DEP_1)
	v_add_f64 v[61:62], v[61:62], v[69:70]
	v_add_f64 v[61:62], v[98:99], v[61:62]
	s_delay_alu instid0(VALU_DEP_1) | instskip(NEXT) | instid1(VALU_DEP_2)
	v_cndmask_b32_e64 v61, v61, v59, s29
	v_cndmask_b32_e64 v62, v62, v60, s29
	v_cmp_ngt_f64_e64 s29, -1.0, v[59:60]
	s_delay_alu instid0(VALU_DEP_1) | instskip(SKIP_1) | instid1(VALU_DEP_1)
	v_cndmask_b32_e64 v62, 0x7ff80000, v62, s29
	v_cmp_nge_f64_e64 s29, -1.0, v[59:60]
	v_cndmask_b32_e64 v61, 0, v61, s29
	v_cmp_neq_f64_e64 s29, -1.0, v[59:60]
	s_delay_alu instid0(VALU_DEP_1) | instskip(NEXT) | instid1(VALU_DEP_1)
	v_cndmask_b32_e64 v62, 0xfff00000, v62, s29
	v_add_f64 v[69:70], v[57:58], v[61:62]
.LBB66_56:
	s_or_b32 exec_lo, exec_lo, s38
	v_max_f64 v[57:58], v[11:12], v[11:12]
	s_delay_alu instid0(VALU_DEP_2) | instskip(SKIP_2) | instid1(VALU_DEP_3)
	v_max_f64 v[59:60], v[69:70], v[69:70]
	v_cmp_u_f64_e64 s30, v[69:70], v[69:70]
	v_cmp_u_f64_e64 s29, v[11:12], v[11:12]
	v_min_f64 v[61:62], v[59:60], v[57:58]
	v_max_f64 v[59:60], v[59:60], v[57:58]
	s_delay_alu instid0(VALU_DEP_2) | instskip(NEXT) | instid1(VALU_DEP_3)
	v_cndmask_b32_e64 v61, v61, v69, s30
	v_cndmask_b32_e64 v62, v62, v70, s30
	s_delay_alu instid0(VALU_DEP_3) | instskip(NEXT) | instid1(VALU_DEP_4)
	v_cndmask_b32_e64 v60, v60, v70, s30
	v_cndmask_b32_e64 v59, v59, v69, s30
	s_delay_alu instid0(VALU_DEP_4) | instskip(NEXT) | instid1(VALU_DEP_4)
	v_cndmask_b32_e64 v61, v61, v11, s29
	v_cndmask_b32_e64 v62, v62, v12, s29
	s_delay_alu instid0(VALU_DEP_4) | instskip(NEXT) | instid1(VALU_DEP_4)
	v_cndmask_b32_e64 v60, v60, v12, s29
	v_cndmask_b32_e64 v59, v59, v11, s29
	s_delay_alu instid0(VALU_DEP_3) | instskip(NEXT) | instid1(VALU_DEP_2)
	v_cmp_class_f64_e64 s31, v[61:62], 0x1f8
	v_cmp_neq_f64_e64 s30, v[61:62], v[59:60]
	s_delay_alu instid0(VALU_DEP_1) | instskip(NEXT) | instid1(SALU_CYCLE_1)
	s_or_b32 s30, s30, s31
	s_and_saveexec_b32 s38, s30
	s_cbranch_execz .LBB66_58
; %bb.57:
	v_add_f64 v[61:62], v[61:62], -v[59:60]
	s_mov_b32 s30, 0x652b82fe
	s_mov_b32 s31, 0x3ff71547
	s_mov_b32 s35, 0xbfe62e42
	s_mov_b32 s34, 0xfefa39ef
	s_mov_b32 s37, 0xbc7abc9e
	s_mov_b32 s36, 0x3b39803f
	s_mov_b32 s40, 0x6a5dcb37
	s_mov_b32 s41, 0x3e5ade15
	s_mov_b32 s42, 0xbf559e2b
	s_mov_b32 s43, 0x3fc3ab76
	s_delay_alu instid0(VALU_DEP_1) | instskip(SKIP_2) | instid1(VALU_DEP_1)
	v_mul_f64 v[69:70], v[61:62], s[30:31]
	s_mov_b32 s30, 0xfca7ab0c
	s_mov_b32 s31, 0x3e928af3
	v_rndne_f64_e32 v[69:70], v[69:70]
	s_delay_alu instid0(VALU_DEP_1) | instskip(SKIP_2) | instid1(VALU_DEP_2)
	v_fma_f64 v[71:72], v[69:70], s[34:35], v[61:62]
	v_cvt_i32_f64_e32 v75, v[69:70]
	s_mov_b32 s35, 0x3fe62e42
	v_fma_f64 v[71:72], v[69:70], s[36:37], v[71:72]
	s_mov_b32 s37, 0x3c7abc9e
	s_delay_alu instid0(VALU_DEP_1) | instskip(SKIP_4) | instid1(VALU_DEP_1)
	v_fma_f64 v[73:74], v[71:72], s[40:41], s[30:31]
	s_mov_b32 s30, 0x623fde64
	s_mov_b32 s31, 0x3ec71dee
	;; [unrolled: 1-line block ×4, first 2 shown]
	v_fma_f64 v[73:74], v[71:72], v[73:74], s[30:31]
	s_mov_b32 s30, 0x7c89e6b0
	s_mov_b32 s31, 0x3efa0199
	s_delay_alu instid0(VALU_DEP_1) | instid1(SALU_CYCLE_1)
	v_fma_f64 v[73:74], v[71:72], v[73:74], s[30:31]
	s_mov_b32 s30, 0x14761f6e
	s_mov_b32 s31, 0x3f2a01a0
	s_delay_alu instid0(VALU_DEP_1) | instid1(SALU_CYCLE_1)
	;; [unrolled: 4-line block ×7, first 2 shown]
	v_fma_f64 v[73:74], v[71:72], v[73:74], s[30:31]
	v_cmp_nlt_f64_e64 s30, 0x40900000, v[61:62]
	v_cmp_ngt_f64_e64 s31, 0xc090cc00, v[61:62]
	s_delay_alu instid0(VALU_DEP_3) | instskip(NEXT) | instid1(VALU_DEP_1)
	v_fma_f64 v[73:74], v[71:72], v[73:74], 1.0
	v_fma_f64 v[69:70], v[71:72], v[73:74], 1.0
	s_delay_alu instid0(VALU_DEP_1) | instskip(NEXT) | instid1(VALU_DEP_1)
	v_ldexp_f64 v[69:70], v[69:70], v75
	v_cndmask_b32_e64 v70, 0x7ff00000, v70, s30
	s_and_b32 s30, s31, s30
	s_delay_alu instid0(VALU_DEP_2) | instid1(SALU_CYCLE_1)
	v_cndmask_b32_e64 v61, 0, v69, s30
	s_mov_b32 s30, 0x55555555
	s_delay_alu instid0(VALU_DEP_2) | instskip(SKIP_1) | instid1(VALU_DEP_1)
	v_cndmask_b32_e64 v62, 0, v70, s31
	s_mov_b32 s31, 0x3fe55555
	v_add_f64 v[69:70], v[61:62], 1.0
	s_delay_alu instid0(VALU_DEP_1) | instskip(SKIP_2) | instid1(VALU_DEP_3)
	v_frexp_mant_f64_e32 v[71:72], v[69:70]
	v_frexp_exp_i32_f64_e32 v75, v[69:70]
	v_add_f64 v[73:74], v[69:70], -1.0
	v_cmp_gt_f64_e64 s30, s[30:31], v[71:72]
	s_delay_alu instid0(VALU_DEP_2) | instskip(SKIP_1) | instid1(VALU_DEP_3)
	v_add_f64 v[71:72], v[73:74], -v[69:70]
	v_add_f64 v[73:74], v[61:62], -v[73:74]
	v_subrev_co_ci_u32_e64 v110, s30, 0, v75, s30
	s_delay_alu instid0(VALU_DEP_3) | instskip(SKIP_1) | instid1(VALU_DEP_2)
	v_add_f64 v[71:72], v[71:72], 1.0
	s_mov_b32 s30, 0x55555780
	v_sub_nc_u32_e32 v96, 0, v110
	s_delay_alu instid0(VALU_DEP_1) | instskip(NEXT) | instid1(VALU_DEP_3)
	v_ldexp_f64 v[69:70], v[69:70], v96
	v_add_f64 v[71:72], v[73:74], v[71:72]
	s_delay_alu instid0(VALU_DEP_2) | instskip(SKIP_1) | instid1(VALU_DEP_3)
	v_add_f64 v[75:76], v[69:70], 1.0
	v_add_f64 v[100:101], v[69:70], -1.0
	v_ldexp_f64 v[71:72], v[71:72], v96
	s_delay_alu instid0(VALU_DEP_3) | instskip(NEXT) | instid1(VALU_DEP_3)
	v_add_f64 v[73:74], v[75:76], -1.0
	v_add_f64 v[102:103], v[100:101], 1.0
	s_delay_alu instid0(VALU_DEP_2) | instskip(NEXT) | instid1(VALU_DEP_2)
	v_add_f64 v[73:74], v[69:70], -v[73:74]
	v_add_f64 v[69:70], v[69:70], -v[102:103]
	s_delay_alu instid0(VALU_DEP_2) | instskip(NEXT) | instid1(VALU_DEP_2)
	v_add_f64 v[73:74], v[71:72], v[73:74]
	v_add_f64 v[69:70], v[71:72], v[69:70]
	s_delay_alu instid0(VALU_DEP_2) | instskip(NEXT) | instid1(VALU_DEP_2)
	v_add_f64 v[96:97], v[75:76], v[73:74]
	v_add_f64 v[102:103], v[100:101], v[69:70]
	s_delay_alu instid0(VALU_DEP_2) | instskip(SKIP_1) | instid1(VALU_DEP_2)
	v_rcp_f64_e32 v[98:99], v[96:97]
	v_add_f64 v[75:76], v[96:97], -v[75:76]
	v_add_f64 v[100:101], v[102:103], -v[100:101]
	s_delay_alu instid0(VALU_DEP_2) | instskip(SKIP_3) | instid1(VALU_DEP_2)
	v_add_f64 v[73:74], v[73:74], -v[75:76]
	s_waitcnt_depctr 0xfff
	v_fma_f64 v[104:105], -v[96:97], v[98:99], 1.0
	v_add_f64 v[69:70], v[69:70], -v[100:101]
	v_fma_f64 v[98:99], v[104:105], v[98:99], v[98:99]
	s_delay_alu instid0(VALU_DEP_1) | instskip(NEXT) | instid1(VALU_DEP_1)
	v_fma_f64 v[71:72], -v[96:97], v[98:99], 1.0
	v_fma_f64 v[71:72], v[71:72], v[98:99], v[98:99]
	s_delay_alu instid0(VALU_DEP_1) | instskip(NEXT) | instid1(VALU_DEP_1)
	v_mul_f64 v[98:99], v[102:103], v[71:72]
	v_mul_f64 v[104:105], v[96:97], v[98:99]
	s_delay_alu instid0(VALU_DEP_1) | instskip(NEXT) | instid1(VALU_DEP_1)
	v_fma_f64 v[75:76], v[98:99], v[96:97], -v[104:105]
	v_fma_f64 v[75:76], v[98:99], v[73:74], v[75:76]
	s_delay_alu instid0(VALU_DEP_1) | instskip(NEXT) | instid1(VALU_DEP_1)
	v_add_f64 v[106:107], v[104:105], v[75:76]
	v_add_f64 v[108:109], v[102:103], -v[106:107]
	v_add_f64 v[100:101], v[106:107], -v[104:105]
	s_delay_alu instid0(VALU_DEP_2) | instskip(NEXT) | instid1(VALU_DEP_2)
	v_add_f64 v[102:103], v[102:103], -v[108:109]
	v_add_f64 v[75:76], v[100:101], -v[75:76]
	s_delay_alu instid0(VALU_DEP_2) | instskip(NEXT) | instid1(VALU_DEP_1)
	v_add_f64 v[102:103], v[102:103], -v[106:107]
	v_add_f64 v[69:70], v[69:70], v[102:103]
	s_delay_alu instid0(VALU_DEP_1) | instskip(NEXT) | instid1(VALU_DEP_1)
	v_add_f64 v[69:70], v[75:76], v[69:70]
	v_add_f64 v[75:76], v[108:109], v[69:70]
	s_delay_alu instid0(VALU_DEP_1) | instskip(SKIP_1) | instid1(VALU_DEP_2)
	v_mul_f64 v[100:101], v[71:72], v[75:76]
	v_add_f64 v[106:107], v[108:109], -v[75:76]
	v_mul_f64 v[102:103], v[96:97], v[100:101]
	s_delay_alu instid0(VALU_DEP_2) | instskip(NEXT) | instid1(VALU_DEP_2)
	v_add_f64 v[69:70], v[69:70], v[106:107]
	v_fma_f64 v[96:97], v[100:101], v[96:97], -v[102:103]
	s_delay_alu instid0(VALU_DEP_1) | instskip(NEXT) | instid1(VALU_DEP_1)
	v_fma_f64 v[73:74], v[100:101], v[73:74], v[96:97]
	v_add_f64 v[96:97], v[102:103], v[73:74]
	s_delay_alu instid0(VALU_DEP_1) | instskip(SKIP_1) | instid1(VALU_DEP_2)
	v_add_f64 v[104:105], v[75:76], -v[96:97]
	v_add_f64 v[102:103], v[96:97], -v[102:103]
	;; [unrolled: 1-line block ×3, first 2 shown]
	s_delay_alu instid0(VALU_DEP_2) | instskip(NEXT) | instid1(VALU_DEP_2)
	v_add_f64 v[73:74], v[102:103], -v[73:74]
	v_add_f64 v[75:76], v[75:76], -v[96:97]
	s_delay_alu instid0(VALU_DEP_1) | instskip(SKIP_1) | instid1(VALU_DEP_2)
	v_add_f64 v[69:70], v[69:70], v[75:76]
	v_add_f64 v[75:76], v[98:99], v[100:101]
	;; [unrolled: 1-line block ×3, first 2 shown]
	s_delay_alu instid0(VALU_DEP_2) | instskip(NEXT) | instid1(VALU_DEP_2)
	v_add_f64 v[73:74], v[75:76], -v[98:99]
	v_add_f64 v[69:70], v[104:105], v[69:70]
	s_delay_alu instid0(VALU_DEP_2) | instskip(NEXT) | instid1(VALU_DEP_2)
	v_add_f64 v[73:74], v[100:101], -v[73:74]
	v_mul_f64 v[69:70], v[71:72], v[69:70]
	s_delay_alu instid0(VALU_DEP_1) | instskip(NEXT) | instid1(VALU_DEP_1)
	v_add_f64 v[69:70], v[73:74], v[69:70]
	v_add_f64 v[71:72], v[75:76], v[69:70]
	s_delay_alu instid0(VALU_DEP_1) | instskip(NEXT) | instid1(VALU_DEP_1)
	v_mul_f64 v[73:74], v[71:72], v[71:72]
	v_fma_f64 v[96:97], v[73:74], s[42:43], s[40:41]
	s_mov_b32 s40, 0xd7f4df2e
	s_mov_b32 s41, 0x3fc7474d
	v_mul_f64 v[98:99], v[71:72], v[73:74]
	s_delay_alu instid0(VALU_DEP_2)
	v_fma_f64 v[96:97], v[73:74], v[96:97], s[40:41]
	s_mov_b32 s40, 0x16291751
	s_mov_b32 s41, 0x3fcc71c0
	s_delay_alu instid0(VALU_DEP_1) | instid1(SALU_CYCLE_1)
	v_fma_f64 v[96:97], v[73:74], v[96:97], s[40:41]
	s_mov_b32 s40, 0x9b27acf1
	s_mov_b32 s41, 0x3fd24924
	s_delay_alu instid0(VALU_DEP_1) | instid1(SALU_CYCLE_1)
	;; [unrolled: 4-line block ×3, first 2 shown]
	v_fma_f64 v[96:97], v[73:74], v[96:97], s[40:41]
	s_delay_alu instid0(VALU_DEP_1) | instskip(SKIP_3) | instid1(VALU_DEP_4)
	v_fma_f64 v[73:74], v[73:74], v[96:97], s[30:31]
	v_ldexp_f64 v[96:97], v[71:72], 1
	v_add_f64 v[71:72], v[71:72], -v[75:76]
	v_cmp_eq_f64_e64 s30, 0x7ff00000, v[61:62]
	v_mul_f64 v[73:74], v[98:99], v[73:74]
	v_cvt_f64_i32_e32 v[98:99], v110
	s_delay_alu instid0(VALU_DEP_4) | instskip(NEXT) | instid1(VALU_DEP_3)
	v_add_f64 v[69:70], v[69:70], -v[71:72]
	v_add_f64 v[75:76], v[96:97], v[73:74]
	s_delay_alu instid0(VALU_DEP_3) | instskip(NEXT) | instid1(VALU_DEP_3)
	v_mul_f64 v[100:101], v[98:99], s[34:35]
	v_ldexp_f64 v[69:70], v[69:70], 1
	s_delay_alu instid0(VALU_DEP_3) | instskip(NEXT) | instid1(VALU_DEP_3)
	v_add_f64 v[71:72], v[75:76], -v[96:97]
	v_fma_f64 v[96:97], v[98:99], s[34:35], -v[100:101]
	s_delay_alu instid0(VALU_DEP_2) | instskip(NEXT) | instid1(VALU_DEP_2)
	v_add_f64 v[71:72], v[73:74], -v[71:72]
	v_fma_f64 v[73:74], v[98:99], s[36:37], v[96:97]
	s_delay_alu instid0(VALU_DEP_2) | instskip(NEXT) | instid1(VALU_DEP_2)
	v_add_f64 v[69:70], v[69:70], v[71:72]
	v_add_f64 v[71:72], v[100:101], v[73:74]
	s_delay_alu instid0(VALU_DEP_2) | instskip(NEXT) | instid1(VALU_DEP_2)
	v_add_f64 v[96:97], v[75:76], v[69:70]
	v_add_f64 v[100:101], v[71:72], -v[100:101]
	s_delay_alu instid0(VALU_DEP_2) | instskip(SKIP_1) | instid1(VALU_DEP_3)
	v_add_f64 v[98:99], v[71:72], v[96:97]
	v_add_f64 v[75:76], v[96:97], -v[75:76]
	v_add_f64 v[73:74], v[73:74], -v[100:101]
	s_delay_alu instid0(VALU_DEP_3) | instskip(NEXT) | instid1(VALU_DEP_3)
	v_add_f64 v[102:103], v[98:99], -v[71:72]
	v_add_f64 v[69:70], v[69:70], -v[75:76]
	s_delay_alu instid0(VALU_DEP_2) | instskip(SKIP_1) | instid1(VALU_DEP_3)
	v_add_f64 v[104:105], v[98:99], -v[102:103]
	v_add_f64 v[75:76], v[96:97], -v[102:103]
	v_add_f64 v[96:97], v[73:74], v[69:70]
	s_delay_alu instid0(VALU_DEP_3) | instskip(NEXT) | instid1(VALU_DEP_1)
	v_add_f64 v[71:72], v[71:72], -v[104:105]
	v_add_f64 v[71:72], v[75:76], v[71:72]
	s_delay_alu instid0(VALU_DEP_3) | instskip(NEXT) | instid1(VALU_DEP_2)
	v_add_f64 v[75:76], v[96:97], -v[73:74]
	v_add_f64 v[71:72], v[96:97], v[71:72]
	s_delay_alu instid0(VALU_DEP_2) | instskip(SKIP_1) | instid1(VALU_DEP_3)
	v_add_f64 v[96:97], v[96:97], -v[75:76]
	v_add_f64 v[69:70], v[69:70], -v[75:76]
	v_add_f64 v[100:101], v[98:99], v[71:72]
	s_delay_alu instid0(VALU_DEP_3) | instskip(NEXT) | instid1(VALU_DEP_2)
	v_add_f64 v[73:74], v[73:74], -v[96:97]
	v_add_f64 v[75:76], v[100:101], -v[98:99]
	s_delay_alu instid0(VALU_DEP_2) | instskip(NEXT) | instid1(VALU_DEP_2)
	v_add_f64 v[69:70], v[69:70], v[73:74]
	v_add_f64 v[71:72], v[71:72], -v[75:76]
	s_delay_alu instid0(VALU_DEP_1) | instskip(NEXT) | instid1(VALU_DEP_1)
	v_add_f64 v[69:70], v[69:70], v[71:72]
	v_add_f64 v[69:70], v[100:101], v[69:70]
	s_delay_alu instid0(VALU_DEP_1) | instskip(NEXT) | instid1(VALU_DEP_2)
	v_cndmask_b32_e64 v69, v69, v61, s30
	v_cndmask_b32_e64 v70, v70, v62, s30
	v_cmp_ngt_f64_e64 s30, -1.0, v[61:62]
	s_delay_alu instid0(VALU_DEP_1) | instskip(SKIP_1) | instid1(VALU_DEP_1)
	v_cndmask_b32_e64 v70, 0x7ff80000, v70, s30
	v_cmp_nge_f64_e64 s30, -1.0, v[61:62]
	v_cndmask_b32_e64 v69, 0, v69, s30
	v_cmp_neq_f64_e64 s30, -1.0, v[61:62]
	s_delay_alu instid0(VALU_DEP_1) | instskip(NEXT) | instid1(VALU_DEP_1)
	v_cndmask_b32_e64 v70, 0xfff00000, v70, s30
	v_add_f64 v[69:70], v[59:60], v[69:70]
.LBB66_58:
	s_or_b32 exec_lo, exec_lo, s38
	v_max_f64 v[59:60], v[5:6], v[5:6]
	s_delay_alu instid0(VALU_DEP_2) | instskip(SKIP_2) | instid1(VALU_DEP_3)
	v_max_f64 v[61:62], v[69:70], v[69:70]
	v_cmp_u_f64_e64 s31, v[69:70], v[69:70]
	v_cmp_u_f64_e64 s30, v[5:6], v[5:6]
	v_min_f64 v[71:72], v[61:62], v[59:60]
	v_max_f64 v[61:62], v[61:62], v[59:60]
	s_delay_alu instid0(VALU_DEP_2) | instskip(NEXT) | instid1(VALU_DEP_3)
	v_cndmask_b32_e64 v71, v71, v69, s31
	v_cndmask_b32_e64 v72, v72, v70, s31
	s_delay_alu instid0(VALU_DEP_3) | instskip(NEXT) | instid1(VALU_DEP_4)
	v_cndmask_b32_e64 v62, v62, v70, s31
	v_cndmask_b32_e64 v61, v61, v69, s31
	s_delay_alu instid0(VALU_DEP_4) | instskip(NEXT) | instid1(VALU_DEP_4)
	v_cndmask_b32_e64 v71, v71, v5, s30
	v_cndmask_b32_e64 v72, v72, v6, s30
	s_delay_alu instid0(VALU_DEP_4) | instskip(NEXT) | instid1(VALU_DEP_4)
	v_cndmask_b32_e64 v62, v62, v6, s30
	v_cndmask_b32_e64 v61, v61, v5, s30
	s_delay_alu instid0(VALU_DEP_3) | instskip(NEXT) | instid1(VALU_DEP_2)
	v_cmp_class_f64_e64 s34, v[71:72], 0x1f8
	v_cmp_neq_f64_e64 s31, v[71:72], v[61:62]
	s_delay_alu instid0(VALU_DEP_1) | instskip(NEXT) | instid1(SALU_CYCLE_1)
	s_or_b32 s31, s31, s34
	s_and_saveexec_b32 s40, s31
	s_cbranch_execz .LBB66_60
; %bb.59:
	v_add_f64 v[69:70], v[71:72], -v[61:62]
	s_mov_b32 s34, 0x652b82fe
	s_mov_b32 s35, 0x3ff71547
	;; [unrolled: 1-line block ×10, first 2 shown]
	s_delay_alu instid0(VALU_DEP_1) | instskip(SKIP_3) | instid1(VALU_DEP_2)
	v_mul_f64 v[71:72], v[69:70], s[34:35]
	s_mov_b32 s34, 0xfca7ab0c
	s_mov_b32 s35, 0x3e928af3
	v_cmp_nlt_f64_e64 s31, 0x40900000, v[69:70]
	v_rndne_f64_e32 v[71:72], v[71:72]
	s_delay_alu instid0(VALU_DEP_1) | instskip(SKIP_2) | instid1(VALU_DEP_2)
	v_fma_f64 v[73:74], v[71:72], s[36:37], v[69:70]
	v_cvt_i32_f64_e32 v96, v[71:72]
	s_mov_b32 s37, 0x3fe62e42
	v_fma_f64 v[73:74], v[71:72], s[38:39], v[73:74]
	s_mov_b32 s39, 0x3c7abc9e
	s_delay_alu instid0(VALU_DEP_1) | instskip(SKIP_4) | instid1(VALU_DEP_1)
	v_fma_f64 v[75:76], v[73:74], s[42:43], s[34:35]
	s_mov_b32 s34, 0x623fde64
	s_mov_b32 s35, 0x3ec71dee
	;; [unrolled: 1-line block ×4, first 2 shown]
	v_fma_f64 v[75:76], v[73:74], v[75:76], s[34:35]
	s_mov_b32 s34, 0x7c89e6b0
	s_mov_b32 s35, 0x3efa0199
	s_delay_alu instid0(VALU_DEP_1) | instid1(SALU_CYCLE_1)
	v_fma_f64 v[75:76], v[73:74], v[75:76], s[34:35]
	s_mov_b32 s34, 0x14761f6e
	s_mov_b32 s35, 0x3f2a01a0
	s_delay_alu instid0(VALU_DEP_1) | instid1(SALU_CYCLE_1)
	;; [unrolled: 4-line block ×7, first 2 shown]
	v_fma_f64 v[75:76], v[73:74], v[75:76], s[34:35]
	v_cmp_ngt_f64_e64 s34, 0xc090cc00, v[69:70]
	s_mov_b32 s35, 0x3fe55555
	s_delay_alu instid0(VALU_DEP_2) | instskip(NEXT) | instid1(VALU_DEP_1)
	v_fma_f64 v[75:76], v[73:74], v[75:76], 1.0
	v_fma_f64 v[71:72], v[73:74], v[75:76], 1.0
	s_delay_alu instid0(VALU_DEP_1) | instskip(NEXT) | instid1(VALU_DEP_1)
	v_ldexp_f64 v[71:72], v[71:72], v96
	v_cndmask_b32_e64 v72, 0x7ff00000, v72, s31
	s_and_b32 s31, s34, s31
	s_delay_alu instid0(VALU_DEP_2) | instid1(SALU_CYCLE_1)
	v_cndmask_b32_e64 v69, 0, v71, s31
	s_delay_alu instid0(VALU_DEP_2) | instskip(SKIP_1) | instid1(VALU_DEP_1)
	v_cndmask_b32_e64 v70, 0, v72, s34
	s_mov_b32 s34, 0x55555555
	v_add_f64 v[71:72], v[69:70], 1.0
	s_delay_alu instid0(VALU_DEP_1) | instskip(SKIP_2) | instid1(VALU_DEP_3)
	v_frexp_mant_f64_e32 v[73:74], v[71:72]
	v_frexp_exp_i32_f64_e32 v96, v[71:72]
	v_add_f64 v[75:76], v[71:72], -1.0
	v_cmp_gt_f64_e64 s31, s[34:35], v[73:74]
	s_mov_b32 s34, 0x55555780
	s_delay_alu instid0(VALU_DEP_2) | instskip(SKIP_1) | instid1(VALU_DEP_3)
	v_add_f64 v[73:74], v[75:76], -v[71:72]
	v_add_f64 v[75:76], v[69:70], -v[75:76]
	v_subrev_co_ci_u32_e64 v112, s31, 0, v96, s31
	s_delay_alu instid0(VALU_DEP_3) | instskip(SKIP_1) | instid1(VALU_DEP_3)
	v_add_f64 v[73:74], v[73:74], 1.0
	v_cmp_eq_f64_e64 s31, 0x7ff00000, v[69:70]
	v_sub_nc_u32_e32 v98, 0, v112
	s_delay_alu instid0(VALU_DEP_1) | instskip(NEXT) | instid1(VALU_DEP_4)
	v_ldexp_f64 v[71:72], v[71:72], v98
	v_add_f64 v[73:74], v[75:76], v[73:74]
	s_delay_alu instid0(VALU_DEP_2) | instskip(SKIP_1) | instid1(VALU_DEP_3)
	v_add_f64 v[96:97], v[71:72], 1.0
	v_add_f64 v[102:103], v[71:72], -1.0
	v_ldexp_f64 v[73:74], v[73:74], v98
	s_delay_alu instid0(VALU_DEP_3) | instskip(NEXT) | instid1(VALU_DEP_3)
	v_add_f64 v[75:76], v[96:97], -1.0
	v_add_f64 v[104:105], v[102:103], 1.0
	s_delay_alu instid0(VALU_DEP_2) | instskip(NEXT) | instid1(VALU_DEP_2)
	v_add_f64 v[75:76], v[71:72], -v[75:76]
	v_add_f64 v[71:72], v[71:72], -v[104:105]
	s_delay_alu instid0(VALU_DEP_2) | instskip(NEXT) | instid1(VALU_DEP_2)
	v_add_f64 v[75:76], v[73:74], v[75:76]
	v_add_f64 v[71:72], v[73:74], v[71:72]
	s_delay_alu instid0(VALU_DEP_2) | instskip(NEXT) | instid1(VALU_DEP_2)
	v_add_f64 v[98:99], v[96:97], v[75:76]
	v_add_f64 v[104:105], v[102:103], v[71:72]
	s_delay_alu instid0(VALU_DEP_2) | instskip(SKIP_1) | instid1(VALU_DEP_2)
	v_rcp_f64_e32 v[100:101], v[98:99]
	v_add_f64 v[96:97], v[98:99], -v[96:97]
	v_add_f64 v[102:103], v[104:105], -v[102:103]
	s_delay_alu instid0(VALU_DEP_2) | instskip(SKIP_3) | instid1(VALU_DEP_2)
	v_add_f64 v[75:76], v[75:76], -v[96:97]
	s_waitcnt_depctr 0xfff
	v_fma_f64 v[106:107], -v[98:99], v[100:101], 1.0
	v_add_f64 v[71:72], v[71:72], -v[102:103]
	v_fma_f64 v[100:101], v[106:107], v[100:101], v[100:101]
	s_delay_alu instid0(VALU_DEP_1) | instskip(NEXT) | instid1(VALU_DEP_1)
	v_fma_f64 v[73:74], -v[98:99], v[100:101], 1.0
	v_fma_f64 v[73:74], v[73:74], v[100:101], v[100:101]
	s_delay_alu instid0(VALU_DEP_1) | instskip(NEXT) | instid1(VALU_DEP_1)
	v_mul_f64 v[100:101], v[104:105], v[73:74]
	v_mul_f64 v[106:107], v[98:99], v[100:101]
	s_delay_alu instid0(VALU_DEP_1) | instskip(NEXT) | instid1(VALU_DEP_1)
	v_fma_f64 v[96:97], v[100:101], v[98:99], -v[106:107]
	v_fma_f64 v[96:97], v[100:101], v[75:76], v[96:97]
	s_delay_alu instid0(VALU_DEP_1) | instskip(NEXT) | instid1(VALU_DEP_1)
	v_add_f64 v[108:109], v[106:107], v[96:97]
	v_add_f64 v[110:111], v[104:105], -v[108:109]
	v_add_f64 v[102:103], v[108:109], -v[106:107]
	s_delay_alu instid0(VALU_DEP_2) | instskip(NEXT) | instid1(VALU_DEP_2)
	v_add_f64 v[104:105], v[104:105], -v[110:111]
	v_add_f64 v[96:97], v[102:103], -v[96:97]
	s_delay_alu instid0(VALU_DEP_2) | instskip(NEXT) | instid1(VALU_DEP_1)
	v_add_f64 v[104:105], v[104:105], -v[108:109]
	v_add_f64 v[71:72], v[71:72], v[104:105]
	s_delay_alu instid0(VALU_DEP_1) | instskip(NEXT) | instid1(VALU_DEP_1)
	v_add_f64 v[71:72], v[96:97], v[71:72]
	v_add_f64 v[96:97], v[110:111], v[71:72]
	s_delay_alu instid0(VALU_DEP_1) | instskip(SKIP_1) | instid1(VALU_DEP_2)
	v_mul_f64 v[102:103], v[73:74], v[96:97]
	v_add_f64 v[108:109], v[110:111], -v[96:97]
	v_mul_f64 v[104:105], v[98:99], v[102:103]
	s_delay_alu instid0(VALU_DEP_2) | instskip(NEXT) | instid1(VALU_DEP_2)
	v_add_f64 v[71:72], v[71:72], v[108:109]
	v_fma_f64 v[98:99], v[102:103], v[98:99], -v[104:105]
	s_delay_alu instid0(VALU_DEP_1) | instskip(NEXT) | instid1(VALU_DEP_1)
	v_fma_f64 v[75:76], v[102:103], v[75:76], v[98:99]
	v_add_f64 v[98:99], v[104:105], v[75:76]
	s_delay_alu instid0(VALU_DEP_1) | instskip(SKIP_1) | instid1(VALU_DEP_2)
	v_add_f64 v[106:107], v[96:97], -v[98:99]
	v_add_f64 v[104:105], v[98:99], -v[104:105]
	;; [unrolled: 1-line block ×3, first 2 shown]
	s_delay_alu instid0(VALU_DEP_2) | instskip(NEXT) | instid1(VALU_DEP_2)
	v_add_f64 v[75:76], v[104:105], -v[75:76]
	v_add_f64 v[96:97], v[96:97], -v[98:99]
	s_delay_alu instid0(VALU_DEP_1) | instskip(SKIP_1) | instid1(VALU_DEP_2)
	v_add_f64 v[71:72], v[71:72], v[96:97]
	v_add_f64 v[96:97], v[100:101], v[102:103]
	;; [unrolled: 1-line block ×3, first 2 shown]
	s_delay_alu instid0(VALU_DEP_2) | instskip(NEXT) | instid1(VALU_DEP_2)
	v_add_f64 v[75:76], v[96:97], -v[100:101]
	v_add_f64 v[71:72], v[106:107], v[71:72]
	s_delay_alu instid0(VALU_DEP_2) | instskip(NEXT) | instid1(VALU_DEP_2)
	v_add_f64 v[75:76], v[102:103], -v[75:76]
	v_mul_f64 v[71:72], v[73:74], v[71:72]
	s_delay_alu instid0(VALU_DEP_1) | instskip(NEXT) | instid1(VALU_DEP_1)
	v_add_f64 v[71:72], v[75:76], v[71:72]
	v_add_f64 v[73:74], v[96:97], v[71:72]
	s_delay_alu instid0(VALU_DEP_1) | instskip(NEXT) | instid1(VALU_DEP_1)
	v_mul_f64 v[75:76], v[73:74], v[73:74]
	v_fma_f64 v[98:99], v[75:76], s[44:45], s[42:43]
	s_mov_b32 s42, 0xd7f4df2e
	s_mov_b32 s43, 0x3fc7474d
	v_mul_f64 v[100:101], v[73:74], v[75:76]
	s_delay_alu instid0(VALU_DEP_2)
	v_fma_f64 v[98:99], v[75:76], v[98:99], s[42:43]
	s_mov_b32 s42, 0x16291751
	s_mov_b32 s43, 0x3fcc71c0
	s_delay_alu instid0(VALU_DEP_1) | instid1(SALU_CYCLE_1)
	v_fma_f64 v[98:99], v[75:76], v[98:99], s[42:43]
	s_mov_b32 s42, 0x9b27acf1
	s_mov_b32 s43, 0x3fd24924
	s_delay_alu instid0(VALU_DEP_1) | instid1(SALU_CYCLE_1)
	;; [unrolled: 4-line block ×3, first 2 shown]
	v_fma_f64 v[98:99], v[75:76], v[98:99], s[42:43]
	s_delay_alu instid0(VALU_DEP_1) | instskip(SKIP_2) | instid1(VALU_DEP_3)
	v_fma_f64 v[75:76], v[75:76], v[98:99], s[34:35]
	v_ldexp_f64 v[98:99], v[73:74], 1
	v_add_f64 v[73:74], v[73:74], -v[96:97]
	v_mul_f64 v[75:76], v[100:101], v[75:76]
	v_cvt_f64_i32_e32 v[100:101], v112
	s_delay_alu instid0(VALU_DEP_3) | instskip(NEXT) | instid1(VALU_DEP_3)
	v_add_f64 v[71:72], v[71:72], -v[73:74]
	v_add_f64 v[96:97], v[98:99], v[75:76]
	s_delay_alu instid0(VALU_DEP_3) | instskip(NEXT) | instid1(VALU_DEP_3)
	v_mul_f64 v[102:103], v[100:101], s[36:37]
	v_ldexp_f64 v[71:72], v[71:72], 1
	s_delay_alu instid0(VALU_DEP_3) | instskip(NEXT) | instid1(VALU_DEP_3)
	v_add_f64 v[73:74], v[96:97], -v[98:99]
	v_fma_f64 v[98:99], v[100:101], s[36:37], -v[102:103]
	s_delay_alu instid0(VALU_DEP_2) | instskip(NEXT) | instid1(VALU_DEP_2)
	v_add_f64 v[73:74], v[75:76], -v[73:74]
	v_fma_f64 v[75:76], v[100:101], s[38:39], v[98:99]
	s_delay_alu instid0(VALU_DEP_2) | instskip(NEXT) | instid1(VALU_DEP_2)
	v_add_f64 v[71:72], v[71:72], v[73:74]
	v_add_f64 v[73:74], v[102:103], v[75:76]
	s_delay_alu instid0(VALU_DEP_2) | instskip(NEXT) | instid1(VALU_DEP_2)
	v_add_f64 v[98:99], v[96:97], v[71:72]
	v_add_f64 v[102:103], v[73:74], -v[102:103]
	s_delay_alu instid0(VALU_DEP_2) | instskip(SKIP_1) | instid1(VALU_DEP_3)
	v_add_f64 v[100:101], v[73:74], v[98:99]
	v_add_f64 v[96:97], v[98:99], -v[96:97]
	v_add_f64 v[75:76], v[75:76], -v[102:103]
	s_delay_alu instid0(VALU_DEP_3) | instskip(NEXT) | instid1(VALU_DEP_3)
	v_add_f64 v[104:105], v[100:101], -v[73:74]
	v_add_f64 v[71:72], v[71:72], -v[96:97]
	s_delay_alu instid0(VALU_DEP_2) | instskip(SKIP_1) | instid1(VALU_DEP_3)
	v_add_f64 v[106:107], v[100:101], -v[104:105]
	v_add_f64 v[96:97], v[98:99], -v[104:105]
	v_add_f64 v[98:99], v[75:76], v[71:72]
	s_delay_alu instid0(VALU_DEP_3) | instskip(NEXT) | instid1(VALU_DEP_1)
	v_add_f64 v[73:74], v[73:74], -v[106:107]
	v_add_f64 v[73:74], v[96:97], v[73:74]
	s_delay_alu instid0(VALU_DEP_3) | instskip(NEXT) | instid1(VALU_DEP_2)
	v_add_f64 v[96:97], v[98:99], -v[75:76]
	v_add_f64 v[73:74], v[98:99], v[73:74]
	s_delay_alu instid0(VALU_DEP_2) | instskip(SKIP_1) | instid1(VALU_DEP_3)
	v_add_f64 v[98:99], v[98:99], -v[96:97]
	v_add_f64 v[71:72], v[71:72], -v[96:97]
	v_add_f64 v[102:103], v[100:101], v[73:74]
	s_delay_alu instid0(VALU_DEP_3) | instskip(NEXT) | instid1(VALU_DEP_2)
	v_add_f64 v[75:76], v[75:76], -v[98:99]
	v_add_f64 v[96:97], v[102:103], -v[100:101]
	s_delay_alu instid0(VALU_DEP_2) | instskip(NEXT) | instid1(VALU_DEP_2)
	v_add_f64 v[71:72], v[71:72], v[75:76]
	v_add_f64 v[73:74], v[73:74], -v[96:97]
	s_delay_alu instid0(VALU_DEP_1) | instskip(NEXT) | instid1(VALU_DEP_1)
	v_add_f64 v[71:72], v[71:72], v[73:74]
	v_add_f64 v[71:72], v[102:103], v[71:72]
	s_delay_alu instid0(VALU_DEP_1) | instskip(NEXT) | instid1(VALU_DEP_2)
	v_cndmask_b32_e64 v71, v71, v69, s31
	v_cndmask_b32_e64 v72, v72, v70, s31
	v_cmp_ngt_f64_e64 s31, -1.0, v[69:70]
	s_delay_alu instid0(VALU_DEP_1) | instskip(SKIP_1) | instid1(VALU_DEP_1)
	v_cndmask_b32_e64 v72, 0x7ff80000, v72, s31
	v_cmp_nge_f64_e64 s31, -1.0, v[69:70]
	v_cndmask_b32_e64 v71, 0, v71, s31
	v_cmp_neq_f64_e64 s31, -1.0, v[69:70]
	s_delay_alu instid0(VALU_DEP_1) | instskip(NEXT) | instid1(VALU_DEP_1)
	v_cndmask_b32_e64 v72, 0xfff00000, v72, s31
	v_add_f64 v[69:70], v[61:62], v[71:72]
.LBB66_60:
	s_or_b32 exec_lo, exec_lo, s40
	v_max_f64 v[61:62], v[7:8], v[7:8]
	s_delay_alu instid0(VALU_DEP_2) | instskip(SKIP_2) | instid1(VALU_DEP_3)
	v_max_f64 v[71:72], v[69:70], v[69:70]
	v_cmp_u_f64_e64 s34, v[69:70], v[69:70]
	v_cmp_u_f64_e64 s31, v[7:8], v[7:8]
	v_min_f64 v[73:74], v[71:72], v[61:62]
	v_max_f64 v[71:72], v[71:72], v[61:62]
	s_delay_alu instid0(VALU_DEP_2) | instskip(NEXT) | instid1(VALU_DEP_3)
	v_cndmask_b32_e64 v73, v73, v69, s34
	v_cndmask_b32_e64 v74, v74, v70, s34
	s_delay_alu instid0(VALU_DEP_3) | instskip(NEXT) | instid1(VALU_DEP_4)
	v_cndmask_b32_e64 v72, v72, v70, s34
	v_cndmask_b32_e64 v71, v71, v69, s34
	s_delay_alu instid0(VALU_DEP_4) | instskip(NEXT) | instid1(VALU_DEP_4)
	v_cndmask_b32_e64 v73, v73, v7, s31
	v_cndmask_b32_e64 v74, v74, v8, s31
	s_delay_alu instid0(VALU_DEP_4) | instskip(NEXT) | instid1(VALU_DEP_4)
	v_cndmask_b32_e64 v72, v72, v8, s31
	v_cndmask_b32_e64 v71, v71, v7, s31
	s_delay_alu instid0(VALU_DEP_3) | instskip(NEXT) | instid1(VALU_DEP_2)
	v_cmp_class_f64_e64 s35, v[73:74], 0x1f8
	v_cmp_neq_f64_e64 s34, v[73:74], v[71:72]
	s_delay_alu instid0(VALU_DEP_1) | instskip(NEXT) | instid1(SALU_CYCLE_1)
	s_or_b32 s34, s34, s35
	s_and_saveexec_b32 s40, s34
	s_cbranch_execz .LBB66_62
; %bb.61:
	v_add_f64 v[69:70], v[73:74], -v[71:72]
	s_mov_b32 s34, 0x652b82fe
	s_mov_b32 s35, 0x3ff71547
	;; [unrolled: 1-line block ×10, first 2 shown]
	s_delay_alu instid0(VALU_DEP_1) | instskip(SKIP_2) | instid1(VALU_DEP_1)
	v_mul_f64 v[73:74], v[69:70], s[34:35]
	s_mov_b32 s34, 0xfca7ab0c
	s_mov_b32 s35, 0x3e928af3
	v_rndne_f64_e32 v[73:74], v[73:74]
	s_delay_alu instid0(VALU_DEP_1) | instskip(SKIP_2) | instid1(VALU_DEP_2)
	v_fma_f64 v[75:76], v[73:74], s[36:37], v[69:70]
	v_cvt_i32_f64_e32 v98, v[73:74]
	s_mov_b32 s37, 0x3fe62e42
	v_fma_f64 v[75:76], v[73:74], s[38:39], v[75:76]
	s_mov_b32 s39, 0x3c7abc9e
	s_delay_alu instid0(VALU_DEP_1) | instskip(SKIP_4) | instid1(VALU_DEP_1)
	v_fma_f64 v[96:97], v[75:76], s[42:43], s[34:35]
	s_mov_b32 s34, 0x623fde64
	s_mov_b32 s35, 0x3ec71dee
	;; [unrolled: 1-line block ×4, first 2 shown]
	v_fma_f64 v[96:97], v[75:76], v[96:97], s[34:35]
	s_mov_b32 s34, 0x7c89e6b0
	s_mov_b32 s35, 0x3efa0199
	s_delay_alu instid0(VALU_DEP_1) | instid1(SALU_CYCLE_1)
	v_fma_f64 v[96:97], v[75:76], v[96:97], s[34:35]
	s_mov_b32 s34, 0x14761f6e
	s_mov_b32 s35, 0x3f2a01a0
	s_delay_alu instid0(VALU_DEP_1) | instid1(SALU_CYCLE_1)
	v_fma_f64 v[96:97], v[75:76], v[96:97], s[34:35]
	s_mov_b32 s34, 0x1852b7b0
	s_mov_b32 s35, 0x3f56c16c
	s_delay_alu instid0(VALU_DEP_1) | instid1(SALU_CYCLE_1)
	v_fma_f64 v[96:97], v[75:76], v[96:97], s[34:35]
	s_mov_b32 s34, 0x11122322
	s_mov_b32 s35, 0x3f811111
	s_delay_alu instid0(VALU_DEP_1) | instid1(SALU_CYCLE_1)
	v_fma_f64 v[96:97], v[75:76], v[96:97], s[34:35]
	s_mov_b32 s34, 0x555502a1
	s_mov_b32 s35, 0x3fa55555
	s_delay_alu instid0(VALU_DEP_1) | instid1(SALU_CYCLE_1)
	v_fma_f64 v[96:97], v[75:76], v[96:97], s[34:35]
	s_mov_b32 s34, 0x55555511
	s_mov_b32 s35, 0x3fc55555
	s_delay_alu instid0(VALU_DEP_1) | instid1(SALU_CYCLE_1)
	v_fma_f64 v[96:97], v[75:76], v[96:97], s[34:35]
	s_mov_b32 s34, 11
	s_mov_b32 s35, 0x3fe00000
	s_delay_alu instid0(VALU_DEP_1) | instid1(SALU_CYCLE_1)
	v_fma_f64 v[96:97], v[75:76], v[96:97], s[34:35]
	v_cmp_nlt_f64_e64 s34, 0x40900000, v[69:70]
	v_cmp_ngt_f64_e64 s35, 0xc090cc00, v[69:70]
	s_delay_alu instid0(VALU_DEP_3) | instskip(NEXT) | instid1(VALU_DEP_1)
	v_fma_f64 v[96:97], v[75:76], v[96:97], 1.0
	v_fma_f64 v[73:74], v[75:76], v[96:97], 1.0
	s_delay_alu instid0(VALU_DEP_1) | instskip(NEXT) | instid1(VALU_DEP_1)
	v_ldexp_f64 v[73:74], v[73:74], v98
	v_cndmask_b32_e64 v74, 0x7ff00000, v74, s34
	s_and_b32 s34, s35, s34
	s_delay_alu instid0(VALU_DEP_2) | instid1(SALU_CYCLE_1)
	v_cndmask_b32_e64 v69, 0, v73, s34
	s_mov_b32 s34, 0x55555555
	s_delay_alu instid0(VALU_DEP_2) | instskip(SKIP_1) | instid1(VALU_DEP_1)
	v_cndmask_b32_e64 v70, 0, v74, s35
	s_mov_b32 s35, 0x3fe55555
	v_add_f64 v[73:74], v[69:70], 1.0
	s_delay_alu instid0(VALU_DEP_1) | instskip(SKIP_2) | instid1(VALU_DEP_3)
	v_frexp_mant_f64_e32 v[75:76], v[73:74]
	v_frexp_exp_i32_f64_e32 v98, v[73:74]
	v_add_f64 v[96:97], v[73:74], -1.0
	v_cmp_gt_f64_e64 s34, s[34:35], v[75:76]
	s_delay_alu instid0(VALU_DEP_2) | instskip(SKIP_1) | instid1(VALU_DEP_3)
	v_add_f64 v[75:76], v[96:97], -v[73:74]
	v_add_f64 v[96:97], v[69:70], -v[96:97]
	v_subrev_co_ci_u32_e64 v114, s34, 0, v98, s34
	s_delay_alu instid0(VALU_DEP_3) | instskip(SKIP_1) | instid1(VALU_DEP_2)
	v_add_f64 v[75:76], v[75:76], 1.0
	s_mov_b32 s34, 0x55555780
	v_sub_nc_u32_e32 v100, 0, v114
	s_delay_alu instid0(VALU_DEP_1) | instskip(NEXT) | instid1(VALU_DEP_3)
	v_ldexp_f64 v[73:74], v[73:74], v100
	v_add_f64 v[75:76], v[96:97], v[75:76]
	s_delay_alu instid0(VALU_DEP_2) | instskip(SKIP_1) | instid1(VALU_DEP_3)
	v_add_f64 v[98:99], v[73:74], 1.0
	v_add_f64 v[104:105], v[73:74], -1.0
	v_ldexp_f64 v[75:76], v[75:76], v100
	s_delay_alu instid0(VALU_DEP_3) | instskip(NEXT) | instid1(VALU_DEP_3)
	v_add_f64 v[96:97], v[98:99], -1.0
	v_add_f64 v[106:107], v[104:105], 1.0
	s_delay_alu instid0(VALU_DEP_2) | instskip(NEXT) | instid1(VALU_DEP_2)
	v_add_f64 v[96:97], v[73:74], -v[96:97]
	v_add_f64 v[73:74], v[73:74], -v[106:107]
	s_delay_alu instid0(VALU_DEP_2) | instskip(NEXT) | instid1(VALU_DEP_2)
	v_add_f64 v[96:97], v[75:76], v[96:97]
	v_add_f64 v[73:74], v[75:76], v[73:74]
	s_delay_alu instid0(VALU_DEP_2) | instskip(NEXT) | instid1(VALU_DEP_2)
	v_add_f64 v[100:101], v[98:99], v[96:97]
	v_add_f64 v[106:107], v[104:105], v[73:74]
	s_delay_alu instid0(VALU_DEP_2) | instskip(SKIP_1) | instid1(VALU_DEP_2)
	v_rcp_f64_e32 v[102:103], v[100:101]
	v_add_f64 v[98:99], v[100:101], -v[98:99]
	v_add_f64 v[104:105], v[106:107], -v[104:105]
	s_delay_alu instid0(VALU_DEP_2) | instskip(SKIP_3) | instid1(VALU_DEP_2)
	v_add_f64 v[96:97], v[96:97], -v[98:99]
	s_waitcnt_depctr 0xfff
	v_fma_f64 v[108:109], -v[100:101], v[102:103], 1.0
	v_add_f64 v[73:74], v[73:74], -v[104:105]
	v_fma_f64 v[102:103], v[108:109], v[102:103], v[102:103]
	s_delay_alu instid0(VALU_DEP_1) | instskip(NEXT) | instid1(VALU_DEP_1)
	v_fma_f64 v[75:76], -v[100:101], v[102:103], 1.0
	v_fma_f64 v[75:76], v[75:76], v[102:103], v[102:103]
	s_delay_alu instid0(VALU_DEP_1) | instskip(NEXT) | instid1(VALU_DEP_1)
	v_mul_f64 v[102:103], v[106:107], v[75:76]
	v_mul_f64 v[108:109], v[100:101], v[102:103]
	s_delay_alu instid0(VALU_DEP_1) | instskip(NEXT) | instid1(VALU_DEP_1)
	v_fma_f64 v[98:99], v[102:103], v[100:101], -v[108:109]
	v_fma_f64 v[98:99], v[102:103], v[96:97], v[98:99]
	s_delay_alu instid0(VALU_DEP_1) | instskip(NEXT) | instid1(VALU_DEP_1)
	v_add_f64 v[110:111], v[108:109], v[98:99]
	v_add_f64 v[112:113], v[106:107], -v[110:111]
	v_add_f64 v[104:105], v[110:111], -v[108:109]
	s_delay_alu instid0(VALU_DEP_2) | instskip(NEXT) | instid1(VALU_DEP_2)
	v_add_f64 v[106:107], v[106:107], -v[112:113]
	v_add_f64 v[98:99], v[104:105], -v[98:99]
	s_delay_alu instid0(VALU_DEP_2) | instskip(NEXT) | instid1(VALU_DEP_1)
	v_add_f64 v[106:107], v[106:107], -v[110:111]
	v_add_f64 v[73:74], v[73:74], v[106:107]
	s_delay_alu instid0(VALU_DEP_1) | instskip(NEXT) | instid1(VALU_DEP_1)
	v_add_f64 v[73:74], v[98:99], v[73:74]
	v_add_f64 v[98:99], v[112:113], v[73:74]
	s_delay_alu instid0(VALU_DEP_1) | instskip(SKIP_1) | instid1(VALU_DEP_2)
	v_mul_f64 v[104:105], v[75:76], v[98:99]
	v_add_f64 v[110:111], v[112:113], -v[98:99]
	v_mul_f64 v[106:107], v[100:101], v[104:105]
	s_delay_alu instid0(VALU_DEP_2) | instskip(NEXT) | instid1(VALU_DEP_2)
	v_add_f64 v[73:74], v[73:74], v[110:111]
	v_fma_f64 v[100:101], v[104:105], v[100:101], -v[106:107]
	s_delay_alu instid0(VALU_DEP_1) | instskip(NEXT) | instid1(VALU_DEP_1)
	v_fma_f64 v[96:97], v[104:105], v[96:97], v[100:101]
	v_add_f64 v[100:101], v[106:107], v[96:97]
	s_delay_alu instid0(VALU_DEP_1) | instskip(SKIP_1) | instid1(VALU_DEP_2)
	v_add_f64 v[108:109], v[98:99], -v[100:101]
	v_add_f64 v[106:107], v[100:101], -v[106:107]
	;; [unrolled: 1-line block ×3, first 2 shown]
	s_delay_alu instid0(VALU_DEP_2) | instskip(NEXT) | instid1(VALU_DEP_2)
	v_add_f64 v[96:97], v[106:107], -v[96:97]
	v_add_f64 v[98:99], v[98:99], -v[100:101]
	s_delay_alu instid0(VALU_DEP_1) | instskip(SKIP_1) | instid1(VALU_DEP_2)
	v_add_f64 v[73:74], v[73:74], v[98:99]
	v_add_f64 v[98:99], v[102:103], v[104:105]
	;; [unrolled: 1-line block ×3, first 2 shown]
	s_delay_alu instid0(VALU_DEP_2) | instskip(NEXT) | instid1(VALU_DEP_2)
	v_add_f64 v[96:97], v[98:99], -v[102:103]
	v_add_f64 v[73:74], v[108:109], v[73:74]
	s_delay_alu instid0(VALU_DEP_2) | instskip(NEXT) | instid1(VALU_DEP_2)
	v_add_f64 v[96:97], v[104:105], -v[96:97]
	v_mul_f64 v[73:74], v[75:76], v[73:74]
	s_delay_alu instid0(VALU_DEP_1) | instskip(NEXT) | instid1(VALU_DEP_1)
	v_add_f64 v[73:74], v[96:97], v[73:74]
	v_add_f64 v[75:76], v[98:99], v[73:74]
	s_delay_alu instid0(VALU_DEP_1) | instskip(NEXT) | instid1(VALU_DEP_1)
	v_mul_f64 v[96:97], v[75:76], v[75:76]
	v_fma_f64 v[100:101], v[96:97], s[44:45], s[42:43]
	s_mov_b32 s42, 0xd7f4df2e
	s_mov_b32 s43, 0x3fc7474d
	v_mul_f64 v[102:103], v[75:76], v[96:97]
	s_delay_alu instid0(VALU_DEP_2)
	v_fma_f64 v[100:101], v[96:97], v[100:101], s[42:43]
	s_mov_b32 s42, 0x16291751
	s_mov_b32 s43, 0x3fcc71c0
	s_delay_alu instid0(VALU_DEP_1) | instid1(SALU_CYCLE_1)
	v_fma_f64 v[100:101], v[96:97], v[100:101], s[42:43]
	s_mov_b32 s42, 0x9b27acf1
	s_mov_b32 s43, 0x3fd24924
	s_delay_alu instid0(VALU_DEP_1) | instid1(SALU_CYCLE_1)
	;; [unrolled: 4-line block ×3, first 2 shown]
	v_fma_f64 v[100:101], v[96:97], v[100:101], s[42:43]
	s_delay_alu instid0(VALU_DEP_1) | instskip(SKIP_3) | instid1(VALU_DEP_4)
	v_fma_f64 v[96:97], v[96:97], v[100:101], s[34:35]
	v_ldexp_f64 v[100:101], v[75:76], 1
	v_add_f64 v[75:76], v[75:76], -v[98:99]
	v_cmp_eq_f64_e64 s34, 0x7ff00000, v[69:70]
	v_mul_f64 v[96:97], v[102:103], v[96:97]
	v_cvt_f64_i32_e32 v[102:103], v114
	s_delay_alu instid0(VALU_DEP_4) | instskip(NEXT) | instid1(VALU_DEP_3)
	v_add_f64 v[73:74], v[73:74], -v[75:76]
	v_add_f64 v[98:99], v[100:101], v[96:97]
	s_delay_alu instid0(VALU_DEP_3) | instskip(NEXT) | instid1(VALU_DEP_3)
	v_mul_f64 v[104:105], v[102:103], s[36:37]
	v_ldexp_f64 v[73:74], v[73:74], 1
	s_delay_alu instid0(VALU_DEP_3) | instskip(NEXT) | instid1(VALU_DEP_3)
	v_add_f64 v[75:76], v[98:99], -v[100:101]
	v_fma_f64 v[100:101], v[102:103], s[36:37], -v[104:105]
	s_delay_alu instid0(VALU_DEP_2) | instskip(NEXT) | instid1(VALU_DEP_2)
	v_add_f64 v[75:76], v[96:97], -v[75:76]
	v_fma_f64 v[96:97], v[102:103], s[38:39], v[100:101]
	s_delay_alu instid0(VALU_DEP_2) | instskip(NEXT) | instid1(VALU_DEP_2)
	v_add_f64 v[73:74], v[73:74], v[75:76]
	v_add_f64 v[75:76], v[104:105], v[96:97]
	s_delay_alu instid0(VALU_DEP_2) | instskip(NEXT) | instid1(VALU_DEP_2)
	v_add_f64 v[100:101], v[98:99], v[73:74]
	v_add_f64 v[104:105], v[75:76], -v[104:105]
	s_delay_alu instid0(VALU_DEP_2) | instskip(SKIP_1) | instid1(VALU_DEP_3)
	v_add_f64 v[102:103], v[75:76], v[100:101]
	v_add_f64 v[98:99], v[100:101], -v[98:99]
	v_add_f64 v[96:97], v[96:97], -v[104:105]
	s_delay_alu instid0(VALU_DEP_3) | instskip(NEXT) | instid1(VALU_DEP_3)
	v_add_f64 v[106:107], v[102:103], -v[75:76]
	v_add_f64 v[73:74], v[73:74], -v[98:99]
	s_delay_alu instid0(VALU_DEP_2) | instskip(SKIP_1) | instid1(VALU_DEP_3)
	v_add_f64 v[108:109], v[102:103], -v[106:107]
	v_add_f64 v[98:99], v[100:101], -v[106:107]
	v_add_f64 v[100:101], v[96:97], v[73:74]
	s_delay_alu instid0(VALU_DEP_3) | instskip(NEXT) | instid1(VALU_DEP_1)
	v_add_f64 v[75:76], v[75:76], -v[108:109]
	v_add_f64 v[75:76], v[98:99], v[75:76]
	s_delay_alu instid0(VALU_DEP_3) | instskip(NEXT) | instid1(VALU_DEP_2)
	v_add_f64 v[98:99], v[100:101], -v[96:97]
	v_add_f64 v[75:76], v[100:101], v[75:76]
	s_delay_alu instid0(VALU_DEP_2) | instskip(SKIP_1) | instid1(VALU_DEP_3)
	v_add_f64 v[100:101], v[100:101], -v[98:99]
	v_add_f64 v[73:74], v[73:74], -v[98:99]
	v_add_f64 v[104:105], v[102:103], v[75:76]
	s_delay_alu instid0(VALU_DEP_3) | instskip(NEXT) | instid1(VALU_DEP_2)
	v_add_f64 v[96:97], v[96:97], -v[100:101]
	v_add_f64 v[98:99], v[104:105], -v[102:103]
	s_delay_alu instid0(VALU_DEP_2) | instskip(NEXT) | instid1(VALU_DEP_2)
	v_add_f64 v[73:74], v[73:74], v[96:97]
	v_add_f64 v[75:76], v[75:76], -v[98:99]
	s_delay_alu instid0(VALU_DEP_1) | instskip(NEXT) | instid1(VALU_DEP_1)
	v_add_f64 v[73:74], v[73:74], v[75:76]
	v_add_f64 v[73:74], v[104:105], v[73:74]
	s_delay_alu instid0(VALU_DEP_1) | instskip(NEXT) | instid1(VALU_DEP_2)
	v_cndmask_b32_e64 v73, v73, v69, s34
	v_cndmask_b32_e64 v74, v74, v70, s34
	v_cmp_ngt_f64_e64 s34, -1.0, v[69:70]
	s_delay_alu instid0(VALU_DEP_1) | instskip(SKIP_1) | instid1(VALU_DEP_1)
	v_cndmask_b32_e64 v74, 0x7ff80000, v74, s34
	v_cmp_nge_f64_e64 s34, -1.0, v[69:70]
	v_cndmask_b32_e64 v73, 0, v73, s34
	v_cmp_neq_f64_e64 s34, -1.0, v[69:70]
	s_delay_alu instid0(VALU_DEP_1) | instskip(NEXT) | instid1(VALU_DEP_1)
	v_cndmask_b32_e64 v74, 0xfff00000, v74, s34
	v_add_f64 v[69:70], v[71:72], v[73:74]
.LBB66_62:
	s_or_b32 exec_lo, exec_lo, s40
	s_load_b64 s[34:35], s[0:1], 0x20
	v_mbcnt_lo_u32_b32 v96, -1, 0
	s_delay_alu instid0(VALU_DEP_2) | instskip(NEXT) | instid1(VALU_DEP_3)
	v_mov_b32_dpp v71, v69 row_shr:1 row_mask:0xf bank_mask:0xf
	v_mov_b32_dpp v72, v70 row_shr:1 row_mask:0xf bank_mask:0xf
	v_dual_mov_b32 v73, v69 :: v_dual_mov_b32 v74, v70
	s_delay_alu instid0(VALU_DEP_4) | instskip(SKIP_1) | instid1(VALU_DEP_1)
	v_and_b32_e32 v75, 15, v96
	s_mov_b32 s40, exec_lo
	v_cmpx_ne_u32_e32 0, v75
	s_cbranch_execz .LBB66_66
; %bb.63:
	v_max_f64 v[73:74], v[71:72], v[71:72]
	v_max_f64 v[97:98], v[69:70], v[69:70]
	v_cmp_u_f64_e64 s0, v[71:72], v[71:72]
	v_cmp_u_f64_e64 s1, v[69:70], v[69:70]
	s_delay_alu instid0(VALU_DEP_3) | instskip(SKIP_1) | instid1(VALU_DEP_2)
	v_min_f64 v[99:100], v[73:74], v[97:98]
	v_max_f64 v[73:74], v[73:74], v[97:98]
	v_cndmask_b32_e64 v76, v99, v71, s0
	s_delay_alu instid0(VALU_DEP_3) | instskip(NEXT) | instid1(VALU_DEP_3)
	v_cndmask_b32_e64 v97, v100, v72, s0
	v_cndmask_b32_e64 v98, v74, v72, s0
	s_delay_alu instid0(VALU_DEP_4) | instskip(NEXT) | instid1(VALU_DEP_4)
	v_cndmask_b32_e64 v99, v73, v71, s0
	v_cndmask_b32_e64 v73, v76, v69, s1
	s_delay_alu instid0(VALU_DEP_4) | instskip(NEXT) | instid1(VALU_DEP_4)
	v_cndmask_b32_e64 v74, v97, v70, s1
	v_cndmask_b32_e64 v70, v98, v70, s1
	s_delay_alu instid0(VALU_DEP_4) | instskip(NEXT) | instid1(VALU_DEP_3)
	v_cndmask_b32_e64 v69, v99, v69, s1
	v_cmp_class_f64_e64 s1, v[73:74], 0x1f8
	s_delay_alu instid0(VALU_DEP_2) | instskip(NEXT) | instid1(VALU_DEP_1)
	v_cmp_neq_f64_e64 s0, v[73:74], v[69:70]
	s_or_b32 s0, s0, s1
	s_delay_alu instid0(SALU_CYCLE_1)
	s_and_saveexec_b32 s41, s0
	s_cbranch_execz .LBB66_65
; %bb.64:
	v_add_f64 v[71:72], v[73:74], -v[69:70]
	s_mov_b32 s0, 0x652b82fe
	s_mov_b32 s1, 0x3ff71547
	;; [unrolled: 1-line block ×10, first 2 shown]
	s_delay_alu instid0(VALU_DEP_1) | instskip(SKIP_2) | instid1(VALU_DEP_1)
	v_mul_f64 v[73:74], v[71:72], s[0:1]
	s_mov_b32 s0, 0xfca7ab0c
	s_mov_b32 s1, 0x3e928af3
	v_rndne_f64_e32 v[73:74], v[73:74]
	s_delay_alu instid0(VALU_DEP_1) | instskip(SKIP_2) | instid1(VALU_DEP_2)
	v_fma_f64 v[97:98], v[73:74], s[36:37], v[71:72]
	v_cvt_i32_f64_e32 v76, v[73:74]
	s_mov_b32 s37, 0x3fe62e42
	v_fma_f64 v[97:98], v[73:74], s[38:39], v[97:98]
	s_mov_b32 s39, 0x3c7abc9e
	s_delay_alu instid0(VALU_DEP_1) | instskip(SKIP_4) | instid1(VALU_DEP_1)
	v_fma_f64 v[99:100], v[97:98], s[42:43], s[0:1]
	s_mov_b32 s0, 0x623fde64
	s_mov_b32 s1, 0x3ec71dee
	;; [unrolled: 1-line block ×4, first 2 shown]
	v_fma_f64 v[99:100], v[97:98], v[99:100], s[0:1]
	s_mov_b32 s0, 0x7c89e6b0
	s_mov_b32 s1, 0x3efa0199
	s_delay_alu instid0(VALU_DEP_1) | instid1(SALU_CYCLE_1)
	v_fma_f64 v[99:100], v[97:98], v[99:100], s[0:1]
	s_mov_b32 s0, 0x14761f6e
	s_mov_b32 s1, 0x3f2a01a0
	s_delay_alu instid0(VALU_DEP_1) | instid1(SALU_CYCLE_1)
	;; [unrolled: 4-line block ×7, first 2 shown]
	v_fma_f64 v[99:100], v[97:98], v[99:100], s[0:1]
	v_cmp_nlt_f64_e64 s0, 0x40900000, v[71:72]
	v_cmp_ngt_f64_e64 s1, 0xc090cc00, v[71:72]
	s_delay_alu instid0(VALU_DEP_3) | instskip(NEXT) | instid1(VALU_DEP_1)
	v_fma_f64 v[99:100], v[97:98], v[99:100], 1.0
	v_fma_f64 v[73:74], v[97:98], v[99:100], 1.0
	s_delay_alu instid0(VALU_DEP_1) | instskip(NEXT) | instid1(VALU_DEP_1)
	v_ldexp_f64 v[73:74], v[73:74], v76
	v_cndmask_b32_e64 v74, 0x7ff00000, v74, s0
	s_and_b32 s0, s1, s0
	s_delay_alu instid0(VALU_DEP_2) | instid1(SALU_CYCLE_1)
	v_cndmask_b32_e64 v71, 0, v73, s0
	s_mov_b32 s0, 0x55555555
	s_delay_alu instid0(VALU_DEP_2) | instskip(SKIP_1) | instid1(VALU_DEP_1)
	v_cndmask_b32_e64 v72, 0, v74, s1
	s_mov_b32 s1, 0x3fe55555
	v_add_f64 v[73:74], v[71:72], 1.0
	s_delay_alu instid0(VALU_DEP_1) | instskip(SKIP_2) | instid1(VALU_DEP_3)
	v_frexp_mant_f64_e32 v[97:98], v[73:74]
	v_frexp_exp_i32_f64_e32 v76, v[73:74]
	v_add_f64 v[99:100], v[73:74], -1.0
	v_cmp_gt_f64_e64 s0, s[0:1], v[97:98]
	s_delay_alu instid0(VALU_DEP_2) | instskip(SKIP_1) | instid1(VALU_DEP_3)
	v_add_f64 v[97:98], v[99:100], -v[73:74]
	v_add_f64 v[99:100], v[71:72], -v[99:100]
	v_subrev_co_ci_u32_e64 v76, s0, 0, v76, s0
	s_delay_alu instid0(VALU_DEP_3) | instskip(SKIP_1) | instid1(VALU_DEP_2)
	v_add_f64 v[97:98], v[97:98], 1.0
	s_mov_b32 s0, 0x55555780
	v_sub_nc_u32_e32 v103, 0, v76
	s_delay_alu instid0(VALU_DEP_1) | instskip(NEXT) | instid1(VALU_DEP_3)
	v_ldexp_f64 v[73:74], v[73:74], v103
	v_add_f64 v[97:98], v[99:100], v[97:98]
	s_delay_alu instid0(VALU_DEP_2) | instskip(SKIP_1) | instid1(VALU_DEP_3)
	v_add_f64 v[101:102], v[73:74], 1.0
	v_add_f64 v[107:108], v[73:74], -1.0
	v_ldexp_f64 v[97:98], v[97:98], v103
	s_delay_alu instid0(VALU_DEP_3) | instskip(NEXT) | instid1(VALU_DEP_3)
	v_add_f64 v[99:100], v[101:102], -1.0
	v_add_f64 v[109:110], v[107:108], 1.0
	s_delay_alu instid0(VALU_DEP_2) | instskip(NEXT) | instid1(VALU_DEP_2)
	v_add_f64 v[99:100], v[73:74], -v[99:100]
	v_add_f64 v[73:74], v[73:74], -v[109:110]
	s_delay_alu instid0(VALU_DEP_2) | instskip(NEXT) | instid1(VALU_DEP_2)
	v_add_f64 v[99:100], v[97:98], v[99:100]
	v_add_f64 v[73:74], v[97:98], v[73:74]
	s_delay_alu instid0(VALU_DEP_2) | instskip(NEXT) | instid1(VALU_DEP_2)
	v_add_f64 v[103:104], v[101:102], v[99:100]
	v_add_f64 v[109:110], v[107:108], v[73:74]
	s_delay_alu instid0(VALU_DEP_2) | instskip(SKIP_1) | instid1(VALU_DEP_2)
	v_rcp_f64_e32 v[105:106], v[103:104]
	v_add_f64 v[101:102], v[103:104], -v[101:102]
	v_add_f64 v[107:108], v[109:110], -v[107:108]
	s_delay_alu instid0(VALU_DEP_2) | instskip(SKIP_3) | instid1(VALU_DEP_2)
	v_add_f64 v[99:100], v[99:100], -v[101:102]
	s_waitcnt_depctr 0xfff
	v_fma_f64 v[111:112], -v[103:104], v[105:106], 1.0
	v_add_f64 v[73:74], v[73:74], -v[107:108]
	v_fma_f64 v[105:106], v[111:112], v[105:106], v[105:106]
	s_delay_alu instid0(VALU_DEP_1) | instskip(NEXT) | instid1(VALU_DEP_1)
	v_fma_f64 v[97:98], -v[103:104], v[105:106], 1.0
	v_fma_f64 v[97:98], v[97:98], v[105:106], v[105:106]
	s_delay_alu instid0(VALU_DEP_1) | instskip(NEXT) | instid1(VALU_DEP_1)
	v_mul_f64 v[105:106], v[109:110], v[97:98]
	v_mul_f64 v[111:112], v[103:104], v[105:106]
	s_delay_alu instid0(VALU_DEP_1) | instskip(NEXT) | instid1(VALU_DEP_1)
	v_fma_f64 v[101:102], v[105:106], v[103:104], -v[111:112]
	v_fma_f64 v[101:102], v[105:106], v[99:100], v[101:102]
	s_delay_alu instid0(VALU_DEP_1) | instskip(NEXT) | instid1(VALU_DEP_1)
	v_add_f64 v[113:114], v[111:112], v[101:102]
	v_add_f64 v[115:116], v[109:110], -v[113:114]
	v_add_f64 v[107:108], v[113:114], -v[111:112]
	s_delay_alu instid0(VALU_DEP_2) | instskip(NEXT) | instid1(VALU_DEP_2)
	v_add_f64 v[109:110], v[109:110], -v[115:116]
	v_add_f64 v[101:102], v[107:108], -v[101:102]
	s_delay_alu instid0(VALU_DEP_2) | instskip(NEXT) | instid1(VALU_DEP_1)
	v_add_f64 v[109:110], v[109:110], -v[113:114]
	v_add_f64 v[73:74], v[73:74], v[109:110]
	s_delay_alu instid0(VALU_DEP_1) | instskip(NEXT) | instid1(VALU_DEP_1)
	v_add_f64 v[73:74], v[101:102], v[73:74]
	v_add_f64 v[101:102], v[115:116], v[73:74]
	s_delay_alu instid0(VALU_DEP_1) | instskip(SKIP_1) | instid1(VALU_DEP_2)
	v_mul_f64 v[107:108], v[97:98], v[101:102]
	v_add_f64 v[113:114], v[115:116], -v[101:102]
	v_mul_f64 v[109:110], v[103:104], v[107:108]
	s_delay_alu instid0(VALU_DEP_2) | instskip(NEXT) | instid1(VALU_DEP_2)
	v_add_f64 v[73:74], v[73:74], v[113:114]
	v_fma_f64 v[103:104], v[107:108], v[103:104], -v[109:110]
	s_delay_alu instid0(VALU_DEP_1) | instskip(NEXT) | instid1(VALU_DEP_1)
	v_fma_f64 v[99:100], v[107:108], v[99:100], v[103:104]
	v_add_f64 v[103:104], v[109:110], v[99:100]
	s_delay_alu instid0(VALU_DEP_1) | instskip(SKIP_1) | instid1(VALU_DEP_2)
	v_add_f64 v[111:112], v[101:102], -v[103:104]
	v_add_f64 v[109:110], v[103:104], -v[109:110]
	;; [unrolled: 1-line block ×3, first 2 shown]
	s_delay_alu instid0(VALU_DEP_2) | instskip(NEXT) | instid1(VALU_DEP_2)
	v_add_f64 v[99:100], v[109:110], -v[99:100]
	v_add_f64 v[101:102], v[101:102], -v[103:104]
	s_delay_alu instid0(VALU_DEP_1) | instskip(SKIP_1) | instid1(VALU_DEP_2)
	v_add_f64 v[73:74], v[73:74], v[101:102]
	v_add_f64 v[101:102], v[105:106], v[107:108]
	;; [unrolled: 1-line block ×3, first 2 shown]
	s_delay_alu instid0(VALU_DEP_2) | instskip(NEXT) | instid1(VALU_DEP_2)
	v_add_f64 v[99:100], v[101:102], -v[105:106]
	v_add_f64 v[73:74], v[111:112], v[73:74]
	s_delay_alu instid0(VALU_DEP_2) | instskip(NEXT) | instid1(VALU_DEP_2)
	v_add_f64 v[99:100], v[107:108], -v[99:100]
	v_mul_f64 v[73:74], v[97:98], v[73:74]
	s_delay_alu instid0(VALU_DEP_1) | instskip(NEXT) | instid1(VALU_DEP_1)
	v_add_f64 v[73:74], v[99:100], v[73:74]
	v_add_f64 v[97:98], v[101:102], v[73:74]
	s_delay_alu instid0(VALU_DEP_1) | instskip(NEXT) | instid1(VALU_DEP_1)
	v_mul_f64 v[99:100], v[97:98], v[97:98]
	v_fma_f64 v[103:104], v[99:100], s[44:45], s[42:43]
	s_mov_b32 s42, 0xd7f4df2e
	s_mov_b32 s43, 0x3fc7474d
	v_mul_f64 v[105:106], v[97:98], v[99:100]
	s_delay_alu instid0(VALU_DEP_2)
	v_fma_f64 v[103:104], v[99:100], v[103:104], s[42:43]
	s_mov_b32 s42, 0x16291751
	s_mov_b32 s43, 0x3fcc71c0
	s_delay_alu instid0(VALU_DEP_1) | instid1(SALU_CYCLE_1)
	v_fma_f64 v[103:104], v[99:100], v[103:104], s[42:43]
	s_mov_b32 s42, 0x9b27acf1
	s_mov_b32 s43, 0x3fd24924
	s_delay_alu instid0(VALU_DEP_1) | instid1(SALU_CYCLE_1)
	;; [unrolled: 4-line block ×3, first 2 shown]
	v_fma_f64 v[103:104], v[99:100], v[103:104], s[42:43]
	s_delay_alu instid0(VALU_DEP_1) | instskip(SKIP_3) | instid1(VALU_DEP_4)
	v_fma_f64 v[99:100], v[99:100], v[103:104], s[0:1]
	v_ldexp_f64 v[103:104], v[97:98], 1
	v_add_f64 v[97:98], v[97:98], -v[101:102]
	v_cmp_eq_f64_e64 s0, 0x7ff00000, v[71:72]
	v_mul_f64 v[99:100], v[105:106], v[99:100]
	v_cvt_f64_i32_e32 v[105:106], v76
	s_delay_alu instid0(VALU_DEP_4) | instskip(NEXT) | instid1(VALU_DEP_3)
	v_add_f64 v[73:74], v[73:74], -v[97:98]
	v_add_f64 v[101:102], v[103:104], v[99:100]
	s_delay_alu instid0(VALU_DEP_3) | instskip(NEXT) | instid1(VALU_DEP_3)
	v_mul_f64 v[107:108], v[105:106], s[36:37]
	v_ldexp_f64 v[73:74], v[73:74], 1
	s_delay_alu instid0(VALU_DEP_3) | instskip(NEXT) | instid1(VALU_DEP_3)
	v_add_f64 v[97:98], v[101:102], -v[103:104]
	v_fma_f64 v[103:104], v[105:106], s[36:37], -v[107:108]
	s_delay_alu instid0(VALU_DEP_2) | instskip(NEXT) | instid1(VALU_DEP_2)
	v_add_f64 v[97:98], v[99:100], -v[97:98]
	v_fma_f64 v[99:100], v[105:106], s[38:39], v[103:104]
	s_delay_alu instid0(VALU_DEP_2) | instskip(NEXT) | instid1(VALU_DEP_2)
	v_add_f64 v[73:74], v[73:74], v[97:98]
	v_add_f64 v[97:98], v[107:108], v[99:100]
	s_delay_alu instid0(VALU_DEP_2) | instskip(NEXT) | instid1(VALU_DEP_2)
	v_add_f64 v[103:104], v[101:102], v[73:74]
	v_add_f64 v[107:108], v[97:98], -v[107:108]
	s_delay_alu instid0(VALU_DEP_2) | instskip(SKIP_1) | instid1(VALU_DEP_3)
	v_add_f64 v[105:106], v[97:98], v[103:104]
	v_add_f64 v[101:102], v[103:104], -v[101:102]
	v_add_f64 v[99:100], v[99:100], -v[107:108]
	s_delay_alu instid0(VALU_DEP_3) | instskip(NEXT) | instid1(VALU_DEP_3)
	v_add_f64 v[109:110], v[105:106], -v[97:98]
	v_add_f64 v[73:74], v[73:74], -v[101:102]
	s_delay_alu instid0(VALU_DEP_2) | instskip(SKIP_1) | instid1(VALU_DEP_3)
	v_add_f64 v[111:112], v[105:106], -v[109:110]
	v_add_f64 v[101:102], v[103:104], -v[109:110]
	v_add_f64 v[103:104], v[99:100], v[73:74]
	s_delay_alu instid0(VALU_DEP_3) | instskip(NEXT) | instid1(VALU_DEP_1)
	v_add_f64 v[97:98], v[97:98], -v[111:112]
	v_add_f64 v[97:98], v[101:102], v[97:98]
	s_delay_alu instid0(VALU_DEP_3) | instskip(NEXT) | instid1(VALU_DEP_2)
	v_add_f64 v[101:102], v[103:104], -v[99:100]
	v_add_f64 v[97:98], v[103:104], v[97:98]
	s_delay_alu instid0(VALU_DEP_2) | instskip(SKIP_1) | instid1(VALU_DEP_3)
	v_add_f64 v[103:104], v[103:104], -v[101:102]
	v_add_f64 v[73:74], v[73:74], -v[101:102]
	v_add_f64 v[107:108], v[105:106], v[97:98]
	s_delay_alu instid0(VALU_DEP_3) | instskip(NEXT) | instid1(VALU_DEP_2)
	v_add_f64 v[99:100], v[99:100], -v[103:104]
	v_add_f64 v[101:102], v[107:108], -v[105:106]
	s_delay_alu instid0(VALU_DEP_2) | instskip(NEXT) | instid1(VALU_DEP_2)
	v_add_f64 v[73:74], v[73:74], v[99:100]
	v_add_f64 v[97:98], v[97:98], -v[101:102]
	s_delay_alu instid0(VALU_DEP_1) | instskip(NEXT) | instid1(VALU_DEP_1)
	v_add_f64 v[73:74], v[73:74], v[97:98]
	v_add_f64 v[73:74], v[107:108], v[73:74]
	s_delay_alu instid0(VALU_DEP_1) | instskip(NEXT) | instid1(VALU_DEP_2)
	v_cndmask_b32_e64 v73, v73, v71, s0
	v_cndmask_b32_e64 v74, v74, v72, s0
	v_cmp_ngt_f64_e64 s0, -1.0, v[71:72]
	s_delay_alu instid0(VALU_DEP_1) | instskip(SKIP_1) | instid1(VALU_DEP_1)
	v_cndmask_b32_e64 v74, 0x7ff80000, v74, s0
	v_cmp_nge_f64_e64 s0, -1.0, v[71:72]
	v_cndmask_b32_e64 v73, 0, v73, s0
	v_cmp_neq_f64_e64 s0, -1.0, v[71:72]
	s_delay_alu instid0(VALU_DEP_1) | instskip(NEXT) | instid1(VALU_DEP_1)
	v_cndmask_b32_e64 v74, 0xfff00000, v74, s0
	v_add_f64 v[71:72], v[69:70], v[73:74]
.LBB66_65:
	s_or_b32 exec_lo, exec_lo, s41
	s_delay_alu instid0(VALU_DEP_1)
	v_dual_mov_b32 v73, v71 :: v_dual_mov_b32 v74, v72
	v_dual_mov_b32 v69, v71 :: v_dual_mov_b32 v70, v72
.LBB66_66:
	s_or_b32 exec_lo, exec_lo, s40
	s_delay_alu instid0(VALU_DEP_2) | instskip(NEXT) | instid1(VALU_DEP_3)
	v_mov_b32_dpp v71, v73 row_shr:2 row_mask:0xf bank_mask:0xf
	v_mov_b32_dpp v72, v74 row_shr:2 row_mask:0xf bank_mask:0xf
	s_mov_b32 s40, exec_lo
	v_cmpx_lt_u32_e32 1, v75
	s_cbranch_execz .LBB66_70
; %bb.67:
	s_delay_alu instid0(VALU_DEP_2) | instskip(SKIP_3) | instid1(VALU_DEP_3)
	v_max_f64 v[73:74], v[71:72], v[71:72]
	v_max_f64 v[97:98], v[69:70], v[69:70]
	v_cmp_u_f64_e64 s0, v[71:72], v[71:72]
	v_cmp_u_f64_e64 s1, v[69:70], v[69:70]
	v_min_f64 v[99:100], v[73:74], v[97:98]
	v_max_f64 v[73:74], v[73:74], v[97:98]
	s_delay_alu instid0(VALU_DEP_2) | instskip(NEXT) | instid1(VALU_DEP_3)
	v_cndmask_b32_e64 v76, v99, v71, s0
	v_cndmask_b32_e64 v97, v100, v72, s0
	s_delay_alu instid0(VALU_DEP_3) | instskip(NEXT) | instid1(VALU_DEP_4)
	v_cndmask_b32_e64 v98, v74, v72, s0
	v_cndmask_b32_e64 v99, v73, v71, s0
	s_delay_alu instid0(VALU_DEP_4) | instskip(NEXT) | instid1(VALU_DEP_4)
	v_cndmask_b32_e64 v73, v76, v69, s1
	v_cndmask_b32_e64 v74, v97, v70, s1
	s_delay_alu instid0(VALU_DEP_4) | instskip(NEXT) | instid1(VALU_DEP_4)
	v_cndmask_b32_e64 v70, v98, v70, s1
	v_cndmask_b32_e64 v69, v99, v69, s1
	s_delay_alu instid0(VALU_DEP_3) | instskip(NEXT) | instid1(VALU_DEP_2)
	v_cmp_class_f64_e64 s1, v[73:74], 0x1f8
	v_cmp_neq_f64_e64 s0, v[73:74], v[69:70]
	s_delay_alu instid0(VALU_DEP_1) | instskip(NEXT) | instid1(SALU_CYCLE_1)
	s_or_b32 s0, s0, s1
	s_and_saveexec_b32 s41, s0
	s_cbranch_execz .LBB66_69
; %bb.68:
	v_add_f64 v[71:72], v[73:74], -v[69:70]
	s_mov_b32 s0, 0x652b82fe
	s_mov_b32 s1, 0x3ff71547
	;; [unrolled: 1-line block ×10, first 2 shown]
	s_delay_alu instid0(VALU_DEP_1) | instskip(SKIP_2) | instid1(VALU_DEP_1)
	v_mul_f64 v[73:74], v[71:72], s[0:1]
	s_mov_b32 s0, 0xfca7ab0c
	s_mov_b32 s1, 0x3e928af3
	v_rndne_f64_e32 v[73:74], v[73:74]
	s_delay_alu instid0(VALU_DEP_1) | instskip(SKIP_2) | instid1(VALU_DEP_2)
	v_fma_f64 v[97:98], v[73:74], s[36:37], v[71:72]
	v_cvt_i32_f64_e32 v76, v[73:74]
	s_mov_b32 s37, 0x3fe62e42
	v_fma_f64 v[97:98], v[73:74], s[38:39], v[97:98]
	s_mov_b32 s39, 0x3c7abc9e
	s_delay_alu instid0(VALU_DEP_1) | instskip(SKIP_4) | instid1(VALU_DEP_1)
	v_fma_f64 v[99:100], v[97:98], s[42:43], s[0:1]
	s_mov_b32 s0, 0x623fde64
	s_mov_b32 s1, 0x3ec71dee
	;; [unrolled: 1-line block ×4, first 2 shown]
	v_fma_f64 v[99:100], v[97:98], v[99:100], s[0:1]
	s_mov_b32 s0, 0x7c89e6b0
	s_mov_b32 s1, 0x3efa0199
	s_delay_alu instid0(VALU_DEP_1) | instid1(SALU_CYCLE_1)
	v_fma_f64 v[99:100], v[97:98], v[99:100], s[0:1]
	s_mov_b32 s0, 0x14761f6e
	s_mov_b32 s1, 0x3f2a01a0
	s_delay_alu instid0(VALU_DEP_1) | instid1(SALU_CYCLE_1)
	;; [unrolled: 4-line block ×7, first 2 shown]
	v_fma_f64 v[99:100], v[97:98], v[99:100], s[0:1]
	v_cmp_nlt_f64_e64 s0, 0x40900000, v[71:72]
	v_cmp_ngt_f64_e64 s1, 0xc090cc00, v[71:72]
	s_delay_alu instid0(VALU_DEP_3) | instskip(NEXT) | instid1(VALU_DEP_1)
	v_fma_f64 v[99:100], v[97:98], v[99:100], 1.0
	v_fma_f64 v[73:74], v[97:98], v[99:100], 1.0
	s_delay_alu instid0(VALU_DEP_1) | instskip(NEXT) | instid1(VALU_DEP_1)
	v_ldexp_f64 v[73:74], v[73:74], v76
	v_cndmask_b32_e64 v74, 0x7ff00000, v74, s0
	s_and_b32 s0, s1, s0
	s_delay_alu instid0(VALU_DEP_2) | instid1(SALU_CYCLE_1)
	v_cndmask_b32_e64 v71, 0, v73, s0
	s_mov_b32 s0, 0x55555555
	s_delay_alu instid0(VALU_DEP_2) | instskip(SKIP_1) | instid1(VALU_DEP_1)
	v_cndmask_b32_e64 v72, 0, v74, s1
	s_mov_b32 s1, 0x3fe55555
	v_add_f64 v[73:74], v[71:72], 1.0
	s_delay_alu instid0(VALU_DEP_1) | instskip(SKIP_2) | instid1(VALU_DEP_3)
	v_frexp_mant_f64_e32 v[97:98], v[73:74]
	v_frexp_exp_i32_f64_e32 v76, v[73:74]
	v_add_f64 v[99:100], v[73:74], -1.0
	v_cmp_gt_f64_e64 s0, s[0:1], v[97:98]
	s_delay_alu instid0(VALU_DEP_2) | instskip(SKIP_1) | instid1(VALU_DEP_3)
	v_add_f64 v[97:98], v[99:100], -v[73:74]
	v_add_f64 v[99:100], v[71:72], -v[99:100]
	v_subrev_co_ci_u32_e64 v76, s0, 0, v76, s0
	s_delay_alu instid0(VALU_DEP_3) | instskip(SKIP_1) | instid1(VALU_DEP_2)
	v_add_f64 v[97:98], v[97:98], 1.0
	s_mov_b32 s0, 0x55555780
	v_sub_nc_u32_e32 v103, 0, v76
	s_delay_alu instid0(VALU_DEP_1) | instskip(NEXT) | instid1(VALU_DEP_3)
	v_ldexp_f64 v[73:74], v[73:74], v103
	v_add_f64 v[97:98], v[99:100], v[97:98]
	s_delay_alu instid0(VALU_DEP_2) | instskip(SKIP_1) | instid1(VALU_DEP_3)
	v_add_f64 v[101:102], v[73:74], 1.0
	v_add_f64 v[107:108], v[73:74], -1.0
	v_ldexp_f64 v[97:98], v[97:98], v103
	s_delay_alu instid0(VALU_DEP_3) | instskip(NEXT) | instid1(VALU_DEP_3)
	v_add_f64 v[99:100], v[101:102], -1.0
	v_add_f64 v[109:110], v[107:108], 1.0
	s_delay_alu instid0(VALU_DEP_2) | instskip(NEXT) | instid1(VALU_DEP_2)
	v_add_f64 v[99:100], v[73:74], -v[99:100]
	v_add_f64 v[73:74], v[73:74], -v[109:110]
	s_delay_alu instid0(VALU_DEP_2) | instskip(NEXT) | instid1(VALU_DEP_2)
	v_add_f64 v[99:100], v[97:98], v[99:100]
	v_add_f64 v[73:74], v[97:98], v[73:74]
	s_delay_alu instid0(VALU_DEP_2) | instskip(NEXT) | instid1(VALU_DEP_2)
	v_add_f64 v[103:104], v[101:102], v[99:100]
	v_add_f64 v[109:110], v[107:108], v[73:74]
	s_delay_alu instid0(VALU_DEP_2) | instskip(SKIP_1) | instid1(VALU_DEP_2)
	v_rcp_f64_e32 v[105:106], v[103:104]
	v_add_f64 v[101:102], v[103:104], -v[101:102]
	v_add_f64 v[107:108], v[109:110], -v[107:108]
	s_delay_alu instid0(VALU_DEP_2) | instskip(SKIP_3) | instid1(VALU_DEP_2)
	v_add_f64 v[99:100], v[99:100], -v[101:102]
	s_waitcnt_depctr 0xfff
	v_fma_f64 v[111:112], -v[103:104], v[105:106], 1.0
	v_add_f64 v[73:74], v[73:74], -v[107:108]
	v_fma_f64 v[105:106], v[111:112], v[105:106], v[105:106]
	s_delay_alu instid0(VALU_DEP_1) | instskip(NEXT) | instid1(VALU_DEP_1)
	v_fma_f64 v[97:98], -v[103:104], v[105:106], 1.0
	v_fma_f64 v[97:98], v[97:98], v[105:106], v[105:106]
	s_delay_alu instid0(VALU_DEP_1) | instskip(NEXT) | instid1(VALU_DEP_1)
	v_mul_f64 v[105:106], v[109:110], v[97:98]
	v_mul_f64 v[111:112], v[103:104], v[105:106]
	s_delay_alu instid0(VALU_DEP_1) | instskip(NEXT) | instid1(VALU_DEP_1)
	v_fma_f64 v[101:102], v[105:106], v[103:104], -v[111:112]
	v_fma_f64 v[101:102], v[105:106], v[99:100], v[101:102]
	s_delay_alu instid0(VALU_DEP_1) | instskip(NEXT) | instid1(VALU_DEP_1)
	v_add_f64 v[113:114], v[111:112], v[101:102]
	v_add_f64 v[115:116], v[109:110], -v[113:114]
	v_add_f64 v[107:108], v[113:114], -v[111:112]
	s_delay_alu instid0(VALU_DEP_2) | instskip(NEXT) | instid1(VALU_DEP_2)
	v_add_f64 v[109:110], v[109:110], -v[115:116]
	v_add_f64 v[101:102], v[107:108], -v[101:102]
	s_delay_alu instid0(VALU_DEP_2) | instskip(NEXT) | instid1(VALU_DEP_1)
	v_add_f64 v[109:110], v[109:110], -v[113:114]
	v_add_f64 v[73:74], v[73:74], v[109:110]
	s_delay_alu instid0(VALU_DEP_1) | instskip(NEXT) | instid1(VALU_DEP_1)
	v_add_f64 v[73:74], v[101:102], v[73:74]
	v_add_f64 v[101:102], v[115:116], v[73:74]
	s_delay_alu instid0(VALU_DEP_1) | instskip(SKIP_1) | instid1(VALU_DEP_2)
	v_mul_f64 v[107:108], v[97:98], v[101:102]
	v_add_f64 v[113:114], v[115:116], -v[101:102]
	v_mul_f64 v[109:110], v[103:104], v[107:108]
	s_delay_alu instid0(VALU_DEP_2) | instskip(NEXT) | instid1(VALU_DEP_2)
	v_add_f64 v[73:74], v[73:74], v[113:114]
	v_fma_f64 v[103:104], v[107:108], v[103:104], -v[109:110]
	s_delay_alu instid0(VALU_DEP_1) | instskip(NEXT) | instid1(VALU_DEP_1)
	v_fma_f64 v[99:100], v[107:108], v[99:100], v[103:104]
	v_add_f64 v[103:104], v[109:110], v[99:100]
	s_delay_alu instid0(VALU_DEP_1) | instskip(SKIP_1) | instid1(VALU_DEP_2)
	v_add_f64 v[111:112], v[101:102], -v[103:104]
	v_add_f64 v[109:110], v[103:104], -v[109:110]
	;; [unrolled: 1-line block ×3, first 2 shown]
	s_delay_alu instid0(VALU_DEP_2) | instskip(NEXT) | instid1(VALU_DEP_2)
	v_add_f64 v[99:100], v[109:110], -v[99:100]
	v_add_f64 v[101:102], v[101:102], -v[103:104]
	s_delay_alu instid0(VALU_DEP_1) | instskip(SKIP_1) | instid1(VALU_DEP_2)
	v_add_f64 v[73:74], v[73:74], v[101:102]
	v_add_f64 v[101:102], v[105:106], v[107:108]
	;; [unrolled: 1-line block ×3, first 2 shown]
	s_delay_alu instid0(VALU_DEP_2) | instskip(NEXT) | instid1(VALU_DEP_2)
	v_add_f64 v[99:100], v[101:102], -v[105:106]
	v_add_f64 v[73:74], v[111:112], v[73:74]
	s_delay_alu instid0(VALU_DEP_2) | instskip(NEXT) | instid1(VALU_DEP_2)
	v_add_f64 v[99:100], v[107:108], -v[99:100]
	v_mul_f64 v[73:74], v[97:98], v[73:74]
	s_delay_alu instid0(VALU_DEP_1) | instskip(NEXT) | instid1(VALU_DEP_1)
	v_add_f64 v[73:74], v[99:100], v[73:74]
	v_add_f64 v[97:98], v[101:102], v[73:74]
	s_delay_alu instid0(VALU_DEP_1) | instskip(NEXT) | instid1(VALU_DEP_1)
	v_mul_f64 v[99:100], v[97:98], v[97:98]
	v_fma_f64 v[103:104], v[99:100], s[44:45], s[42:43]
	s_mov_b32 s42, 0xd7f4df2e
	s_mov_b32 s43, 0x3fc7474d
	v_mul_f64 v[105:106], v[97:98], v[99:100]
	s_delay_alu instid0(VALU_DEP_2)
	v_fma_f64 v[103:104], v[99:100], v[103:104], s[42:43]
	s_mov_b32 s42, 0x16291751
	s_mov_b32 s43, 0x3fcc71c0
	s_delay_alu instid0(VALU_DEP_1) | instid1(SALU_CYCLE_1)
	v_fma_f64 v[103:104], v[99:100], v[103:104], s[42:43]
	s_mov_b32 s42, 0x9b27acf1
	s_mov_b32 s43, 0x3fd24924
	s_delay_alu instid0(VALU_DEP_1) | instid1(SALU_CYCLE_1)
	;; [unrolled: 4-line block ×3, first 2 shown]
	v_fma_f64 v[103:104], v[99:100], v[103:104], s[42:43]
	s_delay_alu instid0(VALU_DEP_1) | instskip(SKIP_3) | instid1(VALU_DEP_4)
	v_fma_f64 v[99:100], v[99:100], v[103:104], s[0:1]
	v_ldexp_f64 v[103:104], v[97:98], 1
	v_add_f64 v[97:98], v[97:98], -v[101:102]
	v_cmp_eq_f64_e64 s0, 0x7ff00000, v[71:72]
	v_mul_f64 v[99:100], v[105:106], v[99:100]
	v_cvt_f64_i32_e32 v[105:106], v76
	s_delay_alu instid0(VALU_DEP_4) | instskip(NEXT) | instid1(VALU_DEP_3)
	v_add_f64 v[73:74], v[73:74], -v[97:98]
	v_add_f64 v[101:102], v[103:104], v[99:100]
	s_delay_alu instid0(VALU_DEP_3) | instskip(NEXT) | instid1(VALU_DEP_3)
	v_mul_f64 v[107:108], v[105:106], s[36:37]
	v_ldexp_f64 v[73:74], v[73:74], 1
	s_delay_alu instid0(VALU_DEP_3) | instskip(NEXT) | instid1(VALU_DEP_3)
	v_add_f64 v[97:98], v[101:102], -v[103:104]
	v_fma_f64 v[103:104], v[105:106], s[36:37], -v[107:108]
	s_delay_alu instid0(VALU_DEP_2) | instskip(NEXT) | instid1(VALU_DEP_2)
	v_add_f64 v[97:98], v[99:100], -v[97:98]
	v_fma_f64 v[99:100], v[105:106], s[38:39], v[103:104]
	s_delay_alu instid0(VALU_DEP_2) | instskip(NEXT) | instid1(VALU_DEP_2)
	v_add_f64 v[73:74], v[73:74], v[97:98]
	v_add_f64 v[97:98], v[107:108], v[99:100]
	s_delay_alu instid0(VALU_DEP_2) | instskip(NEXT) | instid1(VALU_DEP_2)
	v_add_f64 v[103:104], v[101:102], v[73:74]
	v_add_f64 v[107:108], v[97:98], -v[107:108]
	s_delay_alu instid0(VALU_DEP_2) | instskip(SKIP_1) | instid1(VALU_DEP_3)
	v_add_f64 v[105:106], v[97:98], v[103:104]
	v_add_f64 v[101:102], v[103:104], -v[101:102]
	v_add_f64 v[99:100], v[99:100], -v[107:108]
	s_delay_alu instid0(VALU_DEP_3) | instskip(NEXT) | instid1(VALU_DEP_3)
	v_add_f64 v[109:110], v[105:106], -v[97:98]
	v_add_f64 v[73:74], v[73:74], -v[101:102]
	s_delay_alu instid0(VALU_DEP_2) | instskip(SKIP_1) | instid1(VALU_DEP_3)
	v_add_f64 v[111:112], v[105:106], -v[109:110]
	v_add_f64 v[101:102], v[103:104], -v[109:110]
	v_add_f64 v[103:104], v[99:100], v[73:74]
	s_delay_alu instid0(VALU_DEP_3) | instskip(NEXT) | instid1(VALU_DEP_1)
	v_add_f64 v[97:98], v[97:98], -v[111:112]
	v_add_f64 v[97:98], v[101:102], v[97:98]
	s_delay_alu instid0(VALU_DEP_3) | instskip(NEXT) | instid1(VALU_DEP_2)
	v_add_f64 v[101:102], v[103:104], -v[99:100]
	v_add_f64 v[97:98], v[103:104], v[97:98]
	s_delay_alu instid0(VALU_DEP_2) | instskip(SKIP_1) | instid1(VALU_DEP_3)
	v_add_f64 v[103:104], v[103:104], -v[101:102]
	v_add_f64 v[73:74], v[73:74], -v[101:102]
	v_add_f64 v[107:108], v[105:106], v[97:98]
	s_delay_alu instid0(VALU_DEP_3) | instskip(NEXT) | instid1(VALU_DEP_2)
	v_add_f64 v[99:100], v[99:100], -v[103:104]
	v_add_f64 v[101:102], v[107:108], -v[105:106]
	s_delay_alu instid0(VALU_DEP_2) | instskip(NEXT) | instid1(VALU_DEP_2)
	v_add_f64 v[73:74], v[73:74], v[99:100]
	v_add_f64 v[97:98], v[97:98], -v[101:102]
	s_delay_alu instid0(VALU_DEP_1) | instskip(NEXT) | instid1(VALU_DEP_1)
	v_add_f64 v[73:74], v[73:74], v[97:98]
	v_add_f64 v[73:74], v[107:108], v[73:74]
	s_delay_alu instid0(VALU_DEP_1) | instskip(NEXT) | instid1(VALU_DEP_2)
	v_cndmask_b32_e64 v73, v73, v71, s0
	v_cndmask_b32_e64 v74, v74, v72, s0
	v_cmp_ngt_f64_e64 s0, -1.0, v[71:72]
	s_delay_alu instid0(VALU_DEP_1) | instskip(SKIP_1) | instid1(VALU_DEP_1)
	v_cndmask_b32_e64 v74, 0x7ff80000, v74, s0
	v_cmp_nge_f64_e64 s0, -1.0, v[71:72]
	v_cndmask_b32_e64 v73, 0, v73, s0
	v_cmp_neq_f64_e64 s0, -1.0, v[71:72]
	s_delay_alu instid0(VALU_DEP_1) | instskip(NEXT) | instid1(VALU_DEP_1)
	v_cndmask_b32_e64 v74, 0xfff00000, v74, s0
	v_add_f64 v[71:72], v[69:70], v[73:74]
.LBB66_69:
	s_or_b32 exec_lo, exec_lo, s41
	s_delay_alu instid0(VALU_DEP_1)
	v_dual_mov_b32 v69, v71 :: v_dual_mov_b32 v70, v72
	v_dual_mov_b32 v73, v71 :: v_dual_mov_b32 v74, v72
.LBB66_70:
	s_or_b32 exec_lo, exec_lo, s40
	s_delay_alu instid0(VALU_DEP_1) | instskip(NEXT) | instid1(VALU_DEP_2)
	v_mov_b32_dpp v71, v73 row_shr:4 row_mask:0xf bank_mask:0xf
	v_mov_b32_dpp v72, v74 row_shr:4 row_mask:0xf bank_mask:0xf
	s_mov_b32 s40, exec_lo
	v_cmpx_lt_u32_e32 3, v75
	s_cbranch_execz .LBB66_74
; %bb.71:
	s_delay_alu instid0(VALU_DEP_2) | instskip(SKIP_3) | instid1(VALU_DEP_3)
	v_max_f64 v[73:74], v[71:72], v[71:72]
	v_max_f64 v[97:98], v[69:70], v[69:70]
	v_cmp_u_f64_e64 s0, v[71:72], v[71:72]
	v_cmp_u_f64_e64 s1, v[69:70], v[69:70]
	v_min_f64 v[99:100], v[73:74], v[97:98]
	v_max_f64 v[73:74], v[73:74], v[97:98]
	s_delay_alu instid0(VALU_DEP_2) | instskip(NEXT) | instid1(VALU_DEP_3)
	v_cndmask_b32_e64 v76, v99, v71, s0
	v_cndmask_b32_e64 v97, v100, v72, s0
	s_delay_alu instid0(VALU_DEP_3) | instskip(NEXT) | instid1(VALU_DEP_4)
	v_cndmask_b32_e64 v98, v74, v72, s0
	v_cndmask_b32_e64 v99, v73, v71, s0
	s_delay_alu instid0(VALU_DEP_4) | instskip(NEXT) | instid1(VALU_DEP_4)
	v_cndmask_b32_e64 v73, v76, v69, s1
	v_cndmask_b32_e64 v74, v97, v70, s1
	s_delay_alu instid0(VALU_DEP_4) | instskip(NEXT) | instid1(VALU_DEP_4)
	v_cndmask_b32_e64 v70, v98, v70, s1
	v_cndmask_b32_e64 v69, v99, v69, s1
	s_delay_alu instid0(VALU_DEP_3) | instskip(NEXT) | instid1(VALU_DEP_2)
	v_cmp_class_f64_e64 s1, v[73:74], 0x1f8
	v_cmp_neq_f64_e64 s0, v[73:74], v[69:70]
	s_delay_alu instid0(VALU_DEP_1) | instskip(NEXT) | instid1(SALU_CYCLE_1)
	s_or_b32 s0, s0, s1
	s_and_saveexec_b32 s41, s0
	s_cbranch_execz .LBB66_73
; %bb.72:
	v_add_f64 v[71:72], v[73:74], -v[69:70]
	s_mov_b32 s0, 0x652b82fe
	s_mov_b32 s1, 0x3ff71547
	;; [unrolled: 1-line block ×10, first 2 shown]
	s_delay_alu instid0(VALU_DEP_1) | instskip(SKIP_2) | instid1(VALU_DEP_1)
	v_mul_f64 v[73:74], v[71:72], s[0:1]
	s_mov_b32 s0, 0xfca7ab0c
	s_mov_b32 s1, 0x3e928af3
	v_rndne_f64_e32 v[73:74], v[73:74]
	s_delay_alu instid0(VALU_DEP_1) | instskip(SKIP_2) | instid1(VALU_DEP_2)
	v_fma_f64 v[97:98], v[73:74], s[36:37], v[71:72]
	v_cvt_i32_f64_e32 v76, v[73:74]
	s_mov_b32 s37, 0x3fe62e42
	v_fma_f64 v[97:98], v[73:74], s[38:39], v[97:98]
	s_mov_b32 s39, 0x3c7abc9e
	s_delay_alu instid0(VALU_DEP_1) | instskip(SKIP_4) | instid1(VALU_DEP_1)
	v_fma_f64 v[99:100], v[97:98], s[42:43], s[0:1]
	s_mov_b32 s0, 0x623fde64
	s_mov_b32 s1, 0x3ec71dee
	s_mov_b32 s42, 0x6b47b09a
	s_mov_b32 s43, 0x3fc38538
	v_fma_f64 v[99:100], v[97:98], v[99:100], s[0:1]
	s_mov_b32 s0, 0x7c89e6b0
	s_mov_b32 s1, 0x3efa0199
	s_delay_alu instid0(VALU_DEP_1) | instid1(SALU_CYCLE_1)
	v_fma_f64 v[99:100], v[97:98], v[99:100], s[0:1]
	s_mov_b32 s0, 0x14761f6e
	s_mov_b32 s1, 0x3f2a01a0
	s_delay_alu instid0(VALU_DEP_1) | instid1(SALU_CYCLE_1)
	;; [unrolled: 4-line block ×7, first 2 shown]
	v_fma_f64 v[99:100], v[97:98], v[99:100], s[0:1]
	v_cmp_nlt_f64_e64 s0, 0x40900000, v[71:72]
	v_cmp_ngt_f64_e64 s1, 0xc090cc00, v[71:72]
	s_delay_alu instid0(VALU_DEP_3) | instskip(NEXT) | instid1(VALU_DEP_1)
	v_fma_f64 v[99:100], v[97:98], v[99:100], 1.0
	v_fma_f64 v[73:74], v[97:98], v[99:100], 1.0
	s_delay_alu instid0(VALU_DEP_1) | instskip(NEXT) | instid1(VALU_DEP_1)
	v_ldexp_f64 v[73:74], v[73:74], v76
	v_cndmask_b32_e64 v74, 0x7ff00000, v74, s0
	s_and_b32 s0, s1, s0
	s_delay_alu instid0(VALU_DEP_2) | instid1(SALU_CYCLE_1)
	v_cndmask_b32_e64 v71, 0, v73, s0
	s_mov_b32 s0, 0x55555555
	s_delay_alu instid0(VALU_DEP_2) | instskip(SKIP_1) | instid1(VALU_DEP_1)
	v_cndmask_b32_e64 v72, 0, v74, s1
	s_mov_b32 s1, 0x3fe55555
	v_add_f64 v[73:74], v[71:72], 1.0
	s_delay_alu instid0(VALU_DEP_1) | instskip(SKIP_2) | instid1(VALU_DEP_3)
	v_frexp_mant_f64_e32 v[97:98], v[73:74]
	v_frexp_exp_i32_f64_e32 v76, v[73:74]
	v_add_f64 v[99:100], v[73:74], -1.0
	v_cmp_gt_f64_e64 s0, s[0:1], v[97:98]
	s_delay_alu instid0(VALU_DEP_2) | instskip(SKIP_1) | instid1(VALU_DEP_3)
	v_add_f64 v[97:98], v[99:100], -v[73:74]
	v_add_f64 v[99:100], v[71:72], -v[99:100]
	v_subrev_co_ci_u32_e64 v76, s0, 0, v76, s0
	s_delay_alu instid0(VALU_DEP_3) | instskip(SKIP_1) | instid1(VALU_DEP_2)
	v_add_f64 v[97:98], v[97:98], 1.0
	s_mov_b32 s0, 0x55555780
	v_sub_nc_u32_e32 v103, 0, v76
	s_delay_alu instid0(VALU_DEP_1) | instskip(NEXT) | instid1(VALU_DEP_3)
	v_ldexp_f64 v[73:74], v[73:74], v103
	v_add_f64 v[97:98], v[99:100], v[97:98]
	s_delay_alu instid0(VALU_DEP_2) | instskip(SKIP_1) | instid1(VALU_DEP_3)
	v_add_f64 v[101:102], v[73:74], 1.0
	v_add_f64 v[107:108], v[73:74], -1.0
	v_ldexp_f64 v[97:98], v[97:98], v103
	s_delay_alu instid0(VALU_DEP_3) | instskip(NEXT) | instid1(VALU_DEP_3)
	v_add_f64 v[99:100], v[101:102], -1.0
	v_add_f64 v[109:110], v[107:108], 1.0
	s_delay_alu instid0(VALU_DEP_2) | instskip(NEXT) | instid1(VALU_DEP_2)
	v_add_f64 v[99:100], v[73:74], -v[99:100]
	v_add_f64 v[73:74], v[73:74], -v[109:110]
	s_delay_alu instid0(VALU_DEP_2) | instskip(NEXT) | instid1(VALU_DEP_2)
	v_add_f64 v[99:100], v[97:98], v[99:100]
	v_add_f64 v[73:74], v[97:98], v[73:74]
	s_delay_alu instid0(VALU_DEP_2) | instskip(NEXT) | instid1(VALU_DEP_2)
	v_add_f64 v[103:104], v[101:102], v[99:100]
	v_add_f64 v[109:110], v[107:108], v[73:74]
	s_delay_alu instid0(VALU_DEP_2) | instskip(SKIP_1) | instid1(VALU_DEP_2)
	v_rcp_f64_e32 v[105:106], v[103:104]
	v_add_f64 v[101:102], v[103:104], -v[101:102]
	v_add_f64 v[107:108], v[109:110], -v[107:108]
	s_delay_alu instid0(VALU_DEP_2) | instskip(SKIP_3) | instid1(VALU_DEP_2)
	v_add_f64 v[99:100], v[99:100], -v[101:102]
	s_waitcnt_depctr 0xfff
	v_fma_f64 v[111:112], -v[103:104], v[105:106], 1.0
	v_add_f64 v[73:74], v[73:74], -v[107:108]
	v_fma_f64 v[105:106], v[111:112], v[105:106], v[105:106]
	s_delay_alu instid0(VALU_DEP_1) | instskip(NEXT) | instid1(VALU_DEP_1)
	v_fma_f64 v[97:98], -v[103:104], v[105:106], 1.0
	v_fma_f64 v[97:98], v[97:98], v[105:106], v[105:106]
	s_delay_alu instid0(VALU_DEP_1) | instskip(NEXT) | instid1(VALU_DEP_1)
	v_mul_f64 v[105:106], v[109:110], v[97:98]
	v_mul_f64 v[111:112], v[103:104], v[105:106]
	s_delay_alu instid0(VALU_DEP_1) | instskip(NEXT) | instid1(VALU_DEP_1)
	v_fma_f64 v[101:102], v[105:106], v[103:104], -v[111:112]
	v_fma_f64 v[101:102], v[105:106], v[99:100], v[101:102]
	s_delay_alu instid0(VALU_DEP_1) | instskip(NEXT) | instid1(VALU_DEP_1)
	v_add_f64 v[113:114], v[111:112], v[101:102]
	v_add_f64 v[115:116], v[109:110], -v[113:114]
	v_add_f64 v[107:108], v[113:114], -v[111:112]
	s_delay_alu instid0(VALU_DEP_2) | instskip(NEXT) | instid1(VALU_DEP_2)
	v_add_f64 v[109:110], v[109:110], -v[115:116]
	v_add_f64 v[101:102], v[107:108], -v[101:102]
	s_delay_alu instid0(VALU_DEP_2) | instskip(NEXT) | instid1(VALU_DEP_1)
	v_add_f64 v[109:110], v[109:110], -v[113:114]
	v_add_f64 v[73:74], v[73:74], v[109:110]
	s_delay_alu instid0(VALU_DEP_1) | instskip(NEXT) | instid1(VALU_DEP_1)
	v_add_f64 v[73:74], v[101:102], v[73:74]
	v_add_f64 v[101:102], v[115:116], v[73:74]
	s_delay_alu instid0(VALU_DEP_1) | instskip(SKIP_1) | instid1(VALU_DEP_2)
	v_mul_f64 v[107:108], v[97:98], v[101:102]
	v_add_f64 v[113:114], v[115:116], -v[101:102]
	v_mul_f64 v[109:110], v[103:104], v[107:108]
	s_delay_alu instid0(VALU_DEP_2) | instskip(NEXT) | instid1(VALU_DEP_2)
	v_add_f64 v[73:74], v[73:74], v[113:114]
	v_fma_f64 v[103:104], v[107:108], v[103:104], -v[109:110]
	s_delay_alu instid0(VALU_DEP_1) | instskip(NEXT) | instid1(VALU_DEP_1)
	v_fma_f64 v[99:100], v[107:108], v[99:100], v[103:104]
	v_add_f64 v[103:104], v[109:110], v[99:100]
	s_delay_alu instid0(VALU_DEP_1) | instskip(SKIP_1) | instid1(VALU_DEP_2)
	v_add_f64 v[111:112], v[101:102], -v[103:104]
	v_add_f64 v[109:110], v[103:104], -v[109:110]
	;; [unrolled: 1-line block ×3, first 2 shown]
	s_delay_alu instid0(VALU_DEP_2) | instskip(NEXT) | instid1(VALU_DEP_2)
	v_add_f64 v[99:100], v[109:110], -v[99:100]
	v_add_f64 v[101:102], v[101:102], -v[103:104]
	s_delay_alu instid0(VALU_DEP_1) | instskip(SKIP_1) | instid1(VALU_DEP_2)
	v_add_f64 v[73:74], v[73:74], v[101:102]
	v_add_f64 v[101:102], v[105:106], v[107:108]
	;; [unrolled: 1-line block ×3, first 2 shown]
	s_delay_alu instid0(VALU_DEP_2) | instskip(NEXT) | instid1(VALU_DEP_2)
	v_add_f64 v[99:100], v[101:102], -v[105:106]
	v_add_f64 v[73:74], v[111:112], v[73:74]
	s_delay_alu instid0(VALU_DEP_2) | instskip(NEXT) | instid1(VALU_DEP_2)
	v_add_f64 v[99:100], v[107:108], -v[99:100]
	v_mul_f64 v[73:74], v[97:98], v[73:74]
	s_delay_alu instid0(VALU_DEP_1) | instskip(NEXT) | instid1(VALU_DEP_1)
	v_add_f64 v[73:74], v[99:100], v[73:74]
	v_add_f64 v[97:98], v[101:102], v[73:74]
	s_delay_alu instid0(VALU_DEP_1) | instskip(NEXT) | instid1(VALU_DEP_1)
	v_mul_f64 v[99:100], v[97:98], v[97:98]
	v_fma_f64 v[103:104], v[99:100], s[44:45], s[42:43]
	s_mov_b32 s42, 0xd7f4df2e
	s_mov_b32 s43, 0x3fc7474d
	v_mul_f64 v[105:106], v[97:98], v[99:100]
	s_delay_alu instid0(VALU_DEP_2)
	v_fma_f64 v[103:104], v[99:100], v[103:104], s[42:43]
	s_mov_b32 s42, 0x16291751
	s_mov_b32 s43, 0x3fcc71c0
	s_delay_alu instid0(VALU_DEP_1) | instid1(SALU_CYCLE_1)
	v_fma_f64 v[103:104], v[99:100], v[103:104], s[42:43]
	s_mov_b32 s42, 0x9b27acf1
	s_mov_b32 s43, 0x3fd24924
	s_delay_alu instid0(VALU_DEP_1) | instid1(SALU_CYCLE_1)
	;; [unrolled: 4-line block ×3, first 2 shown]
	v_fma_f64 v[103:104], v[99:100], v[103:104], s[42:43]
	s_delay_alu instid0(VALU_DEP_1) | instskip(SKIP_3) | instid1(VALU_DEP_4)
	v_fma_f64 v[99:100], v[99:100], v[103:104], s[0:1]
	v_ldexp_f64 v[103:104], v[97:98], 1
	v_add_f64 v[97:98], v[97:98], -v[101:102]
	v_cmp_eq_f64_e64 s0, 0x7ff00000, v[71:72]
	v_mul_f64 v[99:100], v[105:106], v[99:100]
	v_cvt_f64_i32_e32 v[105:106], v76
	s_delay_alu instid0(VALU_DEP_4) | instskip(NEXT) | instid1(VALU_DEP_3)
	v_add_f64 v[73:74], v[73:74], -v[97:98]
	v_add_f64 v[101:102], v[103:104], v[99:100]
	s_delay_alu instid0(VALU_DEP_3) | instskip(NEXT) | instid1(VALU_DEP_3)
	v_mul_f64 v[107:108], v[105:106], s[36:37]
	v_ldexp_f64 v[73:74], v[73:74], 1
	s_delay_alu instid0(VALU_DEP_3) | instskip(NEXT) | instid1(VALU_DEP_3)
	v_add_f64 v[97:98], v[101:102], -v[103:104]
	v_fma_f64 v[103:104], v[105:106], s[36:37], -v[107:108]
	s_delay_alu instid0(VALU_DEP_2) | instskip(NEXT) | instid1(VALU_DEP_2)
	v_add_f64 v[97:98], v[99:100], -v[97:98]
	v_fma_f64 v[99:100], v[105:106], s[38:39], v[103:104]
	s_delay_alu instid0(VALU_DEP_2) | instskip(NEXT) | instid1(VALU_DEP_2)
	v_add_f64 v[73:74], v[73:74], v[97:98]
	v_add_f64 v[97:98], v[107:108], v[99:100]
	s_delay_alu instid0(VALU_DEP_2) | instskip(NEXT) | instid1(VALU_DEP_2)
	v_add_f64 v[103:104], v[101:102], v[73:74]
	v_add_f64 v[107:108], v[97:98], -v[107:108]
	s_delay_alu instid0(VALU_DEP_2) | instskip(SKIP_1) | instid1(VALU_DEP_3)
	v_add_f64 v[105:106], v[97:98], v[103:104]
	v_add_f64 v[101:102], v[103:104], -v[101:102]
	v_add_f64 v[99:100], v[99:100], -v[107:108]
	s_delay_alu instid0(VALU_DEP_3) | instskip(NEXT) | instid1(VALU_DEP_3)
	v_add_f64 v[109:110], v[105:106], -v[97:98]
	v_add_f64 v[73:74], v[73:74], -v[101:102]
	s_delay_alu instid0(VALU_DEP_2) | instskip(SKIP_1) | instid1(VALU_DEP_3)
	v_add_f64 v[111:112], v[105:106], -v[109:110]
	v_add_f64 v[101:102], v[103:104], -v[109:110]
	v_add_f64 v[103:104], v[99:100], v[73:74]
	s_delay_alu instid0(VALU_DEP_3) | instskip(NEXT) | instid1(VALU_DEP_1)
	v_add_f64 v[97:98], v[97:98], -v[111:112]
	v_add_f64 v[97:98], v[101:102], v[97:98]
	s_delay_alu instid0(VALU_DEP_3) | instskip(NEXT) | instid1(VALU_DEP_2)
	v_add_f64 v[101:102], v[103:104], -v[99:100]
	v_add_f64 v[97:98], v[103:104], v[97:98]
	s_delay_alu instid0(VALU_DEP_2) | instskip(SKIP_1) | instid1(VALU_DEP_3)
	v_add_f64 v[103:104], v[103:104], -v[101:102]
	v_add_f64 v[73:74], v[73:74], -v[101:102]
	v_add_f64 v[107:108], v[105:106], v[97:98]
	s_delay_alu instid0(VALU_DEP_3) | instskip(NEXT) | instid1(VALU_DEP_2)
	v_add_f64 v[99:100], v[99:100], -v[103:104]
	v_add_f64 v[101:102], v[107:108], -v[105:106]
	s_delay_alu instid0(VALU_DEP_2) | instskip(NEXT) | instid1(VALU_DEP_2)
	v_add_f64 v[73:74], v[73:74], v[99:100]
	v_add_f64 v[97:98], v[97:98], -v[101:102]
	s_delay_alu instid0(VALU_DEP_1) | instskip(NEXT) | instid1(VALU_DEP_1)
	v_add_f64 v[73:74], v[73:74], v[97:98]
	v_add_f64 v[73:74], v[107:108], v[73:74]
	s_delay_alu instid0(VALU_DEP_1) | instskip(NEXT) | instid1(VALU_DEP_2)
	v_cndmask_b32_e64 v73, v73, v71, s0
	v_cndmask_b32_e64 v74, v74, v72, s0
	v_cmp_ngt_f64_e64 s0, -1.0, v[71:72]
	s_delay_alu instid0(VALU_DEP_1) | instskip(SKIP_1) | instid1(VALU_DEP_1)
	v_cndmask_b32_e64 v74, 0x7ff80000, v74, s0
	v_cmp_nge_f64_e64 s0, -1.0, v[71:72]
	v_cndmask_b32_e64 v73, 0, v73, s0
	v_cmp_neq_f64_e64 s0, -1.0, v[71:72]
	s_delay_alu instid0(VALU_DEP_1) | instskip(NEXT) | instid1(VALU_DEP_1)
	v_cndmask_b32_e64 v74, 0xfff00000, v74, s0
	v_add_f64 v[71:72], v[69:70], v[73:74]
.LBB66_73:
	s_or_b32 exec_lo, exec_lo, s41
	s_delay_alu instid0(VALU_DEP_1)
	v_dual_mov_b32 v69, v71 :: v_dual_mov_b32 v70, v72
	v_dual_mov_b32 v73, v71 :: v_dual_mov_b32 v74, v72
.LBB66_74:
	s_or_b32 exec_lo, exec_lo, s40
	s_delay_alu instid0(VALU_DEP_1) | instskip(NEXT) | instid1(VALU_DEP_2)
	v_mov_b32_dpp v71, v73 row_shr:8 row_mask:0xf bank_mask:0xf
	v_mov_b32_dpp v72, v74 row_shr:8 row_mask:0xf bank_mask:0xf
	s_mov_b32 s40, exec_lo
	v_cmpx_lt_u32_e32 7, v75
	s_cbranch_execz .LBB66_78
; %bb.75:
	s_delay_alu instid0(VALU_DEP_2) | instskip(SKIP_3) | instid1(VALU_DEP_3)
	v_max_f64 v[73:74], v[71:72], v[71:72]
	v_max_f64 v[75:76], v[69:70], v[69:70]
	v_cmp_u_f64_e64 s0, v[71:72], v[71:72]
	v_cmp_u_f64_e64 s1, v[69:70], v[69:70]
	v_min_f64 v[97:98], v[73:74], v[75:76]
	v_max_f64 v[73:74], v[73:74], v[75:76]
	s_delay_alu instid0(VALU_DEP_2) | instskip(NEXT) | instid1(VALU_DEP_3)
	v_cndmask_b32_e64 v75, v97, v71, s0
	v_cndmask_b32_e64 v76, v98, v72, s0
	s_delay_alu instid0(VALU_DEP_3) | instskip(NEXT) | instid1(VALU_DEP_4)
	v_cndmask_b32_e64 v97, v74, v72, s0
	v_cndmask_b32_e64 v98, v73, v71, s0
	s_delay_alu instid0(VALU_DEP_4) | instskip(NEXT) | instid1(VALU_DEP_4)
	v_cndmask_b32_e64 v73, v75, v69, s1
	v_cndmask_b32_e64 v74, v76, v70, s1
	s_delay_alu instid0(VALU_DEP_4) | instskip(NEXT) | instid1(VALU_DEP_4)
	v_cndmask_b32_e64 v70, v97, v70, s1
	v_cndmask_b32_e64 v69, v98, v69, s1
	s_delay_alu instid0(VALU_DEP_3) | instskip(NEXT) | instid1(VALU_DEP_2)
	v_cmp_class_f64_e64 s1, v[73:74], 0x1f8
	v_cmp_neq_f64_e64 s0, v[73:74], v[69:70]
	s_delay_alu instid0(VALU_DEP_1) | instskip(NEXT) | instid1(SALU_CYCLE_1)
	s_or_b32 s0, s0, s1
	s_and_saveexec_b32 s41, s0
	s_cbranch_execz .LBB66_77
; %bb.76:
	v_add_f64 v[71:72], v[73:74], -v[69:70]
	s_mov_b32 s0, 0x652b82fe
	s_mov_b32 s1, 0x3ff71547
	;; [unrolled: 1-line block ×10, first 2 shown]
	s_delay_alu instid0(VALU_DEP_1) | instskip(SKIP_2) | instid1(VALU_DEP_1)
	v_mul_f64 v[73:74], v[71:72], s[0:1]
	s_mov_b32 s0, 0xfca7ab0c
	s_mov_b32 s1, 0x3e928af3
	v_rndne_f64_e32 v[73:74], v[73:74]
	s_delay_alu instid0(VALU_DEP_1) | instskip(SKIP_2) | instid1(VALU_DEP_2)
	v_fma_f64 v[75:76], v[73:74], s[36:37], v[71:72]
	v_cvt_i32_f64_e32 v99, v[73:74]
	s_mov_b32 s37, 0x3fe62e42
	v_fma_f64 v[75:76], v[73:74], s[38:39], v[75:76]
	s_mov_b32 s39, 0x3c7abc9e
	s_delay_alu instid0(VALU_DEP_1) | instskip(SKIP_4) | instid1(VALU_DEP_1)
	v_fma_f64 v[97:98], v[75:76], s[42:43], s[0:1]
	s_mov_b32 s0, 0x623fde64
	s_mov_b32 s1, 0x3ec71dee
	s_mov_b32 s42, 0x6b47b09a
	s_mov_b32 s43, 0x3fc38538
	v_fma_f64 v[97:98], v[75:76], v[97:98], s[0:1]
	s_mov_b32 s0, 0x7c89e6b0
	s_mov_b32 s1, 0x3efa0199
	s_delay_alu instid0(VALU_DEP_1) | instid1(SALU_CYCLE_1)
	v_fma_f64 v[97:98], v[75:76], v[97:98], s[0:1]
	s_mov_b32 s0, 0x14761f6e
	s_mov_b32 s1, 0x3f2a01a0
	s_delay_alu instid0(VALU_DEP_1) | instid1(SALU_CYCLE_1)
	;; [unrolled: 4-line block ×7, first 2 shown]
	v_fma_f64 v[97:98], v[75:76], v[97:98], s[0:1]
	v_cmp_nlt_f64_e64 s0, 0x40900000, v[71:72]
	v_cmp_ngt_f64_e64 s1, 0xc090cc00, v[71:72]
	s_delay_alu instid0(VALU_DEP_3) | instskip(NEXT) | instid1(VALU_DEP_1)
	v_fma_f64 v[97:98], v[75:76], v[97:98], 1.0
	v_fma_f64 v[73:74], v[75:76], v[97:98], 1.0
	s_delay_alu instid0(VALU_DEP_1) | instskip(NEXT) | instid1(VALU_DEP_1)
	v_ldexp_f64 v[73:74], v[73:74], v99
	v_cndmask_b32_e64 v74, 0x7ff00000, v74, s0
	s_and_b32 s0, s1, s0
	s_delay_alu instid0(VALU_DEP_2) | instid1(SALU_CYCLE_1)
	v_cndmask_b32_e64 v71, 0, v73, s0
	s_mov_b32 s0, 0x55555555
	s_delay_alu instid0(VALU_DEP_2) | instskip(SKIP_1) | instid1(VALU_DEP_1)
	v_cndmask_b32_e64 v72, 0, v74, s1
	s_mov_b32 s1, 0x3fe55555
	v_add_f64 v[73:74], v[71:72], 1.0
	s_delay_alu instid0(VALU_DEP_1) | instskip(SKIP_2) | instid1(VALU_DEP_3)
	v_frexp_mant_f64_e32 v[75:76], v[73:74]
	v_frexp_exp_i32_f64_e32 v99, v[73:74]
	v_add_f64 v[97:98], v[73:74], -1.0
	v_cmp_gt_f64_e64 s0, s[0:1], v[75:76]
	s_delay_alu instid0(VALU_DEP_2) | instskip(SKIP_1) | instid1(VALU_DEP_3)
	v_add_f64 v[75:76], v[97:98], -v[73:74]
	v_add_f64 v[97:98], v[71:72], -v[97:98]
	v_subrev_co_ci_u32_e64 v115, s0, 0, v99, s0
	s_delay_alu instid0(VALU_DEP_3) | instskip(SKIP_1) | instid1(VALU_DEP_2)
	v_add_f64 v[75:76], v[75:76], 1.0
	s_mov_b32 s0, 0x55555780
	v_sub_nc_u32_e32 v101, 0, v115
	s_delay_alu instid0(VALU_DEP_1) | instskip(NEXT) | instid1(VALU_DEP_3)
	v_ldexp_f64 v[73:74], v[73:74], v101
	v_add_f64 v[75:76], v[97:98], v[75:76]
	s_delay_alu instid0(VALU_DEP_2) | instskip(SKIP_1) | instid1(VALU_DEP_3)
	v_add_f64 v[99:100], v[73:74], 1.0
	v_add_f64 v[105:106], v[73:74], -1.0
	v_ldexp_f64 v[75:76], v[75:76], v101
	s_delay_alu instid0(VALU_DEP_3) | instskip(NEXT) | instid1(VALU_DEP_3)
	v_add_f64 v[97:98], v[99:100], -1.0
	v_add_f64 v[107:108], v[105:106], 1.0
	s_delay_alu instid0(VALU_DEP_2) | instskip(NEXT) | instid1(VALU_DEP_2)
	v_add_f64 v[97:98], v[73:74], -v[97:98]
	v_add_f64 v[73:74], v[73:74], -v[107:108]
	s_delay_alu instid0(VALU_DEP_2) | instskip(NEXT) | instid1(VALU_DEP_2)
	v_add_f64 v[97:98], v[75:76], v[97:98]
	v_add_f64 v[73:74], v[75:76], v[73:74]
	s_delay_alu instid0(VALU_DEP_2) | instskip(NEXT) | instid1(VALU_DEP_2)
	v_add_f64 v[101:102], v[99:100], v[97:98]
	v_add_f64 v[107:108], v[105:106], v[73:74]
	s_delay_alu instid0(VALU_DEP_2) | instskip(SKIP_1) | instid1(VALU_DEP_2)
	v_rcp_f64_e32 v[103:104], v[101:102]
	v_add_f64 v[99:100], v[101:102], -v[99:100]
	v_add_f64 v[105:106], v[107:108], -v[105:106]
	s_delay_alu instid0(VALU_DEP_2) | instskip(SKIP_3) | instid1(VALU_DEP_2)
	v_add_f64 v[97:98], v[97:98], -v[99:100]
	s_waitcnt_depctr 0xfff
	v_fma_f64 v[109:110], -v[101:102], v[103:104], 1.0
	v_add_f64 v[73:74], v[73:74], -v[105:106]
	v_fma_f64 v[103:104], v[109:110], v[103:104], v[103:104]
	s_delay_alu instid0(VALU_DEP_1) | instskip(NEXT) | instid1(VALU_DEP_1)
	v_fma_f64 v[75:76], -v[101:102], v[103:104], 1.0
	v_fma_f64 v[75:76], v[75:76], v[103:104], v[103:104]
	s_delay_alu instid0(VALU_DEP_1) | instskip(NEXT) | instid1(VALU_DEP_1)
	v_mul_f64 v[103:104], v[107:108], v[75:76]
	v_mul_f64 v[109:110], v[101:102], v[103:104]
	s_delay_alu instid0(VALU_DEP_1) | instskip(NEXT) | instid1(VALU_DEP_1)
	v_fma_f64 v[99:100], v[103:104], v[101:102], -v[109:110]
	v_fma_f64 v[99:100], v[103:104], v[97:98], v[99:100]
	s_delay_alu instid0(VALU_DEP_1) | instskip(NEXT) | instid1(VALU_DEP_1)
	v_add_f64 v[111:112], v[109:110], v[99:100]
	v_add_f64 v[113:114], v[107:108], -v[111:112]
	v_add_f64 v[105:106], v[111:112], -v[109:110]
	s_delay_alu instid0(VALU_DEP_2) | instskip(NEXT) | instid1(VALU_DEP_2)
	v_add_f64 v[107:108], v[107:108], -v[113:114]
	v_add_f64 v[99:100], v[105:106], -v[99:100]
	s_delay_alu instid0(VALU_DEP_2) | instskip(NEXT) | instid1(VALU_DEP_1)
	v_add_f64 v[107:108], v[107:108], -v[111:112]
	v_add_f64 v[73:74], v[73:74], v[107:108]
	s_delay_alu instid0(VALU_DEP_1) | instskip(NEXT) | instid1(VALU_DEP_1)
	v_add_f64 v[73:74], v[99:100], v[73:74]
	v_add_f64 v[99:100], v[113:114], v[73:74]
	s_delay_alu instid0(VALU_DEP_1) | instskip(SKIP_1) | instid1(VALU_DEP_2)
	v_mul_f64 v[105:106], v[75:76], v[99:100]
	v_add_f64 v[111:112], v[113:114], -v[99:100]
	v_mul_f64 v[107:108], v[101:102], v[105:106]
	s_delay_alu instid0(VALU_DEP_2) | instskip(NEXT) | instid1(VALU_DEP_2)
	v_add_f64 v[73:74], v[73:74], v[111:112]
	v_fma_f64 v[101:102], v[105:106], v[101:102], -v[107:108]
	s_delay_alu instid0(VALU_DEP_1) | instskip(NEXT) | instid1(VALU_DEP_1)
	v_fma_f64 v[97:98], v[105:106], v[97:98], v[101:102]
	v_add_f64 v[101:102], v[107:108], v[97:98]
	s_delay_alu instid0(VALU_DEP_1) | instskip(SKIP_1) | instid1(VALU_DEP_2)
	v_add_f64 v[109:110], v[99:100], -v[101:102]
	v_add_f64 v[107:108], v[101:102], -v[107:108]
	;; [unrolled: 1-line block ×3, first 2 shown]
	s_delay_alu instid0(VALU_DEP_2) | instskip(NEXT) | instid1(VALU_DEP_2)
	v_add_f64 v[97:98], v[107:108], -v[97:98]
	v_add_f64 v[99:100], v[99:100], -v[101:102]
	s_delay_alu instid0(VALU_DEP_1) | instskip(SKIP_1) | instid1(VALU_DEP_2)
	v_add_f64 v[73:74], v[73:74], v[99:100]
	v_add_f64 v[99:100], v[103:104], v[105:106]
	v_add_f64 v[73:74], v[97:98], v[73:74]
	s_delay_alu instid0(VALU_DEP_2) | instskip(NEXT) | instid1(VALU_DEP_2)
	v_add_f64 v[97:98], v[99:100], -v[103:104]
	v_add_f64 v[73:74], v[109:110], v[73:74]
	s_delay_alu instid0(VALU_DEP_2) | instskip(NEXT) | instid1(VALU_DEP_2)
	v_add_f64 v[97:98], v[105:106], -v[97:98]
	v_mul_f64 v[73:74], v[75:76], v[73:74]
	s_delay_alu instid0(VALU_DEP_1) | instskip(NEXT) | instid1(VALU_DEP_1)
	v_add_f64 v[73:74], v[97:98], v[73:74]
	v_add_f64 v[75:76], v[99:100], v[73:74]
	s_delay_alu instid0(VALU_DEP_1) | instskip(NEXT) | instid1(VALU_DEP_1)
	v_mul_f64 v[97:98], v[75:76], v[75:76]
	v_fma_f64 v[101:102], v[97:98], s[44:45], s[42:43]
	s_mov_b32 s42, 0xd7f4df2e
	s_mov_b32 s43, 0x3fc7474d
	v_mul_f64 v[103:104], v[75:76], v[97:98]
	s_delay_alu instid0(VALU_DEP_2)
	v_fma_f64 v[101:102], v[97:98], v[101:102], s[42:43]
	s_mov_b32 s42, 0x16291751
	s_mov_b32 s43, 0x3fcc71c0
	s_delay_alu instid0(VALU_DEP_1) | instid1(SALU_CYCLE_1)
	v_fma_f64 v[101:102], v[97:98], v[101:102], s[42:43]
	s_mov_b32 s42, 0x9b27acf1
	s_mov_b32 s43, 0x3fd24924
	s_delay_alu instid0(VALU_DEP_1) | instid1(SALU_CYCLE_1)
	;; [unrolled: 4-line block ×3, first 2 shown]
	v_fma_f64 v[101:102], v[97:98], v[101:102], s[42:43]
	s_delay_alu instid0(VALU_DEP_1) | instskip(SKIP_3) | instid1(VALU_DEP_4)
	v_fma_f64 v[97:98], v[97:98], v[101:102], s[0:1]
	v_ldexp_f64 v[101:102], v[75:76], 1
	v_add_f64 v[75:76], v[75:76], -v[99:100]
	v_cmp_eq_f64_e64 s0, 0x7ff00000, v[71:72]
	v_mul_f64 v[97:98], v[103:104], v[97:98]
	v_cvt_f64_i32_e32 v[103:104], v115
	s_delay_alu instid0(VALU_DEP_4) | instskip(NEXT) | instid1(VALU_DEP_3)
	v_add_f64 v[73:74], v[73:74], -v[75:76]
	v_add_f64 v[99:100], v[101:102], v[97:98]
	s_delay_alu instid0(VALU_DEP_3) | instskip(NEXT) | instid1(VALU_DEP_3)
	v_mul_f64 v[105:106], v[103:104], s[36:37]
	v_ldexp_f64 v[73:74], v[73:74], 1
	s_delay_alu instid0(VALU_DEP_3) | instskip(NEXT) | instid1(VALU_DEP_3)
	v_add_f64 v[75:76], v[99:100], -v[101:102]
	v_fma_f64 v[101:102], v[103:104], s[36:37], -v[105:106]
	s_delay_alu instid0(VALU_DEP_2) | instskip(NEXT) | instid1(VALU_DEP_2)
	v_add_f64 v[75:76], v[97:98], -v[75:76]
	v_fma_f64 v[97:98], v[103:104], s[38:39], v[101:102]
	s_delay_alu instid0(VALU_DEP_2) | instskip(NEXT) | instid1(VALU_DEP_2)
	v_add_f64 v[73:74], v[73:74], v[75:76]
	v_add_f64 v[75:76], v[105:106], v[97:98]
	s_delay_alu instid0(VALU_DEP_2) | instskip(NEXT) | instid1(VALU_DEP_2)
	v_add_f64 v[101:102], v[99:100], v[73:74]
	v_add_f64 v[105:106], v[75:76], -v[105:106]
	s_delay_alu instid0(VALU_DEP_2) | instskip(SKIP_1) | instid1(VALU_DEP_3)
	v_add_f64 v[103:104], v[75:76], v[101:102]
	v_add_f64 v[99:100], v[101:102], -v[99:100]
	v_add_f64 v[97:98], v[97:98], -v[105:106]
	s_delay_alu instid0(VALU_DEP_3) | instskip(NEXT) | instid1(VALU_DEP_3)
	v_add_f64 v[107:108], v[103:104], -v[75:76]
	v_add_f64 v[73:74], v[73:74], -v[99:100]
	s_delay_alu instid0(VALU_DEP_2) | instskip(SKIP_1) | instid1(VALU_DEP_3)
	v_add_f64 v[109:110], v[103:104], -v[107:108]
	v_add_f64 v[99:100], v[101:102], -v[107:108]
	v_add_f64 v[101:102], v[97:98], v[73:74]
	s_delay_alu instid0(VALU_DEP_3) | instskip(NEXT) | instid1(VALU_DEP_1)
	v_add_f64 v[75:76], v[75:76], -v[109:110]
	v_add_f64 v[75:76], v[99:100], v[75:76]
	s_delay_alu instid0(VALU_DEP_3) | instskip(NEXT) | instid1(VALU_DEP_2)
	v_add_f64 v[99:100], v[101:102], -v[97:98]
	v_add_f64 v[75:76], v[101:102], v[75:76]
	s_delay_alu instid0(VALU_DEP_2) | instskip(SKIP_1) | instid1(VALU_DEP_3)
	v_add_f64 v[101:102], v[101:102], -v[99:100]
	v_add_f64 v[73:74], v[73:74], -v[99:100]
	v_add_f64 v[105:106], v[103:104], v[75:76]
	s_delay_alu instid0(VALU_DEP_3) | instskip(NEXT) | instid1(VALU_DEP_2)
	v_add_f64 v[97:98], v[97:98], -v[101:102]
	v_add_f64 v[99:100], v[105:106], -v[103:104]
	s_delay_alu instid0(VALU_DEP_2) | instskip(NEXT) | instid1(VALU_DEP_2)
	v_add_f64 v[73:74], v[73:74], v[97:98]
	v_add_f64 v[75:76], v[75:76], -v[99:100]
	s_delay_alu instid0(VALU_DEP_1) | instskip(NEXT) | instid1(VALU_DEP_1)
	v_add_f64 v[73:74], v[73:74], v[75:76]
	v_add_f64 v[73:74], v[105:106], v[73:74]
	s_delay_alu instid0(VALU_DEP_1) | instskip(NEXT) | instid1(VALU_DEP_2)
	v_cndmask_b32_e64 v73, v73, v71, s0
	v_cndmask_b32_e64 v74, v74, v72, s0
	v_cmp_ngt_f64_e64 s0, -1.0, v[71:72]
	s_delay_alu instid0(VALU_DEP_1) | instskip(SKIP_1) | instid1(VALU_DEP_1)
	v_cndmask_b32_e64 v74, 0x7ff80000, v74, s0
	v_cmp_nge_f64_e64 s0, -1.0, v[71:72]
	v_cndmask_b32_e64 v73, 0, v73, s0
	v_cmp_neq_f64_e64 s0, -1.0, v[71:72]
	s_delay_alu instid0(VALU_DEP_1) | instskip(NEXT) | instid1(VALU_DEP_1)
	v_cndmask_b32_e64 v74, 0xfff00000, v74, s0
	v_add_f64 v[71:72], v[69:70], v[73:74]
.LBB66_77:
	s_or_b32 exec_lo, exec_lo, s41
	s_delay_alu instid0(VALU_DEP_1)
	v_dual_mov_b32 v73, v71 :: v_dual_mov_b32 v74, v72
	v_dual_mov_b32 v69, v71 :: v_dual_mov_b32 v70, v72
.LBB66_78:
	s_or_b32 exec_lo, exec_lo, s40
	ds_swizzle_b32 v71, v73 offset:swizzle(BROADCAST,32,15)
	ds_swizzle_b32 v72, v74 offset:swizzle(BROADCAST,32,15)
	v_and_b32_e32 v73, 16, v96
	s_mov_b32 s40, exec_lo
	s_delay_alu instid0(VALU_DEP_1)
	v_cmpx_ne_u32_e32 0, v73
	s_cbranch_execz .LBB66_82
; %bb.79:
	s_waitcnt lgkmcnt(0)
	v_max_f64 v[73:74], v[71:72], v[71:72]
	v_max_f64 v[75:76], v[69:70], v[69:70]
	v_cmp_u_f64_e64 s0, v[71:72], v[71:72]
	v_cmp_u_f64_e64 s1, v[69:70], v[69:70]
	s_delay_alu instid0(VALU_DEP_3) | instskip(SKIP_1) | instid1(VALU_DEP_2)
	v_min_f64 v[97:98], v[73:74], v[75:76]
	v_max_f64 v[73:74], v[73:74], v[75:76]
	v_cndmask_b32_e64 v75, v97, v71, s0
	s_delay_alu instid0(VALU_DEP_3) | instskip(NEXT) | instid1(VALU_DEP_3)
	v_cndmask_b32_e64 v76, v98, v72, s0
	v_cndmask_b32_e64 v97, v74, v72, s0
	s_delay_alu instid0(VALU_DEP_4) | instskip(NEXT) | instid1(VALU_DEP_4)
	v_cndmask_b32_e64 v98, v73, v71, s0
	v_cndmask_b32_e64 v73, v75, v69, s1
	s_delay_alu instid0(VALU_DEP_4) | instskip(NEXT) | instid1(VALU_DEP_4)
	v_cndmask_b32_e64 v74, v76, v70, s1
	v_cndmask_b32_e64 v70, v97, v70, s1
	s_delay_alu instid0(VALU_DEP_4) | instskip(NEXT) | instid1(VALU_DEP_3)
	v_cndmask_b32_e64 v69, v98, v69, s1
	v_cmp_class_f64_e64 s1, v[73:74], 0x1f8
	s_delay_alu instid0(VALU_DEP_2) | instskip(NEXT) | instid1(VALU_DEP_1)
	v_cmp_neq_f64_e64 s0, v[73:74], v[69:70]
	s_or_b32 s0, s0, s1
	s_delay_alu instid0(SALU_CYCLE_1)
	s_and_saveexec_b32 s41, s0
	s_cbranch_execz .LBB66_81
; %bb.80:
	v_add_f64 v[71:72], v[73:74], -v[69:70]
	s_mov_b32 s0, 0x652b82fe
	s_mov_b32 s1, 0x3ff71547
	;; [unrolled: 1-line block ×10, first 2 shown]
	s_delay_alu instid0(VALU_DEP_1) | instskip(SKIP_2) | instid1(VALU_DEP_1)
	v_mul_f64 v[73:74], v[71:72], s[0:1]
	s_mov_b32 s0, 0xfca7ab0c
	s_mov_b32 s1, 0x3e928af3
	v_rndne_f64_e32 v[73:74], v[73:74]
	s_delay_alu instid0(VALU_DEP_1) | instskip(SKIP_2) | instid1(VALU_DEP_2)
	v_fma_f64 v[75:76], v[73:74], s[36:37], v[71:72]
	v_cvt_i32_f64_e32 v99, v[73:74]
	s_mov_b32 s37, 0x3fe62e42
	v_fma_f64 v[75:76], v[73:74], s[38:39], v[75:76]
	s_mov_b32 s39, 0x3c7abc9e
	s_delay_alu instid0(VALU_DEP_1) | instskip(SKIP_4) | instid1(VALU_DEP_1)
	v_fma_f64 v[97:98], v[75:76], s[42:43], s[0:1]
	s_mov_b32 s0, 0x623fde64
	s_mov_b32 s1, 0x3ec71dee
	s_mov_b32 s42, 0x6b47b09a
	s_mov_b32 s43, 0x3fc38538
	v_fma_f64 v[97:98], v[75:76], v[97:98], s[0:1]
	s_mov_b32 s0, 0x7c89e6b0
	s_mov_b32 s1, 0x3efa0199
	s_delay_alu instid0(VALU_DEP_1) | instid1(SALU_CYCLE_1)
	v_fma_f64 v[97:98], v[75:76], v[97:98], s[0:1]
	s_mov_b32 s0, 0x14761f6e
	s_mov_b32 s1, 0x3f2a01a0
	s_delay_alu instid0(VALU_DEP_1) | instid1(SALU_CYCLE_1)
	;; [unrolled: 4-line block ×7, first 2 shown]
	v_fma_f64 v[97:98], v[75:76], v[97:98], s[0:1]
	v_cmp_nlt_f64_e64 s0, 0x40900000, v[71:72]
	v_cmp_ngt_f64_e64 s1, 0xc090cc00, v[71:72]
	s_delay_alu instid0(VALU_DEP_3) | instskip(NEXT) | instid1(VALU_DEP_1)
	v_fma_f64 v[97:98], v[75:76], v[97:98], 1.0
	v_fma_f64 v[73:74], v[75:76], v[97:98], 1.0
	s_delay_alu instid0(VALU_DEP_1) | instskip(NEXT) | instid1(VALU_DEP_1)
	v_ldexp_f64 v[73:74], v[73:74], v99
	v_cndmask_b32_e64 v74, 0x7ff00000, v74, s0
	s_and_b32 s0, s1, s0
	s_delay_alu instid0(VALU_DEP_2) | instid1(SALU_CYCLE_1)
	v_cndmask_b32_e64 v71, 0, v73, s0
	s_mov_b32 s0, 0x55555555
	s_delay_alu instid0(VALU_DEP_2) | instskip(SKIP_1) | instid1(VALU_DEP_1)
	v_cndmask_b32_e64 v72, 0, v74, s1
	s_mov_b32 s1, 0x3fe55555
	v_add_f64 v[73:74], v[71:72], 1.0
	s_delay_alu instid0(VALU_DEP_1) | instskip(SKIP_2) | instid1(VALU_DEP_3)
	v_frexp_mant_f64_e32 v[75:76], v[73:74]
	v_frexp_exp_i32_f64_e32 v99, v[73:74]
	v_add_f64 v[97:98], v[73:74], -1.0
	v_cmp_gt_f64_e64 s0, s[0:1], v[75:76]
	s_delay_alu instid0(VALU_DEP_2) | instskip(SKIP_1) | instid1(VALU_DEP_3)
	v_add_f64 v[75:76], v[97:98], -v[73:74]
	v_add_f64 v[97:98], v[71:72], -v[97:98]
	v_subrev_co_ci_u32_e64 v115, s0, 0, v99, s0
	s_delay_alu instid0(VALU_DEP_3) | instskip(SKIP_1) | instid1(VALU_DEP_2)
	v_add_f64 v[75:76], v[75:76], 1.0
	s_mov_b32 s0, 0x55555780
	v_sub_nc_u32_e32 v101, 0, v115
	s_delay_alu instid0(VALU_DEP_1) | instskip(NEXT) | instid1(VALU_DEP_3)
	v_ldexp_f64 v[73:74], v[73:74], v101
	v_add_f64 v[75:76], v[97:98], v[75:76]
	s_delay_alu instid0(VALU_DEP_2) | instskip(SKIP_1) | instid1(VALU_DEP_3)
	v_add_f64 v[99:100], v[73:74], 1.0
	v_add_f64 v[105:106], v[73:74], -1.0
	v_ldexp_f64 v[75:76], v[75:76], v101
	s_delay_alu instid0(VALU_DEP_3) | instskip(NEXT) | instid1(VALU_DEP_3)
	v_add_f64 v[97:98], v[99:100], -1.0
	v_add_f64 v[107:108], v[105:106], 1.0
	s_delay_alu instid0(VALU_DEP_2) | instskip(NEXT) | instid1(VALU_DEP_2)
	v_add_f64 v[97:98], v[73:74], -v[97:98]
	v_add_f64 v[73:74], v[73:74], -v[107:108]
	s_delay_alu instid0(VALU_DEP_2) | instskip(NEXT) | instid1(VALU_DEP_2)
	v_add_f64 v[97:98], v[75:76], v[97:98]
	v_add_f64 v[73:74], v[75:76], v[73:74]
	s_delay_alu instid0(VALU_DEP_2) | instskip(NEXT) | instid1(VALU_DEP_2)
	v_add_f64 v[101:102], v[99:100], v[97:98]
	v_add_f64 v[107:108], v[105:106], v[73:74]
	s_delay_alu instid0(VALU_DEP_2) | instskip(SKIP_1) | instid1(VALU_DEP_2)
	v_rcp_f64_e32 v[103:104], v[101:102]
	v_add_f64 v[99:100], v[101:102], -v[99:100]
	v_add_f64 v[105:106], v[107:108], -v[105:106]
	s_delay_alu instid0(VALU_DEP_2) | instskip(SKIP_3) | instid1(VALU_DEP_2)
	v_add_f64 v[97:98], v[97:98], -v[99:100]
	s_waitcnt_depctr 0xfff
	v_fma_f64 v[109:110], -v[101:102], v[103:104], 1.0
	v_add_f64 v[73:74], v[73:74], -v[105:106]
	v_fma_f64 v[103:104], v[109:110], v[103:104], v[103:104]
	s_delay_alu instid0(VALU_DEP_1) | instskip(NEXT) | instid1(VALU_DEP_1)
	v_fma_f64 v[75:76], -v[101:102], v[103:104], 1.0
	v_fma_f64 v[75:76], v[75:76], v[103:104], v[103:104]
	s_delay_alu instid0(VALU_DEP_1) | instskip(NEXT) | instid1(VALU_DEP_1)
	v_mul_f64 v[103:104], v[107:108], v[75:76]
	v_mul_f64 v[109:110], v[101:102], v[103:104]
	s_delay_alu instid0(VALU_DEP_1) | instskip(NEXT) | instid1(VALU_DEP_1)
	v_fma_f64 v[99:100], v[103:104], v[101:102], -v[109:110]
	v_fma_f64 v[99:100], v[103:104], v[97:98], v[99:100]
	s_delay_alu instid0(VALU_DEP_1) | instskip(NEXT) | instid1(VALU_DEP_1)
	v_add_f64 v[111:112], v[109:110], v[99:100]
	v_add_f64 v[113:114], v[107:108], -v[111:112]
	v_add_f64 v[105:106], v[111:112], -v[109:110]
	s_delay_alu instid0(VALU_DEP_2) | instskip(NEXT) | instid1(VALU_DEP_2)
	v_add_f64 v[107:108], v[107:108], -v[113:114]
	v_add_f64 v[99:100], v[105:106], -v[99:100]
	s_delay_alu instid0(VALU_DEP_2) | instskip(NEXT) | instid1(VALU_DEP_1)
	v_add_f64 v[107:108], v[107:108], -v[111:112]
	v_add_f64 v[73:74], v[73:74], v[107:108]
	s_delay_alu instid0(VALU_DEP_1) | instskip(NEXT) | instid1(VALU_DEP_1)
	v_add_f64 v[73:74], v[99:100], v[73:74]
	v_add_f64 v[99:100], v[113:114], v[73:74]
	s_delay_alu instid0(VALU_DEP_1) | instskip(SKIP_1) | instid1(VALU_DEP_2)
	v_mul_f64 v[105:106], v[75:76], v[99:100]
	v_add_f64 v[111:112], v[113:114], -v[99:100]
	v_mul_f64 v[107:108], v[101:102], v[105:106]
	s_delay_alu instid0(VALU_DEP_2) | instskip(NEXT) | instid1(VALU_DEP_2)
	v_add_f64 v[73:74], v[73:74], v[111:112]
	v_fma_f64 v[101:102], v[105:106], v[101:102], -v[107:108]
	s_delay_alu instid0(VALU_DEP_1) | instskip(NEXT) | instid1(VALU_DEP_1)
	v_fma_f64 v[97:98], v[105:106], v[97:98], v[101:102]
	v_add_f64 v[101:102], v[107:108], v[97:98]
	s_delay_alu instid0(VALU_DEP_1) | instskip(SKIP_1) | instid1(VALU_DEP_2)
	v_add_f64 v[109:110], v[99:100], -v[101:102]
	v_add_f64 v[107:108], v[101:102], -v[107:108]
	;; [unrolled: 1-line block ×3, first 2 shown]
	s_delay_alu instid0(VALU_DEP_2) | instskip(NEXT) | instid1(VALU_DEP_2)
	v_add_f64 v[97:98], v[107:108], -v[97:98]
	v_add_f64 v[99:100], v[99:100], -v[101:102]
	s_delay_alu instid0(VALU_DEP_1) | instskip(SKIP_1) | instid1(VALU_DEP_2)
	v_add_f64 v[73:74], v[73:74], v[99:100]
	v_add_f64 v[99:100], v[103:104], v[105:106]
	;; [unrolled: 1-line block ×3, first 2 shown]
	s_delay_alu instid0(VALU_DEP_2) | instskip(NEXT) | instid1(VALU_DEP_2)
	v_add_f64 v[97:98], v[99:100], -v[103:104]
	v_add_f64 v[73:74], v[109:110], v[73:74]
	s_delay_alu instid0(VALU_DEP_2) | instskip(NEXT) | instid1(VALU_DEP_2)
	v_add_f64 v[97:98], v[105:106], -v[97:98]
	v_mul_f64 v[73:74], v[75:76], v[73:74]
	s_delay_alu instid0(VALU_DEP_1) | instskip(NEXT) | instid1(VALU_DEP_1)
	v_add_f64 v[73:74], v[97:98], v[73:74]
	v_add_f64 v[75:76], v[99:100], v[73:74]
	s_delay_alu instid0(VALU_DEP_1) | instskip(NEXT) | instid1(VALU_DEP_1)
	v_mul_f64 v[97:98], v[75:76], v[75:76]
	v_fma_f64 v[101:102], v[97:98], s[44:45], s[42:43]
	s_mov_b32 s42, 0xd7f4df2e
	s_mov_b32 s43, 0x3fc7474d
	v_mul_f64 v[103:104], v[75:76], v[97:98]
	s_delay_alu instid0(VALU_DEP_2)
	v_fma_f64 v[101:102], v[97:98], v[101:102], s[42:43]
	s_mov_b32 s42, 0x16291751
	s_mov_b32 s43, 0x3fcc71c0
	s_delay_alu instid0(VALU_DEP_1) | instid1(SALU_CYCLE_1)
	v_fma_f64 v[101:102], v[97:98], v[101:102], s[42:43]
	s_mov_b32 s42, 0x9b27acf1
	s_mov_b32 s43, 0x3fd24924
	s_delay_alu instid0(VALU_DEP_1) | instid1(SALU_CYCLE_1)
	;; [unrolled: 4-line block ×3, first 2 shown]
	v_fma_f64 v[101:102], v[97:98], v[101:102], s[42:43]
	s_delay_alu instid0(VALU_DEP_1) | instskip(SKIP_3) | instid1(VALU_DEP_4)
	v_fma_f64 v[97:98], v[97:98], v[101:102], s[0:1]
	v_ldexp_f64 v[101:102], v[75:76], 1
	v_add_f64 v[75:76], v[75:76], -v[99:100]
	v_cmp_eq_f64_e64 s0, 0x7ff00000, v[71:72]
	v_mul_f64 v[97:98], v[103:104], v[97:98]
	v_cvt_f64_i32_e32 v[103:104], v115
	s_delay_alu instid0(VALU_DEP_4) | instskip(NEXT) | instid1(VALU_DEP_3)
	v_add_f64 v[73:74], v[73:74], -v[75:76]
	v_add_f64 v[99:100], v[101:102], v[97:98]
	s_delay_alu instid0(VALU_DEP_3) | instskip(NEXT) | instid1(VALU_DEP_3)
	v_mul_f64 v[105:106], v[103:104], s[36:37]
	v_ldexp_f64 v[73:74], v[73:74], 1
	s_delay_alu instid0(VALU_DEP_3) | instskip(NEXT) | instid1(VALU_DEP_3)
	v_add_f64 v[75:76], v[99:100], -v[101:102]
	v_fma_f64 v[101:102], v[103:104], s[36:37], -v[105:106]
	s_delay_alu instid0(VALU_DEP_2) | instskip(NEXT) | instid1(VALU_DEP_2)
	v_add_f64 v[75:76], v[97:98], -v[75:76]
	v_fma_f64 v[97:98], v[103:104], s[38:39], v[101:102]
	s_delay_alu instid0(VALU_DEP_2) | instskip(NEXT) | instid1(VALU_DEP_2)
	v_add_f64 v[73:74], v[73:74], v[75:76]
	v_add_f64 v[75:76], v[105:106], v[97:98]
	s_delay_alu instid0(VALU_DEP_2) | instskip(NEXT) | instid1(VALU_DEP_2)
	v_add_f64 v[101:102], v[99:100], v[73:74]
	v_add_f64 v[105:106], v[75:76], -v[105:106]
	s_delay_alu instid0(VALU_DEP_2) | instskip(SKIP_1) | instid1(VALU_DEP_3)
	v_add_f64 v[103:104], v[75:76], v[101:102]
	v_add_f64 v[99:100], v[101:102], -v[99:100]
	v_add_f64 v[97:98], v[97:98], -v[105:106]
	s_delay_alu instid0(VALU_DEP_3) | instskip(NEXT) | instid1(VALU_DEP_3)
	v_add_f64 v[107:108], v[103:104], -v[75:76]
	v_add_f64 v[73:74], v[73:74], -v[99:100]
	s_delay_alu instid0(VALU_DEP_2) | instskip(SKIP_1) | instid1(VALU_DEP_3)
	v_add_f64 v[109:110], v[103:104], -v[107:108]
	v_add_f64 v[99:100], v[101:102], -v[107:108]
	v_add_f64 v[101:102], v[97:98], v[73:74]
	s_delay_alu instid0(VALU_DEP_3) | instskip(NEXT) | instid1(VALU_DEP_1)
	v_add_f64 v[75:76], v[75:76], -v[109:110]
	v_add_f64 v[75:76], v[99:100], v[75:76]
	s_delay_alu instid0(VALU_DEP_3) | instskip(NEXT) | instid1(VALU_DEP_2)
	v_add_f64 v[99:100], v[101:102], -v[97:98]
	v_add_f64 v[75:76], v[101:102], v[75:76]
	s_delay_alu instid0(VALU_DEP_2) | instskip(SKIP_1) | instid1(VALU_DEP_3)
	v_add_f64 v[101:102], v[101:102], -v[99:100]
	v_add_f64 v[73:74], v[73:74], -v[99:100]
	v_add_f64 v[105:106], v[103:104], v[75:76]
	s_delay_alu instid0(VALU_DEP_3) | instskip(NEXT) | instid1(VALU_DEP_2)
	v_add_f64 v[97:98], v[97:98], -v[101:102]
	v_add_f64 v[99:100], v[105:106], -v[103:104]
	s_delay_alu instid0(VALU_DEP_2) | instskip(NEXT) | instid1(VALU_DEP_2)
	v_add_f64 v[73:74], v[73:74], v[97:98]
	v_add_f64 v[75:76], v[75:76], -v[99:100]
	s_delay_alu instid0(VALU_DEP_1) | instskip(NEXT) | instid1(VALU_DEP_1)
	v_add_f64 v[73:74], v[73:74], v[75:76]
	v_add_f64 v[73:74], v[105:106], v[73:74]
	s_delay_alu instid0(VALU_DEP_1) | instskip(NEXT) | instid1(VALU_DEP_2)
	v_cndmask_b32_e64 v73, v73, v71, s0
	v_cndmask_b32_e64 v74, v74, v72, s0
	v_cmp_ngt_f64_e64 s0, -1.0, v[71:72]
	s_delay_alu instid0(VALU_DEP_1) | instskip(SKIP_1) | instid1(VALU_DEP_1)
	v_cndmask_b32_e64 v74, 0x7ff80000, v74, s0
	v_cmp_nge_f64_e64 s0, -1.0, v[71:72]
	v_cndmask_b32_e64 v73, 0, v73, s0
	v_cmp_neq_f64_e64 s0, -1.0, v[71:72]
	s_delay_alu instid0(VALU_DEP_1) | instskip(NEXT) | instid1(VALU_DEP_1)
	v_cndmask_b32_e64 v74, 0xfff00000, v74, s0
	v_add_f64 v[71:72], v[69:70], v[73:74]
.LBB66_81:
	s_or_b32 exec_lo, exec_lo, s41
	s_delay_alu instid0(VALU_DEP_1)
	v_dual_mov_b32 v69, v71 :: v_dual_mov_b32 v70, v72
.LBB66_82:
	s_or_b32 exec_lo, exec_lo, s40
	s_waitcnt lgkmcnt(0)
	v_or_b32_e32 v71, 31, v0
	s_mov_b32 s1, exec_lo
	s_delay_alu instid0(VALU_DEP_1)
	v_cmpx_eq_u32_e64 v71, v0
	s_cbranch_execz .LBB66_84
; %bb.83:
	ds_store_b64 v95, v[69:70]
.LBB66_84:
	s_or_b32 exec_lo, exec_lo, s1
	s_delay_alu instid0(SALU_CYCLE_1)
	s_mov_b32 s40, exec_lo
	s_waitcnt lgkmcnt(0)
	s_barrier
	buffer_gl0_inv
	v_cmpx_gt_u32_e32 8, v0
	s_cbranch_execz .LBB66_98
; %bb.85:
	ds_load_b64 v[71:72], v77
	v_and_b32_e32 v97, 7, v96
	s_mov_b32 s41, exec_lo
	s_waitcnt lgkmcnt(0)
	v_mov_b32_e32 v76, v72
	v_mov_b32_dpp v73, v71 row_shr:1 row_mask:0xf bank_mask:0xf
	v_mov_b32_dpp v74, v72 row_shr:1 row_mask:0xf bank_mask:0xf
	v_mov_b32_e32 v75, v71
	v_cmpx_ne_u32_e32 0, v97
	s_cbranch_execz .LBB66_89
; %bb.86:
	s_delay_alu instid0(VALU_DEP_3) | instskip(SKIP_3) | instid1(VALU_DEP_3)
	v_max_f64 v[75:76], v[73:74], v[73:74]
	v_max_f64 v[98:99], v[71:72], v[71:72]
	v_cmp_u_f64_e64 s0, v[73:74], v[73:74]
	v_cmp_u_f64_e64 s1, v[71:72], v[71:72]
	v_min_f64 v[100:101], v[75:76], v[98:99]
	v_max_f64 v[75:76], v[75:76], v[98:99]
	s_delay_alu instid0(VALU_DEP_2) | instskip(NEXT) | instid1(VALU_DEP_3)
	v_cndmask_b32_e64 v98, v100, v73, s0
	v_cndmask_b32_e64 v99, v101, v74, s0
	s_delay_alu instid0(VALU_DEP_3) | instskip(NEXT) | instid1(VALU_DEP_4)
	v_cndmask_b32_e64 v100, v76, v74, s0
	v_cndmask_b32_e64 v101, v75, v73, s0
	s_delay_alu instid0(VALU_DEP_4) | instskip(NEXT) | instid1(VALU_DEP_4)
	v_cndmask_b32_e64 v75, v98, v71, s1
	v_cndmask_b32_e64 v76, v99, v72, s1
	s_delay_alu instid0(VALU_DEP_4) | instskip(NEXT) | instid1(VALU_DEP_4)
	v_cndmask_b32_e64 v72, v100, v72, s1
	v_cndmask_b32_e64 v71, v101, v71, s1
	s_delay_alu instid0(VALU_DEP_3) | instskip(NEXT) | instid1(VALU_DEP_2)
	v_cmp_class_f64_e64 s1, v[75:76], 0x1f8
	v_cmp_neq_f64_e64 s0, v[75:76], v[71:72]
	s_delay_alu instid0(VALU_DEP_1) | instskip(NEXT) | instid1(SALU_CYCLE_1)
	s_or_b32 s0, s0, s1
	s_and_saveexec_b32 s42, s0
	s_cbranch_execz .LBB66_88
; %bb.87:
	v_add_f64 v[73:74], v[75:76], -v[71:72]
	s_mov_b32 s0, 0x652b82fe
	s_mov_b32 s1, 0x3ff71547
	;; [unrolled: 1-line block ×10, first 2 shown]
	s_delay_alu instid0(VALU_DEP_1) | instskip(SKIP_2) | instid1(VALU_DEP_1)
	v_mul_f64 v[75:76], v[73:74], s[0:1]
	s_mov_b32 s0, 0xfca7ab0c
	s_mov_b32 s1, 0x3e928af3
	v_rndne_f64_e32 v[75:76], v[75:76]
	s_delay_alu instid0(VALU_DEP_1) | instskip(SKIP_2) | instid1(VALU_DEP_2)
	v_fma_f64 v[98:99], v[75:76], s[36:37], v[73:74]
	v_cvt_i32_f64_e32 v102, v[75:76]
	s_mov_b32 s37, 0x3fe62e42
	v_fma_f64 v[98:99], v[75:76], s[38:39], v[98:99]
	s_mov_b32 s39, 0x3c7abc9e
	s_delay_alu instid0(VALU_DEP_1) | instskip(SKIP_4) | instid1(VALU_DEP_1)
	v_fma_f64 v[100:101], v[98:99], s[44:45], s[0:1]
	s_mov_b32 s0, 0x623fde64
	s_mov_b32 s1, 0x3ec71dee
	;; [unrolled: 1-line block ×4, first 2 shown]
	v_fma_f64 v[100:101], v[98:99], v[100:101], s[0:1]
	s_mov_b32 s0, 0x7c89e6b0
	s_mov_b32 s1, 0x3efa0199
	s_delay_alu instid0(VALU_DEP_1) | instid1(SALU_CYCLE_1)
	v_fma_f64 v[100:101], v[98:99], v[100:101], s[0:1]
	s_mov_b32 s0, 0x14761f6e
	s_mov_b32 s1, 0x3f2a01a0
	s_delay_alu instid0(VALU_DEP_1) | instid1(SALU_CYCLE_1)
	;; [unrolled: 4-line block ×7, first 2 shown]
	v_fma_f64 v[100:101], v[98:99], v[100:101], s[0:1]
	v_cmp_nlt_f64_e64 s0, 0x40900000, v[73:74]
	v_cmp_ngt_f64_e64 s1, 0xc090cc00, v[73:74]
	s_delay_alu instid0(VALU_DEP_3) | instskip(NEXT) | instid1(VALU_DEP_1)
	v_fma_f64 v[100:101], v[98:99], v[100:101], 1.0
	v_fma_f64 v[75:76], v[98:99], v[100:101], 1.0
	s_delay_alu instid0(VALU_DEP_1) | instskip(NEXT) | instid1(VALU_DEP_1)
	v_ldexp_f64 v[75:76], v[75:76], v102
	v_cndmask_b32_e64 v76, 0x7ff00000, v76, s0
	s_and_b32 s0, s1, s0
	s_delay_alu instid0(VALU_DEP_2) | instid1(SALU_CYCLE_1)
	v_cndmask_b32_e64 v73, 0, v75, s0
	s_mov_b32 s0, 0x55555555
	s_delay_alu instid0(VALU_DEP_2) | instskip(SKIP_1) | instid1(VALU_DEP_1)
	v_cndmask_b32_e64 v74, 0, v76, s1
	s_mov_b32 s1, 0x3fe55555
	v_add_f64 v[75:76], v[73:74], 1.0
	s_delay_alu instid0(VALU_DEP_1) | instskip(SKIP_2) | instid1(VALU_DEP_3)
	v_frexp_mant_f64_e32 v[98:99], v[75:76]
	v_frexp_exp_i32_f64_e32 v102, v[75:76]
	v_add_f64 v[100:101], v[75:76], -1.0
	v_cmp_gt_f64_e64 s0, s[0:1], v[98:99]
	s_delay_alu instid0(VALU_DEP_2) | instskip(SKIP_1) | instid1(VALU_DEP_3)
	v_add_f64 v[98:99], v[100:101], -v[75:76]
	v_add_f64 v[100:101], v[73:74], -v[100:101]
	v_subrev_co_ci_u32_e64 v118, s0, 0, v102, s0
	s_delay_alu instid0(VALU_DEP_3) | instskip(SKIP_1) | instid1(VALU_DEP_2)
	v_add_f64 v[98:99], v[98:99], 1.0
	s_mov_b32 s0, 0x55555780
	v_sub_nc_u32_e32 v104, 0, v118
	s_delay_alu instid0(VALU_DEP_1) | instskip(NEXT) | instid1(VALU_DEP_3)
	v_ldexp_f64 v[75:76], v[75:76], v104
	v_add_f64 v[98:99], v[100:101], v[98:99]
	s_delay_alu instid0(VALU_DEP_2) | instskip(SKIP_1) | instid1(VALU_DEP_3)
	v_add_f64 v[102:103], v[75:76], 1.0
	v_add_f64 v[108:109], v[75:76], -1.0
	v_ldexp_f64 v[98:99], v[98:99], v104
	s_delay_alu instid0(VALU_DEP_3) | instskip(NEXT) | instid1(VALU_DEP_3)
	v_add_f64 v[100:101], v[102:103], -1.0
	v_add_f64 v[110:111], v[108:109], 1.0
	s_delay_alu instid0(VALU_DEP_2) | instskip(NEXT) | instid1(VALU_DEP_2)
	v_add_f64 v[100:101], v[75:76], -v[100:101]
	v_add_f64 v[75:76], v[75:76], -v[110:111]
	s_delay_alu instid0(VALU_DEP_2) | instskip(NEXT) | instid1(VALU_DEP_2)
	v_add_f64 v[100:101], v[98:99], v[100:101]
	v_add_f64 v[75:76], v[98:99], v[75:76]
	s_delay_alu instid0(VALU_DEP_2) | instskip(NEXT) | instid1(VALU_DEP_2)
	v_add_f64 v[104:105], v[102:103], v[100:101]
	v_add_f64 v[110:111], v[108:109], v[75:76]
	s_delay_alu instid0(VALU_DEP_2) | instskip(SKIP_1) | instid1(VALU_DEP_2)
	v_rcp_f64_e32 v[106:107], v[104:105]
	v_add_f64 v[102:103], v[104:105], -v[102:103]
	v_add_f64 v[108:109], v[110:111], -v[108:109]
	s_delay_alu instid0(VALU_DEP_2) | instskip(SKIP_3) | instid1(VALU_DEP_2)
	v_add_f64 v[100:101], v[100:101], -v[102:103]
	s_waitcnt_depctr 0xfff
	v_fma_f64 v[112:113], -v[104:105], v[106:107], 1.0
	v_add_f64 v[75:76], v[75:76], -v[108:109]
	v_fma_f64 v[106:107], v[112:113], v[106:107], v[106:107]
	s_delay_alu instid0(VALU_DEP_1) | instskip(NEXT) | instid1(VALU_DEP_1)
	v_fma_f64 v[98:99], -v[104:105], v[106:107], 1.0
	v_fma_f64 v[98:99], v[98:99], v[106:107], v[106:107]
	s_delay_alu instid0(VALU_DEP_1) | instskip(NEXT) | instid1(VALU_DEP_1)
	v_mul_f64 v[106:107], v[110:111], v[98:99]
	v_mul_f64 v[112:113], v[104:105], v[106:107]
	s_delay_alu instid0(VALU_DEP_1) | instskip(NEXT) | instid1(VALU_DEP_1)
	v_fma_f64 v[102:103], v[106:107], v[104:105], -v[112:113]
	v_fma_f64 v[102:103], v[106:107], v[100:101], v[102:103]
	s_delay_alu instid0(VALU_DEP_1) | instskip(NEXT) | instid1(VALU_DEP_1)
	v_add_f64 v[114:115], v[112:113], v[102:103]
	v_add_f64 v[116:117], v[110:111], -v[114:115]
	v_add_f64 v[108:109], v[114:115], -v[112:113]
	s_delay_alu instid0(VALU_DEP_2) | instskip(NEXT) | instid1(VALU_DEP_2)
	v_add_f64 v[110:111], v[110:111], -v[116:117]
	v_add_f64 v[102:103], v[108:109], -v[102:103]
	s_delay_alu instid0(VALU_DEP_2) | instskip(NEXT) | instid1(VALU_DEP_1)
	v_add_f64 v[110:111], v[110:111], -v[114:115]
	v_add_f64 v[75:76], v[75:76], v[110:111]
	s_delay_alu instid0(VALU_DEP_1) | instskip(NEXT) | instid1(VALU_DEP_1)
	v_add_f64 v[75:76], v[102:103], v[75:76]
	v_add_f64 v[102:103], v[116:117], v[75:76]
	s_delay_alu instid0(VALU_DEP_1) | instskip(SKIP_1) | instid1(VALU_DEP_2)
	v_mul_f64 v[108:109], v[98:99], v[102:103]
	v_add_f64 v[114:115], v[116:117], -v[102:103]
	v_mul_f64 v[110:111], v[104:105], v[108:109]
	s_delay_alu instid0(VALU_DEP_2) | instskip(NEXT) | instid1(VALU_DEP_2)
	v_add_f64 v[75:76], v[75:76], v[114:115]
	v_fma_f64 v[104:105], v[108:109], v[104:105], -v[110:111]
	s_delay_alu instid0(VALU_DEP_1) | instskip(NEXT) | instid1(VALU_DEP_1)
	v_fma_f64 v[100:101], v[108:109], v[100:101], v[104:105]
	v_add_f64 v[104:105], v[110:111], v[100:101]
	s_delay_alu instid0(VALU_DEP_1) | instskip(SKIP_1) | instid1(VALU_DEP_2)
	v_add_f64 v[112:113], v[102:103], -v[104:105]
	v_add_f64 v[110:111], v[104:105], -v[110:111]
	;; [unrolled: 1-line block ×3, first 2 shown]
	s_delay_alu instid0(VALU_DEP_2) | instskip(NEXT) | instid1(VALU_DEP_2)
	v_add_f64 v[100:101], v[110:111], -v[100:101]
	v_add_f64 v[102:103], v[102:103], -v[104:105]
	s_delay_alu instid0(VALU_DEP_1) | instskip(SKIP_1) | instid1(VALU_DEP_2)
	v_add_f64 v[75:76], v[75:76], v[102:103]
	v_add_f64 v[102:103], v[106:107], v[108:109]
	;; [unrolled: 1-line block ×3, first 2 shown]
	s_delay_alu instid0(VALU_DEP_2) | instskip(NEXT) | instid1(VALU_DEP_2)
	v_add_f64 v[100:101], v[102:103], -v[106:107]
	v_add_f64 v[75:76], v[112:113], v[75:76]
	s_delay_alu instid0(VALU_DEP_2) | instskip(NEXT) | instid1(VALU_DEP_2)
	v_add_f64 v[100:101], v[108:109], -v[100:101]
	v_mul_f64 v[75:76], v[98:99], v[75:76]
	s_delay_alu instid0(VALU_DEP_1) | instskip(NEXT) | instid1(VALU_DEP_1)
	v_add_f64 v[75:76], v[100:101], v[75:76]
	v_add_f64 v[98:99], v[102:103], v[75:76]
	s_delay_alu instid0(VALU_DEP_1) | instskip(NEXT) | instid1(VALU_DEP_1)
	v_mul_f64 v[100:101], v[98:99], v[98:99]
	v_fma_f64 v[104:105], v[100:101], s[46:47], s[44:45]
	s_mov_b32 s44, 0xd7f4df2e
	s_mov_b32 s45, 0x3fc7474d
	v_mul_f64 v[106:107], v[98:99], v[100:101]
	s_delay_alu instid0(VALU_DEP_2)
	v_fma_f64 v[104:105], v[100:101], v[104:105], s[44:45]
	s_mov_b32 s44, 0x16291751
	s_mov_b32 s45, 0x3fcc71c0
	s_delay_alu instid0(VALU_DEP_1) | instid1(SALU_CYCLE_1)
	v_fma_f64 v[104:105], v[100:101], v[104:105], s[44:45]
	s_mov_b32 s44, 0x9b27acf1
	s_mov_b32 s45, 0x3fd24924
	s_delay_alu instid0(VALU_DEP_1) | instid1(SALU_CYCLE_1)
	;; [unrolled: 4-line block ×3, first 2 shown]
	v_fma_f64 v[104:105], v[100:101], v[104:105], s[44:45]
	s_delay_alu instid0(VALU_DEP_1) | instskip(SKIP_3) | instid1(VALU_DEP_4)
	v_fma_f64 v[100:101], v[100:101], v[104:105], s[0:1]
	v_ldexp_f64 v[104:105], v[98:99], 1
	v_add_f64 v[98:99], v[98:99], -v[102:103]
	v_cmp_eq_f64_e64 s0, 0x7ff00000, v[73:74]
	v_mul_f64 v[100:101], v[106:107], v[100:101]
	v_cvt_f64_i32_e32 v[106:107], v118
	s_delay_alu instid0(VALU_DEP_4) | instskip(NEXT) | instid1(VALU_DEP_3)
	v_add_f64 v[75:76], v[75:76], -v[98:99]
	v_add_f64 v[102:103], v[104:105], v[100:101]
	s_delay_alu instid0(VALU_DEP_3) | instskip(NEXT) | instid1(VALU_DEP_3)
	v_mul_f64 v[108:109], v[106:107], s[36:37]
	v_ldexp_f64 v[75:76], v[75:76], 1
	s_delay_alu instid0(VALU_DEP_3) | instskip(NEXT) | instid1(VALU_DEP_3)
	v_add_f64 v[98:99], v[102:103], -v[104:105]
	v_fma_f64 v[104:105], v[106:107], s[36:37], -v[108:109]
	s_delay_alu instid0(VALU_DEP_2) | instskip(NEXT) | instid1(VALU_DEP_2)
	v_add_f64 v[98:99], v[100:101], -v[98:99]
	v_fma_f64 v[100:101], v[106:107], s[38:39], v[104:105]
	s_delay_alu instid0(VALU_DEP_2) | instskip(NEXT) | instid1(VALU_DEP_2)
	v_add_f64 v[75:76], v[75:76], v[98:99]
	v_add_f64 v[98:99], v[108:109], v[100:101]
	s_delay_alu instid0(VALU_DEP_2) | instskip(NEXT) | instid1(VALU_DEP_2)
	v_add_f64 v[104:105], v[102:103], v[75:76]
	v_add_f64 v[108:109], v[98:99], -v[108:109]
	s_delay_alu instid0(VALU_DEP_2) | instskip(SKIP_1) | instid1(VALU_DEP_3)
	v_add_f64 v[106:107], v[98:99], v[104:105]
	v_add_f64 v[102:103], v[104:105], -v[102:103]
	v_add_f64 v[100:101], v[100:101], -v[108:109]
	s_delay_alu instid0(VALU_DEP_3) | instskip(NEXT) | instid1(VALU_DEP_3)
	v_add_f64 v[110:111], v[106:107], -v[98:99]
	v_add_f64 v[75:76], v[75:76], -v[102:103]
	s_delay_alu instid0(VALU_DEP_2) | instskip(SKIP_1) | instid1(VALU_DEP_3)
	v_add_f64 v[112:113], v[106:107], -v[110:111]
	v_add_f64 v[102:103], v[104:105], -v[110:111]
	v_add_f64 v[104:105], v[100:101], v[75:76]
	s_delay_alu instid0(VALU_DEP_3) | instskip(NEXT) | instid1(VALU_DEP_1)
	v_add_f64 v[98:99], v[98:99], -v[112:113]
	v_add_f64 v[98:99], v[102:103], v[98:99]
	s_delay_alu instid0(VALU_DEP_3) | instskip(NEXT) | instid1(VALU_DEP_2)
	v_add_f64 v[102:103], v[104:105], -v[100:101]
	v_add_f64 v[98:99], v[104:105], v[98:99]
	s_delay_alu instid0(VALU_DEP_2) | instskip(SKIP_1) | instid1(VALU_DEP_3)
	v_add_f64 v[104:105], v[104:105], -v[102:103]
	v_add_f64 v[75:76], v[75:76], -v[102:103]
	v_add_f64 v[108:109], v[106:107], v[98:99]
	s_delay_alu instid0(VALU_DEP_3) | instskip(NEXT) | instid1(VALU_DEP_2)
	v_add_f64 v[100:101], v[100:101], -v[104:105]
	v_add_f64 v[102:103], v[108:109], -v[106:107]
	s_delay_alu instid0(VALU_DEP_2) | instskip(NEXT) | instid1(VALU_DEP_2)
	v_add_f64 v[75:76], v[75:76], v[100:101]
	v_add_f64 v[98:99], v[98:99], -v[102:103]
	s_delay_alu instid0(VALU_DEP_1) | instskip(NEXT) | instid1(VALU_DEP_1)
	v_add_f64 v[75:76], v[75:76], v[98:99]
	v_add_f64 v[75:76], v[108:109], v[75:76]
	s_delay_alu instid0(VALU_DEP_1) | instskip(NEXT) | instid1(VALU_DEP_2)
	v_cndmask_b32_e64 v75, v75, v73, s0
	v_cndmask_b32_e64 v76, v76, v74, s0
	v_cmp_ngt_f64_e64 s0, -1.0, v[73:74]
	s_delay_alu instid0(VALU_DEP_1) | instskip(SKIP_1) | instid1(VALU_DEP_1)
	v_cndmask_b32_e64 v76, 0x7ff80000, v76, s0
	v_cmp_nge_f64_e64 s0, -1.0, v[73:74]
	v_cndmask_b32_e64 v75, 0, v75, s0
	v_cmp_neq_f64_e64 s0, -1.0, v[73:74]
	s_delay_alu instid0(VALU_DEP_1) | instskip(NEXT) | instid1(VALU_DEP_1)
	v_cndmask_b32_e64 v76, 0xfff00000, v76, s0
	v_add_f64 v[73:74], v[71:72], v[75:76]
.LBB66_88:
	s_or_b32 exec_lo, exec_lo, s42
	s_delay_alu instid0(VALU_DEP_1)
	v_dual_mov_b32 v75, v73 :: v_dual_mov_b32 v76, v74
	v_dual_mov_b32 v71, v73 :: v_dual_mov_b32 v72, v74
.LBB66_89:
	s_or_b32 exec_lo, exec_lo, s41
	s_delay_alu instid0(VALU_DEP_2) | instskip(NEXT) | instid1(VALU_DEP_3)
	v_mov_b32_dpp v73, v75 row_shr:2 row_mask:0xf bank_mask:0xf
	v_mov_b32_dpp v74, v76 row_shr:2 row_mask:0xf bank_mask:0xf
	s_mov_b32 s41, exec_lo
	v_cmpx_lt_u32_e32 1, v97
	s_cbranch_execz .LBB66_93
; %bb.90:
	s_delay_alu instid0(VALU_DEP_2) | instskip(SKIP_3) | instid1(VALU_DEP_3)
	v_max_f64 v[75:76], v[73:74], v[73:74]
	v_max_f64 v[98:99], v[71:72], v[71:72]
	v_cmp_u_f64_e64 s0, v[73:74], v[73:74]
	v_cmp_u_f64_e64 s1, v[71:72], v[71:72]
	v_min_f64 v[100:101], v[75:76], v[98:99]
	v_max_f64 v[75:76], v[75:76], v[98:99]
	s_delay_alu instid0(VALU_DEP_2) | instskip(NEXT) | instid1(VALU_DEP_3)
	v_cndmask_b32_e64 v98, v100, v73, s0
	v_cndmask_b32_e64 v99, v101, v74, s0
	s_delay_alu instid0(VALU_DEP_3) | instskip(NEXT) | instid1(VALU_DEP_4)
	v_cndmask_b32_e64 v100, v76, v74, s0
	v_cndmask_b32_e64 v101, v75, v73, s0
	s_delay_alu instid0(VALU_DEP_4) | instskip(NEXT) | instid1(VALU_DEP_4)
	v_cndmask_b32_e64 v75, v98, v71, s1
	v_cndmask_b32_e64 v76, v99, v72, s1
	s_delay_alu instid0(VALU_DEP_4) | instskip(NEXT) | instid1(VALU_DEP_4)
	v_cndmask_b32_e64 v72, v100, v72, s1
	v_cndmask_b32_e64 v71, v101, v71, s1
	s_delay_alu instid0(VALU_DEP_3) | instskip(NEXT) | instid1(VALU_DEP_2)
	v_cmp_class_f64_e64 s1, v[75:76], 0x1f8
	v_cmp_neq_f64_e64 s0, v[75:76], v[71:72]
	s_delay_alu instid0(VALU_DEP_1) | instskip(NEXT) | instid1(SALU_CYCLE_1)
	s_or_b32 s0, s0, s1
	s_and_saveexec_b32 s42, s0
	s_cbranch_execz .LBB66_92
; %bb.91:
	v_add_f64 v[73:74], v[75:76], -v[71:72]
	s_mov_b32 s0, 0x652b82fe
	s_mov_b32 s1, 0x3ff71547
	;; [unrolled: 1-line block ×10, first 2 shown]
	s_delay_alu instid0(VALU_DEP_1) | instskip(SKIP_2) | instid1(VALU_DEP_1)
	v_mul_f64 v[75:76], v[73:74], s[0:1]
	s_mov_b32 s0, 0xfca7ab0c
	s_mov_b32 s1, 0x3e928af3
	v_rndne_f64_e32 v[75:76], v[75:76]
	s_delay_alu instid0(VALU_DEP_1) | instskip(SKIP_2) | instid1(VALU_DEP_2)
	v_fma_f64 v[98:99], v[75:76], s[36:37], v[73:74]
	v_cvt_i32_f64_e32 v102, v[75:76]
	s_mov_b32 s37, 0x3fe62e42
	v_fma_f64 v[98:99], v[75:76], s[38:39], v[98:99]
	s_mov_b32 s39, 0x3c7abc9e
	s_delay_alu instid0(VALU_DEP_1) | instskip(SKIP_4) | instid1(VALU_DEP_1)
	v_fma_f64 v[100:101], v[98:99], s[44:45], s[0:1]
	s_mov_b32 s0, 0x623fde64
	s_mov_b32 s1, 0x3ec71dee
	;; [unrolled: 1-line block ×4, first 2 shown]
	v_fma_f64 v[100:101], v[98:99], v[100:101], s[0:1]
	s_mov_b32 s0, 0x7c89e6b0
	s_mov_b32 s1, 0x3efa0199
	s_delay_alu instid0(VALU_DEP_1) | instid1(SALU_CYCLE_1)
	v_fma_f64 v[100:101], v[98:99], v[100:101], s[0:1]
	s_mov_b32 s0, 0x14761f6e
	s_mov_b32 s1, 0x3f2a01a0
	s_delay_alu instid0(VALU_DEP_1) | instid1(SALU_CYCLE_1)
	;; [unrolled: 4-line block ×7, first 2 shown]
	v_fma_f64 v[100:101], v[98:99], v[100:101], s[0:1]
	v_cmp_nlt_f64_e64 s0, 0x40900000, v[73:74]
	v_cmp_ngt_f64_e64 s1, 0xc090cc00, v[73:74]
	s_delay_alu instid0(VALU_DEP_3) | instskip(NEXT) | instid1(VALU_DEP_1)
	v_fma_f64 v[100:101], v[98:99], v[100:101], 1.0
	v_fma_f64 v[75:76], v[98:99], v[100:101], 1.0
	s_delay_alu instid0(VALU_DEP_1) | instskip(NEXT) | instid1(VALU_DEP_1)
	v_ldexp_f64 v[75:76], v[75:76], v102
	v_cndmask_b32_e64 v76, 0x7ff00000, v76, s0
	s_and_b32 s0, s1, s0
	s_delay_alu instid0(VALU_DEP_2) | instid1(SALU_CYCLE_1)
	v_cndmask_b32_e64 v73, 0, v75, s0
	s_mov_b32 s0, 0x55555555
	s_delay_alu instid0(VALU_DEP_2) | instskip(SKIP_1) | instid1(VALU_DEP_1)
	v_cndmask_b32_e64 v74, 0, v76, s1
	s_mov_b32 s1, 0x3fe55555
	v_add_f64 v[75:76], v[73:74], 1.0
	s_delay_alu instid0(VALU_DEP_1) | instskip(SKIP_2) | instid1(VALU_DEP_3)
	v_frexp_mant_f64_e32 v[98:99], v[75:76]
	v_frexp_exp_i32_f64_e32 v102, v[75:76]
	v_add_f64 v[100:101], v[75:76], -1.0
	v_cmp_gt_f64_e64 s0, s[0:1], v[98:99]
	s_delay_alu instid0(VALU_DEP_2) | instskip(SKIP_1) | instid1(VALU_DEP_3)
	v_add_f64 v[98:99], v[100:101], -v[75:76]
	v_add_f64 v[100:101], v[73:74], -v[100:101]
	v_subrev_co_ci_u32_e64 v118, s0, 0, v102, s0
	s_delay_alu instid0(VALU_DEP_3) | instskip(SKIP_1) | instid1(VALU_DEP_2)
	v_add_f64 v[98:99], v[98:99], 1.0
	s_mov_b32 s0, 0x55555780
	v_sub_nc_u32_e32 v104, 0, v118
	s_delay_alu instid0(VALU_DEP_1) | instskip(NEXT) | instid1(VALU_DEP_3)
	v_ldexp_f64 v[75:76], v[75:76], v104
	v_add_f64 v[98:99], v[100:101], v[98:99]
	s_delay_alu instid0(VALU_DEP_2) | instskip(SKIP_1) | instid1(VALU_DEP_3)
	v_add_f64 v[102:103], v[75:76], 1.0
	v_add_f64 v[108:109], v[75:76], -1.0
	v_ldexp_f64 v[98:99], v[98:99], v104
	s_delay_alu instid0(VALU_DEP_3) | instskip(NEXT) | instid1(VALU_DEP_3)
	v_add_f64 v[100:101], v[102:103], -1.0
	v_add_f64 v[110:111], v[108:109], 1.0
	s_delay_alu instid0(VALU_DEP_2) | instskip(NEXT) | instid1(VALU_DEP_2)
	v_add_f64 v[100:101], v[75:76], -v[100:101]
	v_add_f64 v[75:76], v[75:76], -v[110:111]
	s_delay_alu instid0(VALU_DEP_2) | instskip(NEXT) | instid1(VALU_DEP_2)
	v_add_f64 v[100:101], v[98:99], v[100:101]
	v_add_f64 v[75:76], v[98:99], v[75:76]
	s_delay_alu instid0(VALU_DEP_2) | instskip(NEXT) | instid1(VALU_DEP_2)
	v_add_f64 v[104:105], v[102:103], v[100:101]
	v_add_f64 v[110:111], v[108:109], v[75:76]
	s_delay_alu instid0(VALU_DEP_2) | instskip(SKIP_1) | instid1(VALU_DEP_2)
	v_rcp_f64_e32 v[106:107], v[104:105]
	v_add_f64 v[102:103], v[104:105], -v[102:103]
	v_add_f64 v[108:109], v[110:111], -v[108:109]
	s_delay_alu instid0(VALU_DEP_2) | instskip(SKIP_3) | instid1(VALU_DEP_2)
	v_add_f64 v[100:101], v[100:101], -v[102:103]
	s_waitcnt_depctr 0xfff
	v_fma_f64 v[112:113], -v[104:105], v[106:107], 1.0
	v_add_f64 v[75:76], v[75:76], -v[108:109]
	v_fma_f64 v[106:107], v[112:113], v[106:107], v[106:107]
	s_delay_alu instid0(VALU_DEP_1) | instskip(NEXT) | instid1(VALU_DEP_1)
	v_fma_f64 v[98:99], -v[104:105], v[106:107], 1.0
	v_fma_f64 v[98:99], v[98:99], v[106:107], v[106:107]
	s_delay_alu instid0(VALU_DEP_1) | instskip(NEXT) | instid1(VALU_DEP_1)
	v_mul_f64 v[106:107], v[110:111], v[98:99]
	v_mul_f64 v[112:113], v[104:105], v[106:107]
	s_delay_alu instid0(VALU_DEP_1) | instskip(NEXT) | instid1(VALU_DEP_1)
	v_fma_f64 v[102:103], v[106:107], v[104:105], -v[112:113]
	v_fma_f64 v[102:103], v[106:107], v[100:101], v[102:103]
	s_delay_alu instid0(VALU_DEP_1) | instskip(NEXT) | instid1(VALU_DEP_1)
	v_add_f64 v[114:115], v[112:113], v[102:103]
	v_add_f64 v[116:117], v[110:111], -v[114:115]
	v_add_f64 v[108:109], v[114:115], -v[112:113]
	s_delay_alu instid0(VALU_DEP_2) | instskip(NEXT) | instid1(VALU_DEP_2)
	v_add_f64 v[110:111], v[110:111], -v[116:117]
	v_add_f64 v[102:103], v[108:109], -v[102:103]
	s_delay_alu instid0(VALU_DEP_2) | instskip(NEXT) | instid1(VALU_DEP_1)
	v_add_f64 v[110:111], v[110:111], -v[114:115]
	v_add_f64 v[75:76], v[75:76], v[110:111]
	s_delay_alu instid0(VALU_DEP_1) | instskip(NEXT) | instid1(VALU_DEP_1)
	v_add_f64 v[75:76], v[102:103], v[75:76]
	v_add_f64 v[102:103], v[116:117], v[75:76]
	s_delay_alu instid0(VALU_DEP_1) | instskip(SKIP_1) | instid1(VALU_DEP_2)
	v_mul_f64 v[108:109], v[98:99], v[102:103]
	v_add_f64 v[114:115], v[116:117], -v[102:103]
	v_mul_f64 v[110:111], v[104:105], v[108:109]
	s_delay_alu instid0(VALU_DEP_2) | instskip(NEXT) | instid1(VALU_DEP_2)
	v_add_f64 v[75:76], v[75:76], v[114:115]
	v_fma_f64 v[104:105], v[108:109], v[104:105], -v[110:111]
	s_delay_alu instid0(VALU_DEP_1) | instskip(NEXT) | instid1(VALU_DEP_1)
	v_fma_f64 v[100:101], v[108:109], v[100:101], v[104:105]
	v_add_f64 v[104:105], v[110:111], v[100:101]
	s_delay_alu instid0(VALU_DEP_1) | instskip(SKIP_1) | instid1(VALU_DEP_2)
	v_add_f64 v[112:113], v[102:103], -v[104:105]
	v_add_f64 v[110:111], v[104:105], -v[110:111]
	;; [unrolled: 1-line block ×3, first 2 shown]
	s_delay_alu instid0(VALU_DEP_2) | instskip(NEXT) | instid1(VALU_DEP_2)
	v_add_f64 v[100:101], v[110:111], -v[100:101]
	v_add_f64 v[102:103], v[102:103], -v[104:105]
	s_delay_alu instid0(VALU_DEP_1) | instskip(SKIP_1) | instid1(VALU_DEP_2)
	v_add_f64 v[75:76], v[75:76], v[102:103]
	v_add_f64 v[102:103], v[106:107], v[108:109]
	v_add_f64 v[75:76], v[100:101], v[75:76]
	s_delay_alu instid0(VALU_DEP_2) | instskip(NEXT) | instid1(VALU_DEP_2)
	v_add_f64 v[100:101], v[102:103], -v[106:107]
	v_add_f64 v[75:76], v[112:113], v[75:76]
	s_delay_alu instid0(VALU_DEP_2) | instskip(NEXT) | instid1(VALU_DEP_2)
	v_add_f64 v[100:101], v[108:109], -v[100:101]
	v_mul_f64 v[75:76], v[98:99], v[75:76]
	s_delay_alu instid0(VALU_DEP_1) | instskip(NEXT) | instid1(VALU_DEP_1)
	v_add_f64 v[75:76], v[100:101], v[75:76]
	v_add_f64 v[98:99], v[102:103], v[75:76]
	s_delay_alu instid0(VALU_DEP_1) | instskip(NEXT) | instid1(VALU_DEP_1)
	v_mul_f64 v[100:101], v[98:99], v[98:99]
	v_fma_f64 v[104:105], v[100:101], s[46:47], s[44:45]
	s_mov_b32 s44, 0xd7f4df2e
	s_mov_b32 s45, 0x3fc7474d
	v_mul_f64 v[106:107], v[98:99], v[100:101]
	s_delay_alu instid0(VALU_DEP_2)
	v_fma_f64 v[104:105], v[100:101], v[104:105], s[44:45]
	s_mov_b32 s44, 0x16291751
	s_mov_b32 s45, 0x3fcc71c0
	s_delay_alu instid0(VALU_DEP_1) | instid1(SALU_CYCLE_1)
	v_fma_f64 v[104:105], v[100:101], v[104:105], s[44:45]
	s_mov_b32 s44, 0x9b27acf1
	s_mov_b32 s45, 0x3fd24924
	s_delay_alu instid0(VALU_DEP_1) | instid1(SALU_CYCLE_1)
	;; [unrolled: 4-line block ×3, first 2 shown]
	v_fma_f64 v[104:105], v[100:101], v[104:105], s[44:45]
	s_delay_alu instid0(VALU_DEP_1) | instskip(SKIP_3) | instid1(VALU_DEP_4)
	v_fma_f64 v[100:101], v[100:101], v[104:105], s[0:1]
	v_ldexp_f64 v[104:105], v[98:99], 1
	v_add_f64 v[98:99], v[98:99], -v[102:103]
	v_cmp_eq_f64_e64 s0, 0x7ff00000, v[73:74]
	v_mul_f64 v[100:101], v[106:107], v[100:101]
	v_cvt_f64_i32_e32 v[106:107], v118
	s_delay_alu instid0(VALU_DEP_4) | instskip(NEXT) | instid1(VALU_DEP_3)
	v_add_f64 v[75:76], v[75:76], -v[98:99]
	v_add_f64 v[102:103], v[104:105], v[100:101]
	s_delay_alu instid0(VALU_DEP_3) | instskip(NEXT) | instid1(VALU_DEP_3)
	v_mul_f64 v[108:109], v[106:107], s[36:37]
	v_ldexp_f64 v[75:76], v[75:76], 1
	s_delay_alu instid0(VALU_DEP_3) | instskip(NEXT) | instid1(VALU_DEP_3)
	v_add_f64 v[98:99], v[102:103], -v[104:105]
	v_fma_f64 v[104:105], v[106:107], s[36:37], -v[108:109]
	s_delay_alu instid0(VALU_DEP_2) | instskip(NEXT) | instid1(VALU_DEP_2)
	v_add_f64 v[98:99], v[100:101], -v[98:99]
	v_fma_f64 v[100:101], v[106:107], s[38:39], v[104:105]
	s_delay_alu instid0(VALU_DEP_2) | instskip(NEXT) | instid1(VALU_DEP_2)
	v_add_f64 v[75:76], v[75:76], v[98:99]
	v_add_f64 v[98:99], v[108:109], v[100:101]
	s_delay_alu instid0(VALU_DEP_2) | instskip(NEXT) | instid1(VALU_DEP_2)
	v_add_f64 v[104:105], v[102:103], v[75:76]
	v_add_f64 v[108:109], v[98:99], -v[108:109]
	s_delay_alu instid0(VALU_DEP_2) | instskip(SKIP_1) | instid1(VALU_DEP_3)
	v_add_f64 v[106:107], v[98:99], v[104:105]
	v_add_f64 v[102:103], v[104:105], -v[102:103]
	v_add_f64 v[100:101], v[100:101], -v[108:109]
	s_delay_alu instid0(VALU_DEP_3) | instskip(NEXT) | instid1(VALU_DEP_3)
	v_add_f64 v[110:111], v[106:107], -v[98:99]
	v_add_f64 v[75:76], v[75:76], -v[102:103]
	s_delay_alu instid0(VALU_DEP_2) | instskip(SKIP_1) | instid1(VALU_DEP_3)
	v_add_f64 v[112:113], v[106:107], -v[110:111]
	v_add_f64 v[102:103], v[104:105], -v[110:111]
	v_add_f64 v[104:105], v[100:101], v[75:76]
	s_delay_alu instid0(VALU_DEP_3) | instskip(NEXT) | instid1(VALU_DEP_1)
	v_add_f64 v[98:99], v[98:99], -v[112:113]
	v_add_f64 v[98:99], v[102:103], v[98:99]
	s_delay_alu instid0(VALU_DEP_3) | instskip(NEXT) | instid1(VALU_DEP_2)
	v_add_f64 v[102:103], v[104:105], -v[100:101]
	v_add_f64 v[98:99], v[104:105], v[98:99]
	s_delay_alu instid0(VALU_DEP_2) | instskip(SKIP_1) | instid1(VALU_DEP_3)
	v_add_f64 v[104:105], v[104:105], -v[102:103]
	v_add_f64 v[75:76], v[75:76], -v[102:103]
	v_add_f64 v[108:109], v[106:107], v[98:99]
	s_delay_alu instid0(VALU_DEP_3) | instskip(NEXT) | instid1(VALU_DEP_2)
	v_add_f64 v[100:101], v[100:101], -v[104:105]
	v_add_f64 v[102:103], v[108:109], -v[106:107]
	s_delay_alu instid0(VALU_DEP_2) | instskip(NEXT) | instid1(VALU_DEP_2)
	v_add_f64 v[75:76], v[75:76], v[100:101]
	v_add_f64 v[98:99], v[98:99], -v[102:103]
	s_delay_alu instid0(VALU_DEP_1) | instskip(NEXT) | instid1(VALU_DEP_1)
	v_add_f64 v[75:76], v[75:76], v[98:99]
	v_add_f64 v[75:76], v[108:109], v[75:76]
	s_delay_alu instid0(VALU_DEP_1) | instskip(NEXT) | instid1(VALU_DEP_2)
	v_cndmask_b32_e64 v75, v75, v73, s0
	v_cndmask_b32_e64 v76, v76, v74, s0
	v_cmp_ngt_f64_e64 s0, -1.0, v[73:74]
	s_delay_alu instid0(VALU_DEP_1) | instskip(SKIP_1) | instid1(VALU_DEP_1)
	v_cndmask_b32_e64 v76, 0x7ff80000, v76, s0
	v_cmp_nge_f64_e64 s0, -1.0, v[73:74]
	v_cndmask_b32_e64 v75, 0, v75, s0
	v_cmp_neq_f64_e64 s0, -1.0, v[73:74]
	s_delay_alu instid0(VALU_DEP_1) | instskip(NEXT) | instid1(VALU_DEP_1)
	v_cndmask_b32_e64 v76, 0xfff00000, v76, s0
	v_add_f64 v[73:74], v[71:72], v[75:76]
.LBB66_92:
	s_or_b32 exec_lo, exec_lo, s42
	s_delay_alu instid0(VALU_DEP_1)
	v_dual_mov_b32 v75, v73 :: v_dual_mov_b32 v76, v74
	v_dual_mov_b32 v71, v73 :: v_dual_mov_b32 v72, v74
.LBB66_93:
	s_or_b32 exec_lo, exec_lo, s41
	s_delay_alu instid0(VALU_DEP_2) | instskip(NEXT) | instid1(VALU_DEP_3)
	v_mov_b32_dpp v73, v75 row_shr:4 row_mask:0xf bank_mask:0xf
	v_mov_b32_dpp v74, v76 row_shr:4 row_mask:0xf bank_mask:0xf
	s_mov_b32 s41, exec_lo
	v_cmpx_lt_u32_e32 3, v97
	s_cbranch_execz .LBB66_97
; %bb.94:
	s_delay_alu instid0(VALU_DEP_2) | instskip(SKIP_3) | instid1(VALU_DEP_3)
	v_max_f64 v[75:76], v[73:74], v[73:74]
	v_max_f64 v[97:98], v[71:72], v[71:72]
	v_cmp_u_f64_e64 s0, v[73:74], v[73:74]
	v_cmp_u_f64_e64 s1, v[71:72], v[71:72]
	v_min_f64 v[99:100], v[75:76], v[97:98]
	v_max_f64 v[75:76], v[75:76], v[97:98]
	s_delay_alu instid0(VALU_DEP_2) | instskip(NEXT) | instid1(VALU_DEP_3)
	v_cndmask_b32_e64 v97, v99, v73, s0
	v_cndmask_b32_e64 v98, v100, v74, s0
	s_delay_alu instid0(VALU_DEP_3) | instskip(NEXT) | instid1(VALU_DEP_4)
	v_cndmask_b32_e64 v99, v76, v74, s0
	v_cndmask_b32_e64 v100, v75, v73, s0
	s_delay_alu instid0(VALU_DEP_4) | instskip(NEXT) | instid1(VALU_DEP_4)
	v_cndmask_b32_e64 v75, v97, v71, s1
	v_cndmask_b32_e64 v76, v98, v72, s1
	s_delay_alu instid0(VALU_DEP_4) | instskip(NEXT) | instid1(VALU_DEP_4)
	v_cndmask_b32_e64 v72, v99, v72, s1
	v_cndmask_b32_e64 v71, v100, v71, s1
	s_delay_alu instid0(VALU_DEP_3) | instskip(NEXT) | instid1(VALU_DEP_2)
	v_cmp_class_f64_e64 s1, v[75:76], 0x1f8
	v_cmp_neq_f64_e64 s0, v[75:76], v[71:72]
	s_delay_alu instid0(VALU_DEP_1) | instskip(NEXT) | instid1(SALU_CYCLE_1)
	s_or_b32 s0, s0, s1
	s_and_saveexec_b32 s42, s0
	s_cbranch_execz .LBB66_96
; %bb.95:
	v_add_f64 v[73:74], v[75:76], -v[71:72]
	s_mov_b32 s0, 0x652b82fe
	s_mov_b32 s1, 0x3ff71547
	;; [unrolled: 1-line block ×10, first 2 shown]
	s_delay_alu instid0(VALU_DEP_1) | instskip(SKIP_2) | instid1(VALU_DEP_1)
	v_mul_f64 v[75:76], v[73:74], s[0:1]
	s_mov_b32 s0, 0xfca7ab0c
	s_mov_b32 s1, 0x3e928af3
	v_rndne_f64_e32 v[75:76], v[75:76]
	s_delay_alu instid0(VALU_DEP_1) | instskip(SKIP_2) | instid1(VALU_DEP_2)
	v_fma_f64 v[97:98], v[75:76], s[36:37], v[73:74]
	v_cvt_i32_f64_e32 v101, v[75:76]
	s_mov_b32 s37, 0x3fe62e42
	v_fma_f64 v[97:98], v[75:76], s[38:39], v[97:98]
	s_mov_b32 s39, 0x3c7abc9e
	s_delay_alu instid0(VALU_DEP_1) | instskip(SKIP_4) | instid1(VALU_DEP_1)
	v_fma_f64 v[99:100], v[97:98], s[44:45], s[0:1]
	s_mov_b32 s0, 0x623fde64
	s_mov_b32 s1, 0x3ec71dee
	;; [unrolled: 1-line block ×4, first 2 shown]
	v_fma_f64 v[99:100], v[97:98], v[99:100], s[0:1]
	s_mov_b32 s0, 0x7c89e6b0
	s_mov_b32 s1, 0x3efa0199
	s_delay_alu instid0(VALU_DEP_1) | instid1(SALU_CYCLE_1)
	v_fma_f64 v[99:100], v[97:98], v[99:100], s[0:1]
	s_mov_b32 s0, 0x14761f6e
	s_mov_b32 s1, 0x3f2a01a0
	s_delay_alu instid0(VALU_DEP_1) | instid1(SALU_CYCLE_1)
	;; [unrolled: 4-line block ×7, first 2 shown]
	v_fma_f64 v[99:100], v[97:98], v[99:100], s[0:1]
	v_cmp_nlt_f64_e64 s0, 0x40900000, v[73:74]
	v_cmp_ngt_f64_e64 s1, 0xc090cc00, v[73:74]
	s_delay_alu instid0(VALU_DEP_3) | instskip(NEXT) | instid1(VALU_DEP_1)
	v_fma_f64 v[99:100], v[97:98], v[99:100], 1.0
	v_fma_f64 v[75:76], v[97:98], v[99:100], 1.0
	s_delay_alu instid0(VALU_DEP_1) | instskip(NEXT) | instid1(VALU_DEP_1)
	v_ldexp_f64 v[75:76], v[75:76], v101
	v_cndmask_b32_e64 v76, 0x7ff00000, v76, s0
	s_and_b32 s0, s1, s0
	s_delay_alu instid0(VALU_DEP_2) | instid1(SALU_CYCLE_1)
	v_cndmask_b32_e64 v73, 0, v75, s0
	s_mov_b32 s0, 0x55555555
	s_delay_alu instid0(VALU_DEP_2) | instskip(SKIP_1) | instid1(VALU_DEP_1)
	v_cndmask_b32_e64 v74, 0, v76, s1
	s_mov_b32 s1, 0x3fe55555
	v_add_f64 v[75:76], v[73:74], 1.0
	s_delay_alu instid0(VALU_DEP_1) | instskip(SKIP_2) | instid1(VALU_DEP_3)
	v_frexp_mant_f64_e32 v[97:98], v[75:76]
	v_frexp_exp_i32_f64_e32 v101, v[75:76]
	v_add_f64 v[99:100], v[75:76], -1.0
	v_cmp_gt_f64_e64 s0, s[0:1], v[97:98]
	s_delay_alu instid0(VALU_DEP_2) | instskip(SKIP_1) | instid1(VALU_DEP_3)
	v_add_f64 v[97:98], v[99:100], -v[75:76]
	v_add_f64 v[99:100], v[73:74], -v[99:100]
	v_subrev_co_ci_u32_e64 v117, s0, 0, v101, s0
	s_delay_alu instid0(VALU_DEP_3) | instskip(SKIP_1) | instid1(VALU_DEP_2)
	v_add_f64 v[97:98], v[97:98], 1.0
	s_mov_b32 s0, 0x55555780
	v_sub_nc_u32_e32 v103, 0, v117
	s_delay_alu instid0(VALU_DEP_1) | instskip(NEXT) | instid1(VALU_DEP_3)
	v_ldexp_f64 v[75:76], v[75:76], v103
	v_add_f64 v[97:98], v[99:100], v[97:98]
	s_delay_alu instid0(VALU_DEP_2) | instskip(SKIP_1) | instid1(VALU_DEP_3)
	v_add_f64 v[101:102], v[75:76], 1.0
	v_add_f64 v[107:108], v[75:76], -1.0
	v_ldexp_f64 v[97:98], v[97:98], v103
	s_delay_alu instid0(VALU_DEP_3) | instskip(NEXT) | instid1(VALU_DEP_3)
	v_add_f64 v[99:100], v[101:102], -1.0
	v_add_f64 v[109:110], v[107:108], 1.0
	s_delay_alu instid0(VALU_DEP_2) | instskip(NEXT) | instid1(VALU_DEP_2)
	v_add_f64 v[99:100], v[75:76], -v[99:100]
	v_add_f64 v[75:76], v[75:76], -v[109:110]
	s_delay_alu instid0(VALU_DEP_2) | instskip(NEXT) | instid1(VALU_DEP_2)
	v_add_f64 v[99:100], v[97:98], v[99:100]
	v_add_f64 v[75:76], v[97:98], v[75:76]
	s_delay_alu instid0(VALU_DEP_2) | instskip(NEXT) | instid1(VALU_DEP_2)
	v_add_f64 v[103:104], v[101:102], v[99:100]
	v_add_f64 v[109:110], v[107:108], v[75:76]
	s_delay_alu instid0(VALU_DEP_2) | instskip(SKIP_1) | instid1(VALU_DEP_2)
	v_rcp_f64_e32 v[105:106], v[103:104]
	v_add_f64 v[101:102], v[103:104], -v[101:102]
	v_add_f64 v[107:108], v[109:110], -v[107:108]
	s_delay_alu instid0(VALU_DEP_2) | instskip(SKIP_3) | instid1(VALU_DEP_2)
	v_add_f64 v[99:100], v[99:100], -v[101:102]
	s_waitcnt_depctr 0xfff
	v_fma_f64 v[111:112], -v[103:104], v[105:106], 1.0
	v_add_f64 v[75:76], v[75:76], -v[107:108]
	v_fma_f64 v[105:106], v[111:112], v[105:106], v[105:106]
	s_delay_alu instid0(VALU_DEP_1) | instskip(NEXT) | instid1(VALU_DEP_1)
	v_fma_f64 v[97:98], -v[103:104], v[105:106], 1.0
	v_fma_f64 v[97:98], v[97:98], v[105:106], v[105:106]
	s_delay_alu instid0(VALU_DEP_1) | instskip(NEXT) | instid1(VALU_DEP_1)
	v_mul_f64 v[105:106], v[109:110], v[97:98]
	v_mul_f64 v[111:112], v[103:104], v[105:106]
	s_delay_alu instid0(VALU_DEP_1) | instskip(NEXT) | instid1(VALU_DEP_1)
	v_fma_f64 v[101:102], v[105:106], v[103:104], -v[111:112]
	v_fma_f64 v[101:102], v[105:106], v[99:100], v[101:102]
	s_delay_alu instid0(VALU_DEP_1) | instskip(NEXT) | instid1(VALU_DEP_1)
	v_add_f64 v[113:114], v[111:112], v[101:102]
	v_add_f64 v[115:116], v[109:110], -v[113:114]
	v_add_f64 v[107:108], v[113:114], -v[111:112]
	s_delay_alu instid0(VALU_DEP_2) | instskip(NEXT) | instid1(VALU_DEP_2)
	v_add_f64 v[109:110], v[109:110], -v[115:116]
	v_add_f64 v[101:102], v[107:108], -v[101:102]
	s_delay_alu instid0(VALU_DEP_2) | instskip(NEXT) | instid1(VALU_DEP_1)
	v_add_f64 v[109:110], v[109:110], -v[113:114]
	v_add_f64 v[75:76], v[75:76], v[109:110]
	s_delay_alu instid0(VALU_DEP_1) | instskip(NEXT) | instid1(VALU_DEP_1)
	v_add_f64 v[75:76], v[101:102], v[75:76]
	v_add_f64 v[101:102], v[115:116], v[75:76]
	s_delay_alu instid0(VALU_DEP_1) | instskip(SKIP_1) | instid1(VALU_DEP_2)
	v_mul_f64 v[107:108], v[97:98], v[101:102]
	v_add_f64 v[113:114], v[115:116], -v[101:102]
	v_mul_f64 v[109:110], v[103:104], v[107:108]
	s_delay_alu instid0(VALU_DEP_2) | instskip(NEXT) | instid1(VALU_DEP_2)
	v_add_f64 v[75:76], v[75:76], v[113:114]
	v_fma_f64 v[103:104], v[107:108], v[103:104], -v[109:110]
	s_delay_alu instid0(VALU_DEP_1) | instskip(NEXT) | instid1(VALU_DEP_1)
	v_fma_f64 v[99:100], v[107:108], v[99:100], v[103:104]
	v_add_f64 v[103:104], v[109:110], v[99:100]
	s_delay_alu instid0(VALU_DEP_1) | instskip(SKIP_1) | instid1(VALU_DEP_2)
	v_add_f64 v[111:112], v[101:102], -v[103:104]
	v_add_f64 v[109:110], v[103:104], -v[109:110]
	;; [unrolled: 1-line block ×3, first 2 shown]
	s_delay_alu instid0(VALU_DEP_2) | instskip(NEXT) | instid1(VALU_DEP_2)
	v_add_f64 v[99:100], v[109:110], -v[99:100]
	v_add_f64 v[101:102], v[101:102], -v[103:104]
	s_delay_alu instid0(VALU_DEP_1) | instskip(SKIP_1) | instid1(VALU_DEP_2)
	v_add_f64 v[75:76], v[75:76], v[101:102]
	v_add_f64 v[101:102], v[105:106], v[107:108]
	;; [unrolled: 1-line block ×3, first 2 shown]
	s_delay_alu instid0(VALU_DEP_2) | instskip(NEXT) | instid1(VALU_DEP_2)
	v_add_f64 v[99:100], v[101:102], -v[105:106]
	v_add_f64 v[75:76], v[111:112], v[75:76]
	s_delay_alu instid0(VALU_DEP_2) | instskip(NEXT) | instid1(VALU_DEP_2)
	v_add_f64 v[99:100], v[107:108], -v[99:100]
	v_mul_f64 v[75:76], v[97:98], v[75:76]
	s_delay_alu instid0(VALU_DEP_1) | instskip(NEXT) | instid1(VALU_DEP_1)
	v_add_f64 v[75:76], v[99:100], v[75:76]
	v_add_f64 v[97:98], v[101:102], v[75:76]
	s_delay_alu instid0(VALU_DEP_1) | instskip(NEXT) | instid1(VALU_DEP_1)
	v_mul_f64 v[99:100], v[97:98], v[97:98]
	v_fma_f64 v[103:104], v[99:100], s[46:47], s[44:45]
	s_mov_b32 s44, 0xd7f4df2e
	s_mov_b32 s45, 0x3fc7474d
	v_mul_f64 v[105:106], v[97:98], v[99:100]
	s_delay_alu instid0(VALU_DEP_2)
	v_fma_f64 v[103:104], v[99:100], v[103:104], s[44:45]
	s_mov_b32 s44, 0x16291751
	s_mov_b32 s45, 0x3fcc71c0
	s_delay_alu instid0(VALU_DEP_1) | instid1(SALU_CYCLE_1)
	v_fma_f64 v[103:104], v[99:100], v[103:104], s[44:45]
	s_mov_b32 s44, 0x9b27acf1
	s_mov_b32 s45, 0x3fd24924
	s_delay_alu instid0(VALU_DEP_1) | instid1(SALU_CYCLE_1)
	;; [unrolled: 4-line block ×3, first 2 shown]
	v_fma_f64 v[103:104], v[99:100], v[103:104], s[44:45]
	s_delay_alu instid0(VALU_DEP_1) | instskip(SKIP_3) | instid1(VALU_DEP_4)
	v_fma_f64 v[99:100], v[99:100], v[103:104], s[0:1]
	v_ldexp_f64 v[103:104], v[97:98], 1
	v_add_f64 v[97:98], v[97:98], -v[101:102]
	v_cmp_eq_f64_e64 s0, 0x7ff00000, v[73:74]
	v_mul_f64 v[99:100], v[105:106], v[99:100]
	v_cvt_f64_i32_e32 v[105:106], v117
	s_delay_alu instid0(VALU_DEP_4) | instskip(NEXT) | instid1(VALU_DEP_3)
	v_add_f64 v[75:76], v[75:76], -v[97:98]
	v_add_f64 v[101:102], v[103:104], v[99:100]
	s_delay_alu instid0(VALU_DEP_3) | instskip(NEXT) | instid1(VALU_DEP_3)
	v_mul_f64 v[107:108], v[105:106], s[36:37]
	v_ldexp_f64 v[75:76], v[75:76], 1
	s_delay_alu instid0(VALU_DEP_3) | instskip(NEXT) | instid1(VALU_DEP_3)
	v_add_f64 v[97:98], v[101:102], -v[103:104]
	v_fma_f64 v[103:104], v[105:106], s[36:37], -v[107:108]
	s_delay_alu instid0(VALU_DEP_2) | instskip(NEXT) | instid1(VALU_DEP_2)
	v_add_f64 v[97:98], v[99:100], -v[97:98]
	v_fma_f64 v[99:100], v[105:106], s[38:39], v[103:104]
	s_delay_alu instid0(VALU_DEP_2) | instskip(NEXT) | instid1(VALU_DEP_2)
	v_add_f64 v[75:76], v[75:76], v[97:98]
	v_add_f64 v[97:98], v[107:108], v[99:100]
	s_delay_alu instid0(VALU_DEP_2) | instskip(NEXT) | instid1(VALU_DEP_2)
	v_add_f64 v[103:104], v[101:102], v[75:76]
	v_add_f64 v[107:108], v[97:98], -v[107:108]
	s_delay_alu instid0(VALU_DEP_2) | instskip(SKIP_1) | instid1(VALU_DEP_3)
	v_add_f64 v[105:106], v[97:98], v[103:104]
	v_add_f64 v[101:102], v[103:104], -v[101:102]
	v_add_f64 v[99:100], v[99:100], -v[107:108]
	s_delay_alu instid0(VALU_DEP_3) | instskip(NEXT) | instid1(VALU_DEP_3)
	v_add_f64 v[109:110], v[105:106], -v[97:98]
	v_add_f64 v[75:76], v[75:76], -v[101:102]
	s_delay_alu instid0(VALU_DEP_2) | instskip(SKIP_1) | instid1(VALU_DEP_3)
	v_add_f64 v[111:112], v[105:106], -v[109:110]
	v_add_f64 v[101:102], v[103:104], -v[109:110]
	v_add_f64 v[103:104], v[99:100], v[75:76]
	s_delay_alu instid0(VALU_DEP_3) | instskip(NEXT) | instid1(VALU_DEP_1)
	v_add_f64 v[97:98], v[97:98], -v[111:112]
	v_add_f64 v[97:98], v[101:102], v[97:98]
	s_delay_alu instid0(VALU_DEP_3) | instskip(NEXT) | instid1(VALU_DEP_2)
	v_add_f64 v[101:102], v[103:104], -v[99:100]
	v_add_f64 v[97:98], v[103:104], v[97:98]
	s_delay_alu instid0(VALU_DEP_2) | instskip(SKIP_1) | instid1(VALU_DEP_3)
	v_add_f64 v[103:104], v[103:104], -v[101:102]
	v_add_f64 v[75:76], v[75:76], -v[101:102]
	v_add_f64 v[107:108], v[105:106], v[97:98]
	s_delay_alu instid0(VALU_DEP_3) | instskip(NEXT) | instid1(VALU_DEP_2)
	v_add_f64 v[99:100], v[99:100], -v[103:104]
	v_add_f64 v[101:102], v[107:108], -v[105:106]
	s_delay_alu instid0(VALU_DEP_2) | instskip(NEXT) | instid1(VALU_DEP_2)
	v_add_f64 v[75:76], v[75:76], v[99:100]
	v_add_f64 v[97:98], v[97:98], -v[101:102]
	s_delay_alu instid0(VALU_DEP_1) | instskip(NEXT) | instid1(VALU_DEP_1)
	v_add_f64 v[75:76], v[75:76], v[97:98]
	v_add_f64 v[75:76], v[107:108], v[75:76]
	s_delay_alu instid0(VALU_DEP_1) | instskip(NEXT) | instid1(VALU_DEP_2)
	v_cndmask_b32_e64 v75, v75, v73, s0
	v_cndmask_b32_e64 v76, v76, v74, s0
	v_cmp_ngt_f64_e64 s0, -1.0, v[73:74]
	s_delay_alu instid0(VALU_DEP_1) | instskip(SKIP_1) | instid1(VALU_DEP_1)
	v_cndmask_b32_e64 v76, 0x7ff80000, v76, s0
	v_cmp_nge_f64_e64 s0, -1.0, v[73:74]
	v_cndmask_b32_e64 v75, 0, v75, s0
	v_cmp_neq_f64_e64 s0, -1.0, v[73:74]
	s_delay_alu instid0(VALU_DEP_1) | instskip(NEXT) | instid1(VALU_DEP_1)
	v_cndmask_b32_e64 v76, 0xfff00000, v76, s0
	v_add_f64 v[73:74], v[71:72], v[75:76]
.LBB66_96:
	s_or_b32 exec_lo, exec_lo, s42
	s_delay_alu instid0(VALU_DEP_1)
	v_dual_mov_b32 v71, v73 :: v_dual_mov_b32 v72, v74
.LBB66_97:
	s_or_b32 exec_lo, exec_lo, s41
	ds_store_b64 v77, v[71:72]
.LBB66_98:
	s_or_b32 exec_lo, exec_lo, s40
	s_delay_alu instid0(SALU_CYCLE_1)
	s_mov_b32 s40, exec_lo
	s_waitcnt lgkmcnt(0)
	s_barrier
	buffer_gl0_inv
                                        ; implicit-def: $vgpr71_vgpr72
	v_cmpx_lt_u32_e32 31, v0
	s_cbranch_execz .LBB66_102
; %bb.99:
	v_add_nc_u32_e32 v71, -8, v95
	v_max_f64 v[73:74], v[69:70], v[69:70]
	v_cmp_u_f64_e64 s1, v[69:70], v[69:70]
	ds_load_b64 v[71:72], v71
	s_waitcnt lgkmcnt(0)
	v_max_f64 v[75:76], v[71:72], v[71:72]
	v_cmp_u_f64_e64 s0, v[71:72], v[71:72]
	s_delay_alu instid0(VALU_DEP_2) | instskip(SKIP_1) | instid1(VALU_DEP_2)
	v_min_f64 v[97:98], v[75:76], v[73:74]
	v_max_f64 v[73:74], v[75:76], v[73:74]
	v_cndmask_b32_e64 v75, v97, v71, s0
	s_delay_alu instid0(VALU_DEP_3) | instskip(NEXT) | instid1(VALU_DEP_3)
	v_cndmask_b32_e64 v76, v98, v72, s0
	v_cndmask_b32_e64 v74, v74, v72, s0
	s_delay_alu instid0(VALU_DEP_4) | instskip(NEXT) | instid1(VALU_DEP_4)
	v_cndmask_b32_e64 v73, v73, v71, s0
	v_cndmask_b32_e64 v75, v75, v69, s1
	s_delay_alu instid0(VALU_DEP_4) | instskip(NEXT) | instid1(VALU_DEP_4)
	v_cndmask_b32_e64 v76, v76, v70, s1
	v_cndmask_b32_e64 v74, v74, v70, s1
	s_delay_alu instid0(VALU_DEP_4) | instskip(SKIP_1) | instid1(VALU_DEP_4)
	v_cndmask_b32_e64 v73, v73, v69, s1
	v_dual_mov_b32 v69, v71 :: v_dual_mov_b32 v70, v72
	v_cmp_class_f64_e64 s1, v[75:76], 0x1f8
	s_delay_alu instid0(VALU_DEP_3) | instskip(NEXT) | instid1(VALU_DEP_1)
	v_cmp_neq_f64_e64 s0, v[75:76], v[73:74]
	s_or_b32 s0, s0, s1
	s_delay_alu instid0(SALU_CYCLE_1)
	s_and_saveexec_b32 s41, s0
	s_cbranch_execz .LBB66_101
; %bb.100:
	v_add_f64 v[69:70], v[75:76], -v[73:74]
	s_mov_b32 s0, 0x652b82fe
	s_mov_b32 s1, 0x3ff71547
	;; [unrolled: 1-line block ×10, first 2 shown]
	s_delay_alu instid0(VALU_DEP_1) | instskip(SKIP_2) | instid1(VALU_DEP_1)
	v_mul_f64 v[75:76], v[69:70], s[0:1]
	s_mov_b32 s0, 0xfca7ab0c
	s_mov_b32 s1, 0x3e928af3
	v_rndne_f64_e32 v[75:76], v[75:76]
	s_delay_alu instid0(VALU_DEP_1) | instskip(SKIP_2) | instid1(VALU_DEP_2)
	v_fma_f64 v[97:98], v[75:76], s[36:37], v[69:70]
	v_cvt_i32_f64_e32 v95, v[75:76]
	s_mov_b32 s37, 0x3fe62e42
	v_fma_f64 v[97:98], v[75:76], s[38:39], v[97:98]
	s_mov_b32 s39, 0x3c7abc9e
	s_delay_alu instid0(VALU_DEP_1) | instskip(SKIP_4) | instid1(VALU_DEP_1)
	v_fma_f64 v[99:100], v[97:98], s[42:43], s[0:1]
	s_mov_b32 s0, 0x623fde64
	s_mov_b32 s1, 0x3ec71dee
	s_mov_b32 s42, 0x6b47b09a
	s_mov_b32 s43, 0x3fc38538
	v_fma_f64 v[99:100], v[97:98], v[99:100], s[0:1]
	s_mov_b32 s0, 0x7c89e6b0
	s_mov_b32 s1, 0x3efa0199
	s_delay_alu instid0(VALU_DEP_1) | instid1(SALU_CYCLE_1)
	v_fma_f64 v[99:100], v[97:98], v[99:100], s[0:1]
	s_mov_b32 s0, 0x14761f6e
	s_mov_b32 s1, 0x3f2a01a0
	s_delay_alu instid0(VALU_DEP_1) | instid1(SALU_CYCLE_1)
	;; [unrolled: 4-line block ×7, first 2 shown]
	v_fma_f64 v[99:100], v[97:98], v[99:100], s[0:1]
	v_cmp_nlt_f64_e64 s0, 0x40900000, v[69:70]
	v_cmp_ngt_f64_e64 s1, 0xc090cc00, v[69:70]
	s_delay_alu instid0(VALU_DEP_3) | instskip(NEXT) | instid1(VALU_DEP_1)
	v_fma_f64 v[99:100], v[97:98], v[99:100], 1.0
	v_fma_f64 v[75:76], v[97:98], v[99:100], 1.0
	s_delay_alu instid0(VALU_DEP_1) | instskip(NEXT) | instid1(VALU_DEP_1)
	v_ldexp_f64 v[75:76], v[75:76], v95
	v_cndmask_b32_e64 v76, 0x7ff00000, v76, s0
	s_and_b32 s0, s1, s0
	s_delay_alu instid0(VALU_DEP_2) | instid1(SALU_CYCLE_1)
	v_cndmask_b32_e64 v69, 0, v75, s0
	s_mov_b32 s0, 0x55555555
	s_delay_alu instid0(VALU_DEP_2) | instskip(SKIP_1) | instid1(VALU_DEP_1)
	v_cndmask_b32_e64 v70, 0, v76, s1
	s_mov_b32 s1, 0x3fe55555
	v_add_f64 v[75:76], v[69:70], 1.0
	s_delay_alu instid0(VALU_DEP_1) | instskip(SKIP_2) | instid1(VALU_DEP_3)
	v_frexp_mant_f64_e32 v[97:98], v[75:76]
	v_frexp_exp_i32_f64_e32 v95, v[75:76]
	v_add_f64 v[99:100], v[75:76], -1.0
	v_cmp_gt_f64_e64 s0, s[0:1], v[97:98]
	s_delay_alu instid0(VALU_DEP_2) | instskip(SKIP_1) | instid1(VALU_DEP_3)
	v_add_f64 v[97:98], v[99:100], -v[75:76]
	v_add_f64 v[99:100], v[69:70], -v[99:100]
	v_subrev_co_ci_u32_e64 v95, s0, 0, v95, s0
	s_delay_alu instid0(VALU_DEP_3) | instskip(SKIP_1) | instid1(VALU_DEP_2)
	v_add_f64 v[97:98], v[97:98], 1.0
	s_mov_b32 s0, 0x55555780
	v_sub_nc_u32_e32 v103, 0, v95
	s_delay_alu instid0(VALU_DEP_1) | instskip(NEXT) | instid1(VALU_DEP_3)
	v_ldexp_f64 v[75:76], v[75:76], v103
	v_add_f64 v[97:98], v[99:100], v[97:98]
	s_delay_alu instid0(VALU_DEP_2) | instskip(SKIP_1) | instid1(VALU_DEP_3)
	v_add_f64 v[101:102], v[75:76], 1.0
	v_add_f64 v[107:108], v[75:76], -1.0
	v_ldexp_f64 v[97:98], v[97:98], v103
	s_delay_alu instid0(VALU_DEP_3) | instskip(NEXT) | instid1(VALU_DEP_3)
	v_add_f64 v[99:100], v[101:102], -1.0
	v_add_f64 v[109:110], v[107:108], 1.0
	s_delay_alu instid0(VALU_DEP_2) | instskip(NEXT) | instid1(VALU_DEP_2)
	v_add_f64 v[99:100], v[75:76], -v[99:100]
	v_add_f64 v[75:76], v[75:76], -v[109:110]
	s_delay_alu instid0(VALU_DEP_2) | instskip(NEXT) | instid1(VALU_DEP_2)
	v_add_f64 v[99:100], v[97:98], v[99:100]
	v_add_f64 v[75:76], v[97:98], v[75:76]
	s_delay_alu instid0(VALU_DEP_2) | instskip(NEXT) | instid1(VALU_DEP_2)
	v_add_f64 v[103:104], v[101:102], v[99:100]
	v_add_f64 v[109:110], v[107:108], v[75:76]
	s_delay_alu instid0(VALU_DEP_2) | instskip(SKIP_1) | instid1(VALU_DEP_2)
	v_rcp_f64_e32 v[105:106], v[103:104]
	v_add_f64 v[101:102], v[103:104], -v[101:102]
	v_add_f64 v[107:108], v[109:110], -v[107:108]
	s_delay_alu instid0(VALU_DEP_2) | instskip(SKIP_3) | instid1(VALU_DEP_2)
	v_add_f64 v[99:100], v[99:100], -v[101:102]
	s_waitcnt_depctr 0xfff
	v_fma_f64 v[111:112], -v[103:104], v[105:106], 1.0
	v_add_f64 v[75:76], v[75:76], -v[107:108]
	v_fma_f64 v[105:106], v[111:112], v[105:106], v[105:106]
	s_delay_alu instid0(VALU_DEP_1) | instskip(NEXT) | instid1(VALU_DEP_1)
	v_fma_f64 v[97:98], -v[103:104], v[105:106], 1.0
	v_fma_f64 v[97:98], v[97:98], v[105:106], v[105:106]
	s_delay_alu instid0(VALU_DEP_1) | instskip(NEXT) | instid1(VALU_DEP_1)
	v_mul_f64 v[105:106], v[109:110], v[97:98]
	v_mul_f64 v[111:112], v[103:104], v[105:106]
	s_delay_alu instid0(VALU_DEP_1) | instskip(NEXT) | instid1(VALU_DEP_1)
	v_fma_f64 v[101:102], v[105:106], v[103:104], -v[111:112]
	v_fma_f64 v[101:102], v[105:106], v[99:100], v[101:102]
	s_delay_alu instid0(VALU_DEP_1) | instskip(NEXT) | instid1(VALU_DEP_1)
	v_add_f64 v[113:114], v[111:112], v[101:102]
	v_add_f64 v[115:116], v[109:110], -v[113:114]
	v_add_f64 v[107:108], v[113:114], -v[111:112]
	s_delay_alu instid0(VALU_DEP_2) | instskip(NEXT) | instid1(VALU_DEP_2)
	v_add_f64 v[109:110], v[109:110], -v[115:116]
	v_add_f64 v[101:102], v[107:108], -v[101:102]
	s_delay_alu instid0(VALU_DEP_2) | instskip(NEXT) | instid1(VALU_DEP_1)
	v_add_f64 v[109:110], v[109:110], -v[113:114]
	v_add_f64 v[75:76], v[75:76], v[109:110]
	s_delay_alu instid0(VALU_DEP_1) | instskip(NEXT) | instid1(VALU_DEP_1)
	v_add_f64 v[75:76], v[101:102], v[75:76]
	v_add_f64 v[101:102], v[115:116], v[75:76]
	s_delay_alu instid0(VALU_DEP_1) | instskip(SKIP_1) | instid1(VALU_DEP_2)
	v_mul_f64 v[107:108], v[97:98], v[101:102]
	v_add_f64 v[113:114], v[115:116], -v[101:102]
	v_mul_f64 v[109:110], v[103:104], v[107:108]
	s_delay_alu instid0(VALU_DEP_2) | instskip(NEXT) | instid1(VALU_DEP_2)
	v_add_f64 v[75:76], v[75:76], v[113:114]
	v_fma_f64 v[103:104], v[107:108], v[103:104], -v[109:110]
	s_delay_alu instid0(VALU_DEP_1) | instskip(NEXT) | instid1(VALU_DEP_1)
	v_fma_f64 v[99:100], v[107:108], v[99:100], v[103:104]
	v_add_f64 v[103:104], v[109:110], v[99:100]
	s_delay_alu instid0(VALU_DEP_1) | instskip(SKIP_1) | instid1(VALU_DEP_2)
	v_add_f64 v[111:112], v[101:102], -v[103:104]
	v_add_f64 v[109:110], v[103:104], -v[109:110]
	;; [unrolled: 1-line block ×3, first 2 shown]
	s_delay_alu instid0(VALU_DEP_2) | instskip(NEXT) | instid1(VALU_DEP_2)
	v_add_f64 v[99:100], v[109:110], -v[99:100]
	v_add_f64 v[101:102], v[101:102], -v[103:104]
	s_delay_alu instid0(VALU_DEP_1) | instskip(SKIP_1) | instid1(VALU_DEP_2)
	v_add_f64 v[75:76], v[75:76], v[101:102]
	v_add_f64 v[101:102], v[105:106], v[107:108]
	;; [unrolled: 1-line block ×3, first 2 shown]
	s_delay_alu instid0(VALU_DEP_2) | instskip(NEXT) | instid1(VALU_DEP_2)
	v_add_f64 v[99:100], v[101:102], -v[105:106]
	v_add_f64 v[75:76], v[111:112], v[75:76]
	s_delay_alu instid0(VALU_DEP_2) | instskip(NEXT) | instid1(VALU_DEP_2)
	v_add_f64 v[99:100], v[107:108], -v[99:100]
	v_mul_f64 v[75:76], v[97:98], v[75:76]
	s_delay_alu instid0(VALU_DEP_1) | instskip(NEXT) | instid1(VALU_DEP_1)
	v_add_f64 v[75:76], v[99:100], v[75:76]
	v_add_f64 v[97:98], v[101:102], v[75:76]
	s_delay_alu instid0(VALU_DEP_1) | instskip(NEXT) | instid1(VALU_DEP_1)
	v_mul_f64 v[99:100], v[97:98], v[97:98]
	v_fma_f64 v[103:104], v[99:100], s[44:45], s[42:43]
	s_mov_b32 s42, 0xd7f4df2e
	s_mov_b32 s43, 0x3fc7474d
	v_mul_f64 v[105:106], v[97:98], v[99:100]
	s_delay_alu instid0(VALU_DEP_2)
	v_fma_f64 v[103:104], v[99:100], v[103:104], s[42:43]
	s_mov_b32 s42, 0x16291751
	s_mov_b32 s43, 0x3fcc71c0
	s_delay_alu instid0(VALU_DEP_1) | instid1(SALU_CYCLE_1)
	v_fma_f64 v[103:104], v[99:100], v[103:104], s[42:43]
	s_mov_b32 s42, 0x9b27acf1
	s_mov_b32 s43, 0x3fd24924
	s_delay_alu instid0(VALU_DEP_1) | instid1(SALU_CYCLE_1)
	;; [unrolled: 4-line block ×3, first 2 shown]
	v_fma_f64 v[103:104], v[99:100], v[103:104], s[42:43]
	s_delay_alu instid0(VALU_DEP_1) | instskip(SKIP_3) | instid1(VALU_DEP_4)
	v_fma_f64 v[99:100], v[99:100], v[103:104], s[0:1]
	v_ldexp_f64 v[103:104], v[97:98], 1
	v_add_f64 v[97:98], v[97:98], -v[101:102]
	v_cmp_eq_f64_e64 s0, 0x7ff00000, v[69:70]
	v_mul_f64 v[99:100], v[105:106], v[99:100]
	v_cvt_f64_i32_e32 v[105:106], v95
	s_delay_alu instid0(VALU_DEP_4) | instskip(NEXT) | instid1(VALU_DEP_3)
	v_add_f64 v[75:76], v[75:76], -v[97:98]
	v_add_f64 v[101:102], v[103:104], v[99:100]
	s_delay_alu instid0(VALU_DEP_3) | instskip(NEXT) | instid1(VALU_DEP_3)
	v_mul_f64 v[107:108], v[105:106], s[36:37]
	v_ldexp_f64 v[75:76], v[75:76], 1
	s_delay_alu instid0(VALU_DEP_3) | instskip(NEXT) | instid1(VALU_DEP_3)
	v_add_f64 v[97:98], v[101:102], -v[103:104]
	v_fma_f64 v[103:104], v[105:106], s[36:37], -v[107:108]
	s_delay_alu instid0(VALU_DEP_2) | instskip(NEXT) | instid1(VALU_DEP_2)
	v_add_f64 v[97:98], v[99:100], -v[97:98]
	v_fma_f64 v[99:100], v[105:106], s[38:39], v[103:104]
	s_delay_alu instid0(VALU_DEP_2) | instskip(NEXT) | instid1(VALU_DEP_2)
	v_add_f64 v[75:76], v[75:76], v[97:98]
	v_add_f64 v[97:98], v[107:108], v[99:100]
	s_delay_alu instid0(VALU_DEP_2) | instskip(NEXT) | instid1(VALU_DEP_2)
	v_add_f64 v[103:104], v[101:102], v[75:76]
	v_add_f64 v[107:108], v[97:98], -v[107:108]
	s_delay_alu instid0(VALU_DEP_2) | instskip(SKIP_1) | instid1(VALU_DEP_3)
	v_add_f64 v[105:106], v[97:98], v[103:104]
	v_add_f64 v[101:102], v[103:104], -v[101:102]
	v_add_f64 v[99:100], v[99:100], -v[107:108]
	s_delay_alu instid0(VALU_DEP_3) | instskip(NEXT) | instid1(VALU_DEP_3)
	v_add_f64 v[109:110], v[105:106], -v[97:98]
	v_add_f64 v[75:76], v[75:76], -v[101:102]
	s_delay_alu instid0(VALU_DEP_2) | instskip(SKIP_1) | instid1(VALU_DEP_3)
	v_add_f64 v[111:112], v[105:106], -v[109:110]
	v_add_f64 v[101:102], v[103:104], -v[109:110]
	v_add_f64 v[103:104], v[99:100], v[75:76]
	s_delay_alu instid0(VALU_DEP_3) | instskip(NEXT) | instid1(VALU_DEP_1)
	v_add_f64 v[97:98], v[97:98], -v[111:112]
	v_add_f64 v[97:98], v[101:102], v[97:98]
	s_delay_alu instid0(VALU_DEP_3) | instskip(NEXT) | instid1(VALU_DEP_2)
	v_add_f64 v[101:102], v[103:104], -v[99:100]
	v_add_f64 v[97:98], v[103:104], v[97:98]
	s_delay_alu instid0(VALU_DEP_2) | instskip(SKIP_1) | instid1(VALU_DEP_3)
	v_add_f64 v[103:104], v[103:104], -v[101:102]
	v_add_f64 v[75:76], v[75:76], -v[101:102]
	v_add_f64 v[107:108], v[105:106], v[97:98]
	s_delay_alu instid0(VALU_DEP_3) | instskip(NEXT) | instid1(VALU_DEP_2)
	v_add_f64 v[99:100], v[99:100], -v[103:104]
	v_add_f64 v[101:102], v[107:108], -v[105:106]
	s_delay_alu instid0(VALU_DEP_2) | instskip(NEXT) | instid1(VALU_DEP_2)
	v_add_f64 v[75:76], v[75:76], v[99:100]
	v_add_f64 v[97:98], v[97:98], -v[101:102]
	s_delay_alu instid0(VALU_DEP_1) | instskip(NEXT) | instid1(VALU_DEP_1)
	v_add_f64 v[75:76], v[75:76], v[97:98]
	v_add_f64 v[75:76], v[107:108], v[75:76]
	s_delay_alu instid0(VALU_DEP_1) | instskip(NEXT) | instid1(VALU_DEP_2)
	v_cndmask_b32_e64 v75, v75, v69, s0
	v_cndmask_b32_e64 v76, v76, v70, s0
	v_cmp_ngt_f64_e64 s0, -1.0, v[69:70]
	s_delay_alu instid0(VALU_DEP_1) | instskip(SKIP_1) | instid1(VALU_DEP_1)
	v_cndmask_b32_e64 v76, 0x7ff80000, v76, s0
	v_cmp_nge_f64_e64 s0, -1.0, v[69:70]
	v_cndmask_b32_e64 v75, 0, v75, s0
	v_cmp_neq_f64_e64 s0, -1.0, v[69:70]
	s_delay_alu instid0(VALU_DEP_1) | instskip(NEXT) | instid1(VALU_DEP_1)
	v_cndmask_b32_e64 v76, 0xfff00000, v76, s0
	v_add_f64 v[69:70], v[73:74], v[75:76]
.LBB66_101:
	s_or_b32 exec_lo, exec_lo, s41
.LBB66_102:
	s_delay_alu instid0(SALU_CYCLE_1) | instskip(SKIP_2) | instid1(VALU_DEP_1)
	s_or_b32 exec_lo, exec_lo, s40
	v_add_nc_u32_e32 v73, -1, v96
	s_mov_b32 s40, exec_lo
	v_cmp_gt_i32_e64 s0, 0, v73
	s_delay_alu instid0(VALU_DEP_1) | instskip(NEXT) | instid1(VALU_DEP_1)
	v_cndmask_b32_e64 v73, v73, v96, s0
	v_lshlrev_b32_e32 v73, 2, v73
	ds_bpermute_b32 v69, v73, v69
	ds_bpermute_b32 v70, v73, v70
	v_cmpx_ne_u32_e32 0, v0
	s_cbranch_execz .LBB66_106
; %bb.103:
	v_cmp_eq_u32_e64 s0, 0, v96
	s_waitcnt lgkmcnt(0)
	s_delay_alu instid0(VALU_DEP_1) | instskip(SKIP_1) | instid1(VALU_DEP_1)
	v_cndmask_b32_e64 v70, v70, v72, s0
	v_cndmask_b32_e64 v69, v69, v71, s0
	v_max_f64 v[65:66], v[69:70], v[69:70]
	v_cmp_u_f64_e64 s0, v[69:70], v[69:70]
	s_delay_alu instid0(VALU_DEP_2) | instskip(SKIP_1) | instid1(VALU_DEP_2)
	v_min_f64 v[67:68], v[65:66], v[63:64]
	v_max_f64 v[63:64], v[65:66], v[63:64]
	v_cndmask_b32_e64 v0, v67, v69, s0
	s_delay_alu instid0(VALU_DEP_3) | instskip(NEXT) | instid1(VALU_DEP_3)
	v_cndmask_b32_e64 v65, v68, v70, s0
	v_cndmask_b32_e64 v66, v64, v70, s0
	s_delay_alu instid0(VALU_DEP_4) | instskip(NEXT) | instid1(VALU_DEP_4)
	v_cndmask_b32_e64 v67, v63, v69, s0
	v_cndmask_b32_e64 v63, v0, v1, s33
	s_delay_alu instid0(VALU_DEP_4) | instskip(NEXT) | instid1(VALU_DEP_4)
	v_cndmask_b32_e64 v64, v65, v2, s33
	v_cndmask_b32_e64 v2, v66, v2, s33
	s_delay_alu instid0(VALU_DEP_4) | instskip(NEXT) | instid1(VALU_DEP_3)
	v_cndmask_b32_e64 v1, v67, v1, s33
	v_cmp_class_f64_e64 s1, v[63:64], 0x1f8
	s_delay_alu instid0(VALU_DEP_2) | instskip(NEXT) | instid1(VALU_DEP_1)
	v_cmp_neq_f64_e64 s0, v[63:64], v[1:2]
	s_or_b32 s0, s0, s1
	s_delay_alu instid0(SALU_CYCLE_1)
	s_and_saveexec_b32 s33, s0
	s_cbranch_execz .LBB66_105
; %bb.104:
	v_add_f64 v[63:64], v[63:64], -v[1:2]
	s_mov_b32 s0, 0x652b82fe
	s_mov_b32 s1, 0x3ff71547
	;; [unrolled: 1-line block ×10, first 2 shown]
	s_delay_alu instid0(VALU_DEP_1) | instskip(SKIP_2) | instid1(VALU_DEP_1)
	v_mul_f64 v[65:66], v[63:64], s[0:1]
	s_mov_b32 s0, 0xfca7ab0c
	s_mov_b32 s1, 0x3e928af3
	v_rndne_f64_e32 v[65:66], v[65:66]
	s_delay_alu instid0(VALU_DEP_1) | instskip(SKIP_2) | instid1(VALU_DEP_2)
	v_fma_f64 v[67:68], v[65:66], s[36:37], v[63:64]
	v_cvt_i32_f64_e32 v0, v[65:66]
	s_mov_b32 s37, 0x3fe62e42
	v_fma_f64 v[67:68], v[65:66], s[38:39], v[67:68]
	s_mov_b32 s39, 0x3c7abc9e
	s_delay_alu instid0(VALU_DEP_1) | instskip(SKIP_4) | instid1(VALU_DEP_1)
	v_fma_f64 v[69:70], v[67:68], s[42:43], s[0:1]
	s_mov_b32 s0, 0x623fde64
	s_mov_b32 s1, 0x3ec71dee
	;; [unrolled: 1-line block ×4, first 2 shown]
	v_fma_f64 v[69:70], v[67:68], v[69:70], s[0:1]
	s_mov_b32 s0, 0x7c89e6b0
	s_mov_b32 s1, 0x3efa0199
	s_delay_alu instid0(VALU_DEP_1) | instid1(SALU_CYCLE_1)
	v_fma_f64 v[69:70], v[67:68], v[69:70], s[0:1]
	s_mov_b32 s0, 0x14761f6e
	s_mov_b32 s1, 0x3f2a01a0
	s_delay_alu instid0(VALU_DEP_1) | instid1(SALU_CYCLE_1)
	;; [unrolled: 4-line block ×7, first 2 shown]
	v_fma_f64 v[69:70], v[67:68], v[69:70], s[0:1]
	v_cmp_nlt_f64_e64 s0, 0x40900000, v[63:64]
	v_cmp_ngt_f64_e64 s1, 0xc090cc00, v[63:64]
	s_delay_alu instid0(VALU_DEP_3) | instskip(NEXT) | instid1(VALU_DEP_1)
	v_fma_f64 v[69:70], v[67:68], v[69:70], 1.0
	v_fma_f64 v[65:66], v[67:68], v[69:70], 1.0
	s_delay_alu instid0(VALU_DEP_1) | instskip(NEXT) | instid1(VALU_DEP_1)
	v_ldexp_f64 v[65:66], v[65:66], v0
	v_cndmask_b32_e64 v0, 0x7ff00000, v66, s0
	s_and_b32 s0, s1, s0
	s_delay_alu instid0(VALU_DEP_2) | instid1(SALU_CYCLE_1)
	v_cndmask_b32_e64 v63, 0, v65, s0
	s_mov_b32 s0, 0x55555555
	s_delay_alu instid0(VALU_DEP_2) | instskip(SKIP_1) | instid1(VALU_DEP_1)
	v_cndmask_b32_e64 v64, 0, v0, s1
	s_mov_b32 s1, 0x3fe55555
	v_add_f64 v[65:66], v[63:64], 1.0
	s_delay_alu instid0(VALU_DEP_1) | instskip(SKIP_2) | instid1(VALU_DEP_3)
	v_frexp_mant_f64_e32 v[67:68], v[65:66]
	v_frexp_exp_i32_f64_e32 v0, v[65:66]
	v_add_f64 v[69:70], v[65:66], -1.0
	v_cmp_gt_f64_e64 s0, s[0:1], v[67:68]
	s_delay_alu instid0(VALU_DEP_2) | instskip(SKIP_1) | instid1(VALU_DEP_3)
	v_add_f64 v[67:68], v[69:70], -v[65:66]
	v_add_f64 v[69:70], v[63:64], -v[69:70]
	v_subrev_co_ci_u32_e64 v0, s0, 0, v0, s0
	s_delay_alu instid0(VALU_DEP_3) | instskip(SKIP_1) | instid1(VALU_DEP_2)
	v_add_f64 v[67:68], v[67:68], 1.0
	s_mov_b32 s0, 0x55555780
	v_sub_nc_u32_e32 v73, 0, v0
	s_delay_alu instid0(VALU_DEP_1) | instskip(NEXT) | instid1(VALU_DEP_3)
	v_ldexp_f64 v[65:66], v[65:66], v73
	v_add_f64 v[67:68], v[69:70], v[67:68]
	s_delay_alu instid0(VALU_DEP_2) | instskip(SKIP_1) | instid1(VALU_DEP_3)
	v_add_f64 v[71:72], v[65:66], 1.0
	v_add_f64 v[95:96], v[65:66], -1.0
	v_ldexp_f64 v[67:68], v[67:68], v73
	s_delay_alu instid0(VALU_DEP_3) | instskip(NEXT) | instid1(VALU_DEP_3)
	v_add_f64 v[69:70], v[71:72], -1.0
	v_add_f64 v[97:98], v[95:96], 1.0
	s_delay_alu instid0(VALU_DEP_2) | instskip(NEXT) | instid1(VALU_DEP_2)
	v_add_f64 v[69:70], v[65:66], -v[69:70]
	v_add_f64 v[65:66], v[65:66], -v[97:98]
	s_delay_alu instid0(VALU_DEP_2) | instskip(NEXT) | instid1(VALU_DEP_2)
	v_add_f64 v[69:70], v[67:68], v[69:70]
	v_add_f64 v[65:66], v[67:68], v[65:66]
	s_delay_alu instid0(VALU_DEP_2) | instskip(NEXT) | instid1(VALU_DEP_2)
	v_add_f64 v[73:74], v[71:72], v[69:70]
	v_add_f64 v[97:98], v[95:96], v[65:66]
	s_delay_alu instid0(VALU_DEP_2) | instskip(SKIP_1) | instid1(VALU_DEP_2)
	v_rcp_f64_e32 v[75:76], v[73:74]
	v_add_f64 v[71:72], v[73:74], -v[71:72]
	v_add_f64 v[95:96], v[97:98], -v[95:96]
	s_delay_alu instid0(VALU_DEP_2) | instskip(SKIP_3) | instid1(VALU_DEP_2)
	v_add_f64 v[69:70], v[69:70], -v[71:72]
	s_waitcnt_depctr 0xfff
	v_fma_f64 v[99:100], -v[73:74], v[75:76], 1.0
	v_add_f64 v[65:66], v[65:66], -v[95:96]
	v_fma_f64 v[75:76], v[99:100], v[75:76], v[75:76]
	s_delay_alu instid0(VALU_DEP_1) | instskip(NEXT) | instid1(VALU_DEP_1)
	v_fma_f64 v[67:68], -v[73:74], v[75:76], 1.0
	v_fma_f64 v[67:68], v[67:68], v[75:76], v[75:76]
	s_delay_alu instid0(VALU_DEP_1) | instskip(NEXT) | instid1(VALU_DEP_1)
	v_mul_f64 v[75:76], v[97:98], v[67:68]
	v_mul_f64 v[99:100], v[73:74], v[75:76]
	s_delay_alu instid0(VALU_DEP_1) | instskip(NEXT) | instid1(VALU_DEP_1)
	v_fma_f64 v[71:72], v[75:76], v[73:74], -v[99:100]
	v_fma_f64 v[71:72], v[75:76], v[69:70], v[71:72]
	s_delay_alu instid0(VALU_DEP_1) | instskip(NEXT) | instid1(VALU_DEP_1)
	v_add_f64 v[101:102], v[99:100], v[71:72]
	v_add_f64 v[103:104], v[97:98], -v[101:102]
	v_add_f64 v[95:96], v[101:102], -v[99:100]
	s_delay_alu instid0(VALU_DEP_2) | instskip(NEXT) | instid1(VALU_DEP_2)
	v_add_f64 v[97:98], v[97:98], -v[103:104]
	v_add_f64 v[71:72], v[95:96], -v[71:72]
	s_delay_alu instid0(VALU_DEP_2) | instskip(NEXT) | instid1(VALU_DEP_1)
	v_add_f64 v[97:98], v[97:98], -v[101:102]
	v_add_f64 v[65:66], v[65:66], v[97:98]
	s_delay_alu instid0(VALU_DEP_1) | instskip(NEXT) | instid1(VALU_DEP_1)
	v_add_f64 v[65:66], v[71:72], v[65:66]
	v_add_f64 v[71:72], v[103:104], v[65:66]
	s_delay_alu instid0(VALU_DEP_1) | instskip(SKIP_1) | instid1(VALU_DEP_2)
	v_mul_f64 v[95:96], v[67:68], v[71:72]
	v_add_f64 v[101:102], v[103:104], -v[71:72]
	v_mul_f64 v[97:98], v[73:74], v[95:96]
	s_delay_alu instid0(VALU_DEP_2) | instskip(NEXT) | instid1(VALU_DEP_2)
	v_add_f64 v[65:66], v[65:66], v[101:102]
	v_fma_f64 v[73:74], v[95:96], v[73:74], -v[97:98]
	s_delay_alu instid0(VALU_DEP_1) | instskip(NEXT) | instid1(VALU_DEP_1)
	v_fma_f64 v[69:70], v[95:96], v[69:70], v[73:74]
	v_add_f64 v[73:74], v[97:98], v[69:70]
	s_delay_alu instid0(VALU_DEP_1) | instskip(SKIP_1) | instid1(VALU_DEP_2)
	v_add_f64 v[99:100], v[71:72], -v[73:74]
	v_add_f64 v[97:98], v[73:74], -v[97:98]
	;; [unrolled: 1-line block ×3, first 2 shown]
	s_delay_alu instid0(VALU_DEP_2) | instskip(NEXT) | instid1(VALU_DEP_2)
	v_add_f64 v[69:70], v[97:98], -v[69:70]
	v_add_f64 v[71:72], v[71:72], -v[73:74]
	s_delay_alu instid0(VALU_DEP_1) | instskip(SKIP_1) | instid1(VALU_DEP_2)
	v_add_f64 v[65:66], v[65:66], v[71:72]
	v_add_f64 v[71:72], v[75:76], v[95:96]
	;; [unrolled: 1-line block ×3, first 2 shown]
	s_delay_alu instid0(VALU_DEP_2) | instskip(NEXT) | instid1(VALU_DEP_2)
	v_add_f64 v[69:70], v[71:72], -v[75:76]
	v_add_f64 v[65:66], v[99:100], v[65:66]
	s_delay_alu instid0(VALU_DEP_2) | instskip(NEXT) | instid1(VALU_DEP_2)
	v_add_f64 v[69:70], v[95:96], -v[69:70]
	v_mul_f64 v[65:66], v[67:68], v[65:66]
	s_delay_alu instid0(VALU_DEP_1) | instskip(NEXT) | instid1(VALU_DEP_1)
	v_add_f64 v[65:66], v[69:70], v[65:66]
	v_add_f64 v[67:68], v[71:72], v[65:66]
	s_delay_alu instid0(VALU_DEP_1) | instskip(NEXT) | instid1(VALU_DEP_1)
	v_mul_f64 v[69:70], v[67:68], v[67:68]
	v_fma_f64 v[73:74], v[69:70], s[44:45], s[42:43]
	s_mov_b32 s42, 0xd7f4df2e
	s_mov_b32 s43, 0x3fc7474d
	v_mul_f64 v[75:76], v[67:68], v[69:70]
	s_delay_alu instid0(VALU_DEP_2)
	v_fma_f64 v[73:74], v[69:70], v[73:74], s[42:43]
	s_mov_b32 s42, 0x16291751
	s_mov_b32 s43, 0x3fcc71c0
	s_delay_alu instid0(VALU_DEP_1) | instid1(SALU_CYCLE_1)
	v_fma_f64 v[73:74], v[69:70], v[73:74], s[42:43]
	s_mov_b32 s42, 0x9b27acf1
	s_mov_b32 s43, 0x3fd24924
	s_delay_alu instid0(VALU_DEP_1) | instid1(SALU_CYCLE_1)
	;; [unrolled: 4-line block ×3, first 2 shown]
	v_fma_f64 v[73:74], v[69:70], v[73:74], s[42:43]
	s_delay_alu instid0(VALU_DEP_1) | instskip(SKIP_3) | instid1(VALU_DEP_4)
	v_fma_f64 v[69:70], v[69:70], v[73:74], s[0:1]
	v_ldexp_f64 v[73:74], v[67:68], 1
	v_add_f64 v[67:68], v[67:68], -v[71:72]
	v_cmp_eq_f64_e64 s0, 0x7ff00000, v[63:64]
	v_mul_f64 v[69:70], v[75:76], v[69:70]
	v_cvt_f64_i32_e32 v[75:76], v0
	s_delay_alu instid0(VALU_DEP_4) | instskip(NEXT) | instid1(VALU_DEP_3)
	v_add_f64 v[65:66], v[65:66], -v[67:68]
	v_add_f64 v[71:72], v[73:74], v[69:70]
	s_delay_alu instid0(VALU_DEP_3) | instskip(NEXT) | instid1(VALU_DEP_3)
	v_mul_f64 v[95:96], v[75:76], s[36:37]
	v_ldexp_f64 v[65:66], v[65:66], 1
	s_delay_alu instid0(VALU_DEP_3) | instskip(NEXT) | instid1(VALU_DEP_3)
	v_add_f64 v[67:68], v[71:72], -v[73:74]
	v_fma_f64 v[73:74], v[75:76], s[36:37], -v[95:96]
	s_delay_alu instid0(VALU_DEP_2) | instskip(NEXT) | instid1(VALU_DEP_2)
	v_add_f64 v[67:68], v[69:70], -v[67:68]
	v_fma_f64 v[69:70], v[75:76], s[38:39], v[73:74]
	s_delay_alu instid0(VALU_DEP_2) | instskip(NEXT) | instid1(VALU_DEP_2)
	v_add_f64 v[65:66], v[65:66], v[67:68]
	v_add_f64 v[67:68], v[95:96], v[69:70]
	s_delay_alu instid0(VALU_DEP_2) | instskip(NEXT) | instid1(VALU_DEP_2)
	v_add_f64 v[73:74], v[71:72], v[65:66]
	v_add_f64 v[95:96], v[67:68], -v[95:96]
	s_delay_alu instid0(VALU_DEP_2) | instskip(SKIP_1) | instid1(VALU_DEP_3)
	v_add_f64 v[75:76], v[67:68], v[73:74]
	v_add_f64 v[71:72], v[73:74], -v[71:72]
	v_add_f64 v[69:70], v[69:70], -v[95:96]
	s_delay_alu instid0(VALU_DEP_3) | instskip(NEXT) | instid1(VALU_DEP_3)
	v_add_f64 v[97:98], v[75:76], -v[67:68]
	v_add_f64 v[65:66], v[65:66], -v[71:72]
	s_delay_alu instid0(VALU_DEP_2) | instskip(SKIP_1) | instid1(VALU_DEP_3)
	v_add_f64 v[99:100], v[75:76], -v[97:98]
	v_add_f64 v[71:72], v[73:74], -v[97:98]
	v_add_f64 v[73:74], v[69:70], v[65:66]
	s_delay_alu instid0(VALU_DEP_3) | instskip(NEXT) | instid1(VALU_DEP_1)
	v_add_f64 v[67:68], v[67:68], -v[99:100]
	v_add_f64 v[67:68], v[71:72], v[67:68]
	s_delay_alu instid0(VALU_DEP_3) | instskip(NEXT) | instid1(VALU_DEP_2)
	v_add_f64 v[71:72], v[73:74], -v[69:70]
	v_add_f64 v[67:68], v[73:74], v[67:68]
	s_delay_alu instid0(VALU_DEP_2) | instskip(SKIP_1) | instid1(VALU_DEP_3)
	v_add_f64 v[73:74], v[73:74], -v[71:72]
	v_add_f64 v[65:66], v[65:66], -v[71:72]
	v_add_f64 v[95:96], v[75:76], v[67:68]
	s_delay_alu instid0(VALU_DEP_3) | instskip(NEXT) | instid1(VALU_DEP_2)
	v_add_f64 v[69:70], v[69:70], -v[73:74]
	v_add_f64 v[71:72], v[95:96], -v[75:76]
	s_delay_alu instid0(VALU_DEP_2) | instskip(NEXT) | instid1(VALU_DEP_2)
	v_add_f64 v[65:66], v[65:66], v[69:70]
	v_add_f64 v[67:68], v[67:68], -v[71:72]
	s_delay_alu instid0(VALU_DEP_1) | instskip(NEXT) | instid1(VALU_DEP_1)
	v_add_f64 v[65:66], v[65:66], v[67:68]
	v_add_f64 v[65:66], v[95:96], v[65:66]
	s_delay_alu instid0(VALU_DEP_1) | instskip(NEXT) | instid1(VALU_DEP_2)
	v_cndmask_b32_e64 v0, v65, v63, s0
	v_cndmask_b32_e64 v65, v66, v64, s0
	v_cmp_ngt_f64_e64 s0, -1.0, v[63:64]
	s_delay_alu instid0(VALU_DEP_1) | instskip(SKIP_1) | instid1(VALU_DEP_1)
	v_cndmask_b32_e64 v66, 0x7ff80000, v65, s0
	v_cmp_nge_f64_e64 s0, -1.0, v[63:64]
	v_cndmask_b32_e64 v65, 0, v0, s0
	v_cmp_neq_f64_e64 s0, -1.0, v[63:64]
	s_delay_alu instid0(VALU_DEP_1) | instskip(NEXT) | instid1(VALU_DEP_1)
	v_cndmask_b32_e64 v66, 0xfff00000, v66, s0
	v_add_f64 v[69:70], v[1:2], v[65:66]
.LBB66_105:
	s_or_b32 exec_lo, exec_lo, s33
	s_delay_alu instid0(VALU_DEP_1) | instskip(SKIP_1) | instid1(VALU_DEP_1)
	v_max_f64 v[0:1], v[69:70], v[69:70]
	;;#ASMSTART
	;;#ASMEND
	v_min_f64 v[65:66], v[0:1], v[35:36]
	v_max_f64 v[67:68], v[0:1], v[35:36]
	v_dual_mov_b32 v1, v69 :: v_dual_mov_b32 v2, v70
.LBB66_106:
	s_or_b32 exec_lo, exec_lo, s40
	s_delay_alu instid0(VALU_DEP_1) | instskip(NEXT) | instid1(VALU_DEP_1)
	v_cmp_u_f64_e64 s0, v[1:2], v[1:2]
	v_cndmask_b32_e64 v0, v65, v1, s0
	v_cndmask_b32_e64 v35, v66, v2, s0
	;; [unrolled: 1-line block ×4, first 2 shown]
	s_delay_alu instid0(VALU_DEP_4) | instskip(NEXT) | instid1(VALU_DEP_4)
	v_cndmask_b32_e64 v63, v0, v3, s17
	v_cndmask_b32_e64 v64, v35, v4, s17
	s_delay_alu instid0(VALU_DEP_4) | instskip(NEXT) | instid1(VALU_DEP_4)
	v_cndmask_b32_e64 v36, v36, v4, s17
	v_cndmask_b32_e64 v35, v65, v3, s17
	v_dual_mov_b32 v4, v2 :: v_dual_mov_b32 v3, v1
	s_delay_alu instid0(VALU_DEP_4) | instskip(NEXT) | instid1(VALU_DEP_3)
	v_cmp_class_f64_e64 s1, v[63:64], 0x1f8
	v_cmp_neq_f64_e64 s0, v[63:64], v[35:36]
	s_delay_alu instid0(VALU_DEP_1) | instskip(NEXT) | instid1(SALU_CYCLE_1)
	s_or_b32 s0, s0, s1
	s_and_saveexec_b32 s17, s0
	s_cbranch_execz .LBB66_108
; %bb.107:
	v_add_f64 v[3:4], v[63:64], -v[35:36]
	s_mov_b32 s0, 0x652b82fe
	s_mov_b32 s1, 0x3ff71547
	;; [unrolled: 1-line block ×10, first 2 shown]
	s_delay_alu instid0(VALU_DEP_1) | instskip(SKIP_2) | instid1(VALU_DEP_1)
	v_mul_f64 v[63:64], v[3:4], s[0:1]
	s_mov_b32 s0, 0xfca7ab0c
	s_mov_b32 s1, 0x3e928af3
	v_rndne_f64_e32 v[63:64], v[63:64]
	s_delay_alu instid0(VALU_DEP_1) | instskip(SKIP_2) | instid1(VALU_DEP_2)
	v_fma_f64 v[65:66], v[63:64], s[36:37], v[3:4]
	v_cvt_i32_f64_e32 v0, v[63:64]
	s_mov_b32 s37, 0x3fe62e42
	v_fma_f64 v[65:66], v[63:64], s[38:39], v[65:66]
	s_mov_b32 s39, 0x3c7abc9e
	s_delay_alu instid0(VALU_DEP_1) | instskip(SKIP_4) | instid1(VALU_DEP_1)
	v_fma_f64 v[67:68], v[65:66], s[40:41], s[0:1]
	s_mov_b32 s0, 0x623fde64
	s_mov_b32 s1, 0x3ec71dee
	;; [unrolled: 1-line block ×4, first 2 shown]
	v_fma_f64 v[67:68], v[65:66], v[67:68], s[0:1]
	s_mov_b32 s0, 0x7c89e6b0
	s_mov_b32 s1, 0x3efa0199
	s_delay_alu instid0(VALU_DEP_1) | instid1(SALU_CYCLE_1)
	v_fma_f64 v[67:68], v[65:66], v[67:68], s[0:1]
	s_mov_b32 s0, 0x14761f6e
	s_mov_b32 s1, 0x3f2a01a0
	s_delay_alu instid0(VALU_DEP_1) | instid1(SALU_CYCLE_1)
	;; [unrolled: 4-line block ×7, first 2 shown]
	v_fma_f64 v[67:68], v[65:66], v[67:68], s[0:1]
	v_cmp_nlt_f64_e64 s0, 0x40900000, v[3:4]
	v_cmp_ngt_f64_e64 s1, 0xc090cc00, v[3:4]
	s_delay_alu instid0(VALU_DEP_3) | instskip(NEXT) | instid1(VALU_DEP_1)
	v_fma_f64 v[67:68], v[65:66], v[67:68], 1.0
	v_fma_f64 v[63:64], v[65:66], v[67:68], 1.0
	s_delay_alu instid0(VALU_DEP_1) | instskip(NEXT) | instid1(VALU_DEP_1)
	v_ldexp_f64 v[63:64], v[63:64], v0
	v_cndmask_b32_e64 v0, 0x7ff00000, v64, s0
	s_and_b32 s0, s1, s0
	s_delay_alu instid0(VALU_DEP_2) | instid1(SALU_CYCLE_1)
	v_cndmask_b32_e64 v3, 0, v63, s0
	s_mov_b32 s0, 0x55555555
	s_delay_alu instid0(VALU_DEP_2) | instskip(SKIP_1) | instid1(VALU_DEP_1)
	v_cndmask_b32_e64 v4, 0, v0, s1
	s_mov_b32 s1, 0x3fe55555
	v_add_f64 v[63:64], v[3:4], 1.0
	s_delay_alu instid0(VALU_DEP_1) | instskip(SKIP_2) | instid1(VALU_DEP_3)
	v_frexp_mant_f64_e32 v[65:66], v[63:64]
	v_frexp_exp_i32_f64_e32 v0, v[63:64]
	v_add_f64 v[67:68], v[63:64], -1.0
	v_cmp_gt_f64_e64 s0, s[0:1], v[65:66]
	s_delay_alu instid0(VALU_DEP_2) | instskip(SKIP_1) | instid1(VALU_DEP_3)
	v_add_f64 v[65:66], v[67:68], -v[63:64]
	v_add_f64 v[67:68], v[3:4], -v[67:68]
	v_subrev_co_ci_u32_e64 v0, s0, 0, v0, s0
	s_delay_alu instid0(VALU_DEP_3) | instskip(SKIP_1) | instid1(VALU_DEP_2)
	v_add_f64 v[65:66], v[65:66], 1.0
	s_mov_b32 s0, 0x55555780
	v_sub_nc_u32_e32 v71, 0, v0
	s_delay_alu instid0(VALU_DEP_1) | instskip(NEXT) | instid1(VALU_DEP_3)
	v_ldexp_f64 v[63:64], v[63:64], v71
	v_add_f64 v[65:66], v[67:68], v[65:66]
	s_waitcnt lgkmcnt(0)
	s_delay_alu instid0(VALU_DEP_2) | instskip(SKIP_1) | instid1(VALU_DEP_3)
	v_add_f64 v[69:70], v[63:64], 1.0
	v_add_f64 v[75:76], v[63:64], -1.0
	v_ldexp_f64 v[65:66], v[65:66], v71
	s_delay_alu instid0(VALU_DEP_3) | instskip(NEXT) | instid1(VALU_DEP_3)
	v_add_f64 v[67:68], v[69:70], -1.0
	v_add_f64 v[95:96], v[75:76], 1.0
	s_delay_alu instid0(VALU_DEP_2) | instskip(NEXT) | instid1(VALU_DEP_2)
	v_add_f64 v[67:68], v[63:64], -v[67:68]
	v_add_f64 v[63:64], v[63:64], -v[95:96]
	s_delay_alu instid0(VALU_DEP_2) | instskip(NEXT) | instid1(VALU_DEP_2)
	v_add_f64 v[67:68], v[65:66], v[67:68]
	v_add_f64 v[63:64], v[65:66], v[63:64]
	s_delay_alu instid0(VALU_DEP_2) | instskip(NEXT) | instid1(VALU_DEP_2)
	v_add_f64 v[71:72], v[69:70], v[67:68]
	v_add_f64 v[95:96], v[75:76], v[63:64]
	s_delay_alu instid0(VALU_DEP_2) | instskip(SKIP_1) | instid1(VALU_DEP_2)
	v_rcp_f64_e32 v[73:74], v[71:72]
	v_add_f64 v[69:70], v[71:72], -v[69:70]
	v_add_f64 v[75:76], v[95:96], -v[75:76]
	s_delay_alu instid0(VALU_DEP_2) | instskip(SKIP_3) | instid1(VALU_DEP_2)
	v_add_f64 v[67:68], v[67:68], -v[69:70]
	s_waitcnt_depctr 0xfff
	v_fma_f64 v[97:98], -v[71:72], v[73:74], 1.0
	v_add_f64 v[63:64], v[63:64], -v[75:76]
	v_fma_f64 v[73:74], v[97:98], v[73:74], v[73:74]
	s_delay_alu instid0(VALU_DEP_1) | instskip(NEXT) | instid1(VALU_DEP_1)
	v_fma_f64 v[65:66], -v[71:72], v[73:74], 1.0
	v_fma_f64 v[65:66], v[65:66], v[73:74], v[73:74]
	s_delay_alu instid0(VALU_DEP_1) | instskip(NEXT) | instid1(VALU_DEP_1)
	v_mul_f64 v[73:74], v[95:96], v[65:66]
	v_mul_f64 v[97:98], v[71:72], v[73:74]
	s_delay_alu instid0(VALU_DEP_1) | instskip(NEXT) | instid1(VALU_DEP_1)
	v_fma_f64 v[69:70], v[73:74], v[71:72], -v[97:98]
	v_fma_f64 v[69:70], v[73:74], v[67:68], v[69:70]
	s_delay_alu instid0(VALU_DEP_1) | instskip(NEXT) | instid1(VALU_DEP_1)
	v_add_f64 v[99:100], v[97:98], v[69:70]
	v_add_f64 v[101:102], v[95:96], -v[99:100]
	v_add_f64 v[75:76], v[99:100], -v[97:98]
	s_delay_alu instid0(VALU_DEP_2) | instskip(NEXT) | instid1(VALU_DEP_2)
	v_add_f64 v[95:96], v[95:96], -v[101:102]
	v_add_f64 v[69:70], v[75:76], -v[69:70]
	s_delay_alu instid0(VALU_DEP_2) | instskip(NEXT) | instid1(VALU_DEP_1)
	v_add_f64 v[95:96], v[95:96], -v[99:100]
	v_add_f64 v[63:64], v[63:64], v[95:96]
	s_delay_alu instid0(VALU_DEP_1) | instskip(NEXT) | instid1(VALU_DEP_1)
	v_add_f64 v[63:64], v[69:70], v[63:64]
	v_add_f64 v[69:70], v[101:102], v[63:64]
	s_delay_alu instid0(VALU_DEP_1) | instskip(SKIP_1) | instid1(VALU_DEP_2)
	v_mul_f64 v[75:76], v[65:66], v[69:70]
	v_add_f64 v[99:100], v[101:102], -v[69:70]
	v_mul_f64 v[95:96], v[71:72], v[75:76]
	s_delay_alu instid0(VALU_DEP_2) | instskip(NEXT) | instid1(VALU_DEP_2)
	v_add_f64 v[63:64], v[63:64], v[99:100]
	v_fma_f64 v[71:72], v[75:76], v[71:72], -v[95:96]
	s_delay_alu instid0(VALU_DEP_1) | instskip(NEXT) | instid1(VALU_DEP_1)
	v_fma_f64 v[67:68], v[75:76], v[67:68], v[71:72]
	v_add_f64 v[71:72], v[95:96], v[67:68]
	s_delay_alu instid0(VALU_DEP_1) | instskip(SKIP_1) | instid1(VALU_DEP_2)
	v_add_f64 v[97:98], v[69:70], -v[71:72]
	v_add_f64 v[95:96], v[71:72], -v[95:96]
	;; [unrolled: 1-line block ×3, first 2 shown]
	s_delay_alu instid0(VALU_DEP_2) | instskip(NEXT) | instid1(VALU_DEP_2)
	v_add_f64 v[67:68], v[95:96], -v[67:68]
	v_add_f64 v[69:70], v[69:70], -v[71:72]
	s_delay_alu instid0(VALU_DEP_1) | instskip(SKIP_1) | instid1(VALU_DEP_2)
	v_add_f64 v[63:64], v[63:64], v[69:70]
	v_add_f64 v[69:70], v[73:74], v[75:76]
	;; [unrolled: 1-line block ×3, first 2 shown]
	s_delay_alu instid0(VALU_DEP_2) | instskip(NEXT) | instid1(VALU_DEP_2)
	v_add_f64 v[67:68], v[69:70], -v[73:74]
	v_add_f64 v[63:64], v[97:98], v[63:64]
	s_delay_alu instid0(VALU_DEP_2) | instskip(NEXT) | instid1(VALU_DEP_2)
	v_add_f64 v[67:68], v[75:76], -v[67:68]
	v_mul_f64 v[63:64], v[65:66], v[63:64]
	s_delay_alu instid0(VALU_DEP_1) | instskip(NEXT) | instid1(VALU_DEP_1)
	v_add_f64 v[63:64], v[67:68], v[63:64]
	v_add_f64 v[65:66], v[69:70], v[63:64]
	s_delay_alu instid0(VALU_DEP_1) | instskip(NEXT) | instid1(VALU_DEP_1)
	v_mul_f64 v[67:68], v[65:66], v[65:66]
	v_fma_f64 v[71:72], v[67:68], s[42:43], s[40:41]
	s_mov_b32 s40, 0xd7f4df2e
	s_mov_b32 s41, 0x3fc7474d
	v_mul_f64 v[73:74], v[65:66], v[67:68]
	s_delay_alu instid0(VALU_DEP_2)
	v_fma_f64 v[71:72], v[67:68], v[71:72], s[40:41]
	s_mov_b32 s40, 0x16291751
	s_mov_b32 s41, 0x3fcc71c0
	s_delay_alu instid0(VALU_DEP_1) | instid1(SALU_CYCLE_1)
	v_fma_f64 v[71:72], v[67:68], v[71:72], s[40:41]
	s_mov_b32 s40, 0x9b27acf1
	s_mov_b32 s41, 0x3fd24924
	s_delay_alu instid0(VALU_DEP_1) | instid1(SALU_CYCLE_1)
	;; [unrolled: 4-line block ×3, first 2 shown]
	v_fma_f64 v[71:72], v[67:68], v[71:72], s[40:41]
	s_delay_alu instid0(VALU_DEP_1) | instskip(SKIP_3) | instid1(VALU_DEP_4)
	v_fma_f64 v[67:68], v[67:68], v[71:72], s[0:1]
	v_ldexp_f64 v[71:72], v[65:66], 1
	v_add_f64 v[65:66], v[65:66], -v[69:70]
	v_cmp_eq_f64_e64 s0, 0x7ff00000, v[3:4]
	v_mul_f64 v[67:68], v[73:74], v[67:68]
	v_cvt_f64_i32_e32 v[73:74], v0
	s_delay_alu instid0(VALU_DEP_4) | instskip(NEXT) | instid1(VALU_DEP_3)
	v_add_f64 v[63:64], v[63:64], -v[65:66]
	v_add_f64 v[69:70], v[71:72], v[67:68]
	s_delay_alu instid0(VALU_DEP_3) | instskip(NEXT) | instid1(VALU_DEP_3)
	v_mul_f64 v[75:76], v[73:74], s[36:37]
	v_ldexp_f64 v[63:64], v[63:64], 1
	s_delay_alu instid0(VALU_DEP_3) | instskip(NEXT) | instid1(VALU_DEP_3)
	v_add_f64 v[65:66], v[69:70], -v[71:72]
	v_fma_f64 v[71:72], v[73:74], s[36:37], -v[75:76]
	s_delay_alu instid0(VALU_DEP_2) | instskip(NEXT) | instid1(VALU_DEP_2)
	v_add_f64 v[65:66], v[67:68], -v[65:66]
	v_fma_f64 v[67:68], v[73:74], s[38:39], v[71:72]
	s_delay_alu instid0(VALU_DEP_2) | instskip(NEXT) | instid1(VALU_DEP_2)
	v_add_f64 v[63:64], v[63:64], v[65:66]
	v_add_f64 v[65:66], v[75:76], v[67:68]
	s_delay_alu instid0(VALU_DEP_2) | instskip(NEXT) | instid1(VALU_DEP_2)
	v_add_f64 v[71:72], v[69:70], v[63:64]
	v_add_f64 v[75:76], v[65:66], -v[75:76]
	s_delay_alu instid0(VALU_DEP_2) | instskip(SKIP_1) | instid1(VALU_DEP_3)
	v_add_f64 v[73:74], v[65:66], v[71:72]
	v_add_f64 v[69:70], v[71:72], -v[69:70]
	v_add_f64 v[67:68], v[67:68], -v[75:76]
	s_delay_alu instid0(VALU_DEP_3) | instskip(NEXT) | instid1(VALU_DEP_3)
	v_add_f64 v[95:96], v[73:74], -v[65:66]
	v_add_f64 v[63:64], v[63:64], -v[69:70]
	s_delay_alu instid0(VALU_DEP_2) | instskip(SKIP_1) | instid1(VALU_DEP_3)
	v_add_f64 v[97:98], v[73:74], -v[95:96]
	v_add_f64 v[69:70], v[71:72], -v[95:96]
	v_add_f64 v[71:72], v[67:68], v[63:64]
	s_delay_alu instid0(VALU_DEP_3) | instskip(NEXT) | instid1(VALU_DEP_1)
	v_add_f64 v[65:66], v[65:66], -v[97:98]
	v_add_f64 v[65:66], v[69:70], v[65:66]
	s_delay_alu instid0(VALU_DEP_3) | instskip(NEXT) | instid1(VALU_DEP_2)
	v_add_f64 v[69:70], v[71:72], -v[67:68]
	v_add_f64 v[65:66], v[71:72], v[65:66]
	s_delay_alu instid0(VALU_DEP_2) | instskip(SKIP_1) | instid1(VALU_DEP_3)
	v_add_f64 v[71:72], v[71:72], -v[69:70]
	v_add_f64 v[63:64], v[63:64], -v[69:70]
	v_add_f64 v[75:76], v[73:74], v[65:66]
	s_delay_alu instid0(VALU_DEP_3) | instskip(NEXT) | instid1(VALU_DEP_2)
	v_add_f64 v[67:68], v[67:68], -v[71:72]
	v_add_f64 v[69:70], v[75:76], -v[73:74]
	s_delay_alu instid0(VALU_DEP_2) | instskip(NEXT) | instid1(VALU_DEP_2)
	v_add_f64 v[63:64], v[63:64], v[67:68]
	v_add_f64 v[65:66], v[65:66], -v[69:70]
	s_delay_alu instid0(VALU_DEP_1) | instskip(NEXT) | instid1(VALU_DEP_1)
	v_add_f64 v[63:64], v[63:64], v[65:66]
	v_add_f64 v[63:64], v[75:76], v[63:64]
	s_delay_alu instid0(VALU_DEP_1) | instskip(NEXT) | instid1(VALU_DEP_2)
	v_cndmask_b32_e64 v0, v63, v3, s0
	v_cndmask_b32_e64 v63, v64, v4, s0
	v_cmp_ngt_f64_e64 s0, -1.0, v[3:4]
	s_delay_alu instid0(VALU_DEP_1) | instskip(SKIP_1) | instid1(VALU_DEP_1)
	v_cndmask_b32_e64 v64, 0x7ff80000, v63, s0
	v_cmp_nge_f64_e64 s0, -1.0, v[3:4]
	v_cndmask_b32_e64 v63, 0, v0, s0
	v_cmp_neq_f64_e64 s0, -1.0, v[3:4]
	s_delay_alu instid0(VALU_DEP_1) | instskip(NEXT) | instid1(VALU_DEP_1)
	v_cndmask_b32_e64 v64, 0xfff00000, v64, s0
	v_add_f64 v[3:4], v[35:36], v[63:64]
.LBB66_108:
	s_or_b32 exec_lo, exec_lo, s17
	s_delay_alu instid0(VALU_DEP_1) | instskip(SKIP_1) | instid1(VALU_DEP_2)
	v_max_f64 v[35:36], v[3:4], v[3:4]
	v_cmp_u_f64_e64 s0, v[3:4], v[3:4]
	v_min_f64 v[63:64], v[35:36], v[33:34]
	v_max_f64 v[33:34], v[35:36], v[33:34]
	s_delay_alu instid0(VALU_DEP_2) | instskip(NEXT) | instid1(VALU_DEP_3)
	v_cndmask_b32_e64 v0, v63, v3, s0
	v_cndmask_b32_e64 v35, v64, v4, s0
	s_delay_alu instid0(VALU_DEP_3) | instskip(NEXT) | instid1(VALU_DEP_4)
	v_cndmask_b32_e64 v34, v34, v4, s0
	v_cndmask_b32_e64 v33, v33, v3, s0
	s_delay_alu instid0(VALU_DEP_3) | instskip(SKIP_1) | instid1(VALU_DEP_4)
	v_cndmask_b32_e64 v36, v35, v30, s18
	v_cndmask_b32_e64 v35, v0, v29, s18
	;; [unrolled: 1-line block ×3, first 2 shown]
	s_delay_alu instid0(VALU_DEP_4) | instskip(SKIP_1) | instid1(VALU_DEP_4)
	v_cndmask_b32_e64 v33, v33, v29, s18
	v_dual_mov_b32 v30, v4 :: v_dual_mov_b32 v29, v3
	v_cmp_class_f64_e64 s1, v[35:36], 0x1f8
	s_delay_alu instid0(VALU_DEP_3) | instskip(NEXT) | instid1(VALU_DEP_1)
	v_cmp_neq_f64_e64 s0, v[35:36], v[33:34]
	s_or_b32 s0, s0, s1
	s_delay_alu instid0(SALU_CYCLE_1)
	s_and_saveexec_b32 s17, s0
	s_cbranch_execz .LBB66_110
; %bb.109:
	v_add_f64 v[29:30], v[35:36], -v[33:34]
	s_mov_b32 s0, 0x652b82fe
	s_mov_b32 s1, 0x3ff71547
	;; [unrolled: 1-line block ×10, first 2 shown]
	s_delay_alu instid0(VALU_DEP_1) | instskip(SKIP_2) | instid1(VALU_DEP_1)
	v_mul_f64 v[35:36], v[29:30], s[0:1]
	s_mov_b32 s0, 0xfca7ab0c
	s_mov_b32 s1, 0x3e928af3
	v_rndne_f64_e32 v[35:36], v[35:36]
	s_delay_alu instid0(VALU_DEP_1) | instskip(SKIP_2) | instid1(VALU_DEP_2)
	v_fma_f64 v[63:64], v[35:36], s[36:37], v[29:30]
	v_cvt_i32_f64_e32 v0, v[35:36]
	s_mov_b32 s37, 0x3fe62e42
	v_fma_f64 v[63:64], v[35:36], s[38:39], v[63:64]
	s_mov_b32 s39, 0x3c7abc9e
	s_delay_alu instid0(VALU_DEP_1) | instskip(SKIP_4) | instid1(VALU_DEP_1)
	v_fma_f64 v[65:66], v[63:64], s[40:41], s[0:1]
	s_mov_b32 s0, 0x623fde64
	s_mov_b32 s1, 0x3ec71dee
	;; [unrolled: 1-line block ×4, first 2 shown]
	v_fma_f64 v[65:66], v[63:64], v[65:66], s[0:1]
	s_mov_b32 s0, 0x7c89e6b0
	s_mov_b32 s1, 0x3efa0199
	s_delay_alu instid0(VALU_DEP_1) | instid1(SALU_CYCLE_1)
	v_fma_f64 v[65:66], v[63:64], v[65:66], s[0:1]
	s_mov_b32 s0, 0x14761f6e
	s_mov_b32 s1, 0x3f2a01a0
	s_delay_alu instid0(VALU_DEP_1) | instid1(SALU_CYCLE_1)
	;; [unrolled: 4-line block ×7, first 2 shown]
	v_fma_f64 v[65:66], v[63:64], v[65:66], s[0:1]
	v_cmp_nlt_f64_e64 s0, 0x40900000, v[29:30]
	v_cmp_ngt_f64_e64 s1, 0xc090cc00, v[29:30]
	s_delay_alu instid0(VALU_DEP_3) | instskip(NEXT) | instid1(VALU_DEP_1)
	v_fma_f64 v[65:66], v[63:64], v[65:66], 1.0
	v_fma_f64 v[35:36], v[63:64], v[65:66], 1.0
	s_delay_alu instid0(VALU_DEP_1) | instskip(NEXT) | instid1(VALU_DEP_1)
	v_ldexp_f64 v[35:36], v[35:36], v0
	v_cndmask_b32_e64 v0, 0x7ff00000, v36, s0
	s_and_b32 s0, s1, s0
	s_delay_alu instid0(VALU_DEP_2) | instid1(SALU_CYCLE_1)
	v_cndmask_b32_e64 v29, 0, v35, s0
	s_mov_b32 s0, 0x55555555
	s_delay_alu instid0(VALU_DEP_2) | instskip(SKIP_1) | instid1(VALU_DEP_1)
	v_cndmask_b32_e64 v30, 0, v0, s1
	s_mov_b32 s1, 0x3fe55555
	v_add_f64 v[35:36], v[29:30], 1.0
	s_delay_alu instid0(VALU_DEP_1) | instskip(SKIP_2) | instid1(VALU_DEP_3)
	v_frexp_mant_f64_e32 v[63:64], v[35:36]
	v_frexp_exp_i32_f64_e32 v0, v[35:36]
	v_add_f64 v[65:66], v[35:36], -1.0
	v_cmp_gt_f64_e64 s0, s[0:1], v[63:64]
	s_delay_alu instid0(VALU_DEP_2) | instskip(SKIP_1) | instid1(VALU_DEP_3)
	v_add_f64 v[63:64], v[65:66], -v[35:36]
	v_add_f64 v[65:66], v[29:30], -v[65:66]
	v_subrev_co_ci_u32_e64 v0, s0, 0, v0, s0
	s_delay_alu instid0(VALU_DEP_3) | instskip(SKIP_2) | instid1(VALU_DEP_2)
	v_add_f64 v[63:64], v[63:64], 1.0
	s_mov_b32 s0, 0x55555780
	s_waitcnt lgkmcnt(1)
	v_sub_nc_u32_e32 v69, 0, v0
	s_delay_alu instid0(VALU_DEP_1) | instskip(NEXT) | instid1(VALU_DEP_3)
	v_ldexp_f64 v[35:36], v[35:36], v69
	v_add_f64 v[63:64], v[65:66], v[63:64]
	s_delay_alu instid0(VALU_DEP_2) | instskip(SKIP_1) | instid1(VALU_DEP_3)
	v_add_f64 v[67:68], v[35:36], 1.0
	v_add_f64 v[73:74], v[35:36], -1.0
	v_ldexp_f64 v[63:64], v[63:64], v69
	s_delay_alu instid0(VALU_DEP_3) | instskip(NEXT) | instid1(VALU_DEP_3)
	v_add_f64 v[65:66], v[67:68], -1.0
	v_add_f64 v[75:76], v[73:74], 1.0
	s_delay_alu instid0(VALU_DEP_2) | instskip(NEXT) | instid1(VALU_DEP_2)
	v_add_f64 v[65:66], v[35:36], -v[65:66]
	v_add_f64 v[35:36], v[35:36], -v[75:76]
	s_delay_alu instid0(VALU_DEP_2) | instskip(NEXT) | instid1(VALU_DEP_2)
	v_add_f64 v[65:66], v[63:64], v[65:66]
	v_add_f64 v[35:36], v[63:64], v[35:36]
	s_waitcnt lgkmcnt(0)
	s_delay_alu instid0(VALU_DEP_2) | instskip(NEXT) | instid1(VALU_DEP_2)
	v_add_f64 v[69:70], v[67:68], v[65:66]
	v_add_f64 v[75:76], v[73:74], v[35:36]
	s_delay_alu instid0(VALU_DEP_2) | instskip(SKIP_1) | instid1(VALU_DEP_2)
	v_rcp_f64_e32 v[71:72], v[69:70]
	v_add_f64 v[67:68], v[69:70], -v[67:68]
	v_add_f64 v[73:74], v[75:76], -v[73:74]
	s_delay_alu instid0(VALU_DEP_2) | instskip(SKIP_3) | instid1(VALU_DEP_2)
	v_add_f64 v[65:66], v[65:66], -v[67:68]
	s_waitcnt_depctr 0xfff
	v_fma_f64 v[95:96], -v[69:70], v[71:72], 1.0
	v_add_f64 v[35:36], v[35:36], -v[73:74]
	v_fma_f64 v[71:72], v[95:96], v[71:72], v[71:72]
	s_delay_alu instid0(VALU_DEP_1) | instskip(NEXT) | instid1(VALU_DEP_1)
	v_fma_f64 v[63:64], -v[69:70], v[71:72], 1.0
	v_fma_f64 v[63:64], v[63:64], v[71:72], v[71:72]
	s_delay_alu instid0(VALU_DEP_1) | instskip(NEXT) | instid1(VALU_DEP_1)
	v_mul_f64 v[71:72], v[75:76], v[63:64]
	v_mul_f64 v[95:96], v[69:70], v[71:72]
	s_delay_alu instid0(VALU_DEP_1) | instskip(NEXT) | instid1(VALU_DEP_1)
	v_fma_f64 v[67:68], v[71:72], v[69:70], -v[95:96]
	v_fma_f64 v[67:68], v[71:72], v[65:66], v[67:68]
	s_delay_alu instid0(VALU_DEP_1) | instskip(NEXT) | instid1(VALU_DEP_1)
	v_add_f64 v[97:98], v[95:96], v[67:68]
	v_add_f64 v[99:100], v[75:76], -v[97:98]
	v_add_f64 v[73:74], v[97:98], -v[95:96]
	s_delay_alu instid0(VALU_DEP_2) | instskip(NEXT) | instid1(VALU_DEP_2)
	v_add_f64 v[75:76], v[75:76], -v[99:100]
	v_add_f64 v[67:68], v[73:74], -v[67:68]
	s_delay_alu instid0(VALU_DEP_2) | instskip(NEXT) | instid1(VALU_DEP_1)
	v_add_f64 v[75:76], v[75:76], -v[97:98]
	v_add_f64 v[35:36], v[35:36], v[75:76]
	s_delay_alu instid0(VALU_DEP_1) | instskip(NEXT) | instid1(VALU_DEP_1)
	v_add_f64 v[35:36], v[67:68], v[35:36]
	v_add_f64 v[67:68], v[99:100], v[35:36]
	s_delay_alu instid0(VALU_DEP_1) | instskip(SKIP_1) | instid1(VALU_DEP_2)
	v_mul_f64 v[73:74], v[63:64], v[67:68]
	v_add_f64 v[97:98], v[99:100], -v[67:68]
	v_mul_f64 v[75:76], v[69:70], v[73:74]
	s_delay_alu instid0(VALU_DEP_2) | instskip(NEXT) | instid1(VALU_DEP_2)
	v_add_f64 v[35:36], v[35:36], v[97:98]
	v_fma_f64 v[69:70], v[73:74], v[69:70], -v[75:76]
	s_delay_alu instid0(VALU_DEP_1) | instskip(NEXT) | instid1(VALU_DEP_1)
	v_fma_f64 v[65:66], v[73:74], v[65:66], v[69:70]
	v_add_f64 v[69:70], v[75:76], v[65:66]
	s_delay_alu instid0(VALU_DEP_1) | instskip(SKIP_1) | instid1(VALU_DEP_2)
	v_add_f64 v[95:96], v[67:68], -v[69:70]
	v_add_f64 v[75:76], v[69:70], -v[75:76]
	;; [unrolled: 1-line block ×3, first 2 shown]
	s_delay_alu instid0(VALU_DEP_2) | instskip(NEXT) | instid1(VALU_DEP_2)
	v_add_f64 v[65:66], v[75:76], -v[65:66]
	v_add_f64 v[67:68], v[67:68], -v[69:70]
	s_delay_alu instid0(VALU_DEP_1) | instskip(SKIP_1) | instid1(VALU_DEP_2)
	v_add_f64 v[35:36], v[35:36], v[67:68]
	v_add_f64 v[67:68], v[71:72], v[73:74]
	;; [unrolled: 1-line block ×3, first 2 shown]
	s_delay_alu instid0(VALU_DEP_2) | instskip(NEXT) | instid1(VALU_DEP_2)
	v_add_f64 v[65:66], v[67:68], -v[71:72]
	v_add_f64 v[35:36], v[95:96], v[35:36]
	s_delay_alu instid0(VALU_DEP_2) | instskip(NEXT) | instid1(VALU_DEP_2)
	v_add_f64 v[65:66], v[73:74], -v[65:66]
	v_mul_f64 v[35:36], v[63:64], v[35:36]
	s_delay_alu instid0(VALU_DEP_1) | instskip(NEXT) | instid1(VALU_DEP_1)
	v_add_f64 v[35:36], v[65:66], v[35:36]
	v_add_f64 v[63:64], v[67:68], v[35:36]
	s_delay_alu instid0(VALU_DEP_1) | instskip(NEXT) | instid1(VALU_DEP_1)
	v_mul_f64 v[65:66], v[63:64], v[63:64]
	v_fma_f64 v[69:70], v[65:66], s[42:43], s[40:41]
	s_mov_b32 s40, 0xd7f4df2e
	s_mov_b32 s41, 0x3fc7474d
	v_mul_f64 v[71:72], v[63:64], v[65:66]
	s_delay_alu instid0(VALU_DEP_2)
	v_fma_f64 v[69:70], v[65:66], v[69:70], s[40:41]
	s_mov_b32 s40, 0x16291751
	s_mov_b32 s41, 0x3fcc71c0
	s_delay_alu instid0(VALU_DEP_1) | instid1(SALU_CYCLE_1)
	v_fma_f64 v[69:70], v[65:66], v[69:70], s[40:41]
	s_mov_b32 s40, 0x9b27acf1
	s_mov_b32 s41, 0x3fd24924
	s_delay_alu instid0(VALU_DEP_1) | instid1(SALU_CYCLE_1)
	;; [unrolled: 4-line block ×3, first 2 shown]
	v_fma_f64 v[69:70], v[65:66], v[69:70], s[40:41]
	s_delay_alu instid0(VALU_DEP_1) | instskip(SKIP_3) | instid1(VALU_DEP_4)
	v_fma_f64 v[65:66], v[65:66], v[69:70], s[0:1]
	v_ldexp_f64 v[69:70], v[63:64], 1
	v_add_f64 v[63:64], v[63:64], -v[67:68]
	v_cmp_eq_f64_e64 s0, 0x7ff00000, v[29:30]
	v_mul_f64 v[65:66], v[71:72], v[65:66]
	v_cvt_f64_i32_e32 v[71:72], v0
	s_delay_alu instid0(VALU_DEP_4) | instskip(NEXT) | instid1(VALU_DEP_3)
	v_add_f64 v[35:36], v[35:36], -v[63:64]
	v_add_f64 v[67:68], v[69:70], v[65:66]
	s_delay_alu instid0(VALU_DEP_3) | instskip(NEXT) | instid1(VALU_DEP_3)
	v_mul_f64 v[73:74], v[71:72], s[36:37]
	v_ldexp_f64 v[35:36], v[35:36], 1
	s_delay_alu instid0(VALU_DEP_3) | instskip(NEXT) | instid1(VALU_DEP_3)
	v_add_f64 v[63:64], v[67:68], -v[69:70]
	v_fma_f64 v[69:70], v[71:72], s[36:37], -v[73:74]
	s_delay_alu instid0(VALU_DEP_2) | instskip(NEXT) | instid1(VALU_DEP_2)
	v_add_f64 v[63:64], v[65:66], -v[63:64]
	v_fma_f64 v[65:66], v[71:72], s[38:39], v[69:70]
	s_delay_alu instid0(VALU_DEP_2) | instskip(NEXT) | instid1(VALU_DEP_2)
	v_add_f64 v[35:36], v[35:36], v[63:64]
	v_add_f64 v[63:64], v[73:74], v[65:66]
	s_delay_alu instid0(VALU_DEP_2) | instskip(NEXT) | instid1(VALU_DEP_2)
	v_add_f64 v[69:70], v[67:68], v[35:36]
	v_add_f64 v[73:74], v[63:64], -v[73:74]
	s_delay_alu instid0(VALU_DEP_2) | instskip(SKIP_1) | instid1(VALU_DEP_3)
	v_add_f64 v[71:72], v[63:64], v[69:70]
	v_add_f64 v[67:68], v[69:70], -v[67:68]
	v_add_f64 v[65:66], v[65:66], -v[73:74]
	s_delay_alu instid0(VALU_DEP_3) | instskip(NEXT) | instid1(VALU_DEP_3)
	v_add_f64 v[75:76], v[71:72], -v[63:64]
	v_add_f64 v[35:36], v[35:36], -v[67:68]
	s_delay_alu instid0(VALU_DEP_2) | instskip(SKIP_1) | instid1(VALU_DEP_3)
	v_add_f64 v[95:96], v[71:72], -v[75:76]
	v_add_f64 v[67:68], v[69:70], -v[75:76]
	v_add_f64 v[69:70], v[65:66], v[35:36]
	s_delay_alu instid0(VALU_DEP_3) | instskip(NEXT) | instid1(VALU_DEP_1)
	v_add_f64 v[63:64], v[63:64], -v[95:96]
	v_add_f64 v[63:64], v[67:68], v[63:64]
	s_delay_alu instid0(VALU_DEP_3) | instskip(NEXT) | instid1(VALU_DEP_2)
	v_add_f64 v[67:68], v[69:70], -v[65:66]
	v_add_f64 v[63:64], v[69:70], v[63:64]
	s_delay_alu instid0(VALU_DEP_2) | instskip(SKIP_1) | instid1(VALU_DEP_3)
	v_add_f64 v[69:70], v[69:70], -v[67:68]
	v_add_f64 v[35:36], v[35:36], -v[67:68]
	v_add_f64 v[73:74], v[71:72], v[63:64]
	s_delay_alu instid0(VALU_DEP_3) | instskip(NEXT) | instid1(VALU_DEP_2)
	v_add_f64 v[65:66], v[65:66], -v[69:70]
	v_add_f64 v[67:68], v[73:74], -v[71:72]
	s_delay_alu instid0(VALU_DEP_2) | instskip(NEXT) | instid1(VALU_DEP_2)
	v_add_f64 v[35:36], v[35:36], v[65:66]
	v_add_f64 v[63:64], v[63:64], -v[67:68]
	s_delay_alu instid0(VALU_DEP_1) | instskip(NEXT) | instid1(VALU_DEP_1)
	v_add_f64 v[35:36], v[35:36], v[63:64]
	v_add_f64 v[35:36], v[73:74], v[35:36]
	s_delay_alu instid0(VALU_DEP_1) | instskip(NEXT) | instid1(VALU_DEP_2)
	v_cndmask_b32_e64 v0, v35, v29, s0
	v_cndmask_b32_e64 v35, v36, v30, s0
	v_cmp_ngt_f64_e64 s0, -1.0, v[29:30]
	s_delay_alu instid0(VALU_DEP_1) | instskip(SKIP_1) | instid1(VALU_DEP_1)
	v_cndmask_b32_e64 v36, 0x7ff80000, v35, s0
	v_cmp_nge_f64_e64 s0, -1.0, v[29:30]
	v_cndmask_b32_e64 v35, 0, v0, s0
	v_cmp_neq_f64_e64 s0, -1.0, v[29:30]
	s_delay_alu instid0(VALU_DEP_1) | instskip(NEXT) | instid1(VALU_DEP_1)
	v_cndmask_b32_e64 v36, 0xfff00000, v36, s0
	v_add_f64 v[29:30], v[33:34], v[35:36]
.LBB66_110:
	s_or_b32 exec_lo, exec_lo, s17
	s_delay_alu instid0(VALU_DEP_1) | instskip(SKIP_1) | instid1(VALU_DEP_2)
	v_max_f64 v[33:34], v[29:30], v[29:30]
	v_cmp_u_f64_e64 s0, v[29:30], v[29:30]
	v_min_f64 v[35:36], v[33:34], v[37:38]
	v_max_f64 v[33:34], v[33:34], v[37:38]
	s_delay_alu instid0(VALU_DEP_2) | instskip(NEXT) | instid1(VALU_DEP_3)
	v_cndmask_b32_e64 v0, v35, v29, s0
	v_cndmask_b32_e64 v35, v36, v30, s0
	s_delay_alu instid0(VALU_DEP_3) | instskip(NEXT) | instid1(VALU_DEP_4)
	v_cndmask_b32_e64 v34, v34, v30, s0
	v_cndmask_b32_e64 v33, v33, v29, s0
	s_delay_alu instid0(VALU_DEP_3) | instskip(SKIP_1) | instid1(VALU_DEP_4)
	v_cndmask_b32_e64 v36, v35, v32, s19
	v_cndmask_b32_e64 v35, v0, v31, s19
	;; [unrolled: 1-line block ×3, first 2 shown]
	s_delay_alu instid0(VALU_DEP_4) | instskip(SKIP_1) | instid1(VALU_DEP_4)
	v_cndmask_b32_e64 v33, v33, v31, s19
	v_dual_mov_b32 v32, v30 :: v_dual_mov_b32 v31, v29
	v_cmp_class_f64_e64 s1, v[35:36], 0x1f8
	s_delay_alu instid0(VALU_DEP_3) | instskip(NEXT) | instid1(VALU_DEP_1)
	v_cmp_neq_f64_e64 s0, v[35:36], v[33:34]
	s_or_b32 s0, s0, s1
	s_delay_alu instid0(SALU_CYCLE_1)
	s_and_saveexec_b32 s17, s0
	s_cbranch_execz .LBB66_112
; %bb.111:
	v_add_f64 v[31:32], v[35:36], -v[33:34]
	s_mov_b32 s0, 0x652b82fe
	s_mov_b32 s1, 0x3ff71547
	s_mov_b32 s19, 0xbfe62e42
	s_mov_b32 s18, 0xfefa39ef
	s_mov_b32 s37, 0xbc7abc9e
	s_mov_b32 s36, 0x3b39803f
	s_mov_b32 s38, 0x6a5dcb37
	s_mov_b32 s39, 0x3e5ade15
	s_mov_b32 s40, 0xbf559e2b
	s_mov_b32 s41, 0x3fc3ab76
	s_delay_alu instid0(VALU_DEP_1) | instskip(SKIP_2) | instid1(VALU_DEP_1)
	v_mul_f64 v[35:36], v[31:32], s[0:1]
	s_mov_b32 s0, 0xfca7ab0c
	s_mov_b32 s1, 0x3e928af3
	v_rndne_f64_e32 v[35:36], v[35:36]
	s_delay_alu instid0(VALU_DEP_1) | instskip(SKIP_2) | instid1(VALU_DEP_2)
	v_fma_f64 v[37:38], v[35:36], s[18:19], v[31:32]
	v_cvt_i32_f64_e32 v0, v[35:36]
	s_mov_b32 s19, 0x3fe62e42
	v_fma_f64 v[37:38], v[35:36], s[36:37], v[37:38]
	s_mov_b32 s37, 0x3c7abc9e
	s_delay_alu instid0(VALU_DEP_1) | instskip(SKIP_4) | instid1(VALU_DEP_1)
	v_fma_f64 v[63:64], v[37:38], s[38:39], s[0:1]
	s_mov_b32 s0, 0x623fde64
	s_mov_b32 s1, 0x3ec71dee
	;; [unrolled: 1-line block ×4, first 2 shown]
	v_fma_f64 v[63:64], v[37:38], v[63:64], s[0:1]
	s_mov_b32 s0, 0x7c89e6b0
	s_mov_b32 s1, 0x3efa0199
	s_delay_alu instid0(VALU_DEP_1) | instid1(SALU_CYCLE_1)
	v_fma_f64 v[63:64], v[37:38], v[63:64], s[0:1]
	s_mov_b32 s0, 0x14761f6e
	s_mov_b32 s1, 0x3f2a01a0
	s_delay_alu instid0(VALU_DEP_1) | instid1(SALU_CYCLE_1)
	;; [unrolled: 4-line block ×7, first 2 shown]
	v_fma_f64 v[63:64], v[37:38], v[63:64], s[0:1]
	v_cmp_nlt_f64_e64 s0, 0x40900000, v[31:32]
	v_cmp_ngt_f64_e64 s1, 0xc090cc00, v[31:32]
	s_delay_alu instid0(VALU_DEP_3) | instskip(NEXT) | instid1(VALU_DEP_1)
	v_fma_f64 v[63:64], v[37:38], v[63:64], 1.0
	v_fma_f64 v[35:36], v[37:38], v[63:64], 1.0
	s_delay_alu instid0(VALU_DEP_1) | instskip(NEXT) | instid1(VALU_DEP_1)
	v_ldexp_f64 v[35:36], v[35:36], v0
	v_cndmask_b32_e64 v0, 0x7ff00000, v36, s0
	s_and_b32 s0, s1, s0
	s_delay_alu instid0(VALU_DEP_2) | instid1(SALU_CYCLE_1)
	v_cndmask_b32_e64 v31, 0, v35, s0
	s_mov_b32 s0, 0x55555555
	s_delay_alu instid0(VALU_DEP_2) | instskip(SKIP_1) | instid1(VALU_DEP_1)
	v_cndmask_b32_e64 v32, 0, v0, s1
	s_mov_b32 s1, 0x3fe55555
	v_add_f64 v[35:36], v[31:32], 1.0
	s_delay_alu instid0(VALU_DEP_1) | instskip(SKIP_2) | instid1(VALU_DEP_3)
	v_frexp_mant_f64_e32 v[37:38], v[35:36]
	v_frexp_exp_i32_f64_e32 v0, v[35:36]
	v_add_f64 v[63:64], v[35:36], -1.0
	v_cmp_gt_f64_e64 s0, s[0:1], v[37:38]
	s_delay_alu instid0(VALU_DEP_2) | instskip(SKIP_1) | instid1(VALU_DEP_3)
	v_add_f64 v[37:38], v[63:64], -v[35:36]
	v_add_f64 v[63:64], v[31:32], -v[63:64]
	v_subrev_co_ci_u32_e64 v0, s0, 0, v0, s0
	s_delay_alu instid0(VALU_DEP_3) | instskip(SKIP_1) | instid1(VALU_DEP_2)
	v_add_f64 v[37:38], v[37:38], 1.0
	s_mov_b32 s0, 0x55555780
	v_sub_nc_u32_e32 v67, 0, v0
	s_delay_alu instid0(VALU_DEP_1) | instskip(NEXT) | instid1(VALU_DEP_3)
	v_ldexp_f64 v[35:36], v[35:36], v67
	v_add_f64 v[37:38], v[63:64], v[37:38]
	s_delay_alu instid0(VALU_DEP_2) | instskip(SKIP_1) | instid1(VALU_DEP_3)
	v_add_f64 v[65:66], v[35:36], 1.0
	v_add_f64 v[71:72], v[35:36], -1.0
	v_ldexp_f64 v[37:38], v[37:38], v67
	s_delay_alu instid0(VALU_DEP_3) | instskip(NEXT) | instid1(VALU_DEP_3)
	v_add_f64 v[63:64], v[65:66], -1.0
	v_add_f64 v[73:74], v[71:72], 1.0
	s_delay_alu instid0(VALU_DEP_2) | instskip(NEXT) | instid1(VALU_DEP_2)
	v_add_f64 v[63:64], v[35:36], -v[63:64]
	v_add_f64 v[35:36], v[35:36], -v[73:74]
	s_delay_alu instid0(VALU_DEP_2) | instskip(NEXT) | instid1(VALU_DEP_2)
	v_add_f64 v[63:64], v[37:38], v[63:64]
	v_add_f64 v[35:36], v[37:38], v[35:36]
	s_delay_alu instid0(VALU_DEP_2) | instskip(NEXT) | instid1(VALU_DEP_2)
	v_add_f64 v[67:68], v[65:66], v[63:64]
	v_add_f64 v[73:74], v[71:72], v[35:36]
	s_waitcnt lgkmcnt(0)
	s_delay_alu instid0(VALU_DEP_2) | instskip(SKIP_1) | instid1(VALU_DEP_2)
	v_rcp_f64_e32 v[69:70], v[67:68]
	v_add_f64 v[65:66], v[67:68], -v[65:66]
	v_add_f64 v[71:72], v[73:74], -v[71:72]
	s_delay_alu instid0(VALU_DEP_2) | instskip(SKIP_3) | instid1(VALU_DEP_2)
	v_add_f64 v[63:64], v[63:64], -v[65:66]
	s_waitcnt_depctr 0xfff
	v_fma_f64 v[75:76], -v[67:68], v[69:70], 1.0
	v_add_f64 v[35:36], v[35:36], -v[71:72]
	v_fma_f64 v[69:70], v[75:76], v[69:70], v[69:70]
	s_delay_alu instid0(VALU_DEP_1) | instskip(NEXT) | instid1(VALU_DEP_1)
	v_fma_f64 v[37:38], -v[67:68], v[69:70], 1.0
	v_fma_f64 v[37:38], v[37:38], v[69:70], v[69:70]
	s_delay_alu instid0(VALU_DEP_1) | instskip(NEXT) | instid1(VALU_DEP_1)
	v_mul_f64 v[69:70], v[73:74], v[37:38]
	v_mul_f64 v[75:76], v[67:68], v[69:70]
	s_delay_alu instid0(VALU_DEP_1) | instskip(NEXT) | instid1(VALU_DEP_1)
	v_fma_f64 v[65:66], v[69:70], v[67:68], -v[75:76]
	v_fma_f64 v[65:66], v[69:70], v[63:64], v[65:66]
	s_delay_alu instid0(VALU_DEP_1) | instskip(NEXT) | instid1(VALU_DEP_1)
	v_add_f64 v[95:96], v[75:76], v[65:66]
	v_add_f64 v[97:98], v[73:74], -v[95:96]
	v_add_f64 v[71:72], v[95:96], -v[75:76]
	s_delay_alu instid0(VALU_DEP_2) | instskip(NEXT) | instid1(VALU_DEP_2)
	v_add_f64 v[73:74], v[73:74], -v[97:98]
	v_add_f64 v[65:66], v[71:72], -v[65:66]
	s_delay_alu instid0(VALU_DEP_2) | instskip(NEXT) | instid1(VALU_DEP_1)
	v_add_f64 v[73:74], v[73:74], -v[95:96]
	v_add_f64 v[35:36], v[35:36], v[73:74]
	s_delay_alu instid0(VALU_DEP_1) | instskip(NEXT) | instid1(VALU_DEP_1)
	v_add_f64 v[35:36], v[65:66], v[35:36]
	v_add_f64 v[65:66], v[97:98], v[35:36]
	s_delay_alu instid0(VALU_DEP_1) | instskip(SKIP_1) | instid1(VALU_DEP_2)
	v_mul_f64 v[71:72], v[37:38], v[65:66]
	v_add_f64 v[95:96], v[97:98], -v[65:66]
	v_mul_f64 v[73:74], v[67:68], v[71:72]
	s_delay_alu instid0(VALU_DEP_2) | instskip(NEXT) | instid1(VALU_DEP_2)
	v_add_f64 v[35:36], v[35:36], v[95:96]
	v_fma_f64 v[67:68], v[71:72], v[67:68], -v[73:74]
	s_delay_alu instid0(VALU_DEP_1) | instskip(NEXT) | instid1(VALU_DEP_1)
	v_fma_f64 v[63:64], v[71:72], v[63:64], v[67:68]
	v_add_f64 v[67:68], v[73:74], v[63:64]
	s_delay_alu instid0(VALU_DEP_1) | instskip(SKIP_1) | instid1(VALU_DEP_2)
	v_add_f64 v[75:76], v[65:66], -v[67:68]
	v_add_f64 v[73:74], v[67:68], -v[73:74]
	;; [unrolled: 1-line block ×3, first 2 shown]
	s_delay_alu instid0(VALU_DEP_2) | instskip(NEXT) | instid1(VALU_DEP_2)
	v_add_f64 v[63:64], v[73:74], -v[63:64]
	v_add_f64 v[65:66], v[65:66], -v[67:68]
	s_delay_alu instid0(VALU_DEP_1) | instskip(SKIP_1) | instid1(VALU_DEP_2)
	v_add_f64 v[35:36], v[35:36], v[65:66]
	v_add_f64 v[65:66], v[69:70], v[71:72]
	;; [unrolled: 1-line block ×3, first 2 shown]
	s_delay_alu instid0(VALU_DEP_2) | instskip(NEXT) | instid1(VALU_DEP_2)
	v_add_f64 v[63:64], v[65:66], -v[69:70]
	v_add_f64 v[35:36], v[75:76], v[35:36]
	s_delay_alu instid0(VALU_DEP_2) | instskip(NEXT) | instid1(VALU_DEP_2)
	v_add_f64 v[63:64], v[71:72], -v[63:64]
	v_mul_f64 v[35:36], v[37:38], v[35:36]
	s_delay_alu instid0(VALU_DEP_1) | instskip(NEXT) | instid1(VALU_DEP_1)
	v_add_f64 v[35:36], v[63:64], v[35:36]
	v_add_f64 v[37:38], v[65:66], v[35:36]
	s_delay_alu instid0(VALU_DEP_1) | instskip(NEXT) | instid1(VALU_DEP_1)
	v_mul_f64 v[63:64], v[37:38], v[37:38]
	v_fma_f64 v[67:68], v[63:64], s[40:41], s[38:39]
	s_mov_b32 s38, 0xd7f4df2e
	s_mov_b32 s39, 0x3fc7474d
	v_mul_f64 v[69:70], v[37:38], v[63:64]
	s_delay_alu instid0(VALU_DEP_2)
	v_fma_f64 v[67:68], v[63:64], v[67:68], s[38:39]
	s_mov_b32 s38, 0x16291751
	s_mov_b32 s39, 0x3fcc71c0
	s_delay_alu instid0(VALU_DEP_1) | instid1(SALU_CYCLE_1)
	v_fma_f64 v[67:68], v[63:64], v[67:68], s[38:39]
	s_mov_b32 s38, 0x9b27acf1
	s_mov_b32 s39, 0x3fd24924
	s_delay_alu instid0(VALU_DEP_1) | instid1(SALU_CYCLE_1)
	;; [unrolled: 4-line block ×3, first 2 shown]
	v_fma_f64 v[67:68], v[63:64], v[67:68], s[38:39]
	s_delay_alu instid0(VALU_DEP_1) | instskip(SKIP_3) | instid1(VALU_DEP_4)
	v_fma_f64 v[63:64], v[63:64], v[67:68], s[0:1]
	v_ldexp_f64 v[67:68], v[37:38], 1
	v_add_f64 v[37:38], v[37:38], -v[65:66]
	v_cmp_eq_f64_e64 s0, 0x7ff00000, v[31:32]
	v_mul_f64 v[63:64], v[69:70], v[63:64]
	v_cvt_f64_i32_e32 v[69:70], v0
	s_delay_alu instid0(VALU_DEP_4) | instskip(NEXT) | instid1(VALU_DEP_3)
	v_add_f64 v[35:36], v[35:36], -v[37:38]
	v_add_f64 v[65:66], v[67:68], v[63:64]
	s_delay_alu instid0(VALU_DEP_3) | instskip(NEXT) | instid1(VALU_DEP_3)
	v_mul_f64 v[71:72], v[69:70], s[18:19]
	v_ldexp_f64 v[35:36], v[35:36], 1
	s_delay_alu instid0(VALU_DEP_3) | instskip(NEXT) | instid1(VALU_DEP_3)
	v_add_f64 v[37:38], v[65:66], -v[67:68]
	v_fma_f64 v[67:68], v[69:70], s[18:19], -v[71:72]
	s_delay_alu instid0(VALU_DEP_2) | instskip(NEXT) | instid1(VALU_DEP_2)
	v_add_f64 v[37:38], v[63:64], -v[37:38]
	v_fma_f64 v[63:64], v[69:70], s[36:37], v[67:68]
	s_delay_alu instid0(VALU_DEP_2) | instskip(NEXT) | instid1(VALU_DEP_2)
	v_add_f64 v[35:36], v[35:36], v[37:38]
	v_add_f64 v[37:38], v[71:72], v[63:64]
	s_delay_alu instid0(VALU_DEP_2) | instskip(NEXT) | instid1(VALU_DEP_2)
	v_add_f64 v[67:68], v[65:66], v[35:36]
	v_add_f64 v[71:72], v[37:38], -v[71:72]
	s_delay_alu instid0(VALU_DEP_2) | instskip(SKIP_1) | instid1(VALU_DEP_3)
	v_add_f64 v[69:70], v[37:38], v[67:68]
	v_add_f64 v[65:66], v[67:68], -v[65:66]
	v_add_f64 v[63:64], v[63:64], -v[71:72]
	s_delay_alu instid0(VALU_DEP_3) | instskip(NEXT) | instid1(VALU_DEP_3)
	v_add_f64 v[73:74], v[69:70], -v[37:38]
	v_add_f64 v[35:36], v[35:36], -v[65:66]
	s_delay_alu instid0(VALU_DEP_2) | instskip(SKIP_1) | instid1(VALU_DEP_3)
	v_add_f64 v[75:76], v[69:70], -v[73:74]
	v_add_f64 v[65:66], v[67:68], -v[73:74]
	v_add_f64 v[67:68], v[63:64], v[35:36]
	s_delay_alu instid0(VALU_DEP_3) | instskip(NEXT) | instid1(VALU_DEP_1)
	v_add_f64 v[37:38], v[37:38], -v[75:76]
	v_add_f64 v[37:38], v[65:66], v[37:38]
	s_delay_alu instid0(VALU_DEP_3) | instskip(NEXT) | instid1(VALU_DEP_2)
	v_add_f64 v[65:66], v[67:68], -v[63:64]
	v_add_f64 v[37:38], v[67:68], v[37:38]
	s_delay_alu instid0(VALU_DEP_2) | instskip(SKIP_1) | instid1(VALU_DEP_3)
	v_add_f64 v[67:68], v[67:68], -v[65:66]
	v_add_f64 v[35:36], v[35:36], -v[65:66]
	v_add_f64 v[71:72], v[69:70], v[37:38]
	s_delay_alu instid0(VALU_DEP_3) | instskip(NEXT) | instid1(VALU_DEP_2)
	v_add_f64 v[63:64], v[63:64], -v[67:68]
	v_add_f64 v[65:66], v[71:72], -v[69:70]
	s_delay_alu instid0(VALU_DEP_2) | instskip(NEXT) | instid1(VALU_DEP_2)
	v_add_f64 v[35:36], v[35:36], v[63:64]
	v_add_f64 v[37:38], v[37:38], -v[65:66]
	s_delay_alu instid0(VALU_DEP_1) | instskip(NEXT) | instid1(VALU_DEP_1)
	v_add_f64 v[35:36], v[35:36], v[37:38]
	v_add_f64 v[35:36], v[71:72], v[35:36]
	s_delay_alu instid0(VALU_DEP_1) | instskip(NEXT) | instid1(VALU_DEP_2)
	v_cndmask_b32_e64 v0, v35, v31, s0
	v_cndmask_b32_e64 v35, v36, v32, s0
	v_cmp_ngt_f64_e64 s0, -1.0, v[31:32]
	s_delay_alu instid0(VALU_DEP_1) | instskip(SKIP_1) | instid1(VALU_DEP_1)
	v_cndmask_b32_e64 v36, 0x7ff80000, v35, s0
	v_cmp_nge_f64_e64 s0, -1.0, v[31:32]
	v_cndmask_b32_e64 v35, 0, v0, s0
	v_cmp_neq_f64_e64 s0, -1.0, v[31:32]
	s_delay_alu instid0(VALU_DEP_1) | instskip(NEXT) | instid1(VALU_DEP_1)
	v_cndmask_b32_e64 v36, 0xfff00000, v36, s0
	v_add_f64 v[31:32], v[33:34], v[35:36]
.LBB66_112:
	s_or_b32 exec_lo, exec_lo, s17
	s_delay_alu instid0(VALU_DEP_1) | instskip(SKIP_1) | instid1(VALU_DEP_2)
	v_max_f64 v[33:34], v[31:32], v[31:32]
	v_cmp_u_f64_e64 s0, v[31:32], v[31:32]
	v_min_f64 v[35:36], v[33:34], v[39:40]
	v_max_f64 v[33:34], v[33:34], v[39:40]
	s_delay_alu instid0(VALU_DEP_2) | instskip(NEXT) | instid1(VALU_DEP_3)
	v_cndmask_b32_e64 v0, v35, v31, s0
	v_cndmask_b32_e64 v35, v36, v32, s0
	s_delay_alu instid0(VALU_DEP_3) | instskip(NEXT) | instid1(VALU_DEP_4)
	v_cndmask_b32_e64 v34, v34, v32, s0
	v_cndmask_b32_e64 v33, v33, v31, s0
	s_delay_alu instid0(VALU_DEP_3) | instskip(SKIP_1) | instid1(VALU_DEP_4)
	v_cndmask_b32_e64 v36, v35, v26, s20
	v_cndmask_b32_e64 v35, v0, v25, s20
	;; [unrolled: 1-line block ×3, first 2 shown]
	s_delay_alu instid0(VALU_DEP_4) | instskip(SKIP_1) | instid1(VALU_DEP_4)
	v_cndmask_b32_e64 v33, v33, v25, s20
	v_dual_mov_b32 v25, v31 :: v_dual_mov_b32 v26, v32
	v_cmp_class_f64_e64 s1, v[35:36], 0x1f8
	s_delay_alu instid0(VALU_DEP_3) | instskip(NEXT) | instid1(VALU_DEP_1)
	v_cmp_neq_f64_e64 s0, v[35:36], v[33:34]
	s_or_b32 s0, s0, s1
	s_delay_alu instid0(SALU_CYCLE_1)
	s_and_saveexec_b32 s17, s0
	s_cbranch_execz .LBB66_114
; %bb.113:
	v_add_f64 v[25:26], v[35:36], -v[33:34]
	s_mov_b32 s0, 0x652b82fe
	s_mov_b32 s1, 0x3ff71547
	s_mov_b32 s19, 0xbfe62e42
	s_mov_b32 s18, 0xfefa39ef
	s_mov_b32 s37, 0xbc7abc9e
	s_mov_b32 s36, 0x3b39803f
	s_mov_b32 s38, 0x6a5dcb37
	s_mov_b32 s39, 0x3e5ade15
	s_mov_b32 s40, 0xbf559e2b
	s_mov_b32 s41, 0x3fc3ab76
	s_delay_alu instid0(VALU_DEP_1) | instskip(SKIP_2) | instid1(VALU_DEP_1)
	v_mul_f64 v[35:36], v[25:26], s[0:1]
	s_mov_b32 s0, 0xfca7ab0c
	s_mov_b32 s1, 0x3e928af3
	v_rndne_f64_e32 v[35:36], v[35:36]
	s_delay_alu instid0(VALU_DEP_1) | instskip(SKIP_2) | instid1(VALU_DEP_2)
	v_fma_f64 v[37:38], v[35:36], s[18:19], v[25:26]
	v_cvt_i32_f64_e32 v0, v[35:36]
	s_mov_b32 s19, 0x3fe62e42
	v_fma_f64 v[37:38], v[35:36], s[36:37], v[37:38]
	s_mov_b32 s37, 0x3c7abc9e
	s_delay_alu instid0(VALU_DEP_1) | instskip(SKIP_4) | instid1(VALU_DEP_1)
	v_fma_f64 v[39:40], v[37:38], s[38:39], s[0:1]
	s_mov_b32 s0, 0x623fde64
	s_mov_b32 s1, 0x3ec71dee
	;; [unrolled: 1-line block ×4, first 2 shown]
	v_fma_f64 v[39:40], v[37:38], v[39:40], s[0:1]
	s_mov_b32 s0, 0x7c89e6b0
	s_mov_b32 s1, 0x3efa0199
	s_delay_alu instid0(VALU_DEP_1) | instid1(SALU_CYCLE_1)
	v_fma_f64 v[39:40], v[37:38], v[39:40], s[0:1]
	s_mov_b32 s0, 0x14761f6e
	s_mov_b32 s1, 0x3f2a01a0
	s_delay_alu instid0(VALU_DEP_1) | instid1(SALU_CYCLE_1)
	;; [unrolled: 4-line block ×7, first 2 shown]
	v_fma_f64 v[39:40], v[37:38], v[39:40], s[0:1]
	v_cmp_nlt_f64_e64 s0, 0x40900000, v[25:26]
	v_cmp_ngt_f64_e64 s1, 0xc090cc00, v[25:26]
	s_delay_alu instid0(VALU_DEP_3) | instskip(NEXT) | instid1(VALU_DEP_1)
	v_fma_f64 v[39:40], v[37:38], v[39:40], 1.0
	v_fma_f64 v[35:36], v[37:38], v[39:40], 1.0
	s_delay_alu instid0(VALU_DEP_1) | instskip(NEXT) | instid1(VALU_DEP_1)
	v_ldexp_f64 v[35:36], v[35:36], v0
	v_cndmask_b32_e64 v0, 0x7ff00000, v36, s0
	s_and_b32 s0, s1, s0
	s_delay_alu instid0(VALU_DEP_2) | instid1(SALU_CYCLE_1)
	v_cndmask_b32_e64 v25, 0, v35, s0
	s_mov_b32 s0, 0x55555555
	s_delay_alu instid0(VALU_DEP_2) | instskip(SKIP_1) | instid1(VALU_DEP_1)
	v_cndmask_b32_e64 v26, 0, v0, s1
	s_mov_b32 s1, 0x3fe55555
	v_add_f64 v[35:36], v[25:26], 1.0
	s_delay_alu instid0(VALU_DEP_1) | instskip(SKIP_2) | instid1(VALU_DEP_3)
	v_frexp_mant_f64_e32 v[37:38], v[35:36]
	v_frexp_exp_i32_f64_e32 v0, v[35:36]
	v_add_f64 v[39:40], v[35:36], -1.0
	v_cmp_gt_f64_e64 s0, s[0:1], v[37:38]
	s_delay_alu instid0(VALU_DEP_2) | instskip(SKIP_1) | instid1(VALU_DEP_3)
	v_add_f64 v[37:38], v[39:40], -v[35:36]
	v_add_f64 v[39:40], v[25:26], -v[39:40]
	v_subrev_co_ci_u32_e64 v0, s0, 0, v0, s0
	s_delay_alu instid0(VALU_DEP_3) | instskip(SKIP_1) | instid1(VALU_DEP_2)
	v_add_f64 v[37:38], v[37:38], 1.0
	s_mov_b32 s0, 0x55555780
	v_sub_nc_u32_e32 v65, 0, v0
	s_delay_alu instid0(VALU_DEP_1) | instskip(NEXT) | instid1(VALU_DEP_3)
	v_ldexp_f64 v[35:36], v[35:36], v65
	v_add_f64 v[37:38], v[39:40], v[37:38]
	s_delay_alu instid0(VALU_DEP_2) | instskip(SKIP_2) | instid1(VALU_DEP_3)
	v_add_f64 v[63:64], v[35:36], 1.0
	s_waitcnt lgkmcnt(0)
	v_add_f64 v[69:70], v[35:36], -1.0
	v_ldexp_f64 v[37:38], v[37:38], v65
	s_delay_alu instid0(VALU_DEP_3) | instskip(NEXT) | instid1(VALU_DEP_3)
	v_add_f64 v[39:40], v[63:64], -1.0
	v_add_f64 v[71:72], v[69:70], 1.0
	s_delay_alu instid0(VALU_DEP_2) | instskip(NEXT) | instid1(VALU_DEP_2)
	v_add_f64 v[39:40], v[35:36], -v[39:40]
	v_add_f64 v[35:36], v[35:36], -v[71:72]
	s_delay_alu instid0(VALU_DEP_2) | instskip(NEXT) | instid1(VALU_DEP_2)
	v_add_f64 v[39:40], v[37:38], v[39:40]
	v_add_f64 v[35:36], v[37:38], v[35:36]
	s_delay_alu instid0(VALU_DEP_2) | instskip(NEXT) | instid1(VALU_DEP_2)
	v_add_f64 v[65:66], v[63:64], v[39:40]
	v_add_f64 v[71:72], v[69:70], v[35:36]
	s_delay_alu instid0(VALU_DEP_2) | instskip(SKIP_1) | instid1(VALU_DEP_2)
	v_rcp_f64_e32 v[67:68], v[65:66]
	v_add_f64 v[63:64], v[65:66], -v[63:64]
	v_add_f64 v[69:70], v[71:72], -v[69:70]
	s_delay_alu instid0(VALU_DEP_2) | instskip(SKIP_3) | instid1(VALU_DEP_2)
	v_add_f64 v[39:40], v[39:40], -v[63:64]
	s_waitcnt_depctr 0xfff
	v_fma_f64 v[73:74], -v[65:66], v[67:68], 1.0
	v_add_f64 v[35:36], v[35:36], -v[69:70]
	v_fma_f64 v[67:68], v[73:74], v[67:68], v[67:68]
	s_delay_alu instid0(VALU_DEP_1) | instskip(NEXT) | instid1(VALU_DEP_1)
	v_fma_f64 v[37:38], -v[65:66], v[67:68], 1.0
	v_fma_f64 v[37:38], v[37:38], v[67:68], v[67:68]
	s_delay_alu instid0(VALU_DEP_1) | instskip(NEXT) | instid1(VALU_DEP_1)
	v_mul_f64 v[67:68], v[71:72], v[37:38]
	v_mul_f64 v[73:74], v[65:66], v[67:68]
	s_delay_alu instid0(VALU_DEP_1) | instskip(NEXT) | instid1(VALU_DEP_1)
	v_fma_f64 v[63:64], v[67:68], v[65:66], -v[73:74]
	v_fma_f64 v[63:64], v[67:68], v[39:40], v[63:64]
	s_delay_alu instid0(VALU_DEP_1) | instskip(NEXT) | instid1(VALU_DEP_1)
	v_add_f64 v[75:76], v[73:74], v[63:64]
	v_add_f64 v[95:96], v[71:72], -v[75:76]
	v_add_f64 v[69:70], v[75:76], -v[73:74]
	s_delay_alu instid0(VALU_DEP_2) | instskip(NEXT) | instid1(VALU_DEP_2)
	v_add_f64 v[71:72], v[71:72], -v[95:96]
	v_add_f64 v[63:64], v[69:70], -v[63:64]
	s_delay_alu instid0(VALU_DEP_2) | instskip(NEXT) | instid1(VALU_DEP_1)
	v_add_f64 v[71:72], v[71:72], -v[75:76]
	v_add_f64 v[35:36], v[35:36], v[71:72]
	s_delay_alu instid0(VALU_DEP_1) | instskip(NEXT) | instid1(VALU_DEP_1)
	v_add_f64 v[35:36], v[63:64], v[35:36]
	v_add_f64 v[63:64], v[95:96], v[35:36]
	s_delay_alu instid0(VALU_DEP_1) | instskip(SKIP_1) | instid1(VALU_DEP_2)
	v_mul_f64 v[69:70], v[37:38], v[63:64]
	v_add_f64 v[75:76], v[95:96], -v[63:64]
	v_mul_f64 v[71:72], v[65:66], v[69:70]
	s_delay_alu instid0(VALU_DEP_2) | instskip(NEXT) | instid1(VALU_DEP_2)
	v_add_f64 v[35:36], v[35:36], v[75:76]
	v_fma_f64 v[65:66], v[69:70], v[65:66], -v[71:72]
	s_delay_alu instid0(VALU_DEP_1) | instskip(NEXT) | instid1(VALU_DEP_1)
	v_fma_f64 v[39:40], v[69:70], v[39:40], v[65:66]
	v_add_f64 v[65:66], v[71:72], v[39:40]
	s_delay_alu instid0(VALU_DEP_1) | instskip(SKIP_1) | instid1(VALU_DEP_2)
	v_add_f64 v[73:74], v[63:64], -v[65:66]
	v_add_f64 v[71:72], v[65:66], -v[71:72]
	;; [unrolled: 1-line block ×3, first 2 shown]
	s_delay_alu instid0(VALU_DEP_2) | instskip(NEXT) | instid1(VALU_DEP_2)
	v_add_f64 v[39:40], v[71:72], -v[39:40]
	v_add_f64 v[63:64], v[63:64], -v[65:66]
	s_delay_alu instid0(VALU_DEP_1) | instskip(SKIP_1) | instid1(VALU_DEP_2)
	v_add_f64 v[35:36], v[35:36], v[63:64]
	v_add_f64 v[63:64], v[67:68], v[69:70]
	;; [unrolled: 1-line block ×3, first 2 shown]
	s_delay_alu instid0(VALU_DEP_2) | instskip(NEXT) | instid1(VALU_DEP_2)
	v_add_f64 v[39:40], v[63:64], -v[67:68]
	v_add_f64 v[35:36], v[73:74], v[35:36]
	s_delay_alu instid0(VALU_DEP_2) | instskip(NEXT) | instid1(VALU_DEP_2)
	v_add_f64 v[39:40], v[69:70], -v[39:40]
	v_mul_f64 v[35:36], v[37:38], v[35:36]
	s_delay_alu instid0(VALU_DEP_1) | instskip(NEXT) | instid1(VALU_DEP_1)
	v_add_f64 v[35:36], v[39:40], v[35:36]
	v_add_f64 v[37:38], v[63:64], v[35:36]
	s_delay_alu instid0(VALU_DEP_1) | instskip(NEXT) | instid1(VALU_DEP_1)
	v_mul_f64 v[39:40], v[37:38], v[37:38]
	v_fma_f64 v[65:66], v[39:40], s[40:41], s[38:39]
	s_mov_b32 s38, 0xd7f4df2e
	s_mov_b32 s39, 0x3fc7474d
	v_mul_f64 v[67:68], v[37:38], v[39:40]
	s_delay_alu instid0(VALU_DEP_2)
	v_fma_f64 v[65:66], v[39:40], v[65:66], s[38:39]
	s_mov_b32 s38, 0x16291751
	s_mov_b32 s39, 0x3fcc71c0
	s_delay_alu instid0(VALU_DEP_1) | instid1(SALU_CYCLE_1)
	v_fma_f64 v[65:66], v[39:40], v[65:66], s[38:39]
	s_mov_b32 s38, 0x9b27acf1
	s_mov_b32 s39, 0x3fd24924
	s_delay_alu instid0(VALU_DEP_1) | instid1(SALU_CYCLE_1)
	;; [unrolled: 4-line block ×3, first 2 shown]
	v_fma_f64 v[65:66], v[39:40], v[65:66], s[38:39]
	s_delay_alu instid0(VALU_DEP_1) | instskip(SKIP_3) | instid1(VALU_DEP_4)
	v_fma_f64 v[39:40], v[39:40], v[65:66], s[0:1]
	v_ldexp_f64 v[65:66], v[37:38], 1
	v_add_f64 v[37:38], v[37:38], -v[63:64]
	v_cmp_eq_f64_e64 s0, 0x7ff00000, v[25:26]
	v_mul_f64 v[39:40], v[67:68], v[39:40]
	v_cvt_f64_i32_e32 v[67:68], v0
	s_delay_alu instid0(VALU_DEP_4) | instskip(NEXT) | instid1(VALU_DEP_3)
	v_add_f64 v[35:36], v[35:36], -v[37:38]
	v_add_f64 v[63:64], v[65:66], v[39:40]
	s_delay_alu instid0(VALU_DEP_3) | instskip(NEXT) | instid1(VALU_DEP_3)
	v_mul_f64 v[69:70], v[67:68], s[18:19]
	v_ldexp_f64 v[35:36], v[35:36], 1
	s_delay_alu instid0(VALU_DEP_3) | instskip(NEXT) | instid1(VALU_DEP_3)
	v_add_f64 v[37:38], v[63:64], -v[65:66]
	v_fma_f64 v[65:66], v[67:68], s[18:19], -v[69:70]
	s_delay_alu instid0(VALU_DEP_2) | instskip(NEXT) | instid1(VALU_DEP_2)
	v_add_f64 v[37:38], v[39:40], -v[37:38]
	v_fma_f64 v[39:40], v[67:68], s[36:37], v[65:66]
	s_delay_alu instid0(VALU_DEP_2) | instskip(NEXT) | instid1(VALU_DEP_2)
	v_add_f64 v[35:36], v[35:36], v[37:38]
	v_add_f64 v[37:38], v[69:70], v[39:40]
	s_delay_alu instid0(VALU_DEP_2) | instskip(NEXT) | instid1(VALU_DEP_2)
	v_add_f64 v[65:66], v[63:64], v[35:36]
	v_add_f64 v[69:70], v[37:38], -v[69:70]
	s_delay_alu instid0(VALU_DEP_2) | instskip(SKIP_1) | instid1(VALU_DEP_3)
	v_add_f64 v[67:68], v[37:38], v[65:66]
	v_add_f64 v[63:64], v[65:66], -v[63:64]
	v_add_f64 v[39:40], v[39:40], -v[69:70]
	s_delay_alu instid0(VALU_DEP_3) | instskip(NEXT) | instid1(VALU_DEP_3)
	v_add_f64 v[71:72], v[67:68], -v[37:38]
	v_add_f64 v[35:36], v[35:36], -v[63:64]
	s_delay_alu instid0(VALU_DEP_2) | instskip(SKIP_1) | instid1(VALU_DEP_3)
	v_add_f64 v[73:74], v[67:68], -v[71:72]
	v_add_f64 v[63:64], v[65:66], -v[71:72]
	v_add_f64 v[65:66], v[39:40], v[35:36]
	s_delay_alu instid0(VALU_DEP_3) | instskip(NEXT) | instid1(VALU_DEP_1)
	v_add_f64 v[37:38], v[37:38], -v[73:74]
	v_add_f64 v[37:38], v[63:64], v[37:38]
	s_delay_alu instid0(VALU_DEP_3) | instskip(NEXT) | instid1(VALU_DEP_2)
	v_add_f64 v[63:64], v[65:66], -v[39:40]
	v_add_f64 v[37:38], v[65:66], v[37:38]
	s_delay_alu instid0(VALU_DEP_2) | instskip(SKIP_1) | instid1(VALU_DEP_3)
	v_add_f64 v[65:66], v[65:66], -v[63:64]
	v_add_f64 v[35:36], v[35:36], -v[63:64]
	v_add_f64 v[69:70], v[67:68], v[37:38]
	s_delay_alu instid0(VALU_DEP_3) | instskip(NEXT) | instid1(VALU_DEP_2)
	v_add_f64 v[39:40], v[39:40], -v[65:66]
	v_add_f64 v[63:64], v[69:70], -v[67:68]
	s_delay_alu instid0(VALU_DEP_2) | instskip(NEXT) | instid1(VALU_DEP_2)
	v_add_f64 v[35:36], v[35:36], v[39:40]
	v_add_f64 v[37:38], v[37:38], -v[63:64]
	s_delay_alu instid0(VALU_DEP_1) | instskip(NEXT) | instid1(VALU_DEP_1)
	v_add_f64 v[35:36], v[35:36], v[37:38]
	v_add_f64 v[35:36], v[69:70], v[35:36]
	s_delay_alu instid0(VALU_DEP_1) | instskip(NEXT) | instid1(VALU_DEP_2)
	v_cndmask_b32_e64 v0, v35, v25, s0
	v_cndmask_b32_e64 v35, v36, v26, s0
	v_cmp_ngt_f64_e64 s0, -1.0, v[25:26]
	s_delay_alu instid0(VALU_DEP_1) | instskip(SKIP_1) | instid1(VALU_DEP_1)
	v_cndmask_b32_e64 v36, 0x7ff80000, v35, s0
	v_cmp_nge_f64_e64 s0, -1.0, v[25:26]
	v_cndmask_b32_e64 v35, 0, v0, s0
	v_cmp_neq_f64_e64 s0, -1.0, v[25:26]
	s_delay_alu instid0(VALU_DEP_1) | instskip(NEXT) | instid1(VALU_DEP_1)
	v_cndmask_b32_e64 v36, 0xfff00000, v36, s0
	v_add_f64 v[25:26], v[33:34], v[35:36]
.LBB66_114:
	s_or_b32 exec_lo, exec_lo, s17
	s_delay_alu instid0(VALU_DEP_1) | instskip(SKIP_1) | instid1(VALU_DEP_2)
	v_max_f64 v[33:34], v[25:26], v[25:26]
	v_cmp_u_f64_e64 s0, v[25:26], v[25:26]
	v_min_f64 v[35:36], v[33:34], v[41:42]
	v_max_f64 v[33:34], v[33:34], v[41:42]
	s_delay_alu instid0(VALU_DEP_2) | instskip(NEXT) | instid1(VALU_DEP_3)
	v_cndmask_b32_e64 v0, v35, v25, s0
	v_cndmask_b32_e64 v35, v36, v26, s0
	s_delay_alu instid0(VALU_DEP_3) | instskip(NEXT) | instid1(VALU_DEP_4)
	v_cndmask_b32_e64 v34, v34, v26, s0
	v_cndmask_b32_e64 v33, v33, v25, s0
	s_delay_alu instid0(VALU_DEP_3) | instskip(SKIP_1) | instid1(VALU_DEP_4)
	v_cndmask_b32_e64 v36, v35, v28, s21
	v_cndmask_b32_e64 v35, v0, v27, s21
	;; [unrolled: 1-line block ×3, first 2 shown]
	s_delay_alu instid0(VALU_DEP_4) | instskip(SKIP_1) | instid1(VALU_DEP_4)
	v_cndmask_b32_e64 v33, v33, v27, s21
	v_dual_mov_b32 v28, v26 :: v_dual_mov_b32 v27, v25
	v_cmp_class_f64_e64 s1, v[35:36], 0x1f8
	s_delay_alu instid0(VALU_DEP_3) | instskip(NEXT) | instid1(VALU_DEP_1)
	v_cmp_neq_f64_e64 s0, v[35:36], v[33:34]
	s_or_b32 s0, s0, s1
	s_delay_alu instid0(SALU_CYCLE_1)
	s_and_saveexec_b32 s17, s0
	s_cbranch_execz .LBB66_116
; %bb.115:
	v_add_f64 v[27:28], v[35:36], -v[33:34]
	s_mov_b32 s0, 0x652b82fe
	s_mov_b32 s1, 0x3ff71547
	;; [unrolled: 1-line block ×10, first 2 shown]
	s_delay_alu instid0(VALU_DEP_1) | instskip(SKIP_2) | instid1(VALU_DEP_1)
	v_mul_f64 v[35:36], v[27:28], s[0:1]
	s_mov_b32 s0, 0xfca7ab0c
	s_mov_b32 s1, 0x3e928af3
	v_rndne_f64_e32 v[35:36], v[35:36]
	s_delay_alu instid0(VALU_DEP_1) | instskip(SKIP_2) | instid1(VALU_DEP_2)
	v_fma_f64 v[37:38], v[35:36], s[18:19], v[27:28]
	v_cvt_i32_f64_e32 v0, v[35:36]
	s_mov_b32 s19, 0x3fe62e42
	v_fma_f64 v[37:38], v[35:36], s[20:21], v[37:38]
	s_mov_b32 s21, 0x3c7abc9e
	s_delay_alu instid0(VALU_DEP_1) | instskip(SKIP_4) | instid1(VALU_DEP_1)
	v_fma_f64 v[39:40], v[37:38], s[36:37], s[0:1]
	s_mov_b32 s0, 0x623fde64
	s_mov_b32 s1, 0x3ec71dee
	;; [unrolled: 1-line block ×4, first 2 shown]
	v_fma_f64 v[39:40], v[37:38], v[39:40], s[0:1]
	s_mov_b32 s0, 0x7c89e6b0
	s_mov_b32 s1, 0x3efa0199
	s_delay_alu instid0(VALU_DEP_1) | instid1(SALU_CYCLE_1)
	v_fma_f64 v[39:40], v[37:38], v[39:40], s[0:1]
	s_mov_b32 s0, 0x14761f6e
	s_mov_b32 s1, 0x3f2a01a0
	s_delay_alu instid0(VALU_DEP_1) | instid1(SALU_CYCLE_1)
	;; [unrolled: 4-line block ×7, first 2 shown]
	v_fma_f64 v[39:40], v[37:38], v[39:40], s[0:1]
	v_cmp_nlt_f64_e64 s0, 0x40900000, v[27:28]
	v_cmp_ngt_f64_e64 s1, 0xc090cc00, v[27:28]
	s_delay_alu instid0(VALU_DEP_3) | instskip(NEXT) | instid1(VALU_DEP_1)
	v_fma_f64 v[39:40], v[37:38], v[39:40], 1.0
	v_fma_f64 v[35:36], v[37:38], v[39:40], 1.0
	s_delay_alu instid0(VALU_DEP_1) | instskip(NEXT) | instid1(VALU_DEP_1)
	v_ldexp_f64 v[35:36], v[35:36], v0
	v_cndmask_b32_e64 v0, 0x7ff00000, v36, s0
	s_and_b32 s0, s1, s0
	s_delay_alu instid0(VALU_DEP_2) | instid1(SALU_CYCLE_1)
	v_cndmask_b32_e64 v27, 0, v35, s0
	s_mov_b32 s0, 0x55555555
	s_delay_alu instid0(VALU_DEP_2) | instskip(SKIP_1) | instid1(VALU_DEP_1)
	v_cndmask_b32_e64 v28, 0, v0, s1
	s_mov_b32 s1, 0x3fe55555
	v_add_f64 v[35:36], v[27:28], 1.0
	s_delay_alu instid0(VALU_DEP_1) | instskip(SKIP_2) | instid1(VALU_DEP_3)
	v_frexp_mant_f64_e32 v[37:38], v[35:36]
	v_frexp_exp_i32_f64_e32 v0, v[35:36]
	v_add_f64 v[39:40], v[35:36], -1.0
	v_cmp_gt_f64_e64 s0, s[0:1], v[37:38]
	s_delay_alu instid0(VALU_DEP_2) | instskip(SKIP_1) | instid1(VALU_DEP_3)
	v_add_f64 v[37:38], v[39:40], -v[35:36]
	v_add_f64 v[39:40], v[27:28], -v[39:40]
	v_subrev_co_ci_u32_e64 v0, s0, 0, v0, s0
	s_delay_alu instid0(VALU_DEP_3) | instskip(SKIP_1) | instid1(VALU_DEP_2)
	v_add_f64 v[37:38], v[37:38], 1.0
	s_mov_b32 s0, 0x55555780
	v_sub_nc_u32_e32 v63, 0, v0
	s_delay_alu instid0(VALU_DEP_1) | instskip(NEXT) | instid1(VALU_DEP_3)
	v_ldexp_f64 v[35:36], v[35:36], v63
	v_add_f64 v[37:38], v[39:40], v[37:38]
	s_delay_alu instid0(VALU_DEP_2) | instskip(SKIP_1) | instid1(VALU_DEP_3)
	v_add_f64 v[41:42], v[35:36], 1.0
	v_add_f64 v[67:68], v[35:36], -1.0
	v_ldexp_f64 v[37:38], v[37:38], v63
	s_delay_alu instid0(VALU_DEP_3) | instskip(SKIP_1) | instid1(VALU_DEP_3)
	v_add_f64 v[39:40], v[41:42], -1.0
	s_waitcnt lgkmcnt(0)
	v_add_f64 v[69:70], v[67:68], 1.0
	s_delay_alu instid0(VALU_DEP_2) | instskip(NEXT) | instid1(VALU_DEP_2)
	v_add_f64 v[39:40], v[35:36], -v[39:40]
	v_add_f64 v[35:36], v[35:36], -v[69:70]
	s_delay_alu instid0(VALU_DEP_2) | instskip(NEXT) | instid1(VALU_DEP_2)
	v_add_f64 v[39:40], v[37:38], v[39:40]
	v_add_f64 v[35:36], v[37:38], v[35:36]
	s_delay_alu instid0(VALU_DEP_2) | instskip(NEXT) | instid1(VALU_DEP_2)
	v_add_f64 v[63:64], v[41:42], v[39:40]
	v_add_f64 v[69:70], v[67:68], v[35:36]
	s_delay_alu instid0(VALU_DEP_2) | instskip(SKIP_1) | instid1(VALU_DEP_2)
	v_rcp_f64_e32 v[65:66], v[63:64]
	v_add_f64 v[41:42], v[63:64], -v[41:42]
	v_add_f64 v[67:68], v[69:70], -v[67:68]
	s_delay_alu instid0(VALU_DEP_2) | instskip(SKIP_3) | instid1(VALU_DEP_2)
	v_add_f64 v[39:40], v[39:40], -v[41:42]
	s_waitcnt_depctr 0xfff
	v_fma_f64 v[71:72], -v[63:64], v[65:66], 1.0
	v_add_f64 v[35:36], v[35:36], -v[67:68]
	v_fma_f64 v[65:66], v[71:72], v[65:66], v[65:66]
	s_delay_alu instid0(VALU_DEP_1) | instskip(NEXT) | instid1(VALU_DEP_1)
	v_fma_f64 v[37:38], -v[63:64], v[65:66], 1.0
	v_fma_f64 v[37:38], v[37:38], v[65:66], v[65:66]
	s_delay_alu instid0(VALU_DEP_1) | instskip(NEXT) | instid1(VALU_DEP_1)
	v_mul_f64 v[65:66], v[69:70], v[37:38]
	v_mul_f64 v[71:72], v[63:64], v[65:66]
	s_delay_alu instid0(VALU_DEP_1) | instskip(NEXT) | instid1(VALU_DEP_1)
	v_fma_f64 v[41:42], v[65:66], v[63:64], -v[71:72]
	v_fma_f64 v[41:42], v[65:66], v[39:40], v[41:42]
	s_delay_alu instid0(VALU_DEP_1) | instskip(NEXT) | instid1(VALU_DEP_1)
	v_add_f64 v[73:74], v[71:72], v[41:42]
	v_add_f64 v[75:76], v[69:70], -v[73:74]
	v_add_f64 v[67:68], v[73:74], -v[71:72]
	s_delay_alu instid0(VALU_DEP_2) | instskip(NEXT) | instid1(VALU_DEP_2)
	v_add_f64 v[69:70], v[69:70], -v[75:76]
	v_add_f64 v[41:42], v[67:68], -v[41:42]
	s_delay_alu instid0(VALU_DEP_2) | instskip(NEXT) | instid1(VALU_DEP_1)
	v_add_f64 v[69:70], v[69:70], -v[73:74]
	v_add_f64 v[35:36], v[35:36], v[69:70]
	s_delay_alu instid0(VALU_DEP_1) | instskip(NEXT) | instid1(VALU_DEP_1)
	v_add_f64 v[35:36], v[41:42], v[35:36]
	v_add_f64 v[41:42], v[75:76], v[35:36]
	s_delay_alu instid0(VALU_DEP_1) | instskip(SKIP_1) | instid1(VALU_DEP_2)
	v_mul_f64 v[67:68], v[37:38], v[41:42]
	v_add_f64 v[73:74], v[75:76], -v[41:42]
	v_mul_f64 v[69:70], v[63:64], v[67:68]
	s_delay_alu instid0(VALU_DEP_2) | instskip(NEXT) | instid1(VALU_DEP_2)
	v_add_f64 v[35:36], v[35:36], v[73:74]
	v_fma_f64 v[63:64], v[67:68], v[63:64], -v[69:70]
	s_delay_alu instid0(VALU_DEP_1) | instskip(NEXT) | instid1(VALU_DEP_1)
	v_fma_f64 v[39:40], v[67:68], v[39:40], v[63:64]
	v_add_f64 v[63:64], v[69:70], v[39:40]
	s_delay_alu instid0(VALU_DEP_1) | instskip(SKIP_1) | instid1(VALU_DEP_2)
	v_add_f64 v[71:72], v[41:42], -v[63:64]
	v_add_f64 v[69:70], v[63:64], -v[69:70]
	;; [unrolled: 1-line block ×3, first 2 shown]
	s_delay_alu instid0(VALU_DEP_2) | instskip(NEXT) | instid1(VALU_DEP_2)
	v_add_f64 v[39:40], v[69:70], -v[39:40]
	v_add_f64 v[41:42], v[41:42], -v[63:64]
	s_delay_alu instid0(VALU_DEP_1) | instskip(SKIP_1) | instid1(VALU_DEP_2)
	v_add_f64 v[35:36], v[35:36], v[41:42]
	v_add_f64 v[41:42], v[65:66], v[67:68]
	;; [unrolled: 1-line block ×3, first 2 shown]
	s_delay_alu instid0(VALU_DEP_2) | instskip(NEXT) | instid1(VALU_DEP_2)
	v_add_f64 v[39:40], v[41:42], -v[65:66]
	v_add_f64 v[35:36], v[71:72], v[35:36]
	s_delay_alu instid0(VALU_DEP_2) | instskip(NEXT) | instid1(VALU_DEP_2)
	v_add_f64 v[39:40], v[67:68], -v[39:40]
	v_mul_f64 v[35:36], v[37:38], v[35:36]
	s_delay_alu instid0(VALU_DEP_1) | instskip(NEXT) | instid1(VALU_DEP_1)
	v_add_f64 v[35:36], v[39:40], v[35:36]
	v_add_f64 v[37:38], v[41:42], v[35:36]
	s_delay_alu instid0(VALU_DEP_1) | instskip(NEXT) | instid1(VALU_DEP_1)
	v_mul_f64 v[39:40], v[37:38], v[37:38]
	v_fma_f64 v[63:64], v[39:40], s[38:39], s[36:37]
	s_mov_b32 s36, 0xd7f4df2e
	s_mov_b32 s37, 0x3fc7474d
	v_mul_f64 v[65:66], v[37:38], v[39:40]
	s_delay_alu instid0(VALU_DEP_2)
	v_fma_f64 v[63:64], v[39:40], v[63:64], s[36:37]
	s_mov_b32 s36, 0x16291751
	s_mov_b32 s37, 0x3fcc71c0
	s_delay_alu instid0(VALU_DEP_1) | instid1(SALU_CYCLE_1)
	v_fma_f64 v[63:64], v[39:40], v[63:64], s[36:37]
	s_mov_b32 s36, 0x9b27acf1
	s_mov_b32 s37, 0x3fd24924
	s_delay_alu instid0(VALU_DEP_1) | instid1(SALU_CYCLE_1)
	;; [unrolled: 4-line block ×3, first 2 shown]
	v_fma_f64 v[63:64], v[39:40], v[63:64], s[36:37]
	s_delay_alu instid0(VALU_DEP_1) | instskip(SKIP_3) | instid1(VALU_DEP_4)
	v_fma_f64 v[39:40], v[39:40], v[63:64], s[0:1]
	v_ldexp_f64 v[63:64], v[37:38], 1
	v_add_f64 v[37:38], v[37:38], -v[41:42]
	v_cmp_eq_f64_e64 s0, 0x7ff00000, v[27:28]
	v_mul_f64 v[39:40], v[65:66], v[39:40]
	v_cvt_f64_i32_e32 v[65:66], v0
	s_delay_alu instid0(VALU_DEP_4) | instskip(NEXT) | instid1(VALU_DEP_3)
	v_add_f64 v[35:36], v[35:36], -v[37:38]
	v_add_f64 v[41:42], v[63:64], v[39:40]
	s_delay_alu instid0(VALU_DEP_3) | instskip(NEXT) | instid1(VALU_DEP_3)
	v_mul_f64 v[67:68], v[65:66], s[18:19]
	v_ldexp_f64 v[35:36], v[35:36], 1
	s_delay_alu instid0(VALU_DEP_3) | instskip(NEXT) | instid1(VALU_DEP_3)
	v_add_f64 v[37:38], v[41:42], -v[63:64]
	v_fma_f64 v[63:64], v[65:66], s[18:19], -v[67:68]
	s_delay_alu instid0(VALU_DEP_2) | instskip(NEXT) | instid1(VALU_DEP_2)
	v_add_f64 v[37:38], v[39:40], -v[37:38]
	v_fma_f64 v[39:40], v[65:66], s[20:21], v[63:64]
	s_delay_alu instid0(VALU_DEP_2) | instskip(NEXT) | instid1(VALU_DEP_2)
	v_add_f64 v[35:36], v[35:36], v[37:38]
	v_add_f64 v[37:38], v[67:68], v[39:40]
	s_delay_alu instid0(VALU_DEP_2) | instskip(NEXT) | instid1(VALU_DEP_2)
	v_add_f64 v[63:64], v[41:42], v[35:36]
	v_add_f64 v[67:68], v[37:38], -v[67:68]
	s_delay_alu instid0(VALU_DEP_2) | instskip(SKIP_1) | instid1(VALU_DEP_3)
	v_add_f64 v[65:66], v[37:38], v[63:64]
	v_add_f64 v[41:42], v[63:64], -v[41:42]
	v_add_f64 v[39:40], v[39:40], -v[67:68]
	s_delay_alu instid0(VALU_DEP_3) | instskip(NEXT) | instid1(VALU_DEP_3)
	v_add_f64 v[69:70], v[65:66], -v[37:38]
	v_add_f64 v[35:36], v[35:36], -v[41:42]
	s_delay_alu instid0(VALU_DEP_2) | instskip(SKIP_1) | instid1(VALU_DEP_3)
	v_add_f64 v[71:72], v[65:66], -v[69:70]
	v_add_f64 v[41:42], v[63:64], -v[69:70]
	v_add_f64 v[63:64], v[39:40], v[35:36]
	s_delay_alu instid0(VALU_DEP_3) | instskip(NEXT) | instid1(VALU_DEP_1)
	v_add_f64 v[37:38], v[37:38], -v[71:72]
	v_add_f64 v[37:38], v[41:42], v[37:38]
	s_delay_alu instid0(VALU_DEP_3) | instskip(NEXT) | instid1(VALU_DEP_2)
	v_add_f64 v[41:42], v[63:64], -v[39:40]
	v_add_f64 v[37:38], v[63:64], v[37:38]
	s_delay_alu instid0(VALU_DEP_2) | instskip(SKIP_1) | instid1(VALU_DEP_3)
	v_add_f64 v[63:64], v[63:64], -v[41:42]
	v_add_f64 v[35:36], v[35:36], -v[41:42]
	v_add_f64 v[67:68], v[65:66], v[37:38]
	s_delay_alu instid0(VALU_DEP_3) | instskip(NEXT) | instid1(VALU_DEP_2)
	v_add_f64 v[39:40], v[39:40], -v[63:64]
	v_add_f64 v[41:42], v[67:68], -v[65:66]
	s_delay_alu instid0(VALU_DEP_2) | instskip(NEXT) | instid1(VALU_DEP_2)
	v_add_f64 v[35:36], v[35:36], v[39:40]
	v_add_f64 v[37:38], v[37:38], -v[41:42]
	s_delay_alu instid0(VALU_DEP_1) | instskip(NEXT) | instid1(VALU_DEP_1)
	v_add_f64 v[35:36], v[35:36], v[37:38]
	v_add_f64 v[35:36], v[67:68], v[35:36]
	s_delay_alu instid0(VALU_DEP_1) | instskip(NEXT) | instid1(VALU_DEP_2)
	v_cndmask_b32_e64 v0, v35, v27, s0
	v_cndmask_b32_e64 v35, v36, v28, s0
	v_cmp_ngt_f64_e64 s0, -1.0, v[27:28]
	s_delay_alu instid0(VALU_DEP_1) | instskip(SKIP_1) | instid1(VALU_DEP_1)
	v_cndmask_b32_e64 v36, 0x7ff80000, v35, s0
	v_cmp_nge_f64_e64 s0, -1.0, v[27:28]
	v_cndmask_b32_e64 v35, 0, v0, s0
	v_cmp_neq_f64_e64 s0, -1.0, v[27:28]
	s_delay_alu instid0(VALU_DEP_1) | instskip(NEXT) | instid1(VALU_DEP_1)
	v_cndmask_b32_e64 v36, 0xfff00000, v36, s0
	v_add_f64 v[27:28], v[33:34], v[35:36]
.LBB66_116:
	s_or_b32 exec_lo, exec_lo, s17
	s_delay_alu instid0(VALU_DEP_1) | instskip(SKIP_1) | instid1(VALU_DEP_2)
	v_max_f64 v[33:34], v[27:28], v[27:28]
	v_cmp_u_f64_e64 s0, v[27:28], v[27:28]
	v_min_f64 v[35:36], v[33:34], v[43:44]
	v_max_f64 v[33:34], v[33:34], v[43:44]
	s_delay_alu instid0(VALU_DEP_2) | instskip(NEXT) | instid1(VALU_DEP_3)
	v_cndmask_b32_e64 v0, v35, v27, s0
	v_cndmask_b32_e64 v35, v36, v28, s0
	s_delay_alu instid0(VALU_DEP_3) | instskip(NEXT) | instid1(VALU_DEP_4)
	v_cndmask_b32_e64 v34, v34, v28, s0
	v_cndmask_b32_e64 v33, v33, v27, s0
	s_delay_alu instid0(VALU_DEP_3) | instskip(SKIP_1) | instid1(VALU_DEP_4)
	v_cndmask_b32_e64 v36, v35, v22, s22
	v_cndmask_b32_e64 v35, v0, v21, s22
	v_cndmask_b32_e64 v34, v34, v22, s22
	s_delay_alu instid0(VALU_DEP_4) | instskip(SKIP_1) | instid1(VALU_DEP_4)
	v_cndmask_b32_e64 v33, v33, v21, s22
	v_dual_mov_b32 v21, v27 :: v_dual_mov_b32 v22, v28
	v_cmp_class_f64_e64 s1, v[35:36], 0x1f8
	s_delay_alu instid0(VALU_DEP_3) | instskip(NEXT) | instid1(VALU_DEP_1)
	v_cmp_neq_f64_e64 s0, v[35:36], v[33:34]
	s_or_b32 s0, s0, s1
	s_delay_alu instid0(SALU_CYCLE_1)
	s_and_saveexec_b32 s17, s0
	s_cbranch_execz .LBB66_118
; %bb.117:
	v_add_f64 v[21:22], v[35:36], -v[33:34]
	s_mov_b32 s0, 0x652b82fe
	s_mov_b32 s1, 0x3ff71547
	;; [unrolled: 1-line block ×10, first 2 shown]
	s_delay_alu instid0(VALU_DEP_1) | instskip(SKIP_2) | instid1(VALU_DEP_1)
	v_mul_f64 v[35:36], v[21:22], s[0:1]
	s_mov_b32 s0, 0xfca7ab0c
	s_mov_b32 s1, 0x3e928af3
	v_rndne_f64_e32 v[35:36], v[35:36]
	s_delay_alu instid0(VALU_DEP_1) | instskip(SKIP_2) | instid1(VALU_DEP_2)
	v_fma_f64 v[37:38], v[35:36], s[18:19], v[21:22]
	v_cvt_i32_f64_e32 v0, v[35:36]
	s_mov_b32 s19, 0x3fe62e42
	v_fma_f64 v[37:38], v[35:36], s[20:21], v[37:38]
	s_mov_b32 s21, 0x3c7abc9e
	s_delay_alu instid0(VALU_DEP_1) | instskip(SKIP_4) | instid1(VALU_DEP_1)
	v_fma_f64 v[39:40], v[37:38], s[36:37], s[0:1]
	s_mov_b32 s0, 0x623fde64
	s_mov_b32 s1, 0x3ec71dee
	;; [unrolled: 1-line block ×4, first 2 shown]
	v_fma_f64 v[39:40], v[37:38], v[39:40], s[0:1]
	s_mov_b32 s0, 0x7c89e6b0
	s_mov_b32 s1, 0x3efa0199
	s_delay_alu instid0(VALU_DEP_1) | instid1(SALU_CYCLE_1)
	v_fma_f64 v[39:40], v[37:38], v[39:40], s[0:1]
	s_mov_b32 s0, 0x14761f6e
	s_mov_b32 s1, 0x3f2a01a0
	s_delay_alu instid0(VALU_DEP_1) | instid1(SALU_CYCLE_1)
	;; [unrolled: 4-line block ×7, first 2 shown]
	v_fma_f64 v[39:40], v[37:38], v[39:40], s[0:1]
	v_cmp_nlt_f64_e64 s0, 0x40900000, v[21:22]
	v_cmp_ngt_f64_e64 s1, 0xc090cc00, v[21:22]
	s_delay_alu instid0(VALU_DEP_3) | instskip(NEXT) | instid1(VALU_DEP_1)
	v_fma_f64 v[39:40], v[37:38], v[39:40], 1.0
	v_fma_f64 v[35:36], v[37:38], v[39:40], 1.0
	s_delay_alu instid0(VALU_DEP_1) | instskip(NEXT) | instid1(VALU_DEP_1)
	v_ldexp_f64 v[35:36], v[35:36], v0
	v_cndmask_b32_e64 v0, 0x7ff00000, v36, s0
	s_and_b32 s0, s1, s0
	s_delay_alu instid0(VALU_DEP_2) | instid1(SALU_CYCLE_1)
	v_cndmask_b32_e64 v21, 0, v35, s0
	s_mov_b32 s0, 0x55555555
	s_delay_alu instid0(VALU_DEP_2) | instskip(SKIP_1) | instid1(VALU_DEP_1)
	v_cndmask_b32_e64 v22, 0, v0, s1
	s_mov_b32 s1, 0x3fe55555
	v_add_f64 v[35:36], v[21:22], 1.0
	s_delay_alu instid0(VALU_DEP_1) | instskip(SKIP_2) | instid1(VALU_DEP_3)
	v_frexp_mant_f64_e32 v[37:38], v[35:36]
	v_frexp_exp_i32_f64_e32 v0, v[35:36]
	v_add_f64 v[39:40], v[35:36], -1.0
	v_cmp_gt_f64_e64 s0, s[0:1], v[37:38]
	s_delay_alu instid0(VALU_DEP_2) | instskip(SKIP_1) | instid1(VALU_DEP_3)
	v_add_f64 v[37:38], v[39:40], -v[35:36]
	v_add_f64 v[39:40], v[21:22], -v[39:40]
	v_subrev_co_ci_u32_e64 v0, s0, 0, v0, s0
	s_delay_alu instid0(VALU_DEP_3) | instskip(SKIP_1) | instid1(VALU_DEP_2)
	v_add_f64 v[37:38], v[37:38], 1.0
	s_mov_b32 s0, 0x55555780
	v_sub_nc_u32_e32 v43, 0, v0
	s_delay_alu instid0(VALU_DEP_1) | instskip(NEXT) | instid1(VALU_DEP_3)
	v_ldexp_f64 v[35:36], v[35:36], v43
	v_add_f64 v[37:38], v[39:40], v[37:38]
	s_delay_alu instid0(VALU_DEP_2) | instskip(SKIP_1) | instid1(VALU_DEP_3)
	v_add_f64 v[41:42], v[35:36], 1.0
	v_add_f64 v[65:66], v[35:36], -1.0
	v_ldexp_f64 v[37:38], v[37:38], v43
	s_delay_alu instid0(VALU_DEP_3) | instskip(NEXT) | instid1(VALU_DEP_3)
	v_add_f64 v[39:40], v[41:42], -1.0
	v_add_f64 v[67:68], v[65:66], 1.0
	s_delay_alu instid0(VALU_DEP_2) | instskip(NEXT) | instid1(VALU_DEP_2)
	v_add_f64 v[39:40], v[35:36], -v[39:40]
	v_add_f64 v[35:36], v[35:36], -v[67:68]
	s_delay_alu instid0(VALU_DEP_2) | instskip(NEXT) | instid1(VALU_DEP_2)
	v_add_f64 v[39:40], v[37:38], v[39:40]
	v_add_f64 v[35:36], v[37:38], v[35:36]
	s_delay_alu instid0(VALU_DEP_2) | instskip(NEXT) | instid1(VALU_DEP_2)
	v_add_f64 v[43:44], v[41:42], v[39:40]
	v_add_f64 v[67:68], v[65:66], v[35:36]
	s_delay_alu instid0(VALU_DEP_2) | instskip(SKIP_1) | instid1(VALU_DEP_2)
	v_rcp_f64_e32 v[63:64], v[43:44]
	v_add_f64 v[41:42], v[43:44], -v[41:42]
	v_add_f64 v[65:66], v[67:68], -v[65:66]
	s_delay_alu instid0(VALU_DEP_2) | instskip(SKIP_4) | instid1(VALU_DEP_2)
	v_add_f64 v[39:40], v[39:40], -v[41:42]
	s_waitcnt lgkmcnt(0)
	s_waitcnt_depctr 0xfff
	v_fma_f64 v[69:70], -v[43:44], v[63:64], 1.0
	v_add_f64 v[35:36], v[35:36], -v[65:66]
	v_fma_f64 v[63:64], v[69:70], v[63:64], v[63:64]
	s_delay_alu instid0(VALU_DEP_1) | instskip(NEXT) | instid1(VALU_DEP_1)
	v_fma_f64 v[37:38], -v[43:44], v[63:64], 1.0
	v_fma_f64 v[37:38], v[37:38], v[63:64], v[63:64]
	s_delay_alu instid0(VALU_DEP_1) | instskip(NEXT) | instid1(VALU_DEP_1)
	v_mul_f64 v[63:64], v[67:68], v[37:38]
	v_mul_f64 v[69:70], v[43:44], v[63:64]
	s_delay_alu instid0(VALU_DEP_1) | instskip(NEXT) | instid1(VALU_DEP_1)
	v_fma_f64 v[41:42], v[63:64], v[43:44], -v[69:70]
	v_fma_f64 v[41:42], v[63:64], v[39:40], v[41:42]
	s_delay_alu instid0(VALU_DEP_1) | instskip(NEXT) | instid1(VALU_DEP_1)
	v_add_f64 v[71:72], v[69:70], v[41:42]
	v_add_f64 v[73:74], v[67:68], -v[71:72]
	v_add_f64 v[65:66], v[71:72], -v[69:70]
	s_delay_alu instid0(VALU_DEP_2) | instskip(NEXT) | instid1(VALU_DEP_2)
	v_add_f64 v[67:68], v[67:68], -v[73:74]
	v_add_f64 v[41:42], v[65:66], -v[41:42]
	s_delay_alu instid0(VALU_DEP_2) | instskip(NEXT) | instid1(VALU_DEP_1)
	v_add_f64 v[67:68], v[67:68], -v[71:72]
	v_add_f64 v[35:36], v[35:36], v[67:68]
	s_delay_alu instid0(VALU_DEP_1) | instskip(NEXT) | instid1(VALU_DEP_1)
	v_add_f64 v[35:36], v[41:42], v[35:36]
	v_add_f64 v[41:42], v[73:74], v[35:36]
	s_delay_alu instid0(VALU_DEP_1) | instskip(SKIP_1) | instid1(VALU_DEP_2)
	v_mul_f64 v[65:66], v[37:38], v[41:42]
	v_add_f64 v[71:72], v[73:74], -v[41:42]
	v_mul_f64 v[67:68], v[43:44], v[65:66]
	s_delay_alu instid0(VALU_DEP_2) | instskip(NEXT) | instid1(VALU_DEP_2)
	v_add_f64 v[35:36], v[35:36], v[71:72]
	v_fma_f64 v[43:44], v[65:66], v[43:44], -v[67:68]
	s_delay_alu instid0(VALU_DEP_1) | instskip(NEXT) | instid1(VALU_DEP_1)
	v_fma_f64 v[39:40], v[65:66], v[39:40], v[43:44]
	v_add_f64 v[43:44], v[67:68], v[39:40]
	s_delay_alu instid0(VALU_DEP_1) | instskip(SKIP_1) | instid1(VALU_DEP_2)
	v_add_f64 v[69:70], v[41:42], -v[43:44]
	v_add_f64 v[67:68], v[43:44], -v[67:68]
	;; [unrolled: 1-line block ×3, first 2 shown]
	s_delay_alu instid0(VALU_DEP_2) | instskip(NEXT) | instid1(VALU_DEP_2)
	v_add_f64 v[39:40], v[67:68], -v[39:40]
	v_add_f64 v[41:42], v[41:42], -v[43:44]
	s_delay_alu instid0(VALU_DEP_1) | instskip(SKIP_1) | instid1(VALU_DEP_2)
	v_add_f64 v[35:36], v[35:36], v[41:42]
	v_add_f64 v[41:42], v[63:64], v[65:66]
	;; [unrolled: 1-line block ×3, first 2 shown]
	s_delay_alu instid0(VALU_DEP_2) | instskip(NEXT) | instid1(VALU_DEP_2)
	v_add_f64 v[39:40], v[41:42], -v[63:64]
	v_add_f64 v[35:36], v[69:70], v[35:36]
	s_delay_alu instid0(VALU_DEP_2) | instskip(NEXT) | instid1(VALU_DEP_2)
	v_add_f64 v[39:40], v[65:66], -v[39:40]
	v_mul_f64 v[35:36], v[37:38], v[35:36]
	s_delay_alu instid0(VALU_DEP_1) | instskip(NEXT) | instid1(VALU_DEP_1)
	v_add_f64 v[35:36], v[39:40], v[35:36]
	v_add_f64 v[37:38], v[41:42], v[35:36]
	s_delay_alu instid0(VALU_DEP_1) | instskip(NEXT) | instid1(VALU_DEP_1)
	v_mul_f64 v[39:40], v[37:38], v[37:38]
	v_fma_f64 v[43:44], v[39:40], s[38:39], s[36:37]
	s_mov_b32 s36, 0xd7f4df2e
	s_mov_b32 s37, 0x3fc7474d
	v_mul_f64 v[63:64], v[37:38], v[39:40]
	s_delay_alu instid0(VALU_DEP_2)
	v_fma_f64 v[43:44], v[39:40], v[43:44], s[36:37]
	s_mov_b32 s36, 0x16291751
	s_mov_b32 s37, 0x3fcc71c0
	s_delay_alu instid0(VALU_DEP_1) | instid1(SALU_CYCLE_1)
	v_fma_f64 v[43:44], v[39:40], v[43:44], s[36:37]
	s_mov_b32 s36, 0x9b27acf1
	s_mov_b32 s37, 0x3fd24924
	s_delay_alu instid0(VALU_DEP_1) | instid1(SALU_CYCLE_1)
	;; [unrolled: 4-line block ×3, first 2 shown]
	v_fma_f64 v[43:44], v[39:40], v[43:44], s[36:37]
	s_delay_alu instid0(VALU_DEP_1) | instskip(SKIP_3) | instid1(VALU_DEP_4)
	v_fma_f64 v[39:40], v[39:40], v[43:44], s[0:1]
	v_ldexp_f64 v[43:44], v[37:38], 1
	v_add_f64 v[37:38], v[37:38], -v[41:42]
	v_cmp_eq_f64_e64 s0, 0x7ff00000, v[21:22]
	v_mul_f64 v[39:40], v[63:64], v[39:40]
	v_cvt_f64_i32_e32 v[63:64], v0
	s_delay_alu instid0(VALU_DEP_4) | instskip(NEXT) | instid1(VALU_DEP_3)
	v_add_f64 v[35:36], v[35:36], -v[37:38]
	v_add_f64 v[41:42], v[43:44], v[39:40]
	s_delay_alu instid0(VALU_DEP_3) | instskip(NEXT) | instid1(VALU_DEP_3)
	v_mul_f64 v[65:66], v[63:64], s[18:19]
	v_ldexp_f64 v[35:36], v[35:36], 1
	s_delay_alu instid0(VALU_DEP_3) | instskip(NEXT) | instid1(VALU_DEP_3)
	v_add_f64 v[37:38], v[41:42], -v[43:44]
	v_fma_f64 v[43:44], v[63:64], s[18:19], -v[65:66]
	s_delay_alu instid0(VALU_DEP_2) | instskip(NEXT) | instid1(VALU_DEP_2)
	v_add_f64 v[37:38], v[39:40], -v[37:38]
	v_fma_f64 v[39:40], v[63:64], s[20:21], v[43:44]
	s_delay_alu instid0(VALU_DEP_2) | instskip(NEXT) | instid1(VALU_DEP_2)
	v_add_f64 v[35:36], v[35:36], v[37:38]
	v_add_f64 v[37:38], v[65:66], v[39:40]
	s_delay_alu instid0(VALU_DEP_2) | instskip(NEXT) | instid1(VALU_DEP_2)
	v_add_f64 v[43:44], v[41:42], v[35:36]
	v_add_f64 v[65:66], v[37:38], -v[65:66]
	s_delay_alu instid0(VALU_DEP_2) | instskip(SKIP_1) | instid1(VALU_DEP_3)
	v_add_f64 v[63:64], v[37:38], v[43:44]
	v_add_f64 v[41:42], v[43:44], -v[41:42]
	v_add_f64 v[39:40], v[39:40], -v[65:66]
	s_delay_alu instid0(VALU_DEP_3) | instskip(NEXT) | instid1(VALU_DEP_3)
	v_add_f64 v[67:68], v[63:64], -v[37:38]
	v_add_f64 v[35:36], v[35:36], -v[41:42]
	s_delay_alu instid0(VALU_DEP_2) | instskip(SKIP_1) | instid1(VALU_DEP_3)
	v_add_f64 v[69:70], v[63:64], -v[67:68]
	v_add_f64 v[41:42], v[43:44], -v[67:68]
	v_add_f64 v[43:44], v[39:40], v[35:36]
	s_delay_alu instid0(VALU_DEP_3) | instskip(NEXT) | instid1(VALU_DEP_1)
	v_add_f64 v[37:38], v[37:38], -v[69:70]
	v_add_f64 v[37:38], v[41:42], v[37:38]
	s_delay_alu instid0(VALU_DEP_3) | instskip(NEXT) | instid1(VALU_DEP_2)
	v_add_f64 v[41:42], v[43:44], -v[39:40]
	v_add_f64 v[37:38], v[43:44], v[37:38]
	s_delay_alu instid0(VALU_DEP_2) | instskip(SKIP_1) | instid1(VALU_DEP_3)
	v_add_f64 v[43:44], v[43:44], -v[41:42]
	v_add_f64 v[35:36], v[35:36], -v[41:42]
	v_add_f64 v[65:66], v[63:64], v[37:38]
	s_delay_alu instid0(VALU_DEP_3) | instskip(NEXT) | instid1(VALU_DEP_2)
	v_add_f64 v[39:40], v[39:40], -v[43:44]
	v_add_f64 v[41:42], v[65:66], -v[63:64]
	s_delay_alu instid0(VALU_DEP_2) | instskip(NEXT) | instid1(VALU_DEP_2)
	v_add_f64 v[35:36], v[35:36], v[39:40]
	v_add_f64 v[37:38], v[37:38], -v[41:42]
	s_delay_alu instid0(VALU_DEP_1) | instskip(NEXT) | instid1(VALU_DEP_1)
	v_add_f64 v[35:36], v[35:36], v[37:38]
	v_add_f64 v[35:36], v[65:66], v[35:36]
	s_delay_alu instid0(VALU_DEP_1) | instskip(NEXT) | instid1(VALU_DEP_2)
	v_cndmask_b32_e64 v0, v35, v21, s0
	v_cndmask_b32_e64 v35, v36, v22, s0
	v_cmp_ngt_f64_e64 s0, -1.0, v[21:22]
	s_delay_alu instid0(VALU_DEP_1) | instskip(SKIP_1) | instid1(VALU_DEP_1)
	v_cndmask_b32_e64 v36, 0x7ff80000, v35, s0
	v_cmp_nge_f64_e64 s0, -1.0, v[21:22]
	v_cndmask_b32_e64 v35, 0, v0, s0
	v_cmp_neq_f64_e64 s0, -1.0, v[21:22]
	s_delay_alu instid0(VALU_DEP_1) | instskip(NEXT) | instid1(VALU_DEP_1)
	v_cndmask_b32_e64 v36, 0xfff00000, v36, s0
	v_add_f64 v[21:22], v[33:34], v[35:36]
.LBB66_118:
	s_or_b32 exec_lo, exec_lo, s17
	s_delay_alu instid0(VALU_DEP_1) | instskip(SKIP_1) | instid1(VALU_DEP_2)
	v_max_f64 v[33:34], v[21:22], v[21:22]
	v_cmp_u_f64_e64 s0, v[21:22], v[21:22]
	v_min_f64 v[35:36], v[33:34], v[45:46]
	v_max_f64 v[33:34], v[33:34], v[45:46]
	s_delay_alu instid0(VALU_DEP_2) | instskip(NEXT) | instid1(VALU_DEP_3)
	v_cndmask_b32_e64 v0, v35, v21, s0
	v_cndmask_b32_e64 v35, v36, v22, s0
	s_delay_alu instid0(VALU_DEP_3) | instskip(NEXT) | instid1(VALU_DEP_4)
	v_cndmask_b32_e64 v34, v34, v22, s0
	v_cndmask_b32_e64 v33, v33, v21, s0
	s_delay_alu instid0(VALU_DEP_3) | instskip(SKIP_1) | instid1(VALU_DEP_4)
	v_cndmask_b32_e64 v36, v35, v24, s23
	v_cndmask_b32_e64 v35, v0, v23, s23
	;; [unrolled: 1-line block ×3, first 2 shown]
	s_delay_alu instid0(VALU_DEP_4) | instskip(SKIP_1) | instid1(VALU_DEP_4)
	v_cndmask_b32_e64 v33, v33, v23, s23
	v_dual_mov_b32 v24, v22 :: v_dual_mov_b32 v23, v21
	v_cmp_class_f64_e64 s1, v[35:36], 0x1f8
	s_delay_alu instid0(VALU_DEP_3) | instskip(NEXT) | instid1(VALU_DEP_1)
	v_cmp_neq_f64_e64 s0, v[35:36], v[33:34]
	s_or_b32 s0, s0, s1
	s_delay_alu instid0(SALU_CYCLE_1)
	s_and_saveexec_b32 s17, s0
	s_cbranch_execz .LBB66_120
; %bb.119:
	v_add_f64 v[23:24], v[35:36], -v[33:34]
	s_mov_b32 s0, 0x652b82fe
	s_mov_b32 s1, 0x3ff71547
	;; [unrolled: 1-line block ×10, first 2 shown]
	s_delay_alu instid0(VALU_DEP_1) | instskip(SKIP_2) | instid1(VALU_DEP_1)
	v_mul_f64 v[35:36], v[23:24], s[0:1]
	s_mov_b32 s0, 0xfca7ab0c
	s_mov_b32 s1, 0x3e928af3
	v_rndne_f64_e32 v[35:36], v[35:36]
	s_delay_alu instid0(VALU_DEP_1) | instskip(SKIP_2) | instid1(VALU_DEP_2)
	v_fma_f64 v[37:38], v[35:36], s[18:19], v[23:24]
	v_cvt_i32_f64_e32 v0, v[35:36]
	s_mov_b32 s19, 0x3fe62e42
	v_fma_f64 v[37:38], v[35:36], s[20:21], v[37:38]
	s_mov_b32 s21, 0x3c7abc9e
	s_delay_alu instid0(VALU_DEP_1) | instskip(SKIP_4) | instid1(VALU_DEP_1)
	v_fma_f64 v[39:40], v[37:38], s[22:23], s[0:1]
	s_mov_b32 s0, 0x623fde64
	s_mov_b32 s1, 0x3ec71dee
	;; [unrolled: 1-line block ×4, first 2 shown]
	v_fma_f64 v[39:40], v[37:38], v[39:40], s[0:1]
	s_mov_b32 s0, 0x7c89e6b0
	s_mov_b32 s1, 0x3efa0199
	s_delay_alu instid0(VALU_DEP_1) | instid1(SALU_CYCLE_1)
	v_fma_f64 v[39:40], v[37:38], v[39:40], s[0:1]
	s_mov_b32 s0, 0x14761f6e
	s_mov_b32 s1, 0x3f2a01a0
	s_delay_alu instid0(VALU_DEP_1) | instid1(SALU_CYCLE_1)
	;; [unrolled: 4-line block ×7, first 2 shown]
	v_fma_f64 v[39:40], v[37:38], v[39:40], s[0:1]
	v_cmp_nlt_f64_e64 s0, 0x40900000, v[23:24]
	v_cmp_ngt_f64_e64 s1, 0xc090cc00, v[23:24]
	s_delay_alu instid0(VALU_DEP_3) | instskip(NEXT) | instid1(VALU_DEP_1)
	v_fma_f64 v[39:40], v[37:38], v[39:40], 1.0
	v_fma_f64 v[35:36], v[37:38], v[39:40], 1.0
	s_delay_alu instid0(VALU_DEP_1) | instskip(NEXT) | instid1(VALU_DEP_1)
	v_ldexp_f64 v[35:36], v[35:36], v0
	v_cndmask_b32_e64 v0, 0x7ff00000, v36, s0
	s_and_b32 s0, s1, s0
	s_delay_alu instid0(VALU_DEP_2) | instid1(SALU_CYCLE_1)
	v_cndmask_b32_e64 v23, 0, v35, s0
	s_mov_b32 s0, 0x55555555
	s_delay_alu instid0(VALU_DEP_2) | instskip(SKIP_1) | instid1(VALU_DEP_1)
	v_cndmask_b32_e64 v24, 0, v0, s1
	s_mov_b32 s1, 0x3fe55555
	v_add_f64 v[35:36], v[23:24], 1.0
	s_delay_alu instid0(VALU_DEP_1) | instskip(SKIP_2) | instid1(VALU_DEP_3)
	v_frexp_mant_f64_e32 v[37:38], v[35:36]
	v_frexp_exp_i32_f64_e32 v0, v[35:36]
	v_add_f64 v[39:40], v[35:36], -1.0
	v_cmp_gt_f64_e64 s0, s[0:1], v[37:38]
	s_delay_alu instid0(VALU_DEP_2) | instskip(SKIP_1) | instid1(VALU_DEP_3)
	v_add_f64 v[37:38], v[39:40], -v[35:36]
	v_add_f64 v[39:40], v[23:24], -v[39:40]
	v_subrev_co_ci_u32_e64 v0, s0, 0, v0, s0
	s_delay_alu instid0(VALU_DEP_3) | instskip(SKIP_1) | instid1(VALU_DEP_2)
	v_add_f64 v[37:38], v[37:38], 1.0
	s_mov_b32 s0, 0x55555780
	v_sub_nc_u32_e32 v43, 0, v0
	s_delay_alu instid0(VALU_DEP_1) | instskip(NEXT) | instid1(VALU_DEP_3)
	v_ldexp_f64 v[35:36], v[35:36], v43
	v_add_f64 v[37:38], v[39:40], v[37:38]
	s_delay_alu instid0(VALU_DEP_2) | instskip(SKIP_1) | instid1(VALU_DEP_3)
	v_add_f64 v[41:42], v[35:36], 1.0
	v_add_f64 v[63:64], v[35:36], -1.0
	v_ldexp_f64 v[37:38], v[37:38], v43
	s_delay_alu instid0(VALU_DEP_3) | instskip(NEXT) | instid1(VALU_DEP_3)
	v_add_f64 v[39:40], v[41:42], -1.0
	v_add_f64 v[65:66], v[63:64], 1.0
	s_delay_alu instid0(VALU_DEP_2) | instskip(NEXT) | instid1(VALU_DEP_2)
	v_add_f64 v[39:40], v[35:36], -v[39:40]
	v_add_f64 v[35:36], v[35:36], -v[65:66]
	s_delay_alu instid0(VALU_DEP_2) | instskip(NEXT) | instid1(VALU_DEP_2)
	v_add_f64 v[39:40], v[37:38], v[39:40]
	v_add_f64 v[35:36], v[37:38], v[35:36]
	s_delay_alu instid0(VALU_DEP_2) | instskip(NEXT) | instid1(VALU_DEP_2)
	v_add_f64 v[43:44], v[41:42], v[39:40]
	v_add_f64 v[65:66], v[63:64], v[35:36]
	s_delay_alu instid0(VALU_DEP_2) | instskip(SKIP_1) | instid1(VALU_DEP_2)
	v_rcp_f64_e32 v[45:46], v[43:44]
	v_add_f64 v[41:42], v[43:44], -v[41:42]
	v_add_f64 v[63:64], v[65:66], -v[63:64]
	s_delay_alu instid0(VALU_DEP_2) | instskip(SKIP_3) | instid1(VALU_DEP_2)
	v_add_f64 v[39:40], v[39:40], -v[41:42]
	s_waitcnt_depctr 0xfff
	v_fma_f64 v[67:68], -v[43:44], v[45:46], 1.0
	v_add_f64 v[35:36], v[35:36], -v[63:64]
	v_fma_f64 v[45:46], v[67:68], v[45:46], v[45:46]
	s_delay_alu instid0(VALU_DEP_1) | instskip(NEXT) | instid1(VALU_DEP_1)
	v_fma_f64 v[37:38], -v[43:44], v[45:46], 1.0
	v_fma_f64 v[37:38], v[37:38], v[45:46], v[45:46]
	s_delay_alu instid0(VALU_DEP_1) | instskip(NEXT) | instid1(VALU_DEP_1)
	v_mul_f64 v[45:46], v[65:66], v[37:38]
	v_mul_f64 v[67:68], v[43:44], v[45:46]
	s_delay_alu instid0(VALU_DEP_1) | instskip(NEXT) | instid1(VALU_DEP_1)
	v_fma_f64 v[41:42], v[45:46], v[43:44], -v[67:68]
	v_fma_f64 v[41:42], v[45:46], v[39:40], v[41:42]
	s_waitcnt lgkmcnt(0)
	s_delay_alu instid0(VALU_DEP_1) | instskip(NEXT) | instid1(VALU_DEP_1)
	v_add_f64 v[69:70], v[67:68], v[41:42]
	v_add_f64 v[71:72], v[65:66], -v[69:70]
	v_add_f64 v[63:64], v[69:70], -v[67:68]
	s_delay_alu instid0(VALU_DEP_2) | instskip(NEXT) | instid1(VALU_DEP_2)
	v_add_f64 v[65:66], v[65:66], -v[71:72]
	v_add_f64 v[41:42], v[63:64], -v[41:42]
	s_delay_alu instid0(VALU_DEP_2) | instskip(NEXT) | instid1(VALU_DEP_1)
	v_add_f64 v[65:66], v[65:66], -v[69:70]
	v_add_f64 v[35:36], v[35:36], v[65:66]
	s_delay_alu instid0(VALU_DEP_1) | instskip(NEXT) | instid1(VALU_DEP_1)
	v_add_f64 v[35:36], v[41:42], v[35:36]
	v_add_f64 v[41:42], v[71:72], v[35:36]
	s_delay_alu instid0(VALU_DEP_1) | instskip(SKIP_1) | instid1(VALU_DEP_2)
	v_mul_f64 v[63:64], v[37:38], v[41:42]
	v_add_f64 v[69:70], v[71:72], -v[41:42]
	v_mul_f64 v[65:66], v[43:44], v[63:64]
	s_delay_alu instid0(VALU_DEP_2) | instskip(NEXT) | instid1(VALU_DEP_2)
	v_add_f64 v[35:36], v[35:36], v[69:70]
	v_fma_f64 v[43:44], v[63:64], v[43:44], -v[65:66]
	s_delay_alu instid0(VALU_DEP_1) | instskip(NEXT) | instid1(VALU_DEP_1)
	v_fma_f64 v[39:40], v[63:64], v[39:40], v[43:44]
	v_add_f64 v[43:44], v[65:66], v[39:40]
	s_delay_alu instid0(VALU_DEP_1) | instskip(SKIP_1) | instid1(VALU_DEP_2)
	v_add_f64 v[67:68], v[41:42], -v[43:44]
	v_add_f64 v[65:66], v[43:44], -v[65:66]
	;; [unrolled: 1-line block ×3, first 2 shown]
	s_delay_alu instid0(VALU_DEP_2) | instskip(NEXT) | instid1(VALU_DEP_2)
	v_add_f64 v[39:40], v[65:66], -v[39:40]
	v_add_f64 v[41:42], v[41:42], -v[43:44]
	s_delay_alu instid0(VALU_DEP_1) | instskip(SKIP_1) | instid1(VALU_DEP_2)
	v_add_f64 v[35:36], v[35:36], v[41:42]
	v_add_f64 v[41:42], v[45:46], v[63:64]
	;; [unrolled: 1-line block ×3, first 2 shown]
	s_delay_alu instid0(VALU_DEP_2) | instskip(NEXT) | instid1(VALU_DEP_2)
	v_add_f64 v[39:40], v[41:42], -v[45:46]
	v_add_f64 v[35:36], v[67:68], v[35:36]
	s_delay_alu instid0(VALU_DEP_2) | instskip(NEXT) | instid1(VALU_DEP_2)
	v_add_f64 v[39:40], v[63:64], -v[39:40]
	v_mul_f64 v[35:36], v[37:38], v[35:36]
	s_delay_alu instid0(VALU_DEP_1) | instskip(NEXT) | instid1(VALU_DEP_1)
	v_add_f64 v[35:36], v[39:40], v[35:36]
	v_add_f64 v[37:38], v[41:42], v[35:36]
	s_delay_alu instid0(VALU_DEP_1) | instskip(NEXT) | instid1(VALU_DEP_1)
	v_mul_f64 v[39:40], v[37:38], v[37:38]
	v_fma_f64 v[43:44], v[39:40], s[36:37], s[22:23]
	s_mov_b32 s22, 0xd7f4df2e
	s_mov_b32 s23, 0x3fc7474d
	v_mul_f64 v[45:46], v[37:38], v[39:40]
	s_delay_alu instid0(VALU_DEP_2)
	v_fma_f64 v[43:44], v[39:40], v[43:44], s[22:23]
	s_mov_b32 s22, 0x16291751
	s_mov_b32 s23, 0x3fcc71c0
	s_delay_alu instid0(VALU_DEP_1) | instid1(SALU_CYCLE_1)
	v_fma_f64 v[43:44], v[39:40], v[43:44], s[22:23]
	s_mov_b32 s22, 0x9b27acf1
	s_mov_b32 s23, 0x3fd24924
	s_delay_alu instid0(VALU_DEP_1) | instid1(SALU_CYCLE_1)
	;; [unrolled: 4-line block ×3, first 2 shown]
	v_fma_f64 v[43:44], v[39:40], v[43:44], s[22:23]
	s_delay_alu instid0(VALU_DEP_1) | instskip(SKIP_3) | instid1(VALU_DEP_4)
	v_fma_f64 v[39:40], v[39:40], v[43:44], s[0:1]
	v_ldexp_f64 v[43:44], v[37:38], 1
	v_add_f64 v[37:38], v[37:38], -v[41:42]
	v_cmp_eq_f64_e64 s0, 0x7ff00000, v[23:24]
	v_mul_f64 v[39:40], v[45:46], v[39:40]
	v_cvt_f64_i32_e32 v[45:46], v0
	s_delay_alu instid0(VALU_DEP_4) | instskip(NEXT) | instid1(VALU_DEP_3)
	v_add_f64 v[35:36], v[35:36], -v[37:38]
	v_add_f64 v[41:42], v[43:44], v[39:40]
	s_delay_alu instid0(VALU_DEP_3) | instskip(NEXT) | instid1(VALU_DEP_3)
	v_mul_f64 v[63:64], v[45:46], s[18:19]
	v_ldexp_f64 v[35:36], v[35:36], 1
	s_delay_alu instid0(VALU_DEP_3) | instskip(NEXT) | instid1(VALU_DEP_3)
	v_add_f64 v[37:38], v[41:42], -v[43:44]
	v_fma_f64 v[43:44], v[45:46], s[18:19], -v[63:64]
	s_delay_alu instid0(VALU_DEP_2) | instskip(NEXT) | instid1(VALU_DEP_2)
	v_add_f64 v[37:38], v[39:40], -v[37:38]
	v_fma_f64 v[39:40], v[45:46], s[20:21], v[43:44]
	s_delay_alu instid0(VALU_DEP_2) | instskip(NEXT) | instid1(VALU_DEP_2)
	v_add_f64 v[35:36], v[35:36], v[37:38]
	v_add_f64 v[37:38], v[63:64], v[39:40]
	s_delay_alu instid0(VALU_DEP_2) | instskip(NEXT) | instid1(VALU_DEP_2)
	v_add_f64 v[43:44], v[41:42], v[35:36]
	v_add_f64 v[63:64], v[37:38], -v[63:64]
	s_delay_alu instid0(VALU_DEP_2) | instskip(SKIP_1) | instid1(VALU_DEP_3)
	v_add_f64 v[45:46], v[37:38], v[43:44]
	v_add_f64 v[41:42], v[43:44], -v[41:42]
	v_add_f64 v[39:40], v[39:40], -v[63:64]
	s_delay_alu instid0(VALU_DEP_3) | instskip(NEXT) | instid1(VALU_DEP_3)
	v_add_f64 v[65:66], v[45:46], -v[37:38]
	v_add_f64 v[35:36], v[35:36], -v[41:42]
	s_delay_alu instid0(VALU_DEP_2) | instskip(SKIP_1) | instid1(VALU_DEP_3)
	v_add_f64 v[67:68], v[45:46], -v[65:66]
	v_add_f64 v[41:42], v[43:44], -v[65:66]
	v_add_f64 v[43:44], v[39:40], v[35:36]
	s_delay_alu instid0(VALU_DEP_3) | instskip(NEXT) | instid1(VALU_DEP_1)
	v_add_f64 v[37:38], v[37:38], -v[67:68]
	v_add_f64 v[37:38], v[41:42], v[37:38]
	s_delay_alu instid0(VALU_DEP_3) | instskip(NEXT) | instid1(VALU_DEP_2)
	v_add_f64 v[41:42], v[43:44], -v[39:40]
	v_add_f64 v[37:38], v[43:44], v[37:38]
	s_delay_alu instid0(VALU_DEP_2) | instskip(SKIP_1) | instid1(VALU_DEP_3)
	v_add_f64 v[43:44], v[43:44], -v[41:42]
	v_add_f64 v[35:36], v[35:36], -v[41:42]
	v_add_f64 v[63:64], v[45:46], v[37:38]
	s_delay_alu instid0(VALU_DEP_3) | instskip(NEXT) | instid1(VALU_DEP_2)
	v_add_f64 v[39:40], v[39:40], -v[43:44]
	v_add_f64 v[41:42], v[63:64], -v[45:46]
	s_delay_alu instid0(VALU_DEP_2) | instskip(NEXT) | instid1(VALU_DEP_2)
	v_add_f64 v[35:36], v[35:36], v[39:40]
	v_add_f64 v[37:38], v[37:38], -v[41:42]
	s_delay_alu instid0(VALU_DEP_1) | instskip(NEXT) | instid1(VALU_DEP_1)
	v_add_f64 v[35:36], v[35:36], v[37:38]
	v_add_f64 v[35:36], v[63:64], v[35:36]
	s_delay_alu instid0(VALU_DEP_1) | instskip(NEXT) | instid1(VALU_DEP_2)
	v_cndmask_b32_e64 v0, v35, v23, s0
	v_cndmask_b32_e64 v35, v36, v24, s0
	v_cmp_ngt_f64_e64 s0, -1.0, v[23:24]
	s_delay_alu instid0(VALU_DEP_1) | instskip(SKIP_1) | instid1(VALU_DEP_1)
	v_cndmask_b32_e64 v36, 0x7ff80000, v35, s0
	v_cmp_nge_f64_e64 s0, -1.0, v[23:24]
	v_cndmask_b32_e64 v35, 0, v0, s0
	v_cmp_neq_f64_e64 s0, -1.0, v[23:24]
	s_delay_alu instid0(VALU_DEP_1) | instskip(NEXT) | instid1(VALU_DEP_1)
	v_cndmask_b32_e64 v36, 0xfff00000, v36, s0
	v_add_f64 v[23:24], v[33:34], v[35:36]
.LBB66_120:
	s_or_b32 exec_lo, exec_lo, s17
	s_delay_alu instid0(VALU_DEP_1) | instskip(SKIP_1) | instid1(VALU_DEP_2)
	v_max_f64 v[33:34], v[23:24], v[23:24]
	v_cmp_u_f64_e64 s0, v[23:24], v[23:24]
	v_min_f64 v[35:36], v[33:34], v[47:48]
	v_max_f64 v[33:34], v[33:34], v[47:48]
	s_delay_alu instid0(VALU_DEP_2) | instskip(NEXT) | instid1(VALU_DEP_3)
	v_cndmask_b32_e64 v0, v35, v23, s0
	v_cndmask_b32_e64 v35, v36, v24, s0
	s_delay_alu instid0(VALU_DEP_3) | instskip(NEXT) | instid1(VALU_DEP_4)
	v_cndmask_b32_e64 v34, v34, v24, s0
	v_cndmask_b32_e64 v33, v33, v23, s0
	s_delay_alu instid0(VALU_DEP_3) | instskip(SKIP_1) | instid1(VALU_DEP_4)
	v_cndmask_b32_e64 v36, v35, v18, s24
	v_cndmask_b32_e64 v35, v0, v17, s24
	;; [unrolled: 1-line block ×3, first 2 shown]
	s_delay_alu instid0(VALU_DEP_4) | instskip(SKIP_1) | instid1(VALU_DEP_4)
	v_cndmask_b32_e64 v33, v33, v17, s24
	v_dual_mov_b32 v17, v23 :: v_dual_mov_b32 v18, v24
	v_cmp_class_f64_e64 s1, v[35:36], 0x1f8
	s_delay_alu instid0(VALU_DEP_3) | instskip(NEXT) | instid1(VALU_DEP_1)
	v_cmp_neq_f64_e64 s0, v[35:36], v[33:34]
	s_or_b32 s0, s0, s1
	s_delay_alu instid0(SALU_CYCLE_1)
	s_and_saveexec_b32 s17, s0
	s_cbranch_execz .LBB66_122
; %bb.121:
	v_add_f64 v[17:18], v[35:36], -v[33:34]
	s_mov_b32 s0, 0x652b82fe
	s_mov_b32 s1, 0x3ff71547
	;; [unrolled: 1-line block ×10, first 2 shown]
	s_delay_alu instid0(VALU_DEP_1) | instskip(SKIP_2) | instid1(VALU_DEP_1)
	v_mul_f64 v[35:36], v[17:18], s[0:1]
	s_mov_b32 s0, 0xfca7ab0c
	s_mov_b32 s1, 0x3e928af3
	v_rndne_f64_e32 v[35:36], v[35:36]
	s_delay_alu instid0(VALU_DEP_1) | instskip(SKIP_2) | instid1(VALU_DEP_2)
	v_fma_f64 v[37:38], v[35:36], s[18:19], v[17:18]
	v_cvt_i32_f64_e32 v0, v[35:36]
	s_mov_b32 s19, 0x3fe62e42
	v_fma_f64 v[37:38], v[35:36], s[20:21], v[37:38]
	s_mov_b32 s21, 0x3c7abc9e
	s_delay_alu instid0(VALU_DEP_1) | instskip(SKIP_4) | instid1(VALU_DEP_1)
	v_fma_f64 v[39:40], v[37:38], s[22:23], s[0:1]
	s_mov_b32 s0, 0x623fde64
	s_mov_b32 s1, 0x3ec71dee
	;; [unrolled: 1-line block ×4, first 2 shown]
	v_fma_f64 v[39:40], v[37:38], v[39:40], s[0:1]
	s_mov_b32 s0, 0x7c89e6b0
	s_mov_b32 s1, 0x3efa0199
	s_delay_alu instid0(VALU_DEP_1) | instid1(SALU_CYCLE_1)
	v_fma_f64 v[39:40], v[37:38], v[39:40], s[0:1]
	s_mov_b32 s0, 0x14761f6e
	s_mov_b32 s1, 0x3f2a01a0
	s_delay_alu instid0(VALU_DEP_1) | instid1(SALU_CYCLE_1)
	;; [unrolled: 4-line block ×7, first 2 shown]
	v_fma_f64 v[39:40], v[37:38], v[39:40], s[0:1]
	v_cmp_nlt_f64_e64 s0, 0x40900000, v[17:18]
	v_cmp_ngt_f64_e64 s1, 0xc090cc00, v[17:18]
	s_delay_alu instid0(VALU_DEP_3) | instskip(NEXT) | instid1(VALU_DEP_1)
	v_fma_f64 v[39:40], v[37:38], v[39:40], 1.0
	v_fma_f64 v[35:36], v[37:38], v[39:40], 1.0
	s_delay_alu instid0(VALU_DEP_1) | instskip(NEXT) | instid1(VALU_DEP_1)
	v_ldexp_f64 v[35:36], v[35:36], v0
	v_cndmask_b32_e64 v0, 0x7ff00000, v36, s0
	s_and_b32 s0, s1, s0
	s_delay_alu instid0(VALU_DEP_2) | instid1(SALU_CYCLE_1)
	v_cndmask_b32_e64 v17, 0, v35, s0
	s_mov_b32 s0, 0x55555555
	s_delay_alu instid0(VALU_DEP_2) | instskip(SKIP_1) | instid1(VALU_DEP_1)
	v_cndmask_b32_e64 v18, 0, v0, s1
	s_mov_b32 s1, 0x3fe55555
	v_add_f64 v[35:36], v[17:18], 1.0
	s_delay_alu instid0(VALU_DEP_1) | instskip(SKIP_2) | instid1(VALU_DEP_3)
	v_frexp_mant_f64_e32 v[37:38], v[35:36]
	v_frexp_exp_i32_f64_e32 v0, v[35:36]
	v_add_f64 v[39:40], v[35:36], -1.0
	v_cmp_gt_f64_e64 s0, s[0:1], v[37:38]
	s_delay_alu instid0(VALU_DEP_2) | instskip(SKIP_1) | instid1(VALU_DEP_3)
	v_add_f64 v[37:38], v[39:40], -v[35:36]
	v_add_f64 v[39:40], v[17:18], -v[39:40]
	v_subrev_co_ci_u32_e64 v0, s0, 0, v0, s0
	s_delay_alu instid0(VALU_DEP_3) | instskip(SKIP_1) | instid1(VALU_DEP_2)
	v_add_f64 v[37:38], v[37:38], 1.0
	s_mov_b32 s0, 0x55555780
	v_sub_nc_u32_e32 v43, 0, v0
	s_delay_alu instid0(VALU_DEP_1) | instskip(NEXT) | instid1(VALU_DEP_3)
	v_ldexp_f64 v[35:36], v[35:36], v43
	v_add_f64 v[37:38], v[39:40], v[37:38]
	s_delay_alu instid0(VALU_DEP_2) | instskip(SKIP_1) | instid1(VALU_DEP_3)
	v_add_f64 v[41:42], v[35:36], 1.0
	v_add_f64 v[47:48], v[35:36], -1.0
	v_ldexp_f64 v[37:38], v[37:38], v43
	s_delay_alu instid0(VALU_DEP_3) | instskip(NEXT) | instid1(VALU_DEP_3)
	v_add_f64 v[39:40], v[41:42], -1.0
	v_add_f64 v[63:64], v[47:48], 1.0
	s_delay_alu instid0(VALU_DEP_2) | instskip(NEXT) | instid1(VALU_DEP_2)
	v_add_f64 v[39:40], v[35:36], -v[39:40]
	v_add_f64 v[35:36], v[35:36], -v[63:64]
	s_delay_alu instid0(VALU_DEP_2) | instskip(NEXT) | instid1(VALU_DEP_2)
	v_add_f64 v[39:40], v[37:38], v[39:40]
	v_add_f64 v[35:36], v[37:38], v[35:36]
	s_delay_alu instid0(VALU_DEP_2) | instskip(NEXT) | instid1(VALU_DEP_2)
	v_add_f64 v[43:44], v[41:42], v[39:40]
	v_add_f64 v[63:64], v[47:48], v[35:36]
	s_delay_alu instid0(VALU_DEP_2) | instskip(SKIP_1) | instid1(VALU_DEP_2)
	v_rcp_f64_e32 v[45:46], v[43:44]
	v_add_f64 v[41:42], v[43:44], -v[41:42]
	v_add_f64 v[47:48], v[63:64], -v[47:48]
	s_delay_alu instid0(VALU_DEP_2) | instskip(SKIP_3) | instid1(VALU_DEP_2)
	v_add_f64 v[39:40], v[39:40], -v[41:42]
	s_waitcnt_depctr 0xfff
	v_fma_f64 v[65:66], -v[43:44], v[45:46], 1.0
	v_add_f64 v[35:36], v[35:36], -v[47:48]
	v_fma_f64 v[45:46], v[65:66], v[45:46], v[45:46]
	s_delay_alu instid0(VALU_DEP_1) | instskip(NEXT) | instid1(VALU_DEP_1)
	v_fma_f64 v[37:38], -v[43:44], v[45:46], 1.0
	v_fma_f64 v[37:38], v[37:38], v[45:46], v[45:46]
	s_delay_alu instid0(VALU_DEP_1) | instskip(NEXT) | instid1(VALU_DEP_1)
	v_mul_f64 v[45:46], v[63:64], v[37:38]
	v_mul_f64 v[65:66], v[43:44], v[45:46]
	s_delay_alu instid0(VALU_DEP_1) | instskip(NEXT) | instid1(VALU_DEP_1)
	v_fma_f64 v[41:42], v[45:46], v[43:44], -v[65:66]
	v_fma_f64 v[41:42], v[45:46], v[39:40], v[41:42]
	s_delay_alu instid0(VALU_DEP_1) | instskip(SKIP_1) | instid1(VALU_DEP_1)
	v_add_f64 v[67:68], v[65:66], v[41:42]
	s_waitcnt lgkmcnt(0)
	v_add_f64 v[69:70], v[63:64], -v[67:68]
	v_add_f64 v[47:48], v[67:68], -v[65:66]
	s_delay_alu instid0(VALU_DEP_2) | instskip(NEXT) | instid1(VALU_DEP_2)
	v_add_f64 v[63:64], v[63:64], -v[69:70]
	v_add_f64 v[41:42], v[47:48], -v[41:42]
	s_delay_alu instid0(VALU_DEP_2) | instskip(NEXT) | instid1(VALU_DEP_1)
	v_add_f64 v[63:64], v[63:64], -v[67:68]
	v_add_f64 v[35:36], v[35:36], v[63:64]
	s_delay_alu instid0(VALU_DEP_1) | instskip(NEXT) | instid1(VALU_DEP_1)
	v_add_f64 v[35:36], v[41:42], v[35:36]
	v_add_f64 v[41:42], v[69:70], v[35:36]
	s_delay_alu instid0(VALU_DEP_1) | instskip(SKIP_1) | instid1(VALU_DEP_2)
	v_mul_f64 v[47:48], v[37:38], v[41:42]
	v_add_f64 v[67:68], v[69:70], -v[41:42]
	v_mul_f64 v[63:64], v[43:44], v[47:48]
	s_delay_alu instid0(VALU_DEP_2) | instskip(NEXT) | instid1(VALU_DEP_2)
	v_add_f64 v[35:36], v[35:36], v[67:68]
	v_fma_f64 v[43:44], v[47:48], v[43:44], -v[63:64]
	s_delay_alu instid0(VALU_DEP_1) | instskip(NEXT) | instid1(VALU_DEP_1)
	v_fma_f64 v[39:40], v[47:48], v[39:40], v[43:44]
	v_add_f64 v[43:44], v[63:64], v[39:40]
	s_delay_alu instid0(VALU_DEP_1) | instskip(SKIP_1) | instid1(VALU_DEP_2)
	v_add_f64 v[65:66], v[41:42], -v[43:44]
	v_add_f64 v[63:64], v[43:44], -v[63:64]
	;; [unrolled: 1-line block ×3, first 2 shown]
	s_delay_alu instid0(VALU_DEP_2) | instskip(NEXT) | instid1(VALU_DEP_2)
	v_add_f64 v[39:40], v[63:64], -v[39:40]
	v_add_f64 v[41:42], v[41:42], -v[43:44]
	s_delay_alu instid0(VALU_DEP_1) | instskip(SKIP_1) | instid1(VALU_DEP_2)
	v_add_f64 v[35:36], v[35:36], v[41:42]
	v_add_f64 v[41:42], v[45:46], v[47:48]
	;; [unrolled: 1-line block ×3, first 2 shown]
	s_delay_alu instid0(VALU_DEP_2) | instskip(NEXT) | instid1(VALU_DEP_2)
	v_add_f64 v[39:40], v[41:42], -v[45:46]
	v_add_f64 v[35:36], v[65:66], v[35:36]
	s_delay_alu instid0(VALU_DEP_2) | instskip(NEXT) | instid1(VALU_DEP_2)
	v_add_f64 v[39:40], v[47:48], -v[39:40]
	v_mul_f64 v[35:36], v[37:38], v[35:36]
	s_delay_alu instid0(VALU_DEP_1) | instskip(NEXT) | instid1(VALU_DEP_1)
	v_add_f64 v[35:36], v[39:40], v[35:36]
	v_add_f64 v[37:38], v[41:42], v[35:36]
	s_delay_alu instid0(VALU_DEP_1) | instskip(NEXT) | instid1(VALU_DEP_1)
	v_mul_f64 v[39:40], v[37:38], v[37:38]
	v_fma_f64 v[43:44], v[39:40], s[36:37], s[22:23]
	s_mov_b32 s22, 0xd7f4df2e
	s_mov_b32 s23, 0x3fc7474d
	v_mul_f64 v[45:46], v[37:38], v[39:40]
	s_delay_alu instid0(VALU_DEP_2)
	v_fma_f64 v[43:44], v[39:40], v[43:44], s[22:23]
	s_mov_b32 s22, 0x16291751
	s_mov_b32 s23, 0x3fcc71c0
	s_delay_alu instid0(VALU_DEP_1) | instid1(SALU_CYCLE_1)
	v_fma_f64 v[43:44], v[39:40], v[43:44], s[22:23]
	s_mov_b32 s22, 0x9b27acf1
	s_mov_b32 s23, 0x3fd24924
	s_delay_alu instid0(VALU_DEP_1) | instid1(SALU_CYCLE_1)
	;; [unrolled: 4-line block ×3, first 2 shown]
	v_fma_f64 v[43:44], v[39:40], v[43:44], s[22:23]
	s_delay_alu instid0(VALU_DEP_1) | instskip(SKIP_3) | instid1(VALU_DEP_4)
	v_fma_f64 v[39:40], v[39:40], v[43:44], s[0:1]
	v_ldexp_f64 v[43:44], v[37:38], 1
	v_add_f64 v[37:38], v[37:38], -v[41:42]
	v_cmp_eq_f64_e64 s0, 0x7ff00000, v[17:18]
	v_mul_f64 v[39:40], v[45:46], v[39:40]
	v_cvt_f64_i32_e32 v[45:46], v0
	s_delay_alu instid0(VALU_DEP_4) | instskip(NEXT) | instid1(VALU_DEP_3)
	v_add_f64 v[35:36], v[35:36], -v[37:38]
	v_add_f64 v[41:42], v[43:44], v[39:40]
	s_delay_alu instid0(VALU_DEP_3) | instskip(NEXT) | instid1(VALU_DEP_3)
	v_mul_f64 v[47:48], v[45:46], s[18:19]
	v_ldexp_f64 v[35:36], v[35:36], 1
	s_delay_alu instid0(VALU_DEP_3) | instskip(NEXT) | instid1(VALU_DEP_3)
	v_add_f64 v[37:38], v[41:42], -v[43:44]
	v_fma_f64 v[43:44], v[45:46], s[18:19], -v[47:48]
	s_delay_alu instid0(VALU_DEP_2) | instskip(NEXT) | instid1(VALU_DEP_2)
	v_add_f64 v[37:38], v[39:40], -v[37:38]
	v_fma_f64 v[39:40], v[45:46], s[20:21], v[43:44]
	s_delay_alu instid0(VALU_DEP_2) | instskip(NEXT) | instid1(VALU_DEP_2)
	v_add_f64 v[35:36], v[35:36], v[37:38]
	v_add_f64 v[37:38], v[47:48], v[39:40]
	s_delay_alu instid0(VALU_DEP_2) | instskip(NEXT) | instid1(VALU_DEP_2)
	v_add_f64 v[43:44], v[41:42], v[35:36]
	v_add_f64 v[47:48], v[37:38], -v[47:48]
	s_delay_alu instid0(VALU_DEP_2) | instskip(SKIP_1) | instid1(VALU_DEP_3)
	v_add_f64 v[45:46], v[37:38], v[43:44]
	v_add_f64 v[41:42], v[43:44], -v[41:42]
	v_add_f64 v[39:40], v[39:40], -v[47:48]
	s_delay_alu instid0(VALU_DEP_3) | instskip(NEXT) | instid1(VALU_DEP_3)
	v_add_f64 v[63:64], v[45:46], -v[37:38]
	v_add_f64 v[35:36], v[35:36], -v[41:42]
	s_delay_alu instid0(VALU_DEP_2) | instskip(SKIP_1) | instid1(VALU_DEP_3)
	v_add_f64 v[65:66], v[45:46], -v[63:64]
	v_add_f64 v[41:42], v[43:44], -v[63:64]
	v_add_f64 v[43:44], v[39:40], v[35:36]
	s_delay_alu instid0(VALU_DEP_3) | instskip(NEXT) | instid1(VALU_DEP_1)
	v_add_f64 v[37:38], v[37:38], -v[65:66]
	v_add_f64 v[37:38], v[41:42], v[37:38]
	s_delay_alu instid0(VALU_DEP_3) | instskip(NEXT) | instid1(VALU_DEP_2)
	v_add_f64 v[41:42], v[43:44], -v[39:40]
	v_add_f64 v[37:38], v[43:44], v[37:38]
	s_delay_alu instid0(VALU_DEP_2) | instskip(SKIP_1) | instid1(VALU_DEP_3)
	v_add_f64 v[43:44], v[43:44], -v[41:42]
	v_add_f64 v[35:36], v[35:36], -v[41:42]
	v_add_f64 v[47:48], v[45:46], v[37:38]
	s_delay_alu instid0(VALU_DEP_3) | instskip(NEXT) | instid1(VALU_DEP_2)
	v_add_f64 v[39:40], v[39:40], -v[43:44]
	v_add_f64 v[41:42], v[47:48], -v[45:46]
	s_delay_alu instid0(VALU_DEP_2) | instskip(NEXT) | instid1(VALU_DEP_2)
	v_add_f64 v[35:36], v[35:36], v[39:40]
	v_add_f64 v[37:38], v[37:38], -v[41:42]
	s_delay_alu instid0(VALU_DEP_1) | instskip(NEXT) | instid1(VALU_DEP_1)
	v_add_f64 v[35:36], v[35:36], v[37:38]
	v_add_f64 v[35:36], v[47:48], v[35:36]
	s_delay_alu instid0(VALU_DEP_1) | instskip(NEXT) | instid1(VALU_DEP_2)
	v_cndmask_b32_e64 v0, v35, v17, s0
	v_cndmask_b32_e64 v35, v36, v18, s0
	v_cmp_ngt_f64_e64 s0, -1.0, v[17:18]
	s_delay_alu instid0(VALU_DEP_1) | instskip(SKIP_1) | instid1(VALU_DEP_1)
	v_cndmask_b32_e64 v36, 0x7ff80000, v35, s0
	v_cmp_nge_f64_e64 s0, -1.0, v[17:18]
	v_cndmask_b32_e64 v35, 0, v0, s0
	v_cmp_neq_f64_e64 s0, -1.0, v[17:18]
	s_delay_alu instid0(VALU_DEP_1) | instskip(NEXT) | instid1(VALU_DEP_1)
	v_cndmask_b32_e64 v36, 0xfff00000, v36, s0
	v_add_f64 v[17:18], v[33:34], v[35:36]
.LBB66_122:
	s_or_b32 exec_lo, exec_lo, s17
	s_delay_alu instid0(VALU_DEP_1) | instskip(SKIP_1) | instid1(VALU_DEP_2)
	v_max_f64 v[33:34], v[17:18], v[17:18]
	v_cmp_u_f64_e64 s0, v[17:18], v[17:18]
	v_min_f64 v[35:36], v[33:34], v[49:50]
	v_max_f64 v[33:34], v[33:34], v[49:50]
	s_delay_alu instid0(VALU_DEP_2) | instskip(NEXT) | instid1(VALU_DEP_3)
	v_cndmask_b32_e64 v0, v35, v17, s0
	v_cndmask_b32_e64 v35, v36, v18, s0
	s_delay_alu instid0(VALU_DEP_3) | instskip(NEXT) | instid1(VALU_DEP_4)
	v_cndmask_b32_e64 v34, v34, v18, s0
	v_cndmask_b32_e64 v33, v33, v17, s0
	s_delay_alu instid0(VALU_DEP_3) | instskip(SKIP_1) | instid1(VALU_DEP_4)
	v_cndmask_b32_e64 v36, v35, v20, s25
	v_cndmask_b32_e64 v35, v0, v19, s25
	;; [unrolled: 1-line block ×3, first 2 shown]
	s_delay_alu instid0(VALU_DEP_4) | instskip(SKIP_1) | instid1(VALU_DEP_4)
	v_cndmask_b32_e64 v33, v33, v19, s25
	v_dual_mov_b32 v20, v18 :: v_dual_mov_b32 v19, v17
	v_cmp_class_f64_e64 s1, v[35:36], 0x1f8
	s_delay_alu instid0(VALU_DEP_3) | instskip(NEXT) | instid1(VALU_DEP_1)
	v_cmp_neq_f64_e64 s0, v[35:36], v[33:34]
	s_or_b32 s0, s0, s1
	s_delay_alu instid0(SALU_CYCLE_1)
	s_and_saveexec_b32 s17, s0
	s_cbranch_execz .LBB66_124
; %bb.123:
	v_add_f64 v[19:20], v[35:36], -v[33:34]
	s_mov_b32 s0, 0x652b82fe
	s_mov_b32 s1, 0x3ff71547
	;; [unrolled: 1-line block ×10, first 2 shown]
	s_delay_alu instid0(VALU_DEP_1) | instskip(SKIP_2) | instid1(VALU_DEP_1)
	v_mul_f64 v[35:36], v[19:20], s[0:1]
	s_mov_b32 s0, 0xfca7ab0c
	s_mov_b32 s1, 0x3e928af3
	v_rndne_f64_e32 v[35:36], v[35:36]
	s_delay_alu instid0(VALU_DEP_1) | instskip(SKIP_2) | instid1(VALU_DEP_2)
	v_fma_f64 v[37:38], v[35:36], s[18:19], v[19:20]
	v_cvt_i32_f64_e32 v0, v[35:36]
	s_mov_b32 s19, 0x3fe62e42
	v_fma_f64 v[37:38], v[35:36], s[20:21], v[37:38]
	s_mov_b32 s21, 0x3c7abc9e
	s_delay_alu instid0(VALU_DEP_1) | instskip(SKIP_4) | instid1(VALU_DEP_1)
	v_fma_f64 v[39:40], v[37:38], s[22:23], s[0:1]
	s_mov_b32 s0, 0x623fde64
	s_mov_b32 s1, 0x3ec71dee
	s_mov_b32 s22, 0x6b47b09a
	s_mov_b32 s23, 0x3fc38538
	v_fma_f64 v[39:40], v[37:38], v[39:40], s[0:1]
	s_mov_b32 s0, 0x7c89e6b0
	s_mov_b32 s1, 0x3efa0199
	s_delay_alu instid0(VALU_DEP_1) | instid1(SALU_CYCLE_1)
	v_fma_f64 v[39:40], v[37:38], v[39:40], s[0:1]
	s_mov_b32 s0, 0x14761f6e
	s_mov_b32 s1, 0x3f2a01a0
	s_delay_alu instid0(VALU_DEP_1) | instid1(SALU_CYCLE_1)
	;; [unrolled: 4-line block ×7, first 2 shown]
	v_fma_f64 v[39:40], v[37:38], v[39:40], s[0:1]
	v_cmp_nlt_f64_e64 s0, 0x40900000, v[19:20]
	v_cmp_ngt_f64_e64 s1, 0xc090cc00, v[19:20]
	s_delay_alu instid0(VALU_DEP_3) | instskip(NEXT) | instid1(VALU_DEP_1)
	v_fma_f64 v[39:40], v[37:38], v[39:40], 1.0
	v_fma_f64 v[35:36], v[37:38], v[39:40], 1.0
	s_delay_alu instid0(VALU_DEP_1) | instskip(NEXT) | instid1(VALU_DEP_1)
	v_ldexp_f64 v[35:36], v[35:36], v0
	v_cndmask_b32_e64 v0, 0x7ff00000, v36, s0
	s_and_b32 s0, s1, s0
	s_delay_alu instid0(VALU_DEP_2) | instid1(SALU_CYCLE_1)
	v_cndmask_b32_e64 v19, 0, v35, s0
	s_mov_b32 s0, 0x55555555
	s_delay_alu instid0(VALU_DEP_2) | instskip(SKIP_1) | instid1(VALU_DEP_1)
	v_cndmask_b32_e64 v20, 0, v0, s1
	s_mov_b32 s1, 0x3fe55555
	v_add_f64 v[35:36], v[19:20], 1.0
	s_delay_alu instid0(VALU_DEP_1) | instskip(SKIP_2) | instid1(VALU_DEP_3)
	v_frexp_mant_f64_e32 v[37:38], v[35:36]
	v_frexp_exp_i32_f64_e32 v0, v[35:36]
	v_add_f64 v[39:40], v[35:36], -1.0
	v_cmp_gt_f64_e64 s0, s[0:1], v[37:38]
	s_delay_alu instid0(VALU_DEP_2) | instskip(SKIP_1) | instid1(VALU_DEP_3)
	v_add_f64 v[37:38], v[39:40], -v[35:36]
	v_add_f64 v[39:40], v[19:20], -v[39:40]
	v_subrev_co_ci_u32_e64 v0, s0, 0, v0, s0
	s_delay_alu instid0(VALU_DEP_3) | instskip(SKIP_1) | instid1(VALU_DEP_2)
	v_add_f64 v[37:38], v[37:38], 1.0
	s_mov_b32 s0, 0x55555780
	v_sub_nc_u32_e32 v43, 0, v0
	s_delay_alu instid0(VALU_DEP_1) | instskip(NEXT) | instid1(VALU_DEP_3)
	v_ldexp_f64 v[35:36], v[35:36], v43
	v_add_f64 v[37:38], v[39:40], v[37:38]
	s_delay_alu instid0(VALU_DEP_2) | instskip(SKIP_1) | instid1(VALU_DEP_3)
	v_add_f64 v[41:42], v[35:36], 1.0
	v_add_f64 v[47:48], v[35:36], -1.0
	v_ldexp_f64 v[37:38], v[37:38], v43
	s_delay_alu instid0(VALU_DEP_3) | instskip(NEXT) | instid1(VALU_DEP_3)
	v_add_f64 v[39:40], v[41:42], -1.0
	v_add_f64 v[49:50], v[47:48], 1.0
	s_delay_alu instid0(VALU_DEP_2) | instskip(NEXT) | instid1(VALU_DEP_2)
	v_add_f64 v[39:40], v[35:36], -v[39:40]
	v_add_f64 v[35:36], v[35:36], -v[49:50]
	s_delay_alu instid0(VALU_DEP_2) | instskip(NEXT) | instid1(VALU_DEP_2)
	v_add_f64 v[39:40], v[37:38], v[39:40]
	v_add_f64 v[35:36], v[37:38], v[35:36]
	s_delay_alu instid0(VALU_DEP_2) | instskip(NEXT) | instid1(VALU_DEP_2)
	v_add_f64 v[43:44], v[41:42], v[39:40]
	v_add_f64 v[49:50], v[47:48], v[35:36]
	s_delay_alu instid0(VALU_DEP_2) | instskip(SKIP_1) | instid1(VALU_DEP_2)
	v_rcp_f64_e32 v[45:46], v[43:44]
	v_add_f64 v[41:42], v[43:44], -v[41:42]
	v_add_f64 v[47:48], v[49:50], -v[47:48]
	s_delay_alu instid0(VALU_DEP_2) | instskip(SKIP_3) | instid1(VALU_DEP_2)
	v_add_f64 v[39:40], v[39:40], -v[41:42]
	s_waitcnt_depctr 0xfff
	v_fma_f64 v[63:64], -v[43:44], v[45:46], 1.0
	v_add_f64 v[35:36], v[35:36], -v[47:48]
	v_fma_f64 v[45:46], v[63:64], v[45:46], v[45:46]
	s_delay_alu instid0(VALU_DEP_1) | instskip(NEXT) | instid1(VALU_DEP_1)
	v_fma_f64 v[37:38], -v[43:44], v[45:46], 1.0
	v_fma_f64 v[37:38], v[37:38], v[45:46], v[45:46]
	s_delay_alu instid0(VALU_DEP_1) | instskip(NEXT) | instid1(VALU_DEP_1)
	v_mul_f64 v[45:46], v[49:50], v[37:38]
	v_mul_f64 v[63:64], v[43:44], v[45:46]
	s_delay_alu instid0(VALU_DEP_1) | instskip(NEXT) | instid1(VALU_DEP_1)
	v_fma_f64 v[41:42], v[45:46], v[43:44], -v[63:64]
	v_fma_f64 v[41:42], v[45:46], v[39:40], v[41:42]
	s_delay_alu instid0(VALU_DEP_1) | instskip(NEXT) | instid1(VALU_DEP_1)
	v_add_f64 v[65:66], v[63:64], v[41:42]
	v_add_f64 v[67:68], v[49:50], -v[65:66]
	v_add_f64 v[47:48], v[65:66], -v[63:64]
	s_delay_alu instid0(VALU_DEP_2) | instskip(NEXT) | instid1(VALU_DEP_2)
	v_add_f64 v[49:50], v[49:50], -v[67:68]
	v_add_f64 v[41:42], v[47:48], -v[41:42]
	s_delay_alu instid0(VALU_DEP_2) | instskip(NEXT) | instid1(VALU_DEP_1)
	v_add_f64 v[49:50], v[49:50], -v[65:66]
	v_add_f64 v[35:36], v[35:36], v[49:50]
	s_delay_alu instid0(VALU_DEP_1) | instskip(NEXT) | instid1(VALU_DEP_1)
	v_add_f64 v[35:36], v[41:42], v[35:36]
	v_add_f64 v[41:42], v[67:68], v[35:36]
	s_delay_alu instid0(VALU_DEP_1) | instskip(SKIP_1) | instid1(VALU_DEP_2)
	v_mul_f64 v[47:48], v[37:38], v[41:42]
	v_add_f64 v[65:66], v[67:68], -v[41:42]
	v_mul_f64 v[49:50], v[43:44], v[47:48]
	s_delay_alu instid0(VALU_DEP_2) | instskip(NEXT) | instid1(VALU_DEP_2)
	v_add_f64 v[35:36], v[35:36], v[65:66]
	v_fma_f64 v[43:44], v[47:48], v[43:44], -v[49:50]
	s_delay_alu instid0(VALU_DEP_1) | instskip(NEXT) | instid1(VALU_DEP_1)
	v_fma_f64 v[39:40], v[47:48], v[39:40], v[43:44]
	v_add_f64 v[43:44], v[49:50], v[39:40]
	s_delay_alu instid0(VALU_DEP_1) | instskip(SKIP_1) | instid1(VALU_DEP_2)
	v_add_f64 v[63:64], v[41:42], -v[43:44]
	v_add_f64 v[49:50], v[43:44], -v[49:50]
	;; [unrolled: 1-line block ×3, first 2 shown]
	s_delay_alu instid0(VALU_DEP_2) | instskip(NEXT) | instid1(VALU_DEP_2)
	v_add_f64 v[39:40], v[49:50], -v[39:40]
	v_add_f64 v[41:42], v[41:42], -v[43:44]
	s_delay_alu instid0(VALU_DEP_1) | instskip(SKIP_1) | instid1(VALU_DEP_2)
	v_add_f64 v[35:36], v[35:36], v[41:42]
	v_add_f64 v[41:42], v[45:46], v[47:48]
	v_add_f64 v[35:36], v[39:40], v[35:36]
	s_delay_alu instid0(VALU_DEP_2) | instskip(NEXT) | instid1(VALU_DEP_2)
	v_add_f64 v[39:40], v[41:42], -v[45:46]
	v_add_f64 v[35:36], v[63:64], v[35:36]
	s_delay_alu instid0(VALU_DEP_2) | instskip(NEXT) | instid1(VALU_DEP_2)
	v_add_f64 v[39:40], v[47:48], -v[39:40]
	v_mul_f64 v[35:36], v[37:38], v[35:36]
	s_delay_alu instid0(VALU_DEP_1) | instskip(NEXT) | instid1(VALU_DEP_1)
	v_add_f64 v[35:36], v[39:40], v[35:36]
	v_add_f64 v[37:38], v[41:42], v[35:36]
	s_delay_alu instid0(VALU_DEP_1) | instskip(NEXT) | instid1(VALU_DEP_1)
	v_mul_f64 v[39:40], v[37:38], v[37:38]
	v_fma_f64 v[43:44], v[39:40], s[24:25], s[22:23]
	s_mov_b32 s22, 0xd7f4df2e
	s_mov_b32 s23, 0x3fc7474d
	v_mul_f64 v[45:46], v[37:38], v[39:40]
	s_delay_alu instid0(VALU_DEP_2)
	v_fma_f64 v[43:44], v[39:40], v[43:44], s[22:23]
	s_mov_b32 s22, 0x16291751
	s_mov_b32 s23, 0x3fcc71c0
	s_delay_alu instid0(VALU_DEP_1) | instid1(SALU_CYCLE_1)
	v_fma_f64 v[43:44], v[39:40], v[43:44], s[22:23]
	s_mov_b32 s22, 0x9b27acf1
	s_mov_b32 s23, 0x3fd24924
	s_delay_alu instid0(VALU_DEP_1) | instid1(SALU_CYCLE_1)
	;; [unrolled: 4-line block ×3, first 2 shown]
	v_fma_f64 v[43:44], v[39:40], v[43:44], s[22:23]
	s_delay_alu instid0(VALU_DEP_1) | instskip(SKIP_3) | instid1(VALU_DEP_4)
	v_fma_f64 v[39:40], v[39:40], v[43:44], s[0:1]
	v_ldexp_f64 v[43:44], v[37:38], 1
	v_add_f64 v[37:38], v[37:38], -v[41:42]
	v_cmp_eq_f64_e64 s0, 0x7ff00000, v[19:20]
	v_mul_f64 v[39:40], v[45:46], v[39:40]
	v_cvt_f64_i32_e32 v[45:46], v0
	s_delay_alu instid0(VALU_DEP_4) | instskip(NEXT) | instid1(VALU_DEP_3)
	v_add_f64 v[35:36], v[35:36], -v[37:38]
	v_add_f64 v[41:42], v[43:44], v[39:40]
	s_delay_alu instid0(VALU_DEP_3) | instskip(NEXT) | instid1(VALU_DEP_3)
	v_mul_f64 v[47:48], v[45:46], s[18:19]
	v_ldexp_f64 v[35:36], v[35:36], 1
	s_delay_alu instid0(VALU_DEP_3) | instskip(NEXT) | instid1(VALU_DEP_3)
	v_add_f64 v[37:38], v[41:42], -v[43:44]
	v_fma_f64 v[43:44], v[45:46], s[18:19], -v[47:48]
	s_delay_alu instid0(VALU_DEP_2) | instskip(NEXT) | instid1(VALU_DEP_2)
	v_add_f64 v[37:38], v[39:40], -v[37:38]
	v_fma_f64 v[39:40], v[45:46], s[20:21], v[43:44]
	s_delay_alu instid0(VALU_DEP_2) | instskip(NEXT) | instid1(VALU_DEP_2)
	v_add_f64 v[35:36], v[35:36], v[37:38]
	v_add_f64 v[37:38], v[47:48], v[39:40]
	s_delay_alu instid0(VALU_DEP_2) | instskip(NEXT) | instid1(VALU_DEP_2)
	v_add_f64 v[43:44], v[41:42], v[35:36]
	v_add_f64 v[47:48], v[37:38], -v[47:48]
	s_delay_alu instid0(VALU_DEP_2) | instskip(SKIP_1) | instid1(VALU_DEP_3)
	v_add_f64 v[45:46], v[37:38], v[43:44]
	v_add_f64 v[41:42], v[43:44], -v[41:42]
	v_add_f64 v[39:40], v[39:40], -v[47:48]
	s_delay_alu instid0(VALU_DEP_3) | instskip(NEXT) | instid1(VALU_DEP_3)
	v_add_f64 v[49:50], v[45:46], -v[37:38]
	v_add_f64 v[35:36], v[35:36], -v[41:42]
	s_delay_alu instid0(VALU_DEP_2) | instskip(SKIP_1) | instid1(VALU_DEP_3)
	v_add_f64 v[63:64], v[45:46], -v[49:50]
	v_add_f64 v[41:42], v[43:44], -v[49:50]
	v_add_f64 v[43:44], v[39:40], v[35:36]
	s_delay_alu instid0(VALU_DEP_3) | instskip(NEXT) | instid1(VALU_DEP_1)
	v_add_f64 v[37:38], v[37:38], -v[63:64]
	v_add_f64 v[37:38], v[41:42], v[37:38]
	s_delay_alu instid0(VALU_DEP_3) | instskip(NEXT) | instid1(VALU_DEP_2)
	v_add_f64 v[41:42], v[43:44], -v[39:40]
	v_add_f64 v[37:38], v[43:44], v[37:38]
	s_delay_alu instid0(VALU_DEP_2) | instskip(SKIP_1) | instid1(VALU_DEP_3)
	v_add_f64 v[43:44], v[43:44], -v[41:42]
	v_add_f64 v[35:36], v[35:36], -v[41:42]
	v_add_f64 v[47:48], v[45:46], v[37:38]
	s_delay_alu instid0(VALU_DEP_3) | instskip(NEXT) | instid1(VALU_DEP_2)
	v_add_f64 v[39:40], v[39:40], -v[43:44]
	v_add_f64 v[41:42], v[47:48], -v[45:46]
	s_delay_alu instid0(VALU_DEP_2) | instskip(NEXT) | instid1(VALU_DEP_2)
	v_add_f64 v[35:36], v[35:36], v[39:40]
	v_add_f64 v[37:38], v[37:38], -v[41:42]
	s_delay_alu instid0(VALU_DEP_1) | instskip(NEXT) | instid1(VALU_DEP_1)
	v_add_f64 v[35:36], v[35:36], v[37:38]
	v_add_f64 v[35:36], v[47:48], v[35:36]
	s_delay_alu instid0(VALU_DEP_1) | instskip(NEXT) | instid1(VALU_DEP_2)
	v_cndmask_b32_e64 v0, v35, v19, s0
	v_cndmask_b32_e64 v35, v36, v20, s0
	v_cmp_ngt_f64_e64 s0, -1.0, v[19:20]
	s_delay_alu instid0(VALU_DEP_1) | instskip(SKIP_1) | instid1(VALU_DEP_1)
	v_cndmask_b32_e64 v36, 0x7ff80000, v35, s0
	v_cmp_nge_f64_e64 s0, -1.0, v[19:20]
	v_cndmask_b32_e64 v35, 0, v0, s0
	v_cmp_neq_f64_e64 s0, -1.0, v[19:20]
	s_delay_alu instid0(VALU_DEP_1) | instskip(NEXT) | instid1(VALU_DEP_1)
	v_cndmask_b32_e64 v36, 0xfff00000, v36, s0
	v_add_f64 v[19:20], v[33:34], v[35:36]
.LBB66_124:
	s_or_b32 exec_lo, exec_lo, s17
	s_delay_alu instid0(VALU_DEP_1) | instskip(SKIP_1) | instid1(VALU_DEP_2)
	v_max_f64 v[33:34], v[19:20], v[19:20]
	v_cmp_u_f64_e64 s0, v[19:20], v[19:20]
	v_min_f64 v[35:36], v[33:34], v[51:52]
	v_max_f64 v[33:34], v[33:34], v[51:52]
	s_delay_alu instid0(VALU_DEP_2) | instskip(NEXT) | instid1(VALU_DEP_3)
	v_cndmask_b32_e64 v0, v35, v19, s0
	v_cndmask_b32_e64 v35, v36, v20, s0
	s_delay_alu instid0(VALU_DEP_3) | instskip(NEXT) | instid1(VALU_DEP_4)
	v_cndmask_b32_e64 v34, v34, v20, s0
	v_cndmask_b32_e64 v33, v33, v19, s0
	s_delay_alu instid0(VALU_DEP_3) | instskip(SKIP_1) | instid1(VALU_DEP_4)
	v_cndmask_b32_e64 v36, v35, v14, s26
	v_cndmask_b32_e64 v35, v0, v13, s26
	;; [unrolled: 1-line block ×3, first 2 shown]
	s_delay_alu instid0(VALU_DEP_4) | instskip(SKIP_1) | instid1(VALU_DEP_4)
	v_cndmask_b32_e64 v33, v33, v13, s26
	v_dual_mov_b32 v13, v19 :: v_dual_mov_b32 v14, v20
	v_cmp_class_f64_e64 s1, v[35:36], 0x1f8
	s_delay_alu instid0(VALU_DEP_3) | instskip(NEXT) | instid1(VALU_DEP_1)
	v_cmp_neq_f64_e64 s0, v[35:36], v[33:34]
	s_or_b32 s0, s0, s1
	s_delay_alu instid0(SALU_CYCLE_1)
	s_and_saveexec_b32 s17, s0
	s_cbranch_execz .LBB66_126
; %bb.125:
	v_add_f64 v[13:14], v[35:36], -v[33:34]
	s_mov_b32 s0, 0x652b82fe
	s_mov_b32 s1, 0x3ff71547
	;; [unrolled: 1-line block ×10, first 2 shown]
	s_delay_alu instid0(VALU_DEP_1) | instskip(SKIP_2) | instid1(VALU_DEP_1)
	v_mul_f64 v[35:36], v[13:14], s[0:1]
	s_mov_b32 s0, 0xfca7ab0c
	s_mov_b32 s1, 0x3e928af3
	v_rndne_f64_e32 v[35:36], v[35:36]
	s_delay_alu instid0(VALU_DEP_1) | instskip(SKIP_2) | instid1(VALU_DEP_2)
	v_fma_f64 v[37:38], v[35:36], s[18:19], v[13:14]
	v_cvt_i32_f64_e32 v0, v[35:36]
	s_mov_b32 s19, 0x3fe62e42
	v_fma_f64 v[37:38], v[35:36], s[20:21], v[37:38]
	s_mov_b32 s21, 0x3c7abc9e
	s_delay_alu instid0(VALU_DEP_1) | instskip(SKIP_4) | instid1(VALU_DEP_1)
	v_fma_f64 v[39:40], v[37:38], s[22:23], s[0:1]
	s_mov_b32 s0, 0x623fde64
	s_mov_b32 s1, 0x3ec71dee
	;; [unrolled: 1-line block ×4, first 2 shown]
	v_fma_f64 v[39:40], v[37:38], v[39:40], s[0:1]
	s_mov_b32 s0, 0x7c89e6b0
	s_mov_b32 s1, 0x3efa0199
	s_delay_alu instid0(VALU_DEP_1) | instid1(SALU_CYCLE_1)
	v_fma_f64 v[39:40], v[37:38], v[39:40], s[0:1]
	s_mov_b32 s0, 0x14761f6e
	s_mov_b32 s1, 0x3f2a01a0
	s_delay_alu instid0(VALU_DEP_1) | instid1(SALU_CYCLE_1)
	v_fma_f64 v[39:40], v[37:38], v[39:40], s[0:1]
	s_mov_b32 s0, 0x1852b7b0
	s_mov_b32 s1, 0x3f56c16c
	s_delay_alu instid0(VALU_DEP_1) | instid1(SALU_CYCLE_1)
	v_fma_f64 v[39:40], v[37:38], v[39:40], s[0:1]
	s_mov_b32 s0, 0x11122322
	s_mov_b32 s1, 0x3f811111
	s_delay_alu instid0(VALU_DEP_1) | instid1(SALU_CYCLE_1)
	v_fma_f64 v[39:40], v[37:38], v[39:40], s[0:1]
	s_mov_b32 s0, 0x555502a1
	s_mov_b32 s1, 0x3fa55555
	s_delay_alu instid0(VALU_DEP_1) | instid1(SALU_CYCLE_1)
	v_fma_f64 v[39:40], v[37:38], v[39:40], s[0:1]
	s_mov_b32 s0, 0x55555511
	s_mov_b32 s1, 0x3fc55555
	s_delay_alu instid0(VALU_DEP_1) | instid1(SALU_CYCLE_1)
	v_fma_f64 v[39:40], v[37:38], v[39:40], s[0:1]
	s_mov_b32 s0, 11
	s_mov_b32 s1, 0x3fe00000
	s_delay_alu instid0(VALU_DEP_1) | instid1(SALU_CYCLE_1)
	v_fma_f64 v[39:40], v[37:38], v[39:40], s[0:1]
	v_cmp_nlt_f64_e64 s0, 0x40900000, v[13:14]
	v_cmp_ngt_f64_e64 s1, 0xc090cc00, v[13:14]
	s_delay_alu instid0(VALU_DEP_3) | instskip(NEXT) | instid1(VALU_DEP_1)
	v_fma_f64 v[39:40], v[37:38], v[39:40], 1.0
	v_fma_f64 v[35:36], v[37:38], v[39:40], 1.0
	s_delay_alu instid0(VALU_DEP_1) | instskip(NEXT) | instid1(VALU_DEP_1)
	v_ldexp_f64 v[35:36], v[35:36], v0
	v_cndmask_b32_e64 v0, 0x7ff00000, v36, s0
	s_and_b32 s0, s1, s0
	s_delay_alu instid0(VALU_DEP_2) | instid1(SALU_CYCLE_1)
	v_cndmask_b32_e64 v13, 0, v35, s0
	s_mov_b32 s0, 0x55555555
	s_delay_alu instid0(VALU_DEP_2) | instskip(SKIP_1) | instid1(VALU_DEP_1)
	v_cndmask_b32_e64 v14, 0, v0, s1
	s_mov_b32 s1, 0x3fe55555
	v_add_f64 v[35:36], v[13:14], 1.0
	s_delay_alu instid0(VALU_DEP_1) | instskip(SKIP_2) | instid1(VALU_DEP_3)
	v_frexp_mant_f64_e32 v[37:38], v[35:36]
	v_frexp_exp_i32_f64_e32 v0, v[35:36]
	v_add_f64 v[39:40], v[35:36], -1.0
	v_cmp_gt_f64_e64 s0, s[0:1], v[37:38]
	s_delay_alu instid0(VALU_DEP_2) | instskip(SKIP_1) | instid1(VALU_DEP_3)
	v_add_f64 v[37:38], v[39:40], -v[35:36]
	v_add_f64 v[39:40], v[13:14], -v[39:40]
	v_subrev_co_ci_u32_e64 v0, s0, 0, v0, s0
	s_delay_alu instid0(VALU_DEP_3) | instskip(SKIP_1) | instid1(VALU_DEP_2)
	v_add_f64 v[37:38], v[37:38], 1.0
	s_mov_b32 s0, 0x55555780
	v_sub_nc_u32_e32 v43, 0, v0
	s_delay_alu instid0(VALU_DEP_1) | instskip(NEXT) | instid1(VALU_DEP_3)
	v_ldexp_f64 v[35:36], v[35:36], v43
	v_add_f64 v[37:38], v[39:40], v[37:38]
	s_delay_alu instid0(VALU_DEP_2) | instskip(SKIP_1) | instid1(VALU_DEP_3)
	v_add_f64 v[41:42], v[35:36], 1.0
	v_add_f64 v[47:48], v[35:36], -1.0
	v_ldexp_f64 v[37:38], v[37:38], v43
	s_delay_alu instid0(VALU_DEP_3) | instskip(NEXT) | instid1(VALU_DEP_3)
	v_add_f64 v[39:40], v[41:42], -1.0
	v_add_f64 v[49:50], v[47:48], 1.0
	s_delay_alu instid0(VALU_DEP_2) | instskip(NEXT) | instid1(VALU_DEP_2)
	v_add_f64 v[39:40], v[35:36], -v[39:40]
	v_add_f64 v[35:36], v[35:36], -v[49:50]
	s_delay_alu instid0(VALU_DEP_2) | instskip(NEXT) | instid1(VALU_DEP_2)
	v_add_f64 v[39:40], v[37:38], v[39:40]
	v_add_f64 v[35:36], v[37:38], v[35:36]
	s_delay_alu instid0(VALU_DEP_2) | instskip(NEXT) | instid1(VALU_DEP_2)
	v_add_f64 v[43:44], v[41:42], v[39:40]
	v_add_f64 v[49:50], v[47:48], v[35:36]
	s_delay_alu instid0(VALU_DEP_2) | instskip(SKIP_1) | instid1(VALU_DEP_2)
	v_rcp_f64_e32 v[45:46], v[43:44]
	v_add_f64 v[41:42], v[43:44], -v[41:42]
	v_add_f64 v[47:48], v[49:50], -v[47:48]
	s_delay_alu instid0(VALU_DEP_2) | instskip(SKIP_3) | instid1(VALU_DEP_2)
	v_add_f64 v[39:40], v[39:40], -v[41:42]
	s_waitcnt_depctr 0xfff
	v_fma_f64 v[51:52], -v[43:44], v[45:46], 1.0
	v_add_f64 v[35:36], v[35:36], -v[47:48]
	v_fma_f64 v[45:46], v[51:52], v[45:46], v[45:46]
	s_delay_alu instid0(VALU_DEP_1) | instskip(NEXT) | instid1(VALU_DEP_1)
	v_fma_f64 v[37:38], -v[43:44], v[45:46], 1.0
	v_fma_f64 v[37:38], v[37:38], v[45:46], v[45:46]
	s_delay_alu instid0(VALU_DEP_1) | instskip(NEXT) | instid1(VALU_DEP_1)
	v_mul_f64 v[45:46], v[49:50], v[37:38]
	v_mul_f64 v[51:52], v[43:44], v[45:46]
	s_delay_alu instid0(VALU_DEP_1) | instskip(NEXT) | instid1(VALU_DEP_1)
	v_fma_f64 v[41:42], v[45:46], v[43:44], -v[51:52]
	v_fma_f64 v[41:42], v[45:46], v[39:40], v[41:42]
	s_delay_alu instid0(VALU_DEP_1) | instskip(NEXT) | instid1(VALU_DEP_1)
	v_add_f64 v[63:64], v[51:52], v[41:42]
	v_add_f64 v[65:66], v[49:50], -v[63:64]
	v_add_f64 v[47:48], v[63:64], -v[51:52]
	s_delay_alu instid0(VALU_DEP_2) | instskip(NEXT) | instid1(VALU_DEP_2)
	v_add_f64 v[49:50], v[49:50], -v[65:66]
	v_add_f64 v[41:42], v[47:48], -v[41:42]
	s_delay_alu instid0(VALU_DEP_2) | instskip(NEXT) | instid1(VALU_DEP_1)
	v_add_f64 v[49:50], v[49:50], -v[63:64]
	v_add_f64 v[35:36], v[35:36], v[49:50]
	s_delay_alu instid0(VALU_DEP_1) | instskip(NEXT) | instid1(VALU_DEP_1)
	v_add_f64 v[35:36], v[41:42], v[35:36]
	v_add_f64 v[41:42], v[65:66], v[35:36]
	s_delay_alu instid0(VALU_DEP_1) | instskip(SKIP_1) | instid1(VALU_DEP_2)
	v_mul_f64 v[47:48], v[37:38], v[41:42]
	v_add_f64 v[63:64], v[65:66], -v[41:42]
	v_mul_f64 v[49:50], v[43:44], v[47:48]
	s_delay_alu instid0(VALU_DEP_2) | instskip(NEXT) | instid1(VALU_DEP_2)
	v_add_f64 v[35:36], v[35:36], v[63:64]
	v_fma_f64 v[43:44], v[47:48], v[43:44], -v[49:50]
	s_delay_alu instid0(VALU_DEP_1) | instskip(NEXT) | instid1(VALU_DEP_1)
	v_fma_f64 v[39:40], v[47:48], v[39:40], v[43:44]
	v_add_f64 v[43:44], v[49:50], v[39:40]
	s_delay_alu instid0(VALU_DEP_1) | instskip(SKIP_1) | instid1(VALU_DEP_2)
	v_add_f64 v[51:52], v[41:42], -v[43:44]
	v_add_f64 v[49:50], v[43:44], -v[49:50]
	;; [unrolled: 1-line block ×3, first 2 shown]
	s_delay_alu instid0(VALU_DEP_2) | instskip(NEXT) | instid1(VALU_DEP_2)
	v_add_f64 v[39:40], v[49:50], -v[39:40]
	v_add_f64 v[41:42], v[41:42], -v[43:44]
	s_delay_alu instid0(VALU_DEP_1) | instskip(SKIP_1) | instid1(VALU_DEP_2)
	v_add_f64 v[35:36], v[35:36], v[41:42]
	v_add_f64 v[41:42], v[45:46], v[47:48]
	;; [unrolled: 1-line block ×3, first 2 shown]
	s_delay_alu instid0(VALU_DEP_2) | instskip(NEXT) | instid1(VALU_DEP_2)
	v_add_f64 v[39:40], v[41:42], -v[45:46]
	v_add_f64 v[35:36], v[51:52], v[35:36]
	s_delay_alu instid0(VALU_DEP_2) | instskip(NEXT) | instid1(VALU_DEP_2)
	v_add_f64 v[39:40], v[47:48], -v[39:40]
	v_mul_f64 v[35:36], v[37:38], v[35:36]
	s_delay_alu instid0(VALU_DEP_1) | instskip(NEXT) | instid1(VALU_DEP_1)
	v_add_f64 v[35:36], v[39:40], v[35:36]
	v_add_f64 v[37:38], v[41:42], v[35:36]
	s_delay_alu instid0(VALU_DEP_1) | instskip(NEXT) | instid1(VALU_DEP_1)
	v_mul_f64 v[39:40], v[37:38], v[37:38]
	v_fma_f64 v[43:44], v[39:40], s[24:25], s[22:23]
	s_mov_b32 s22, 0xd7f4df2e
	s_mov_b32 s23, 0x3fc7474d
	v_mul_f64 v[45:46], v[37:38], v[39:40]
	s_delay_alu instid0(VALU_DEP_2)
	v_fma_f64 v[43:44], v[39:40], v[43:44], s[22:23]
	s_mov_b32 s22, 0x16291751
	s_mov_b32 s23, 0x3fcc71c0
	s_delay_alu instid0(VALU_DEP_1) | instid1(SALU_CYCLE_1)
	v_fma_f64 v[43:44], v[39:40], v[43:44], s[22:23]
	s_mov_b32 s22, 0x9b27acf1
	s_mov_b32 s23, 0x3fd24924
	s_delay_alu instid0(VALU_DEP_1) | instid1(SALU_CYCLE_1)
	;; [unrolled: 4-line block ×3, first 2 shown]
	v_fma_f64 v[43:44], v[39:40], v[43:44], s[22:23]
	s_delay_alu instid0(VALU_DEP_1) | instskip(SKIP_3) | instid1(VALU_DEP_4)
	v_fma_f64 v[39:40], v[39:40], v[43:44], s[0:1]
	v_ldexp_f64 v[43:44], v[37:38], 1
	v_add_f64 v[37:38], v[37:38], -v[41:42]
	v_cmp_eq_f64_e64 s0, 0x7ff00000, v[13:14]
	v_mul_f64 v[39:40], v[45:46], v[39:40]
	v_cvt_f64_i32_e32 v[45:46], v0
	s_delay_alu instid0(VALU_DEP_4) | instskip(NEXT) | instid1(VALU_DEP_3)
	v_add_f64 v[35:36], v[35:36], -v[37:38]
	v_add_f64 v[41:42], v[43:44], v[39:40]
	s_delay_alu instid0(VALU_DEP_3) | instskip(NEXT) | instid1(VALU_DEP_3)
	v_mul_f64 v[47:48], v[45:46], s[18:19]
	v_ldexp_f64 v[35:36], v[35:36], 1
	s_delay_alu instid0(VALU_DEP_3) | instskip(NEXT) | instid1(VALU_DEP_3)
	v_add_f64 v[37:38], v[41:42], -v[43:44]
	v_fma_f64 v[43:44], v[45:46], s[18:19], -v[47:48]
	s_delay_alu instid0(VALU_DEP_2) | instskip(NEXT) | instid1(VALU_DEP_2)
	v_add_f64 v[37:38], v[39:40], -v[37:38]
	v_fma_f64 v[39:40], v[45:46], s[20:21], v[43:44]
	s_delay_alu instid0(VALU_DEP_2) | instskip(NEXT) | instid1(VALU_DEP_2)
	v_add_f64 v[35:36], v[35:36], v[37:38]
	v_add_f64 v[37:38], v[47:48], v[39:40]
	s_delay_alu instid0(VALU_DEP_2) | instskip(NEXT) | instid1(VALU_DEP_2)
	v_add_f64 v[43:44], v[41:42], v[35:36]
	v_add_f64 v[47:48], v[37:38], -v[47:48]
	s_delay_alu instid0(VALU_DEP_2) | instskip(SKIP_1) | instid1(VALU_DEP_3)
	v_add_f64 v[45:46], v[37:38], v[43:44]
	v_add_f64 v[41:42], v[43:44], -v[41:42]
	v_add_f64 v[39:40], v[39:40], -v[47:48]
	s_delay_alu instid0(VALU_DEP_3) | instskip(NEXT) | instid1(VALU_DEP_3)
	v_add_f64 v[49:50], v[45:46], -v[37:38]
	v_add_f64 v[35:36], v[35:36], -v[41:42]
	s_delay_alu instid0(VALU_DEP_2) | instskip(SKIP_1) | instid1(VALU_DEP_3)
	v_add_f64 v[51:52], v[45:46], -v[49:50]
	v_add_f64 v[41:42], v[43:44], -v[49:50]
	v_add_f64 v[43:44], v[39:40], v[35:36]
	s_delay_alu instid0(VALU_DEP_3) | instskip(NEXT) | instid1(VALU_DEP_1)
	v_add_f64 v[37:38], v[37:38], -v[51:52]
	v_add_f64 v[37:38], v[41:42], v[37:38]
	s_delay_alu instid0(VALU_DEP_3) | instskip(NEXT) | instid1(VALU_DEP_2)
	v_add_f64 v[41:42], v[43:44], -v[39:40]
	v_add_f64 v[37:38], v[43:44], v[37:38]
	s_delay_alu instid0(VALU_DEP_2) | instskip(SKIP_1) | instid1(VALU_DEP_3)
	v_add_f64 v[43:44], v[43:44], -v[41:42]
	v_add_f64 v[35:36], v[35:36], -v[41:42]
	v_add_f64 v[47:48], v[45:46], v[37:38]
	s_delay_alu instid0(VALU_DEP_3) | instskip(NEXT) | instid1(VALU_DEP_2)
	v_add_f64 v[39:40], v[39:40], -v[43:44]
	v_add_f64 v[41:42], v[47:48], -v[45:46]
	s_delay_alu instid0(VALU_DEP_2) | instskip(NEXT) | instid1(VALU_DEP_2)
	v_add_f64 v[35:36], v[35:36], v[39:40]
	v_add_f64 v[37:38], v[37:38], -v[41:42]
	s_delay_alu instid0(VALU_DEP_1) | instskip(NEXT) | instid1(VALU_DEP_1)
	v_add_f64 v[35:36], v[35:36], v[37:38]
	v_add_f64 v[35:36], v[47:48], v[35:36]
	s_delay_alu instid0(VALU_DEP_1) | instskip(NEXT) | instid1(VALU_DEP_2)
	v_cndmask_b32_e64 v0, v35, v13, s0
	v_cndmask_b32_e64 v35, v36, v14, s0
	v_cmp_ngt_f64_e64 s0, -1.0, v[13:14]
	s_delay_alu instid0(VALU_DEP_1) | instskip(SKIP_1) | instid1(VALU_DEP_1)
	v_cndmask_b32_e64 v36, 0x7ff80000, v35, s0
	v_cmp_nge_f64_e64 s0, -1.0, v[13:14]
	v_cndmask_b32_e64 v35, 0, v0, s0
	v_cmp_neq_f64_e64 s0, -1.0, v[13:14]
	s_delay_alu instid0(VALU_DEP_1) | instskip(NEXT) | instid1(VALU_DEP_1)
	v_cndmask_b32_e64 v36, 0xfff00000, v36, s0
	v_add_f64 v[13:14], v[33:34], v[35:36]
.LBB66_126:
	s_or_b32 exec_lo, exec_lo, s17
	s_delay_alu instid0(VALU_DEP_1) | instskip(SKIP_1) | instid1(VALU_DEP_2)
	v_max_f64 v[33:34], v[13:14], v[13:14]
	v_cmp_u_f64_e64 s0, v[13:14], v[13:14]
	v_min_f64 v[35:36], v[33:34], v[53:54]
	v_max_f64 v[33:34], v[33:34], v[53:54]
	s_delay_alu instid0(VALU_DEP_2) | instskip(NEXT) | instid1(VALU_DEP_3)
	v_cndmask_b32_e64 v0, v35, v13, s0
	v_cndmask_b32_e64 v35, v36, v14, s0
	s_delay_alu instid0(VALU_DEP_3) | instskip(NEXT) | instid1(VALU_DEP_4)
	v_cndmask_b32_e64 v34, v34, v14, s0
	v_cndmask_b32_e64 v33, v33, v13, s0
	s_delay_alu instid0(VALU_DEP_3) | instskip(SKIP_1) | instid1(VALU_DEP_4)
	v_cndmask_b32_e64 v36, v35, v16, s27
	v_cndmask_b32_e64 v35, v0, v15, s27
	;; [unrolled: 1-line block ×3, first 2 shown]
	s_delay_alu instid0(VALU_DEP_4) | instskip(SKIP_1) | instid1(VALU_DEP_4)
	v_cndmask_b32_e64 v33, v33, v15, s27
	v_dual_mov_b32 v16, v14 :: v_dual_mov_b32 v15, v13
	v_cmp_class_f64_e64 s1, v[35:36], 0x1f8
	s_delay_alu instid0(VALU_DEP_3) | instskip(NEXT) | instid1(VALU_DEP_1)
	v_cmp_neq_f64_e64 s0, v[35:36], v[33:34]
	s_or_b32 s0, s0, s1
	s_delay_alu instid0(SALU_CYCLE_1)
	s_and_saveexec_b32 s17, s0
	s_cbranch_execz .LBB66_128
; %bb.127:
	v_add_f64 v[15:16], v[35:36], -v[33:34]
	s_mov_b32 s0, 0x652b82fe
	s_mov_b32 s1, 0x3ff71547
	;; [unrolled: 1-line block ×10, first 2 shown]
	s_delay_alu instid0(VALU_DEP_1) | instskip(SKIP_2) | instid1(VALU_DEP_1)
	v_mul_f64 v[35:36], v[15:16], s[0:1]
	s_mov_b32 s0, 0xfca7ab0c
	s_mov_b32 s1, 0x3e928af3
	v_rndne_f64_e32 v[35:36], v[35:36]
	s_delay_alu instid0(VALU_DEP_1) | instskip(SKIP_2) | instid1(VALU_DEP_2)
	v_fma_f64 v[37:38], v[35:36], s[18:19], v[15:16]
	v_cvt_i32_f64_e32 v0, v[35:36]
	s_mov_b32 s19, 0x3fe62e42
	v_fma_f64 v[37:38], v[35:36], s[20:21], v[37:38]
	s_mov_b32 s21, 0x3c7abc9e
	s_delay_alu instid0(VALU_DEP_1) | instskip(SKIP_4) | instid1(VALU_DEP_1)
	v_fma_f64 v[39:40], v[37:38], s[22:23], s[0:1]
	s_mov_b32 s0, 0x623fde64
	s_mov_b32 s1, 0x3ec71dee
	;; [unrolled: 1-line block ×4, first 2 shown]
	v_fma_f64 v[39:40], v[37:38], v[39:40], s[0:1]
	s_mov_b32 s0, 0x7c89e6b0
	s_mov_b32 s1, 0x3efa0199
	s_delay_alu instid0(VALU_DEP_1) | instid1(SALU_CYCLE_1)
	v_fma_f64 v[39:40], v[37:38], v[39:40], s[0:1]
	s_mov_b32 s0, 0x14761f6e
	s_mov_b32 s1, 0x3f2a01a0
	s_delay_alu instid0(VALU_DEP_1) | instid1(SALU_CYCLE_1)
	v_fma_f64 v[39:40], v[37:38], v[39:40], s[0:1]
	s_mov_b32 s0, 0x1852b7b0
	s_mov_b32 s1, 0x3f56c16c
	s_delay_alu instid0(VALU_DEP_1) | instid1(SALU_CYCLE_1)
	v_fma_f64 v[39:40], v[37:38], v[39:40], s[0:1]
	s_mov_b32 s0, 0x11122322
	s_mov_b32 s1, 0x3f811111
	s_delay_alu instid0(VALU_DEP_1) | instid1(SALU_CYCLE_1)
	v_fma_f64 v[39:40], v[37:38], v[39:40], s[0:1]
	s_mov_b32 s0, 0x555502a1
	s_mov_b32 s1, 0x3fa55555
	s_delay_alu instid0(VALU_DEP_1) | instid1(SALU_CYCLE_1)
	v_fma_f64 v[39:40], v[37:38], v[39:40], s[0:1]
	s_mov_b32 s0, 0x55555511
	s_mov_b32 s1, 0x3fc55555
	s_delay_alu instid0(VALU_DEP_1) | instid1(SALU_CYCLE_1)
	v_fma_f64 v[39:40], v[37:38], v[39:40], s[0:1]
	s_mov_b32 s0, 11
	s_mov_b32 s1, 0x3fe00000
	s_delay_alu instid0(VALU_DEP_1) | instid1(SALU_CYCLE_1)
	v_fma_f64 v[39:40], v[37:38], v[39:40], s[0:1]
	v_cmp_nlt_f64_e64 s0, 0x40900000, v[15:16]
	v_cmp_ngt_f64_e64 s1, 0xc090cc00, v[15:16]
	s_delay_alu instid0(VALU_DEP_3) | instskip(NEXT) | instid1(VALU_DEP_1)
	v_fma_f64 v[39:40], v[37:38], v[39:40], 1.0
	v_fma_f64 v[35:36], v[37:38], v[39:40], 1.0
	s_delay_alu instid0(VALU_DEP_1) | instskip(NEXT) | instid1(VALU_DEP_1)
	v_ldexp_f64 v[35:36], v[35:36], v0
	v_cndmask_b32_e64 v0, 0x7ff00000, v36, s0
	s_and_b32 s0, s1, s0
	s_delay_alu instid0(VALU_DEP_2) | instid1(SALU_CYCLE_1)
	v_cndmask_b32_e64 v15, 0, v35, s0
	s_mov_b32 s0, 0x55555555
	s_delay_alu instid0(VALU_DEP_2) | instskip(SKIP_1) | instid1(VALU_DEP_1)
	v_cndmask_b32_e64 v16, 0, v0, s1
	s_mov_b32 s1, 0x3fe55555
	v_add_f64 v[35:36], v[15:16], 1.0
	s_delay_alu instid0(VALU_DEP_1) | instskip(SKIP_2) | instid1(VALU_DEP_3)
	v_frexp_mant_f64_e32 v[37:38], v[35:36]
	v_frexp_exp_i32_f64_e32 v0, v[35:36]
	v_add_f64 v[39:40], v[35:36], -1.0
	v_cmp_gt_f64_e64 s0, s[0:1], v[37:38]
	s_delay_alu instid0(VALU_DEP_2) | instskip(SKIP_1) | instid1(VALU_DEP_3)
	v_add_f64 v[37:38], v[39:40], -v[35:36]
	v_add_f64 v[39:40], v[15:16], -v[39:40]
	v_subrev_co_ci_u32_e64 v0, s0, 0, v0, s0
	s_delay_alu instid0(VALU_DEP_3) | instskip(SKIP_1) | instid1(VALU_DEP_2)
	v_add_f64 v[37:38], v[37:38], 1.0
	s_mov_b32 s0, 0x55555780
	v_sub_nc_u32_e32 v43, 0, v0
	s_delay_alu instid0(VALU_DEP_1) | instskip(NEXT) | instid1(VALU_DEP_3)
	v_ldexp_f64 v[35:36], v[35:36], v43
	v_add_f64 v[37:38], v[39:40], v[37:38]
	s_delay_alu instid0(VALU_DEP_2) | instskip(SKIP_1) | instid1(VALU_DEP_3)
	v_add_f64 v[41:42], v[35:36], 1.0
	v_add_f64 v[47:48], v[35:36], -1.0
	v_ldexp_f64 v[37:38], v[37:38], v43
	s_delay_alu instid0(VALU_DEP_3) | instskip(NEXT) | instid1(VALU_DEP_3)
	v_add_f64 v[39:40], v[41:42], -1.0
	v_add_f64 v[49:50], v[47:48], 1.0
	s_delay_alu instid0(VALU_DEP_2) | instskip(NEXT) | instid1(VALU_DEP_2)
	v_add_f64 v[39:40], v[35:36], -v[39:40]
	v_add_f64 v[35:36], v[35:36], -v[49:50]
	s_delay_alu instid0(VALU_DEP_2) | instskip(NEXT) | instid1(VALU_DEP_2)
	v_add_f64 v[39:40], v[37:38], v[39:40]
	v_add_f64 v[35:36], v[37:38], v[35:36]
	s_delay_alu instid0(VALU_DEP_2) | instskip(NEXT) | instid1(VALU_DEP_2)
	v_add_f64 v[43:44], v[41:42], v[39:40]
	v_add_f64 v[49:50], v[47:48], v[35:36]
	s_delay_alu instid0(VALU_DEP_2) | instskip(SKIP_1) | instid1(VALU_DEP_2)
	v_rcp_f64_e32 v[45:46], v[43:44]
	v_add_f64 v[41:42], v[43:44], -v[41:42]
	v_add_f64 v[47:48], v[49:50], -v[47:48]
	s_delay_alu instid0(VALU_DEP_2) | instskip(SKIP_3) | instid1(VALU_DEP_2)
	v_add_f64 v[39:40], v[39:40], -v[41:42]
	s_waitcnt_depctr 0xfff
	v_fma_f64 v[51:52], -v[43:44], v[45:46], 1.0
	v_add_f64 v[35:36], v[35:36], -v[47:48]
	v_fma_f64 v[45:46], v[51:52], v[45:46], v[45:46]
	s_delay_alu instid0(VALU_DEP_1) | instskip(NEXT) | instid1(VALU_DEP_1)
	v_fma_f64 v[37:38], -v[43:44], v[45:46], 1.0
	v_fma_f64 v[37:38], v[37:38], v[45:46], v[45:46]
	s_delay_alu instid0(VALU_DEP_1) | instskip(NEXT) | instid1(VALU_DEP_1)
	v_mul_f64 v[45:46], v[49:50], v[37:38]
	v_mul_f64 v[51:52], v[43:44], v[45:46]
	s_delay_alu instid0(VALU_DEP_1) | instskip(NEXT) | instid1(VALU_DEP_1)
	v_fma_f64 v[41:42], v[45:46], v[43:44], -v[51:52]
	v_fma_f64 v[41:42], v[45:46], v[39:40], v[41:42]
	s_delay_alu instid0(VALU_DEP_1) | instskip(NEXT) | instid1(VALU_DEP_1)
	v_add_f64 v[53:54], v[51:52], v[41:42]
	v_add_f64 v[63:64], v[49:50], -v[53:54]
	v_add_f64 v[47:48], v[53:54], -v[51:52]
	s_delay_alu instid0(VALU_DEP_2) | instskip(NEXT) | instid1(VALU_DEP_2)
	v_add_f64 v[49:50], v[49:50], -v[63:64]
	v_add_f64 v[41:42], v[47:48], -v[41:42]
	s_delay_alu instid0(VALU_DEP_2) | instskip(NEXT) | instid1(VALU_DEP_1)
	v_add_f64 v[49:50], v[49:50], -v[53:54]
	v_add_f64 v[35:36], v[35:36], v[49:50]
	s_delay_alu instid0(VALU_DEP_1) | instskip(NEXT) | instid1(VALU_DEP_1)
	v_add_f64 v[35:36], v[41:42], v[35:36]
	v_add_f64 v[41:42], v[63:64], v[35:36]
	s_delay_alu instid0(VALU_DEP_1) | instskip(SKIP_1) | instid1(VALU_DEP_2)
	v_mul_f64 v[47:48], v[37:38], v[41:42]
	v_add_f64 v[53:54], v[63:64], -v[41:42]
	v_mul_f64 v[49:50], v[43:44], v[47:48]
	s_delay_alu instid0(VALU_DEP_2) | instskip(NEXT) | instid1(VALU_DEP_2)
	v_add_f64 v[35:36], v[35:36], v[53:54]
	v_fma_f64 v[43:44], v[47:48], v[43:44], -v[49:50]
	s_delay_alu instid0(VALU_DEP_1) | instskip(NEXT) | instid1(VALU_DEP_1)
	v_fma_f64 v[39:40], v[47:48], v[39:40], v[43:44]
	v_add_f64 v[43:44], v[49:50], v[39:40]
	s_delay_alu instid0(VALU_DEP_1) | instskip(SKIP_1) | instid1(VALU_DEP_2)
	v_add_f64 v[51:52], v[41:42], -v[43:44]
	v_add_f64 v[49:50], v[43:44], -v[49:50]
	;; [unrolled: 1-line block ×3, first 2 shown]
	s_delay_alu instid0(VALU_DEP_2) | instskip(NEXT) | instid1(VALU_DEP_2)
	v_add_f64 v[39:40], v[49:50], -v[39:40]
	v_add_f64 v[41:42], v[41:42], -v[43:44]
	s_delay_alu instid0(VALU_DEP_1) | instskip(SKIP_1) | instid1(VALU_DEP_2)
	v_add_f64 v[35:36], v[35:36], v[41:42]
	v_add_f64 v[41:42], v[45:46], v[47:48]
	;; [unrolled: 1-line block ×3, first 2 shown]
	s_delay_alu instid0(VALU_DEP_2) | instskip(NEXT) | instid1(VALU_DEP_2)
	v_add_f64 v[39:40], v[41:42], -v[45:46]
	v_add_f64 v[35:36], v[51:52], v[35:36]
	s_delay_alu instid0(VALU_DEP_2) | instskip(NEXT) | instid1(VALU_DEP_2)
	v_add_f64 v[39:40], v[47:48], -v[39:40]
	v_mul_f64 v[35:36], v[37:38], v[35:36]
	s_delay_alu instid0(VALU_DEP_1) | instskip(NEXT) | instid1(VALU_DEP_1)
	v_add_f64 v[35:36], v[39:40], v[35:36]
	v_add_f64 v[37:38], v[41:42], v[35:36]
	s_delay_alu instid0(VALU_DEP_1) | instskip(NEXT) | instid1(VALU_DEP_1)
	v_mul_f64 v[39:40], v[37:38], v[37:38]
	v_fma_f64 v[43:44], v[39:40], s[24:25], s[22:23]
	s_mov_b32 s22, 0xd7f4df2e
	s_mov_b32 s23, 0x3fc7474d
	v_mul_f64 v[45:46], v[37:38], v[39:40]
	s_delay_alu instid0(VALU_DEP_2)
	v_fma_f64 v[43:44], v[39:40], v[43:44], s[22:23]
	s_mov_b32 s22, 0x16291751
	s_mov_b32 s23, 0x3fcc71c0
	s_delay_alu instid0(VALU_DEP_1) | instid1(SALU_CYCLE_1)
	v_fma_f64 v[43:44], v[39:40], v[43:44], s[22:23]
	s_mov_b32 s22, 0x9b27acf1
	s_mov_b32 s23, 0x3fd24924
	s_delay_alu instid0(VALU_DEP_1) | instid1(SALU_CYCLE_1)
	;; [unrolled: 4-line block ×3, first 2 shown]
	v_fma_f64 v[43:44], v[39:40], v[43:44], s[22:23]
	s_delay_alu instid0(VALU_DEP_1) | instskip(SKIP_3) | instid1(VALU_DEP_4)
	v_fma_f64 v[39:40], v[39:40], v[43:44], s[0:1]
	v_ldexp_f64 v[43:44], v[37:38], 1
	v_add_f64 v[37:38], v[37:38], -v[41:42]
	v_cmp_eq_f64_e64 s0, 0x7ff00000, v[15:16]
	v_mul_f64 v[39:40], v[45:46], v[39:40]
	v_cvt_f64_i32_e32 v[45:46], v0
	s_delay_alu instid0(VALU_DEP_4) | instskip(NEXT) | instid1(VALU_DEP_3)
	v_add_f64 v[35:36], v[35:36], -v[37:38]
	v_add_f64 v[41:42], v[43:44], v[39:40]
	s_delay_alu instid0(VALU_DEP_3) | instskip(NEXT) | instid1(VALU_DEP_3)
	v_mul_f64 v[47:48], v[45:46], s[18:19]
	v_ldexp_f64 v[35:36], v[35:36], 1
	s_delay_alu instid0(VALU_DEP_3) | instskip(NEXT) | instid1(VALU_DEP_3)
	v_add_f64 v[37:38], v[41:42], -v[43:44]
	v_fma_f64 v[43:44], v[45:46], s[18:19], -v[47:48]
	s_delay_alu instid0(VALU_DEP_2) | instskip(NEXT) | instid1(VALU_DEP_2)
	v_add_f64 v[37:38], v[39:40], -v[37:38]
	v_fma_f64 v[39:40], v[45:46], s[20:21], v[43:44]
	s_delay_alu instid0(VALU_DEP_2) | instskip(NEXT) | instid1(VALU_DEP_2)
	v_add_f64 v[35:36], v[35:36], v[37:38]
	v_add_f64 v[37:38], v[47:48], v[39:40]
	s_delay_alu instid0(VALU_DEP_2) | instskip(NEXT) | instid1(VALU_DEP_2)
	v_add_f64 v[43:44], v[41:42], v[35:36]
	v_add_f64 v[47:48], v[37:38], -v[47:48]
	s_delay_alu instid0(VALU_DEP_2) | instskip(SKIP_1) | instid1(VALU_DEP_3)
	v_add_f64 v[45:46], v[37:38], v[43:44]
	v_add_f64 v[41:42], v[43:44], -v[41:42]
	v_add_f64 v[39:40], v[39:40], -v[47:48]
	s_delay_alu instid0(VALU_DEP_3) | instskip(NEXT) | instid1(VALU_DEP_3)
	v_add_f64 v[49:50], v[45:46], -v[37:38]
	v_add_f64 v[35:36], v[35:36], -v[41:42]
	s_delay_alu instid0(VALU_DEP_2) | instskip(SKIP_1) | instid1(VALU_DEP_3)
	v_add_f64 v[51:52], v[45:46], -v[49:50]
	v_add_f64 v[41:42], v[43:44], -v[49:50]
	v_add_f64 v[43:44], v[39:40], v[35:36]
	s_delay_alu instid0(VALU_DEP_3) | instskip(NEXT) | instid1(VALU_DEP_1)
	v_add_f64 v[37:38], v[37:38], -v[51:52]
	v_add_f64 v[37:38], v[41:42], v[37:38]
	s_delay_alu instid0(VALU_DEP_3) | instskip(NEXT) | instid1(VALU_DEP_2)
	v_add_f64 v[41:42], v[43:44], -v[39:40]
	v_add_f64 v[37:38], v[43:44], v[37:38]
	s_delay_alu instid0(VALU_DEP_2) | instskip(SKIP_1) | instid1(VALU_DEP_3)
	v_add_f64 v[43:44], v[43:44], -v[41:42]
	v_add_f64 v[35:36], v[35:36], -v[41:42]
	v_add_f64 v[47:48], v[45:46], v[37:38]
	s_delay_alu instid0(VALU_DEP_3) | instskip(NEXT) | instid1(VALU_DEP_2)
	v_add_f64 v[39:40], v[39:40], -v[43:44]
	v_add_f64 v[41:42], v[47:48], -v[45:46]
	s_delay_alu instid0(VALU_DEP_2) | instskip(NEXT) | instid1(VALU_DEP_2)
	v_add_f64 v[35:36], v[35:36], v[39:40]
	v_add_f64 v[37:38], v[37:38], -v[41:42]
	s_delay_alu instid0(VALU_DEP_1) | instskip(NEXT) | instid1(VALU_DEP_1)
	v_add_f64 v[35:36], v[35:36], v[37:38]
	v_add_f64 v[35:36], v[47:48], v[35:36]
	s_delay_alu instid0(VALU_DEP_1) | instskip(NEXT) | instid1(VALU_DEP_2)
	v_cndmask_b32_e64 v0, v35, v15, s0
	v_cndmask_b32_e64 v35, v36, v16, s0
	v_cmp_ngt_f64_e64 s0, -1.0, v[15:16]
	s_delay_alu instid0(VALU_DEP_1) | instskip(SKIP_1) | instid1(VALU_DEP_1)
	v_cndmask_b32_e64 v36, 0x7ff80000, v35, s0
	v_cmp_nge_f64_e64 s0, -1.0, v[15:16]
	v_cndmask_b32_e64 v35, 0, v0, s0
	v_cmp_neq_f64_e64 s0, -1.0, v[15:16]
	s_delay_alu instid0(VALU_DEP_1) | instskip(NEXT) | instid1(VALU_DEP_1)
	v_cndmask_b32_e64 v36, 0xfff00000, v36, s0
	v_add_f64 v[15:16], v[33:34], v[35:36]
.LBB66_128:
	s_or_b32 exec_lo, exec_lo, s17
	s_delay_alu instid0(VALU_DEP_1) | instskip(SKIP_1) | instid1(VALU_DEP_2)
	v_max_f64 v[33:34], v[15:16], v[15:16]
	v_cmp_u_f64_e64 s0, v[15:16], v[15:16]
	v_min_f64 v[35:36], v[33:34], v[55:56]
	v_max_f64 v[33:34], v[33:34], v[55:56]
	s_delay_alu instid0(VALU_DEP_2) | instskip(NEXT) | instid1(VALU_DEP_3)
	v_cndmask_b32_e64 v0, v35, v15, s0
	v_cndmask_b32_e64 v35, v36, v16, s0
	s_delay_alu instid0(VALU_DEP_3) | instskip(NEXT) | instid1(VALU_DEP_4)
	v_cndmask_b32_e64 v34, v34, v16, s0
	v_cndmask_b32_e64 v33, v33, v15, s0
	s_delay_alu instid0(VALU_DEP_3) | instskip(SKIP_1) | instid1(VALU_DEP_4)
	v_cndmask_b32_e64 v36, v35, v10, s28
	v_cndmask_b32_e64 v35, v0, v9, s28
	;; [unrolled: 1-line block ×3, first 2 shown]
	s_delay_alu instid0(VALU_DEP_4) | instskip(SKIP_1) | instid1(VALU_DEP_4)
	v_cndmask_b32_e64 v33, v33, v9, s28
	v_dual_mov_b32 v9, v15 :: v_dual_mov_b32 v10, v16
	v_cmp_class_f64_e64 s1, v[35:36], 0x1f8
	s_delay_alu instid0(VALU_DEP_3) | instskip(NEXT) | instid1(VALU_DEP_1)
	v_cmp_neq_f64_e64 s0, v[35:36], v[33:34]
	s_or_b32 s0, s0, s1
	s_delay_alu instid0(SALU_CYCLE_1)
	s_and_saveexec_b32 s17, s0
	s_cbranch_execz .LBB66_130
; %bb.129:
	v_add_f64 v[9:10], v[35:36], -v[33:34]
	s_mov_b32 s0, 0x652b82fe
	s_mov_b32 s1, 0x3ff71547
	;; [unrolled: 1-line block ×10, first 2 shown]
	s_delay_alu instid0(VALU_DEP_1) | instskip(SKIP_2) | instid1(VALU_DEP_1)
	v_mul_f64 v[35:36], v[9:10], s[0:1]
	s_mov_b32 s0, 0xfca7ab0c
	s_mov_b32 s1, 0x3e928af3
	v_rndne_f64_e32 v[35:36], v[35:36]
	s_delay_alu instid0(VALU_DEP_1) | instskip(SKIP_2) | instid1(VALU_DEP_2)
	v_fma_f64 v[37:38], v[35:36], s[18:19], v[9:10]
	v_cvt_i32_f64_e32 v0, v[35:36]
	s_mov_b32 s19, 0x3fe62e42
	v_fma_f64 v[37:38], v[35:36], s[20:21], v[37:38]
	s_mov_b32 s21, 0x3c7abc9e
	s_delay_alu instid0(VALU_DEP_1) | instskip(SKIP_4) | instid1(VALU_DEP_1)
	v_fma_f64 v[39:40], v[37:38], s[22:23], s[0:1]
	s_mov_b32 s0, 0x623fde64
	s_mov_b32 s1, 0x3ec71dee
	;; [unrolled: 1-line block ×4, first 2 shown]
	v_fma_f64 v[39:40], v[37:38], v[39:40], s[0:1]
	s_mov_b32 s0, 0x7c89e6b0
	s_mov_b32 s1, 0x3efa0199
	s_delay_alu instid0(VALU_DEP_1) | instid1(SALU_CYCLE_1)
	v_fma_f64 v[39:40], v[37:38], v[39:40], s[0:1]
	s_mov_b32 s0, 0x14761f6e
	s_mov_b32 s1, 0x3f2a01a0
	s_delay_alu instid0(VALU_DEP_1) | instid1(SALU_CYCLE_1)
	;; [unrolled: 4-line block ×7, first 2 shown]
	v_fma_f64 v[39:40], v[37:38], v[39:40], s[0:1]
	v_cmp_nlt_f64_e64 s0, 0x40900000, v[9:10]
	v_cmp_ngt_f64_e64 s1, 0xc090cc00, v[9:10]
	s_delay_alu instid0(VALU_DEP_3) | instskip(NEXT) | instid1(VALU_DEP_1)
	v_fma_f64 v[39:40], v[37:38], v[39:40], 1.0
	v_fma_f64 v[35:36], v[37:38], v[39:40], 1.0
	s_delay_alu instid0(VALU_DEP_1) | instskip(NEXT) | instid1(VALU_DEP_1)
	v_ldexp_f64 v[35:36], v[35:36], v0
	v_cndmask_b32_e64 v0, 0x7ff00000, v36, s0
	s_and_b32 s0, s1, s0
	s_delay_alu instid0(VALU_DEP_2) | instid1(SALU_CYCLE_1)
	v_cndmask_b32_e64 v9, 0, v35, s0
	s_mov_b32 s0, 0x55555555
	s_delay_alu instid0(VALU_DEP_2) | instskip(SKIP_1) | instid1(VALU_DEP_1)
	v_cndmask_b32_e64 v10, 0, v0, s1
	s_mov_b32 s1, 0x3fe55555
	v_add_f64 v[35:36], v[9:10], 1.0
	s_delay_alu instid0(VALU_DEP_1) | instskip(SKIP_2) | instid1(VALU_DEP_3)
	v_frexp_mant_f64_e32 v[37:38], v[35:36]
	v_frexp_exp_i32_f64_e32 v0, v[35:36]
	v_add_f64 v[39:40], v[35:36], -1.0
	v_cmp_gt_f64_e64 s0, s[0:1], v[37:38]
	s_delay_alu instid0(VALU_DEP_2) | instskip(SKIP_1) | instid1(VALU_DEP_3)
	v_add_f64 v[37:38], v[39:40], -v[35:36]
	v_add_f64 v[39:40], v[9:10], -v[39:40]
	v_subrev_co_ci_u32_e64 v0, s0, 0, v0, s0
	s_delay_alu instid0(VALU_DEP_3) | instskip(SKIP_1) | instid1(VALU_DEP_2)
	v_add_f64 v[37:38], v[37:38], 1.0
	s_mov_b32 s0, 0x55555780
	v_sub_nc_u32_e32 v43, 0, v0
	s_delay_alu instid0(VALU_DEP_1) | instskip(NEXT) | instid1(VALU_DEP_3)
	v_ldexp_f64 v[35:36], v[35:36], v43
	v_add_f64 v[37:38], v[39:40], v[37:38]
	s_delay_alu instid0(VALU_DEP_2) | instskip(SKIP_1) | instid1(VALU_DEP_3)
	v_add_f64 v[41:42], v[35:36], 1.0
	v_add_f64 v[47:48], v[35:36], -1.0
	v_ldexp_f64 v[37:38], v[37:38], v43
	s_delay_alu instid0(VALU_DEP_3) | instskip(NEXT) | instid1(VALU_DEP_3)
	v_add_f64 v[39:40], v[41:42], -1.0
	v_add_f64 v[49:50], v[47:48], 1.0
	s_delay_alu instid0(VALU_DEP_2) | instskip(NEXT) | instid1(VALU_DEP_2)
	v_add_f64 v[39:40], v[35:36], -v[39:40]
	v_add_f64 v[35:36], v[35:36], -v[49:50]
	s_delay_alu instid0(VALU_DEP_2) | instskip(NEXT) | instid1(VALU_DEP_2)
	v_add_f64 v[39:40], v[37:38], v[39:40]
	v_add_f64 v[35:36], v[37:38], v[35:36]
	s_delay_alu instid0(VALU_DEP_2) | instskip(NEXT) | instid1(VALU_DEP_2)
	v_add_f64 v[43:44], v[41:42], v[39:40]
	v_add_f64 v[49:50], v[47:48], v[35:36]
	s_delay_alu instid0(VALU_DEP_2) | instskip(SKIP_1) | instid1(VALU_DEP_2)
	v_rcp_f64_e32 v[45:46], v[43:44]
	v_add_f64 v[41:42], v[43:44], -v[41:42]
	v_add_f64 v[47:48], v[49:50], -v[47:48]
	s_delay_alu instid0(VALU_DEP_2) | instskip(SKIP_3) | instid1(VALU_DEP_2)
	v_add_f64 v[39:40], v[39:40], -v[41:42]
	s_waitcnt_depctr 0xfff
	v_fma_f64 v[51:52], -v[43:44], v[45:46], 1.0
	v_add_f64 v[35:36], v[35:36], -v[47:48]
	v_fma_f64 v[45:46], v[51:52], v[45:46], v[45:46]
	s_delay_alu instid0(VALU_DEP_1) | instskip(NEXT) | instid1(VALU_DEP_1)
	v_fma_f64 v[37:38], -v[43:44], v[45:46], 1.0
	v_fma_f64 v[37:38], v[37:38], v[45:46], v[45:46]
	s_delay_alu instid0(VALU_DEP_1) | instskip(NEXT) | instid1(VALU_DEP_1)
	v_mul_f64 v[45:46], v[49:50], v[37:38]
	v_mul_f64 v[51:52], v[43:44], v[45:46]
	s_delay_alu instid0(VALU_DEP_1) | instskip(NEXT) | instid1(VALU_DEP_1)
	v_fma_f64 v[41:42], v[45:46], v[43:44], -v[51:52]
	v_fma_f64 v[41:42], v[45:46], v[39:40], v[41:42]
	s_delay_alu instid0(VALU_DEP_1) | instskip(NEXT) | instid1(VALU_DEP_1)
	v_add_f64 v[53:54], v[51:52], v[41:42]
	v_add_f64 v[55:56], v[49:50], -v[53:54]
	v_add_f64 v[47:48], v[53:54], -v[51:52]
	s_delay_alu instid0(VALU_DEP_2) | instskip(NEXT) | instid1(VALU_DEP_2)
	v_add_f64 v[49:50], v[49:50], -v[55:56]
	v_add_f64 v[41:42], v[47:48], -v[41:42]
	s_delay_alu instid0(VALU_DEP_2) | instskip(NEXT) | instid1(VALU_DEP_1)
	v_add_f64 v[49:50], v[49:50], -v[53:54]
	v_add_f64 v[35:36], v[35:36], v[49:50]
	s_delay_alu instid0(VALU_DEP_1) | instskip(NEXT) | instid1(VALU_DEP_1)
	v_add_f64 v[35:36], v[41:42], v[35:36]
	v_add_f64 v[41:42], v[55:56], v[35:36]
	s_delay_alu instid0(VALU_DEP_1) | instskip(SKIP_1) | instid1(VALU_DEP_2)
	v_mul_f64 v[47:48], v[37:38], v[41:42]
	v_add_f64 v[53:54], v[55:56], -v[41:42]
	v_mul_f64 v[49:50], v[43:44], v[47:48]
	s_delay_alu instid0(VALU_DEP_2) | instskip(NEXT) | instid1(VALU_DEP_2)
	v_add_f64 v[35:36], v[35:36], v[53:54]
	v_fma_f64 v[43:44], v[47:48], v[43:44], -v[49:50]
	s_delay_alu instid0(VALU_DEP_1) | instskip(NEXT) | instid1(VALU_DEP_1)
	v_fma_f64 v[39:40], v[47:48], v[39:40], v[43:44]
	v_add_f64 v[43:44], v[49:50], v[39:40]
	s_delay_alu instid0(VALU_DEP_1) | instskip(SKIP_1) | instid1(VALU_DEP_2)
	v_add_f64 v[51:52], v[41:42], -v[43:44]
	v_add_f64 v[49:50], v[43:44], -v[49:50]
	;; [unrolled: 1-line block ×3, first 2 shown]
	s_delay_alu instid0(VALU_DEP_2) | instskip(NEXT) | instid1(VALU_DEP_2)
	v_add_f64 v[39:40], v[49:50], -v[39:40]
	v_add_f64 v[41:42], v[41:42], -v[43:44]
	s_delay_alu instid0(VALU_DEP_1) | instskip(SKIP_1) | instid1(VALU_DEP_2)
	v_add_f64 v[35:36], v[35:36], v[41:42]
	v_add_f64 v[41:42], v[45:46], v[47:48]
	;; [unrolled: 1-line block ×3, first 2 shown]
	s_delay_alu instid0(VALU_DEP_2) | instskip(NEXT) | instid1(VALU_DEP_2)
	v_add_f64 v[39:40], v[41:42], -v[45:46]
	v_add_f64 v[35:36], v[51:52], v[35:36]
	s_delay_alu instid0(VALU_DEP_2) | instskip(NEXT) | instid1(VALU_DEP_2)
	v_add_f64 v[39:40], v[47:48], -v[39:40]
	v_mul_f64 v[35:36], v[37:38], v[35:36]
	s_delay_alu instid0(VALU_DEP_1) | instskip(NEXT) | instid1(VALU_DEP_1)
	v_add_f64 v[35:36], v[39:40], v[35:36]
	v_add_f64 v[37:38], v[41:42], v[35:36]
	s_delay_alu instid0(VALU_DEP_1) | instskip(NEXT) | instid1(VALU_DEP_1)
	v_mul_f64 v[39:40], v[37:38], v[37:38]
	v_fma_f64 v[43:44], v[39:40], s[24:25], s[22:23]
	s_mov_b32 s22, 0xd7f4df2e
	s_mov_b32 s23, 0x3fc7474d
	v_mul_f64 v[45:46], v[37:38], v[39:40]
	s_delay_alu instid0(VALU_DEP_2)
	v_fma_f64 v[43:44], v[39:40], v[43:44], s[22:23]
	s_mov_b32 s22, 0x16291751
	s_mov_b32 s23, 0x3fcc71c0
	s_delay_alu instid0(VALU_DEP_1) | instid1(SALU_CYCLE_1)
	v_fma_f64 v[43:44], v[39:40], v[43:44], s[22:23]
	s_mov_b32 s22, 0x9b27acf1
	s_mov_b32 s23, 0x3fd24924
	s_delay_alu instid0(VALU_DEP_1) | instid1(SALU_CYCLE_1)
	;; [unrolled: 4-line block ×3, first 2 shown]
	v_fma_f64 v[43:44], v[39:40], v[43:44], s[22:23]
	s_delay_alu instid0(VALU_DEP_1) | instskip(SKIP_3) | instid1(VALU_DEP_4)
	v_fma_f64 v[39:40], v[39:40], v[43:44], s[0:1]
	v_ldexp_f64 v[43:44], v[37:38], 1
	v_add_f64 v[37:38], v[37:38], -v[41:42]
	v_cmp_eq_f64_e64 s0, 0x7ff00000, v[9:10]
	v_mul_f64 v[39:40], v[45:46], v[39:40]
	v_cvt_f64_i32_e32 v[45:46], v0
	s_delay_alu instid0(VALU_DEP_4) | instskip(NEXT) | instid1(VALU_DEP_3)
	v_add_f64 v[35:36], v[35:36], -v[37:38]
	v_add_f64 v[41:42], v[43:44], v[39:40]
	s_delay_alu instid0(VALU_DEP_3) | instskip(NEXT) | instid1(VALU_DEP_3)
	v_mul_f64 v[47:48], v[45:46], s[18:19]
	v_ldexp_f64 v[35:36], v[35:36], 1
	s_delay_alu instid0(VALU_DEP_3) | instskip(NEXT) | instid1(VALU_DEP_3)
	v_add_f64 v[37:38], v[41:42], -v[43:44]
	v_fma_f64 v[43:44], v[45:46], s[18:19], -v[47:48]
	s_delay_alu instid0(VALU_DEP_2) | instskip(NEXT) | instid1(VALU_DEP_2)
	v_add_f64 v[37:38], v[39:40], -v[37:38]
	v_fma_f64 v[39:40], v[45:46], s[20:21], v[43:44]
	s_delay_alu instid0(VALU_DEP_2) | instskip(NEXT) | instid1(VALU_DEP_2)
	v_add_f64 v[35:36], v[35:36], v[37:38]
	v_add_f64 v[37:38], v[47:48], v[39:40]
	s_delay_alu instid0(VALU_DEP_2) | instskip(NEXT) | instid1(VALU_DEP_2)
	v_add_f64 v[43:44], v[41:42], v[35:36]
	v_add_f64 v[47:48], v[37:38], -v[47:48]
	s_delay_alu instid0(VALU_DEP_2) | instskip(SKIP_1) | instid1(VALU_DEP_3)
	v_add_f64 v[45:46], v[37:38], v[43:44]
	v_add_f64 v[41:42], v[43:44], -v[41:42]
	v_add_f64 v[39:40], v[39:40], -v[47:48]
	s_delay_alu instid0(VALU_DEP_3) | instskip(NEXT) | instid1(VALU_DEP_3)
	v_add_f64 v[49:50], v[45:46], -v[37:38]
	v_add_f64 v[35:36], v[35:36], -v[41:42]
	s_delay_alu instid0(VALU_DEP_2) | instskip(SKIP_1) | instid1(VALU_DEP_3)
	v_add_f64 v[51:52], v[45:46], -v[49:50]
	v_add_f64 v[41:42], v[43:44], -v[49:50]
	v_add_f64 v[43:44], v[39:40], v[35:36]
	s_delay_alu instid0(VALU_DEP_3) | instskip(NEXT) | instid1(VALU_DEP_1)
	v_add_f64 v[37:38], v[37:38], -v[51:52]
	v_add_f64 v[37:38], v[41:42], v[37:38]
	s_delay_alu instid0(VALU_DEP_3) | instskip(NEXT) | instid1(VALU_DEP_2)
	v_add_f64 v[41:42], v[43:44], -v[39:40]
	v_add_f64 v[37:38], v[43:44], v[37:38]
	s_delay_alu instid0(VALU_DEP_2) | instskip(SKIP_1) | instid1(VALU_DEP_3)
	v_add_f64 v[43:44], v[43:44], -v[41:42]
	v_add_f64 v[35:36], v[35:36], -v[41:42]
	v_add_f64 v[47:48], v[45:46], v[37:38]
	s_delay_alu instid0(VALU_DEP_3) | instskip(NEXT) | instid1(VALU_DEP_2)
	v_add_f64 v[39:40], v[39:40], -v[43:44]
	v_add_f64 v[41:42], v[47:48], -v[45:46]
	s_delay_alu instid0(VALU_DEP_2) | instskip(NEXT) | instid1(VALU_DEP_2)
	v_add_f64 v[35:36], v[35:36], v[39:40]
	v_add_f64 v[37:38], v[37:38], -v[41:42]
	s_delay_alu instid0(VALU_DEP_1) | instskip(NEXT) | instid1(VALU_DEP_1)
	v_add_f64 v[35:36], v[35:36], v[37:38]
	v_add_f64 v[35:36], v[47:48], v[35:36]
	s_delay_alu instid0(VALU_DEP_1) | instskip(NEXT) | instid1(VALU_DEP_2)
	v_cndmask_b32_e64 v0, v35, v9, s0
	v_cndmask_b32_e64 v35, v36, v10, s0
	v_cmp_ngt_f64_e64 s0, -1.0, v[9:10]
	s_delay_alu instid0(VALU_DEP_1) | instskip(SKIP_1) | instid1(VALU_DEP_1)
	v_cndmask_b32_e64 v36, 0x7ff80000, v35, s0
	v_cmp_nge_f64_e64 s0, -1.0, v[9:10]
	v_cndmask_b32_e64 v35, 0, v0, s0
	v_cmp_neq_f64_e64 s0, -1.0, v[9:10]
	s_delay_alu instid0(VALU_DEP_1) | instskip(NEXT) | instid1(VALU_DEP_1)
	v_cndmask_b32_e64 v36, 0xfff00000, v36, s0
	v_add_f64 v[9:10], v[33:34], v[35:36]
.LBB66_130:
	s_or_b32 exec_lo, exec_lo, s17
	s_delay_alu instid0(VALU_DEP_1) | instskip(SKIP_1) | instid1(VALU_DEP_2)
	v_max_f64 v[33:34], v[9:10], v[9:10]
	v_cmp_u_f64_e64 s0, v[9:10], v[9:10]
	v_min_f64 v[35:36], v[33:34], v[57:58]
	v_max_f64 v[33:34], v[33:34], v[57:58]
	s_delay_alu instid0(VALU_DEP_2) | instskip(NEXT) | instid1(VALU_DEP_3)
	v_cndmask_b32_e64 v0, v35, v9, s0
	v_cndmask_b32_e64 v35, v36, v10, s0
	s_delay_alu instid0(VALU_DEP_3) | instskip(NEXT) | instid1(VALU_DEP_4)
	v_cndmask_b32_e64 v34, v34, v10, s0
	v_cndmask_b32_e64 v33, v33, v9, s0
	s_delay_alu instid0(VALU_DEP_3) | instskip(SKIP_1) | instid1(VALU_DEP_4)
	v_cndmask_b32_e64 v36, v35, v12, s29
	v_cndmask_b32_e64 v35, v0, v11, s29
	;; [unrolled: 1-line block ×3, first 2 shown]
	s_delay_alu instid0(VALU_DEP_4) | instskip(SKIP_1) | instid1(VALU_DEP_4)
	v_cndmask_b32_e64 v33, v33, v11, s29
	v_dual_mov_b32 v12, v10 :: v_dual_mov_b32 v11, v9
	v_cmp_class_f64_e64 s1, v[35:36], 0x1f8
	s_delay_alu instid0(VALU_DEP_3) | instskip(NEXT) | instid1(VALU_DEP_1)
	v_cmp_neq_f64_e64 s0, v[35:36], v[33:34]
	s_or_b32 s0, s0, s1
	s_delay_alu instid0(SALU_CYCLE_1)
	s_and_saveexec_b32 s17, s0
	s_cbranch_execz .LBB66_132
; %bb.131:
	v_add_f64 v[11:12], v[35:36], -v[33:34]
	s_mov_b32 s0, 0x652b82fe
	s_mov_b32 s1, 0x3ff71547
	;; [unrolled: 1-line block ×10, first 2 shown]
	s_delay_alu instid0(VALU_DEP_1) | instskip(SKIP_2) | instid1(VALU_DEP_1)
	v_mul_f64 v[35:36], v[11:12], s[0:1]
	s_mov_b32 s0, 0xfca7ab0c
	s_mov_b32 s1, 0x3e928af3
	v_rndne_f64_e32 v[35:36], v[35:36]
	s_delay_alu instid0(VALU_DEP_1) | instskip(SKIP_2) | instid1(VALU_DEP_2)
	v_fma_f64 v[37:38], v[35:36], s[18:19], v[11:12]
	v_cvt_i32_f64_e32 v0, v[35:36]
	s_mov_b32 s19, 0x3fe62e42
	v_fma_f64 v[37:38], v[35:36], s[20:21], v[37:38]
	s_mov_b32 s21, 0x3c7abc9e
	s_delay_alu instid0(VALU_DEP_1) | instskip(SKIP_4) | instid1(VALU_DEP_1)
	v_fma_f64 v[39:40], v[37:38], s[22:23], s[0:1]
	s_mov_b32 s0, 0x623fde64
	s_mov_b32 s1, 0x3ec71dee
	;; [unrolled: 1-line block ×4, first 2 shown]
	v_fma_f64 v[39:40], v[37:38], v[39:40], s[0:1]
	s_mov_b32 s0, 0x7c89e6b0
	s_mov_b32 s1, 0x3efa0199
	s_delay_alu instid0(VALU_DEP_1) | instid1(SALU_CYCLE_1)
	v_fma_f64 v[39:40], v[37:38], v[39:40], s[0:1]
	s_mov_b32 s0, 0x14761f6e
	s_mov_b32 s1, 0x3f2a01a0
	s_delay_alu instid0(VALU_DEP_1) | instid1(SALU_CYCLE_1)
	;; [unrolled: 4-line block ×7, first 2 shown]
	v_fma_f64 v[39:40], v[37:38], v[39:40], s[0:1]
	v_cmp_nlt_f64_e64 s0, 0x40900000, v[11:12]
	v_cmp_ngt_f64_e64 s1, 0xc090cc00, v[11:12]
	s_delay_alu instid0(VALU_DEP_3) | instskip(NEXT) | instid1(VALU_DEP_1)
	v_fma_f64 v[39:40], v[37:38], v[39:40], 1.0
	v_fma_f64 v[35:36], v[37:38], v[39:40], 1.0
	s_delay_alu instid0(VALU_DEP_1) | instskip(NEXT) | instid1(VALU_DEP_1)
	v_ldexp_f64 v[35:36], v[35:36], v0
	v_cndmask_b32_e64 v0, 0x7ff00000, v36, s0
	s_and_b32 s0, s1, s0
	s_delay_alu instid0(VALU_DEP_2) | instid1(SALU_CYCLE_1)
	v_cndmask_b32_e64 v11, 0, v35, s0
	s_mov_b32 s0, 0x55555555
	s_delay_alu instid0(VALU_DEP_2) | instskip(SKIP_1) | instid1(VALU_DEP_1)
	v_cndmask_b32_e64 v12, 0, v0, s1
	s_mov_b32 s1, 0x3fe55555
	v_add_f64 v[35:36], v[11:12], 1.0
	s_delay_alu instid0(VALU_DEP_1) | instskip(SKIP_2) | instid1(VALU_DEP_3)
	v_frexp_mant_f64_e32 v[37:38], v[35:36]
	v_frexp_exp_i32_f64_e32 v0, v[35:36]
	v_add_f64 v[39:40], v[35:36], -1.0
	v_cmp_gt_f64_e64 s0, s[0:1], v[37:38]
	s_delay_alu instid0(VALU_DEP_2) | instskip(SKIP_1) | instid1(VALU_DEP_3)
	v_add_f64 v[37:38], v[39:40], -v[35:36]
	v_add_f64 v[39:40], v[11:12], -v[39:40]
	v_subrev_co_ci_u32_e64 v0, s0, 0, v0, s0
	s_delay_alu instid0(VALU_DEP_3) | instskip(SKIP_1) | instid1(VALU_DEP_2)
	v_add_f64 v[37:38], v[37:38], 1.0
	s_mov_b32 s0, 0x55555780
	v_sub_nc_u32_e32 v43, 0, v0
	s_delay_alu instid0(VALU_DEP_1) | instskip(NEXT) | instid1(VALU_DEP_3)
	v_ldexp_f64 v[35:36], v[35:36], v43
	v_add_f64 v[37:38], v[39:40], v[37:38]
	s_delay_alu instid0(VALU_DEP_2) | instskip(SKIP_1) | instid1(VALU_DEP_3)
	v_add_f64 v[41:42], v[35:36], 1.0
	v_add_f64 v[47:48], v[35:36], -1.0
	v_ldexp_f64 v[37:38], v[37:38], v43
	s_delay_alu instid0(VALU_DEP_3) | instskip(NEXT) | instid1(VALU_DEP_3)
	v_add_f64 v[39:40], v[41:42], -1.0
	v_add_f64 v[49:50], v[47:48], 1.0
	s_delay_alu instid0(VALU_DEP_2) | instskip(NEXT) | instid1(VALU_DEP_2)
	v_add_f64 v[39:40], v[35:36], -v[39:40]
	v_add_f64 v[35:36], v[35:36], -v[49:50]
	s_delay_alu instid0(VALU_DEP_2) | instskip(NEXT) | instid1(VALU_DEP_2)
	v_add_f64 v[39:40], v[37:38], v[39:40]
	v_add_f64 v[35:36], v[37:38], v[35:36]
	s_delay_alu instid0(VALU_DEP_2) | instskip(NEXT) | instid1(VALU_DEP_2)
	v_add_f64 v[43:44], v[41:42], v[39:40]
	v_add_f64 v[49:50], v[47:48], v[35:36]
	s_delay_alu instid0(VALU_DEP_2) | instskip(SKIP_1) | instid1(VALU_DEP_2)
	v_rcp_f64_e32 v[45:46], v[43:44]
	v_add_f64 v[41:42], v[43:44], -v[41:42]
	v_add_f64 v[47:48], v[49:50], -v[47:48]
	s_delay_alu instid0(VALU_DEP_2) | instskip(SKIP_3) | instid1(VALU_DEP_2)
	v_add_f64 v[39:40], v[39:40], -v[41:42]
	s_waitcnt_depctr 0xfff
	v_fma_f64 v[51:52], -v[43:44], v[45:46], 1.0
	v_add_f64 v[35:36], v[35:36], -v[47:48]
	v_fma_f64 v[45:46], v[51:52], v[45:46], v[45:46]
	s_delay_alu instid0(VALU_DEP_1) | instskip(NEXT) | instid1(VALU_DEP_1)
	v_fma_f64 v[37:38], -v[43:44], v[45:46], 1.0
	v_fma_f64 v[37:38], v[37:38], v[45:46], v[45:46]
	s_delay_alu instid0(VALU_DEP_1) | instskip(NEXT) | instid1(VALU_DEP_1)
	v_mul_f64 v[45:46], v[49:50], v[37:38]
	v_mul_f64 v[51:52], v[43:44], v[45:46]
	s_delay_alu instid0(VALU_DEP_1) | instskip(NEXT) | instid1(VALU_DEP_1)
	v_fma_f64 v[41:42], v[45:46], v[43:44], -v[51:52]
	v_fma_f64 v[41:42], v[45:46], v[39:40], v[41:42]
	s_delay_alu instid0(VALU_DEP_1) | instskip(NEXT) | instid1(VALU_DEP_1)
	v_add_f64 v[53:54], v[51:52], v[41:42]
	v_add_f64 v[55:56], v[49:50], -v[53:54]
	v_add_f64 v[47:48], v[53:54], -v[51:52]
	s_delay_alu instid0(VALU_DEP_2) | instskip(NEXT) | instid1(VALU_DEP_2)
	v_add_f64 v[49:50], v[49:50], -v[55:56]
	v_add_f64 v[41:42], v[47:48], -v[41:42]
	s_delay_alu instid0(VALU_DEP_2) | instskip(NEXT) | instid1(VALU_DEP_1)
	v_add_f64 v[49:50], v[49:50], -v[53:54]
	v_add_f64 v[35:36], v[35:36], v[49:50]
	s_delay_alu instid0(VALU_DEP_1) | instskip(NEXT) | instid1(VALU_DEP_1)
	v_add_f64 v[35:36], v[41:42], v[35:36]
	v_add_f64 v[41:42], v[55:56], v[35:36]
	s_delay_alu instid0(VALU_DEP_1) | instskip(SKIP_1) | instid1(VALU_DEP_2)
	v_mul_f64 v[47:48], v[37:38], v[41:42]
	v_add_f64 v[53:54], v[55:56], -v[41:42]
	v_mul_f64 v[49:50], v[43:44], v[47:48]
	s_delay_alu instid0(VALU_DEP_2) | instskip(NEXT) | instid1(VALU_DEP_2)
	v_add_f64 v[35:36], v[35:36], v[53:54]
	v_fma_f64 v[43:44], v[47:48], v[43:44], -v[49:50]
	s_delay_alu instid0(VALU_DEP_1) | instskip(NEXT) | instid1(VALU_DEP_1)
	v_fma_f64 v[39:40], v[47:48], v[39:40], v[43:44]
	v_add_f64 v[43:44], v[49:50], v[39:40]
	s_delay_alu instid0(VALU_DEP_1) | instskip(SKIP_1) | instid1(VALU_DEP_2)
	v_add_f64 v[51:52], v[41:42], -v[43:44]
	v_add_f64 v[49:50], v[43:44], -v[49:50]
	;; [unrolled: 1-line block ×3, first 2 shown]
	s_delay_alu instid0(VALU_DEP_2) | instskip(NEXT) | instid1(VALU_DEP_2)
	v_add_f64 v[39:40], v[49:50], -v[39:40]
	v_add_f64 v[41:42], v[41:42], -v[43:44]
	s_delay_alu instid0(VALU_DEP_1) | instskip(SKIP_1) | instid1(VALU_DEP_2)
	v_add_f64 v[35:36], v[35:36], v[41:42]
	v_add_f64 v[41:42], v[45:46], v[47:48]
	v_add_f64 v[35:36], v[39:40], v[35:36]
	s_delay_alu instid0(VALU_DEP_2) | instskip(NEXT) | instid1(VALU_DEP_2)
	v_add_f64 v[39:40], v[41:42], -v[45:46]
	v_add_f64 v[35:36], v[51:52], v[35:36]
	s_delay_alu instid0(VALU_DEP_2) | instskip(NEXT) | instid1(VALU_DEP_2)
	v_add_f64 v[39:40], v[47:48], -v[39:40]
	v_mul_f64 v[35:36], v[37:38], v[35:36]
	s_delay_alu instid0(VALU_DEP_1) | instskip(NEXT) | instid1(VALU_DEP_1)
	v_add_f64 v[35:36], v[39:40], v[35:36]
	v_add_f64 v[37:38], v[41:42], v[35:36]
	s_delay_alu instid0(VALU_DEP_1) | instskip(NEXT) | instid1(VALU_DEP_1)
	v_mul_f64 v[39:40], v[37:38], v[37:38]
	v_fma_f64 v[43:44], v[39:40], s[24:25], s[22:23]
	s_mov_b32 s22, 0xd7f4df2e
	s_mov_b32 s23, 0x3fc7474d
	v_mul_f64 v[45:46], v[37:38], v[39:40]
	s_delay_alu instid0(VALU_DEP_2)
	v_fma_f64 v[43:44], v[39:40], v[43:44], s[22:23]
	s_mov_b32 s22, 0x16291751
	s_mov_b32 s23, 0x3fcc71c0
	s_delay_alu instid0(VALU_DEP_1) | instid1(SALU_CYCLE_1)
	v_fma_f64 v[43:44], v[39:40], v[43:44], s[22:23]
	s_mov_b32 s22, 0x9b27acf1
	s_mov_b32 s23, 0x3fd24924
	s_delay_alu instid0(VALU_DEP_1) | instid1(SALU_CYCLE_1)
	;; [unrolled: 4-line block ×3, first 2 shown]
	v_fma_f64 v[43:44], v[39:40], v[43:44], s[22:23]
	s_delay_alu instid0(VALU_DEP_1) | instskip(SKIP_3) | instid1(VALU_DEP_4)
	v_fma_f64 v[39:40], v[39:40], v[43:44], s[0:1]
	v_ldexp_f64 v[43:44], v[37:38], 1
	v_add_f64 v[37:38], v[37:38], -v[41:42]
	v_cmp_eq_f64_e64 s0, 0x7ff00000, v[11:12]
	v_mul_f64 v[39:40], v[45:46], v[39:40]
	v_cvt_f64_i32_e32 v[45:46], v0
	s_delay_alu instid0(VALU_DEP_4) | instskip(NEXT) | instid1(VALU_DEP_3)
	v_add_f64 v[35:36], v[35:36], -v[37:38]
	v_add_f64 v[41:42], v[43:44], v[39:40]
	s_delay_alu instid0(VALU_DEP_3) | instskip(NEXT) | instid1(VALU_DEP_3)
	v_mul_f64 v[47:48], v[45:46], s[18:19]
	v_ldexp_f64 v[35:36], v[35:36], 1
	s_delay_alu instid0(VALU_DEP_3) | instskip(NEXT) | instid1(VALU_DEP_3)
	v_add_f64 v[37:38], v[41:42], -v[43:44]
	v_fma_f64 v[43:44], v[45:46], s[18:19], -v[47:48]
	s_delay_alu instid0(VALU_DEP_2) | instskip(NEXT) | instid1(VALU_DEP_2)
	v_add_f64 v[37:38], v[39:40], -v[37:38]
	v_fma_f64 v[39:40], v[45:46], s[20:21], v[43:44]
	s_delay_alu instid0(VALU_DEP_2) | instskip(NEXT) | instid1(VALU_DEP_2)
	v_add_f64 v[35:36], v[35:36], v[37:38]
	v_add_f64 v[37:38], v[47:48], v[39:40]
	s_delay_alu instid0(VALU_DEP_2) | instskip(NEXT) | instid1(VALU_DEP_2)
	v_add_f64 v[43:44], v[41:42], v[35:36]
	v_add_f64 v[47:48], v[37:38], -v[47:48]
	s_delay_alu instid0(VALU_DEP_2) | instskip(SKIP_1) | instid1(VALU_DEP_3)
	v_add_f64 v[45:46], v[37:38], v[43:44]
	v_add_f64 v[41:42], v[43:44], -v[41:42]
	v_add_f64 v[39:40], v[39:40], -v[47:48]
	s_delay_alu instid0(VALU_DEP_3) | instskip(NEXT) | instid1(VALU_DEP_3)
	v_add_f64 v[49:50], v[45:46], -v[37:38]
	v_add_f64 v[35:36], v[35:36], -v[41:42]
	s_delay_alu instid0(VALU_DEP_2) | instskip(SKIP_1) | instid1(VALU_DEP_3)
	v_add_f64 v[51:52], v[45:46], -v[49:50]
	v_add_f64 v[41:42], v[43:44], -v[49:50]
	v_add_f64 v[43:44], v[39:40], v[35:36]
	s_delay_alu instid0(VALU_DEP_3) | instskip(NEXT) | instid1(VALU_DEP_1)
	v_add_f64 v[37:38], v[37:38], -v[51:52]
	v_add_f64 v[37:38], v[41:42], v[37:38]
	s_delay_alu instid0(VALU_DEP_3) | instskip(NEXT) | instid1(VALU_DEP_2)
	v_add_f64 v[41:42], v[43:44], -v[39:40]
	v_add_f64 v[37:38], v[43:44], v[37:38]
	s_delay_alu instid0(VALU_DEP_2) | instskip(SKIP_1) | instid1(VALU_DEP_3)
	v_add_f64 v[43:44], v[43:44], -v[41:42]
	v_add_f64 v[35:36], v[35:36], -v[41:42]
	v_add_f64 v[47:48], v[45:46], v[37:38]
	s_delay_alu instid0(VALU_DEP_3) | instskip(NEXT) | instid1(VALU_DEP_2)
	v_add_f64 v[39:40], v[39:40], -v[43:44]
	v_add_f64 v[41:42], v[47:48], -v[45:46]
	s_delay_alu instid0(VALU_DEP_2) | instskip(NEXT) | instid1(VALU_DEP_2)
	v_add_f64 v[35:36], v[35:36], v[39:40]
	v_add_f64 v[37:38], v[37:38], -v[41:42]
	s_delay_alu instid0(VALU_DEP_1) | instskip(NEXT) | instid1(VALU_DEP_1)
	v_add_f64 v[35:36], v[35:36], v[37:38]
	v_add_f64 v[35:36], v[47:48], v[35:36]
	s_delay_alu instid0(VALU_DEP_1) | instskip(NEXT) | instid1(VALU_DEP_2)
	v_cndmask_b32_e64 v0, v35, v11, s0
	v_cndmask_b32_e64 v35, v36, v12, s0
	v_cmp_ngt_f64_e64 s0, -1.0, v[11:12]
	s_delay_alu instid0(VALU_DEP_1) | instskip(SKIP_1) | instid1(VALU_DEP_1)
	v_cndmask_b32_e64 v36, 0x7ff80000, v35, s0
	v_cmp_nge_f64_e64 s0, -1.0, v[11:12]
	v_cndmask_b32_e64 v35, 0, v0, s0
	v_cmp_neq_f64_e64 s0, -1.0, v[11:12]
	s_delay_alu instid0(VALU_DEP_1) | instskip(NEXT) | instid1(VALU_DEP_1)
	v_cndmask_b32_e64 v36, 0xfff00000, v36, s0
	v_add_f64 v[11:12], v[33:34], v[35:36]
.LBB66_132:
	s_or_b32 exec_lo, exec_lo, s17
	s_delay_alu instid0(VALU_DEP_1) | instskip(SKIP_1) | instid1(VALU_DEP_2)
	v_max_f64 v[33:34], v[11:12], v[11:12]
	v_cmp_u_f64_e64 s0, v[11:12], v[11:12]
	v_min_f64 v[35:36], v[33:34], v[59:60]
	v_max_f64 v[33:34], v[33:34], v[59:60]
	s_delay_alu instid0(VALU_DEP_2) | instskip(NEXT) | instid1(VALU_DEP_3)
	v_cndmask_b32_e64 v0, v35, v11, s0
	v_cndmask_b32_e64 v35, v36, v12, s0
	s_delay_alu instid0(VALU_DEP_3) | instskip(NEXT) | instid1(VALU_DEP_4)
	v_cndmask_b32_e64 v34, v34, v12, s0
	v_cndmask_b32_e64 v33, v33, v11, s0
	s_delay_alu instid0(VALU_DEP_3) | instskip(SKIP_1) | instid1(VALU_DEP_4)
	v_cndmask_b32_e64 v36, v35, v6, s30
	v_cndmask_b32_e64 v35, v0, v5, s30
	;; [unrolled: 1-line block ×3, first 2 shown]
	s_delay_alu instid0(VALU_DEP_4) | instskip(SKIP_1) | instid1(VALU_DEP_4)
	v_cndmask_b32_e64 v33, v33, v5, s30
	v_dual_mov_b32 v5, v11 :: v_dual_mov_b32 v6, v12
	v_cmp_class_f64_e64 s1, v[35:36], 0x1f8
	s_delay_alu instid0(VALU_DEP_3) | instskip(NEXT) | instid1(VALU_DEP_1)
	v_cmp_neq_f64_e64 s0, v[35:36], v[33:34]
	s_or_b32 s0, s0, s1
	s_delay_alu instid0(SALU_CYCLE_1)
	s_and_saveexec_b32 s17, s0
	s_cbranch_execz .LBB66_134
; %bb.133:
	v_add_f64 v[5:6], v[35:36], -v[33:34]
	s_mov_b32 s0, 0x652b82fe
	s_mov_b32 s1, 0x3ff71547
	;; [unrolled: 1-line block ×10, first 2 shown]
	s_delay_alu instid0(VALU_DEP_1) | instskip(SKIP_2) | instid1(VALU_DEP_1)
	v_mul_f64 v[35:36], v[5:6], s[0:1]
	s_mov_b32 s0, 0xfca7ab0c
	s_mov_b32 s1, 0x3e928af3
	v_rndne_f64_e32 v[35:36], v[35:36]
	s_delay_alu instid0(VALU_DEP_1) | instskip(SKIP_2) | instid1(VALU_DEP_2)
	v_fma_f64 v[37:38], v[35:36], s[18:19], v[5:6]
	v_cvt_i32_f64_e32 v0, v[35:36]
	s_mov_b32 s19, 0x3fe62e42
	v_fma_f64 v[37:38], v[35:36], s[20:21], v[37:38]
	s_mov_b32 s21, 0x3c7abc9e
	s_delay_alu instid0(VALU_DEP_1) | instskip(SKIP_4) | instid1(VALU_DEP_1)
	v_fma_f64 v[39:40], v[37:38], s[22:23], s[0:1]
	s_mov_b32 s0, 0x623fde64
	s_mov_b32 s1, 0x3ec71dee
	;; [unrolled: 1-line block ×4, first 2 shown]
	v_fma_f64 v[39:40], v[37:38], v[39:40], s[0:1]
	s_mov_b32 s0, 0x7c89e6b0
	s_mov_b32 s1, 0x3efa0199
	s_delay_alu instid0(VALU_DEP_1) | instid1(SALU_CYCLE_1)
	v_fma_f64 v[39:40], v[37:38], v[39:40], s[0:1]
	s_mov_b32 s0, 0x14761f6e
	s_mov_b32 s1, 0x3f2a01a0
	s_delay_alu instid0(VALU_DEP_1) | instid1(SALU_CYCLE_1)
	;; [unrolled: 4-line block ×7, first 2 shown]
	v_fma_f64 v[39:40], v[37:38], v[39:40], s[0:1]
	v_cmp_nlt_f64_e64 s0, 0x40900000, v[5:6]
	v_cmp_ngt_f64_e64 s1, 0xc090cc00, v[5:6]
	s_delay_alu instid0(VALU_DEP_3) | instskip(NEXT) | instid1(VALU_DEP_1)
	v_fma_f64 v[39:40], v[37:38], v[39:40], 1.0
	v_fma_f64 v[35:36], v[37:38], v[39:40], 1.0
	s_delay_alu instid0(VALU_DEP_1) | instskip(NEXT) | instid1(VALU_DEP_1)
	v_ldexp_f64 v[35:36], v[35:36], v0
	v_cndmask_b32_e64 v0, 0x7ff00000, v36, s0
	s_and_b32 s0, s1, s0
	s_delay_alu instid0(VALU_DEP_2) | instid1(SALU_CYCLE_1)
	v_cndmask_b32_e64 v5, 0, v35, s0
	s_mov_b32 s0, 0x55555555
	s_delay_alu instid0(VALU_DEP_2) | instskip(SKIP_1) | instid1(VALU_DEP_1)
	v_cndmask_b32_e64 v6, 0, v0, s1
	s_mov_b32 s1, 0x3fe55555
	v_add_f64 v[35:36], v[5:6], 1.0
	s_delay_alu instid0(VALU_DEP_1) | instskip(SKIP_2) | instid1(VALU_DEP_3)
	v_frexp_mant_f64_e32 v[37:38], v[35:36]
	v_frexp_exp_i32_f64_e32 v0, v[35:36]
	v_add_f64 v[39:40], v[35:36], -1.0
	v_cmp_gt_f64_e64 s0, s[0:1], v[37:38]
	s_delay_alu instid0(VALU_DEP_2) | instskip(SKIP_1) | instid1(VALU_DEP_3)
	v_add_f64 v[37:38], v[39:40], -v[35:36]
	v_add_f64 v[39:40], v[5:6], -v[39:40]
	v_subrev_co_ci_u32_e64 v0, s0, 0, v0, s0
	s_delay_alu instid0(VALU_DEP_3) | instskip(SKIP_1) | instid1(VALU_DEP_2)
	v_add_f64 v[37:38], v[37:38], 1.0
	s_mov_b32 s0, 0x55555780
	v_sub_nc_u32_e32 v43, 0, v0
	s_delay_alu instid0(VALU_DEP_1) | instskip(NEXT) | instid1(VALU_DEP_3)
	v_ldexp_f64 v[35:36], v[35:36], v43
	v_add_f64 v[37:38], v[39:40], v[37:38]
	s_delay_alu instid0(VALU_DEP_2) | instskip(SKIP_1) | instid1(VALU_DEP_3)
	v_add_f64 v[41:42], v[35:36], 1.0
	v_add_f64 v[47:48], v[35:36], -1.0
	v_ldexp_f64 v[37:38], v[37:38], v43
	s_delay_alu instid0(VALU_DEP_3) | instskip(NEXT) | instid1(VALU_DEP_3)
	v_add_f64 v[39:40], v[41:42], -1.0
	v_add_f64 v[49:50], v[47:48], 1.0
	s_delay_alu instid0(VALU_DEP_2) | instskip(NEXT) | instid1(VALU_DEP_2)
	v_add_f64 v[39:40], v[35:36], -v[39:40]
	v_add_f64 v[35:36], v[35:36], -v[49:50]
	s_delay_alu instid0(VALU_DEP_2) | instskip(NEXT) | instid1(VALU_DEP_2)
	v_add_f64 v[39:40], v[37:38], v[39:40]
	v_add_f64 v[35:36], v[37:38], v[35:36]
	s_delay_alu instid0(VALU_DEP_2) | instskip(NEXT) | instid1(VALU_DEP_2)
	v_add_f64 v[43:44], v[41:42], v[39:40]
	v_add_f64 v[49:50], v[47:48], v[35:36]
	s_delay_alu instid0(VALU_DEP_2) | instskip(SKIP_1) | instid1(VALU_DEP_2)
	v_rcp_f64_e32 v[45:46], v[43:44]
	v_add_f64 v[41:42], v[43:44], -v[41:42]
	v_add_f64 v[47:48], v[49:50], -v[47:48]
	s_delay_alu instid0(VALU_DEP_2) | instskip(SKIP_3) | instid1(VALU_DEP_2)
	v_add_f64 v[39:40], v[39:40], -v[41:42]
	s_waitcnt_depctr 0xfff
	v_fma_f64 v[51:52], -v[43:44], v[45:46], 1.0
	v_add_f64 v[35:36], v[35:36], -v[47:48]
	v_fma_f64 v[45:46], v[51:52], v[45:46], v[45:46]
	s_delay_alu instid0(VALU_DEP_1) | instskip(NEXT) | instid1(VALU_DEP_1)
	v_fma_f64 v[37:38], -v[43:44], v[45:46], 1.0
	v_fma_f64 v[37:38], v[37:38], v[45:46], v[45:46]
	s_delay_alu instid0(VALU_DEP_1) | instskip(NEXT) | instid1(VALU_DEP_1)
	v_mul_f64 v[45:46], v[49:50], v[37:38]
	v_mul_f64 v[51:52], v[43:44], v[45:46]
	s_delay_alu instid0(VALU_DEP_1) | instskip(NEXT) | instid1(VALU_DEP_1)
	v_fma_f64 v[41:42], v[45:46], v[43:44], -v[51:52]
	v_fma_f64 v[41:42], v[45:46], v[39:40], v[41:42]
	s_delay_alu instid0(VALU_DEP_1) | instskip(NEXT) | instid1(VALU_DEP_1)
	v_add_f64 v[53:54], v[51:52], v[41:42]
	v_add_f64 v[55:56], v[49:50], -v[53:54]
	v_add_f64 v[47:48], v[53:54], -v[51:52]
	s_delay_alu instid0(VALU_DEP_2) | instskip(NEXT) | instid1(VALU_DEP_2)
	v_add_f64 v[49:50], v[49:50], -v[55:56]
	v_add_f64 v[41:42], v[47:48], -v[41:42]
	s_delay_alu instid0(VALU_DEP_2) | instskip(NEXT) | instid1(VALU_DEP_1)
	v_add_f64 v[49:50], v[49:50], -v[53:54]
	v_add_f64 v[35:36], v[35:36], v[49:50]
	s_delay_alu instid0(VALU_DEP_1) | instskip(NEXT) | instid1(VALU_DEP_1)
	v_add_f64 v[35:36], v[41:42], v[35:36]
	v_add_f64 v[41:42], v[55:56], v[35:36]
	s_delay_alu instid0(VALU_DEP_1) | instskip(SKIP_1) | instid1(VALU_DEP_2)
	v_mul_f64 v[47:48], v[37:38], v[41:42]
	v_add_f64 v[53:54], v[55:56], -v[41:42]
	v_mul_f64 v[49:50], v[43:44], v[47:48]
	s_delay_alu instid0(VALU_DEP_2) | instskip(NEXT) | instid1(VALU_DEP_2)
	v_add_f64 v[35:36], v[35:36], v[53:54]
	v_fma_f64 v[43:44], v[47:48], v[43:44], -v[49:50]
	s_delay_alu instid0(VALU_DEP_1) | instskip(NEXT) | instid1(VALU_DEP_1)
	v_fma_f64 v[39:40], v[47:48], v[39:40], v[43:44]
	v_add_f64 v[43:44], v[49:50], v[39:40]
	s_delay_alu instid0(VALU_DEP_1) | instskip(SKIP_1) | instid1(VALU_DEP_2)
	v_add_f64 v[51:52], v[41:42], -v[43:44]
	v_add_f64 v[49:50], v[43:44], -v[49:50]
	v_add_f64 v[41:42], v[41:42], -v[51:52]
	s_delay_alu instid0(VALU_DEP_2) | instskip(NEXT) | instid1(VALU_DEP_2)
	v_add_f64 v[39:40], v[49:50], -v[39:40]
	v_add_f64 v[41:42], v[41:42], -v[43:44]
	s_delay_alu instid0(VALU_DEP_1) | instskip(SKIP_1) | instid1(VALU_DEP_2)
	v_add_f64 v[35:36], v[35:36], v[41:42]
	v_add_f64 v[41:42], v[45:46], v[47:48]
	;; [unrolled: 1-line block ×3, first 2 shown]
	s_delay_alu instid0(VALU_DEP_2) | instskip(NEXT) | instid1(VALU_DEP_2)
	v_add_f64 v[39:40], v[41:42], -v[45:46]
	v_add_f64 v[35:36], v[51:52], v[35:36]
	s_delay_alu instid0(VALU_DEP_2) | instskip(NEXT) | instid1(VALU_DEP_2)
	v_add_f64 v[39:40], v[47:48], -v[39:40]
	v_mul_f64 v[35:36], v[37:38], v[35:36]
	s_delay_alu instid0(VALU_DEP_1) | instskip(NEXT) | instid1(VALU_DEP_1)
	v_add_f64 v[35:36], v[39:40], v[35:36]
	v_add_f64 v[37:38], v[41:42], v[35:36]
	s_delay_alu instid0(VALU_DEP_1) | instskip(NEXT) | instid1(VALU_DEP_1)
	v_mul_f64 v[39:40], v[37:38], v[37:38]
	v_fma_f64 v[43:44], v[39:40], s[24:25], s[22:23]
	s_mov_b32 s22, 0xd7f4df2e
	s_mov_b32 s23, 0x3fc7474d
	v_mul_f64 v[45:46], v[37:38], v[39:40]
	s_delay_alu instid0(VALU_DEP_2)
	v_fma_f64 v[43:44], v[39:40], v[43:44], s[22:23]
	s_mov_b32 s22, 0x16291751
	s_mov_b32 s23, 0x3fcc71c0
	s_delay_alu instid0(VALU_DEP_1) | instid1(SALU_CYCLE_1)
	v_fma_f64 v[43:44], v[39:40], v[43:44], s[22:23]
	s_mov_b32 s22, 0x9b27acf1
	s_mov_b32 s23, 0x3fd24924
	s_delay_alu instid0(VALU_DEP_1) | instid1(SALU_CYCLE_1)
	;; [unrolled: 4-line block ×3, first 2 shown]
	v_fma_f64 v[43:44], v[39:40], v[43:44], s[22:23]
	s_delay_alu instid0(VALU_DEP_1) | instskip(SKIP_3) | instid1(VALU_DEP_4)
	v_fma_f64 v[39:40], v[39:40], v[43:44], s[0:1]
	v_ldexp_f64 v[43:44], v[37:38], 1
	v_add_f64 v[37:38], v[37:38], -v[41:42]
	v_cmp_eq_f64_e64 s0, 0x7ff00000, v[5:6]
	v_mul_f64 v[39:40], v[45:46], v[39:40]
	v_cvt_f64_i32_e32 v[45:46], v0
	s_delay_alu instid0(VALU_DEP_4) | instskip(NEXT) | instid1(VALU_DEP_3)
	v_add_f64 v[35:36], v[35:36], -v[37:38]
	v_add_f64 v[41:42], v[43:44], v[39:40]
	s_delay_alu instid0(VALU_DEP_3) | instskip(NEXT) | instid1(VALU_DEP_3)
	v_mul_f64 v[47:48], v[45:46], s[18:19]
	v_ldexp_f64 v[35:36], v[35:36], 1
	s_delay_alu instid0(VALU_DEP_3) | instskip(NEXT) | instid1(VALU_DEP_3)
	v_add_f64 v[37:38], v[41:42], -v[43:44]
	v_fma_f64 v[43:44], v[45:46], s[18:19], -v[47:48]
	s_delay_alu instid0(VALU_DEP_2) | instskip(NEXT) | instid1(VALU_DEP_2)
	v_add_f64 v[37:38], v[39:40], -v[37:38]
	v_fma_f64 v[39:40], v[45:46], s[20:21], v[43:44]
	s_delay_alu instid0(VALU_DEP_2) | instskip(NEXT) | instid1(VALU_DEP_2)
	v_add_f64 v[35:36], v[35:36], v[37:38]
	v_add_f64 v[37:38], v[47:48], v[39:40]
	s_delay_alu instid0(VALU_DEP_2) | instskip(NEXT) | instid1(VALU_DEP_2)
	v_add_f64 v[43:44], v[41:42], v[35:36]
	v_add_f64 v[47:48], v[37:38], -v[47:48]
	s_delay_alu instid0(VALU_DEP_2) | instskip(SKIP_1) | instid1(VALU_DEP_3)
	v_add_f64 v[45:46], v[37:38], v[43:44]
	v_add_f64 v[41:42], v[43:44], -v[41:42]
	v_add_f64 v[39:40], v[39:40], -v[47:48]
	s_delay_alu instid0(VALU_DEP_3) | instskip(NEXT) | instid1(VALU_DEP_3)
	v_add_f64 v[49:50], v[45:46], -v[37:38]
	v_add_f64 v[35:36], v[35:36], -v[41:42]
	s_delay_alu instid0(VALU_DEP_2) | instskip(SKIP_1) | instid1(VALU_DEP_3)
	v_add_f64 v[51:52], v[45:46], -v[49:50]
	v_add_f64 v[41:42], v[43:44], -v[49:50]
	v_add_f64 v[43:44], v[39:40], v[35:36]
	s_delay_alu instid0(VALU_DEP_3) | instskip(NEXT) | instid1(VALU_DEP_1)
	v_add_f64 v[37:38], v[37:38], -v[51:52]
	v_add_f64 v[37:38], v[41:42], v[37:38]
	s_delay_alu instid0(VALU_DEP_3) | instskip(NEXT) | instid1(VALU_DEP_2)
	v_add_f64 v[41:42], v[43:44], -v[39:40]
	v_add_f64 v[37:38], v[43:44], v[37:38]
	s_delay_alu instid0(VALU_DEP_2) | instskip(SKIP_1) | instid1(VALU_DEP_3)
	v_add_f64 v[43:44], v[43:44], -v[41:42]
	v_add_f64 v[35:36], v[35:36], -v[41:42]
	v_add_f64 v[47:48], v[45:46], v[37:38]
	s_delay_alu instid0(VALU_DEP_3) | instskip(NEXT) | instid1(VALU_DEP_2)
	v_add_f64 v[39:40], v[39:40], -v[43:44]
	v_add_f64 v[41:42], v[47:48], -v[45:46]
	s_delay_alu instid0(VALU_DEP_2) | instskip(NEXT) | instid1(VALU_DEP_2)
	v_add_f64 v[35:36], v[35:36], v[39:40]
	v_add_f64 v[37:38], v[37:38], -v[41:42]
	s_delay_alu instid0(VALU_DEP_1) | instskip(NEXT) | instid1(VALU_DEP_1)
	v_add_f64 v[35:36], v[35:36], v[37:38]
	v_add_f64 v[35:36], v[47:48], v[35:36]
	s_delay_alu instid0(VALU_DEP_1) | instskip(NEXT) | instid1(VALU_DEP_2)
	v_cndmask_b32_e64 v0, v35, v5, s0
	v_cndmask_b32_e64 v35, v36, v6, s0
	v_cmp_ngt_f64_e64 s0, -1.0, v[5:6]
	s_delay_alu instid0(VALU_DEP_1) | instskip(SKIP_1) | instid1(VALU_DEP_1)
	v_cndmask_b32_e64 v36, 0x7ff80000, v35, s0
	v_cmp_nge_f64_e64 s0, -1.0, v[5:6]
	v_cndmask_b32_e64 v35, 0, v0, s0
	v_cmp_neq_f64_e64 s0, -1.0, v[5:6]
	s_delay_alu instid0(VALU_DEP_1) | instskip(NEXT) | instid1(VALU_DEP_1)
	v_cndmask_b32_e64 v36, 0xfff00000, v36, s0
	v_add_f64 v[5:6], v[33:34], v[35:36]
.LBB66_134:
	s_or_b32 exec_lo, exec_lo, s17
	s_delay_alu instid0(VALU_DEP_1) | instskip(SKIP_1) | instid1(VALU_DEP_2)
	v_max_f64 v[33:34], v[5:6], v[5:6]
	v_cmp_u_f64_e64 s0, v[5:6], v[5:6]
	v_min_f64 v[35:36], v[33:34], v[61:62]
	v_max_f64 v[33:34], v[33:34], v[61:62]
	s_delay_alu instid0(VALU_DEP_2) | instskip(NEXT) | instid1(VALU_DEP_3)
	v_cndmask_b32_e64 v0, v35, v5, s0
	v_cndmask_b32_e64 v35, v36, v6, s0
	s_delay_alu instid0(VALU_DEP_3) | instskip(NEXT) | instid1(VALU_DEP_4)
	v_cndmask_b32_e64 v34, v34, v6, s0
	v_cndmask_b32_e64 v33, v33, v5, s0
	s_delay_alu instid0(VALU_DEP_3) | instskip(SKIP_1) | instid1(VALU_DEP_4)
	v_cndmask_b32_e64 v36, v35, v8, s31
	v_cndmask_b32_e64 v35, v0, v7, s31
	;; [unrolled: 1-line block ×3, first 2 shown]
	s_delay_alu instid0(VALU_DEP_4) | instskip(SKIP_1) | instid1(VALU_DEP_4)
	v_cndmask_b32_e64 v7, v33, v7, s31
	v_dual_mov_b32 v34, v6 :: v_dual_mov_b32 v33, v5
	v_cmp_class_f64_e64 s1, v[35:36], 0x1f8
	s_delay_alu instid0(VALU_DEP_3) | instskip(NEXT) | instid1(VALU_DEP_1)
	v_cmp_neq_f64_e64 s0, v[35:36], v[7:8]
	s_or_b32 s0, s0, s1
	s_delay_alu instid0(SALU_CYCLE_1)
	s_and_saveexec_b32 s17, s0
	s_cbranch_execz .LBB66_136
; %bb.135:
	v_add_f64 v[33:34], v[35:36], -v[7:8]
	s_mov_b32 s0, 0x652b82fe
	s_mov_b32 s1, 0x3ff71547
	;; [unrolled: 1-line block ×10, first 2 shown]
	s_delay_alu instid0(VALU_DEP_1) | instskip(SKIP_2) | instid1(VALU_DEP_1)
	v_mul_f64 v[35:36], v[33:34], s[0:1]
	s_mov_b32 s0, 0xfca7ab0c
	s_mov_b32 s1, 0x3e928af3
	v_rndne_f64_e32 v[35:36], v[35:36]
	s_delay_alu instid0(VALU_DEP_1) | instskip(SKIP_2) | instid1(VALU_DEP_2)
	v_fma_f64 v[37:38], v[35:36], s[18:19], v[33:34]
	v_cvt_i32_f64_e32 v0, v[35:36]
	s_mov_b32 s19, 0x3fe62e42
	v_fma_f64 v[37:38], v[35:36], s[20:21], v[37:38]
	s_mov_b32 s21, 0x3c7abc9e
	s_delay_alu instid0(VALU_DEP_1) | instskip(SKIP_4) | instid1(VALU_DEP_1)
	v_fma_f64 v[39:40], v[37:38], s[22:23], s[0:1]
	s_mov_b32 s0, 0x623fde64
	s_mov_b32 s1, 0x3ec71dee
	;; [unrolled: 1-line block ×4, first 2 shown]
	v_fma_f64 v[39:40], v[37:38], v[39:40], s[0:1]
	s_mov_b32 s0, 0x7c89e6b0
	s_mov_b32 s1, 0x3efa0199
	s_delay_alu instid0(VALU_DEP_1) | instid1(SALU_CYCLE_1)
	v_fma_f64 v[39:40], v[37:38], v[39:40], s[0:1]
	s_mov_b32 s0, 0x14761f6e
	s_mov_b32 s1, 0x3f2a01a0
	s_delay_alu instid0(VALU_DEP_1) | instid1(SALU_CYCLE_1)
	;; [unrolled: 4-line block ×7, first 2 shown]
	v_fma_f64 v[39:40], v[37:38], v[39:40], s[0:1]
	v_cmp_nlt_f64_e64 s0, 0x40900000, v[33:34]
	v_cmp_ngt_f64_e64 s1, 0xc090cc00, v[33:34]
	s_delay_alu instid0(VALU_DEP_3) | instskip(NEXT) | instid1(VALU_DEP_1)
	v_fma_f64 v[39:40], v[37:38], v[39:40], 1.0
	v_fma_f64 v[35:36], v[37:38], v[39:40], 1.0
	s_delay_alu instid0(VALU_DEP_1) | instskip(NEXT) | instid1(VALU_DEP_1)
	v_ldexp_f64 v[35:36], v[35:36], v0
	v_cndmask_b32_e64 v0, 0x7ff00000, v36, s0
	s_and_b32 s0, s1, s0
	s_delay_alu instid0(VALU_DEP_2) | instid1(SALU_CYCLE_1)
	v_cndmask_b32_e64 v33, 0, v35, s0
	s_mov_b32 s0, 0x55555555
	s_delay_alu instid0(VALU_DEP_2) | instskip(SKIP_1) | instid1(VALU_DEP_1)
	v_cndmask_b32_e64 v34, 0, v0, s1
	s_mov_b32 s1, 0x3fe55555
	v_add_f64 v[35:36], v[33:34], 1.0
	s_delay_alu instid0(VALU_DEP_1) | instskip(SKIP_2) | instid1(VALU_DEP_3)
	v_frexp_mant_f64_e32 v[37:38], v[35:36]
	v_frexp_exp_i32_f64_e32 v0, v[35:36]
	v_add_f64 v[39:40], v[35:36], -1.0
	v_cmp_gt_f64_e64 s0, s[0:1], v[37:38]
	s_delay_alu instid0(VALU_DEP_2) | instskip(SKIP_1) | instid1(VALU_DEP_3)
	v_add_f64 v[37:38], v[39:40], -v[35:36]
	v_add_f64 v[39:40], v[33:34], -v[39:40]
	v_subrev_co_ci_u32_e64 v0, s0, 0, v0, s0
	s_delay_alu instid0(VALU_DEP_3) | instskip(SKIP_1) | instid1(VALU_DEP_2)
	v_add_f64 v[37:38], v[37:38], 1.0
	s_mov_b32 s0, 0x55555780
	v_sub_nc_u32_e32 v43, 0, v0
	s_delay_alu instid0(VALU_DEP_1) | instskip(NEXT) | instid1(VALU_DEP_3)
	v_ldexp_f64 v[35:36], v[35:36], v43
	v_add_f64 v[37:38], v[39:40], v[37:38]
	s_delay_alu instid0(VALU_DEP_2) | instskip(SKIP_1) | instid1(VALU_DEP_3)
	v_add_f64 v[41:42], v[35:36], 1.0
	v_add_f64 v[47:48], v[35:36], -1.0
	v_ldexp_f64 v[37:38], v[37:38], v43
	s_delay_alu instid0(VALU_DEP_3) | instskip(NEXT) | instid1(VALU_DEP_3)
	v_add_f64 v[39:40], v[41:42], -1.0
	v_add_f64 v[49:50], v[47:48], 1.0
	s_delay_alu instid0(VALU_DEP_2) | instskip(NEXT) | instid1(VALU_DEP_2)
	v_add_f64 v[39:40], v[35:36], -v[39:40]
	v_add_f64 v[35:36], v[35:36], -v[49:50]
	s_delay_alu instid0(VALU_DEP_2) | instskip(NEXT) | instid1(VALU_DEP_2)
	v_add_f64 v[39:40], v[37:38], v[39:40]
	v_add_f64 v[35:36], v[37:38], v[35:36]
	s_delay_alu instid0(VALU_DEP_2) | instskip(NEXT) | instid1(VALU_DEP_2)
	v_add_f64 v[43:44], v[41:42], v[39:40]
	v_add_f64 v[49:50], v[47:48], v[35:36]
	s_delay_alu instid0(VALU_DEP_2) | instskip(SKIP_1) | instid1(VALU_DEP_2)
	v_rcp_f64_e32 v[45:46], v[43:44]
	v_add_f64 v[41:42], v[43:44], -v[41:42]
	v_add_f64 v[47:48], v[49:50], -v[47:48]
	s_delay_alu instid0(VALU_DEP_2) | instskip(SKIP_3) | instid1(VALU_DEP_2)
	v_add_f64 v[39:40], v[39:40], -v[41:42]
	s_waitcnt_depctr 0xfff
	v_fma_f64 v[51:52], -v[43:44], v[45:46], 1.0
	v_add_f64 v[35:36], v[35:36], -v[47:48]
	v_fma_f64 v[45:46], v[51:52], v[45:46], v[45:46]
	s_delay_alu instid0(VALU_DEP_1) | instskip(NEXT) | instid1(VALU_DEP_1)
	v_fma_f64 v[37:38], -v[43:44], v[45:46], 1.0
	v_fma_f64 v[37:38], v[37:38], v[45:46], v[45:46]
	s_delay_alu instid0(VALU_DEP_1) | instskip(NEXT) | instid1(VALU_DEP_1)
	v_mul_f64 v[45:46], v[49:50], v[37:38]
	v_mul_f64 v[51:52], v[43:44], v[45:46]
	s_delay_alu instid0(VALU_DEP_1) | instskip(NEXT) | instid1(VALU_DEP_1)
	v_fma_f64 v[41:42], v[45:46], v[43:44], -v[51:52]
	v_fma_f64 v[41:42], v[45:46], v[39:40], v[41:42]
	s_delay_alu instid0(VALU_DEP_1) | instskip(NEXT) | instid1(VALU_DEP_1)
	v_add_f64 v[53:54], v[51:52], v[41:42]
	v_add_f64 v[55:56], v[49:50], -v[53:54]
	v_add_f64 v[47:48], v[53:54], -v[51:52]
	s_delay_alu instid0(VALU_DEP_2) | instskip(NEXT) | instid1(VALU_DEP_2)
	v_add_f64 v[49:50], v[49:50], -v[55:56]
	v_add_f64 v[41:42], v[47:48], -v[41:42]
	s_delay_alu instid0(VALU_DEP_2) | instskip(NEXT) | instid1(VALU_DEP_1)
	v_add_f64 v[49:50], v[49:50], -v[53:54]
	v_add_f64 v[35:36], v[35:36], v[49:50]
	s_delay_alu instid0(VALU_DEP_1) | instskip(NEXT) | instid1(VALU_DEP_1)
	v_add_f64 v[35:36], v[41:42], v[35:36]
	v_add_f64 v[41:42], v[55:56], v[35:36]
	s_delay_alu instid0(VALU_DEP_1) | instskip(SKIP_1) | instid1(VALU_DEP_2)
	v_mul_f64 v[47:48], v[37:38], v[41:42]
	v_add_f64 v[53:54], v[55:56], -v[41:42]
	v_mul_f64 v[49:50], v[43:44], v[47:48]
	s_delay_alu instid0(VALU_DEP_2) | instskip(NEXT) | instid1(VALU_DEP_2)
	v_add_f64 v[35:36], v[35:36], v[53:54]
	v_fma_f64 v[43:44], v[47:48], v[43:44], -v[49:50]
	s_delay_alu instid0(VALU_DEP_1) | instskip(NEXT) | instid1(VALU_DEP_1)
	v_fma_f64 v[39:40], v[47:48], v[39:40], v[43:44]
	v_add_f64 v[43:44], v[49:50], v[39:40]
	s_delay_alu instid0(VALU_DEP_1) | instskip(SKIP_1) | instid1(VALU_DEP_2)
	v_add_f64 v[51:52], v[41:42], -v[43:44]
	v_add_f64 v[49:50], v[43:44], -v[49:50]
	;; [unrolled: 1-line block ×3, first 2 shown]
	s_delay_alu instid0(VALU_DEP_2) | instskip(NEXT) | instid1(VALU_DEP_2)
	v_add_f64 v[39:40], v[49:50], -v[39:40]
	v_add_f64 v[41:42], v[41:42], -v[43:44]
	s_delay_alu instid0(VALU_DEP_1) | instskip(SKIP_1) | instid1(VALU_DEP_2)
	v_add_f64 v[35:36], v[35:36], v[41:42]
	v_add_f64 v[41:42], v[45:46], v[47:48]
	;; [unrolled: 1-line block ×3, first 2 shown]
	s_delay_alu instid0(VALU_DEP_2) | instskip(NEXT) | instid1(VALU_DEP_2)
	v_add_f64 v[39:40], v[41:42], -v[45:46]
	v_add_f64 v[35:36], v[51:52], v[35:36]
	s_delay_alu instid0(VALU_DEP_2) | instskip(NEXT) | instid1(VALU_DEP_2)
	v_add_f64 v[39:40], v[47:48], -v[39:40]
	v_mul_f64 v[35:36], v[37:38], v[35:36]
	s_delay_alu instid0(VALU_DEP_1) | instskip(NEXT) | instid1(VALU_DEP_1)
	v_add_f64 v[35:36], v[39:40], v[35:36]
	v_add_f64 v[37:38], v[41:42], v[35:36]
	s_delay_alu instid0(VALU_DEP_1) | instskip(NEXT) | instid1(VALU_DEP_1)
	v_mul_f64 v[39:40], v[37:38], v[37:38]
	v_fma_f64 v[43:44], v[39:40], s[24:25], s[22:23]
	s_mov_b32 s22, 0xd7f4df2e
	s_mov_b32 s23, 0x3fc7474d
	v_mul_f64 v[45:46], v[37:38], v[39:40]
	s_delay_alu instid0(VALU_DEP_2)
	v_fma_f64 v[43:44], v[39:40], v[43:44], s[22:23]
	s_mov_b32 s22, 0x16291751
	s_mov_b32 s23, 0x3fcc71c0
	s_delay_alu instid0(VALU_DEP_1) | instid1(SALU_CYCLE_1)
	v_fma_f64 v[43:44], v[39:40], v[43:44], s[22:23]
	s_mov_b32 s22, 0x9b27acf1
	s_mov_b32 s23, 0x3fd24924
	s_delay_alu instid0(VALU_DEP_1) | instid1(SALU_CYCLE_1)
	;; [unrolled: 4-line block ×3, first 2 shown]
	v_fma_f64 v[43:44], v[39:40], v[43:44], s[22:23]
	s_delay_alu instid0(VALU_DEP_1) | instskip(SKIP_3) | instid1(VALU_DEP_4)
	v_fma_f64 v[39:40], v[39:40], v[43:44], s[0:1]
	v_ldexp_f64 v[43:44], v[37:38], 1
	v_add_f64 v[37:38], v[37:38], -v[41:42]
	v_cmp_eq_f64_e64 s0, 0x7ff00000, v[33:34]
	v_mul_f64 v[39:40], v[45:46], v[39:40]
	v_cvt_f64_i32_e32 v[45:46], v0
	s_delay_alu instid0(VALU_DEP_4) | instskip(NEXT) | instid1(VALU_DEP_3)
	v_add_f64 v[35:36], v[35:36], -v[37:38]
	v_add_f64 v[41:42], v[43:44], v[39:40]
	s_delay_alu instid0(VALU_DEP_3) | instskip(NEXT) | instid1(VALU_DEP_3)
	v_mul_f64 v[47:48], v[45:46], s[18:19]
	v_ldexp_f64 v[35:36], v[35:36], 1
	s_delay_alu instid0(VALU_DEP_3) | instskip(NEXT) | instid1(VALU_DEP_3)
	v_add_f64 v[37:38], v[41:42], -v[43:44]
	v_fma_f64 v[43:44], v[45:46], s[18:19], -v[47:48]
	s_delay_alu instid0(VALU_DEP_2) | instskip(NEXT) | instid1(VALU_DEP_2)
	v_add_f64 v[37:38], v[39:40], -v[37:38]
	v_fma_f64 v[39:40], v[45:46], s[20:21], v[43:44]
	s_delay_alu instid0(VALU_DEP_2) | instskip(NEXT) | instid1(VALU_DEP_2)
	v_add_f64 v[35:36], v[35:36], v[37:38]
	v_add_f64 v[37:38], v[47:48], v[39:40]
	s_delay_alu instid0(VALU_DEP_2) | instskip(NEXT) | instid1(VALU_DEP_2)
	v_add_f64 v[43:44], v[41:42], v[35:36]
	v_add_f64 v[47:48], v[37:38], -v[47:48]
	s_delay_alu instid0(VALU_DEP_2) | instskip(SKIP_1) | instid1(VALU_DEP_3)
	v_add_f64 v[45:46], v[37:38], v[43:44]
	v_add_f64 v[41:42], v[43:44], -v[41:42]
	v_add_f64 v[39:40], v[39:40], -v[47:48]
	s_delay_alu instid0(VALU_DEP_3) | instskip(NEXT) | instid1(VALU_DEP_3)
	v_add_f64 v[49:50], v[45:46], -v[37:38]
	v_add_f64 v[35:36], v[35:36], -v[41:42]
	s_delay_alu instid0(VALU_DEP_2) | instskip(SKIP_1) | instid1(VALU_DEP_3)
	v_add_f64 v[51:52], v[45:46], -v[49:50]
	v_add_f64 v[41:42], v[43:44], -v[49:50]
	v_add_f64 v[43:44], v[39:40], v[35:36]
	s_delay_alu instid0(VALU_DEP_3) | instskip(NEXT) | instid1(VALU_DEP_1)
	v_add_f64 v[37:38], v[37:38], -v[51:52]
	v_add_f64 v[37:38], v[41:42], v[37:38]
	s_delay_alu instid0(VALU_DEP_3) | instskip(NEXT) | instid1(VALU_DEP_2)
	v_add_f64 v[41:42], v[43:44], -v[39:40]
	v_add_f64 v[37:38], v[43:44], v[37:38]
	s_delay_alu instid0(VALU_DEP_2) | instskip(SKIP_1) | instid1(VALU_DEP_3)
	v_add_f64 v[43:44], v[43:44], -v[41:42]
	v_add_f64 v[35:36], v[35:36], -v[41:42]
	v_add_f64 v[47:48], v[45:46], v[37:38]
	s_delay_alu instid0(VALU_DEP_3) | instskip(NEXT) | instid1(VALU_DEP_2)
	v_add_f64 v[39:40], v[39:40], -v[43:44]
	v_add_f64 v[41:42], v[47:48], -v[45:46]
	s_delay_alu instid0(VALU_DEP_2) | instskip(NEXT) | instid1(VALU_DEP_2)
	v_add_f64 v[35:36], v[35:36], v[39:40]
	v_add_f64 v[37:38], v[37:38], -v[41:42]
	s_delay_alu instid0(VALU_DEP_1) | instskip(NEXT) | instid1(VALU_DEP_1)
	v_add_f64 v[35:36], v[35:36], v[37:38]
	v_add_f64 v[35:36], v[47:48], v[35:36]
	s_delay_alu instid0(VALU_DEP_1) | instskip(NEXT) | instid1(VALU_DEP_2)
	v_cndmask_b32_e64 v0, v35, v33, s0
	v_cndmask_b32_e64 v35, v36, v34, s0
	v_cmp_ngt_f64_e64 s0, -1.0, v[33:34]
	s_delay_alu instid0(VALU_DEP_1) | instskip(SKIP_1) | instid1(VALU_DEP_1)
	v_cndmask_b32_e64 v36, 0x7ff80000, v35, s0
	v_cmp_nge_f64_e64 s0, -1.0, v[33:34]
	v_cndmask_b32_e64 v35, 0, v0, s0
	v_cmp_neq_f64_e64 s0, -1.0, v[33:34]
	s_delay_alu instid0(VALU_DEP_1) | instskip(NEXT) | instid1(VALU_DEP_1)
	v_cndmask_b32_e64 v36, 0xfff00000, v36, s0
	v_add_f64 v[33:34], v[7:8], v[35:36]
.LBB66_136:
	s_or_b32 exec_lo, exec_lo, s17
	s_waitcnt lgkmcnt(0)
	s_barrier
	buffer_gl0_inv
	ds_store_2addr_b64 v94, v[1:2], v[3:4] offset1:1
	ds_store_2addr_b64 v94, v[29:30], v[31:32] offset0:2 offset1:3
	ds_store_2addr_b64 v94, v[25:26], v[27:28] offset0:4 offset1:5
	;; [unrolled: 1-line block ×7, first 2 shown]
	s_waitcnt lgkmcnt(0)
	s_barrier
	buffer_gl0_inv
	ds_load_b64 v[30:31], v79 offset:2048
	ds_load_b64 v[28:29], v80 offset:4096
	;; [unrolled: 1-line block ×15, first 2 shown]
	v_add_co_u32 v2, s0, s34, v77
	s_delay_alu instid0(VALU_DEP_1)
	v_add_co_ci_u32_e64 v3, null, s35, 0, s0
	s_and_saveexec_b32 s0, vcc_lo
	s_cbranch_execnz .LBB66_153
; %bb.137:
	s_or_b32 exec_lo, exec_lo, s0
	s_and_saveexec_b32 s0, s2
	s_cbranch_execnz .LBB66_154
.LBB66_138:
	s_or_b32 exec_lo, exec_lo, s0
	s_and_saveexec_b32 s0, s3
	s_cbranch_execnz .LBB66_155
.LBB66_139:
	s_or_b32 exec_lo, exec_lo, s0
	s_and_saveexec_b32 s0, s4
	s_cbranch_execnz .LBB66_156
.LBB66_140:
	s_or_b32 exec_lo, exec_lo, s0
	s_and_saveexec_b32 s0, s5
	s_cbranch_execnz .LBB66_157
.LBB66_141:
	s_or_b32 exec_lo, exec_lo, s0
	s_and_saveexec_b32 s0, s6
	s_cbranch_execnz .LBB66_158
.LBB66_142:
	s_or_b32 exec_lo, exec_lo, s0
	s_and_saveexec_b32 s0, s7
	s_cbranch_execnz .LBB66_159
.LBB66_143:
	s_or_b32 exec_lo, exec_lo, s0
	s_and_saveexec_b32 s0, s8
	s_cbranch_execnz .LBB66_160
.LBB66_144:
	s_or_b32 exec_lo, exec_lo, s0
	s_and_saveexec_b32 s0, s9
	s_cbranch_execnz .LBB66_161
.LBB66_145:
	s_or_b32 exec_lo, exec_lo, s0
	s_and_saveexec_b32 s0, s10
	s_cbranch_execnz .LBB66_162
.LBB66_146:
	s_or_b32 exec_lo, exec_lo, s0
	s_and_saveexec_b32 s0, s11
	s_cbranch_execnz .LBB66_163
.LBB66_147:
	s_or_b32 exec_lo, exec_lo, s0
	s_and_saveexec_b32 s0, s12
	s_cbranch_execnz .LBB66_164
.LBB66_148:
	s_or_b32 exec_lo, exec_lo, s0
	s_and_saveexec_b32 s0, s13
	s_cbranch_execnz .LBB66_165
.LBB66_149:
	s_or_b32 exec_lo, exec_lo, s0
	s_and_saveexec_b32 s0, s14
	s_cbranch_execnz .LBB66_166
.LBB66_150:
	s_or_b32 exec_lo, exec_lo, s0
	s_and_saveexec_b32 s0, s15
	s_cbranch_execnz .LBB66_167
.LBB66_151:
	s_or_b32 exec_lo, exec_lo, s0
	s_and_saveexec_b32 s0, s16
	s_cbranch_execnz .LBB66_168
.LBB66_152:
	s_nop 0
	s_sendmsg sendmsg(MSG_DEALLOC_VGPRS)
	s_endpgm
.LBB66_153:
	ds_load_b64 v[32:33], v78
	s_waitcnt lgkmcnt(0)
	global_store_b64 v[2:3], v[32:33], off
	s_or_b32 exec_lo, exec_lo, s0
	s_and_saveexec_b32 s0, s2
	s_cbranch_execz .LBB66_138
.LBB66_154:
	s_waitcnt lgkmcnt(14)
	global_store_b64 v[2:3], v[30:31], off offset:2048
	s_or_b32 exec_lo, exec_lo, s0
	s_and_saveexec_b32 s0, s3
	s_cbranch_execz .LBB66_139
.LBB66_155:
	s_waitcnt lgkmcnt(14)
	v_add_co_u32 v30, vcc_lo, 0x1000, v2
	v_add_co_ci_u32_e32 v31, vcc_lo, 0, v3, vcc_lo
	s_waitcnt lgkmcnt(13)
	global_store_b64 v[30:31], v[28:29], off
	s_or_b32 exec_lo, exec_lo, s0
	s_and_saveexec_b32 s0, s4
	s_cbranch_execz .LBB66_140
.LBB66_156:
	s_waitcnt lgkmcnt(13)
	v_add_co_u32 v28, vcc_lo, 0x1000, v2
	v_add_co_ci_u32_e32 v29, vcc_lo, 0, v3, vcc_lo
	s_waitcnt lgkmcnt(12)
	global_store_b64 v[28:29], v[26:27], off offset:2048
	s_or_b32 exec_lo, exec_lo, s0
	s_and_saveexec_b32 s0, s5
	s_cbranch_execz .LBB66_141
.LBB66_157:
	s_waitcnt lgkmcnt(12)
	v_add_co_u32 v26, vcc_lo, 0x2000, v2
	v_add_co_ci_u32_e32 v27, vcc_lo, 0, v3, vcc_lo
	s_waitcnt lgkmcnt(11)
	global_store_b64 v[26:27], v[24:25], off
	s_or_b32 exec_lo, exec_lo, s0
	s_and_saveexec_b32 s0, s6
	s_cbranch_execz .LBB66_142
.LBB66_158:
	s_waitcnt lgkmcnt(11)
	v_add_co_u32 v24, vcc_lo, 0x2000, v2
	v_add_co_ci_u32_e32 v25, vcc_lo, 0, v3, vcc_lo
	s_waitcnt lgkmcnt(10)
	global_store_b64 v[24:25], v[22:23], off offset:2048
	s_or_b32 exec_lo, exec_lo, s0
	s_and_saveexec_b32 s0, s7
	s_cbranch_execz .LBB66_143
.LBB66_159:
	s_waitcnt lgkmcnt(10)
	v_add_co_u32 v22, vcc_lo, 0x3000, v2
	v_add_co_ci_u32_e32 v23, vcc_lo, 0, v3, vcc_lo
	s_waitcnt lgkmcnt(9)
	global_store_b64 v[22:23], v[20:21], off
	s_or_b32 exec_lo, exec_lo, s0
	s_and_saveexec_b32 s0, s8
	s_cbranch_execz .LBB66_144
.LBB66_160:
	s_waitcnt lgkmcnt(9)
	v_add_co_u32 v20, vcc_lo, 0x3000, v2
	v_add_co_ci_u32_e32 v21, vcc_lo, 0, v3, vcc_lo
	s_waitcnt lgkmcnt(8)
	global_store_b64 v[20:21], v[18:19], off offset:2048
	s_or_b32 exec_lo, exec_lo, s0
	s_and_saveexec_b32 s0, s9
	s_cbranch_execz .LBB66_145
.LBB66_161:
	s_waitcnt lgkmcnt(8)
	v_add_co_u32 v18, vcc_lo, 0x4000, v2
	v_add_co_ci_u32_e32 v19, vcc_lo, 0, v3, vcc_lo
	s_waitcnt lgkmcnt(7)
	global_store_b64 v[18:19], v[16:17], off
	s_or_b32 exec_lo, exec_lo, s0
	s_and_saveexec_b32 s0, s10
	s_cbranch_execz .LBB66_146
.LBB66_162:
	s_waitcnt lgkmcnt(7)
	v_add_co_u32 v16, vcc_lo, 0x4000, v2
	v_add_co_ci_u32_e32 v17, vcc_lo, 0, v3, vcc_lo
	s_waitcnt lgkmcnt(6)
	global_store_b64 v[16:17], v[14:15], off offset:2048
	s_or_b32 exec_lo, exec_lo, s0
	s_and_saveexec_b32 s0, s11
	s_cbranch_execz .LBB66_147
.LBB66_163:
	s_waitcnt lgkmcnt(6)
	v_add_co_u32 v14, vcc_lo, 0x5000, v2
	v_add_co_ci_u32_e32 v15, vcc_lo, 0, v3, vcc_lo
	s_waitcnt lgkmcnt(5)
	global_store_b64 v[14:15], v[12:13], off
	s_or_b32 exec_lo, exec_lo, s0
	s_and_saveexec_b32 s0, s12
	s_cbranch_execz .LBB66_148
.LBB66_164:
	s_waitcnt lgkmcnt(5)
	v_add_co_u32 v12, vcc_lo, 0x5000, v2
	v_add_co_ci_u32_e32 v13, vcc_lo, 0, v3, vcc_lo
	s_waitcnt lgkmcnt(4)
	global_store_b64 v[12:13], v[10:11], off offset:2048
	s_or_b32 exec_lo, exec_lo, s0
	s_and_saveexec_b32 s0, s13
	s_cbranch_execz .LBB66_149
.LBB66_165:
	s_waitcnt lgkmcnt(4)
	v_add_co_u32 v10, vcc_lo, 0x6000, v2
	v_add_co_ci_u32_e32 v11, vcc_lo, 0, v3, vcc_lo
	s_waitcnt lgkmcnt(3)
	global_store_b64 v[10:11], v[8:9], off
	s_or_b32 exec_lo, exec_lo, s0
	s_and_saveexec_b32 s0, s14
	s_cbranch_execz .LBB66_150
.LBB66_166:
	s_waitcnt lgkmcnt(3)
	v_add_co_u32 v8, vcc_lo, 0x6000, v2
	v_add_co_ci_u32_e32 v9, vcc_lo, 0, v3, vcc_lo
	s_waitcnt lgkmcnt(2)
	global_store_b64 v[8:9], v[6:7], off offset:2048
	s_or_b32 exec_lo, exec_lo, s0
	s_and_saveexec_b32 s0, s15
	s_cbranch_execz .LBB66_151
.LBB66_167:
	s_waitcnt lgkmcnt(2)
	v_add_co_u32 v6, vcc_lo, 0x7000, v2
	v_add_co_ci_u32_e32 v7, vcc_lo, 0, v3, vcc_lo
	s_waitcnt lgkmcnt(1)
	global_store_b64 v[6:7], v[4:5], off
	s_or_b32 exec_lo, exec_lo, s0
	s_and_saveexec_b32 s0, s16
	s_cbranch_execz .LBB66_152
.LBB66_168:
	v_add_co_u32 v2, vcc_lo, 0x7000, v2
	v_add_co_ci_u32_e32 v3, vcc_lo, 0, v3, vcc_lo
	s_waitcnt lgkmcnt(0)
	global_store_b64 v[2:3], v[0:1], off offset:2048
	s_nop 0
	s_sendmsg sendmsg(MSG_DEALLOC_VGPRS)
	s_endpgm
	.section	.rodata,"a",@progbits
	.p2align	6, 0x0
	.amdhsa_kernel _ZN7rocprim17ROCPRIM_400000_NS6detail17trampoline_kernelINS0_14default_configENS1_20scan_config_selectorIdEEZZNS1_9scan_implILNS1_25lookback_scan_determinismE0ELb0ELb0ES3_PKdPddZZZN2at6native31launch_logcumsumexp_cuda_kernelERKNSB_10TensorBaseESF_lENKUlvE_clEvENKUlvE_clEvEUlddE_dEEDaPvRmT3_T4_T5_mT6_P12ihipStream_tbENKUlT_T0_E_clISt17integral_constantIbLb1EESV_IbLb0EEEEDaSR_SS_EUlSR_E0_NS1_11comp_targetILNS1_3genE9ELNS1_11target_archE1100ELNS1_3gpuE3ELNS1_3repE0EEENS1_30default_config_static_selectorELNS0_4arch9wavefront6targetE0EEEvT1_
		.amdhsa_group_segment_fixed_size 33792
		.amdhsa_private_segment_fixed_size 0
		.amdhsa_kernarg_size 40
		.amdhsa_user_sgpr_count 15
		.amdhsa_user_sgpr_dispatch_ptr 0
		.amdhsa_user_sgpr_queue_ptr 0
		.amdhsa_user_sgpr_kernarg_segment_ptr 1
		.amdhsa_user_sgpr_dispatch_id 0
		.amdhsa_user_sgpr_private_segment_size 0
		.amdhsa_wavefront_size32 1
		.amdhsa_uses_dynamic_stack 0
		.amdhsa_enable_private_segment 0
		.amdhsa_system_sgpr_workgroup_id_x 1
		.amdhsa_system_sgpr_workgroup_id_y 0
		.amdhsa_system_sgpr_workgroup_id_z 0
		.amdhsa_system_sgpr_workgroup_info 0
		.amdhsa_system_vgpr_workitem_id 0
		.amdhsa_next_free_vgpr 119
		.amdhsa_next_free_sgpr 48
		.amdhsa_reserve_vcc 1
		.amdhsa_float_round_mode_32 0
		.amdhsa_float_round_mode_16_64 0
		.amdhsa_float_denorm_mode_32 3
		.amdhsa_float_denorm_mode_16_64 3
		.amdhsa_dx10_clamp 1
		.amdhsa_ieee_mode 1
		.amdhsa_fp16_overflow 0
		.amdhsa_workgroup_processor_mode 1
		.amdhsa_memory_ordered 1
		.amdhsa_forward_progress 0
		.amdhsa_shared_vgpr_count 0
		.amdhsa_exception_fp_ieee_invalid_op 0
		.amdhsa_exception_fp_denorm_src 0
		.amdhsa_exception_fp_ieee_div_zero 0
		.amdhsa_exception_fp_ieee_overflow 0
		.amdhsa_exception_fp_ieee_underflow 0
		.amdhsa_exception_fp_ieee_inexact 0
		.amdhsa_exception_int_div_zero 0
	.end_amdhsa_kernel
	.section	.text._ZN7rocprim17ROCPRIM_400000_NS6detail17trampoline_kernelINS0_14default_configENS1_20scan_config_selectorIdEEZZNS1_9scan_implILNS1_25lookback_scan_determinismE0ELb0ELb0ES3_PKdPddZZZN2at6native31launch_logcumsumexp_cuda_kernelERKNSB_10TensorBaseESF_lENKUlvE_clEvENKUlvE_clEvEUlddE_dEEDaPvRmT3_T4_T5_mT6_P12ihipStream_tbENKUlT_T0_E_clISt17integral_constantIbLb1EESV_IbLb0EEEEDaSR_SS_EUlSR_E0_NS1_11comp_targetILNS1_3genE9ELNS1_11target_archE1100ELNS1_3gpuE3ELNS1_3repE0EEENS1_30default_config_static_selectorELNS0_4arch9wavefront6targetE0EEEvT1_,"axG",@progbits,_ZN7rocprim17ROCPRIM_400000_NS6detail17trampoline_kernelINS0_14default_configENS1_20scan_config_selectorIdEEZZNS1_9scan_implILNS1_25lookback_scan_determinismE0ELb0ELb0ES3_PKdPddZZZN2at6native31launch_logcumsumexp_cuda_kernelERKNSB_10TensorBaseESF_lENKUlvE_clEvENKUlvE_clEvEUlddE_dEEDaPvRmT3_T4_T5_mT6_P12ihipStream_tbENKUlT_T0_E_clISt17integral_constantIbLb1EESV_IbLb0EEEEDaSR_SS_EUlSR_E0_NS1_11comp_targetILNS1_3genE9ELNS1_11target_archE1100ELNS1_3gpuE3ELNS1_3repE0EEENS1_30default_config_static_selectorELNS0_4arch9wavefront6targetE0EEEvT1_,comdat
.Lfunc_end66:
	.size	_ZN7rocprim17ROCPRIM_400000_NS6detail17trampoline_kernelINS0_14default_configENS1_20scan_config_selectorIdEEZZNS1_9scan_implILNS1_25lookback_scan_determinismE0ELb0ELb0ES3_PKdPddZZZN2at6native31launch_logcumsumexp_cuda_kernelERKNSB_10TensorBaseESF_lENKUlvE_clEvENKUlvE_clEvEUlddE_dEEDaPvRmT3_T4_T5_mT6_P12ihipStream_tbENKUlT_T0_E_clISt17integral_constantIbLb1EESV_IbLb0EEEEDaSR_SS_EUlSR_E0_NS1_11comp_targetILNS1_3genE9ELNS1_11target_archE1100ELNS1_3gpuE3ELNS1_3repE0EEENS1_30default_config_static_selectorELNS0_4arch9wavefront6targetE0EEEvT1_, .Lfunc_end66-_ZN7rocprim17ROCPRIM_400000_NS6detail17trampoline_kernelINS0_14default_configENS1_20scan_config_selectorIdEEZZNS1_9scan_implILNS1_25lookback_scan_determinismE0ELb0ELb0ES3_PKdPddZZZN2at6native31launch_logcumsumexp_cuda_kernelERKNSB_10TensorBaseESF_lENKUlvE_clEvENKUlvE_clEvEUlddE_dEEDaPvRmT3_T4_T5_mT6_P12ihipStream_tbENKUlT_T0_E_clISt17integral_constantIbLb1EESV_IbLb0EEEEDaSR_SS_EUlSR_E0_NS1_11comp_targetILNS1_3genE9ELNS1_11target_archE1100ELNS1_3gpuE3ELNS1_3repE0EEENS1_30default_config_static_selectorELNS0_4arch9wavefront6targetE0EEEvT1_
                                        ; -- End function
	.section	.AMDGPU.csdata,"",@progbits
; Kernel info:
; codeLenInByte = 80364
; NumSgprs: 50
; NumVgprs: 119
; ScratchSize: 0
; MemoryBound: 0
; FloatMode: 240
; IeeeMode: 1
; LDSByteSize: 33792 bytes/workgroup (compile time only)
; SGPRBlocks: 6
; VGPRBlocks: 14
; NumSGPRsForWavesPerEU: 50
; NumVGPRsForWavesPerEU: 119
; Occupancy: 6
; WaveLimiterHint : 0
; COMPUTE_PGM_RSRC2:SCRATCH_EN: 0
; COMPUTE_PGM_RSRC2:USER_SGPR: 15
; COMPUTE_PGM_RSRC2:TRAP_HANDLER: 0
; COMPUTE_PGM_RSRC2:TGID_X_EN: 1
; COMPUTE_PGM_RSRC2:TGID_Y_EN: 0
; COMPUTE_PGM_RSRC2:TGID_Z_EN: 0
; COMPUTE_PGM_RSRC2:TIDIG_COMP_CNT: 0
	.section	.text._ZN7rocprim17ROCPRIM_400000_NS6detail17trampoline_kernelINS0_14default_configENS1_20scan_config_selectorIdEEZZNS1_9scan_implILNS1_25lookback_scan_determinismE0ELb0ELb0ES3_PKdPddZZZN2at6native31launch_logcumsumexp_cuda_kernelERKNSB_10TensorBaseESF_lENKUlvE_clEvENKUlvE_clEvEUlddE_dEEDaPvRmT3_T4_T5_mT6_P12ihipStream_tbENKUlT_T0_E_clISt17integral_constantIbLb1EESV_IbLb0EEEEDaSR_SS_EUlSR_E0_NS1_11comp_targetILNS1_3genE8ELNS1_11target_archE1030ELNS1_3gpuE2ELNS1_3repE0EEENS1_30default_config_static_selectorELNS0_4arch9wavefront6targetE0EEEvT1_,"axG",@progbits,_ZN7rocprim17ROCPRIM_400000_NS6detail17trampoline_kernelINS0_14default_configENS1_20scan_config_selectorIdEEZZNS1_9scan_implILNS1_25lookback_scan_determinismE0ELb0ELb0ES3_PKdPddZZZN2at6native31launch_logcumsumexp_cuda_kernelERKNSB_10TensorBaseESF_lENKUlvE_clEvENKUlvE_clEvEUlddE_dEEDaPvRmT3_T4_T5_mT6_P12ihipStream_tbENKUlT_T0_E_clISt17integral_constantIbLb1EESV_IbLb0EEEEDaSR_SS_EUlSR_E0_NS1_11comp_targetILNS1_3genE8ELNS1_11target_archE1030ELNS1_3gpuE2ELNS1_3repE0EEENS1_30default_config_static_selectorELNS0_4arch9wavefront6targetE0EEEvT1_,comdat
	.globl	_ZN7rocprim17ROCPRIM_400000_NS6detail17trampoline_kernelINS0_14default_configENS1_20scan_config_selectorIdEEZZNS1_9scan_implILNS1_25lookback_scan_determinismE0ELb0ELb0ES3_PKdPddZZZN2at6native31launch_logcumsumexp_cuda_kernelERKNSB_10TensorBaseESF_lENKUlvE_clEvENKUlvE_clEvEUlddE_dEEDaPvRmT3_T4_T5_mT6_P12ihipStream_tbENKUlT_T0_E_clISt17integral_constantIbLb1EESV_IbLb0EEEEDaSR_SS_EUlSR_E0_NS1_11comp_targetILNS1_3genE8ELNS1_11target_archE1030ELNS1_3gpuE2ELNS1_3repE0EEENS1_30default_config_static_selectorELNS0_4arch9wavefront6targetE0EEEvT1_ ; -- Begin function _ZN7rocprim17ROCPRIM_400000_NS6detail17trampoline_kernelINS0_14default_configENS1_20scan_config_selectorIdEEZZNS1_9scan_implILNS1_25lookback_scan_determinismE0ELb0ELb0ES3_PKdPddZZZN2at6native31launch_logcumsumexp_cuda_kernelERKNSB_10TensorBaseESF_lENKUlvE_clEvENKUlvE_clEvEUlddE_dEEDaPvRmT3_T4_T5_mT6_P12ihipStream_tbENKUlT_T0_E_clISt17integral_constantIbLb1EESV_IbLb0EEEEDaSR_SS_EUlSR_E0_NS1_11comp_targetILNS1_3genE8ELNS1_11target_archE1030ELNS1_3gpuE2ELNS1_3repE0EEENS1_30default_config_static_selectorELNS0_4arch9wavefront6targetE0EEEvT1_
	.p2align	8
	.type	_ZN7rocprim17ROCPRIM_400000_NS6detail17trampoline_kernelINS0_14default_configENS1_20scan_config_selectorIdEEZZNS1_9scan_implILNS1_25lookback_scan_determinismE0ELb0ELb0ES3_PKdPddZZZN2at6native31launch_logcumsumexp_cuda_kernelERKNSB_10TensorBaseESF_lENKUlvE_clEvENKUlvE_clEvEUlddE_dEEDaPvRmT3_T4_T5_mT6_P12ihipStream_tbENKUlT_T0_E_clISt17integral_constantIbLb1EESV_IbLb0EEEEDaSR_SS_EUlSR_E0_NS1_11comp_targetILNS1_3genE8ELNS1_11target_archE1030ELNS1_3gpuE2ELNS1_3repE0EEENS1_30default_config_static_selectorELNS0_4arch9wavefront6targetE0EEEvT1_,@function
_ZN7rocprim17ROCPRIM_400000_NS6detail17trampoline_kernelINS0_14default_configENS1_20scan_config_selectorIdEEZZNS1_9scan_implILNS1_25lookback_scan_determinismE0ELb0ELb0ES3_PKdPddZZZN2at6native31launch_logcumsumexp_cuda_kernelERKNSB_10TensorBaseESF_lENKUlvE_clEvENKUlvE_clEvEUlddE_dEEDaPvRmT3_T4_T5_mT6_P12ihipStream_tbENKUlT_T0_E_clISt17integral_constantIbLb1EESV_IbLb0EEEEDaSR_SS_EUlSR_E0_NS1_11comp_targetILNS1_3genE8ELNS1_11target_archE1030ELNS1_3gpuE2ELNS1_3repE0EEENS1_30default_config_static_selectorELNS0_4arch9wavefront6targetE0EEEvT1_: ; @_ZN7rocprim17ROCPRIM_400000_NS6detail17trampoline_kernelINS0_14default_configENS1_20scan_config_selectorIdEEZZNS1_9scan_implILNS1_25lookback_scan_determinismE0ELb0ELb0ES3_PKdPddZZZN2at6native31launch_logcumsumexp_cuda_kernelERKNSB_10TensorBaseESF_lENKUlvE_clEvENKUlvE_clEvEUlddE_dEEDaPvRmT3_T4_T5_mT6_P12ihipStream_tbENKUlT_T0_E_clISt17integral_constantIbLb1EESV_IbLb0EEEEDaSR_SS_EUlSR_E0_NS1_11comp_targetILNS1_3genE8ELNS1_11target_archE1030ELNS1_3gpuE2ELNS1_3repE0EEENS1_30default_config_static_selectorELNS0_4arch9wavefront6targetE0EEEvT1_
; %bb.0:
	.section	.rodata,"a",@progbits
	.p2align	6, 0x0
	.amdhsa_kernel _ZN7rocprim17ROCPRIM_400000_NS6detail17trampoline_kernelINS0_14default_configENS1_20scan_config_selectorIdEEZZNS1_9scan_implILNS1_25lookback_scan_determinismE0ELb0ELb0ES3_PKdPddZZZN2at6native31launch_logcumsumexp_cuda_kernelERKNSB_10TensorBaseESF_lENKUlvE_clEvENKUlvE_clEvEUlddE_dEEDaPvRmT3_T4_T5_mT6_P12ihipStream_tbENKUlT_T0_E_clISt17integral_constantIbLb1EESV_IbLb0EEEEDaSR_SS_EUlSR_E0_NS1_11comp_targetILNS1_3genE8ELNS1_11target_archE1030ELNS1_3gpuE2ELNS1_3repE0EEENS1_30default_config_static_selectorELNS0_4arch9wavefront6targetE0EEEvT1_
		.amdhsa_group_segment_fixed_size 0
		.amdhsa_private_segment_fixed_size 0
		.amdhsa_kernarg_size 40
		.amdhsa_user_sgpr_count 15
		.amdhsa_user_sgpr_dispatch_ptr 0
		.amdhsa_user_sgpr_queue_ptr 0
		.amdhsa_user_sgpr_kernarg_segment_ptr 1
		.amdhsa_user_sgpr_dispatch_id 0
		.amdhsa_user_sgpr_private_segment_size 0
		.amdhsa_wavefront_size32 1
		.amdhsa_uses_dynamic_stack 0
		.amdhsa_enable_private_segment 0
		.amdhsa_system_sgpr_workgroup_id_x 1
		.amdhsa_system_sgpr_workgroup_id_y 0
		.amdhsa_system_sgpr_workgroup_id_z 0
		.amdhsa_system_sgpr_workgroup_info 0
		.amdhsa_system_vgpr_workitem_id 0
		.amdhsa_next_free_vgpr 1
		.amdhsa_next_free_sgpr 1
		.amdhsa_reserve_vcc 0
		.amdhsa_float_round_mode_32 0
		.amdhsa_float_round_mode_16_64 0
		.amdhsa_float_denorm_mode_32 3
		.amdhsa_float_denorm_mode_16_64 3
		.amdhsa_dx10_clamp 1
		.amdhsa_ieee_mode 1
		.amdhsa_fp16_overflow 0
		.amdhsa_workgroup_processor_mode 1
		.amdhsa_memory_ordered 1
		.amdhsa_forward_progress 0
		.amdhsa_shared_vgpr_count 0
		.amdhsa_exception_fp_ieee_invalid_op 0
		.amdhsa_exception_fp_denorm_src 0
		.amdhsa_exception_fp_ieee_div_zero 0
		.amdhsa_exception_fp_ieee_overflow 0
		.amdhsa_exception_fp_ieee_underflow 0
		.amdhsa_exception_fp_ieee_inexact 0
		.amdhsa_exception_int_div_zero 0
	.end_amdhsa_kernel
	.section	.text._ZN7rocprim17ROCPRIM_400000_NS6detail17trampoline_kernelINS0_14default_configENS1_20scan_config_selectorIdEEZZNS1_9scan_implILNS1_25lookback_scan_determinismE0ELb0ELb0ES3_PKdPddZZZN2at6native31launch_logcumsumexp_cuda_kernelERKNSB_10TensorBaseESF_lENKUlvE_clEvENKUlvE_clEvEUlddE_dEEDaPvRmT3_T4_T5_mT6_P12ihipStream_tbENKUlT_T0_E_clISt17integral_constantIbLb1EESV_IbLb0EEEEDaSR_SS_EUlSR_E0_NS1_11comp_targetILNS1_3genE8ELNS1_11target_archE1030ELNS1_3gpuE2ELNS1_3repE0EEENS1_30default_config_static_selectorELNS0_4arch9wavefront6targetE0EEEvT1_,"axG",@progbits,_ZN7rocprim17ROCPRIM_400000_NS6detail17trampoline_kernelINS0_14default_configENS1_20scan_config_selectorIdEEZZNS1_9scan_implILNS1_25lookback_scan_determinismE0ELb0ELb0ES3_PKdPddZZZN2at6native31launch_logcumsumexp_cuda_kernelERKNSB_10TensorBaseESF_lENKUlvE_clEvENKUlvE_clEvEUlddE_dEEDaPvRmT3_T4_T5_mT6_P12ihipStream_tbENKUlT_T0_E_clISt17integral_constantIbLb1EESV_IbLb0EEEEDaSR_SS_EUlSR_E0_NS1_11comp_targetILNS1_3genE8ELNS1_11target_archE1030ELNS1_3gpuE2ELNS1_3repE0EEENS1_30default_config_static_selectorELNS0_4arch9wavefront6targetE0EEEvT1_,comdat
.Lfunc_end67:
	.size	_ZN7rocprim17ROCPRIM_400000_NS6detail17trampoline_kernelINS0_14default_configENS1_20scan_config_selectorIdEEZZNS1_9scan_implILNS1_25lookback_scan_determinismE0ELb0ELb0ES3_PKdPddZZZN2at6native31launch_logcumsumexp_cuda_kernelERKNSB_10TensorBaseESF_lENKUlvE_clEvENKUlvE_clEvEUlddE_dEEDaPvRmT3_T4_T5_mT6_P12ihipStream_tbENKUlT_T0_E_clISt17integral_constantIbLb1EESV_IbLb0EEEEDaSR_SS_EUlSR_E0_NS1_11comp_targetILNS1_3genE8ELNS1_11target_archE1030ELNS1_3gpuE2ELNS1_3repE0EEENS1_30default_config_static_selectorELNS0_4arch9wavefront6targetE0EEEvT1_, .Lfunc_end67-_ZN7rocprim17ROCPRIM_400000_NS6detail17trampoline_kernelINS0_14default_configENS1_20scan_config_selectorIdEEZZNS1_9scan_implILNS1_25lookback_scan_determinismE0ELb0ELb0ES3_PKdPddZZZN2at6native31launch_logcumsumexp_cuda_kernelERKNSB_10TensorBaseESF_lENKUlvE_clEvENKUlvE_clEvEUlddE_dEEDaPvRmT3_T4_T5_mT6_P12ihipStream_tbENKUlT_T0_E_clISt17integral_constantIbLb1EESV_IbLb0EEEEDaSR_SS_EUlSR_E0_NS1_11comp_targetILNS1_3genE8ELNS1_11target_archE1030ELNS1_3gpuE2ELNS1_3repE0EEENS1_30default_config_static_selectorELNS0_4arch9wavefront6targetE0EEEvT1_
                                        ; -- End function
	.section	.AMDGPU.csdata,"",@progbits
; Kernel info:
; codeLenInByte = 0
; NumSgprs: 0
; NumVgprs: 0
; ScratchSize: 0
; MemoryBound: 0
; FloatMode: 240
; IeeeMode: 1
; LDSByteSize: 0 bytes/workgroup (compile time only)
; SGPRBlocks: 0
; VGPRBlocks: 0
; NumSGPRsForWavesPerEU: 1
; NumVGPRsForWavesPerEU: 1
; Occupancy: 16
; WaveLimiterHint : 0
; COMPUTE_PGM_RSRC2:SCRATCH_EN: 0
; COMPUTE_PGM_RSRC2:USER_SGPR: 15
; COMPUTE_PGM_RSRC2:TRAP_HANDLER: 0
; COMPUTE_PGM_RSRC2:TGID_X_EN: 1
; COMPUTE_PGM_RSRC2:TGID_Y_EN: 0
; COMPUTE_PGM_RSRC2:TGID_Z_EN: 0
; COMPUTE_PGM_RSRC2:TIDIG_COMP_CNT: 0
	.section	.text._ZN7rocprim17ROCPRIM_400000_NS6detail31init_lookback_scan_state_kernelINS1_19lookback_scan_stateIdLb0ELb1EEENS1_16block_id_wrapperIjLb1EEEEEvT_jT0_jPNS7_10value_typeE,"axG",@progbits,_ZN7rocprim17ROCPRIM_400000_NS6detail31init_lookback_scan_state_kernelINS1_19lookback_scan_stateIdLb0ELb1EEENS1_16block_id_wrapperIjLb1EEEEEvT_jT0_jPNS7_10value_typeE,comdat
	.protected	_ZN7rocprim17ROCPRIM_400000_NS6detail31init_lookback_scan_state_kernelINS1_19lookback_scan_stateIdLb0ELb1EEENS1_16block_id_wrapperIjLb1EEEEEvT_jT0_jPNS7_10value_typeE ; -- Begin function _ZN7rocprim17ROCPRIM_400000_NS6detail31init_lookback_scan_state_kernelINS1_19lookback_scan_stateIdLb0ELb1EEENS1_16block_id_wrapperIjLb1EEEEEvT_jT0_jPNS7_10value_typeE
	.globl	_ZN7rocprim17ROCPRIM_400000_NS6detail31init_lookback_scan_state_kernelINS1_19lookback_scan_stateIdLb0ELb1EEENS1_16block_id_wrapperIjLb1EEEEEvT_jT0_jPNS7_10value_typeE
	.p2align	8
	.type	_ZN7rocprim17ROCPRIM_400000_NS6detail31init_lookback_scan_state_kernelINS1_19lookback_scan_stateIdLb0ELb1EEENS1_16block_id_wrapperIjLb1EEEEEvT_jT0_jPNS7_10value_typeE,@function
_ZN7rocprim17ROCPRIM_400000_NS6detail31init_lookback_scan_state_kernelINS1_19lookback_scan_stateIdLb0ELb1EEENS1_16block_id_wrapperIjLb1EEEEEvT_jT0_jPNS7_10value_typeE: ; @_ZN7rocprim17ROCPRIM_400000_NS6detail31init_lookback_scan_state_kernelINS1_19lookback_scan_stateIdLb0ELb1EEENS1_16block_id_wrapperIjLb1EEEEEvT_jT0_jPNS7_10value_typeE
; %bb.0:
	s_clause 0x3
	s_load_b32 s6, s[0:1], 0x34
	s_load_b64 s[4:5], s[0:1], 0x20
	s_load_b64 s[2:3], s[0:1], 0x0
	s_load_b32 s8, s[0:1], 0x8
	s_waitcnt lgkmcnt(0)
	s_and_b32 s6, s6, 0xffff
	s_cmp_eq_u64 s[4:5], 0
	v_mad_u64_u32 v[1:2], null, s15, s6, v[0:1]
	s_cbranch_scc1 .LBB68_8
; %bb.1:
	s_load_b32 s6, s[0:1], 0x18
	s_waitcnt lgkmcnt(0)
	s_cmp_lt_u32 s6, s8
	s_cselect_b32 s7, s6, 0
	s_delay_alu instid0(VALU_DEP_1) | instid1(SALU_CYCLE_1)
	v_cmp_eq_u32_e32 vcc_lo, s7, v1
	s_mov_b32 s7, 0
	s_and_saveexec_b32 s9, vcc_lo
	s_cbranch_execz .LBB68_7
; %bb.2:
	s_add_i32 s6, s6, 32
	s_mov_b32 s10, exec_lo
	s_lshl_b64 s[6:7], s[6:7], 4
	v_mov_b32_e32 v6, 0
	s_add_u32 s6, s2, s6
	s_addc_u32 s7, s3, s7
	s_delay_alu instid0(SALU_CYCLE_1) | instskip(SKIP_2) | instid1(VALU_DEP_1)
	v_dual_mov_b32 v2, s6 :: v_dual_mov_b32 v3, s7
	;;#ASMSTART
	global_load_dwordx4 v[2:5], v[2:3] off glc	
s_waitcnt vmcnt(0)
	;;#ASMEND
	v_and_b32_e32 v5, 0xff, v4
	v_cmpx_eq_u64_e32 0, v[5:6]
	s_cbranch_execz .LBB68_6
; %bb.3:
	v_dual_mov_b32 v8, s7 :: v_dual_mov_b32 v7, s6
	s_mov_b32 s6, 0
.LBB68_4:                               ; =>This Inner Loop Header: Depth=1
	;;#ASMSTART
	global_load_dwordx4 v[2:5], v[7:8] off glc	
s_waitcnt vmcnt(0)
	;;#ASMEND
	v_and_b32_e32 v5, 0xff, v4
	s_delay_alu instid0(VALU_DEP_1) | instskip(SKIP_1) | instid1(SALU_CYCLE_1)
	v_cmp_ne_u64_e32 vcc_lo, 0, v[5:6]
	s_or_b32 s6, vcc_lo, s6
	s_and_not1_b32 exec_lo, exec_lo, s6
	s_cbranch_execnz .LBB68_4
; %bb.5:
	s_or_b32 exec_lo, exec_lo, s6
.LBB68_6:
	s_delay_alu instid0(SALU_CYCLE_1)
	s_or_b32 exec_lo, exec_lo, s10
	v_mov_b32_e32 v0, 0
	global_store_b64 v0, v[2:3], s[4:5]
.LBB68_7:
	s_or_b32 exec_lo, exec_lo, s9
.LBB68_8:
	s_delay_alu instid0(SALU_CYCLE_1) | instskip(NEXT) | instid1(VALU_DEP_1)
	s_mov_b32 s4, exec_lo
	v_cmpx_eq_u32_e32 0, v1
	s_cbranch_execz .LBB68_10
; %bb.9:
	s_load_b64 s[0:1], s[0:1], 0x10
	v_mov_b32_e32 v0, 0
	s_waitcnt lgkmcnt(0)
	global_store_b32 v0, v0, s[0:1]
.LBB68_10:
	s_or_b32 exec_lo, exec_lo, s4
	s_delay_alu instid0(SALU_CYCLE_1)
	s_mov_b32 s0, exec_lo
	v_cmpx_gt_u32_e64 s8, v1
	s_cbranch_execz .LBB68_12
; %bb.11:
	v_dual_mov_b32 v3, 0 :: v_dual_add_nc_u32 v2, 32, v1
	s_delay_alu instid0(VALU_DEP_1) | instskip(SKIP_2) | instid1(VALU_DEP_3)
	v_lshlrev_b64 v[5:6], 4, v[2:3]
	v_mov_b32_e32 v2, v3
	v_mov_b32_e32 v4, v3
	v_add_co_u32 v7, vcc_lo, s2, v5
	s_delay_alu instid0(VALU_DEP_4)
	v_add_co_ci_u32_e32 v8, vcc_lo, s3, v6, vcc_lo
	v_mov_b32_e32 v5, v3
	global_store_b128 v[7:8], v[2:5], off
.LBB68_12:
	s_or_b32 exec_lo, exec_lo, s0
	s_delay_alu instid0(SALU_CYCLE_1)
	s_mov_b32 s0, exec_lo
	v_cmpx_gt_u32_e32 32, v1
	s_cbranch_execz .LBB68_14
; %bb.13:
	v_dual_mov_b32 v2, 0 :: v_dual_mov_b32 v3, 0xff
	s_delay_alu instid0(VALU_DEP_1) | instskip(SKIP_1) | instid1(VALU_DEP_2)
	v_lshlrev_b64 v[4:5], 4, v[1:2]
	v_mov_b32_e32 v1, v2
	v_add_co_u32 v6, vcc_lo, s2, v4
	s_delay_alu instid0(VALU_DEP_3)
	v_add_co_ci_u32_e32 v7, vcc_lo, s3, v5, vcc_lo
	v_mov_b32_e32 v4, v2
	global_store_b128 v[6:7], v[1:4], off
.LBB68_14:
	s_nop 0
	s_sendmsg sendmsg(MSG_DEALLOC_VGPRS)
	s_endpgm
	.section	.rodata,"a",@progbits
	.p2align	6, 0x0
	.amdhsa_kernel _ZN7rocprim17ROCPRIM_400000_NS6detail31init_lookback_scan_state_kernelINS1_19lookback_scan_stateIdLb0ELb1EEENS1_16block_id_wrapperIjLb1EEEEEvT_jT0_jPNS7_10value_typeE
		.amdhsa_group_segment_fixed_size 0
		.amdhsa_private_segment_fixed_size 0
		.amdhsa_kernarg_size 296
		.amdhsa_user_sgpr_count 15
		.amdhsa_user_sgpr_dispatch_ptr 0
		.amdhsa_user_sgpr_queue_ptr 0
		.amdhsa_user_sgpr_kernarg_segment_ptr 1
		.amdhsa_user_sgpr_dispatch_id 0
		.amdhsa_user_sgpr_private_segment_size 0
		.amdhsa_wavefront_size32 1
		.amdhsa_uses_dynamic_stack 0
		.amdhsa_enable_private_segment 0
		.amdhsa_system_sgpr_workgroup_id_x 1
		.amdhsa_system_sgpr_workgroup_id_y 0
		.amdhsa_system_sgpr_workgroup_id_z 0
		.amdhsa_system_sgpr_workgroup_info 0
		.amdhsa_system_vgpr_workitem_id 0
		.amdhsa_next_free_vgpr 9
		.amdhsa_next_free_sgpr 16
		.amdhsa_reserve_vcc 1
		.amdhsa_float_round_mode_32 0
		.amdhsa_float_round_mode_16_64 0
		.amdhsa_float_denorm_mode_32 3
		.amdhsa_float_denorm_mode_16_64 3
		.amdhsa_dx10_clamp 1
		.amdhsa_ieee_mode 1
		.amdhsa_fp16_overflow 0
		.amdhsa_workgroup_processor_mode 1
		.amdhsa_memory_ordered 1
		.amdhsa_forward_progress 0
		.amdhsa_shared_vgpr_count 0
		.amdhsa_exception_fp_ieee_invalid_op 0
		.amdhsa_exception_fp_denorm_src 0
		.amdhsa_exception_fp_ieee_div_zero 0
		.amdhsa_exception_fp_ieee_overflow 0
		.amdhsa_exception_fp_ieee_underflow 0
		.amdhsa_exception_fp_ieee_inexact 0
		.amdhsa_exception_int_div_zero 0
	.end_amdhsa_kernel
	.section	.text._ZN7rocprim17ROCPRIM_400000_NS6detail31init_lookback_scan_state_kernelINS1_19lookback_scan_stateIdLb0ELb1EEENS1_16block_id_wrapperIjLb1EEEEEvT_jT0_jPNS7_10value_typeE,"axG",@progbits,_ZN7rocprim17ROCPRIM_400000_NS6detail31init_lookback_scan_state_kernelINS1_19lookback_scan_stateIdLb0ELb1EEENS1_16block_id_wrapperIjLb1EEEEEvT_jT0_jPNS7_10value_typeE,comdat
.Lfunc_end68:
	.size	_ZN7rocprim17ROCPRIM_400000_NS6detail31init_lookback_scan_state_kernelINS1_19lookback_scan_stateIdLb0ELb1EEENS1_16block_id_wrapperIjLb1EEEEEvT_jT0_jPNS7_10value_typeE, .Lfunc_end68-_ZN7rocprim17ROCPRIM_400000_NS6detail31init_lookback_scan_state_kernelINS1_19lookback_scan_stateIdLb0ELb1EEENS1_16block_id_wrapperIjLb1EEEEEvT_jT0_jPNS7_10value_typeE
                                        ; -- End function
	.section	.AMDGPU.csdata,"",@progbits
; Kernel info:
; codeLenInByte = 512
; NumSgprs: 18
; NumVgprs: 9
; ScratchSize: 0
; MemoryBound: 0
; FloatMode: 240
; IeeeMode: 1
; LDSByteSize: 0 bytes/workgroup (compile time only)
; SGPRBlocks: 2
; VGPRBlocks: 1
; NumSGPRsForWavesPerEU: 18
; NumVGPRsForWavesPerEU: 9
; Occupancy: 16
; WaveLimiterHint : 0
; COMPUTE_PGM_RSRC2:SCRATCH_EN: 0
; COMPUTE_PGM_RSRC2:USER_SGPR: 15
; COMPUTE_PGM_RSRC2:TRAP_HANDLER: 0
; COMPUTE_PGM_RSRC2:TGID_X_EN: 1
; COMPUTE_PGM_RSRC2:TGID_Y_EN: 0
; COMPUTE_PGM_RSRC2:TGID_Z_EN: 0
; COMPUTE_PGM_RSRC2:TIDIG_COMP_CNT: 0
	.section	.text._ZN7rocprim17ROCPRIM_400000_NS6detail17trampoline_kernelINS0_14default_configENS1_20scan_config_selectorIdEEZZNS1_9scan_implILNS1_25lookback_scan_determinismE0ELb0ELb0ES3_PKdPddZZZN2at6native31launch_logcumsumexp_cuda_kernelERKNSB_10TensorBaseESF_lENKUlvE_clEvENKUlvE_clEvEUlddE_dEEDaPvRmT3_T4_T5_mT6_P12ihipStream_tbENKUlT_T0_E_clISt17integral_constantIbLb0EESV_IbLb1EEEEDaSR_SS_EUlSR_E_NS1_11comp_targetILNS1_3genE0ELNS1_11target_archE4294967295ELNS1_3gpuE0ELNS1_3repE0EEENS1_30default_config_static_selectorELNS0_4arch9wavefront6targetE0EEEvT1_,"axG",@progbits,_ZN7rocprim17ROCPRIM_400000_NS6detail17trampoline_kernelINS0_14default_configENS1_20scan_config_selectorIdEEZZNS1_9scan_implILNS1_25lookback_scan_determinismE0ELb0ELb0ES3_PKdPddZZZN2at6native31launch_logcumsumexp_cuda_kernelERKNSB_10TensorBaseESF_lENKUlvE_clEvENKUlvE_clEvEUlddE_dEEDaPvRmT3_T4_T5_mT6_P12ihipStream_tbENKUlT_T0_E_clISt17integral_constantIbLb0EESV_IbLb1EEEEDaSR_SS_EUlSR_E_NS1_11comp_targetILNS1_3genE0ELNS1_11target_archE4294967295ELNS1_3gpuE0ELNS1_3repE0EEENS1_30default_config_static_selectorELNS0_4arch9wavefront6targetE0EEEvT1_,comdat
	.globl	_ZN7rocprim17ROCPRIM_400000_NS6detail17trampoline_kernelINS0_14default_configENS1_20scan_config_selectorIdEEZZNS1_9scan_implILNS1_25lookback_scan_determinismE0ELb0ELb0ES3_PKdPddZZZN2at6native31launch_logcumsumexp_cuda_kernelERKNSB_10TensorBaseESF_lENKUlvE_clEvENKUlvE_clEvEUlddE_dEEDaPvRmT3_T4_T5_mT6_P12ihipStream_tbENKUlT_T0_E_clISt17integral_constantIbLb0EESV_IbLb1EEEEDaSR_SS_EUlSR_E_NS1_11comp_targetILNS1_3genE0ELNS1_11target_archE4294967295ELNS1_3gpuE0ELNS1_3repE0EEENS1_30default_config_static_selectorELNS0_4arch9wavefront6targetE0EEEvT1_ ; -- Begin function _ZN7rocprim17ROCPRIM_400000_NS6detail17trampoline_kernelINS0_14default_configENS1_20scan_config_selectorIdEEZZNS1_9scan_implILNS1_25lookback_scan_determinismE0ELb0ELb0ES3_PKdPddZZZN2at6native31launch_logcumsumexp_cuda_kernelERKNSB_10TensorBaseESF_lENKUlvE_clEvENKUlvE_clEvEUlddE_dEEDaPvRmT3_T4_T5_mT6_P12ihipStream_tbENKUlT_T0_E_clISt17integral_constantIbLb0EESV_IbLb1EEEEDaSR_SS_EUlSR_E_NS1_11comp_targetILNS1_3genE0ELNS1_11target_archE4294967295ELNS1_3gpuE0ELNS1_3repE0EEENS1_30default_config_static_selectorELNS0_4arch9wavefront6targetE0EEEvT1_
	.p2align	8
	.type	_ZN7rocprim17ROCPRIM_400000_NS6detail17trampoline_kernelINS0_14default_configENS1_20scan_config_selectorIdEEZZNS1_9scan_implILNS1_25lookback_scan_determinismE0ELb0ELb0ES3_PKdPddZZZN2at6native31launch_logcumsumexp_cuda_kernelERKNSB_10TensorBaseESF_lENKUlvE_clEvENKUlvE_clEvEUlddE_dEEDaPvRmT3_T4_T5_mT6_P12ihipStream_tbENKUlT_T0_E_clISt17integral_constantIbLb0EESV_IbLb1EEEEDaSR_SS_EUlSR_E_NS1_11comp_targetILNS1_3genE0ELNS1_11target_archE4294967295ELNS1_3gpuE0ELNS1_3repE0EEENS1_30default_config_static_selectorELNS0_4arch9wavefront6targetE0EEEvT1_,@function
_ZN7rocprim17ROCPRIM_400000_NS6detail17trampoline_kernelINS0_14default_configENS1_20scan_config_selectorIdEEZZNS1_9scan_implILNS1_25lookback_scan_determinismE0ELb0ELb0ES3_PKdPddZZZN2at6native31launch_logcumsumexp_cuda_kernelERKNSB_10TensorBaseESF_lENKUlvE_clEvENKUlvE_clEvEUlddE_dEEDaPvRmT3_T4_T5_mT6_P12ihipStream_tbENKUlT_T0_E_clISt17integral_constantIbLb0EESV_IbLb1EEEEDaSR_SS_EUlSR_E_NS1_11comp_targetILNS1_3genE0ELNS1_11target_archE4294967295ELNS1_3gpuE0ELNS1_3repE0EEENS1_30default_config_static_selectorELNS0_4arch9wavefront6targetE0EEEvT1_: ; @_ZN7rocprim17ROCPRIM_400000_NS6detail17trampoline_kernelINS0_14default_configENS1_20scan_config_selectorIdEEZZNS1_9scan_implILNS1_25lookback_scan_determinismE0ELb0ELb0ES3_PKdPddZZZN2at6native31launch_logcumsumexp_cuda_kernelERKNSB_10TensorBaseESF_lENKUlvE_clEvENKUlvE_clEvEUlddE_dEEDaPvRmT3_T4_T5_mT6_P12ihipStream_tbENKUlT_T0_E_clISt17integral_constantIbLb0EESV_IbLb1EEEEDaSR_SS_EUlSR_E_NS1_11comp_targetILNS1_3genE0ELNS1_11target_archE4294967295ELNS1_3gpuE0ELNS1_3repE0EEENS1_30default_config_static_selectorELNS0_4arch9wavefront6targetE0EEEvT1_
; %bb.0:
	.section	.rodata,"a",@progbits
	.p2align	6, 0x0
	.amdhsa_kernel _ZN7rocprim17ROCPRIM_400000_NS6detail17trampoline_kernelINS0_14default_configENS1_20scan_config_selectorIdEEZZNS1_9scan_implILNS1_25lookback_scan_determinismE0ELb0ELb0ES3_PKdPddZZZN2at6native31launch_logcumsumexp_cuda_kernelERKNSB_10TensorBaseESF_lENKUlvE_clEvENKUlvE_clEvEUlddE_dEEDaPvRmT3_T4_T5_mT6_P12ihipStream_tbENKUlT_T0_E_clISt17integral_constantIbLb0EESV_IbLb1EEEEDaSR_SS_EUlSR_E_NS1_11comp_targetILNS1_3genE0ELNS1_11target_archE4294967295ELNS1_3gpuE0ELNS1_3repE0EEENS1_30default_config_static_selectorELNS0_4arch9wavefront6targetE0EEEvT1_
		.amdhsa_group_segment_fixed_size 0
		.amdhsa_private_segment_fixed_size 0
		.amdhsa_kernarg_size 104
		.amdhsa_user_sgpr_count 15
		.amdhsa_user_sgpr_dispatch_ptr 0
		.amdhsa_user_sgpr_queue_ptr 0
		.amdhsa_user_sgpr_kernarg_segment_ptr 1
		.amdhsa_user_sgpr_dispatch_id 0
		.amdhsa_user_sgpr_private_segment_size 0
		.amdhsa_wavefront_size32 1
		.amdhsa_uses_dynamic_stack 0
		.amdhsa_enable_private_segment 0
		.amdhsa_system_sgpr_workgroup_id_x 1
		.amdhsa_system_sgpr_workgroup_id_y 0
		.amdhsa_system_sgpr_workgroup_id_z 0
		.amdhsa_system_sgpr_workgroup_info 0
		.amdhsa_system_vgpr_workitem_id 0
		.amdhsa_next_free_vgpr 1
		.amdhsa_next_free_sgpr 1
		.amdhsa_reserve_vcc 0
		.amdhsa_float_round_mode_32 0
		.amdhsa_float_round_mode_16_64 0
		.amdhsa_float_denorm_mode_32 3
		.amdhsa_float_denorm_mode_16_64 3
		.amdhsa_dx10_clamp 1
		.amdhsa_ieee_mode 1
		.amdhsa_fp16_overflow 0
		.amdhsa_workgroup_processor_mode 1
		.amdhsa_memory_ordered 1
		.amdhsa_forward_progress 0
		.amdhsa_shared_vgpr_count 0
		.amdhsa_exception_fp_ieee_invalid_op 0
		.amdhsa_exception_fp_denorm_src 0
		.amdhsa_exception_fp_ieee_div_zero 0
		.amdhsa_exception_fp_ieee_overflow 0
		.amdhsa_exception_fp_ieee_underflow 0
		.amdhsa_exception_fp_ieee_inexact 0
		.amdhsa_exception_int_div_zero 0
	.end_amdhsa_kernel
	.section	.text._ZN7rocprim17ROCPRIM_400000_NS6detail17trampoline_kernelINS0_14default_configENS1_20scan_config_selectorIdEEZZNS1_9scan_implILNS1_25lookback_scan_determinismE0ELb0ELb0ES3_PKdPddZZZN2at6native31launch_logcumsumexp_cuda_kernelERKNSB_10TensorBaseESF_lENKUlvE_clEvENKUlvE_clEvEUlddE_dEEDaPvRmT3_T4_T5_mT6_P12ihipStream_tbENKUlT_T0_E_clISt17integral_constantIbLb0EESV_IbLb1EEEEDaSR_SS_EUlSR_E_NS1_11comp_targetILNS1_3genE0ELNS1_11target_archE4294967295ELNS1_3gpuE0ELNS1_3repE0EEENS1_30default_config_static_selectorELNS0_4arch9wavefront6targetE0EEEvT1_,"axG",@progbits,_ZN7rocprim17ROCPRIM_400000_NS6detail17trampoline_kernelINS0_14default_configENS1_20scan_config_selectorIdEEZZNS1_9scan_implILNS1_25lookback_scan_determinismE0ELb0ELb0ES3_PKdPddZZZN2at6native31launch_logcumsumexp_cuda_kernelERKNSB_10TensorBaseESF_lENKUlvE_clEvENKUlvE_clEvEUlddE_dEEDaPvRmT3_T4_T5_mT6_P12ihipStream_tbENKUlT_T0_E_clISt17integral_constantIbLb0EESV_IbLb1EEEEDaSR_SS_EUlSR_E_NS1_11comp_targetILNS1_3genE0ELNS1_11target_archE4294967295ELNS1_3gpuE0ELNS1_3repE0EEENS1_30default_config_static_selectorELNS0_4arch9wavefront6targetE0EEEvT1_,comdat
.Lfunc_end69:
	.size	_ZN7rocprim17ROCPRIM_400000_NS6detail17trampoline_kernelINS0_14default_configENS1_20scan_config_selectorIdEEZZNS1_9scan_implILNS1_25lookback_scan_determinismE0ELb0ELb0ES3_PKdPddZZZN2at6native31launch_logcumsumexp_cuda_kernelERKNSB_10TensorBaseESF_lENKUlvE_clEvENKUlvE_clEvEUlddE_dEEDaPvRmT3_T4_T5_mT6_P12ihipStream_tbENKUlT_T0_E_clISt17integral_constantIbLb0EESV_IbLb1EEEEDaSR_SS_EUlSR_E_NS1_11comp_targetILNS1_3genE0ELNS1_11target_archE4294967295ELNS1_3gpuE0ELNS1_3repE0EEENS1_30default_config_static_selectorELNS0_4arch9wavefront6targetE0EEEvT1_, .Lfunc_end69-_ZN7rocprim17ROCPRIM_400000_NS6detail17trampoline_kernelINS0_14default_configENS1_20scan_config_selectorIdEEZZNS1_9scan_implILNS1_25lookback_scan_determinismE0ELb0ELb0ES3_PKdPddZZZN2at6native31launch_logcumsumexp_cuda_kernelERKNSB_10TensorBaseESF_lENKUlvE_clEvENKUlvE_clEvEUlddE_dEEDaPvRmT3_T4_T5_mT6_P12ihipStream_tbENKUlT_T0_E_clISt17integral_constantIbLb0EESV_IbLb1EEEEDaSR_SS_EUlSR_E_NS1_11comp_targetILNS1_3genE0ELNS1_11target_archE4294967295ELNS1_3gpuE0ELNS1_3repE0EEENS1_30default_config_static_selectorELNS0_4arch9wavefront6targetE0EEEvT1_
                                        ; -- End function
	.section	.AMDGPU.csdata,"",@progbits
; Kernel info:
; codeLenInByte = 0
; NumSgprs: 0
; NumVgprs: 0
; ScratchSize: 0
; MemoryBound: 0
; FloatMode: 240
; IeeeMode: 1
; LDSByteSize: 0 bytes/workgroup (compile time only)
; SGPRBlocks: 0
; VGPRBlocks: 0
; NumSGPRsForWavesPerEU: 1
; NumVGPRsForWavesPerEU: 1
; Occupancy: 16
; WaveLimiterHint : 0
; COMPUTE_PGM_RSRC2:SCRATCH_EN: 0
; COMPUTE_PGM_RSRC2:USER_SGPR: 15
; COMPUTE_PGM_RSRC2:TRAP_HANDLER: 0
; COMPUTE_PGM_RSRC2:TGID_X_EN: 1
; COMPUTE_PGM_RSRC2:TGID_Y_EN: 0
; COMPUTE_PGM_RSRC2:TGID_Z_EN: 0
; COMPUTE_PGM_RSRC2:TIDIG_COMP_CNT: 0
	.section	.text._ZN7rocprim17ROCPRIM_400000_NS6detail17trampoline_kernelINS0_14default_configENS1_20scan_config_selectorIdEEZZNS1_9scan_implILNS1_25lookback_scan_determinismE0ELb0ELb0ES3_PKdPddZZZN2at6native31launch_logcumsumexp_cuda_kernelERKNSB_10TensorBaseESF_lENKUlvE_clEvENKUlvE_clEvEUlddE_dEEDaPvRmT3_T4_T5_mT6_P12ihipStream_tbENKUlT_T0_E_clISt17integral_constantIbLb0EESV_IbLb1EEEEDaSR_SS_EUlSR_E_NS1_11comp_targetILNS1_3genE5ELNS1_11target_archE942ELNS1_3gpuE9ELNS1_3repE0EEENS1_30default_config_static_selectorELNS0_4arch9wavefront6targetE0EEEvT1_,"axG",@progbits,_ZN7rocprim17ROCPRIM_400000_NS6detail17trampoline_kernelINS0_14default_configENS1_20scan_config_selectorIdEEZZNS1_9scan_implILNS1_25lookback_scan_determinismE0ELb0ELb0ES3_PKdPddZZZN2at6native31launch_logcumsumexp_cuda_kernelERKNSB_10TensorBaseESF_lENKUlvE_clEvENKUlvE_clEvEUlddE_dEEDaPvRmT3_T4_T5_mT6_P12ihipStream_tbENKUlT_T0_E_clISt17integral_constantIbLb0EESV_IbLb1EEEEDaSR_SS_EUlSR_E_NS1_11comp_targetILNS1_3genE5ELNS1_11target_archE942ELNS1_3gpuE9ELNS1_3repE0EEENS1_30default_config_static_selectorELNS0_4arch9wavefront6targetE0EEEvT1_,comdat
	.globl	_ZN7rocprim17ROCPRIM_400000_NS6detail17trampoline_kernelINS0_14default_configENS1_20scan_config_selectorIdEEZZNS1_9scan_implILNS1_25lookback_scan_determinismE0ELb0ELb0ES3_PKdPddZZZN2at6native31launch_logcumsumexp_cuda_kernelERKNSB_10TensorBaseESF_lENKUlvE_clEvENKUlvE_clEvEUlddE_dEEDaPvRmT3_T4_T5_mT6_P12ihipStream_tbENKUlT_T0_E_clISt17integral_constantIbLb0EESV_IbLb1EEEEDaSR_SS_EUlSR_E_NS1_11comp_targetILNS1_3genE5ELNS1_11target_archE942ELNS1_3gpuE9ELNS1_3repE0EEENS1_30default_config_static_selectorELNS0_4arch9wavefront6targetE0EEEvT1_ ; -- Begin function _ZN7rocprim17ROCPRIM_400000_NS6detail17trampoline_kernelINS0_14default_configENS1_20scan_config_selectorIdEEZZNS1_9scan_implILNS1_25lookback_scan_determinismE0ELb0ELb0ES3_PKdPddZZZN2at6native31launch_logcumsumexp_cuda_kernelERKNSB_10TensorBaseESF_lENKUlvE_clEvENKUlvE_clEvEUlddE_dEEDaPvRmT3_T4_T5_mT6_P12ihipStream_tbENKUlT_T0_E_clISt17integral_constantIbLb0EESV_IbLb1EEEEDaSR_SS_EUlSR_E_NS1_11comp_targetILNS1_3genE5ELNS1_11target_archE942ELNS1_3gpuE9ELNS1_3repE0EEENS1_30default_config_static_selectorELNS0_4arch9wavefront6targetE0EEEvT1_
	.p2align	8
	.type	_ZN7rocprim17ROCPRIM_400000_NS6detail17trampoline_kernelINS0_14default_configENS1_20scan_config_selectorIdEEZZNS1_9scan_implILNS1_25lookback_scan_determinismE0ELb0ELb0ES3_PKdPddZZZN2at6native31launch_logcumsumexp_cuda_kernelERKNSB_10TensorBaseESF_lENKUlvE_clEvENKUlvE_clEvEUlddE_dEEDaPvRmT3_T4_T5_mT6_P12ihipStream_tbENKUlT_T0_E_clISt17integral_constantIbLb0EESV_IbLb1EEEEDaSR_SS_EUlSR_E_NS1_11comp_targetILNS1_3genE5ELNS1_11target_archE942ELNS1_3gpuE9ELNS1_3repE0EEENS1_30default_config_static_selectorELNS0_4arch9wavefront6targetE0EEEvT1_,@function
_ZN7rocprim17ROCPRIM_400000_NS6detail17trampoline_kernelINS0_14default_configENS1_20scan_config_selectorIdEEZZNS1_9scan_implILNS1_25lookback_scan_determinismE0ELb0ELb0ES3_PKdPddZZZN2at6native31launch_logcumsumexp_cuda_kernelERKNSB_10TensorBaseESF_lENKUlvE_clEvENKUlvE_clEvEUlddE_dEEDaPvRmT3_T4_T5_mT6_P12ihipStream_tbENKUlT_T0_E_clISt17integral_constantIbLb0EESV_IbLb1EEEEDaSR_SS_EUlSR_E_NS1_11comp_targetILNS1_3genE5ELNS1_11target_archE942ELNS1_3gpuE9ELNS1_3repE0EEENS1_30default_config_static_selectorELNS0_4arch9wavefront6targetE0EEEvT1_: ; @_ZN7rocprim17ROCPRIM_400000_NS6detail17trampoline_kernelINS0_14default_configENS1_20scan_config_selectorIdEEZZNS1_9scan_implILNS1_25lookback_scan_determinismE0ELb0ELb0ES3_PKdPddZZZN2at6native31launch_logcumsumexp_cuda_kernelERKNSB_10TensorBaseESF_lENKUlvE_clEvENKUlvE_clEvEUlddE_dEEDaPvRmT3_T4_T5_mT6_P12ihipStream_tbENKUlT_T0_E_clISt17integral_constantIbLb0EESV_IbLb1EEEEDaSR_SS_EUlSR_E_NS1_11comp_targetILNS1_3genE5ELNS1_11target_archE942ELNS1_3gpuE9ELNS1_3repE0EEENS1_30default_config_static_selectorELNS0_4arch9wavefront6targetE0EEEvT1_
; %bb.0:
	.section	.rodata,"a",@progbits
	.p2align	6, 0x0
	.amdhsa_kernel _ZN7rocprim17ROCPRIM_400000_NS6detail17trampoline_kernelINS0_14default_configENS1_20scan_config_selectorIdEEZZNS1_9scan_implILNS1_25lookback_scan_determinismE0ELb0ELb0ES3_PKdPddZZZN2at6native31launch_logcumsumexp_cuda_kernelERKNSB_10TensorBaseESF_lENKUlvE_clEvENKUlvE_clEvEUlddE_dEEDaPvRmT3_T4_T5_mT6_P12ihipStream_tbENKUlT_T0_E_clISt17integral_constantIbLb0EESV_IbLb1EEEEDaSR_SS_EUlSR_E_NS1_11comp_targetILNS1_3genE5ELNS1_11target_archE942ELNS1_3gpuE9ELNS1_3repE0EEENS1_30default_config_static_selectorELNS0_4arch9wavefront6targetE0EEEvT1_
		.amdhsa_group_segment_fixed_size 0
		.amdhsa_private_segment_fixed_size 0
		.amdhsa_kernarg_size 104
		.amdhsa_user_sgpr_count 15
		.amdhsa_user_sgpr_dispatch_ptr 0
		.amdhsa_user_sgpr_queue_ptr 0
		.amdhsa_user_sgpr_kernarg_segment_ptr 1
		.amdhsa_user_sgpr_dispatch_id 0
		.amdhsa_user_sgpr_private_segment_size 0
		.amdhsa_wavefront_size32 1
		.amdhsa_uses_dynamic_stack 0
		.amdhsa_enable_private_segment 0
		.amdhsa_system_sgpr_workgroup_id_x 1
		.amdhsa_system_sgpr_workgroup_id_y 0
		.amdhsa_system_sgpr_workgroup_id_z 0
		.amdhsa_system_sgpr_workgroup_info 0
		.amdhsa_system_vgpr_workitem_id 0
		.amdhsa_next_free_vgpr 1
		.amdhsa_next_free_sgpr 1
		.amdhsa_reserve_vcc 0
		.amdhsa_float_round_mode_32 0
		.amdhsa_float_round_mode_16_64 0
		.amdhsa_float_denorm_mode_32 3
		.amdhsa_float_denorm_mode_16_64 3
		.amdhsa_dx10_clamp 1
		.amdhsa_ieee_mode 1
		.amdhsa_fp16_overflow 0
		.amdhsa_workgroup_processor_mode 1
		.amdhsa_memory_ordered 1
		.amdhsa_forward_progress 0
		.amdhsa_shared_vgpr_count 0
		.amdhsa_exception_fp_ieee_invalid_op 0
		.amdhsa_exception_fp_denorm_src 0
		.amdhsa_exception_fp_ieee_div_zero 0
		.amdhsa_exception_fp_ieee_overflow 0
		.amdhsa_exception_fp_ieee_underflow 0
		.amdhsa_exception_fp_ieee_inexact 0
		.amdhsa_exception_int_div_zero 0
	.end_amdhsa_kernel
	.section	.text._ZN7rocprim17ROCPRIM_400000_NS6detail17trampoline_kernelINS0_14default_configENS1_20scan_config_selectorIdEEZZNS1_9scan_implILNS1_25lookback_scan_determinismE0ELb0ELb0ES3_PKdPddZZZN2at6native31launch_logcumsumexp_cuda_kernelERKNSB_10TensorBaseESF_lENKUlvE_clEvENKUlvE_clEvEUlddE_dEEDaPvRmT3_T4_T5_mT6_P12ihipStream_tbENKUlT_T0_E_clISt17integral_constantIbLb0EESV_IbLb1EEEEDaSR_SS_EUlSR_E_NS1_11comp_targetILNS1_3genE5ELNS1_11target_archE942ELNS1_3gpuE9ELNS1_3repE0EEENS1_30default_config_static_selectorELNS0_4arch9wavefront6targetE0EEEvT1_,"axG",@progbits,_ZN7rocprim17ROCPRIM_400000_NS6detail17trampoline_kernelINS0_14default_configENS1_20scan_config_selectorIdEEZZNS1_9scan_implILNS1_25lookback_scan_determinismE0ELb0ELb0ES3_PKdPddZZZN2at6native31launch_logcumsumexp_cuda_kernelERKNSB_10TensorBaseESF_lENKUlvE_clEvENKUlvE_clEvEUlddE_dEEDaPvRmT3_T4_T5_mT6_P12ihipStream_tbENKUlT_T0_E_clISt17integral_constantIbLb0EESV_IbLb1EEEEDaSR_SS_EUlSR_E_NS1_11comp_targetILNS1_3genE5ELNS1_11target_archE942ELNS1_3gpuE9ELNS1_3repE0EEENS1_30default_config_static_selectorELNS0_4arch9wavefront6targetE0EEEvT1_,comdat
.Lfunc_end70:
	.size	_ZN7rocprim17ROCPRIM_400000_NS6detail17trampoline_kernelINS0_14default_configENS1_20scan_config_selectorIdEEZZNS1_9scan_implILNS1_25lookback_scan_determinismE0ELb0ELb0ES3_PKdPddZZZN2at6native31launch_logcumsumexp_cuda_kernelERKNSB_10TensorBaseESF_lENKUlvE_clEvENKUlvE_clEvEUlddE_dEEDaPvRmT3_T4_T5_mT6_P12ihipStream_tbENKUlT_T0_E_clISt17integral_constantIbLb0EESV_IbLb1EEEEDaSR_SS_EUlSR_E_NS1_11comp_targetILNS1_3genE5ELNS1_11target_archE942ELNS1_3gpuE9ELNS1_3repE0EEENS1_30default_config_static_selectorELNS0_4arch9wavefront6targetE0EEEvT1_, .Lfunc_end70-_ZN7rocprim17ROCPRIM_400000_NS6detail17trampoline_kernelINS0_14default_configENS1_20scan_config_selectorIdEEZZNS1_9scan_implILNS1_25lookback_scan_determinismE0ELb0ELb0ES3_PKdPddZZZN2at6native31launch_logcumsumexp_cuda_kernelERKNSB_10TensorBaseESF_lENKUlvE_clEvENKUlvE_clEvEUlddE_dEEDaPvRmT3_T4_T5_mT6_P12ihipStream_tbENKUlT_T0_E_clISt17integral_constantIbLb0EESV_IbLb1EEEEDaSR_SS_EUlSR_E_NS1_11comp_targetILNS1_3genE5ELNS1_11target_archE942ELNS1_3gpuE9ELNS1_3repE0EEENS1_30default_config_static_selectorELNS0_4arch9wavefront6targetE0EEEvT1_
                                        ; -- End function
	.section	.AMDGPU.csdata,"",@progbits
; Kernel info:
; codeLenInByte = 0
; NumSgprs: 0
; NumVgprs: 0
; ScratchSize: 0
; MemoryBound: 0
; FloatMode: 240
; IeeeMode: 1
; LDSByteSize: 0 bytes/workgroup (compile time only)
; SGPRBlocks: 0
; VGPRBlocks: 0
; NumSGPRsForWavesPerEU: 1
; NumVGPRsForWavesPerEU: 1
; Occupancy: 16
; WaveLimiterHint : 0
; COMPUTE_PGM_RSRC2:SCRATCH_EN: 0
; COMPUTE_PGM_RSRC2:USER_SGPR: 15
; COMPUTE_PGM_RSRC2:TRAP_HANDLER: 0
; COMPUTE_PGM_RSRC2:TGID_X_EN: 1
; COMPUTE_PGM_RSRC2:TGID_Y_EN: 0
; COMPUTE_PGM_RSRC2:TGID_Z_EN: 0
; COMPUTE_PGM_RSRC2:TIDIG_COMP_CNT: 0
	.section	.text._ZN7rocprim17ROCPRIM_400000_NS6detail17trampoline_kernelINS0_14default_configENS1_20scan_config_selectorIdEEZZNS1_9scan_implILNS1_25lookback_scan_determinismE0ELb0ELb0ES3_PKdPddZZZN2at6native31launch_logcumsumexp_cuda_kernelERKNSB_10TensorBaseESF_lENKUlvE_clEvENKUlvE_clEvEUlddE_dEEDaPvRmT3_T4_T5_mT6_P12ihipStream_tbENKUlT_T0_E_clISt17integral_constantIbLb0EESV_IbLb1EEEEDaSR_SS_EUlSR_E_NS1_11comp_targetILNS1_3genE4ELNS1_11target_archE910ELNS1_3gpuE8ELNS1_3repE0EEENS1_30default_config_static_selectorELNS0_4arch9wavefront6targetE0EEEvT1_,"axG",@progbits,_ZN7rocprim17ROCPRIM_400000_NS6detail17trampoline_kernelINS0_14default_configENS1_20scan_config_selectorIdEEZZNS1_9scan_implILNS1_25lookback_scan_determinismE0ELb0ELb0ES3_PKdPddZZZN2at6native31launch_logcumsumexp_cuda_kernelERKNSB_10TensorBaseESF_lENKUlvE_clEvENKUlvE_clEvEUlddE_dEEDaPvRmT3_T4_T5_mT6_P12ihipStream_tbENKUlT_T0_E_clISt17integral_constantIbLb0EESV_IbLb1EEEEDaSR_SS_EUlSR_E_NS1_11comp_targetILNS1_3genE4ELNS1_11target_archE910ELNS1_3gpuE8ELNS1_3repE0EEENS1_30default_config_static_selectorELNS0_4arch9wavefront6targetE0EEEvT1_,comdat
	.globl	_ZN7rocprim17ROCPRIM_400000_NS6detail17trampoline_kernelINS0_14default_configENS1_20scan_config_selectorIdEEZZNS1_9scan_implILNS1_25lookback_scan_determinismE0ELb0ELb0ES3_PKdPddZZZN2at6native31launch_logcumsumexp_cuda_kernelERKNSB_10TensorBaseESF_lENKUlvE_clEvENKUlvE_clEvEUlddE_dEEDaPvRmT3_T4_T5_mT6_P12ihipStream_tbENKUlT_T0_E_clISt17integral_constantIbLb0EESV_IbLb1EEEEDaSR_SS_EUlSR_E_NS1_11comp_targetILNS1_3genE4ELNS1_11target_archE910ELNS1_3gpuE8ELNS1_3repE0EEENS1_30default_config_static_selectorELNS0_4arch9wavefront6targetE0EEEvT1_ ; -- Begin function _ZN7rocprim17ROCPRIM_400000_NS6detail17trampoline_kernelINS0_14default_configENS1_20scan_config_selectorIdEEZZNS1_9scan_implILNS1_25lookback_scan_determinismE0ELb0ELb0ES3_PKdPddZZZN2at6native31launch_logcumsumexp_cuda_kernelERKNSB_10TensorBaseESF_lENKUlvE_clEvENKUlvE_clEvEUlddE_dEEDaPvRmT3_T4_T5_mT6_P12ihipStream_tbENKUlT_T0_E_clISt17integral_constantIbLb0EESV_IbLb1EEEEDaSR_SS_EUlSR_E_NS1_11comp_targetILNS1_3genE4ELNS1_11target_archE910ELNS1_3gpuE8ELNS1_3repE0EEENS1_30default_config_static_selectorELNS0_4arch9wavefront6targetE0EEEvT1_
	.p2align	8
	.type	_ZN7rocprim17ROCPRIM_400000_NS6detail17trampoline_kernelINS0_14default_configENS1_20scan_config_selectorIdEEZZNS1_9scan_implILNS1_25lookback_scan_determinismE0ELb0ELb0ES3_PKdPddZZZN2at6native31launch_logcumsumexp_cuda_kernelERKNSB_10TensorBaseESF_lENKUlvE_clEvENKUlvE_clEvEUlddE_dEEDaPvRmT3_T4_T5_mT6_P12ihipStream_tbENKUlT_T0_E_clISt17integral_constantIbLb0EESV_IbLb1EEEEDaSR_SS_EUlSR_E_NS1_11comp_targetILNS1_3genE4ELNS1_11target_archE910ELNS1_3gpuE8ELNS1_3repE0EEENS1_30default_config_static_selectorELNS0_4arch9wavefront6targetE0EEEvT1_,@function
_ZN7rocprim17ROCPRIM_400000_NS6detail17trampoline_kernelINS0_14default_configENS1_20scan_config_selectorIdEEZZNS1_9scan_implILNS1_25lookback_scan_determinismE0ELb0ELb0ES3_PKdPddZZZN2at6native31launch_logcumsumexp_cuda_kernelERKNSB_10TensorBaseESF_lENKUlvE_clEvENKUlvE_clEvEUlddE_dEEDaPvRmT3_T4_T5_mT6_P12ihipStream_tbENKUlT_T0_E_clISt17integral_constantIbLb0EESV_IbLb1EEEEDaSR_SS_EUlSR_E_NS1_11comp_targetILNS1_3genE4ELNS1_11target_archE910ELNS1_3gpuE8ELNS1_3repE0EEENS1_30default_config_static_selectorELNS0_4arch9wavefront6targetE0EEEvT1_: ; @_ZN7rocprim17ROCPRIM_400000_NS6detail17trampoline_kernelINS0_14default_configENS1_20scan_config_selectorIdEEZZNS1_9scan_implILNS1_25lookback_scan_determinismE0ELb0ELb0ES3_PKdPddZZZN2at6native31launch_logcumsumexp_cuda_kernelERKNSB_10TensorBaseESF_lENKUlvE_clEvENKUlvE_clEvEUlddE_dEEDaPvRmT3_T4_T5_mT6_P12ihipStream_tbENKUlT_T0_E_clISt17integral_constantIbLb0EESV_IbLb1EEEEDaSR_SS_EUlSR_E_NS1_11comp_targetILNS1_3genE4ELNS1_11target_archE910ELNS1_3gpuE8ELNS1_3repE0EEENS1_30default_config_static_selectorELNS0_4arch9wavefront6targetE0EEEvT1_
; %bb.0:
	.section	.rodata,"a",@progbits
	.p2align	6, 0x0
	.amdhsa_kernel _ZN7rocprim17ROCPRIM_400000_NS6detail17trampoline_kernelINS0_14default_configENS1_20scan_config_selectorIdEEZZNS1_9scan_implILNS1_25lookback_scan_determinismE0ELb0ELb0ES3_PKdPddZZZN2at6native31launch_logcumsumexp_cuda_kernelERKNSB_10TensorBaseESF_lENKUlvE_clEvENKUlvE_clEvEUlddE_dEEDaPvRmT3_T4_T5_mT6_P12ihipStream_tbENKUlT_T0_E_clISt17integral_constantIbLb0EESV_IbLb1EEEEDaSR_SS_EUlSR_E_NS1_11comp_targetILNS1_3genE4ELNS1_11target_archE910ELNS1_3gpuE8ELNS1_3repE0EEENS1_30default_config_static_selectorELNS0_4arch9wavefront6targetE0EEEvT1_
		.amdhsa_group_segment_fixed_size 0
		.amdhsa_private_segment_fixed_size 0
		.amdhsa_kernarg_size 104
		.amdhsa_user_sgpr_count 15
		.amdhsa_user_sgpr_dispatch_ptr 0
		.amdhsa_user_sgpr_queue_ptr 0
		.amdhsa_user_sgpr_kernarg_segment_ptr 1
		.amdhsa_user_sgpr_dispatch_id 0
		.amdhsa_user_sgpr_private_segment_size 0
		.amdhsa_wavefront_size32 1
		.amdhsa_uses_dynamic_stack 0
		.amdhsa_enable_private_segment 0
		.amdhsa_system_sgpr_workgroup_id_x 1
		.amdhsa_system_sgpr_workgroup_id_y 0
		.amdhsa_system_sgpr_workgroup_id_z 0
		.amdhsa_system_sgpr_workgroup_info 0
		.amdhsa_system_vgpr_workitem_id 0
		.amdhsa_next_free_vgpr 1
		.amdhsa_next_free_sgpr 1
		.amdhsa_reserve_vcc 0
		.amdhsa_float_round_mode_32 0
		.amdhsa_float_round_mode_16_64 0
		.amdhsa_float_denorm_mode_32 3
		.amdhsa_float_denorm_mode_16_64 3
		.amdhsa_dx10_clamp 1
		.amdhsa_ieee_mode 1
		.amdhsa_fp16_overflow 0
		.amdhsa_workgroup_processor_mode 1
		.amdhsa_memory_ordered 1
		.amdhsa_forward_progress 0
		.amdhsa_shared_vgpr_count 0
		.amdhsa_exception_fp_ieee_invalid_op 0
		.amdhsa_exception_fp_denorm_src 0
		.amdhsa_exception_fp_ieee_div_zero 0
		.amdhsa_exception_fp_ieee_overflow 0
		.amdhsa_exception_fp_ieee_underflow 0
		.amdhsa_exception_fp_ieee_inexact 0
		.amdhsa_exception_int_div_zero 0
	.end_amdhsa_kernel
	.section	.text._ZN7rocprim17ROCPRIM_400000_NS6detail17trampoline_kernelINS0_14default_configENS1_20scan_config_selectorIdEEZZNS1_9scan_implILNS1_25lookback_scan_determinismE0ELb0ELb0ES3_PKdPddZZZN2at6native31launch_logcumsumexp_cuda_kernelERKNSB_10TensorBaseESF_lENKUlvE_clEvENKUlvE_clEvEUlddE_dEEDaPvRmT3_T4_T5_mT6_P12ihipStream_tbENKUlT_T0_E_clISt17integral_constantIbLb0EESV_IbLb1EEEEDaSR_SS_EUlSR_E_NS1_11comp_targetILNS1_3genE4ELNS1_11target_archE910ELNS1_3gpuE8ELNS1_3repE0EEENS1_30default_config_static_selectorELNS0_4arch9wavefront6targetE0EEEvT1_,"axG",@progbits,_ZN7rocprim17ROCPRIM_400000_NS6detail17trampoline_kernelINS0_14default_configENS1_20scan_config_selectorIdEEZZNS1_9scan_implILNS1_25lookback_scan_determinismE0ELb0ELb0ES3_PKdPddZZZN2at6native31launch_logcumsumexp_cuda_kernelERKNSB_10TensorBaseESF_lENKUlvE_clEvENKUlvE_clEvEUlddE_dEEDaPvRmT3_T4_T5_mT6_P12ihipStream_tbENKUlT_T0_E_clISt17integral_constantIbLb0EESV_IbLb1EEEEDaSR_SS_EUlSR_E_NS1_11comp_targetILNS1_3genE4ELNS1_11target_archE910ELNS1_3gpuE8ELNS1_3repE0EEENS1_30default_config_static_selectorELNS0_4arch9wavefront6targetE0EEEvT1_,comdat
.Lfunc_end71:
	.size	_ZN7rocprim17ROCPRIM_400000_NS6detail17trampoline_kernelINS0_14default_configENS1_20scan_config_selectorIdEEZZNS1_9scan_implILNS1_25lookback_scan_determinismE0ELb0ELb0ES3_PKdPddZZZN2at6native31launch_logcumsumexp_cuda_kernelERKNSB_10TensorBaseESF_lENKUlvE_clEvENKUlvE_clEvEUlddE_dEEDaPvRmT3_T4_T5_mT6_P12ihipStream_tbENKUlT_T0_E_clISt17integral_constantIbLb0EESV_IbLb1EEEEDaSR_SS_EUlSR_E_NS1_11comp_targetILNS1_3genE4ELNS1_11target_archE910ELNS1_3gpuE8ELNS1_3repE0EEENS1_30default_config_static_selectorELNS0_4arch9wavefront6targetE0EEEvT1_, .Lfunc_end71-_ZN7rocprim17ROCPRIM_400000_NS6detail17trampoline_kernelINS0_14default_configENS1_20scan_config_selectorIdEEZZNS1_9scan_implILNS1_25lookback_scan_determinismE0ELb0ELb0ES3_PKdPddZZZN2at6native31launch_logcumsumexp_cuda_kernelERKNSB_10TensorBaseESF_lENKUlvE_clEvENKUlvE_clEvEUlddE_dEEDaPvRmT3_T4_T5_mT6_P12ihipStream_tbENKUlT_T0_E_clISt17integral_constantIbLb0EESV_IbLb1EEEEDaSR_SS_EUlSR_E_NS1_11comp_targetILNS1_3genE4ELNS1_11target_archE910ELNS1_3gpuE8ELNS1_3repE0EEENS1_30default_config_static_selectorELNS0_4arch9wavefront6targetE0EEEvT1_
                                        ; -- End function
	.section	.AMDGPU.csdata,"",@progbits
; Kernel info:
; codeLenInByte = 0
; NumSgprs: 0
; NumVgprs: 0
; ScratchSize: 0
; MemoryBound: 0
; FloatMode: 240
; IeeeMode: 1
; LDSByteSize: 0 bytes/workgroup (compile time only)
; SGPRBlocks: 0
; VGPRBlocks: 0
; NumSGPRsForWavesPerEU: 1
; NumVGPRsForWavesPerEU: 1
; Occupancy: 16
; WaveLimiterHint : 0
; COMPUTE_PGM_RSRC2:SCRATCH_EN: 0
; COMPUTE_PGM_RSRC2:USER_SGPR: 15
; COMPUTE_PGM_RSRC2:TRAP_HANDLER: 0
; COMPUTE_PGM_RSRC2:TGID_X_EN: 1
; COMPUTE_PGM_RSRC2:TGID_Y_EN: 0
; COMPUTE_PGM_RSRC2:TGID_Z_EN: 0
; COMPUTE_PGM_RSRC2:TIDIG_COMP_CNT: 0
	.section	.text._ZN7rocprim17ROCPRIM_400000_NS6detail17trampoline_kernelINS0_14default_configENS1_20scan_config_selectorIdEEZZNS1_9scan_implILNS1_25lookback_scan_determinismE0ELb0ELb0ES3_PKdPddZZZN2at6native31launch_logcumsumexp_cuda_kernelERKNSB_10TensorBaseESF_lENKUlvE_clEvENKUlvE_clEvEUlddE_dEEDaPvRmT3_T4_T5_mT6_P12ihipStream_tbENKUlT_T0_E_clISt17integral_constantIbLb0EESV_IbLb1EEEEDaSR_SS_EUlSR_E_NS1_11comp_targetILNS1_3genE3ELNS1_11target_archE908ELNS1_3gpuE7ELNS1_3repE0EEENS1_30default_config_static_selectorELNS0_4arch9wavefront6targetE0EEEvT1_,"axG",@progbits,_ZN7rocprim17ROCPRIM_400000_NS6detail17trampoline_kernelINS0_14default_configENS1_20scan_config_selectorIdEEZZNS1_9scan_implILNS1_25lookback_scan_determinismE0ELb0ELb0ES3_PKdPddZZZN2at6native31launch_logcumsumexp_cuda_kernelERKNSB_10TensorBaseESF_lENKUlvE_clEvENKUlvE_clEvEUlddE_dEEDaPvRmT3_T4_T5_mT6_P12ihipStream_tbENKUlT_T0_E_clISt17integral_constantIbLb0EESV_IbLb1EEEEDaSR_SS_EUlSR_E_NS1_11comp_targetILNS1_3genE3ELNS1_11target_archE908ELNS1_3gpuE7ELNS1_3repE0EEENS1_30default_config_static_selectorELNS0_4arch9wavefront6targetE0EEEvT1_,comdat
	.globl	_ZN7rocprim17ROCPRIM_400000_NS6detail17trampoline_kernelINS0_14default_configENS1_20scan_config_selectorIdEEZZNS1_9scan_implILNS1_25lookback_scan_determinismE0ELb0ELb0ES3_PKdPddZZZN2at6native31launch_logcumsumexp_cuda_kernelERKNSB_10TensorBaseESF_lENKUlvE_clEvENKUlvE_clEvEUlddE_dEEDaPvRmT3_T4_T5_mT6_P12ihipStream_tbENKUlT_T0_E_clISt17integral_constantIbLb0EESV_IbLb1EEEEDaSR_SS_EUlSR_E_NS1_11comp_targetILNS1_3genE3ELNS1_11target_archE908ELNS1_3gpuE7ELNS1_3repE0EEENS1_30default_config_static_selectorELNS0_4arch9wavefront6targetE0EEEvT1_ ; -- Begin function _ZN7rocprim17ROCPRIM_400000_NS6detail17trampoline_kernelINS0_14default_configENS1_20scan_config_selectorIdEEZZNS1_9scan_implILNS1_25lookback_scan_determinismE0ELb0ELb0ES3_PKdPddZZZN2at6native31launch_logcumsumexp_cuda_kernelERKNSB_10TensorBaseESF_lENKUlvE_clEvENKUlvE_clEvEUlddE_dEEDaPvRmT3_T4_T5_mT6_P12ihipStream_tbENKUlT_T0_E_clISt17integral_constantIbLb0EESV_IbLb1EEEEDaSR_SS_EUlSR_E_NS1_11comp_targetILNS1_3genE3ELNS1_11target_archE908ELNS1_3gpuE7ELNS1_3repE0EEENS1_30default_config_static_selectorELNS0_4arch9wavefront6targetE0EEEvT1_
	.p2align	8
	.type	_ZN7rocprim17ROCPRIM_400000_NS6detail17trampoline_kernelINS0_14default_configENS1_20scan_config_selectorIdEEZZNS1_9scan_implILNS1_25lookback_scan_determinismE0ELb0ELb0ES3_PKdPddZZZN2at6native31launch_logcumsumexp_cuda_kernelERKNSB_10TensorBaseESF_lENKUlvE_clEvENKUlvE_clEvEUlddE_dEEDaPvRmT3_T4_T5_mT6_P12ihipStream_tbENKUlT_T0_E_clISt17integral_constantIbLb0EESV_IbLb1EEEEDaSR_SS_EUlSR_E_NS1_11comp_targetILNS1_3genE3ELNS1_11target_archE908ELNS1_3gpuE7ELNS1_3repE0EEENS1_30default_config_static_selectorELNS0_4arch9wavefront6targetE0EEEvT1_,@function
_ZN7rocprim17ROCPRIM_400000_NS6detail17trampoline_kernelINS0_14default_configENS1_20scan_config_selectorIdEEZZNS1_9scan_implILNS1_25lookback_scan_determinismE0ELb0ELb0ES3_PKdPddZZZN2at6native31launch_logcumsumexp_cuda_kernelERKNSB_10TensorBaseESF_lENKUlvE_clEvENKUlvE_clEvEUlddE_dEEDaPvRmT3_T4_T5_mT6_P12ihipStream_tbENKUlT_T0_E_clISt17integral_constantIbLb0EESV_IbLb1EEEEDaSR_SS_EUlSR_E_NS1_11comp_targetILNS1_3genE3ELNS1_11target_archE908ELNS1_3gpuE7ELNS1_3repE0EEENS1_30default_config_static_selectorELNS0_4arch9wavefront6targetE0EEEvT1_: ; @_ZN7rocprim17ROCPRIM_400000_NS6detail17trampoline_kernelINS0_14default_configENS1_20scan_config_selectorIdEEZZNS1_9scan_implILNS1_25lookback_scan_determinismE0ELb0ELb0ES3_PKdPddZZZN2at6native31launch_logcumsumexp_cuda_kernelERKNSB_10TensorBaseESF_lENKUlvE_clEvENKUlvE_clEvEUlddE_dEEDaPvRmT3_T4_T5_mT6_P12ihipStream_tbENKUlT_T0_E_clISt17integral_constantIbLb0EESV_IbLb1EEEEDaSR_SS_EUlSR_E_NS1_11comp_targetILNS1_3genE3ELNS1_11target_archE908ELNS1_3gpuE7ELNS1_3repE0EEENS1_30default_config_static_selectorELNS0_4arch9wavefront6targetE0EEEvT1_
; %bb.0:
	.section	.rodata,"a",@progbits
	.p2align	6, 0x0
	.amdhsa_kernel _ZN7rocprim17ROCPRIM_400000_NS6detail17trampoline_kernelINS0_14default_configENS1_20scan_config_selectorIdEEZZNS1_9scan_implILNS1_25lookback_scan_determinismE0ELb0ELb0ES3_PKdPddZZZN2at6native31launch_logcumsumexp_cuda_kernelERKNSB_10TensorBaseESF_lENKUlvE_clEvENKUlvE_clEvEUlddE_dEEDaPvRmT3_T4_T5_mT6_P12ihipStream_tbENKUlT_T0_E_clISt17integral_constantIbLb0EESV_IbLb1EEEEDaSR_SS_EUlSR_E_NS1_11comp_targetILNS1_3genE3ELNS1_11target_archE908ELNS1_3gpuE7ELNS1_3repE0EEENS1_30default_config_static_selectorELNS0_4arch9wavefront6targetE0EEEvT1_
		.amdhsa_group_segment_fixed_size 0
		.amdhsa_private_segment_fixed_size 0
		.amdhsa_kernarg_size 104
		.amdhsa_user_sgpr_count 15
		.amdhsa_user_sgpr_dispatch_ptr 0
		.amdhsa_user_sgpr_queue_ptr 0
		.amdhsa_user_sgpr_kernarg_segment_ptr 1
		.amdhsa_user_sgpr_dispatch_id 0
		.amdhsa_user_sgpr_private_segment_size 0
		.amdhsa_wavefront_size32 1
		.amdhsa_uses_dynamic_stack 0
		.amdhsa_enable_private_segment 0
		.amdhsa_system_sgpr_workgroup_id_x 1
		.amdhsa_system_sgpr_workgroup_id_y 0
		.amdhsa_system_sgpr_workgroup_id_z 0
		.amdhsa_system_sgpr_workgroup_info 0
		.amdhsa_system_vgpr_workitem_id 0
		.amdhsa_next_free_vgpr 1
		.amdhsa_next_free_sgpr 1
		.amdhsa_reserve_vcc 0
		.amdhsa_float_round_mode_32 0
		.amdhsa_float_round_mode_16_64 0
		.amdhsa_float_denorm_mode_32 3
		.amdhsa_float_denorm_mode_16_64 3
		.amdhsa_dx10_clamp 1
		.amdhsa_ieee_mode 1
		.amdhsa_fp16_overflow 0
		.amdhsa_workgroup_processor_mode 1
		.amdhsa_memory_ordered 1
		.amdhsa_forward_progress 0
		.amdhsa_shared_vgpr_count 0
		.amdhsa_exception_fp_ieee_invalid_op 0
		.amdhsa_exception_fp_denorm_src 0
		.amdhsa_exception_fp_ieee_div_zero 0
		.amdhsa_exception_fp_ieee_overflow 0
		.amdhsa_exception_fp_ieee_underflow 0
		.amdhsa_exception_fp_ieee_inexact 0
		.amdhsa_exception_int_div_zero 0
	.end_amdhsa_kernel
	.section	.text._ZN7rocprim17ROCPRIM_400000_NS6detail17trampoline_kernelINS0_14default_configENS1_20scan_config_selectorIdEEZZNS1_9scan_implILNS1_25lookback_scan_determinismE0ELb0ELb0ES3_PKdPddZZZN2at6native31launch_logcumsumexp_cuda_kernelERKNSB_10TensorBaseESF_lENKUlvE_clEvENKUlvE_clEvEUlddE_dEEDaPvRmT3_T4_T5_mT6_P12ihipStream_tbENKUlT_T0_E_clISt17integral_constantIbLb0EESV_IbLb1EEEEDaSR_SS_EUlSR_E_NS1_11comp_targetILNS1_3genE3ELNS1_11target_archE908ELNS1_3gpuE7ELNS1_3repE0EEENS1_30default_config_static_selectorELNS0_4arch9wavefront6targetE0EEEvT1_,"axG",@progbits,_ZN7rocprim17ROCPRIM_400000_NS6detail17trampoline_kernelINS0_14default_configENS1_20scan_config_selectorIdEEZZNS1_9scan_implILNS1_25lookback_scan_determinismE0ELb0ELb0ES3_PKdPddZZZN2at6native31launch_logcumsumexp_cuda_kernelERKNSB_10TensorBaseESF_lENKUlvE_clEvENKUlvE_clEvEUlddE_dEEDaPvRmT3_T4_T5_mT6_P12ihipStream_tbENKUlT_T0_E_clISt17integral_constantIbLb0EESV_IbLb1EEEEDaSR_SS_EUlSR_E_NS1_11comp_targetILNS1_3genE3ELNS1_11target_archE908ELNS1_3gpuE7ELNS1_3repE0EEENS1_30default_config_static_selectorELNS0_4arch9wavefront6targetE0EEEvT1_,comdat
.Lfunc_end72:
	.size	_ZN7rocprim17ROCPRIM_400000_NS6detail17trampoline_kernelINS0_14default_configENS1_20scan_config_selectorIdEEZZNS1_9scan_implILNS1_25lookback_scan_determinismE0ELb0ELb0ES3_PKdPddZZZN2at6native31launch_logcumsumexp_cuda_kernelERKNSB_10TensorBaseESF_lENKUlvE_clEvENKUlvE_clEvEUlddE_dEEDaPvRmT3_T4_T5_mT6_P12ihipStream_tbENKUlT_T0_E_clISt17integral_constantIbLb0EESV_IbLb1EEEEDaSR_SS_EUlSR_E_NS1_11comp_targetILNS1_3genE3ELNS1_11target_archE908ELNS1_3gpuE7ELNS1_3repE0EEENS1_30default_config_static_selectorELNS0_4arch9wavefront6targetE0EEEvT1_, .Lfunc_end72-_ZN7rocprim17ROCPRIM_400000_NS6detail17trampoline_kernelINS0_14default_configENS1_20scan_config_selectorIdEEZZNS1_9scan_implILNS1_25lookback_scan_determinismE0ELb0ELb0ES3_PKdPddZZZN2at6native31launch_logcumsumexp_cuda_kernelERKNSB_10TensorBaseESF_lENKUlvE_clEvENKUlvE_clEvEUlddE_dEEDaPvRmT3_T4_T5_mT6_P12ihipStream_tbENKUlT_T0_E_clISt17integral_constantIbLb0EESV_IbLb1EEEEDaSR_SS_EUlSR_E_NS1_11comp_targetILNS1_3genE3ELNS1_11target_archE908ELNS1_3gpuE7ELNS1_3repE0EEENS1_30default_config_static_selectorELNS0_4arch9wavefront6targetE0EEEvT1_
                                        ; -- End function
	.section	.AMDGPU.csdata,"",@progbits
; Kernel info:
; codeLenInByte = 0
; NumSgprs: 0
; NumVgprs: 0
; ScratchSize: 0
; MemoryBound: 0
; FloatMode: 240
; IeeeMode: 1
; LDSByteSize: 0 bytes/workgroup (compile time only)
; SGPRBlocks: 0
; VGPRBlocks: 0
; NumSGPRsForWavesPerEU: 1
; NumVGPRsForWavesPerEU: 1
; Occupancy: 16
; WaveLimiterHint : 0
; COMPUTE_PGM_RSRC2:SCRATCH_EN: 0
; COMPUTE_PGM_RSRC2:USER_SGPR: 15
; COMPUTE_PGM_RSRC2:TRAP_HANDLER: 0
; COMPUTE_PGM_RSRC2:TGID_X_EN: 1
; COMPUTE_PGM_RSRC2:TGID_Y_EN: 0
; COMPUTE_PGM_RSRC2:TGID_Z_EN: 0
; COMPUTE_PGM_RSRC2:TIDIG_COMP_CNT: 0
	.section	.text._ZN7rocprim17ROCPRIM_400000_NS6detail17trampoline_kernelINS0_14default_configENS1_20scan_config_selectorIdEEZZNS1_9scan_implILNS1_25lookback_scan_determinismE0ELb0ELb0ES3_PKdPddZZZN2at6native31launch_logcumsumexp_cuda_kernelERKNSB_10TensorBaseESF_lENKUlvE_clEvENKUlvE_clEvEUlddE_dEEDaPvRmT3_T4_T5_mT6_P12ihipStream_tbENKUlT_T0_E_clISt17integral_constantIbLb0EESV_IbLb1EEEEDaSR_SS_EUlSR_E_NS1_11comp_targetILNS1_3genE2ELNS1_11target_archE906ELNS1_3gpuE6ELNS1_3repE0EEENS1_30default_config_static_selectorELNS0_4arch9wavefront6targetE0EEEvT1_,"axG",@progbits,_ZN7rocprim17ROCPRIM_400000_NS6detail17trampoline_kernelINS0_14default_configENS1_20scan_config_selectorIdEEZZNS1_9scan_implILNS1_25lookback_scan_determinismE0ELb0ELb0ES3_PKdPddZZZN2at6native31launch_logcumsumexp_cuda_kernelERKNSB_10TensorBaseESF_lENKUlvE_clEvENKUlvE_clEvEUlddE_dEEDaPvRmT3_T4_T5_mT6_P12ihipStream_tbENKUlT_T0_E_clISt17integral_constantIbLb0EESV_IbLb1EEEEDaSR_SS_EUlSR_E_NS1_11comp_targetILNS1_3genE2ELNS1_11target_archE906ELNS1_3gpuE6ELNS1_3repE0EEENS1_30default_config_static_selectorELNS0_4arch9wavefront6targetE0EEEvT1_,comdat
	.globl	_ZN7rocprim17ROCPRIM_400000_NS6detail17trampoline_kernelINS0_14default_configENS1_20scan_config_selectorIdEEZZNS1_9scan_implILNS1_25lookback_scan_determinismE0ELb0ELb0ES3_PKdPddZZZN2at6native31launch_logcumsumexp_cuda_kernelERKNSB_10TensorBaseESF_lENKUlvE_clEvENKUlvE_clEvEUlddE_dEEDaPvRmT3_T4_T5_mT6_P12ihipStream_tbENKUlT_T0_E_clISt17integral_constantIbLb0EESV_IbLb1EEEEDaSR_SS_EUlSR_E_NS1_11comp_targetILNS1_3genE2ELNS1_11target_archE906ELNS1_3gpuE6ELNS1_3repE0EEENS1_30default_config_static_selectorELNS0_4arch9wavefront6targetE0EEEvT1_ ; -- Begin function _ZN7rocprim17ROCPRIM_400000_NS6detail17trampoline_kernelINS0_14default_configENS1_20scan_config_selectorIdEEZZNS1_9scan_implILNS1_25lookback_scan_determinismE0ELb0ELb0ES3_PKdPddZZZN2at6native31launch_logcumsumexp_cuda_kernelERKNSB_10TensorBaseESF_lENKUlvE_clEvENKUlvE_clEvEUlddE_dEEDaPvRmT3_T4_T5_mT6_P12ihipStream_tbENKUlT_T0_E_clISt17integral_constantIbLb0EESV_IbLb1EEEEDaSR_SS_EUlSR_E_NS1_11comp_targetILNS1_3genE2ELNS1_11target_archE906ELNS1_3gpuE6ELNS1_3repE0EEENS1_30default_config_static_selectorELNS0_4arch9wavefront6targetE0EEEvT1_
	.p2align	8
	.type	_ZN7rocprim17ROCPRIM_400000_NS6detail17trampoline_kernelINS0_14default_configENS1_20scan_config_selectorIdEEZZNS1_9scan_implILNS1_25lookback_scan_determinismE0ELb0ELb0ES3_PKdPddZZZN2at6native31launch_logcumsumexp_cuda_kernelERKNSB_10TensorBaseESF_lENKUlvE_clEvENKUlvE_clEvEUlddE_dEEDaPvRmT3_T4_T5_mT6_P12ihipStream_tbENKUlT_T0_E_clISt17integral_constantIbLb0EESV_IbLb1EEEEDaSR_SS_EUlSR_E_NS1_11comp_targetILNS1_3genE2ELNS1_11target_archE906ELNS1_3gpuE6ELNS1_3repE0EEENS1_30default_config_static_selectorELNS0_4arch9wavefront6targetE0EEEvT1_,@function
_ZN7rocprim17ROCPRIM_400000_NS6detail17trampoline_kernelINS0_14default_configENS1_20scan_config_selectorIdEEZZNS1_9scan_implILNS1_25lookback_scan_determinismE0ELb0ELb0ES3_PKdPddZZZN2at6native31launch_logcumsumexp_cuda_kernelERKNSB_10TensorBaseESF_lENKUlvE_clEvENKUlvE_clEvEUlddE_dEEDaPvRmT3_T4_T5_mT6_P12ihipStream_tbENKUlT_T0_E_clISt17integral_constantIbLb0EESV_IbLb1EEEEDaSR_SS_EUlSR_E_NS1_11comp_targetILNS1_3genE2ELNS1_11target_archE906ELNS1_3gpuE6ELNS1_3repE0EEENS1_30default_config_static_selectorELNS0_4arch9wavefront6targetE0EEEvT1_: ; @_ZN7rocprim17ROCPRIM_400000_NS6detail17trampoline_kernelINS0_14default_configENS1_20scan_config_selectorIdEEZZNS1_9scan_implILNS1_25lookback_scan_determinismE0ELb0ELb0ES3_PKdPddZZZN2at6native31launch_logcumsumexp_cuda_kernelERKNSB_10TensorBaseESF_lENKUlvE_clEvENKUlvE_clEvEUlddE_dEEDaPvRmT3_T4_T5_mT6_P12ihipStream_tbENKUlT_T0_E_clISt17integral_constantIbLb0EESV_IbLb1EEEEDaSR_SS_EUlSR_E_NS1_11comp_targetILNS1_3genE2ELNS1_11target_archE906ELNS1_3gpuE6ELNS1_3repE0EEENS1_30default_config_static_selectorELNS0_4arch9wavefront6targetE0EEEvT1_
; %bb.0:
	.section	.rodata,"a",@progbits
	.p2align	6, 0x0
	.amdhsa_kernel _ZN7rocprim17ROCPRIM_400000_NS6detail17trampoline_kernelINS0_14default_configENS1_20scan_config_selectorIdEEZZNS1_9scan_implILNS1_25lookback_scan_determinismE0ELb0ELb0ES3_PKdPddZZZN2at6native31launch_logcumsumexp_cuda_kernelERKNSB_10TensorBaseESF_lENKUlvE_clEvENKUlvE_clEvEUlddE_dEEDaPvRmT3_T4_T5_mT6_P12ihipStream_tbENKUlT_T0_E_clISt17integral_constantIbLb0EESV_IbLb1EEEEDaSR_SS_EUlSR_E_NS1_11comp_targetILNS1_3genE2ELNS1_11target_archE906ELNS1_3gpuE6ELNS1_3repE0EEENS1_30default_config_static_selectorELNS0_4arch9wavefront6targetE0EEEvT1_
		.amdhsa_group_segment_fixed_size 0
		.amdhsa_private_segment_fixed_size 0
		.amdhsa_kernarg_size 104
		.amdhsa_user_sgpr_count 15
		.amdhsa_user_sgpr_dispatch_ptr 0
		.amdhsa_user_sgpr_queue_ptr 0
		.amdhsa_user_sgpr_kernarg_segment_ptr 1
		.amdhsa_user_sgpr_dispatch_id 0
		.amdhsa_user_sgpr_private_segment_size 0
		.amdhsa_wavefront_size32 1
		.amdhsa_uses_dynamic_stack 0
		.amdhsa_enable_private_segment 0
		.amdhsa_system_sgpr_workgroup_id_x 1
		.amdhsa_system_sgpr_workgroup_id_y 0
		.amdhsa_system_sgpr_workgroup_id_z 0
		.amdhsa_system_sgpr_workgroup_info 0
		.amdhsa_system_vgpr_workitem_id 0
		.amdhsa_next_free_vgpr 1
		.amdhsa_next_free_sgpr 1
		.amdhsa_reserve_vcc 0
		.amdhsa_float_round_mode_32 0
		.amdhsa_float_round_mode_16_64 0
		.amdhsa_float_denorm_mode_32 3
		.amdhsa_float_denorm_mode_16_64 3
		.amdhsa_dx10_clamp 1
		.amdhsa_ieee_mode 1
		.amdhsa_fp16_overflow 0
		.amdhsa_workgroup_processor_mode 1
		.amdhsa_memory_ordered 1
		.amdhsa_forward_progress 0
		.amdhsa_shared_vgpr_count 0
		.amdhsa_exception_fp_ieee_invalid_op 0
		.amdhsa_exception_fp_denorm_src 0
		.amdhsa_exception_fp_ieee_div_zero 0
		.amdhsa_exception_fp_ieee_overflow 0
		.amdhsa_exception_fp_ieee_underflow 0
		.amdhsa_exception_fp_ieee_inexact 0
		.amdhsa_exception_int_div_zero 0
	.end_amdhsa_kernel
	.section	.text._ZN7rocprim17ROCPRIM_400000_NS6detail17trampoline_kernelINS0_14default_configENS1_20scan_config_selectorIdEEZZNS1_9scan_implILNS1_25lookback_scan_determinismE0ELb0ELb0ES3_PKdPddZZZN2at6native31launch_logcumsumexp_cuda_kernelERKNSB_10TensorBaseESF_lENKUlvE_clEvENKUlvE_clEvEUlddE_dEEDaPvRmT3_T4_T5_mT6_P12ihipStream_tbENKUlT_T0_E_clISt17integral_constantIbLb0EESV_IbLb1EEEEDaSR_SS_EUlSR_E_NS1_11comp_targetILNS1_3genE2ELNS1_11target_archE906ELNS1_3gpuE6ELNS1_3repE0EEENS1_30default_config_static_selectorELNS0_4arch9wavefront6targetE0EEEvT1_,"axG",@progbits,_ZN7rocprim17ROCPRIM_400000_NS6detail17trampoline_kernelINS0_14default_configENS1_20scan_config_selectorIdEEZZNS1_9scan_implILNS1_25lookback_scan_determinismE0ELb0ELb0ES3_PKdPddZZZN2at6native31launch_logcumsumexp_cuda_kernelERKNSB_10TensorBaseESF_lENKUlvE_clEvENKUlvE_clEvEUlddE_dEEDaPvRmT3_T4_T5_mT6_P12ihipStream_tbENKUlT_T0_E_clISt17integral_constantIbLb0EESV_IbLb1EEEEDaSR_SS_EUlSR_E_NS1_11comp_targetILNS1_3genE2ELNS1_11target_archE906ELNS1_3gpuE6ELNS1_3repE0EEENS1_30default_config_static_selectorELNS0_4arch9wavefront6targetE0EEEvT1_,comdat
.Lfunc_end73:
	.size	_ZN7rocprim17ROCPRIM_400000_NS6detail17trampoline_kernelINS0_14default_configENS1_20scan_config_selectorIdEEZZNS1_9scan_implILNS1_25lookback_scan_determinismE0ELb0ELb0ES3_PKdPddZZZN2at6native31launch_logcumsumexp_cuda_kernelERKNSB_10TensorBaseESF_lENKUlvE_clEvENKUlvE_clEvEUlddE_dEEDaPvRmT3_T4_T5_mT6_P12ihipStream_tbENKUlT_T0_E_clISt17integral_constantIbLb0EESV_IbLb1EEEEDaSR_SS_EUlSR_E_NS1_11comp_targetILNS1_3genE2ELNS1_11target_archE906ELNS1_3gpuE6ELNS1_3repE0EEENS1_30default_config_static_selectorELNS0_4arch9wavefront6targetE0EEEvT1_, .Lfunc_end73-_ZN7rocprim17ROCPRIM_400000_NS6detail17trampoline_kernelINS0_14default_configENS1_20scan_config_selectorIdEEZZNS1_9scan_implILNS1_25lookback_scan_determinismE0ELb0ELb0ES3_PKdPddZZZN2at6native31launch_logcumsumexp_cuda_kernelERKNSB_10TensorBaseESF_lENKUlvE_clEvENKUlvE_clEvEUlddE_dEEDaPvRmT3_T4_T5_mT6_P12ihipStream_tbENKUlT_T0_E_clISt17integral_constantIbLb0EESV_IbLb1EEEEDaSR_SS_EUlSR_E_NS1_11comp_targetILNS1_3genE2ELNS1_11target_archE906ELNS1_3gpuE6ELNS1_3repE0EEENS1_30default_config_static_selectorELNS0_4arch9wavefront6targetE0EEEvT1_
                                        ; -- End function
	.section	.AMDGPU.csdata,"",@progbits
; Kernel info:
; codeLenInByte = 0
; NumSgprs: 0
; NumVgprs: 0
; ScratchSize: 0
; MemoryBound: 0
; FloatMode: 240
; IeeeMode: 1
; LDSByteSize: 0 bytes/workgroup (compile time only)
; SGPRBlocks: 0
; VGPRBlocks: 0
; NumSGPRsForWavesPerEU: 1
; NumVGPRsForWavesPerEU: 1
; Occupancy: 16
; WaveLimiterHint : 0
; COMPUTE_PGM_RSRC2:SCRATCH_EN: 0
; COMPUTE_PGM_RSRC2:USER_SGPR: 15
; COMPUTE_PGM_RSRC2:TRAP_HANDLER: 0
; COMPUTE_PGM_RSRC2:TGID_X_EN: 1
; COMPUTE_PGM_RSRC2:TGID_Y_EN: 0
; COMPUTE_PGM_RSRC2:TGID_Z_EN: 0
; COMPUTE_PGM_RSRC2:TIDIG_COMP_CNT: 0
	.section	.text._ZN7rocprim17ROCPRIM_400000_NS6detail17trampoline_kernelINS0_14default_configENS1_20scan_config_selectorIdEEZZNS1_9scan_implILNS1_25lookback_scan_determinismE0ELb0ELb0ES3_PKdPddZZZN2at6native31launch_logcumsumexp_cuda_kernelERKNSB_10TensorBaseESF_lENKUlvE_clEvENKUlvE_clEvEUlddE_dEEDaPvRmT3_T4_T5_mT6_P12ihipStream_tbENKUlT_T0_E_clISt17integral_constantIbLb0EESV_IbLb1EEEEDaSR_SS_EUlSR_E_NS1_11comp_targetILNS1_3genE10ELNS1_11target_archE1201ELNS1_3gpuE5ELNS1_3repE0EEENS1_30default_config_static_selectorELNS0_4arch9wavefront6targetE0EEEvT1_,"axG",@progbits,_ZN7rocprim17ROCPRIM_400000_NS6detail17trampoline_kernelINS0_14default_configENS1_20scan_config_selectorIdEEZZNS1_9scan_implILNS1_25lookback_scan_determinismE0ELb0ELb0ES3_PKdPddZZZN2at6native31launch_logcumsumexp_cuda_kernelERKNSB_10TensorBaseESF_lENKUlvE_clEvENKUlvE_clEvEUlddE_dEEDaPvRmT3_T4_T5_mT6_P12ihipStream_tbENKUlT_T0_E_clISt17integral_constantIbLb0EESV_IbLb1EEEEDaSR_SS_EUlSR_E_NS1_11comp_targetILNS1_3genE10ELNS1_11target_archE1201ELNS1_3gpuE5ELNS1_3repE0EEENS1_30default_config_static_selectorELNS0_4arch9wavefront6targetE0EEEvT1_,comdat
	.globl	_ZN7rocprim17ROCPRIM_400000_NS6detail17trampoline_kernelINS0_14default_configENS1_20scan_config_selectorIdEEZZNS1_9scan_implILNS1_25lookback_scan_determinismE0ELb0ELb0ES3_PKdPddZZZN2at6native31launch_logcumsumexp_cuda_kernelERKNSB_10TensorBaseESF_lENKUlvE_clEvENKUlvE_clEvEUlddE_dEEDaPvRmT3_T4_T5_mT6_P12ihipStream_tbENKUlT_T0_E_clISt17integral_constantIbLb0EESV_IbLb1EEEEDaSR_SS_EUlSR_E_NS1_11comp_targetILNS1_3genE10ELNS1_11target_archE1201ELNS1_3gpuE5ELNS1_3repE0EEENS1_30default_config_static_selectorELNS0_4arch9wavefront6targetE0EEEvT1_ ; -- Begin function _ZN7rocprim17ROCPRIM_400000_NS6detail17trampoline_kernelINS0_14default_configENS1_20scan_config_selectorIdEEZZNS1_9scan_implILNS1_25lookback_scan_determinismE0ELb0ELb0ES3_PKdPddZZZN2at6native31launch_logcumsumexp_cuda_kernelERKNSB_10TensorBaseESF_lENKUlvE_clEvENKUlvE_clEvEUlddE_dEEDaPvRmT3_T4_T5_mT6_P12ihipStream_tbENKUlT_T0_E_clISt17integral_constantIbLb0EESV_IbLb1EEEEDaSR_SS_EUlSR_E_NS1_11comp_targetILNS1_3genE10ELNS1_11target_archE1201ELNS1_3gpuE5ELNS1_3repE0EEENS1_30default_config_static_selectorELNS0_4arch9wavefront6targetE0EEEvT1_
	.p2align	8
	.type	_ZN7rocprim17ROCPRIM_400000_NS6detail17trampoline_kernelINS0_14default_configENS1_20scan_config_selectorIdEEZZNS1_9scan_implILNS1_25lookback_scan_determinismE0ELb0ELb0ES3_PKdPddZZZN2at6native31launch_logcumsumexp_cuda_kernelERKNSB_10TensorBaseESF_lENKUlvE_clEvENKUlvE_clEvEUlddE_dEEDaPvRmT3_T4_T5_mT6_P12ihipStream_tbENKUlT_T0_E_clISt17integral_constantIbLb0EESV_IbLb1EEEEDaSR_SS_EUlSR_E_NS1_11comp_targetILNS1_3genE10ELNS1_11target_archE1201ELNS1_3gpuE5ELNS1_3repE0EEENS1_30default_config_static_selectorELNS0_4arch9wavefront6targetE0EEEvT1_,@function
_ZN7rocprim17ROCPRIM_400000_NS6detail17trampoline_kernelINS0_14default_configENS1_20scan_config_selectorIdEEZZNS1_9scan_implILNS1_25lookback_scan_determinismE0ELb0ELb0ES3_PKdPddZZZN2at6native31launch_logcumsumexp_cuda_kernelERKNSB_10TensorBaseESF_lENKUlvE_clEvENKUlvE_clEvEUlddE_dEEDaPvRmT3_T4_T5_mT6_P12ihipStream_tbENKUlT_T0_E_clISt17integral_constantIbLb0EESV_IbLb1EEEEDaSR_SS_EUlSR_E_NS1_11comp_targetILNS1_3genE10ELNS1_11target_archE1201ELNS1_3gpuE5ELNS1_3repE0EEENS1_30default_config_static_selectorELNS0_4arch9wavefront6targetE0EEEvT1_: ; @_ZN7rocprim17ROCPRIM_400000_NS6detail17trampoline_kernelINS0_14default_configENS1_20scan_config_selectorIdEEZZNS1_9scan_implILNS1_25lookback_scan_determinismE0ELb0ELb0ES3_PKdPddZZZN2at6native31launch_logcumsumexp_cuda_kernelERKNSB_10TensorBaseESF_lENKUlvE_clEvENKUlvE_clEvEUlddE_dEEDaPvRmT3_T4_T5_mT6_P12ihipStream_tbENKUlT_T0_E_clISt17integral_constantIbLb0EESV_IbLb1EEEEDaSR_SS_EUlSR_E_NS1_11comp_targetILNS1_3genE10ELNS1_11target_archE1201ELNS1_3gpuE5ELNS1_3repE0EEENS1_30default_config_static_selectorELNS0_4arch9wavefront6targetE0EEEvT1_
; %bb.0:
	.section	.rodata,"a",@progbits
	.p2align	6, 0x0
	.amdhsa_kernel _ZN7rocprim17ROCPRIM_400000_NS6detail17trampoline_kernelINS0_14default_configENS1_20scan_config_selectorIdEEZZNS1_9scan_implILNS1_25lookback_scan_determinismE0ELb0ELb0ES3_PKdPddZZZN2at6native31launch_logcumsumexp_cuda_kernelERKNSB_10TensorBaseESF_lENKUlvE_clEvENKUlvE_clEvEUlddE_dEEDaPvRmT3_T4_T5_mT6_P12ihipStream_tbENKUlT_T0_E_clISt17integral_constantIbLb0EESV_IbLb1EEEEDaSR_SS_EUlSR_E_NS1_11comp_targetILNS1_3genE10ELNS1_11target_archE1201ELNS1_3gpuE5ELNS1_3repE0EEENS1_30default_config_static_selectorELNS0_4arch9wavefront6targetE0EEEvT1_
		.amdhsa_group_segment_fixed_size 0
		.amdhsa_private_segment_fixed_size 0
		.amdhsa_kernarg_size 104
		.amdhsa_user_sgpr_count 15
		.amdhsa_user_sgpr_dispatch_ptr 0
		.amdhsa_user_sgpr_queue_ptr 0
		.amdhsa_user_sgpr_kernarg_segment_ptr 1
		.amdhsa_user_sgpr_dispatch_id 0
		.amdhsa_user_sgpr_private_segment_size 0
		.amdhsa_wavefront_size32 1
		.amdhsa_uses_dynamic_stack 0
		.amdhsa_enable_private_segment 0
		.amdhsa_system_sgpr_workgroup_id_x 1
		.amdhsa_system_sgpr_workgroup_id_y 0
		.amdhsa_system_sgpr_workgroup_id_z 0
		.amdhsa_system_sgpr_workgroup_info 0
		.amdhsa_system_vgpr_workitem_id 0
		.amdhsa_next_free_vgpr 1
		.amdhsa_next_free_sgpr 1
		.amdhsa_reserve_vcc 0
		.amdhsa_float_round_mode_32 0
		.amdhsa_float_round_mode_16_64 0
		.amdhsa_float_denorm_mode_32 3
		.amdhsa_float_denorm_mode_16_64 3
		.amdhsa_dx10_clamp 1
		.amdhsa_ieee_mode 1
		.amdhsa_fp16_overflow 0
		.amdhsa_workgroup_processor_mode 1
		.amdhsa_memory_ordered 1
		.amdhsa_forward_progress 0
		.amdhsa_shared_vgpr_count 0
		.amdhsa_exception_fp_ieee_invalid_op 0
		.amdhsa_exception_fp_denorm_src 0
		.amdhsa_exception_fp_ieee_div_zero 0
		.amdhsa_exception_fp_ieee_overflow 0
		.amdhsa_exception_fp_ieee_underflow 0
		.amdhsa_exception_fp_ieee_inexact 0
		.amdhsa_exception_int_div_zero 0
	.end_amdhsa_kernel
	.section	.text._ZN7rocprim17ROCPRIM_400000_NS6detail17trampoline_kernelINS0_14default_configENS1_20scan_config_selectorIdEEZZNS1_9scan_implILNS1_25lookback_scan_determinismE0ELb0ELb0ES3_PKdPddZZZN2at6native31launch_logcumsumexp_cuda_kernelERKNSB_10TensorBaseESF_lENKUlvE_clEvENKUlvE_clEvEUlddE_dEEDaPvRmT3_T4_T5_mT6_P12ihipStream_tbENKUlT_T0_E_clISt17integral_constantIbLb0EESV_IbLb1EEEEDaSR_SS_EUlSR_E_NS1_11comp_targetILNS1_3genE10ELNS1_11target_archE1201ELNS1_3gpuE5ELNS1_3repE0EEENS1_30default_config_static_selectorELNS0_4arch9wavefront6targetE0EEEvT1_,"axG",@progbits,_ZN7rocprim17ROCPRIM_400000_NS6detail17trampoline_kernelINS0_14default_configENS1_20scan_config_selectorIdEEZZNS1_9scan_implILNS1_25lookback_scan_determinismE0ELb0ELb0ES3_PKdPddZZZN2at6native31launch_logcumsumexp_cuda_kernelERKNSB_10TensorBaseESF_lENKUlvE_clEvENKUlvE_clEvEUlddE_dEEDaPvRmT3_T4_T5_mT6_P12ihipStream_tbENKUlT_T0_E_clISt17integral_constantIbLb0EESV_IbLb1EEEEDaSR_SS_EUlSR_E_NS1_11comp_targetILNS1_3genE10ELNS1_11target_archE1201ELNS1_3gpuE5ELNS1_3repE0EEENS1_30default_config_static_selectorELNS0_4arch9wavefront6targetE0EEEvT1_,comdat
.Lfunc_end74:
	.size	_ZN7rocprim17ROCPRIM_400000_NS6detail17trampoline_kernelINS0_14default_configENS1_20scan_config_selectorIdEEZZNS1_9scan_implILNS1_25lookback_scan_determinismE0ELb0ELb0ES3_PKdPddZZZN2at6native31launch_logcumsumexp_cuda_kernelERKNSB_10TensorBaseESF_lENKUlvE_clEvENKUlvE_clEvEUlddE_dEEDaPvRmT3_T4_T5_mT6_P12ihipStream_tbENKUlT_T0_E_clISt17integral_constantIbLb0EESV_IbLb1EEEEDaSR_SS_EUlSR_E_NS1_11comp_targetILNS1_3genE10ELNS1_11target_archE1201ELNS1_3gpuE5ELNS1_3repE0EEENS1_30default_config_static_selectorELNS0_4arch9wavefront6targetE0EEEvT1_, .Lfunc_end74-_ZN7rocprim17ROCPRIM_400000_NS6detail17trampoline_kernelINS0_14default_configENS1_20scan_config_selectorIdEEZZNS1_9scan_implILNS1_25lookback_scan_determinismE0ELb0ELb0ES3_PKdPddZZZN2at6native31launch_logcumsumexp_cuda_kernelERKNSB_10TensorBaseESF_lENKUlvE_clEvENKUlvE_clEvEUlddE_dEEDaPvRmT3_T4_T5_mT6_P12ihipStream_tbENKUlT_T0_E_clISt17integral_constantIbLb0EESV_IbLb1EEEEDaSR_SS_EUlSR_E_NS1_11comp_targetILNS1_3genE10ELNS1_11target_archE1201ELNS1_3gpuE5ELNS1_3repE0EEENS1_30default_config_static_selectorELNS0_4arch9wavefront6targetE0EEEvT1_
                                        ; -- End function
	.section	.AMDGPU.csdata,"",@progbits
; Kernel info:
; codeLenInByte = 0
; NumSgprs: 0
; NumVgprs: 0
; ScratchSize: 0
; MemoryBound: 0
; FloatMode: 240
; IeeeMode: 1
; LDSByteSize: 0 bytes/workgroup (compile time only)
; SGPRBlocks: 0
; VGPRBlocks: 0
; NumSGPRsForWavesPerEU: 1
; NumVGPRsForWavesPerEU: 1
; Occupancy: 16
; WaveLimiterHint : 0
; COMPUTE_PGM_RSRC2:SCRATCH_EN: 0
; COMPUTE_PGM_RSRC2:USER_SGPR: 15
; COMPUTE_PGM_RSRC2:TRAP_HANDLER: 0
; COMPUTE_PGM_RSRC2:TGID_X_EN: 1
; COMPUTE_PGM_RSRC2:TGID_Y_EN: 0
; COMPUTE_PGM_RSRC2:TGID_Z_EN: 0
; COMPUTE_PGM_RSRC2:TIDIG_COMP_CNT: 0
	.section	.text._ZN7rocprim17ROCPRIM_400000_NS6detail17trampoline_kernelINS0_14default_configENS1_20scan_config_selectorIdEEZZNS1_9scan_implILNS1_25lookback_scan_determinismE0ELb0ELb0ES3_PKdPddZZZN2at6native31launch_logcumsumexp_cuda_kernelERKNSB_10TensorBaseESF_lENKUlvE_clEvENKUlvE_clEvEUlddE_dEEDaPvRmT3_T4_T5_mT6_P12ihipStream_tbENKUlT_T0_E_clISt17integral_constantIbLb0EESV_IbLb1EEEEDaSR_SS_EUlSR_E_NS1_11comp_targetILNS1_3genE10ELNS1_11target_archE1200ELNS1_3gpuE4ELNS1_3repE0EEENS1_30default_config_static_selectorELNS0_4arch9wavefront6targetE0EEEvT1_,"axG",@progbits,_ZN7rocprim17ROCPRIM_400000_NS6detail17trampoline_kernelINS0_14default_configENS1_20scan_config_selectorIdEEZZNS1_9scan_implILNS1_25lookback_scan_determinismE0ELb0ELb0ES3_PKdPddZZZN2at6native31launch_logcumsumexp_cuda_kernelERKNSB_10TensorBaseESF_lENKUlvE_clEvENKUlvE_clEvEUlddE_dEEDaPvRmT3_T4_T5_mT6_P12ihipStream_tbENKUlT_T0_E_clISt17integral_constantIbLb0EESV_IbLb1EEEEDaSR_SS_EUlSR_E_NS1_11comp_targetILNS1_3genE10ELNS1_11target_archE1200ELNS1_3gpuE4ELNS1_3repE0EEENS1_30default_config_static_selectorELNS0_4arch9wavefront6targetE0EEEvT1_,comdat
	.globl	_ZN7rocprim17ROCPRIM_400000_NS6detail17trampoline_kernelINS0_14default_configENS1_20scan_config_selectorIdEEZZNS1_9scan_implILNS1_25lookback_scan_determinismE0ELb0ELb0ES3_PKdPddZZZN2at6native31launch_logcumsumexp_cuda_kernelERKNSB_10TensorBaseESF_lENKUlvE_clEvENKUlvE_clEvEUlddE_dEEDaPvRmT3_T4_T5_mT6_P12ihipStream_tbENKUlT_T0_E_clISt17integral_constantIbLb0EESV_IbLb1EEEEDaSR_SS_EUlSR_E_NS1_11comp_targetILNS1_3genE10ELNS1_11target_archE1200ELNS1_3gpuE4ELNS1_3repE0EEENS1_30default_config_static_selectorELNS0_4arch9wavefront6targetE0EEEvT1_ ; -- Begin function _ZN7rocprim17ROCPRIM_400000_NS6detail17trampoline_kernelINS0_14default_configENS1_20scan_config_selectorIdEEZZNS1_9scan_implILNS1_25lookback_scan_determinismE0ELb0ELb0ES3_PKdPddZZZN2at6native31launch_logcumsumexp_cuda_kernelERKNSB_10TensorBaseESF_lENKUlvE_clEvENKUlvE_clEvEUlddE_dEEDaPvRmT3_T4_T5_mT6_P12ihipStream_tbENKUlT_T0_E_clISt17integral_constantIbLb0EESV_IbLb1EEEEDaSR_SS_EUlSR_E_NS1_11comp_targetILNS1_3genE10ELNS1_11target_archE1200ELNS1_3gpuE4ELNS1_3repE0EEENS1_30default_config_static_selectorELNS0_4arch9wavefront6targetE0EEEvT1_
	.p2align	8
	.type	_ZN7rocprim17ROCPRIM_400000_NS6detail17trampoline_kernelINS0_14default_configENS1_20scan_config_selectorIdEEZZNS1_9scan_implILNS1_25lookback_scan_determinismE0ELb0ELb0ES3_PKdPddZZZN2at6native31launch_logcumsumexp_cuda_kernelERKNSB_10TensorBaseESF_lENKUlvE_clEvENKUlvE_clEvEUlddE_dEEDaPvRmT3_T4_T5_mT6_P12ihipStream_tbENKUlT_T0_E_clISt17integral_constantIbLb0EESV_IbLb1EEEEDaSR_SS_EUlSR_E_NS1_11comp_targetILNS1_3genE10ELNS1_11target_archE1200ELNS1_3gpuE4ELNS1_3repE0EEENS1_30default_config_static_selectorELNS0_4arch9wavefront6targetE0EEEvT1_,@function
_ZN7rocprim17ROCPRIM_400000_NS6detail17trampoline_kernelINS0_14default_configENS1_20scan_config_selectorIdEEZZNS1_9scan_implILNS1_25lookback_scan_determinismE0ELb0ELb0ES3_PKdPddZZZN2at6native31launch_logcumsumexp_cuda_kernelERKNSB_10TensorBaseESF_lENKUlvE_clEvENKUlvE_clEvEUlddE_dEEDaPvRmT3_T4_T5_mT6_P12ihipStream_tbENKUlT_T0_E_clISt17integral_constantIbLb0EESV_IbLb1EEEEDaSR_SS_EUlSR_E_NS1_11comp_targetILNS1_3genE10ELNS1_11target_archE1200ELNS1_3gpuE4ELNS1_3repE0EEENS1_30default_config_static_selectorELNS0_4arch9wavefront6targetE0EEEvT1_: ; @_ZN7rocprim17ROCPRIM_400000_NS6detail17trampoline_kernelINS0_14default_configENS1_20scan_config_selectorIdEEZZNS1_9scan_implILNS1_25lookback_scan_determinismE0ELb0ELb0ES3_PKdPddZZZN2at6native31launch_logcumsumexp_cuda_kernelERKNSB_10TensorBaseESF_lENKUlvE_clEvENKUlvE_clEvEUlddE_dEEDaPvRmT3_T4_T5_mT6_P12ihipStream_tbENKUlT_T0_E_clISt17integral_constantIbLb0EESV_IbLb1EEEEDaSR_SS_EUlSR_E_NS1_11comp_targetILNS1_3genE10ELNS1_11target_archE1200ELNS1_3gpuE4ELNS1_3repE0EEENS1_30default_config_static_selectorELNS0_4arch9wavefront6targetE0EEEvT1_
; %bb.0:
	.section	.rodata,"a",@progbits
	.p2align	6, 0x0
	.amdhsa_kernel _ZN7rocprim17ROCPRIM_400000_NS6detail17trampoline_kernelINS0_14default_configENS1_20scan_config_selectorIdEEZZNS1_9scan_implILNS1_25lookback_scan_determinismE0ELb0ELb0ES3_PKdPddZZZN2at6native31launch_logcumsumexp_cuda_kernelERKNSB_10TensorBaseESF_lENKUlvE_clEvENKUlvE_clEvEUlddE_dEEDaPvRmT3_T4_T5_mT6_P12ihipStream_tbENKUlT_T0_E_clISt17integral_constantIbLb0EESV_IbLb1EEEEDaSR_SS_EUlSR_E_NS1_11comp_targetILNS1_3genE10ELNS1_11target_archE1200ELNS1_3gpuE4ELNS1_3repE0EEENS1_30default_config_static_selectorELNS0_4arch9wavefront6targetE0EEEvT1_
		.amdhsa_group_segment_fixed_size 0
		.amdhsa_private_segment_fixed_size 0
		.amdhsa_kernarg_size 104
		.amdhsa_user_sgpr_count 15
		.amdhsa_user_sgpr_dispatch_ptr 0
		.amdhsa_user_sgpr_queue_ptr 0
		.amdhsa_user_sgpr_kernarg_segment_ptr 1
		.amdhsa_user_sgpr_dispatch_id 0
		.amdhsa_user_sgpr_private_segment_size 0
		.amdhsa_wavefront_size32 1
		.amdhsa_uses_dynamic_stack 0
		.amdhsa_enable_private_segment 0
		.amdhsa_system_sgpr_workgroup_id_x 1
		.amdhsa_system_sgpr_workgroup_id_y 0
		.amdhsa_system_sgpr_workgroup_id_z 0
		.amdhsa_system_sgpr_workgroup_info 0
		.amdhsa_system_vgpr_workitem_id 0
		.amdhsa_next_free_vgpr 1
		.amdhsa_next_free_sgpr 1
		.amdhsa_reserve_vcc 0
		.amdhsa_float_round_mode_32 0
		.amdhsa_float_round_mode_16_64 0
		.amdhsa_float_denorm_mode_32 3
		.amdhsa_float_denorm_mode_16_64 3
		.amdhsa_dx10_clamp 1
		.amdhsa_ieee_mode 1
		.amdhsa_fp16_overflow 0
		.amdhsa_workgroup_processor_mode 1
		.amdhsa_memory_ordered 1
		.amdhsa_forward_progress 0
		.amdhsa_shared_vgpr_count 0
		.amdhsa_exception_fp_ieee_invalid_op 0
		.amdhsa_exception_fp_denorm_src 0
		.amdhsa_exception_fp_ieee_div_zero 0
		.amdhsa_exception_fp_ieee_overflow 0
		.amdhsa_exception_fp_ieee_underflow 0
		.amdhsa_exception_fp_ieee_inexact 0
		.amdhsa_exception_int_div_zero 0
	.end_amdhsa_kernel
	.section	.text._ZN7rocprim17ROCPRIM_400000_NS6detail17trampoline_kernelINS0_14default_configENS1_20scan_config_selectorIdEEZZNS1_9scan_implILNS1_25lookback_scan_determinismE0ELb0ELb0ES3_PKdPddZZZN2at6native31launch_logcumsumexp_cuda_kernelERKNSB_10TensorBaseESF_lENKUlvE_clEvENKUlvE_clEvEUlddE_dEEDaPvRmT3_T4_T5_mT6_P12ihipStream_tbENKUlT_T0_E_clISt17integral_constantIbLb0EESV_IbLb1EEEEDaSR_SS_EUlSR_E_NS1_11comp_targetILNS1_3genE10ELNS1_11target_archE1200ELNS1_3gpuE4ELNS1_3repE0EEENS1_30default_config_static_selectorELNS0_4arch9wavefront6targetE0EEEvT1_,"axG",@progbits,_ZN7rocprim17ROCPRIM_400000_NS6detail17trampoline_kernelINS0_14default_configENS1_20scan_config_selectorIdEEZZNS1_9scan_implILNS1_25lookback_scan_determinismE0ELb0ELb0ES3_PKdPddZZZN2at6native31launch_logcumsumexp_cuda_kernelERKNSB_10TensorBaseESF_lENKUlvE_clEvENKUlvE_clEvEUlddE_dEEDaPvRmT3_T4_T5_mT6_P12ihipStream_tbENKUlT_T0_E_clISt17integral_constantIbLb0EESV_IbLb1EEEEDaSR_SS_EUlSR_E_NS1_11comp_targetILNS1_3genE10ELNS1_11target_archE1200ELNS1_3gpuE4ELNS1_3repE0EEENS1_30default_config_static_selectorELNS0_4arch9wavefront6targetE0EEEvT1_,comdat
.Lfunc_end75:
	.size	_ZN7rocprim17ROCPRIM_400000_NS6detail17trampoline_kernelINS0_14default_configENS1_20scan_config_selectorIdEEZZNS1_9scan_implILNS1_25lookback_scan_determinismE0ELb0ELb0ES3_PKdPddZZZN2at6native31launch_logcumsumexp_cuda_kernelERKNSB_10TensorBaseESF_lENKUlvE_clEvENKUlvE_clEvEUlddE_dEEDaPvRmT3_T4_T5_mT6_P12ihipStream_tbENKUlT_T0_E_clISt17integral_constantIbLb0EESV_IbLb1EEEEDaSR_SS_EUlSR_E_NS1_11comp_targetILNS1_3genE10ELNS1_11target_archE1200ELNS1_3gpuE4ELNS1_3repE0EEENS1_30default_config_static_selectorELNS0_4arch9wavefront6targetE0EEEvT1_, .Lfunc_end75-_ZN7rocprim17ROCPRIM_400000_NS6detail17trampoline_kernelINS0_14default_configENS1_20scan_config_selectorIdEEZZNS1_9scan_implILNS1_25lookback_scan_determinismE0ELb0ELb0ES3_PKdPddZZZN2at6native31launch_logcumsumexp_cuda_kernelERKNSB_10TensorBaseESF_lENKUlvE_clEvENKUlvE_clEvEUlddE_dEEDaPvRmT3_T4_T5_mT6_P12ihipStream_tbENKUlT_T0_E_clISt17integral_constantIbLb0EESV_IbLb1EEEEDaSR_SS_EUlSR_E_NS1_11comp_targetILNS1_3genE10ELNS1_11target_archE1200ELNS1_3gpuE4ELNS1_3repE0EEENS1_30default_config_static_selectorELNS0_4arch9wavefront6targetE0EEEvT1_
                                        ; -- End function
	.section	.AMDGPU.csdata,"",@progbits
; Kernel info:
; codeLenInByte = 0
; NumSgprs: 0
; NumVgprs: 0
; ScratchSize: 0
; MemoryBound: 0
; FloatMode: 240
; IeeeMode: 1
; LDSByteSize: 0 bytes/workgroup (compile time only)
; SGPRBlocks: 0
; VGPRBlocks: 0
; NumSGPRsForWavesPerEU: 1
; NumVGPRsForWavesPerEU: 1
; Occupancy: 16
; WaveLimiterHint : 0
; COMPUTE_PGM_RSRC2:SCRATCH_EN: 0
; COMPUTE_PGM_RSRC2:USER_SGPR: 15
; COMPUTE_PGM_RSRC2:TRAP_HANDLER: 0
; COMPUTE_PGM_RSRC2:TGID_X_EN: 1
; COMPUTE_PGM_RSRC2:TGID_Y_EN: 0
; COMPUTE_PGM_RSRC2:TGID_Z_EN: 0
; COMPUTE_PGM_RSRC2:TIDIG_COMP_CNT: 0
	.text
	.p2align	2                               ; -- Begin function _ZZZN7rocprim17ROCPRIM_400000_NS6detail9scan_implILNS1_25lookback_scan_determinismE0ELb0ELb0ENS0_14default_configEPKdPddZZZN2at6native31launch_logcumsumexp_cuda_kernelERKNS8_10TensorBaseESC_lENKUlvE_clEvENKUlvE_clEvEUlddE_dEEDaPvRmT3_T4_T5_mT6_P12ihipStream_tbENKUlT_T0_E_clISt17integral_constantIbLb0EESS_IbLb1EEEEDaSO_SP_ENKUlSO_E_clINS1_13target_configIS4_NS1_20scan_config_selectorIdEENS1_11comp_targetILNS1_3genE9ELNS1_11target_archE1100ELNS1_3gpuE3ELNS1_3repE0EEELNS0_4arch9wavefront6targetE0EEEEEDaSO_
	.type	_ZZZN7rocprim17ROCPRIM_400000_NS6detail9scan_implILNS1_25lookback_scan_determinismE0ELb0ELb0ENS0_14default_configEPKdPddZZZN2at6native31launch_logcumsumexp_cuda_kernelERKNS8_10TensorBaseESC_lENKUlvE_clEvENKUlvE_clEvEUlddE_dEEDaPvRmT3_T4_T5_mT6_P12ihipStream_tbENKUlT_T0_E_clISt17integral_constantIbLb0EESS_IbLb1EEEEDaSO_SP_ENKUlSO_E_clINS1_13target_configIS4_NS1_20scan_config_selectorIdEENS1_11comp_targetILNS1_3genE9ELNS1_11target_archE1100ELNS1_3gpuE3ELNS1_3repE0EEELNS0_4arch9wavefront6targetE0EEEEEDaSO_,@function
_ZZZN7rocprim17ROCPRIM_400000_NS6detail9scan_implILNS1_25lookback_scan_determinismE0ELb0ELb0ENS0_14default_configEPKdPddZZZN2at6native31launch_logcumsumexp_cuda_kernelERKNS8_10TensorBaseESC_lENKUlvE_clEvENKUlvE_clEvEUlddE_dEEDaPvRmT3_T4_T5_mT6_P12ihipStream_tbENKUlT_T0_E_clISt17integral_constantIbLb0EESS_IbLb1EEEEDaSO_SP_ENKUlSO_E_clINS1_13target_configIS4_NS1_20scan_config_selectorIdEENS1_11comp_targetILNS1_3genE9ELNS1_11target_archE1100ELNS1_3gpuE3ELNS1_3repE0EEELNS0_4arch9wavefront6targetE0EEEEEDaSO_: ; @_ZZZN7rocprim17ROCPRIM_400000_NS6detail9scan_implILNS1_25lookback_scan_determinismE0ELb0ELb0ENS0_14default_configEPKdPddZZZN2at6native31launch_logcumsumexp_cuda_kernelERKNS8_10TensorBaseESC_lENKUlvE_clEvENKUlvE_clEvEUlddE_dEEDaPvRmT3_T4_T5_mT6_P12ihipStream_tbENKUlT_T0_E_clISt17integral_constantIbLb0EESS_IbLb1EEEEDaSO_SP_ENKUlSO_E_clINS1_13target_configIS4_NS1_20scan_config_selectorIdEENS1_11comp_targetILNS1_3genE9ELNS1_11target_archE1100ELNS1_3gpuE3ELNS1_3repE0EEELNS0_4arch9wavefront6targetE0EEEEEDaSO_
; %bb.0:
	s_waitcnt vmcnt(0) expcnt(0) lgkmcnt(0)
	s_or_saveexec_b32 s0, -1
	scratch_store_b32 off, v46, s32         ; 4-byte Folded Spill
	s_mov_b32 exec_lo, s0
	v_writelane_b32 v46, s30, 0
	v_writelane_b32 v46, s31, 1
	s_clause 0x4
	flat_load_b128 v[2:5], v[0:1]
	flat_load_b128 v[52:55], v[0:1] offset:16
	flat_load_b96 v[116:118], v[0:1] offset:48
	flat_load_b128 v[36:39], v[0:1] offset:64
	flat_load_b128 v[48:51], v[0:1] offset:80
	v_and_b32_e32 v128, 0x3ff, v31
	s_delay_alu instid0(VALU_DEP_1) | instskip(SKIP_1) | instid1(VALU_DEP_1)
	v_cmp_ne_u32_e64 s1, 0, v128
	v_cmp_eq_u32_e64 s2, 0, v128
	s_and_saveexec_b32 s0, s2
	s_cbranch_execz .LBB76_2
; %bb.1:
	flat_load_b64 v[0:1], v[0:1] offset:96
	v_mov_b32_e32 v6, 1
	s_waitcnt vmcnt(0) lgkmcnt(0)
	flat_atomic_add_u32 v0, v[0:1], v6 glc
	v_mov_b32_e32 v1, 0
	s_waitcnt vmcnt(0) lgkmcnt(0)
	ds_store_b32 v1, v0
.LBB76_2:
	s_or_b32 exec_lo, exec_lo, s0
	v_mov_b32_e32 v1, 0
	s_waitcnt vmcnt(0) lgkmcnt(0)
	s_waitcnt_vscnt null, 0x0
	s_barrier
	buffer_gl0_inv
	v_lshlrev_b64 v[129:130], 3, v[4:5]
	v_add_nc_u32_e32 v4, -1, v118
	ds_load_b32 v6, v1
	v_lshlrev_b32_e32 v198, 3, v128
	v_lshrrev_b32_e32 v34, 2, v128
	v_add_nc_u32_e32 v210, 0x100, v128
	v_lshlrev_b32_e32 v5, 12, v4
	v_add_co_u32 v2, vcc_lo, v2, v129
	v_add_co_ci_u32_e32 v3, vcc_lo, v3, v130, vcc_lo
	s_delay_alu instid0(VALU_DEP_3)
	v_sub_co_u32 v183, vcc_lo, v54, v5
	v_subrev_co_ci_u32_e32 v192, vcc_lo, 0, v55, vcc_lo
	v_add_nc_u32_e32 v209, 0x200, v128
	v_add_nc_u32_e32 v208, 0x300, v128
	v_or_b32_e32 v199, 0x400, v128
	v_add_nc_u32_e32 v197, 0x500, v128
	v_add_nc_u32_e32 v196, 0x600, v128
	;; [unrolled: 1-line block ×3, first 2 shown]
	v_or_b32_e32 v194, 0x800, v128
	s_waitcnt lgkmcnt(0)
	v_lshlrev_b32_e32 v0, 12, v6
	v_add_nc_u32_e32 v193, 0x900, v128
	v_add_nc_u32_e32 v182, 0xa00, v128
	;; [unrolled: 1-line block ×3, first 2 shown]
	v_readfirstlane_b32 s72, v6
	v_lshlrev_b64 v[118:119], 3, v[0:1]
	v_cmp_ne_u32_e64 s0, v6, v4
	v_or_b32_e32 v180, 0xc00, v128
	v_add_nc_u32_e32 v179, 0xd00, v128
	v_add_nc_u32_e32 v178, 0xe00, v128
	;; [unrolled: 1-line block ×3, first 2 shown]
	v_add_co_u32 v30, vcc_lo, v2, v118
	v_add_co_ci_u32_e32 v31, vcc_lo, v3, v119, vcc_lo
	s_barrier
	buffer_gl0_inv
	s_and_saveexec_b32 s3, s0
	s_delay_alu instid0(SALU_CYCLE_1)
	s_xor_b32 s3, exec_lo, s3
	s_cbranch_execz .LBB76_4
; %bb.3:
	v_add_co_u32 v0, vcc_lo, v30, v198
	v_add_co_ci_u32_e32 v1, vcc_lo, 0, v31, vcc_lo
	v_lshrrev_b32_e32 v33, 2, v210
	s_delay_alu instid0(VALU_DEP_3) | instskip(NEXT) | instid1(VALU_DEP_3)
	v_add_co_u32 v2, vcc_lo, 0x1000, v0
	v_add_co_ci_u32_e32 v3, vcc_lo, 0, v1, vcc_lo
	v_add_co_u32 v4, vcc_lo, 0x2000, v0
	v_add_co_ci_u32_e32 v5, vcc_lo, 0, v1, vcc_lo
	;; [unrolled: 2-line block ×6, first 2 shown]
	s_clause 0x7
	flat_load_b64 v[8:9], v[0:1]
	flat_load_b64 v[10:11], v[0:1] offset:2048
	flat_load_b64 v[12:13], v[2:3]
	flat_load_b64 v[2:3], v[2:3] offset:2048
	;; [unrolled: 2-line block ×4, first 2 shown]
	v_add_co_u32 v0, vcc_lo, 0x7000, v0
	v_add_co_ci_u32_e32 v1, vcc_lo, 0, v1, vcc_lo
	s_clause 0x7
	flat_load_b64 v[24:25], v[18:19]
	flat_load_b64 v[18:19], v[18:19] offset:2048
	flat_load_b64 v[26:27], v[20:21]
	flat_load_b64 v[20:21], v[20:21] offset:2048
	;; [unrolled: 2-line block ×4, first 2 shown]
	v_and_b32_e32 v32, 0xf8, v34
	v_lshrrev_b32_e32 v34, 2, v209
	v_lshrrev_b32_e32 v35, 2, v208
	;; [unrolled: 1-line block ×14, first 2 shown]
	v_and_b32_e32 v33, 0x1f8, v33
	v_and_b32_e32 v34, 0x1f8, v34
	;; [unrolled: 1-line block ×4, first 2 shown]
	v_add_nc_u32_e32 v32, v32, v198
	v_and_b32_e32 v55, 0x3f8, v55
	v_and_b32_e32 v64, 0x3f8, v64
	;; [unrolled: 1-line block ×11, first 2 shown]
	v_add_nc_u32_e32 v33, v33, v198
	v_add_nc_u32_e32 v34, v34, v198
	;; [unrolled: 1-line block ×15, first 2 shown]
	s_waitcnt vmcnt(15) lgkmcnt(15)
	ds_store_b64 v32, v[8:9]
	s_waitcnt vmcnt(14) lgkmcnt(15)
	ds_store_b64 v33, v[10:11] offset:2048
	s_waitcnt vmcnt(13) lgkmcnt(15)
	ds_store_b64 v34, v[12:13] offset:4096
	;; [unrolled: 2-line block ×15, first 2 shown]
	s_waitcnt lgkmcnt(0)
	s_barrier
                                        ; implicit-def: $vgpr34
                                        ; implicit-def: $vgpr30
.LBB76_4:
	s_and_not1_saveexec_b32 s3, s3
	s_cbranch_execz .LBB76_23
; %bb.5:
	flat_load_b64 v[16:17], v[30:31]
	v_cmp_lt_u32_e32 vcc_lo, v128, v183
	s_waitcnt vmcnt(0) lgkmcnt(0)
	v_dual_mov_b32 v26, v16 :: v_dual_mov_b32 v27, v17
	v_dual_mov_b32 v28, v16 :: v_dual_mov_b32 v29, v17
	;; [unrolled: 1-line block ×15, first 2 shown]
	s_and_saveexec_b32 s4, vcc_lo
	s_cbranch_execnz .LBB76_124
; %bb.6:
	s_or_b32 exec_lo, exec_lo, s4
	s_delay_alu instid0(SALU_CYCLE_1)
	s_mov_b32 s4, exec_lo
	v_cmpx_lt_u32_e64 v210, v183
	s_cbranch_execnz .LBB76_125
.LBB76_7:
	s_or_b32 exec_lo, exec_lo, s4
	s_delay_alu instid0(SALU_CYCLE_1)
	s_mov_b32 s4, exec_lo
	v_cmpx_lt_u32_e64 v209, v183
	s_cbranch_execnz .LBB76_126
.LBB76_8:
	s_or_b32 exec_lo, exec_lo, s4
	s_delay_alu instid0(SALU_CYCLE_1)
	s_mov_b32 s4, exec_lo
	v_cmpx_lt_u32_e64 v208, v183
	s_cbranch_execnz .LBB76_127
.LBB76_9:
	s_or_b32 exec_lo, exec_lo, s4
	s_delay_alu instid0(SALU_CYCLE_1)
	s_mov_b32 s4, exec_lo
	v_cmpx_lt_u32_e64 v199, v183
	s_cbranch_execnz .LBB76_128
.LBB76_10:
	s_or_b32 exec_lo, exec_lo, s4
	s_delay_alu instid0(SALU_CYCLE_1)
	s_mov_b32 s4, exec_lo
	v_cmpx_lt_u32_e64 v197, v183
	s_cbranch_execnz .LBB76_129
.LBB76_11:
	s_or_b32 exec_lo, exec_lo, s4
	s_delay_alu instid0(SALU_CYCLE_1)
	s_mov_b32 s4, exec_lo
	v_cmpx_lt_u32_e64 v196, v183
	s_cbranch_execnz .LBB76_130
.LBB76_12:
	s_or_b32 exec_lo, exec_lo, s4
	s_delay_alu instid0(SALU_CYCLE_1)
	s_mov_b32 s4, exec_lo
	v_cmpx_lt_u32_e64 v195, v183
	s_cbranch_execnz .LBB76_131
.LBB76_13:
	s_or_b32 exec_lo, exec_lo, s4
	s_delay_alu instid0(SALU_CYCLE_1)
	s_mov_b32 s4, exec_lo
	v_cmpx_lt_u32_e64 v194, v183
	s_cbranch_execnz .LBB76_132
.LBB76_14:
	s_or_b32 exec_lo, exec_lo, s4
	s_delay_alu instid0(SALU_CYCLE_1)
	s_mov_b32 s4, exec_lo
	v_cmpx_lt_u32_e64 v193, v183
	s_cbranch_execnz .LBB76_133
.LBB76_15:
	s_or_b32 exec_lo, exec_lo, s4
	s_delay_alu instid0(SALU_CYCLE_1)
	s_mov_b32 s4, exec_lo
	v_cmpx_lt_u32_e64 v182, v183
	s_cbranch_execnz .LBB76_134
.LBB76_16:
	s_or_b32 exec_lo, exec_lo, s4
	s_delay_alu instid0(SALU_CYCLE_1)
	s_mov_b32 s4, exec_lo
	v_cmpx_lt_u32_e64 v181, v183
	s_cbranch_execnz .LBB76_135
.LBB76_17:
	s_or_b32 exec_lo, exec_lo, s4
	s_delay_alu instid0(SALU_CYCLE_1)
	s_mov_b32 s4, exec_lo
	v_cmpx_lt_u32_e64 v180, v183
	s_cbranch_execnz .LBB76_136
.LBB76_18:
	s_or_b32 exec_lo, exec_lo, s4
	s_delay_alu instid0(SALU_CYCLE_1)
	s_mov_b32 s4, exec_lo
	v_cmpx_lt_u32_e64 v179, v183
	s_cbranch_execnz .LBB76_137
.LBB76_19:
	s_or_b32 exec_lo, exec_lo, s4
	s_delay_alu instid0(SALU_CYCLE_1)
	s_mov_b32 s4, exec_lo
	v_cmpx_lt_u32_e64 v178, v183
	s_cbranch_execnz .LBB76_138
.LBB76_20:
	s_or_b32 exec_lo, exec_lo, s4
	s_delay_alu instid0(SALU_CYCLE_1)
	s_mov_b32 s4, exec_lo
	v_cmpx_lt_u32_e64 v135, v183
	s_cbranch_execz .LBB76_22
.LBB76_21:
	v_lshlrev_b32_e32 v14, 3, v135
	s_delay_alu instid0(VALU_DEP_1)
	v_add_co_u32 v14, vcc_lo, v30, v14
	v_add_co_ci_u32_e32 v15, vcc_lo, 0, v31, vcc_lo
	flat_load_b64 v[14:15], v[14:15]
.LBB76_22:
	s_or_b32 exec_lo, exec_lo, s4
	v_lshrrev_b32_e32 v30, 2, v210
	v_lshrrev_b32_e32 v31, 2, v209
	;; [unrolled: 1-line block ×3, first 2 shown]
	v_and_b32_e32 v34, 0xf8, v34
	v_lshrrev_b32_e32 v54, 2, v199
	v_and_b32_e32 v30, 0x1f8, v30
	v_and_b32_e32 v31, 0x1f8, v31
	;; [unrolled: 1-line block ×3, first 2 shown]
	v_lshrrev_b32_e32 v55, 2, v197
	v_add_nc_u32_e32 v34, v34, v198
	v_lshrrev_b32_e32 v64, 2, v196
	v_add_nc_u32_e32 v30, v30, v198
	;; [unrolled: 2-line block ×3, first 2 shown]
	v_add_nc_u32_e32 v35, v35, v198
	v_and_b32_e32 v54, 0x1f8, v54
	v_and_b32_e32 v55, 0x3f8, v55
	s_waitcnt vmcnt(0) lgkmcnt(0)
	ds_store_b64 v34, v[32:33]
	ds_store_b64 v30, v[16:17] offset:2048
	ds_store_b64 v31, v[26:27] offset:4096
	;; [unrolled: 1-line block ×3, first 2 shown]
	v_and_b32_e32 v26, 0x3f8, v64
	v_and_b32_e32 v27, 0x3f8, v65
	v_add_nc_u32_e32 v16, v54, v198
	v_add_nc_u32_e32 v17, v55, v198
	v_lshrrev_b32_e32 v28, 2, v194
	v_add_nc_u32_e32 v26, v26, v198
	v_lshrrev_b32_e32 v29, 2, v193
	;; [unrolled: 2-line block ×3, first 2 shown]
	ds_store_b64 v16, v[18:19] offset:8192
	ds_store_b64 v17, v[20:21] offset:10240
	;; [unrolled: 1-line block ×4, first 2 shown]
	v_lshrrev_b32_e32 v19, 2, v181
	v_lshrrev_b32_e32 v20, 2, v180
	v_and_b32_e32 v28, 0x3f8, v28
	v_lshrrev_b32_e32 v21, 2, v179
	v_lshrrev_b32_e32 v22, 2, v178
	;; [unrolled: 1-line block ×3, first 2 shown]
	v_and_b32_e32 v29, 0x3f8, v29
	v_and_b32_e32 v30, 0x3f8, v30
	;; [unrolled: 1-line block ×4, first 2 shown]
	v_add_nc_u32_e32 v16, v28, v198
	v_and_b32_e32 v21, 0x7f8, v21
	v_and_b32_e32 v22, 0x7f8, v22
	;; [unrolled: 1-line block ×3, first 2 shown]
	v_add_nc_u32_e32 v17, v29, v198
	v_add_nc_u32_e32 v18, v30, v198
	;; [unrolled: 1-line block ×7, first 2 shown]
	ds_store_b64 v16, v[0:1] offset:16384
	ds_store_b64 v17, v[2:3] offset:18432
	;; [unrolled: 1-line block ×8, first 2 shown]
	s_waitcnt lgkmcnt(0)
	s_barrier
.LBB76_23:
	s_or_b32 exec_lo, exec_lo, s3
	v_lshlrev_b32_e32 v0, 4, v128
	v_lshrrev_b32_e32 v211, 1, v128
	buffer_gl0_inv
	s_cmp_lg_u32 s72, 0
	v_add_lshl_u32 v4, v211, v0, 3
	ds_load_2addr_b64 v[0:3], v4 offset1:1
	ds_load_2addr_b64 v[112:115], v4 offset0:2 offset1:3
	ds_load_2addr_b64 v[100:103], v4 offset0:4 offset1:5
	;; [unrolled: 1-line block ×7, first 2 shown]
	s_waitcnt lgkmcnt(0)
	s_barrier
	buffer_gl0_inv
	v_cmp_u_f64_e64 s3, v[2:3], v[2:3]
	v_max_f64 v[54:55], v[2:3], v[2:3]
	s_cbranch_scc0 .LBB76_123
; %bb.24:
	v_max_f64 v[133:134], v[0:1], v[0:1]
	v_cmp_u_f64_e64 s18, v[0:1], v[0:1]
	s_delay_alu instid0(VALU_DEP_2) | instskip(SKIP_1) | instid1(VALU_DEP_2)
	v_min_f64 v[4:5], v[133:134], v[54:55]
	v_max_f64 v[6:7], v[133:134], v[54:55]
	v_cndmask_b32_e64 v4, v4, v0, s18
	s_delay_alu instid0(VALU_DEP_3) | instskip(NEXT) | instid1(VALU_DEP_3)
	v_cndmask_b32_e64 v5, v5, v1, s18
	v_cndmask_b32_e64 v7, v7, v1, s18
	s_delay_alu instid0(VALU_DEP_4) | instskip(NEXT) | instid1(VALU_DEP_4)
	v_cndmask_b32_e64 v6, v6, v0, s18
	v_cndmask_b32_e64 v8, v4, v2, s3
	s_delay_alu instid0(VALU_DEP_4) | instskip(NEXT) | instid1(VALU_DEP_4)
	v_cndmask_b32_e64 v9, v5, v3, s3
	v_cndmask_b32_e64 v7, v7, v3, s3
	s_delay_alu instid0(VALU_DEP_4) | instskip(SKIP_1) | instid1(VALU_DEP_4)
	v_cndmask_b32_e64 v6, v6, v2, s3
	v_dual_mov_b32 v5, v1 :: v_dual_mov_b32 v4, v0
	v_cmp_class_f64_e64 s4, v[8:9], 0x1f8
	s_delay_alu instid0(VALU_DEP_3) | instskip(NEXT) | instid1(VALU_DEP_2)
	v_cmp_neq_f64_e32 vcc_lo, v[8:9], v[6:7]
	s_or_b32 s4, vcc_lo, s4
	s_delay_alu instid0(SALU_CYCLE_1)
	s_and_saveexec_b32 s10, s4
	s_cbranch_execz .LBB76_26
; %bb.25:
	v_add_f64 v[4:5], v[8:9], -v[6:7]
	s_mov_b32 s4, 0x652b82fe
	s_mov_b32 s5, 0x3ff71547
	;; [unrolled: 1-line block ×10, first 2 shown]
	s_delay_alu instid0(VALU_DEP_1) | instskip(SKIP_3) | instid1(VALU_DEP_2)
	v_mul_f64 v[8:9], v[4:5], s[4:5]
	s_mov_b32 s4, 0xfca7ab0c
	s_mov_b32 s5, 0x3e928af3
	v_cmp_nlt_f64_e32 vcc_lo, 0x40900000, v[4:5]
	v_rndne_f64_e32 v[8:9], v[8:9]
	s_delay_alu instid0(VALU_DEP_1) | instskip(SKIP_2) | instid1(VALU_DEP_2)
	v_fma_f64 v[10:11], v[8:9], s[6:7], v[4:5]
	v_cvt_i32_f64_e32 v14, v[8:9]
	s_mov_b32 s7, 0x3fe62e42
	v_fma_f64 v[10:11], v[8:9], s[8:9], v[10:11]
	s_mov_b32 s9, 0x3c7abc9e
	s_delay_alu instid0(VALU_DEP_1) | instskip(SKIP_4) | instid1(VALU_DEP_1)
	v_fma_f64 v[12:13], v[10:11], s[12:13], s[4:5]
	s_mov_b32 s4, 0x623fde64
	s_mov_b32 s5, 0x3ec71dee
	;; [unrolled: 1-line block ×4, first 2 shown]
	v_fma_f64 v[12:13], v[10:11], v[12:13], s[4:5]
	s_mov_b32 s4, 0x7c89e6b0
	s_mov_b32 s5, 0x3efa0199
	s_delay_alu instid0(VALU_DEP_1) | instid1(SALU_CYCLE_1)
	v_fma_f64 v[12:13], v[10:11], v[12:13], s[4:5]
	s_mov_b32 s4, 0x14761f6e
	s_mov_b32 s5, 0x3f2a01a0
	s_delay_alu instid0(VALU_DEP_1) | instid1(SALU_CYCLE_1)
	;; [unrolled: 4-line block ×7, first 2 shown]
	v_fma_f64 v[12:13], v[10:11], v[12:13], s[4:5]
	v_cmp_ngt_f64_e64 s4, 0xc090cc00, v[4:5]
	s_mov_b32 s5, 0x3fe55555
	s_delay_alu instid0(VALU_DEP_2) | instskip(NEXT) | instid1(VALU_DEP_1)
	v_fma_f64 v[12:13], v[10:11], v[12:13], 1.0
	v_fma_f64 v[8:9], v[10:11], v[12:13], 1.0
	s_delay_alu instid0(VALU_DEP_1) | instskip(NEXT) | instid1(VALU_DEP_1)
	v_ldexp_f64 v[8:9], v[8:9], v14
	v_cndmask_b32_e32 v9, 0x7ff00000, v9, vcc_lo
	s_and_b32 vcc_lo, s4, vcc_lo
	s_delay_alu instid0(VALU_DEP_1) | instskip(NEXT) | instid1(VALU_DEP_3)
	v_cndmask_b32_e64 v5, 0, v9, s4
	v_cndmask_b32_e32 v4, 0, v8, vcc_lo
	s_mov_b32 s4, 0x55555555
	s_delay_alu instid0(VALU_DEP_1) | instskip(NEXT) | instid1(VALU_DEP_1)
	v_add_f64 v[8:9], v[4:5], 1.0
	v_frexp_mant_f64_e32 v[10:11], v[8:9]
	v_frexp_exp_i32_f64_e32 v14, v[8:9]
	v_add_f64 v[12:13], v[8:9], -1.0
	s_delay_alu instid0(VALU_DEP_3) | instskip(SKIP_1) | instid1(VALU_DEP_2)
	v_cmp_gt_f64_e32 vcc_lo, s[4:5], v[10:11]
	s_mov_b32 s4, 0x55555780
	v_add_f64 v[10:11], v[12:13], -v[8:9]
	v_add_f64 v[12:13], v[4:5], -v[12:13]
	v_subrev_co_ci_u32_e32 v30, vcc_lo, 0, v14, vcc_lo
	s_delay_alu instid0(VALU_DEP_3) | instskip(SKIP_1) | instid1(VALU_DEP_3)
	v_add_f64 v[10:11], v[10:11], 1.0
	v_cmp_eq_f64_e32 vcc_lo, 0x7ff00000, v[4:5]
	v_sub_nc_u32_e32 v16, 0, v30
	s_delay_alu instid0(VALU_DEP_1) | instskip(NEXT) | instid1(VALU_DEP_4)
	v_ldexp_f64 v[8:9], v[8:9], v16
	v_add_f64 v[10:11], v[12:13], v[10:11]
	s_delay_alu instid0(VALU_DEP_2) | instskip(SKIP_1) | instid1(VALU_DEP_3)
	v_add_f64 v[14:15], v[8:9], 1.0
	v_add_f64 v[20:21], v[8:9], -1.0
	v_ldexp_f64 v[10:11], v[10:11], v16
	s_delay_alu instid0(VALU_DEP_3) | instskip(NEXT) | instid1(VALU_DEP_3)
	v_add_f64 v[12:13], v[14:15], -1.0
	v_add_f64 v[22:23], v[20:21], 1.0
	s_delay_alu instid0(VALU_DEP_2) | instskip(NEXT) | instid1(VALU_DEP_2)
	v_add_f64 v[12:13], v[8:9], -v[12:13]
	v_add_f64 v[8:9], v[8:9], -v[22:23]
	s_delay_alu instid0(VALU_DEP_2) | instskip(NEXT) | instid1(VALU_DEP_2)
	v_add_f64 v[12:13], v[10:11], v[12:13]
	v_add_f64 v[8:9], v[10:11], v[8:9]
	s_delay_alu instid0(VALU_DEP_2) | instskip(NEXT) | instid1(VALU_DEP_2)
	v_add_f64 v[16:17], v[14:15], v[12:13]
	v_add_f64 v[22:23], v[20:21], v[8:9]
	s_delay_alu instid0(VALU_DEP_2) | instskip(SKIP_1) | instid1(VALU_DEP_2)
	v_rcp_f64_e32 v[18:19], v[16:17]
	v_add_f64 v[14:15], v[16:17], -v[14:15]
	v_add_f64 v[20:21], v[22:23], -v[20:21]
	s_delay_alu instid0(VALU_DEP_2) | instskip(SKIP_3) | instid1(VALU_DEP_2)
	v_add_f64 v[12:13], v[12:13], -v[14:15]
	s_waitcnt_depctr 0xfff
	v_fma_f64 v[24:25], -v[16:17], v[18:19], 1.0
	v_add_f64 v[8:9], v[8:9], -v[20:21]
	v_fma_f64 v[18:19], v[24:25], v[18:19], v[18:19]
	s_delay_alu instid0(VALU_DEP_1) | instskip(NEXT) | instid1(VALU_DEP_1)
	v_fma_f64 v[10:11], -v[16:17], v[18:19], 1.0
	v_fma_f64 v[10:11], v[10:11], v[18:19], v[18:19]
	s_delay_alu instid0(VALU_DEP_1) | instskip(NEXT) | instid1(VALU_DEP_1)
	v_mul_f64 v[18:19], v[22:23], v[10:11]
	v_mul_f64 v[24:25], v[16:17], v[18:19]
	s_delay_alu instid0(VALU_DEP_1) | instskip(NEXT) | instid1(VALU_DEP_1)
	v_fma_f64 v[14:15], v[18:19], v[16:17], -v[24:25]
	v_fma_f64 v[14:15], v[18:19], v[12:13], v[14:15]
	s_delay_alu instid0(VALU_DEP_1) | instskip(NEXT) | instid1(VALU_DEP_1)
	v_add_f64 v[26:27], v[24:25], v[14:15]
	v_add_f64 v[28:29], v[22:23], -v[26:27]
	v_add_f64 v[20:21], v[26:27], -v[24:25]
	s_delay_alu instid0(VALU_DEP_2) | instskip(NEXT) | instid1(VALU_DEP_2)
	v_add_f64 v[22:23], v[22:23], -v[28:29]
	v_add_f64 v[14:15], v[20:21], -v[14:15]
	s_delay_alu instid0(VALU_DEP_2) | instskip(NEXT) | instid1(VALU_DEP_1)
	v_add_f64 v[22:23], v[22:23], -v[26:27]
	v_add_f64 v[8:9], v[8:9], v[22:23]
	s_delay_alu instid0(VALU_DEP_1) | instskip(NEXT) | instid1(VALU_DEP_1)
	v_add_f64 v[8:9], v[14:15], v[8:9]
	v_add_f64 v[14:15], v[28:29], v[8:9]
	s_delay_alu instid0(VALU_DEP_1) | instskip(SKIP_1) | instid1(VALU_DEP_2)
	v_mul_f64 v[20:21], v[10:11], v[14:15]
	v_add_f64 v[26:27], v[28:29], -v[14:15]
	v_mul_f64 v[22:23], v[16:17], v[20:21]
	s_delay_alu instid0(VALU_DEP_2) | instskip(NEXT) | instid1(VALU_DEP_2)
	v_add_f64 v[8:9], v[8:9], v[26:27]
	v_fma_f64 v[16:17], v[20:21], v[16:17], -v[22:23]
	s_delay_alu instid0(VALU_DEP_1) | instskip(NEXT) | instid1(VALU_DEP_1)
	v_fma_f64 v[12:13], v[20:21], v[12:13], v[16:17]
	v_add_f64 v[16:17], v[22:23], v[12:13]
	s_delay_alu instid0(VALU_DEP_1) | instskip(SKIP_1) | instid1(VALU_DEP_2)
	v_add_f64 v[24:25], v[14:15], -v[16:17]
	v_add_f64 v[22:23], v[16:17], -v[22:23]
	;; [unrolled: 1-line block ×3, first 2 shown]
	s_delay_alu instid0(VALU_DEP_2) | instskip(NEXT) | instid1(VALU_DEP_2)
	v_add_f64 v[12:13], v[22:23], -v[12:13]
	v_add_f64 v[14:15], v[14:15], -v[16:17]
	s_delay_alu instid0(VALU_DEP_1) | instskip(SKIP_1) | instid1(VALU_DEP_2)
	v_add_f64 v[8:9], v[8:9], v[14:15]
	v_add_f64 v[14:15], v[18:19], v[20:21]
	;; [unrolled: 1-line block ×3, first 2 shown]
	s_delay_alu instid0(VALU_DEP_2) | instskip(NEXT) | instid1(VALU_DEP_2)
	v_add_f64 v[12:13], v[14:15], -v[18:19]
	v_add_f64 v[8:9], v[24:25], v[8:9]
	s_delay_alu instid0(VALU_DEP_2) | instskip(NEXT) | instid1(VALU_DEP_2)
	v_add_f64 v[12:13], v[20:21], -v[12:13]
	v_mul_f64 v[8:9], v[10:11], v[8:9]
	s_delay_alu instid0(VALU_DEP_1) | instskip(NEXT) | instid1(VALU_DEP_1)
	v_add_f64 v[8:9], v[12:13], v[8:9]
	v_add_f64 v[10:11], v[14:15], v[8:9]
	s_delay_alu instid0(VALU_DEP_1) | instskip(NEXT) | instid1(VALU_DEP_1)
	v_mul_f64 v[12:13], v[10:11], v[10:11]
	v_fma_f64 v[16:17], v[12:13], s[14:15], s[12:13]
	s_mov_b32 s12, 0xd7f4df2e
	s_mov_b32 s13, 0x3fc7474d
	v_mul_f64 v[18:19], v[10:11], v[12:13]
	s_delay_alu instid0(VALU_DEP_2)
	v_fma_f64 v[16:17], v[12:13], v[16:17], s[12:13]
	s_mov_b32 s12, 0x16291751
	s_mov_b32 s13, 0x3fcc71c0
	s_delay_alu instid0(VALU_DEP_1) | instid1(SALU_CYCLE_1)
	v_fma_f64 v[16:17], v[12:13], v[16:17], s[12:13]
	s_mov_b32 s12, 0x9b27acf1
	s_mov_b32 s13, 0x3fd24924
	s_delay_alu instid0(VALU_DEP_1) | instid1(SALU_CYCLE_1)
	;; [unrolled: 4-line block ×3, first 2 shown]
	v_fma_f64 v[16:17], v[12:13], v[16:17], s[12:13]
	s_delay_alu instid0(VALU_DEP_1) | instskip(SKIP_2) | instid1(VALU_DEP_3)
	v_fma_f64 v[12:13], v[12:13], v[16:17], s[4:5]
	v_ldexp_f64 v[16:17], v[10:11], 1
	v_add_f64 v[10:11], v[10:11], -v[14:15]
	v_mul_f64 v[12:13], v[18:19], v[12:13]
	v_cvt_f64_i32_e32 v[18:19], v30
	s_delay_alu instid0(VALU_DEP_3) | instskip(NEXT) | instid1(VALU_DEP_3)
	v_add_f64 v[8:9], v[8:9], -v[10:11]
	v_add_f64 v[14:15], v[16:17], v[12:13]
	s_delay_alu instid0(VALU_DEP_3) | instskip(NEXT) | instid1(VALU_DEP_3)
	v_mul_f64 v[20:21], v[18:19], s[6:7]
	v_ldexp_f64 v[8:9], v[8:9], 1
	s_delay_alu instid0(VALU_DEP_3) | instskip(NEXT) | instid1(VALU_DEP_3)
	v_add_f64 v[10:11], v[14:15], -v[16:17]
	v_fma_f64 v[16:17], v[18:19], s[6:7], -v[20:21]
	s_delay_alu instid0(VALU_DEP_2) | instskip(NEXT) | instid1(VALU_DEP_2)
	v_add_f64 v[10:11], v[12:13], -v[10:11]
	v_fma_f64 v[12:13], v[18:19], s[8:9], v[16:17]
	s_delay_alu instid0(VALU_DEP_2) | instskip(NEXT) | instid1(VALU_DEP_2)
	v_add_f64 v[8:9], v[8:9], v[10:11]
	v_add_f64 v[10:11], v[20:21], v[12:13]
	s_delay_alu instid0(VALU_DEP_2) | instskip(NEXT) | instid1(VALU_DEP_2)
	v_add_f64 v[16:17], v[14:15], v[8:9]
	v_add_f64 v[20:21], v[10:11], -v[20:21]
	s_delay_alu instid0(VALU_DEP_2) | instskip(SKIP_1) | instid1(VALU_DEP_3)
	v_add_f64 v[18:19], v[10:11], v[16:17]
	v_add_f64 v[14:15], v[16:17], -v[14:15]
	v_add_f64 v[12:13], v[12:13], -v[20:21]
	s_delay_alu instid0(VALU_DEP_3) | instskip(NEXT) | instid1(VALU_DEP_3)
	v_add_f64 v[22:23], v[18:19], -v[10:11]
	v_add_f64 v[8:9], v[8:9], -v[14:15]
	s_delay_alu instid0(VALU_DEP_2) | instskip(SKIP_1) | instid1(VALU_DEP_3)
	v_add_f64 v[24:25], v[18:19], -v[22:23]
	v_add_f64 v[14:15], v[16:17], -v[22:23]
	v_add_f64 v[16:17], v[12:13], v[8:9]
	s_delay_alu instid0(VALU_DEP_3) | instskip(NEXT) | instid1(VALU_DEP_1)
	v_add_f64 v[10:11], v[10:11], -v[24:25]
	v_add_f64 v[10:11], v[14:15], v[10:11]
	s_delay_alu instid0(VALU_DEP_3) | instskip(NEXT) | instid1(VALU_DEP_2)
	v_add_f64 v[14:15], v[16:17], -v[12:13]
	v_add_f64 v[10:11], v[16:17], v[10:11]
	s_delay_alu instid0(VALU_DEP_2) | instskip(SKIP_1) | instid1(VALU_DEP_3)
	v_add_f64 v[16:17], v[16:17], -v[14:15]
	v_add_f64 v[8:9], v[8:9], -v[14:15]
	v_add_f64 v[20:21], v[18:19], v[10:11]
	s_delay_alu instid0(VALU_DEP_3) | instskip(NEXT) | instid1(VALU_DEP_2)
	v_add_f64 v[12:13], v[12:13], -v[16:17]
	v_add_f64 v[14:15], v[20:21], -v[18:19]
	s_delay_alu instid0(VALU_DEP_2) | instskip(NEXT) | instid1(VALU_DEP_2)
	v_add_f64 v[8:9], v[8:9], v[12:13]
	v_add_f64 v[10:11], v[10:11], -v[14:15]
	s_delay_alu instid0(VALU_DEP_1) | instskip(NEXT) | instid1(VALU_DEP_1)
	v_add_f64 v[8:9], v[8:9], v[10:11]
	v_add_f64 v[8:9], v[20:21], v[8:9]
	s_delay_alu instid0(VALU_DEP_1) | instskip(SKIP_1) | instid1(VALU_DEP_2)
	v_dual_cndmask_b32 v9, v9, v5 :: v_dual_cndmask_b32 v8, v8, v4
	v_cmp_ngt_f64_e32 vcc_lo, -1.0, v[4:5]
	v_cndmask_b32_e32 v9, 0x7ff80000, v9, vcc_lo
	v_cmp_nge_f64_e32 vcc_lo, -1.0, v[4:5]
	s_delay_alu instid0(VALU_DEP_4) | instskip(SKIP_1) | instid1(VALU_DEP_4)
	v_cndmask_b32_e32 v8, 0, v8, vcc_lo
	v_cmp_neq_f64_e32 vcc_lo, -1.0, v[4:5]
	v_cndmask_b32_e32 v9, 0xfff00000, v9, vcc_lo
	s_delay_alu instid0(VALU_DEP_1)
	v_add_f64 v[4:5], v[6:7], v[8:9]
.LBB76_26:
	s_or_b32 exec_lo, exec_lo, s10
	v_max_f64 v[10:11], v[112:113], v[112:113]
	s_delay_alu instid0(VALU_DEP_2) | instskip(SKIP_2) | instid1(VALU_DEP_3)
	v_max_f64 v[6:7], v[4:5], v[4:5]
	v_cmp_u_f64_e32 vcc_lo, v[4:5], v[4:5]
	v_cmp_u_f64_e64 s4, v[112:113], v[112:113]
	v_min_f64 v[8:9], v[6:7], v[10:11]
	v_max_f64 v[6:7], v[6:7], v[10:11]
	s_delay_alu instid0(VALU_DEP_2) | instskip(NEXT) | instid1(VALU_DEP_2)
	v_dual_cndmask_b32 v8, v8, v4 :: v_dual_cndmask_b32 v9, v9, v5
	v_dual_cndmask_b32 v7, v7, v5 :: v_dual_cndmask_b32 v6, v6, v4
	s_delay_alu instid0(VALU_DEP_2) | instskip(NEXT) | instid1(VALU_DEP_3)
	v_cndmask_b32_e64 v8, v8, v112, s4
	v_cndmask_b32_e64 v9, v9, v113, s4
	s_delay_alu instid0(VALU_DEP_3) | instskip(NEXT) | instid1(VALU_DEP_4)
	v_cndmask_b32_e64 v7, v7, v113, s4
	v_cndmask_b32_e64 v6, v6, v112, s4
	s_delay_alu instid0(VALU_DEP_3) | instskip(NEXT) | instid1(VALU_DEP_2)
	v_cmp_class_f64_e64 s5, v[8:9], 0x1f8
	v_cmp_neq_f64_e32 vcc_lo, v[8:9], v[6:7]
	s_delay_alu instid0(VALU_DEP_2) | instskip(NEXT) | instid1(SALU_CYCLE_1)
	s_or_b32 s5, vcc_lo, s5
	s_and_saveexec_b32 s12, s5
	s_cbranch_execz .LBB76_28
; %bb.27:
	v_add_f64 v[4:5], v[8:9], -v[6:7]
	s_mov_b32 s6, 0x652b82fe
	s_mov_b32 s7, 0x3ff71547
	;; [unrolled: 1-line block ×10, first 2 shown]
	s_delay_alu instid0(VALU_DEP_1) | instskip(SKIP_4) | instid1(VALU_DEP_3)
	v_mul_f64 v[8:9], v[4:5], s[6:7]
	s_mov_b32 s7, 0xbfe62e42
	s_mov_b32 s6, 0xfefa39ef
	v_cmp_nlt_f64_e32 vcc_lo, 0x40900000, v[4:5]
	v_cmp_ngt_f64_e64 s5, 0xc090cc00, v[4:5]
	v_rndne_f64_e32 v[8:9], v[8:9]
	s_delay_alu instid0(VALU_DEP_1) | instskip(SKIP_2) | instid1(VALU_DEP_2)
	v_fma_f64 v[12:13], v[8:9], s[6:7], v[4:5]
	v_cvt_i32_f64_e32 v16, v[8:9]
	s_mov_b32 s7, 0x3fe62e42
	v_fma_f64 v[12:13], v[8:9], s[8:9], v[12:13]
	s_mov_b32 s9, 0x3c7abc9e
	s_delay_alu instid0(VALU_DEP_1) | instskip(SKIP_4) | instid1(VALU_DEP_1)
	v_fma_f64 v[14:15], v[12:13], s[14:15], s[10:11]
	s_mov_b32 s10, 0x623fde64
	s_mov_b32 s11, 0x3ec71dee
	;; [unrolled: 1-line block ×4, first 2 shown]
	v_fma_f64 v[14:15], v[12:13], v[14:15], s[10:11]
	s_mov_b32 s10, 0x7c89e6b0
	s_mov_b32 s11, 0x3efa0199
	s_delay_alu instid0(VALU_DEP_1) | instid1(SALU_CYCLE_1)
	v_fma_f64 v[14:15], v[12:13], v[14:15], s[10:11]
	s_mov_b32 s10, 0x14761f6e
	s_mov_b32 s11, 0x3f2a01a0
	s_delay_alu instid0(VALU_DEP_1) | instid1(SALU_CYCLE_1)
	;; [unrolled: 4-line block ×7, first 2 shown]
	v_fma_f64 v[14:15], v[12:13], v[14:15], s[10:11]
	s_mov_b32 s11, 0x3fe55555
	s_mov_b32 s10, 0x55555555
	s_delay_alu instid0(VALU_DEP_1) | instskip(NEXT) | instid1(VALU_DEP_1)
	v_fma_f64 v[14:15], v[12:13], v[14:15], 1.0
	v_fma_f64 v[8:9], v[12:13], v[14:15], 1.0
	s_delay_alu instid0(VALU_DEP_1) | instskip(NEXT) | instid1(VALU_DEP_1)
	v_ldexp_f64 v[8:9], v[8:9], v16
	v_cndmask_b32_e32 v9, 0x7ff00000, v9, vcc_lo
	s_and_b32 vcc_lo, s5, vcc_lo
	s_delay_alu instid0(VALU_DEP_1) | instskip(NEXT) | instid1(VALU_DEP_3)
	v_cndmask_b32_e64 v5, 0, v9, s5
	v_cndmask_b32_e32 v4, 0, v8, vcc_lo
	s_delay_alu instid0(VALU_DEP_1) | instskip(NEXT) | instid1(VALU_DEP_1)
	v_add_f64 v[8:9], v[4:5], 1.0
	v_frexp_mant_f64_e32 v[12:13], v[8:9]
	v_frexp_exp_i32_f64_e32 v16, v[8:9]
	v_add_f64 v[14:15], v[8:9], -1.0
	s_delay_alu instid0(VALU_DEP_3) | instskip(SKIP_1) | instid1(VALU_DEP_2)
	v_cmp_gt_f64_e32 vcc_lo, s[10:11], v[12:13]
	s_mov_b32 s10, 0x55555780
	v_add_f64 v[12:13], v[14:15], -v[8:9]
	v_add_f64 v[14:15], v[4:5], -v[14:15]
	v_subrev_co_ci_u32_e32 v32, vcc_lo, 0, v16, vcc_lo
	s_delay_alu instid0(VALU_DEP_3) | instskip(SKIP_1) | instid1(VALU_DEP_3)
	v_add_f64 v[12:13], v[12:13], 1.0
	v_cmp_eq_f64_e32 vcc_lo, 0x7ff00000, v[4:5]
	v_sub_nc_u32_e32 v18, 0, v32
	s_delay_alu instid0(VALU_DEP_1) | instskip(NEXT) | instid1(VALU_DEP_4)
	v_ldexp_f64 v[8:9], v[8:9], v18
	v_add_f64 v[12:13], v[14:15], v[12:13]
	s_delay_alu instid0(VALU_DEP_2) | instskip(SKIP_1) | instid1(VALU_DEP_3)
	v_add_f64 v[16:17], v[8:9], 1.0
	v_add_f64 v[22:23], v[8:9], -1.0
	v_ldexp_f64 v[12:13], v[12:13], v18
	s_delay_alu instid0(VALU_DEP_3) | instskip(NEXT) | instid1(VALU_DEP_3)
	v_add_f64 v[14:15], v[16:17], -1.0
	v_add_f64 v[24:25], v[22:23], 1.0
	s_delay_alu instid0(VALU_DEP_2) | instskip(NEXT) | instid1(VALU_DEP_2)
	v_add_f64 v[14:15], v[8:9], -v[14:15]
	v_add_f64 v[8:9], v[8:9], -v[24:25]
	s_delay_alu instid0(VALU_DEP_2) | instskip(NEXT) | instid1(VALU_DEP_2)
	v_add_f64 v[14:15], v[12:13], v[14:15]
	v_add_f64 v[8:9], v[12:13], v[8:9]
	s_delay_alu instid0(VALU_DEP_2) | instskip(NEXT) | instid1(VALU_DEP_2)
	v_add_f64 v[18:19], v[16:17], v[14:15]
	v_add_f64 v[24:25], v[22:23], v[8:9]
	s_delay_alu instid0(VALU_DEP_2) | instskip(SKIP_1) | instid1(VALU_DEP_2)
	v_rcp_f64_e32 v[20:21], v[18:19]
	v_add_f64 v[16:17], v[18:19], -v[16:17]
	v_add_f64 v[22:23], v[24:25], -v[22:23]
	s_delay_alu instid0(VALU_DEP_2) | instskip(SKIP_3) | instid1(VALU_DEP_2)
	v_add_f64 v[14:15], v[14:15], -v[16:17]
	s_waitcnt_depctr 0xfff
	v_fma_f64 v[26:27], -v[18:19], v[20:21], 1.0
	v_add_f64 v[8:9], v[8:9], -v[22:23]
	v_fma_f64 v[20:21], v[26:27], v[20:21], v[20:21]
	s_delay_alu instid0(VALU_DEP_1) | instskip(NEXT) | instid1(VALU_DEP_1)
	v_fma_f64 v[12:13], -v[18:19], v[20:21], 1.0
	v_fma_f64 v[12:13], v[12:13], v[20:21], v[20:21]
	s_delay_alu instid0(VALU_DEP_1) | instskip(NEXT) | instid1(VALU_DEP_1)
	v_mul_f64 v[20:21], v[24:25], v[12:13]
	v_mul_f64 v[26:27], v[18:19], v[20:21]
	s_delay_alu instid0(VALU_DEP_1) | instskip(NEXT) | instid1(VALU_DEP_1)
	v_fma_f64 v[16:17], v[20:21], v[18:19], -v[26:27]
	v_fma_f64 v[16:17], v[20:21], v[14:15], v[16:17]
	s_delay_alu instid0(VALU_DEP_1) | instskip(NEXT) | instid1(VALU_DEP_1)
	v_add_f64 v[28:29], v[26:27], v[16:17]
	v_add_f64 v[30:31], v[24:25], -v[28:29]
	v_add_f64 v[22:23], v[28:29], -v[26:27]
	s_delay_alu instid0(VALU_DEP_2) | instskip(NEXT) | instid1(VALU_DEP_2)
	v_add_f64 v[24:25], v[24:25], -v[30:31]
	v_add_f64 v[16:17], v[22:23], -v[16:17]
	s_delay_alu instid0(VALU_DEP_2) | instskip(NEXT) | instid1(VALU_DEP_1)
	v_add_f64 v[24:25], v[24:25], -v[28:29]
	v_add_f64 v[8:9], v[8:9], v[24:25]
	s_delay_alu instid0(VALU_DEP_1) | instskip(NEXT) | instid1(VALU_DEP_1)
	v_add_f64 v[8:9], v[16:17], v[8:9]
	v_add_f64 v[16:17], v[30:31], v[8:9]
	s_delay_alu instid0(VALU_DEP_1) | instskip(SKIP_1) | instid1(VALU_DEP_2)
	v_mul_f64 v[22:23], v[12:13], v[16:17]
	v_add_f64 v[28:29], v[30:31], -v[16:17]
	v_mul_f64 v[24:25], v[18:19], v[22:23]
	s_delay_alu instid0(VALU_DEP_2) | instskip(NEXT) | instid1(VALU_DEP_2)
	v_add_f64 v[8:9], v[8:9], v[28:29]
	v_fma_f64 v[18:19], v[22:23], v[18:19], -v[24:25]
	s_delay_alu instid0(VALU_DEP_1) | instskip(NEXT) | instid1(VALU_DEP_1)
	v_fma_f64 v[14:15], v[22:23], v[14:15], v[18:19]
	v_add_f64 v[18:19], v[24:25], v[14:15]
	s_delay_alu instid0(VALU_DEP_1) | instskip(SKIP_1) | instid1(VALU_DEP_2)
	v_add_f64 v[26:27], v[16:17], -v[18:19]
	v_add_f64 v[24:25], v[18:19], -v[24:25]
	;; [unrolled: 1-line block ×3, first 2 shown]
	s_delay_alu instid0(VALU_DEP_2) | instskip(NEXT) | instid1(VALU_DEP_2)
	v_add_f64 v[14:15], v[24:25], -v[14:15]
	v_add_f64 v[16:17], v[16:17], -v[18:19]
	s_delay_alu instid0(VALU_DEP_1) | instskip(SKIP_1) | instid1(VALU_DEP_2)
	v_add_f64 v[8:9], v[8:9], v[16:17]
	v_add_f64 v[16:17], v[20:21], v[22:23]
	;; [unrolled: 1-line block ×3, first 2 shown]
	s_delay_alu instid0(VALU_DEP_2) | instskip(NEXT) | instid1(VALU_DEP_2)
	v_add_f64 v[14:15], v[16:17], -v[20:21]
	v_add_f64 v[8:9], v[26:27], v[8:9]
	s_delay_alu instid0(VALU_DEP_2) | instskip(NEXT) | instid1(VALU_DEP_2)
	v_add_f64 v[14:15], v[22:23], -v[14:15]
	v_mul_f64 v[8:9], v[12:13], v[8:9]
	s_delay_alu instid0(VALU_DEP_1) | instskip(NEXT) | instid1(VALU_DEP_1)
	v_add_f64 v[8:9], v[14:15], v[8:9]
	v_add_f64 v[12:13], v[16:17], v[8:9]
	s_delay_alu instid0(VALU_DEP_1) | instskip(NEXT) | instid1(VALU_DEP_1)
	v_mul_f64 v[14:15], v[12:13], v[12:13]
	v_fma_f64 v[18:19], v[14:15], s[16:17], s[14:15]
	s_mov_b32 s14, 0xd7f4df2e
	s_mov_b32 s15, 0x3fc7474d
	v_mul_f64 v[20:21], v[12:13], v[14:15]
	s_delay_alu instid0(VALU_DEP_2)
	v_fma_f64 v[18:19], v[14:15], v[18:19], s[14:15]
	s_mov_b32 s14, 0x16291751
	s_mov_b32 s15, 0x3fcc71c0
	s_delay_alu instid0(VALU_DEP_1) | instid1(SALU_CYCLE_1)
	v_fma_f64 v[18:19], v[14:15], v[18:19], s[14:15]
	s_mov_b32 s14, 0x9b27acf1
	s_mov_b32 s15, 0x3fd24924
	s_delay_alu instid0(VALU_DEP_1) | instid1(SALU_CYCLE_1)
	;; [unrolled: 4-line block ×3, first 2 shown]
	v_fma_f64 v[18:19], v[14:15], v[18:19], s[14:15]
	s_delay_alu instid0(VALU_DEP_1) | instskip(SKIP_2) | instid1(VALU_DEP_3)
	v_fma_f64 v[14:15], v[14:15], v[18:19], s[10:11]
	v_ldexp_f64 v[18:19], v[12:13], 1
	v_add_f64 v[12:13], v[12:13], -v[16:17]
	v_mul_f64 v[14:15], v[20:21], v[14:15]
	v_cvt_f64_i32_e32 v[20:21], v32
	s_delay_alu instid0(VALU_DEP_3) | instskip(NEXT) | instid1(VALU_DEP_3)
	v_add_f64 v[8:9], v[8:9], -v[12:13]
	v_add_f64 v[16:17], v[18:19], v[14:15]
	s_delay_alu instid0(VALU_DEP_3) | instskip(NEXT) | instid1(VALU_DEP_3)
	v_mul_f64 v[22:23], v[20:21], s[6:7]
	v_ldexp_f64 v[8:9], v[8:9], 1
	s_delay_alu instid0(VALU_DEP_3) | instskip(NEXT) | instid1(VALU_DEP_3)
	v_add_f64 v[12:13], v[16:17], -v[18:19]
	v_fma_f64 v[18:19], v[20:21], s[6:7], -v[22:23]
	s_delay_alu instid0(VALU_DEP_2) | instskip(NEXT) | instid1(VALU_DEP_2)
	v_add_f64 v[12:13], v[14:15], -v[12:13]
	v_fma_f64 v[14:15], v[20:21], s[8:9], v[18:19]
	s_delay_alu instid0(VALU_DEP_2) | instskip(NEXT) | instid1(VALU_DEP_2)
	v_add_f64 v[8:9], v[8:9], v[12:13]
	v_add_f64 v[12:13], v[22:23], v[14:15]
	s_delay_alu instid0(VALU_DEP_2) | instskip(NEXT) | instid1(VALU_DEP_2)
	v_add_f64 v[18:19], v[16:17], v[8:9]
	v_add_f64 v[22:23], v[12:13], -v[22:23]
	s_delay_alu instid0(VALU_DEP_2) | instskip(SKIP_1) | instid1(VALU_DEP_3)
	v_add_f64 v[20:21], v[12:13], v[18:19]
	v_add_f64 v[16:17], v[18:19], -v[16:17]
	v_add_f64 v[14:15], v[14:15], -v[22:23]
	s_delay_alu instid0(VALU_DEP_3) | instskip(NEXT) | instid1(VALU_DEP_3)
	v_add_f64 v[24:25], v[20:21], -v[12:13]
	v_add_f64 v[8:9], v[8:9], -v[16:17]
	s_delay_alu instid0(VALU_DEP_2) | instskip(SKIP_1) | instid1(VALU_DEP_3)
	v_add_f64 v[26:27], v[20:21], -v[24:25]
	v_add_f64 v[16:17], v[18:19], -v[24:25]
	v_add_f64 v[18:19], v[14:15], v[8:9]
	s_delay_alu instid0(VALU_DEP_3) | instskip(NEXT) | instid1(VALU_DEP_1)
	v_add_f64 v[12:13], v[12:13], -v[26:27]
	v_add_f64 v[12:13], v[16:17], v[12:13]
	s_delay_alu instid0(VALU_DEP_3) | instskip(NEXT) | instid1(VALU_DEP_2)
	v_add_f64 v[16:17], v[18:19], -v[14:15]
	v_add_f64 v[12:13], v[18:19], v[12:13]
	s_delay_alu instid0(VALU_DEP_2) | instskip(SKIP_1) | instid1(VALU_DEP_3)
	v_add_f64 v[18:19], v[18:19], -v[16:17]
	v_add_f64 v[8:9], v[8:9], -v[16:17]
	v_add_f64 v[22:23], v[20:21], v[12:13]
	s_delay_alu instid0(VALU_DEP_3) | instskip(NEXT) | instid1(VALU_DEP_2)
	v_add_f64 v[14:15], v[14:15], -v[18:19]
	v_add_f64 v[16:17], v[22:23], -v[20:21]
	s_delay_alu instid0(VALU_DEP_2) | instskip(NEXT) | instid1(VALU_DEP_2)
	v_add_f64 v[8:9], v[8:9], v[14:15]
	v_add_f64 v[12:13], v[12:13], -v[16:17]
	s_delay_alu instid0(VALU_DEP_1) | instskip(NEXT) | instid1(VALU_DEP_1)
	v_add_f64 v[8:9], v[8:9], v[12:13]
	v_add_f64 v[8:9], v[22:23], v[8:9]
	s_delay_alu instid0(VALU_DEP_1) | instskip(SKIP_1) | instid1(VALU_DEP_2)
	v_dual_cndmask_b32 v9, v9, v5 :: v_dual_cndmask_b32 v8, v8, v4
	v_cmp_ngt_f64_e32 vcc_lo, -1.0, v[4:5]
	v_cndmask_b32_e32 v9, 0x7ff80000, v9, vcc_lo
	v_cmp_nge_f64_e32 vcc_lo, -1.0, v[4:5]
	s_delay_alu instid0(VALU_DEP_4) | instskip(SKIP_1) | instid1(VALU_DEP_4)
	v_cndmask_b32_e32 v8, 0, v8, vcc_lo
	v_cmp_neq_f64_e32 vcc_lo, -1.0, v[4:5]
	v_cndmask_b32_e32 v9, 0xfff00000, v9, vcc_lo
	s_delay_alu instid0(VALU_DEP_1)
	v_add_f64 v[4:5], v[6:7], v[8:9]
.LBB76_28:
	s_or_b32 exec_lo, exec_lo, s12
	v_max_f64 v[12:13], v[114:115], v[114:115]
	s_delay_alu instid0(VALU_DEP_2) | instskip(SKIP_2) | instid1(VALU_DEP_3)
	v_max_f64 v[6:7], v[4:5], v[4:5]
	v_cmp_u_f64_e32 vcc_lo, v[4:5], v[4:5]
	v_cmp_u_f64_e64 s5, v[114:115], v[114:115]
	v_min_f64 v[8:9], v[6:7], v[12:13]
	v_max_f64 v[6:7], v[6:7], v[12:13]
	s_delay_alu instid0(VALU_DEP_2) | instskip(NEXT) | instid1(VALU_DEP_2)
	v_dual_cndmask_b32 v8, v8, v4 :: v_dual_cndmask_b32 v9, v9, v5
	v_dual_cndmask_b32 v7, v7, v5 :: v_dual_cndmask_b32 v6, v6, v4
	s_delay_alu instid0(VALU_DEP_2) | instskip(NEXT) | instid1(VALU_DEP_3)
	v_cndmask_b32_e64 v8, v8, v114, s5
	v_cndmask_b32_e64 v9, v9, v115, s5
	s_delay_alu instid0(VALU_DEP_3) | instskip(NEXT) | instid1(VALU_DEP_4)
	v_cndmask_b32_e64 v7, v7, v115, s5
	v_cndmask_b32_e64 v6, v6, v114, s5
	s_delay_alu instid0(VALU_DEP_3) | instskip(NEXT) | instid1(VALU_DEP_2)
	v_cmp_class_f64_e64 s6, v[8:9], 0x1f8
	v_cmp_neq_f64_e32 vcc_lo, v[8:9], v[6:7]
	s_delay_alu instid0(VALU_DEP_2) | instskip(NEXT) | instid1(SALU_CYCLE_1)
	s_or_b32 s6, vcc_lo, s6
	s_and_saveexec_b32 s12, s6
	s_cbranch_execz .LBB76_30
; %bb.29:
	v_add_f64 v[4:5], v[8:9], -v[6:7]
	s_mov_b32 s6, 0x652b82fe
	s_mov_b32 s7, 0x3ff71547
	;; [unrolled: 1-line block ×10, first 2 shown]
	s_delay_alu instid0(VALU_DEP_1) | instskip(SKIP_3) | instid1(VALU_DEP_2)
	v_mul_f64 v[8:9], v[4:5], s[6:7]
	s_mov_b32 s6, 0xfca7ab0c
	s_mov_b32 s7, 0x3e928af3
	v_cmp_nlt_f64_e32 vcc_lo, 0x40900000, v[4:5]
	v_rndne_f64_e32 v[8:9], v[8:9]
	s_delay_alu instid0(VALU_DEP_1) | instskip(SKIP_2) | instid1(VALU_DEP_2)
	v_fma_f64 v[14:15], v[8:9], s[8:9], v[4:5]
	v_cvt_i32_f64_e32 v18, v[8:9]
	s_mov_b32 s9, 0x3fe62e42
	v_fma_f64 v[14:15], v[8:9], s[10:11], v[14:15]
	s_mov_b32 s11, 0x3c7abc9e
	s_delay_alu instid0(VALU_DEP_1) | instskip(SKIP_4) | instid1(VALU_DEP_1)
	v_fma_f64 v[16:17], v[14:15], s[14:15], s[6:7]
	s_mov_b32 s6, 0x623fde64
	s_mov_b32 s7, 0x3ec71dee
	;; [unrolled: 1-line block ×4, first 2 shown]
	v_fma_f64 v[16:17], v[14:15], v[16:17], s[6:7]
	s_mov_b32 s6, 0x7c89e6b0
	s_mov_b32 s7, 0x3efa0199
	s_delay_alu instid0(VALU_DEP_1) | instid1(SALU_CYCLE_1)
	v_fma_f64 v[16:17], v[14:15], v[16:17], s[6:7]
	s_mov_b32 s6, 0x14761f6e
	s_mov_b32 s7, 0x3f2a01a0
	s_delay_alu instid0(VALU_DEP_1) | instid1(SALU_CYCLE_1)
	;; [unrolled: 4-line block ×7, first 2 shown]
	v_fma_f64 v[16:17], v[14:15], v[16:17], s[6:7]
	v_cmp_ngt_f64_e64 s6, 0xc090cc00, v[4:5]
	s_mov_b32 s7, 0x3fe55555
	s_delay_alu instid0(VALU_DEP_2) | instskip(NEXT) | instid1(VALU_DEP_1)
	v_fma_f64 v[16:17], v[14:15], v[16:17], 1.0
	v_fma_f64 v[8:9], v[14:15], v[16:17], 1.0
	s_delay_alu instid0(VALU_DEP_1) | instskip(NEXT) | instid1(VALU_DEP_1)
	v_ldexp_f64 v[8:9], v[8:9], v18
	v_cndmask_b32_e32 v9, 0x7ff00000, v9, vcc_lo
	s_and_b32 vcc_lo, s6, vcc_lo
	s_delay_alu instid0(VALU_DEP_1) | instskip(NEXT) | instid1(VALU_DEP_3)
	v_cndmask_b32_e64 v5, 0, v9, s6
	v_cndmask_b32_e32 v4, 0, v8, vcc_lo
	s_mov_b32 s6, 0x55555555
	s_delay_alu instid0(VALU_DEP_1) | instskip(NEXT) | instid1(VALU_DEP_1)
	v_add_f64 v[8:9], v[4:5], 1.0
	v_frexp_mant_f64_e32 v[14:15], v[8:9]
	v_frexp_exp_i32_f64_e32 v18, v[8:9]
	v_add_f64 v[16:17], v[8:9], -1.0
	s_delay_alu instid0(VALU_DEP_3) | instskip(SKIP_1) | instid1(VALU_DEP_2)
	v_cmp_gt_f64_e32 vcc_lo, s[6:7], v[14:15]
	s_mov_b32 s6, 0x55555780
	v_add_f64 v[14:15], v[16:17], -v[8:9]
	v_add_f64 v[16:17], v[4:5], -v[16:17]
	v_subrev_co_ci_u32_e32 v34, vcc_lo, 0, v18, vcc_lo
	s_delay_alu instid0(VALU_DEP_3) | instskip(SKIP_1) | instid1(VALU_DEP_3)
	v_add_f64 v[14:15], v[14:15], 1.0
	v_cmp_eq_f64_e32 vcc_lo, 0x7ff00000, v[4:5]
	v_sub_nc_u32_e32 v20, 0, v34
	s_delay_alu instid0(VALU_DEP_1) | instskip(NEXT) | instid1(VALU_DEP_4)
	v_ldexp_f64 v[8:9], v[8:9], v20
	v_add_f64 v[14:15], v[16:17], v[14:15]
	s_delay_alu instid0(VALU_DEP_2) | instskip(SKIP_1) | instid1(VALU_DEP_3)
	v_add_f64 v[18:19], v[8:9], 1.0
	v_add_f64 v[24:25], v[8:9], -1.0
	v_ldexp_f64 v[14:15], v[14:15], v20
	s_delay_alu instid0(VALU_DEP_3) | instskip(NEXT) | instid1(VALU_DEP_3)
	v_add_f64 v[16:17], v[18:19], -1.0
	v_add_f64 v[26:27], v[24:25], 1.0
	s_delay_alu instid0(VALU_DEP_2) | instskip(NEXT) | instid1(VALU_DEP_2)
	v_add_f64 v[16:17], v[8:9], -v[16:17]
	v_add_f64 v[8:9], v[8:9], -v[26:27]
	s_delay_alu instid0(VALU_DEP_2) | instskip(NEXT) | instid1(VALU_DEP_2)
	v_add_f64 v[16:17], v[14:15], v[16:17]
	v_add_f64 v[8:9], v[14:15], v[8:9]
	s_delay_alu instid0(VALU_DEP_2) | instskip(NEXT) | instid1(VALU_DEP_2)
	v_add_f64 v[20:21], v[18:19], v[16:17]
	v_add_f64 v[26:27], v[24:25], v[8:9]
	s_delay_alu instid0(VALU_DEP_2) | instskip(SKIP_1) | instid1(VALU_DEP_2)
	v_rcp_f64_e32 v[22:23], v[20:21]
	v_add_f64 v[18:19], v[20:21], -v[18:19]
	v_add_f64 v[24:25], v[26:27], -v[24:25]
	s_delay_alu instid0(VALU_DEP_2) | instskip(SKIP_3) | instid1(VALU_DEP_2)
	v_add_f64 v[16:17], v[16:17], -v[18:19]
	s_waitcnt_depctr 0xfff
	v_fma_f64 v[28:29], -v[20:21], v[22:23], 1.0
	v_add_f64 v[8:9], v[8:9], -v[24:25]
	v_fma_f64 v[22:23], v[28:29], v[22:23], v[22:23]
	s_delay_alu instid0(VALU_DEP_1) | instskip(NEXT) | instid1(VALU_DEP_1)
	v_fma_f64 v[14:15], -v[20:21], v[22:23], 1.0
	v_fma_f64 v[14:15], v[14:15], v[22:23], v[22:23]
	s_delay_alu instid0(VALU_DEP_1) | instskip(NEXT) | instid1(VALU_DEP_1)
	v_mul_f64 v[22:23], v[26:27], v[14:15]
	v_mul_f64 v[28:29], v[20:21], v[22:23]
	s_delay_alu instid0(VALU_DEP_1) | instskip(NEXT) | instid1(VALU_DEP_1)
	v_fma_f64 v[18:19], v[22:23], v[20:21], -v[28:29]
	v_fma_f64 v[18:19], v[22:23], v[16:17], v[18:19]
	s_delay_alu instid0(VALU_DEP_1) | instskip(NEXT) | instid1(VALU_DEP_1)
	v_add_f64 v[30:31], v[28:29], v[18:19]
	v_add_f64 v[32:33], v[26:27], -v[30:31]
	v_add_f64 v[24:25], v[30:31], -v[28:29]
	s_delay_alu instid0(VALU_DEP_2) | instskip(NEXT) | instid1(VALU_DEP_2)
	v_add_f64 v[26:27], v[26:27], -v[32:33]
	v_add_f64 v[18:19], v[24:25], -v[18:19]
	s_delay_alu instid0(VALU_DEP_2) | instskip(NEXT) | instid1(VALU_DEP_1)
	v_add_f64 v[26:27], v[26:27], -v[30:31]
	v_add_f64 v[8:9], v[8:9], v[26:27]
	s_delay_alu instid0(VALU_DEP_1) | instskip(NEXT) | instid1(VALU_DEP_1)
	v_add_f64 v[8:9], v[18:19], v[8:9]
	v_add_f64 v[18:19], v[32:33], v[8:9]
	s_delay_alu instid0(VALU_DEP_1) | instskip(SKIP_1) | instid1(VALU_DEP_2)
	v_mul_f64 v[24:25], v[14:15], v[18:19]
	v_add_f64 v[30:31], v[32:33], -v[18:19]
	v_mul_f64 v[26:27], v[20:21], v[24:25]
	s_delay_alu instid0(VALU_DEP_2) | instskip(NEXT) | instid1(VALU_DEP_2)
	v_add_f64 v[8:9], v[8:9], v[30:31]
	v_fma_f64 v[20:21], v[24:25], v[20:21], -v[26:27]
	s_delay_alu instid0(VALU_DEP_1) | instskip(NEXT) | instid1(VALU_DEP_1)
	v_fma_f64 v[16:17], v[24:25], v[16:17], v[20:21]
	v_add_f64 v[20:21], v[26:27], v[16:17]
	s_delay_alu instid0(VALU_DEP_1) | instskip(SKIP_1) | instid1(VALU_DEP_2)
	v_add_f64 v[28:29], v[18:19], -v[20:21]
	v_add_f64 v[26:27], v[20:21], -v[26:27]
	;; [unrolled: 1-line block ×3, first 2 shown]
	s_delay_alu instid0(VALU_DEP_2) | instskip(NEXT) | instid1(VALU_DEP_2)
	v_add_f64 v[16:17], v[26:27], -v[16:17]
	v_add_f64 v[18:19], v[18:19], -v[20:21]
	s_delay_alu instid0(VALU_DEP_1) | instskip(SKIP_1) | instid1(VALU_DEP_2)
	v_add_f64 v[8:9], v[8:9], v[18:19]
	v_add_f64 v[18:19], v[22:23], v[24:25]
	;; [unrolled: 1-line block ×3, first 2 shown]
	s_delay_alu instid0(VALU_DEP_2) | instskip(NEXT) | instid1(VALU_DEP_2)
	v_add_f64 v[16:17], v[18:19], -v[22:23]
	v_add_f64 v[8:9], v[28:29], v[8:9]
	s_delay_alu instid0(VALU_DEP_2) | instskip(NEXT) | instid1(VALU_DEP_2)
	v_add_f64 v[16:17], v[24:25], -v[16:17]
	v_mul_f64 v[8:9], v[14:15], v[8:9]
	s_delay_alu instid0(VALU_DEP_1) | instskip(NEXT) | instid1(VALU_DEP_1)
	v_add_f64 v[8:9], v[16:17], v[8:9]
	v_add_f64 v[14:15], v[18:19], v[8:9]
	s_delay_alu instid0(VALU_DEP_1) | instskip(NEXT) | instid1(VALU_DEP_1)
	v_mul_f64 v[16:17], v[14:15], v[14:15]
	v_fma_f64 v[20:21], v[16:17], s[16:17], s[14:15]
	s_mov_b32 s14, 0xd7f4df2e
	s_mov_b32 s15, 0x3fc7474d
	v_mul_f64 v[22:23], v[14:15], v[16:17]
	s_delay_alu instid0(VALU_DEP_2)
	v_fma_f64 v[20:21], v[16:17], v[20:21], s[14:15]
	s_mov_b32 s14, 0x16291751
	s_mov_b32 s15, 0x3fcc71c0
	s_delay_alu instid0(VALU_DEP_1) | instid1(SALU_CYCLE_1)
	v_fma_f64 v[20:21], v[16:17], v[20:21], s[14:15]
	s_mov_b32 s14, 0x9b27acf1
	s_mov_b32 s15, 0x3fd24924
	s_delay_alu instid0(VALU_DEP_1) | instid1(SALU_CYCLE_1)
	;; [unrolled: 4-line block ×3, first 2 shown]
	v_fma_f64 v[20:21], v[16:17], v[20:21], s[14:15]
	s_delay_alu instid0(VALU_DEP_1) | instskip(SKIP_2) | instid1(VALU_DEP_3)
	v_fma_f64 v[16:17], v[16:17], v[20:21], s[6:7]
	v_ldexp_f64 v[20:21], v[14:15], 1
	v_add_f64 v[14:15], v[14:15], -v[18:19]
	v_mul_f64 v[16:17], v[22:23], v[16:17]
	v_cvt_f64_i32_e32 v[22:23], v34
	s_delay_alu instid0(VALU_DEP_3) | instskip(NEXT) | instid1(VALU_DEP_3)
	v_add_f64 v[8:9], v[8:9], -v[14:15]
	v_add_f64 v[18:19], v[20:21], v[16:17]
	s_delay_alu instid0(VALU_DEP_3) | instskip(NEXT) | instid1(VALU_DEP_3)
	v_mul_f64 v[24:25], v[22:23], s[8:9]
	v_ldexp_f64 v[8:9], v[8:9], 1
	s_delay_alu instid0(VALU_DEP_3) | instskip(NEXT) | instid1(VALU_DEP_3)
	v_add_f64 v[14:15], v[18:19], -v[20:21]
	v_fma_f64 v[20:21], v[22:23], s[8:9], -v[24:25]
	s_delay_alu instid0(VALU_DEP_2) | instskip(NEXT) | instid1(VALU_DEP_2)
	v_add_f64 v[14:15], v[16:17], -v[14:15]
	v_fma_f64 v[16:17], v[22:23], s[10:11], v[20:21]
	s_delay_alu instid0(VALU_DEP_2) | instskip(NEXT) | instid1(VALU_DEP_2)
	v_add_f64 v[8:9], v[8:9], v[14:15]
	v_add_f64 v[14:15], v[24:25], v[16:17]
	s_delay_alu instid0(VALU_DEP_2) | instskip(NEXT) | instid1(VALU_DEP_2)
	v_add_f64 v[20:21], v[18:19], v[8:9]
	v_add_f64 v[24:25], v[14:15], -v[24:25]
	s_delay_alu instid0(VALU_DEP_2) | instskip(SKIP_1) | instid1(VALU_DEP_3)
	v_add_f64 v[22:23], v[14:15], v[20:21]
	v_add_f64 v[18:19], v[20:21], -v[18:19]
	v_add_f64 v[16:17], v[16:17], -v[24:25]
	s_delay_alu instid0(VALU_DEP_3) | instskip(NEXT) | instid1(VALU_DEP_3)
	v_add_f64 v[26:27], v[22:23], -v[14:15]
	v_add_f64 v[8:9], v[8:9], -v[18:19]
	s_delay_alu instid0(VALU_DEP_2) | instskip(SKIP_1) | instid1(VALU_DEP_3)
	v_add_f64 v[28:29], v[22:23], -v[26:27]
	v_add_f64 v[18:19], v[20:21], -v[26:27]
	v_add_f64 v[20:21], v[16:17], v[8:9]
	s_delay_alu instid0(VALU_DEP_3) | instskip(NEXT) | instid1(VALU_DEP_1)
	v_add_f64 v[14:15], v[14:15], -v[28:29]
	v_add_f64 v[14:15], v[18:19], v[14:15]
	s_delay_alu instid0(VALU_DEP_3) | instskip(NEXT) | instid1(VALU_DEP_2)
	v_add_f64 v[18:19], v[20:21], -v[16:17]
	v_add_f64 v[14:15], v[20:21], v[14:15]
	s_delay_alu instid0(VALU_DEP_2) | instskip(SKIP_1) | instid1(VALU_DEP_3)
	v_add_f64 v[20:21], v[20:21], -v[18:19]
	v_add_f64 v[8:9], v[8:9], -v[18:19]
	v_add_f64 v[24:25], v[22:23], v[14:15]
	s_delay_alu instid0(VALU_DEP_3) | instskip(NEXT) | instid1(VALU_DEP_2)
	v_add_f64 v[16:17], v[16:17], -v[20:21]
	v_add_f64 v[18:19], v[24:25], -v[22:23]
	s_delay_alu instid0(VALU_DEP_2) | instskip(NEXT) | instid1(VALU_DEP_2)
	v_add_f64 v[8:9], v[8:9], v[16:17]
	v_add_f64 v[14:15], v[14:15], -v[18:19]
	s_delay_alu instid0(VALU_DEP_1) | instskip(NEXT) | instid1(VALU_DEP_1)
	v_add_f64 v[8:9], v[8:9], v[14:15]
	v_add_f64 v[8:9], v[24:25], v[8:9]
	s_delay_alu instid0(VALU_DEP_1) | instskip(SKIP_1) | instid1(VALU_DEP_2)
	v_dual_cndmask_b32 v9, v9, v5 :: v_dual_cndmask_b32 v8, v8, v4
	v_cmp_ngt_f64_e32 vcc_lo, -1.0, v[4:5]
	v_cndmask_b32_e32 v9, 0x7ff80000, v9, vcc_lo
	v_cmp_nge_f64_e32 vcc_lo, -1.0, v[4:5]
	s_delay_alu instid0(VALU_DEP_4) | instskip(SKIP_1) | instid1(VALU_DEP_4)
	v_cndmask_b32_e32 v8, 0, v8, vcc_lo
	v_cmp_neq_f64_e32 vcc_lo, -1.0, v[4:5]
	v_cndmask_b32_e32 v9, 0xfff00000, v9, vcc_lo
	s_delay_alu instid0(VALU_DEP_1)
	v_add_f64 v[4:5], v[6:7], v[8:9]
.LBB76_30:
	s_or_b32 exec_lo, exec_lo, s12
	v_max_f64 v[14:15], v[100:101], v[100:101]
	s_delay_alu instid0(VALU_DEP_2) | instskip(SKIP_2) | instid1(VALU_DEP_3)
	v_max_f64 v[6:7], v[4:5], v[4:5]
	v_cmp_u_f64_e32 vcc_lo, v[4:5], v[4:5]
	v_cmp_u_f64_e64 s6, v[100:101], v[100:101]
	v_min_f64 v[8:9], v[6:7], v[14:15]
	v_max_f64 v[6:7], v[6:7], v[14:15]
	s_delay_alu instid0(VALU_DEP_2) | instskip(NEXT) | instid1(VALU_DEP_2)
	v_dual_cndmask_b32 v8, v8, v4 :: v_dual_cndmask_b32 v9, v9, v5
	v_dual_cndmask_b32 v7, v7, v5 :: v_dual_cndmask_b32 v6, v6, v4
	s_delay_alu instid0(VALU_DEP_2) | instskip(NEXT) | instid1(VALU_DEP_3)
	v_cndmask_b32_e64 v8, v8, v100, s6
	v_cndmask_b32_e64 v9, v9, v101, s6
	s_delay_alu instid0(VALU_DEP_3) | instskip(NEXT) | instid1(VALU_DEP_4)
	v_cndmask_b32_e64 v7, v7, v101, s6
	v_cndmask_b32_e64 v6, v6, v100, s6
	s_delay_alu instid0(VALU_DEP_3) | instskip(NEXT) | instid1(VALU_DEP_2)
	v_cmp_class_f64_e64 s7, v[8:9], 0x1f8
	v_cmp_neq_f64_e32 vcc_lo, v[8:9], v[6:7]
	s_delay_alu instid0(VALU_DEP_2) | instskip(NEXT) | instid1(SALU_CYCLE_1)
	s_or_b32 s7, vcc_lo, s7
	s_and_saveexec_b32 s14, s7
	s_cbranch_execz .LBB76_32
; %bb.31:
	v_add_f64 v[4:5], v[8:9], -v[6:7]
	s_mov_b32 s8, 0x652b82fe
	s_mov_b32 s9, 0x3ff71547
	;; [unrolled: 1-line block ×10, first 2 shown]
	s_delay_alu instid0(VALU_DEP_1) | instskip(SKIP_4) | instid1(VALU_DEP_3)
	v_mul_f64 v[8:9], v[4:5], s[8:9]
	s_mov_b32 s9, 0xbfe62e42
	s_mov_b32 s8, 0xfefa39ef
	v_cmp_nlt_f64_e32 vcc_lo, 0x40900000, v[4:5]
	v_cmp_ngt_f64_e64 s7, 0xc090cc00, v[4:5]
	v_rndne_f64_e32 v[8:9], v[8:9]
	s_delay_alu instid0(VALU_DEP_1) | instskip(SKIP_2) | instid1(VALU_DEP_2)
	v_fma_f64 v[16:17], v[8:9], s[8:9], v[4:5]
	v_cvt_i32_f64_e32 v20, v[8:9]
	s_mov_b32 s9, 0x3fe62e42
	v_fma_f64 v[16:17], v[8:9], s[10:11], v[16:17]
	s_mov_b32 s11, 0x3c7abc9e
	s_delay_alu instid0(VALU_DEP_1) | instskip(SKIP_4) | instid1(VALU_DEP_1)
	v_fma_f64 v[18:19], v[16:17], s[16:17], s[12:13]
	s_mov_b32 s12, 0x623fde64
	s_mov_b32 s13, 0x3ec71dee
	;; [unrolled: 1-line block ×4, first 2 shown]
	v_fma_f64 v[18:19], v[16:17], v[18:19], s[12:13]
	s_mov_b32 s12, 0x7c89e6b0
	s_mov_b32 s13, 0x3efa0199
	s_delay_alu instid0(VALU_DEP_1) | instid1(SALU_CYCLE_1)
	v_fma_f64 v[18:19], v[16:17], v[18:19], s[12:13]
	s_mov_b32 s12, 0x14761f6e
	s_mov_b32 s13, 0x3f2a01a0
	s_delay_alu instid0(VALU_DEP_1) | instid1(SALU_CYCLE_1)
	;; [unrolled: 4-line block ×7, first 2 shown]
	v_fma_f64 v[18:19], v[16:17], v[18:19], s[12:13]
	s_mov_b32 s13, 0x3fe55555
	s_mov_b32 s12, 0x55555555
	s_delay_alu instid0(VALU_DEP_1) | instskip(NEXT) | instid1(VALU_DEP_1)
	v_fma_f64 v[18:19], v[16:17], v[18:19], 1.0
	v_fma_f64 v[8:9], v[16:17], v[18:19], 1.0
	s_delay_alu instid0(VALU_DEP_1) | instskip(NEXT) | instid1(VALU_DEP_1)
	v_ldexp_f64 v[8:9], v[8:9], v20
	v_cndmask_b32_e32 v9, 0x7ff00000, v9, vcc_lo
	s_and_b32 vcc_lo, s7, vcc_lo
	s_delay_alu instid0(VALU_DEP_1) | instskip(NEXT) | instid1(VALU_DEP_3)
	v_cndmask_b32_e64 v5, 0, v9, s7
	v_cndmask_b32_e32 v4, 0, v8, vcc_lo
	s_delay_alu instid0(VALU_DEP_1) | instskip(NEXT) | instid1(VALU_DEP_1)
	v_add_f64 v[8:9], v[4:5], 1.0
	v_frexp_mant_f64_e32 v[16:17], v[8:9]
	v_frexp_exp_i32_f64_e32 v20, v[8:9]
	v_add_f64 v[18:19], v[8:9], -1.0
	s_delay_alu instid0(VALU_DEP_3) | instskip(SKIP_1) | instid1(VALU_DEP_2)
	v_cmp_gt_f64_e32 vcc_lo, s[12:13], v[16:17]
	s_mov_b32 s12, 0x55555780
	v_add_f64 v[16:17], v[18:19], -v[8:9]
	v_add_f64 v[18:19], v[4:5], -v[18:19]
	v_subrev_co_ci_u32_e32 v131, vcc_lo, 0, v20, vcc_lo
	s_delay_alu instid0(VALU_DEP_3) | instskip(SKIP_1) | instid1(VALU_DEP_3)
	v_add_f64 v[16:17], v[16:17], 1.0
	v_cmp_eq_f64_e32 vcc_lo, 0x7ff00000, v[4:5]
	v_sub_nc_u32_e32 v22, 0, v131
	s_delay_alu instid0(VALU_DEP_1) | instskip(NEXT) | instid1(VALU_DEP_4)
	v_ldexp_f64 v[8:9], v[8:9], v22
	v_add_f64 v[16:17], v[18:19], v[16:17]
	s_delay_alu instid0(VALU_DEP_2) | instskip(SKIP_1) | instid1(VALU_DEP_3)
	v_add_f64 v[20:21], v[8:9], 1.0
	v_add_f64 v[26:27], v[8:9], -1.0
	v_ldexp_f64 v[16:17], v[16:17], v22
	s_delay_alu instid0(VALU_DEP_3) | instskip(NEXT) | instid1(VALU_DEP_3)
	v_add_f64 v[18:19], v[20:21], -1.0
	v_add_f64 v[28:29], v[26:27], 1.0
	s_delay_alu instid0(VALU_DEP_2) | instskip(NEXT) | instid1(VALU_DEP_2)
	v_add_f64 v[18:19], v[8:9], -v[18:19]
	v_add_f64 v[8:9], v[8:9], -v[28:29]
	s_delay_alu instid0(VALU_DEP_2) | instskip(NEXT) | instid1(VALU_DEP_2)
	v_add_f64 v[18:19], v[16:17], v[18:19]
	v_add_f64 v[8:9], v[16:17], v[8:9]
	s_delay_alu instid0(VALU_DEP_2) | instskip(NEXT) | instid1(VALU_DEP_2)
	v_add_f64 v[22:23], v[20:21], v[18:19]
	v_add_f64 v[28:29], v[26:27], v[8:9]
	s_delay_alu instid0(VALU_DEP_2) | instskip(SKIP_1) | instid1(VALU_DEP_2)
	v_rcp_f64_e32 v[24:25], v[22:23]
	v_add_f64 v[20:21], v[22:23], -v[20:21]
	v_add_f64 v[26:27], v[28:29], -v[26:27]
	s_delay_alu instid0(VALU_DEP_2) | instskip(SKIP_3) | instid1(VALU_DEP_2)
	v_add_f64 v[18:19], v[18:19], -v[20:21]
	s_waitcnt_depctr 0xfff
	v_fma_f64 v[30:31], -v[22:23], v[24:25], 1.0
	v_add_f64 v[8:9], v[8:9], -v[26:27]
	v_fma_f64 v[24:25], v[30:31], v[24:25], v[24:25]
	s_delay_alu instid0(VALU_DEP_1) | instskip(NEXT) | instid1(VALU_DEP_1)
	v_fma_f64 v[16:17], -v[22:23], v[24:25], 1.0
	v_fma_f64 v[16:17], v[16:17], v[24:25], v[24:25]
	s_delay_alu instid0(VALU_DEP_1) | instskip(NEXT) | instid1(VALU_DEP_1)
	v_mul_f64 v[24:25], v[28:29], v[16:17]
	v_mul_f64 v[30:31], v[22:23], v[24:25]
	s_delay_alu instid0(VALU_DEP_1) | instskip(NEXT) | instid1(VALU_DEP_1)
	v_fma_f64 v[20:21], v[24:25], v[22:23], -v[30:31]
	v_fma_f64 v[20:21], v[24:25], v[18:19], v[20:21]
	s_delay_alu instid0(VALU_DEP_1) | instskip(NEXT) | instid1(VALU_DEP_1)
	v_add_f64 v[32:33], v[30:31], v[20:21]
	v_add_f64 v[34:35], v[28:29], -v[32:33]
	v_add_f64 v[26:27], v[32:33], -v[30:31]
	s_delay_alu instid0(VALU_DEP_2) | instskip(NEXT) | instid1(VALU_DEP_2)
	v_add_f64 v[28:29], v[28:29], -v[34:35]
	v_add_f64 v[20:21], v[26:27], -v[20:21]
	s_delay_alu instid0(VALU_DEP_2) | instskip(NEXT) | instid1(VALU_DEP_1)
	v_add_f64 v[28:29], v[28:29], -v[32:33]
	v_add_f64 v[8:9], v[8:9], v[28:29]
	s_delay_alu instid0(VALU_DEP_1) | instskip(NEXT) | instid1(VALU_DEP_1)
	v_add_f64 v[8:9], v[20:21], v[8:9]
	v_add_f64 v[20:21], v[34:35], v[8:9]
	s_delay_alu instid0(VALU_DEP_1) | instskip(SKIP_1) | instid1(VALU_DEP_2)
	v_mul_f64 v[26:27], v[16:17], v[20:21]
	v_add_f64 v[32:33], v[34:35], -v[20:21]
	v_mul_f64 v[28:29], v[22:23], v[26:27]
	s_delay_alu instid0(VALU_DEP_2) | instskip(NEXT) | instid1(VALU_DEP_2)
	v_add_f64 v[8:9], v[8:9], v[32:33]
	v_fma_f64 v[22:23], v[26:27], v[22:23], -v[28:29]
	s_delay_alu instid0(VALU_DEP_1) | instskip(NEXT) | instid1(VALU_DEP_1)
	v_fma_f64 v[18:19], v[26:27], v[18:19], v[22:23]
	v_add_f64 v[22:23], v[28:29], v[18:19]
	s_delay_alu instid0(VALU_DEP_1) | instskip(SKIP_1) | instid1(VALU_DEP_2)
	v_add_f64 v[30:31], v[20:21], -v[22:23]
	v_add_f64 v[28:29], v[22:23], -v[28:29]
	;; [unrolled: 1-line block ×3, first 2 shown]
	s_delay_alu instid0(VALU_DEP_2) | instskip(NEXT) | instid1(VALU_DEP_2)
	v_add_f64 v[18:19], v[28:29], -v[18:19]
	v_add_f64 v[20:21], v[20:21], -v[22:23]
	s_delay_alu instid0(VALU_DEP_1) | instskip(SKIP_1) | instid1(VALU_DEP_2)
	v_add_f64 v[8:9], v[8:9], v[20:21]
	v_add_f64 v[20:21], v[24:25], v[26:27]
	;; [unrolled: 1-line block ×3, first 2 shown]
	s_delay_alu instid0(VALU_DEP_2) | instskip(NEXT) | instid1(VALU_DEP_2)
	v_add_f64 v[18:19], v[20:21], -v[24:25]
	v_add_f64 v[8:9], v[30:31], v[8:9]
	s_delay_alu instid0(VALU_DEP_2) | instskip(NEXT) | instid1(VALU_DEP_2)
	v_add_f64 v[18:19], v[26:27], -v[18:19]
	v_mul_f64 v[8:9], v[16:17], v[8:9]
	s_delay_alu instid0(VALU_DEP_1) | instskip(NEXT) | instid1(VALU_DEP_1)
	v_add_f64 v[8:9], v[18:19], v[8:9]
	v_add_f64 v[16:17], v[20:21], v[8:9]
	s_delay_alu instid0(VALU_DEP_1) | instskip(NEXT) | instid1(VALU_DEP_1)
	v_mul_f64 v[18:19], v[16:17], v[16:17]
	v_fma_f64 v[22:23], v[18:19], s[20:21], s[16:17]
	s_mov_b32 s16, 0xd7f4df2e
	s_mov_b32 s17, 0x3fc7474d
	v_mul_f64 v[24:25], v[16:17], v[18:19]
	s_delay_alu instid0(VALU_DEP_2)
	v_fma_f64 v[22:23], v[18:19], v[22:23], s[16:17]
	s_mov_b32 s16, 0x16291751
	s_mov_b32 s17, 0x3fcc71c0
	s_delay_alu instid0(VALU_DEP_1) | instid1(SALU_CYCLE_1)
	v_fma_f64 v[22:23], v[18:19], v[22:23], s[16:17]
	s_mov_b32 s16, 0x9b27acf1
	s_mov_b32 s17, 0x3fd24924
	s_delay_alu instid0(VALU_DEP_1) | instid1(SALU_CYCLE_1)
	;; [unrolled: 4-line block ×3, first 2 shown]
	v_fma_f64 v[22:23], v[18:19], v[22:23], s[16:17]
	s_delay_alu instid0(VALU_DEP_1) | instskip(SKIP_2) | instid1(VALU_DEP_3)
	v_fma_f64 v[18:19], v[18:19], v[22:23], s[12:13]
	v_ldexp_f64 v[22:23], v[16:17], 1
	v_add_f64 v[16:17], v[16:17], -v[20:21]
	v_mul_f64 v[18:19], v[24:25], v[18:19]
	v_cvt_f64_i32_e32 v[24:25], v131
	s_delay_alu instid0(VALU_DEP_3) | instskip(NEXT) | instid1(VALU_DEP_3)
	v_add_f64 v[8:9], v[8:9], -v[16:17]
	v_add_f64 v[20:21], v[22:23], v[18:19]
	s_delay_alu instid0(VALU_DEP_3) | instskip(NEXT) | instid1(VALU_DEP_3)
	v_mul_f64 v[26:27], v[24:25], s[8:9]
	v_ldexp_f64 v[8:9], v[8:9], 1
	s_delay_alu instid0(VALU_DEP_3) | instskip(NEXT) | instid1(VALU_DEP_3)
	v_add_f64 v[16:17], v[20:21], -v[22:23]
	v_fma_f64 v[22:23], v[24:25], s[8:9], -v[26:27]
	s_delay_alu instid0(VALU_DEP_2) | instskip(NEXT) | instid1(VALU_DEP_2)
	v_add_f64 v[16:17], v[18:19], -v[16:17]
	v_fma_f64 v[18:19], v[24:25], s[10:11], v[22:23]
	s_delay_alu instid0(VALU_DEP_2) | instskip(NEXT) | instid1(VALU_DEP_2)
	v_add_f64 v[8:9], v[8:9], v[16:17]
	v_add_f64 v[16:17], v[26:27], v[18:19]
	s_delay_alu instid0(VALU_DEP_2) | instskip(NEXT) | instid1(VALU_DEP_2)
	v_add_f64 v[22:23], v[20:21], v[8:9]
	v_add_f64 v[26:27], v[16:17], -v[26:27]
	s_delay_alu instid0(VALU_DEP_2) | instskip(SKIP_1) | instid1(VALU_DEP_3)
	v_add_f64 v[24:25], v[16:17], v[22:23]
	v_add_f64 v[20:21], v[22:23], -v[20:21]
	v_add_f64 v[18:19], v[18:19], -v[26:27]
	s_delay_alu instid0(VALU_DEP_3) | instskip(NEXT) | instid1(VALU_DEP_3)
	v_add_f64 v[28:29], v[24:25], -v[16:17]
	v_add_f64 v[8:9], v[8:9], -v[20:21]
	s_delay_alu instid0(VALU_DEP_2) | instskip(SKIP_1) | instid1(VALU_DEP_3)
	v_add_f64 v[30:31], v[24:25], -v[28:29]
	v_add_f64 v[20:21], v[22:23], -v[28:29]
	v_add_f64 v[22:23], v[18:19], v[8:9]
	s_delay_alu instid0(VALU_DEP_3) | instskip(NEXT) | instid1(VALU_DEP_1)
	v_add_f64 v[16:17], v[16:17], -v[30:31]
	v_add_f64 v[16:17], v[20:21], v[16:17]
	s_delay_alu instid0(VALU_DEP_3) | instskip(NEXT) | instid1(VALU_DEP_2)
	v_add_f64 v[20:21], v[22:23], -v[18:19]
	v_add_f64 v[16:17], v[22:23], v[16:17]
	s_delay_alu instid0(VALU_DEP_2) | instskip(SKIP_1) | instid1(VALU_DEP_3)
	v_add_f64 v[22:23], v[22:23], -v[20:21]
	v_add_f64 v[8:9], v[8:9], -v[20:21]
	v_add_f64 v[26:27], v[24:25], v[16:17]
	s_delay_alu instid0(VALU_DEP_3) | instskip(NEXT) | instid1(VALU_DEP_2)
	v_add_f64 v[18:19], v[18:19], -v[22:23]
	v_add_f64 v[20:21], v[26:27], -v[24:25]
	s_delay_alu instid0(VALU_DEP_2) | instskip(NEXT) | instid1(VALU_DEP_2)
	v_add_f64 v[8:9], v[8:9], v[18:19]
	v_add_f64 v[16:17], v[16:17], -v[20:21]
	s_delay_alu instid0(VALU_DEP_1) | instskip(NEXT) | instid1(VALU_DEP_1)
	v_add_f64 v[8:9], v[8:9], v[16:17]
	v_add_f64 v[8:9], v[26:27], v[8:9]
	s_delay_alu instid0(VALU_DEP_1) | instskip(SKIP_1) | instid1(VALU_DEP_2)
	v_dual_cndmask_b32 v9, v9, v5 :: v_dual_cndmask_b32 v8, v8, v4
	v_cmp_ngt_f64_e32 vcc_lo, -1.0, v[4:5]
	v_cndmask_b32_e32 v9, 0x7ff80000, v9, vcc_lo
	v_cmp_nge_f64_e32 vcc_lo, -1.0, v[4:5]
	s_delay_alu instid0(VALU_DEP_4) | instskip(SKIP_1) | instid1(VALU_DEP_4)
	v_cndmask_b32_e32 v8, 0, v8, vcc_lo
	v_cmp_neq_f64_e32 vcc_lo, -1.0, v[4:5]
	v_cndmask_b32_e32 v9, 0xfff00000, v9, vcc_lo
	s_delay_alu instid0(VALU_DEP_1)
	v_add_f64 v[4:5], v[6:7], v[8:9]
.LBB76_32:
	s_or_b32 exec_lo, exec_lo, s14
	v_max_f64 v[16:17], v[102:103], v[102:103]
	s_delay_alu instid0(VALU_DEP_2) | instskip(SKIP_2) | instid1(VALU_DEP_3)
	v_max_f64 v[6:7], v[4:5], v[4:5]
	v_cmp_u_f64_e32 vcc_lo, v[4:5], v[4:5]
	v_cmp_u_f64_e64 s7, v[102:103], v[102:103]
	v_min_f64 v[8:9], v[6:7], v[16:17]
	v_max_f64 v[6:7], v[6:7], v[16:17]
	s_delay_alu instid0(VALU_DEP_2) | instskip(NEXT) | instid1(VALU_DEP_2)
	v_dual_cndmask_b32 v8, v8, v4 :: v_dual_cndmask_b32 v9, v9, v5
	v_dual_cndmask_b32 v7, v7, v5 :: v_dual_cndmask_b32 v6, v6, v4
	s_delay_alu instid0(VALU_DEP_2) | instskip(NEXT) | instid1(VALU_DEP_3)
	v_cndmask_b32_e64 v8, v8, v102, s7
	v_cndmask_b32_e64 v9, v9, v103, s7
	s_delay_alu instid0(VALU_DEP_3) | instskip(NEXT) | instid1(VALU_DEP_4)
	v_cndmask_b32_e64 v7, v7, v103, s7
	v_cndmask_b32_e64 v6, v6, v102, s7
	s_delay_alu instid0(VALU_DEP_3) | instskip(NEXT) | instid1(VALU_DEP_2)
	v_cmp_class_f64_e64 s8, v[8:9], 0x1f8
	v_cmp_neq_f64_e32 vcc_lo, v[8:9], v[6:7]
	s_delay_alu instid0(VALU_DEP_2) | instskip(NEXT) | instid1(SALU_CYCLE_1)
	s_or_b32 s8, vcc_lo, s8
	s_and_saveexec_b32 s14, s8
	s_cbranch_execz .LBB76_34
; %bb.33:
	v_add_f64 v[4:5], v[8:9], -v[6:7]
	s_mov_b32 s8, 0x652b82fe
	s_mov_b32 s9, 0x3ff71547
	;; [unrolled: 1-line block ×10, first 2 shown]
	s_delay_alu instid0(VALU_DEP_1) | instskip(SKIP_3) | instid1(VALU_DEP_2)
	v_mul_f64 v[8:9], v[4:5], s[8:9]
	s_mov_b32 s8, 0xfca7ab0c
	s_mov_b32 s9, 0x3e928af3
	v_cmp_nlt_f64_e32 vcc_lo, 0x40900000, v[4:5]
	v_rndne_f64_e32 v[8:9], v[8:9]
	s_delay_alu instid0(VALU_DEP_1) | instskip(SKIP_2) | instid1(VALU_DEP_2)
	v_fma_f64 v[18:19], v[8:9], s[10:11], v[4:5]
	v_cvt_i32_f64_e32 v22, v[8:9]
	s_mov_b32 s11, 0x3fe62e42
	v_fma_f64 v[18:19], v[8:9], s[12:13], v[18:19]
	s_mov_b32 s13, 0x3c7abc9e
	s_delay_alu instid0(VALU_DEP_1) | instskip(SKIP_4) | instid1(VALU_DEP_1)
	v_fma_f64 v[20:21], v[18:19], s[16:17], s[8:9]
	s_mov_b32 s8, 0x623fde64
	s_mov_b32 s9, 0x3ec71dee
	;; [unrolled: 1-line block ×4, first 2 shown]
	v_fma_f64 v[20:21], v[18:19], v[20:21], s[8:9]
	s_mov_b32 s8, 0x7c89e6b0
	s_mov_b32 s9, 0x3efa0199
	s_delay_alu instid0(VALU_DEP_1) | instid1(SALU_CYCLE_1)
	v_fma_f64 v[20:21], v[18:19], v[20:21], s[8:9]
	s_mov_b32 s8, 0x14761f6e
	s_mov_b32 s9, 0x3f2a01a0
	s_delay_alu instid0(VALU_DEP_1) | instid1(SALU_CYCLE_1)
	;; [unrolled: 4-line block ×7, first 2 shown]
	v_fma_f64 v[20:21], v[18:19], v[20:21], s[8:9]
	v_cmp_ngt_f64_e64 s8, 0xc090cc00, v[4:5]
	s_mov_b32 s9, 0x3fe55555
	s_delay_alu instid0(VALU_DEP_2) | instskip(NEXT) | instid1(VALU_DEP_1)
	v_fma_f64 v[20:21], v[18:19], v[20:21], 1.0
	v_fma_f64 v[8:9], v[18:19], v[20:21], 1.0
	s_delay_alu instid0(VALU_DEP_1) | instskip(NEXT) | instid1(VALU_DEP_1)
	v_ldexp_f64 v[8:9], v[8:9], v22
	v_cndmask_b32_e32 v9, 0x7ff00000, v9, vcc_lo
	s_and_b32 vcc_lo, s8, vcc_lo
	s_delay_alu instid0(VALU_DEP_1) | instskip(NEXT) | instid1(VALU_DEP_3)
	v_cndmask_b32_e64 v5, 0, v9, s8
	v_cndmask_b32_e32 v4, 0, v8, vcc_lo
	s_mov_b32 s8, 0x55555555
	s_delay_alu instid0(VALU_DEP_1) | instskip(NEXT) | instid1(VALU_DEP_1)
	v_add_f64 v[8:9], v[4:5], 1.0
	v_frexp_mant_f64_e32 v[18:19], v[8:9]
	v_frexp_exp_i32_f64_e32 v22, v[8:9]
	v_add_f64 v[20:21], v[8:9], -1.0
	s_delay_alu instid0(VALU_DEP_3) | instskip(SKIP_1) | instid1(VALU_DEP_2)
	v_cmp_gt_f64_e32 vcc_lo, s[8:9], v[18:19]
	s_mov_b32 s8, 0x55555780
	v_add_f64 v[18:19], v[20:21], -v[8:9]
	v_add_f64 v[20:21], v[4:5], -v[20:21]
	v_subrev_co_ci_u32_e32 v144, vcc_lo, 0, v22, vcc_lo
	s_delay_alu instid0(VALU_DEP_3) | instskip(SKIP_1) | instid1(VALU_DEP_3)
	v_add_f64 v[18:19], v[18:19], 1.0
	v_cmp_eq_f64_e32 vcc_lo, 0x7ff00000, v[4:5]
	v_sub_nc_u32_e32 v24, 0, v144
	s_delay_alu instid0(VALU_DEP_1) | instskip(NEXT) | instid1(VALU_DEP_4)
	v_ldexp_f64 v[8:9], v[8:9], v24
	v_add_f64 v[18:19], v[20:21], v[18:19]
	s_delay_alu instid0(VALU_DEP_2) | instskip(SKIP_1) | instid1(VALU_DEP_3)
	v_add_f64 v[22:23], v[8:9], 1.0
	v_add_f64 v[28:29], v[8:9], -1.0
	v_ldexp_f64 v[18:19], v[18:19], v24
	s_delay_alu instid0(VALU_DEP_3) | instskip(NEXT) | instid1(VALU_DEP_3)
	v_add_f64 v[20:21], v[22:23], -1.0
	v_add_f64 v[30:31], v[28:29], 1.0
	s_delay_alu instid0(VALU_DEP_2) | instskip(NEXT) | instid1(VALU_DEP_2)
	v_add_f64 v[20:21], v[8:9], -v[20:21]
	v_add_f64 v[8:9], v[8:9], -v[30:31]
	s_delay_alu instid0(VALU_DEP_2) | instskip(NEXT) | instid1(VALU_DEP_2)
	v_add_f64 v[20:21], v[18:19], v[20:21]
	v_add_f64 v[8:9], v[18:19], v[8:9]
	s_delay_alu instid0(VALU_DEP_2) | instskip(NEXT) | instid1(VALU_DEP_2)
	v_add_f64 v[24:25], v[22:23], v[20:21]
	v_add_f64 v[30:31], v[28:29], v[8:9]
	s_delay_alu instid0(VALU_DEP_2) | instskip(SKIP_1) | instid1(VALU_DEP_2)
	v_rcp_f64_e32 v[26:27], v[24:25]
	v_add_f64 v[22:23], v[24:25], -v[22:23]
	v_add_f64 v[28:29], v[30:31], -v[28:29]
	s_delay_alu instid0(VALU_DEP_2) | instskip(SKIP_3) | instid1(VALU_DEP_2)
	v_add_f64 v[20:21], v[20:21], -v[22:23]
	s_waitcnt_depctr 0xfff
	v_fma_f64 v[32:33], -v[24:25], v[26:27], 1.0
	v_add_f64 v[8:9], v[8:9], -v[28:29]
	v_fma_f64 v[26:27], v[32:33], v[26:27], v[26:27]
	s_delay_alu instid0(VALU_DEP_1) | instskip(NEXT) | instid1(VALU_DEP_1)
	v_fma_f64 v[18:19], -v[24:25], v[26:27], 1.0
	v_fma_f64 v[18:19], v[18:19], v[26:27], v[26:27]
	s_delay_alu instid0(VALU_DEP_1) | instskip(NEXT) | instid1(VALU_DEP_1)
	v_mul_f64 v[26:27], v[30:31], v[18:19]
	v_mul_f64 v[32:33], v[24:25], v[26:27]
	s_delay_alu instid0(VALU_DEP_1) | instskip(NEXT) | instid1(VALU_DEP_1)
	v_fma_f64 v[22:23], v[26:27], v[24:25], -v[32:33]
	v_fma_f64 v[22:23], v[26:27], v[20:21], v[22:23]
	s_delay_alu instid0(VALU_DEP_1) | instskip(NEXT) | instid1(VALU_DEP_1)
	v_add_f64 v[34:35], v[32:33], v[22:23]
	v_add_f64 v[131:132], v[30:31], -v[34:35]
	v_add_f64 v[28:29], v[34:35], -v[32:33]
	s_delay_alu instid0(VALU_DEP_2) | instskip(NEXT) | instid1(VALU_DEP_2)
	v_add_f64 v[30:31], v[30:31], -v[131:132]
	v_add_f64 v[22:23], v[28:29], -v[22:23]
	s_delay_alu instid0(VALU_DEP_2) | instskip(NEXT) | instid1(VALU_DEP_1)
	v_add_f64 v[30:31], v[30:31], -v[34:35]
	v_add_f64 v[8:9], v[8:9], v[30:31]
	s_delay_alu instid0(VALU_DEP_1) | instskip(NEXT) | instid1(VALU_DEP_1)
	v_add_f64 v[8:9], v[22:23], v[8:9]
	v_add_f64 v[22:23], v[131:132], v[8:9]
	s_delay_alu instid0(VALU_DEP_1) | instskip(SKIP_1) | instid1(VALU_DEP_2)
	v_mul_f64 v[28:29], v[18:19], v[22:23]
	v_add_f64 v[34:35], v[131:132], -v[22:23]
	v_mul_f64 v[30:31], v[24:25], v[28:29]
	s_delay_alu instid0(VALU_DEP_2) | instskip(NEXT) | instid1(VALU_DEP_2)
	v_add_f64 v[8:9], v[8:9], v[34:35]
	v_fma_f64 v[24:25], v[28:29], v[24:25], -v[30:31]
	s_delay_alu instid0(VALU_DEP_1) | instskip(NEXT) | instid1(VALU_DEP_1)
	v_fma_f64 v[20:21], v[28:29], v[20:21], v[24:25]
	v_add_f64 v[24:25], v[30:31], v[20:21]
	s_delay_alu instid0(VALU_DEP_1) | instskip(SKIP_1) | instid1(VALU_DEP_2)
	v_add_f64 v[32:33], v[22:23], -v[24:25]
	v_add_f64 v[30:31], v[24:25], -v[30:31]
	;; [unrolled: 1-line block ×3, first 2 shown]
	s_delay_alu instid0(VALU_DEP_2) | instskip(NEXT) | instid1(VALU_DEP_2)
	v_add_f64 v[20:21], v[30:31], -v[20:21]
	v_add_f64 v[22:23], v[22:23], -v[24:25]
	s_delay_alu instid0(VALU_DEP_1) | instskip(SKIP_1) | instid1(VALU_DEP_2)
	v_add_f64 v[8:9], v[8:9], v[22:23]
	v_add_f64 v[22:23], v[26:27], v[28:29]
	;; [unrolled: 1-line block ×3, first 2 shown]
	s_delay_alu instid0(VALU_DEP_2) | instskip(NEXT) | instid1(VALU_DEP_2)
	v_add_f64 v[20:21], v[22:23], -v[26:27]
	v_add_f64 v[8:9], v[32:33], v[8:9]
	s_delay_alu instid0(VALU_DEP_2) | instskip(NEXT) | instid1(VALU_DEP_2)
	v_add_f64 v[20:21], v[28:29], -v[20:21]
	v_mul_f64 v[8:9], v[18:19], v[8:9]
	s_delay_alu instid0(VALU_DEP_1) | instskip(NEXT) | instid1(VALU_DEP_1)
	v_add_f64 v[8:9], v[20:21], v[8:9]
	v_add_f64 v[18:19], v[22:23], v[8:9]
	s_delay_alu instid0(VALU_DEP_1) | instskip(NEXT) | instid1(VALU_DEP_1)
	v_mul_f64 v[20:21], v[18:19], v[18:19]
	v_fma_f64 v[24:25], v[20:21], s[20:21], s[16:17]
	s_mov_b32 s16, 0xd7f4df2e
	s_mov_b32 s17, 0x3fc7474d
	v_mul_f64 v[26:27], v[18:19], v[20:21]
	s_delay_alu instid0(VALU_DEP_2)
	v_fma_f64 v[24:25], v[20:21], v[24:25], s[16:17]
	s_mov_b32 s16, 0x16291751
	s_mov_b32 s17, 0x3fcc71c0
	s_delay_alu instid0(VALU_DEP_1) | instid1(SALU_CYCLE_1)
	v_fma_f64 v[24:25], v[20:21], v[24:25], s[16:17]
	s_mov_b32 s16, 0x9b27acf1
	s_mov_b32 s17, 0x3fd24924
	s_delay_alu instid0(VALU_DEP_1) | instid1(SALU_CYCLE_1)
	;; [unrolled: 4-line block ×3, first 2 shown]
	v_fma_f64 v[24:25], v[20:21], v[24:25], s[16:17]
	s_delay_alu instid0(VALU_DEP_1) | instskip(SKIP_2) | instid1(VALU_DEP_3)
	v_fma_f64 v[20:21], v[20:21], v[24:25], s[8:9]
	v_ldexp_f64 v[24:25], v[18:19], 1
	v_add_f64 v[18:19], v[18:19], -v[22:23]
	v_mul_f64 v[20:21], v[26:27], v[20:21]
	v_cvt_f64_i32_e32 v[26:27], v144
	s_delay_alu instid0(VALU_DEP_3) | instskip(NEXT) | instid1(VALU_DEP_3)
	v_add_f64 v[8:9], v[8:9], -v[18:19]
	v_add_f64 v[22:23], v[24:25], v[20:21]
	s_delay_alu instid0(VALU_DEP_3) | instskip(NEXT) | instid1(VALU_DEP_3)
	v_mul_f64 v[28:29], v[26:27], s[10:11]
	v_ldexp_f64 v[8:9], v[8:9], 1
	s_delay_alu instid0(VALU_DEP_3) | instskip(NEXT) | instid1(VALU_DEP_3)
	v_add_f64 v[18:19], v[22:23], -v[24:25]
	v_fma_f64 v[24:25], v[26:27], s[10:11], -v[28:29]
	s_delay_alu instid0(VALU_DEP_2) | instskip(NEXT) | instid1(VALU_DEP_2)
	v_add_f64 v[18:19], v[20:21], -v[18:19]
	v_fma_f64 v[20:21], v[26:27], s[12:13], v[24:25]
	s_delay_alu instid0(VALU_DEP_2) | instskip(NEXT) | instid1(VALU_DEP_2)
	v_add_f64 v[8:9], v[8:9], v[18:19]
	v_add_f64 v[18:19], v[28:29], v[20:21]
	s_delay_alu instid0(VALU_DEP_2) | instskip(NEXT) | instid1(VALU_DEP_2)
	v_add_f64 v[24:25], v[22:23], v[8:9]
	v_add_f64 v[28:29], v[18:19], -v[28:29]
	s_delay_alu instid0(VALU_DEP_2) | instskip(SKIP_1) | instid1(VALU_DEP_3)
	v_add_f64 v[26:27], v[18:19], v[24:25]
	v_add_f64 v[22:23], v[24:25], -v[22:23]
	v_add_f64 v[20:21], v[20:21], -v[28:29]
	s_delay_alu instid0(VALU_DEP_3) | instskip(NEXT) | instid1(VALU_DEP_3)
	v_add_f64 v[30:31], v[26:27], -v[18:19]
	v_add_f64 v[8:9], v[8:9], -v[22:23]
	s_delay_alu instid0(VALU_DEP_2) | instskip(SKIP_1) | instid1(VALU_DEP_3)
	v_add_f64 v[32:33], v[26:27], -v[30:31]
	v_add_f64 v[22:23], v[24:25], -v[30:31]
	v_add_f64 v[24:25], v[20:21], v[8:9]
	s_delay_alu instid0(VALU_DEP_3) | instskip(NEXT) | instid1(VALU_DEP_1)
	v_add_f64 v[18:19], v[18:19], -v[32:33]
	v_add_f64 v[18:19], v[22:23], v[18:19]
	s_delay_alu instid0(VALU_DEP_3) | instskip(NEXT) | instid1(VALU_DEP_2)
	v_add_f64 v[22:23], v[24:25], -v[20:21]
	v_add_f64 v[18:19], v[24:25], v[18:19]
	s_delay_alu instid0(VALU_DEP_2) | instskip(SKIP_1) | instid1(VALU_DEP_3)
	v_add_f64 v[24:25], v[24:25], -v[22:23]
	v_add_f64 v[8:9], v[8:9], -v[22:23]
	v_add_f64 v[28:29], v[26:27], v[18:19]
	s_delay_alu instid0(VALU_DEP_3) | instskip(NEXT) | instid1(VALU_DEP_2)
	v_add_f64 v[20:21], v[20:21], -v[24:25]
	v_add_f64 v[22:23], v[28:29], -v[26:27]
	s_delay_alu instid0(VALU_DEP_2) | instskip(NEXT) | instid1(VALU_DEP_2)
	v_add_f64 v[8:9], v[8:9], v[20:21]
	v_add_f64 v[18:19], v[18:19], -v[22:23]
	s_delay_alu instid0(VALU_DEP_1) | instskip(NEXT) | instid1(VALU_DEP_1)
	v_add_f64 v[8:9], v[8:9], v[18:19]
	v_add_f64 v[8:9], v[28:29], v[8:9]
	s_delay_alu instid0(VALU_DEP_1) | instskip(SKIP_1) | instid1(VALU_DEP_2)
	v_dual_cndmask_b32 v9, v9, v5 :: v_dual_cndmask_b32 v8, v8, v4
	v_cmp_ngt_f64_e32 vcc_lo, -1.0, v[4:5]
	v_cndmask_b32_e32 v9, 0x7ff80000, v9, vcc_lo
	v_cmp_nge_f64_e32 vcc_lo, -1.0, v[4:5]
	s_delay_alu instid0(VALU_DEP_4) | instskip(SKIP_1) | instid1(VALU_DEP_4)
	v_cndmask_b32_e32 v8, 0, v8, vcc_lo
	v_cmp_neq_f64_e32 vcc_lo, -1.0, v[4:5]
	v_cndmask_b32_e32 v9, 0xfff00000, v9, vcc_lo
	s_delay_alu instid0(VALU_DEP_1)
	v_add_f64 v[4:5], v[6:7], v[8:9]
.LBB76_34:
	s_or_b32 exec_lo, exec_lo, s14
	v_max_f64 v[18:19], v[96:97], v[96:97]
	s_delay_alu instid0(VALU_DEP_2) | instskip(SKIP_2) | instid1(VALU_DEP_3)
	v_max_f64 v[6:7], v[4:5], v[4:5]
	v_cmp_u_f64_e32 vcc_lo, v[4:5], v[4:5]
	v_cmp_u_f64_e64 s8, v[96:97], v[96:97]
	v_min_f64 v[8:9], v[6:7], v[18:19]
	v_max_f64 v[6:7], v[6:7], v[18:19]
	s_delay_alu instid0(VALU_DEP_2) | instskip(NEXT) | instid1(VALU_DEP_2)
	v_dual_cndmask_b32 v8, v8, v4 :: v_dual_cndmask_b32 v9, v9, v5
	v_dual_cndmask_b32 v7, v7, v5 :: v_dual_cndmask_b32 v6, v6, v4
	s_delay_alu instid0(VALU_DEP_2) | instskip(NEXT) | instid1(VALU_DEP_3)
	v_cndmask_b32_e64 v8, v8, v96, s8
	v_cndmask_b32_e64 v9, v9, v97, s8
	s_delay_alu instid0(VALU_DEP_3) | instskip(NEXT) | instid1(VALU_DEP_4)
	v_cndmask_b32_e64 v7, v7, v97, s8
	v_cndmask_b32_e64 v6, v6, v96, s8
	s_delay_alu instid0(VALU_DEP_3) | instskip(NEXT) | instid1(VALU_DEP_2)
	v_cmp_class_f64_e64 s9, v[8:9], 0x1f8
	v_cmp_neq_f64_e32 vcc_lo, v[8:9], v[6:7]
	s_delay_alu instid0(VALU_DEP_2) | instskip(NEXT) | instid1(SALU_CYCLE_1)
	s_or_b32 s9, vcc_lo, s9
	s_and_saveexec_b32 s16, s9
	s_cbranch_execz .LBB76_36
; %bb.35:
	v_add_f64 v[4:5], v[8:9], -v[6:7]
	s_mov_b32 s10, 0x652b82fe
	s_mov_b32 s11, 0x3ff71547
	;; [unrolled: 1-line block ×10, first 2 shown]
	s_delay_alu instid0(VALU_DEP_1) | instskip(SKIP_4) | instid1(VALU_DEP_3)
	v_mul_f64 v[8:9], v[4:5], s[10:11]
	s_mov_b32 s11, 0xbfe62e42
	s_mov_b32 s10, 0xfefa39ef
	v_cmp_nlt_f64_e32 vcc_lo, 0x40900000, v[4:5]
	v_cmp_ngt_f64_e64 s9, 0xc090cc00, v[4:5]
	v_rndne_f64_e32 v[8:9], v[8:9]
	s_delay_alu instid0(VALU_DEP_1) | instskip(SKIP_2) | instid1(VALU_DEP_2)
	v_fma_f64 v[20:21], v[8:9], s[10:11], v[4:5]
	v_cvt_i32_f64_e32 v24, v[8:9]
	s_mov_b32 s11, 0x3fe62e42
	v_fma_f64 v[20:21], v[8:9], s[12:13], v[20:21]
	s_mov_b32 s13, 0x3c7abc9e
	s_delay_alu instid0(VALU_DEP_1) | instskip(SKIP_4) | instid1(VALU_DEP_1)
	v_fma_f64 v[22:23], v[20:21], s[20:21], s[14:15]
	s_mov_b32 s14, 0x623fde64
	s_mov_b32 s15, 0x3ec71dee
	;; [unrolled: 1-line block ×4, first 2 shown]
	v_fma_f64 v[22:23], v[20:21], v[22:23], s[14:15]
	s_mov_b32 s14, 0x7c89e6b0
	s_mov_b32 s15, 0x3efa0199
	s_delay_alu instid0(VALU_DEP_1) | instid1(SALU_CYCLE_1)
	v_fma_f64 v[22:23], v[20:21], v[22:23], s[14:15]
	s_mov_b32 s14, 0x14761f6e
	s_mov_b32 s15, 0x3f2a01a0
	s_delay_alu instid0(VALU_DEP_1) | instid1(SALU_CYCLE_1)
	v_fma_f64 v[22:23], v[20:21], v[22:23], s[14:15]
	s_mov_b32 s14, 0x1852b7b0
	s_mov_b32 s15, 0x3f56c16c
	s_delay_alu instid0(VALU_DEP_1) | instid1(SALU_CYCLE_1)
	v_fma_f64 v[22:23], v[20:21], v[22:23], s[14:15]
	s_mov_b32 s14, 0x11122322
	s_mov_b32 s15, 0x3f811111
	s_delay_alu instid0(VALU_DEP_1) | instid1(SALU_CYCLE_1)
	v_fma_f64 v[22:23], v[20:21], v[22:23], s[14:15]
	s_mov_b32 s14, 0x555502a1
	s_mov_b32 s15, 0x3fa55555
	s_delay_alu instid0(VALU_DEP_1) | instid1(SALU_CYCLE_1)
	v_fma_f64 v[22:23], v[20:21], v[22:23], s[14:15]
	s_mov_b32 s14, 0x55555511
	s_mov_b32 s15, 0x3fc55555
	s_delay_alu instid0(VALU_DEP_1) | instid1(SALU_CYCLE_1)
	v_fma_f64 v[22:23], v[20:21], v[22:23], s[14:15]
	s_mov_b32 s14, 11
	s_mov_b32 s15, 0x3fe00000
	s_delay_alu instid0(VALU_DEP_1) | instid1(SALU_CYCLE_1)
	v_fma_f64 v[22:23], v[20:21], v[22:23], s[14:15]
	s_mov_b32 s15, 0x3fe55555
	s_mov_b32 s14, 0x55555555
	s_delay_alu instid0(VALU_DEP_1) | instskip(NEXT) | instid1(VALU_DEP_1)
	v_fma_f64 v[22:23], v[20:21], v[22:23], 1.0
	v_fma_f64 v[8:9], v[20:21], v[22:23], 1.0
	s_delay_alu instid0(VALU_DEP_1) | instskip(NEXT) | instid1(VALU_DEP_1)
	v_ldexp_f64 v[8:9], v[8:9], v24
	v_cndmask_b32_e32 v9, 0x7ff00000, v9, vcc_lo
	s_and_b32 vcc_lo, s9, vcc_lo
	s_delay_alu instid0(VALU_DEP_1) | instskip(NEXT) | instid1(VALU_DEP_3)
	v_cndmask_b32_e64 v5, 0, v9, s9
	v_cndmask_b32_e32 v4, 0, v8, vcc_lo
	s_delay_alu instid0(VALU_DEP_1) | instskip(NEXT) | instid1(VALU_DEP_1)
	v_add_f64 v[8:9], v[4:5], 1.0
	v_frexp_mant_f64_e32 v[20:21], v[8:9]
	v_frexp_exp_i32_f64_e32 v24, v[8:9]
	v_add_f64 v[22:23], v[8:9], -1.0
	s_delay_alu instid0(VALU_DEP_3) | instskip(SKIP_1) | instid1(VALU_DEP_2)
	v_cmp_gt_f64_e32 vcc_lo, s[14:15], v[20:21]
	s_mov_b32 s14, 0x55555780
	v_add_f64 v[20:21], v[22:23], -v[8:9]
	v_add_f64 v[22:23], v[4:5], -v[22:23]
	v_subrev_co_ci_u32_e32 v146, vcc_lo, 0, v24, vcc_lo
	s_delay_alu instid0(VALU_DEP_3) | instskip(SKIP_1) | instid1(VALU_DEP_3)
	v_add_f64 v[20:21], v[20:21], 1.0
	v_cmp_eq_f64_e32 vcc_lo, 0x7ff00000, v[4:5]
	v_sub_nc_u32_e32 v26, 0, v146
	s_delay_alu instid0(VALU_DEP_1) | instskip(NEXT) | instid1(VALU_DEP_4)
	v_ldexp_f64 v[8:9], v[8:9], v26
	v_add_f64 v[20:21], v[22:23], v[20:21]
	s_delay_alu instid0(VALU_DEP_2) | instskip(SKIP_1) | instid1(VALU_DEP_3)
	v_add_f64 v[24:25], v[8:9], 1.0
	v_add_f64 v[30:31], v[8:9], -1.0
	v_ldexp_f64 v[20:21], v[20:21], v26
	s_delay_alu instid0(VALU_DEP_3) | instskip(NEXT) | instid1(VALU_DEP_3)
	v_add_f64 v[22:23], v[24:25], -1.0
	v_add_f64 v[32:33], v[30:31], 1.0
	s_delay_alu instid0(VALU_DEP_2) | instskip(NEXT) | instid1(VALU_DEP_2)
	v_add_f64 v[22:23], v[8:9], -v[22:23]
	v_add_f64 v[8:9], v[8:9], -v[32:33]
	s_delay_alu instid0(VALU_DEP_2) | instskip(NEXT) | instid1(VALU_DEP_2)
	v_add_f64 v[22:23], v[20:21], v[22:23]
	v_add_f64 v[8:9], v[20:21], v[8:9]
	s_delay_alu instid0(VALU_DEP_2) | instskip(NEXT) | instid1(VALU_DEP_2)
	v_add_f64 v[26:27], v[24:25], v[22:23]
	v_add_f64 v[32:33], v[30:31], v[8:9]
	s_delay_alu instid0(VALU_DEP_2) | instskip(SKIP_1) | instid1(VALU_DEP_2)
	v_rcp_f64_e32 v[28:29], v[26:27]
	v_add_f64 v[24:25], v[26:27], -v[24:25]
	v_add_f64 v[30:31], v[32:33], -v[30:31]
	s_delay_alu instid0(VALU_DEP_2) | instskip(SKIP_3) | instid1(VALU_DEP_2)
	v_add_f64 v[22:23], v[22:23], -v[24:25]
	s_waitcnt_depctr 0xfff
	v_fma_f64 v[34:35], -v[26:27], v[28:29], 1.0
	v_add_f64 v[8:9], v[8:9], -v[30:31]
	v_fma_f64 v[28:29], v[34:35], v[28:29], v[28:29]
	s_delay_alu instid0(VALU_DEP_1) | instskip(NEXT) | instid1(VALU_DEP_1)
	v_fma_f64 v[20:21], -v[26:27], v[28:29], 1.0
	v_fma_f64 v[20:21], v[20:21], v[28:29], v[28:29]
	s_delay_alu instid0(VALU_DEP_1) | instskip(NEXT) | instid1(VALU_DEP_1)
	v_mul_f64 v[28:29], v[32:33], v[20:21]
	v_mul_f64 v[34:35], v[26:27], v[28:29]
	s_delay_alu instid0(VALU_DEP_1) | instskip(NEXT) | instid1(VALU_DEP_1)
	v_fma_f64 v[24:25], v[28:29], v[26:27], -v[34:35]
	v_fma_f64 v[24:25], v[28:29], v[22:23], v[24:25]
	s_delay_alu instid0(VALU_DEP_1) | instskip(NEXT) | instid1(VALU_DEP_1)
	v_add_f64 v[131:132], v[34:35], v[24:25]
	v_add_f64 v[144:145], v[32:33], -v[131:132]
	v_add_f64 v[30:31], v[131:132], -v[34:35]
	s_delay_alu instid0(VALU_DEP_2) | instskip(NEXT) | instid1(VALU_DEP_2)
	v_add_f64 v[32:33], v[32:33], -v[144:145]
	v_add_f64 v[24:25], v[30:31], -v[24:25]
	s_delay_alu instid0(VALU_DEP_2) | instskip(NEXT) | instid1(VALU_DEP_1)
	v_add_f64 v[32:33], v[32:33], -v[131:132]
	v_add_f64 v[8:9], v[8:9], v[32:33]
	s_delay_alu instid0(VALU_DEP_1) | instskip(NEXT) | instid1(VALU_DEP_1)
	v_add_f64 v[8:9], v[24:25], v[8:9]
	v_add_f64 v[24:25], v[144:145], v[8:9]
	s_delay_alu instid0(VALU_DEP_1) | instskip(SKIP_1) | instid1(VALU_DEP_2)
	v_mul_f64 v[30:31], v[20:21], v[24:25]
	v_add_f64 v[131:132], v[144:145], -v[24:25]
	v_mul_f64 v[32:33], v[26:27], v[30:31]
	s_delay_alu instid0(VALU_DEP_2) | instskip(NEXT) | instid1(VALU_DEP_2)
	v_add_f64 v[8:9], v[8:9], v[131:132]
	v_fma_f64 v[26:27], v[30:31], v[26:27], -v[32:33]
	s_delay_alu instid0(VALU_DEP_1) | instskip(NEXT) | instid1(VALU_DEP_1)
	v_fma_f64 v[22:23], v[30:31], v[22:23], v[26:27]
	v_add_f64 v[26:27], v[32:33], v[22:23]
	s_delay_alu instid0(VALU_DEP_1) | instskip(SKIP_1) | instid1(VALU_DEP_2)
	v_add_f64 v[34:35], v[24:25], -v[26:27]
	v_add_f64 v[32:33], v[26:27], -v[32:33]
	;; [unrolled: 1-line block ×3, first 2 shown]
	s_delay_alu instid0(VALU_DEP_2) | instskip(NEXT) | instid1(VALU_DEP_2)
	v_add_f64 v[22:23], v[32:33], -v[22:23]
	v_add_f64 v[24:25], v[24:25], -v[26:27]
	s_delay_alu instid0(VALU_DEP_1) | instskip(SKIP_1) | instid1(VALU_DEP_2)
	v_add_f64 v[8:9], v[8:9], v[24:25]
	v_add_f64 v[24:25], v[28:29], v[30:31]
	;; [unrolled: 1-line block ×3, first 2 shown]
	s_delay_alu instid0(VALU_DEP_2) | instskip(NEXT) | instid1(VALU_DEP_2)
	v_add_f64 v[22:23], v[24:25], -v[28:29]
	v_add_f64 v[8:9], v[34:35], v[8:9]
	s_delay_alu instid0(VALU_DEP_2) | instskip(NEXT) | instid1(VALU_DEP_2)
	v_add_f64 v[22:23], v[30:31], -v[22:23]
	v_mul_f64 v[8:9], v[20:21], v[8:9]
	s_delay_alu instid0(VALU_DEP_1) | instskip(NEXT) | instid1(VALU_DEP_1)
	v_add_f64 v[8:9], v[22:23], v[8:9]
	v_add_f64 v[20:21], v[24:25], v[8:9]
	s_delay_alu instid0(VALU_DEP_1) | instskip(NEXT) | instid1(VALU_DEP_1)
	v_mul_f64 v[22:23], v[20:21], v[20:21]
	v_fma_f64 v[26:27], v[22:23], s[22:23], s[20:21]
	s_mov_b32 s20, 0xd7f4df2e
	s_mov_b32 s21, 0x3fc7474d
	v_mul_f64 v[28:29], v[20:21], v[22:23]
	s_delay_alu instid0(VALU_DEP_2)
	v_fma_f64 v[26:27], v[22:23], v[26:27], s[20:21]
	s_mov_b32 s20, 0x16291751
	s_mov_b32 s21, 0x3fcc71c0
	s_delay_alu instid0(VALU_DEP_1) | instid1(SALU_CYCLE_1)
	v_fma_f64 v[26:27], v[22:23], v[26:27], s[20:21]
	s_mov_b32 s20, 0x9b27acf1
	s_mov_b32 s21, 0x3fd24924
	s_delay_alu instid0(VALU_DEP_1) | instid1(SALU_CYCLE_1)
	;; [unrolled: 4-line block ×3, first 2 shown]
	v_fma_f64 v[26:27], v[22:23], v[26:27], s[20:21]
	s_delay_alu instid0(VALU_DEP_1) | instskip(SKIP_2) | instid1(VALU_DEP_3)
	v_fma_f64 v[22:23], v[22:23], v[26:27], s[14:15]
	v_ldexp_f64 v[26:27], v[20:21], 1
	v_add_f64 v[20:21], v[20:21], -v[24:25]
	v_mul_f64 v[22:23], v[28:29], v[22:23]
	v_cvt_f64_i32_e32 v[28:29], v146
	s_delay_alu instid0(VALU_DEP_3) | instskip(NEXT) | instid1(VALU_DEP_3)
	v_add_f64 v[8:9], v[8:9], -v[20:21]
	v_add_f64 v[24:25], v[26:27], v[22:23]
	s_delay_alu instid0(VALU_DEP_3) | instskip(NEXT) | instid1(VALU_DEP_3)
	v_mul_f64 v[30:31], v[28:29], s[10:11]
	v_ldexp_f64 v[8:9], v[8:9], 1
	s_delay_alu instid0(VALU_DEP_3) | instskip(NEXT) | instid1(VALU_DEP_3)
	v_add_f64 v[20:21], v[24:25], -v[26:27]
	v_fma_f64 v[26:27], v[28:29], s[10:11], -v[30:31]
	s_delay_alu instid0(VALU_DEP_2) | instskip(NEXT) | instid1(VALU_DEP_2)
	v_add_f64 v[20:21], v[22:23], -v[20:21]
	v_fma_f64 v[22:23], v[28:29], s[12:13], v[26:27]
	s_delay_alu instid0(VALU_DEP_2) | instskip(NEXT) | instid1(VALU_DEP_2)
	v_add_f64 v[8:9], v[8:9], v[20:21]
	v_add_f64 v[20:21], v[30:31], v[22:23]
	s_delay_alu instid0(VALU_DEP_2) | instskip(NEXT) | instid1(VALU_DEP_2)
	v_add_f64 v[26:27], v[24:25], v[8:9]
	v_add_f64 v[30:31], v[20:21], -v[30:31]
	s_delay_alu instid0(VALU_DEP_2) | instskip(SKIP_1) | instid1(VALU_DEP_3)
	v_add_f64 v[28:29], v[20:21], v[26:27]
	v_add_f64 v[24:25], v[26:27], -v[24:25]
	v_add_f64 v[22:23], v[22:23], -v[30:31]
	s_delay_alu instid0(VALU_DEP_3) | instskip(NEXT) | instid1(VALU_DEP_3)
	v_add_f64 v[32:33], v[28:29], -v[20:21]
	v_add_f64 v[8:9], v[8:9], -v[24:25]
	s_delay_alu instid0(VALU_DEP_2) | instskip(SKIP_1) | instid1(VALU_DEP_3)
	v_add_f64 v[34:35], v[28:29], -v[32:33]
	v_add_f64 v[24:25], v[26:27], -v[32:33]
	v_add_f64 v[26:27], v[22:23], v[8:9]
	s_delay_alu instid0(VALU_DEP_3) | instskip(NEXT) | instid1(VALU_DEP_1)
	v_add_f64 v[20:21], v[20:21], -v[34:35]
	v_add_f64 v[20:21], v[24:25], v[20:21]
	s_delay_alu instid0(VALU_DEP_3) | instskip(NEXT) | instid1(VALU_DEP_2)
	v_add_f64 v[24:25], v[26:27], -v[22:23]
	v_add_f64 v[20:21], v[26:27], v[20:21]
	s_delay_alu instid0(VALU_DEP_2) | instskip(SKIP_1) | instid1(VALU_DEP_3)
	v_add_f64 v[26:27], v[26:27], -v[24:25]
	v_add_f64 v[8:9], v[8:9], -v[24:25]
	v_add_f64 v[30:31], v[28:29], v[20:21]
	s_delay_alu instid0(VALU_DEP_3) | instskip(NEXT) | instid1(VALU_DEP_2)
	v_add_f64 v[22:23], v[22:23], -v[26:27]
	v_add_f64 v[24:25], v[30:31], -v[28:29]
	s_delay_alu instid0(VALU_DEP_2) | instskip(NEXT) | instid1(VALU_DEP_2)
	v_add_f64 v[8:9], v[8:9], v[22:23]
	v_add_f64 v[20:21], v[20:21], -v[24:25]
	s_delay_alu instid0(VALU_DEP_1) | instskip(NEXT) | instid1(VALU_DEP_1)
	v_add_f64 v[8:9], v[8:9], v[20:21]
	v_add_f64 v[8:9], v[30:31], v[8:9]
	s_delay_alu instid0(VALU_DEP_1) | instskip(SKIP_1) | instid1(VALU_DEP_2)
	v_dual_cndmask_b32 v9, v9, v5 :: v_dual_cndmask_b32 v8, v8, v4
	v_cmp_ngt_f64_e32 vcc_lo, -1.0, v[4:5]
	v_cndmask_b32_e32 v9, 0x7ff80000, v9, vcc_lo
	v_cmp_nge_f64_e32 vcc_lo, -1.0, v[4:5]
	s_delay_alu instid0(VALU_DEP_4) | instskip(SKIP_1) | instid1(VALU_DEP_4)
	v_cndmask_b32_e32 v8, 0, v8, vcc_lo
	v_cmp_neq_f64_e32 vcc_lo, -1.0, v[4:5]
	v_cndmask_b32_e32 v9, 0xfff00000, v9, vcc_lo
	s_delay_alu instid0(VALU_DEP_1)
	v_add_f64 v[4:5], v[6:7], v[8:9]
.LBB76_36:
	s_or_b32 exec_lo, exec_lo, s16
	v_max_f64 v[20:21], v[98:99], v[98:99]
	s_delay_alu instid0(VALU_DEP_2) | instskip(SKIP_2) | instid1(VALU_DEP_3)
	v_max_f64 v[6:7], v[4:5], v[4:5]
	v_cmp_u_f64_e32 vcc_lo, v[4:5], v[4:5]
	v_cmp_u_f64_e64 s9, v[98:99], v[98:99]
	v_min_f64 v[8:9], v[6:7], v[20:21]
	v_max_f64 v[6:7], v[6:7], v[20:21]
	s_delay_alu instid0(VALU_DEP_2) | instskip(NEXT) | instid1(VALU_DEP_2)
	v_dual_cndmask_b32 v8, v8, v4 :: v_dual_cndmask_b32 v9, v9, v5
	v_dual_cndmask_b32 v7, v7, v5 :: v_dual_cndmask_b32 v6, v6, v4
	s_delay_alu instid0(VALU_DEP_2) | instskip(NEXT) | instid1(VALU_DEP_3)
	v_cndmask_b32_e64 v8, v8, v98, s9
	v_cndmask_b32_e64 v9, v9, v99, s9
	s_delay_alu instid0(VALU_DEP_3) | instskip(NEXT) | instid1(VALU_DEP_4)
	v_cndmask_b32_e64 v7, v7, v99, s9
	v_cndmask_b32_e64 v6, v6, v98, s9
	s_delay_alu instid0(VALU_DEP_3) | instskip(NEXT) | instid1(VALU_DEP_2)
	v_cmp_class_f64_e64 s10, v[8:9], 0x1f8
	v_cmp_neq_f64_e32 vcc_lo, v[8:9], v[6:7]
	s_delay_alu instid0(VALU_DEP_2) | instskip(NEXT) | instid1(SALU_CYCLE_1)
	s_or_b32 s10, vcc_lo, s10
	s_and_saveexec_b32 s16, s10
	s_cbranch_execz .LBB76_38
; %bb.37:
	v_add_f64 v[4:5], v[8:9], -v[6:7]
	s_mov_b32 s10, 0x652b82fe
	s_mov_b32 s11, 0x3ff71547
	;; [unrolled: 1-line block ×10, first 2 shown]
	s_delay_alu instid0(VALU_DEP_1) | instskip(SKIP_3) | instid1(VALU_DEP_2)
	v_mul_f64 v[8:9], v[4:5], s[10:11]
	s_mov_b32 s10, 0xfca7ab0c
	s_mov_b32 s11, 0x3e928af3
	v_cmp_nlt_f64_e32 vcc_lo, 0x40900000, v[4:5]
	v_rndne_f64_e32 v[8:9], v[8:9]
	s_delay_alu instid0(VALU_DEP_1) | instskip(SKIP_2) | instid1(VALU_DEP_2)
	v_fma_f64 v[22:23], v[8:9], s[12:13], v[4:5]
	v_cvt_i32_f64_e32 v26, v[8:9]
	s_mov_b32 s13, 0x3fe62e42
	v_fma_f64 v[22:23], v[8:9], s[14:15], v[22:23]
	s_mov_b32 s15, 0x3c7abc9e
	s_delay_alu instid0(VALU_DEP_1) | instskip(SKIP_4) | instid1(VALU_DEP_1)
	v_fma_f64 v[24:25], v[22:23], s[20:21], s[10:11]
	s_mov_b32 s10, 0x623fde64
	s_mov_b32 s11, 0x3ec71dee
	;; [unrolled: 1-line block ×4, first 2 shown]
	v_fma_f64 v[24:25], v[22:23], v[24:25], s[10:11]
	s_mov_b32 s10, 0x7c89e6b0
	s_mov_b32 s11, 0x3efa0199
	s_delay_alu instid0(VALU_DEP_1) | instid1(SALU_CYCLE_1)
	v_fma_f64 v[24:25], v[22:23], v[24:25], s[10:11]
	s_mov_b32 s10, 0x14761f6e
	s_mov_b32 s11, 0x3f2a01a0
	s_delay_alu instid0(VALU_DEP_1) | instid1(SALU_CYCLE_1)
	;; [unrolled: 4-line block ×7, first 2 shown]
	v_fma_f64 v[24:25], v[22:23], v[24:25], s[10:11]
	v_cmp_ngt_f64_e64 s10, 0xc090cc00, v[4:5]
	s_mov_b32 s11, 0x3fe55555
	s_delay_alu instid0(VALU_DEP_2) | instskip(NEXT) | instid1(VALU_DEP_1)
	v_fma_f64 v[24:25], v[22:23], v[24:25], 1.0
	v_fma_f64 v[8:9], v[22:23], v[24:25], 1.0
	s_delay_alu instid0(VALU_DEP_1) | instskip(NEXT) | instid1(VALU_DEP_1)
	v_ldexp_f64 v[8:9], v[8:9], v26
	v_cndmask_b32_e32 v9, 0x7ff00000, v9, vcc_lo
	s_and_b32 vcc_lo, s10, vcc_lo
	s_delay_alu instid0(VALU_DEP_1) | instskip(NEXT) | instid1(VALU_DEP_3)
	v_cndmask_b32_e64 v5, 0, v9, s10
	v_cndmask_b32_e32 v4, 0, v8, vcc_lo
	s_mov_b32 s10, 0x55555555
	s_delay_alu instid0(VALU_DEP_1) | instskip(NEXT) | instid1(VALU_DEP_1)
	v_add_f64 v[8:9], v[4:5], 1.0
	v_frexp_mant_f64_e32 v[22:23], v[8:9]
	v_frexp_exp_i32_f64_e32 v26, v[8:9]
	v_add_f64 v[24:25], v[8:9], -1.0
	s_delay_alu instid0(VALU_DEP_3) | instskip(SKIP_1) | instid1(VALU_DEP_2)
	v_cmp_gt_f64_e32 vcc_lo, s[10:11], v[22:23]
	s_mov_b32 s10, 0x55555780
	v_add_f64 v[22:23], v[24:25], -v[8:9]
	v_add_f64 v[24:25], v[4:5], -v[24:25]
	v_subrev_co_ci_u32_e32 v148, vcc_lo, 0, v26, vcc_lo
	s_delay_alu instid0(VALU_DEP_3) | instskip(SKIP_1) | instid1(VALU_DEP_3)
	v_add_f64 v[22:23], v[22:23], 1.0
	v_cmp_eq_f64_e32 vcc_lo, 0x7ff00000, v[4:5]
	v_sub_nc_u32_e32 v28, 0, v148
	s_delay_alu instid0(VALU_DEP_1) | instskip(NEXT) | instid1(VALU_DEP_4)
	v_ldexp_f64 v[8:9], v[8:9], v28
	v_add_f64 v[22:23], v[24:25], v[22:23]
	s_delay_alu instid0(VALU_DEP_2) | instskip(SKIP_1) | instid1(VALU_DEP_3)
	v_add_f64 v[26:27], v[8:9], 1.0
	v_add_f64 v[32:33], v[8:9], -1.0
	v_ldexp_f64 v[22:23], v[22:23], v28
	s_delay_alu instid0(VALU_DEP_3) | instskip(NEXT) | instid1(VALU_DEP_3)
	v_add_f64 v[24:25], v[26:27], -1.0
	v_add_f64 v[34:35], v[32:33], 1.0
	s_delay_alu instid0(VALU_DEP_2) | instskip(NEXT) | instid1(VALU_DEP_2)
	v_add_f64 v[24:25], v[8:9], -v[24:25]
	v_add_f64 v[8:9], v[8:9], -v[34:35]
	s_delay_alu instid0(VALU_DEP_2) | instskip(NEXT) | instid1(VALU_DEP_2)
	v_add_f64 v[24:25], v[22:23], v[24:25]
	v_add_f64 v[8:9], v[22:23], v[8:9]
	s_delay_alu instid0(VALU_DEP_2) | instskip(NEXT) | instid1(VALU_DEP_2)
	v_add_f64 v[28:29], v[26:27], v[24:25]
	v_add_f64 v[34:35], v[32:33], v[8:9]
	s_delay_alu instid0(VALU_DEP_2) | instskip(SKIP_1) | instid1(VALU_DEP_2)
	v_rcp_f64_e32 v[30:31], v[28:29]
	v_add_f64 v[26:27], v[28:29], -v[26:27]
	v_add_f64 v[32:33], v[34:35], -v[32:33]
	s_delay_alu instid0(VALU_DEP_2) | instskip(SKIP_3) | instid1(VALU_DEP_2)
	v_add_f64 v[24:25], v[24:25], -v[26:27]
	s_waitcnt_depctr 0xfff
	v_fma_f64 v[131:132], -v[28:29], v[30:31], 1.0
	v_add_f64 v[8:9], v[8:9], -v[32:33]
	v_fma_f64 v[30:31], v[131:132], v[30:31], v[30:31]
	s_delay_alu instid0(VALU_DEP_1) | instskip(NEXT) | instid1(VALU_DEP_1)
	v_fma_f64 v[22:23], -v[28:29], v[30:31], 1.0
	v_fma_f64 v[22:23], v[22:23], v[30:31], v[30:31]
	s_delay_alu instid0(VALU_DEP_1) | instskip(NEXT) | instid1(VALU_DEP_1)
	v_mul_f64 v[30:31], v[34:35], v[22:23]
	v_mul_f64 v[131:132], v[28:29], v[30:31]
	s_delay_alu instid0(VALU_DEP_1) | instskip(NEXT) | instid1(VALU_DEP_1)
	v_fma_f64 v[26:27], v[30:31], v[28:29], -v[131:132]
	v_fma_f64 v[26:27], v[30:31], v[24:25], v[26:27]
	s_delay_alu instid0(VALU_DEP_1) | instskip(NEXT) | instid1(VALU_DEP_1)
	v_add_f64 v[144:145], v[131:132], v[26:27]
	v_add_f64 v[146:147], v[34:35], -v[144:145]
	v_add_f64 v[32:33], v[144:145], -v[131:132]
	s_delay_alu instid0(VALU_DEP_2) | instskip(NEXT) | instid1(VALU_DEP_2)
	v_add_f64 v[34:35], v[34:35], -v[146:147]
	v_add_f64 v[26:27], v[32:33], -v[26:27]
	s_delay_alu instid0(VALU_DEP_2) | instskip(NEXT) | instid1(VALU_DEP_1)
	v_add_f64 v[34:35], v[34:35], -v[144:145]
	v_add_f64 v[8:9], v[8:9], v[34:35]
	s_delay_alu instid0(VALU_DEP_1) | instskip(NEXT) | instid1(VALU_DEP_1)
	v_add_f64 v[8:9], v[26:27], v[8:9]
	v_add_f64 v[26:27], v[146:147], v[8:9]
	s_delay_alu instid0(VALU_DEP_1) | instskip(SKIP_1) | instid1(VALU_DEP_2)
	v_mul_f64 v[32:33], v[22:23], v[26:27]
	v_add_f64 v[144:145], v[146:147], -v[26:27]
	v_mul_f64 v[34:35], v[28:29], v[32:33]
	s_delay_alu instid0(VALU_DEP_2) | instskip(NEXT) | instid1(VALU_DEP_2)
	v_add_f64 v[8:9], v[8:9], v[144:145]
	v_fma_f64 v[28:29], v[32:33], v[28:29], -v[34:35]
	s_delay_alu instid0(VALU_DEP_1) | instskip(NEXT) | instid1(VALU_DEP_1)
	v_fma_f64 v[24:25], v[32:33], v[24:25], v[28:29]
	v_add_f64 v[28:29], v[34:35], v[24:25]
	s_delay_alu instid0(VALU_DEP_1) | instskip(SKIP_1) | instid1(VALU_DEP_2)
	v_add_f64 v[131:132], v[26:27], -v[28:29]
	v_add_f64 v[34:35], v[28:29], -v[34:35]
	;; [unrolled: 1-line block ×3, first 2 shown]
	s_delay_alu instid0(VALU_DEP_2) | instskip(NEXT) | instid1(VALU_DEP_2)
	v_add_f64 v[24:25], v[34:35], -v[24:25]
	v_add_f64 v[26:27], v[26:27], -v[28:29]
	s_delay_alu instid0(VALU_DEP_1) | instskip(SKIP_1) | instid1(VALU_DEP_2)
	v_add_f64 v[8:9], v[8:9], v[26:27]
	v_add_f64 v[26:27], v[30:31], v[32:33]
	;; [unrolled: 1-line block ×3, first 2 shown]
	s_delay_alu instid0(VALU_DEP_2) | instskip(NEXT) | instid1(VALU_DEP_2)
	v_add_f64 v[24:25], v[26:27], -v[30:31]
	v_add_f64 v[8:9], v[131:132], v[8:9]
	s_delay_alu instid0(VALU_DEP_2) | instskip(NEXT) | instid1(VALU_DEP_2)
	v_add_f64 v[24:25], v[32:33], -v[24:25]
	v_mul_f64 v[8:9], v[22:23], v[8:9]
	s_delay_alu instid0(VALU_DEP_1) | instskip(NEXT) | instid1(VALU_DEP_1)
	v_add_f64 v[8:9], v[24:25], v[8:9]
	v_add_f64 v[22:23], v[26:27], v[8:9]
	s_delay_alu instid0(VALU_DEP_1) | instskip(NEXT) | instid1(VALU_DEP_1)
	v_mul_f64 v[24:25], v[22:23], v[22:23]
	v_fma_f64 v[28:29], v[24:25], s[22:23], s[20:21]
	s_mov_b32 s20, 0xd7f4df2e
	s_mov_b32 s21, 0x3fc7474d
	v_mul_f64 v[30:31], v[22:23], v[24:25]
	s_delay_alu instid0(VALU_DEP_2)
	v_fma_f64 v[28:29], v[24:25], v[28:29], s[20:21]
	s_mov_b32 s20, 0x16291751
	s_mov_b32 s21, 0x3fcc71c0
	s_delay_alu instid0(VALU_DEP_1) | instid1(SALU_CYCLE_1)
	v_fma_f64 v[28:29], v[24:25], v[28:29], s[20:21]
	s_mov_b32 s20, 0x9b27acf1
	s_mov_b32 s21, 0x3fd24924
	s_delay_alu instid0(VALU_DEP_1) | instid1(SALU_CYCLE_1)
	;; [unrolled: 4-line block ×3, first 2 shown]
	v_fma_f64 v[28:29], v[24:25], v[28:29], s[20:21]
	s_delay_alu instid0(VALU_DEP_1) | instskip(SKIP_2) | instid1(VALU_DEP_3)
	v_fma_f64 v[24:25], v[24:25], v[28:29], s[10:11]
	v_ldexp_f64 v[28:29], v[22:23], 1
	v_add_f64 v[22:23], v[22:23], -v[26:27]
	v_mul_f64 v[24:25], v[30:31], v[24:25]
	v_cvt_f64_i32_e32 v[30:31], v148
	s_delay_alu instid0(VALU_DEP_3) | instskip(NEXT) | instid1(VALU_DEP_3)
	v_add_f64 v[8:9], v[8:9], -v[22:23]
	v_add_f64 v[26:27], v[28:29], v[24:25]
	s_delay_alu instid0(VALU_DEP_3) | instskip(NEXT) | instid1(VALU_DEP_3)
	v_mul_f64 v[32:33], v[30:31], s[12:13]
	v_ldexp_f64 v[8:9], v[8:9], 1
	s_delay_alu instid0(VALU_DEP_3) | instskip(NEXT) | instid1(VALU_DEP_3)
	v_add_f64 v[22:23], v[26:27], -v[28:29]
	v_fma_f64 v[28:29], v[30:31], s[12:13], -v[32:33]
	s_delay_alu instid0(VALU_DEP_2) | instskip(NEXT) | instid1(VALU_DEP_2)
	v_add_f64 v[22:23], v[24:25], -v[22:23]
	v_fma_f64 v[24:25], v[30:31], s[14:15], v[28:29]
	s_delay_alu instid0(VALU_DEP_2) | instskip(NEXT) | instid1(VALU_DEP_2)
	v_add_f64 v[8:9], v[8:9], v[22:23]
	v_add_f64 v[22:23], v[32:33], v[24:25]
	s_delay_alu instid0(VALU_DEP_2) | instskip(NEXT) | instid1(VALU_DEP_2)
	v_add_f64 v[28:29], v[26:27], v[8:9]
	v_add_f64 v[32:33], v[22:23], -v[32:33]
	s_delay_alu instid0(VALU_DEP_2) | instskip(SKIP_1) | instid1(VALU_DEP_3)
	v_add_f64 v[30:31], v[22:23], v[28:29]
	v_add_f64 v[26:27], v[28:29], -v[26:27]
	v_add_f64 v[24:25], v[24:25], -v[32:33]
	s_delay_alu instid0(VALU_DEP_3) | instskip(NEXT) | instid1(VALU_DEP_3)
	v_add_f64 v[34:35], v[30:31], -v[22:23]
	v_add_f64 v[8:9], v[8:9], -v[26:27]
	s_delay_alu instid0(VALU_DEP_2) | instskip(SKIP_1) | instid1(VALU_DEP_3)
	v_add_f64 v[131:132], v[30:31], -v[34:35]
	v_add_f64 v[26:27], v[28:29], -v[34:35]
	v_add_f64 v[28:29], v[24:25], v[8:9]
	s_delay_alu instid0(VALU_DEP_3) | instskip(NEXT) | instid1(VALU_DEP_1)
	v_add_f64 v[22:23], v[22:23], -v[131:132]
	v_add_f64 v[22:23], v[26:27], v[22:23]
	s_delay_alu instid0(VALU_DEP_3) | instskip(NEXT) | instid1(VALU_DEP_2)
	v_add_f64 v[26:27], v[28:29], -v[24:25]
	v_add_f64 v[22:23], v[28:29], v[22:23]
	s_delay_alu instid0(VALU_DEP_2) | instskip(SKIP_1) | instid1(VALU_DEP_3)
	v_add_f64 v[28:29], v[28:29], -v[26:27]
	v_add_f64 v[8:9], v[8:9], -v[26:27]
	v_add_f64 v[32:33], v[30:31], v[22:23]
	s_delay_alu instid0(VALU_DEP_3) | instskip(NEXT) | instid1(VALU_DEP_2)
	v_add_f64 v[24:25], v[24:25], -v[28:29]
	v_add_f64 v[26:27], v[32:33], -v[30:31]
	s_delay_alu instid0(VALU_DEP_2) | instskip(NEXT) | instid1(VALU_DEP_2)
	v_add_f64 v[8:9], v[8:9], v[24:25]
	v_add_f64 v[22:23], v[22:23], -v[26:27]
	s_delay_alu instid0(VALU_DEP_1) | instskip(NEXT) | instid1(VALU_DEP_1)
	v_add_f64 v[8:9], v[8:9], v[22:23]
	v_add_f64 v[8:9], v[32:33], v[8:9]
	s_delay_alu instid0(VALU_DEP_1) | instskip(SKIP_1) | instid1(VALU_DEP_2)
	v_dual_cndmask_b32 v9, v9, v5 :: v_dual_cndmask_b32 v8, v8, v4
	v_cmp_ngt_f64_e32 vcc_lo, -1.0, v[4:5]
	v_cndmask_b32_e32 v9, 0x7ff80000, v9, vcc_lo
	v_cmp_nge_f64_e32 vcc_lo, -1.0, v[4:5]
	s_delay_alu instid0(VALU_DEP_4) | instskip(SKIP_1) | instid1(VALU_DEP_4)
	v_cndmask_b32_e32 v8, 0, v8, vcc_lo
	v_cmp_neq_f64_e32 vcc_lo, -1.0, v[4:5]
	v_cndmask_b32_e32 v9, 0xfff00000, v9, vcc_lo
	s_delay_alu instid0(VALU_DEP_1)
	v_add_f64 v[4:5], v[6:7], v[8:9]
.LBB76_38:
	s_or_b32 exec_lo, exec_lo, s16
	v_max_f64 v[22:23], v[84:85], v[84:85]
	s_delay_alu instid0(VALU_DEP_2) | instskip(SKIP_2) | instid1(VALU_DEP_3)
	v_max_f64 v[6:7], v[4:5], v[4:5]
	v_cmp_u_f64_e32 vcc_lo, v[4:5], v[4:5]
	v_cmp_u_f64_e64 s10, v[84:85], v[84:85]
	v_min_f64 v[8:9], v[6:7], v[22:23]
	v_max_f64 v[6:7], v[6:7], v[22:23]
	s_delay_alu instid0(VALU_DEP_2) | instskip(NEXT) | instid1(VALU_DEP_2)
	v_dual_cndmask_b32 v8, v8, v4 :: v_dual_cndmask_b32 v9, v9, v5
	v_dual_cndmask_b32 v7, v7, v5 :: v_dual_cndmask_b32 v6, v6, v4
	s_delay_alu instid0(VALU_DEP_2) | instskip(NEXT) | instid1(VALU_DEP_3)
	v_cndmask_b32_e64 v8, v8, v84, s10
	v_cndmask_b32_e64 v9, v9, v85, s10
	s_delay_alu instid0(VALU_DEP_3) | instskip(NEXT) | instid1(VALU_DEP_4)
	v_cndmask_b32_e64 v7, v7, v85, s10
	v_cndmask_b32_e64 v6, v6, v84, s10
	s_delay_alu instid0(VALU_DEP_3) | instskip(NEXT) | instid1(VALU_DEP_2)
	v_cmp_class_f64_e64 s11, v[8:9], 0x1f8
	v_cmp_neq_f64_e32 vcc_lo, v[8:9], v[6:7]
	s_delay_alu instid0(VALU_DEP_2) | instskip(NEXT) | instid1(SALU_CYCLE_1)
	s_or_b32 s11, vcc_lo, s11
	s_and_saveexec_b32 s19, s11
	s_cbranch_execz .LBB76_40
; %bb.39:
	v_add_f64 v[4:5], v[8:9], -v[6:7]
	s_mov_b32 s12, 0x652b82fe
	s_mov_b32 s13, 0x3ff71547
	;; [unrolled: 1-line block ×10, first 2 shown]
	s_delay_alu instid0(VALU_DEP_1) | instskip(SKIP_4) | instid1(VALU_DEP_3)
	v_mul_f64 v[8:9], v[4:5], s[12:13]
	s_mov_b32 s13, 0xbfe62e42
	s_mov_b32 s12, 0xfefa39ef
	v_cmp_nlt_f64_e32 vcc_lo, 0x40900000, v[4:5]
	v_cmp_ngt_f64_e64 s11, 0xc090cc00, v[4:5]
	v_rndne_f64_e32 v[8:9], v[8:9]
	s_delay_alu instid0(VALU_DEP_1) | instskip(SKIP_2) | instid1(VALU_DEP_2)
	v_fma_f64 v[24:25], v[8:9], s[12:13], v[4:5]
	v_cvt_i32_f64_e32 v28, v[8:9]
	s_mov_b32 s13, 0x3fe62e42
	v_fma_f64 v[24:25], v[8:9], s[14:15], v[24:25]
	s_mov_b32 s15, 0x3c7abc9e
	s_delay_alu instid0(VALU_DEP_1) | instskip(SKIP_4) | instid1(VALU_DEP_1)
	v_fma_f64 v[26:27], v[24:25], s[20:21], s[16:17]
	s_mov_b32 s16, 0x623fde64
	s_mov_b32 s17, 0x3ec71dee
	;; [unrolled: 1-line block ×4, first 2 shown]
	v_fma_f64 v[26:27], v[24:25], v[26:27], s[16:17]
	s_mov_b32 s16, 0x7c89e6b0
	s_mov_b32 s17, 0x3efa0199
	s_delay_alu instid0(VALU_DEP_1) | instid1(SALU_CYCLE_1)
	v_fma_f64 v[26:27], v[24:25], v[26:27], s[16:17]
	s_mov_b32 s16, 0x14761f6e
	s_mov_b32 s17, 0x3f2a01a0
	s_delay_alu instid0(VALU_DEP_1) | instid1(SALU_CYCLE_1)
	;; [unrolled: 4-line block ×7, first 2 shown]
	v_fma_f64 v[26:27], v[24:25], v[26:27], s[16:17]
	s_mov_b32 s17, 0x3fe55555
	s_mov_b32 s16, 0x55555555
	s_delay_alu instid0(VALU_DEP_1) | instskip(NEXT) | instid1(VALU_DEP_1)
	v_fma_f64 v[26:27], v[24:25], v[26:27], 1.0
	v_fma_f64 v[8:9], v[24:25], v[26:27], 1.0
	s_delay_alu instid0(VALU_DEP_1) | instskip(NEXT) | instid1(VALU_DEP_1)
	v_ldexp_f64 v[8:9], v[8:9], v28
	v_cndmask_b32_e32 v9, 0x7ff00000, v9, vcc_lo
	s_and_b32 vcc_lo, s11, vcc_lo
	s_delay_alu instid0(VALU_DEP_1) | instskip(NEXT) | instid1(VALU_DEP_3)
	v_cndmask_b32_e64 v5, 0, v9, s11
	v_cndmask_b32_e32 v4, 0, v8, vcc_lo
	s_delay_alu instid0(VALU_DEP_1) | instskip(NEXT) | instid1(VALU_DEP_1)
	v_add_f64 v[8:9], v[4:5], 1.0
	v_frexp_mant_f64_e32 v[24:25], v[8:9]
	v_frexp_exp_i32_f64_e32 v28, v[8:9]
	v_add_f64 v[26:27], v[8:9], -1.0
	s_delay_alu instid0(VALU_DEP_3) | instskip(SKIP_1) | instid1(VALU_DEP_2)
	v_cmp_gt_f64_e32 vcc_lo, s[16:17], v[24:25]
	s_mov_b32 s16, 0x55555780
	v_add_f64 v[24:25], v[26:27], -v[8:9]
	v_add_f64 v[26:27], v[4:5], -v[26:27]
	v_subrev_co_ci_u32_e32 v150, vcc_lo, 0, v28, vcc_lo
	s_delay_alu instid0(VALU_DEP_3) | instskip(SKIP_1) | instid1(VALU_DEP_3)
	v_add_f64 v[24:25], v[24:25], 1.0
	v_cmp_eq_f64_e32 vcc_lo, 0x7ff00000, v[4:5]
	v_sub_nc_u32_e32 v30, 0, v150
	s_delay_alu instid0(VALU_DEP_1) | instskip(NEXT) | instid1(VALU_DEP_4)
	v_ldexp_f64 v[8:9], v[8:9], v30
	v_add_f64 v[24:25], v[26:27], v[24:25]
	s_delay_alu instid0(VALU_DEP_2) | instskip(SKIP_1) | instid1(VALU_DEP_3)
	v_add_f64 v[28:29], v[8:9], 1.0
	v_add_f64 v[34:35], v[8:9], -1.0
	v_ldexp_f64 v[24:25], v[24:25], v30
	s_delay_alu instid0(VALU_DEP_3) | instskip(NEXT) | instid1(VALU_DEP_3)
	v_add_f64 v[26:27], v[28:29], -1.0
	v_add_f64 v[131:132], v[34:35], 1.0
	s_delay_alu instid0(VALU_DEP_2) | instskip(NEXT) | instid1(VALU_DEP_2)
	v_add_f64 v[26:27], v[8:9], -v[26:27]
	v_add_f64 v[8:9], v[8:9], -v[131:132]
	s_delay_alu instid0(VALU_DEP_2) | instskip(NEXT) | instid1(VALU_DEP_2)
	v_add_f64 v[26:27], v[24:25], v[26:27]
	v_add_f64 v[8:9], v[24:25], v[8:9]
	s_delay_alu instid0(VALU_DEP_2) | instskip(NEXT) | instid1(VALU_DEP_2)
	v_add_f64 v[30:31], v[28:29], v[26:27]
	v_add_f64 v[131:132], v[34:35], v[8:9]
	s_delay_alu instid0(VALU_DEP_2) | instskip(SKIP_1) | instid1(VALU_DEP_2)
	v_rcp_f64_e32 v[32:33], v[30:31]
	v_add_f64 v[28:29], v[30:31], -v[28:29]
	v_add_f64 v[34:35], v[131:132], -v[34:35]
	s_delay_alu instid0(VALU_DEP_2) | instskip(SKIP_3) | instid1(VALU_DEP_2)
	v_add_f64 v[26:27], v[26:27], -v[28:29]
	s_waitcnt_depctr 0xfff
	v_fma_f64 v[144:145], -v[30:31], v[32:33], 1.0
	v_add_f64 v[8:9], v[8:9], -v[34:35]
	v_fma_f64 v[32:33], v[144:145], v[32:33], v[32:33]
	s_delay_alu instid0(VALU_DEP_1) | instskip(NEXT) | instid1(VALU_DEP_1)
	v_fma_f64 v[24:25], -v[30:31], v[32:33], 1.0
	v_fma_f64 v[24:25], v[24:25], v[32:33], v[32:33]
	s_delay_alu instid0(VALU_DEP_1) | instskip(NEXT) | instid1(VALU_DEP_1)
	v_mul_f64 v[32:33], v[131:132], v[24:25]
	v_mul_f64 v[144:145], v[30:31], v[32:33]
	s_delay_alu instid0(VALU_DEP_1) | instskip(NEXT) | instid1(VALU_DEP_1)
	v_fma_f64 v[28:29], v[32:33], v[30:31], -v[144:145]
	v_fma_f64 v[28:29], v[32:33], v[26:27], v[28:29]
	s_delay_alu instid0(VALU_DEP_1) | instskip(NEXT) | instid1(VALU_DEP_1)
	v_add_f64 v[146:147], v[144:145], v[28:29]
	v_add_f64 v[148:149], v[131:132], -v[146:147]
	v_add_f64 v[34:35], v[146:147], -v[144:145]
	s_delay_alu instid0(VALU_DEP_2) | instskip(NEXT) | instid1(VALU_DEP_2)
	v_add_f64 v[131:132], v[131:132], -v[148:149]
	v_add_f64 v[28:29], v[34:35], -v[28:29]
	s_delay_alu instid0(VALU_DEP_2) | instskip(NEXT) | instid1(VALU_DEP_1)
	v_add_f64 v[131:132], v[131:132], -v[146:147]
	v_add_f64 v[8:9], v[8:9], v[131:132]
	s_delay_alu instid0(VALU_DEP_1) | instskip(NEXT) | instid1(VALU_DEP_1)
	v_add_f64 v[8:9], v[28:29], v[8:9]
	v_add_f64 v[28:29], v[148:149], v[8:9]
	s_delay_alu instid0(VALU_DEP_1) | instskip(SKIP_1) | instid1(VALU_DEP_2)
	v_mul_f64 v[34:35], v[24:25], v[28:29]
	v_add_f64 v[146:147], v[148:149], -v[28:29]
	v_mul_f64 v[131:132], v[30:31], v[34:35]
	s_delay_alu instid0(VALU_DEP_2) | instskip(NEXT) | instid1(VALU_DEP_2)
	v_add_f64 v[8:9], v[8:9], v[146:147]
	v_fma_f64 v[30:31], v[34:35], v[30:31], -v[131:132]
	s_delay_alu instid0(VALU_DEP_1) | instskip(NEXT) | instid1(VALU_DEP_1)
	v_fma_f64 v[26:27], v[34:35], v[26:27], v[30:31]
	v_add_f64 v[30:31], v[131:132], v[26:27]
	s_delay_alu instid0(VALU_DEP_1) | instskip(SKIP_1) | instid1(VALU_DEP_2)
	v_add_f64 v[144:145], v[28:29], -v[30:31]
	v_add_f64 v[131:132], v[30:31], -v[131:132]
	;; [unrolled: 1-line block ×3, first 2 shown]
	s_delay_alu instid0(VALU_DEP_2) | instskip(NEXT) | instid1(VALU_DEP_2)
	v_add_f64 v[26:27], v[131:132], -v[26:27]
	v_add_f64 v[28:29], v[28:29], -v[30:31]
	s_delay_alu instid0(VALU_DEP_1) | instskip(SKIP_1) | instid1(VALU_DEP_2)
	v_add_f64 v[8:9], v[8:9], v[28:29]
	v_add_f64 v[28:29], v[32:33], v[34:35]
	;; [unrolled: 1-line block ×3, first 2 shown]
	s_delay_alu instid0(VALU_DEP_2) | instskip(NEXT) | instid1(VALU_DEP_2)
	v_add_f64 v[26:27], v[28:29], -v[32:33]
	v_add_f64 v[8:9], v[144:145], v[8:9]
	s_delay_alu instid0(VALU_DEP_2) | instskip(NEXT) | instid1(VALU_DEP_2)
	v_add_f64 v[26:27], v[34:35], -v[26:27]
	v_mul_f64 v[8:9], v[24:25], v[8:9]
	s_delay_alu instid0(VALU_DEP_1) | instskip(NEXT) | instid1(VALU_DEP_1)
	v_add_f64 v[8:9], v[26:27], v[8:9]
	v_add_f64 v[24:25], v[28:29], v[8:9]
	s_delay_alu instid0(VALU_DEP_1) | instskip(NEXT) | instid1(VALU_DEP_1)
	v_mul_f64 v[26:27], v[24:25], v[24:25]
	v_fma_f64 v[30:31], v[26:27], s[22:23], s[20:21]
	s_mov_b32 s20, 0xd7f4df2e
	s_mov_b32 s21, 0x3fc7474d
	v_mul_f64 v[32:33], v[24:25], v[26:27]
	s_delay_alu instid0(VALU_DEP_2)
	v_fma_f64 v[30:31], v[26:27], v[30:31], s[20:21]
	s_mov_b32 s20, 0x16291751
	s_mov_b32 s21, 0x3fcc71c0
	s_delay_alu instid0(VALU_DEP_1) | instid1(SALU_CYCLE_1)
	v_fma_f64 v[30:31], v[26:27], v[30:31], s[20:21]
	s_mov_b32 s20, 0x9b27acf1
	s_mov_b32 s21, 0x3fd24924
	s_delay_alu instid0(VALU_DEP_1) | instid1(SALU_CYCLE_1)
	;; [unrolled: 4-line block ×3, first 2 shown]
	v_fma_f64 v[30:31], v[26:27], v[30:31], s[20:21]
	s_delay_alu instid0(VALU_DEP_1) | instskip(SKIP_2) | instid1(VALU_DEP_3)
	v_fma_f64 v[26:27], v[26:27], v[30:31], s[16:17]
	v_ldexp_f64 v[30:31], v[24:25], 1
	v_add_f64 v[24:25], v[24:25], -v[28:29]
	v_mul_f64 v[26:27], v[32:33], v[26:27]
	v_cvt_f64_i32_e32 v[32:33], v150
	s_delay_alu instid0(VALU_DEP_3) | instskip(NEXT) | instid1(VALU_DEP_3)
	v_add_f64 v[8:9], v[8:9], -v[24:25]
	v_add_f64 v[28:29], v[30:31], v[26:27]
	s_delay_alu instid0(VALU_DEP_3) | instskip(NEXT) | instid1(VALU_DEP_3)
	v_mul_f64 v[34:35], v[32:33], s[12:13]
	v_ldexp_f64 v[8:9], v[8:9], 1
	s_delay_alu instid0(VALU_DEP_3) | instskip(NEXT) | instid1(VALU_DEP_3)
	v_add_f64 v[24:25], v[28:29], -v[30:31]
	v_fma_f64 v[30:31], v[32:33], s[12:13], -v[34:35]
	s_delay_alu instid0(VALU_DEP_2) | instskip(NEXT) | instid1(VALU_DEP_2)
	v_add_f64 v[24:25], v[26:27], -v[24:25]
	v_fma_f64 v[26:27], v[32:33], s[14:15], v[30:31]
	s_delay_alu instid0(VALU_DEP_2) | instskip(NEXT) | instid1(VALU_DEP_2)
	v_add_f64 v[8:9], v[8:9], v[24:25]
	v_add_f64 v[24:25], v[34:35], v[26:27]
	s_delay_alu instid0(VALU_DEP_2) | instskip(NEXT) | instid1(VALU_DEP_2)
	v_add_f64 v[30:31], v[28:29], v[8:9]
	v_add_f64 v[34:35], v[24:25], -v[34:35]
	s_delay_alu instid0(VALU_DEP_2) | instskip(SKIP_1) | instid1(VALU_DEP_3)
	v_add_f64 v[32:33], v[24:25], v[30:31]
	v_add_f64 v[28:29], v[30:31], -v[28:29]
	v_add_f64 v[26:27], v[26:27], -v[34:35]
	s_delay_alu instid0(VALU_DEP_3) | instskip(NEXT) | instid1(VALU_DEP_3)
	v_add_f64 v[131:132], v[32:33], -v[24:25]
	v_add_f64 v[8:9], v[8:9], -v[28:29]
	s_delay_alu instid0(VALU_DEP_2) | instskip(SKIP_1) | instid1(VALU_DEP_3)
	v_add_f64 v[144:145], v[32:33], -v[131:132]
	v_add_f64 v[28:29], v[30:31], -v[131:132]
	v_add_f64 v[30:31], v[26:27], v[8:9]
	s_delay_alu instid0(VALU_DEP_3) | instskip(NEXT) | instid1(VALU_DEP_1)
	v_add_f64 v[24:25], v[24:25], -v[144:145]
	v_add_f64 v[24:25], v[28:29], v[24:25]
	s_delay_alu instid0(VALU_DEP_3) | instskip(NEXT) | instid1(VALU_DEP_2)
	v_add_f64 v[28:29], v[30:31], -v[26:27]
	v_add_f64 v[24:25], v[30:31], v[24:25]
	s_delay_alu instid0(VALU_DEP_2) | instskip(SKIP_1) | instid1(VALU_DEP_3)
	v_add_f64 v[30:31], v[30:31], -v[28:29]
	v_add_f64 v[8:9], v[8:9], -v[28:29]
	v_add_f64 v[34:35], v[32:33], v[24:25]
	s_delay_alu instid0(VALU_DEP_3) | instskip(NEXT) | instid1(VALU_DEP_2)
	v_add_f64 v[26:27], v[26:27], -v[30:31]
	v_add_f64 v[28:29], v[34:35], -v[32:33]
	s_delay_alu instid0(VALU_DEP_2) | instskip(NEXT) | instid1(VALU_DEP_2)
	v_add_f64 v[8:9], v[8:9], v[26:27]
	v_add_f64 v[24:25], v[24:25], -v[28:29]
	s_delay_alu instid0(VALU_DEP_1) | instskip(NEXT) | instid1(VALU_DEP_1)
	v_add_f64 v[8:9], v[8:9], v[24:25]
	v_add_f64 v[8:9], v[34:35], v[8:9]
	s_delay_alu instid0(VALU_DEP_1) | instskip(SKIP_1) | instid1(VALU_DEP_2)
	v_dual_cndmask_b32 v9, v9, v5 :: v_dual_cndmask_b32 v8, v8, v4
	v_cmp_ngt_f64_e32 vcc_lo, -1.0, v[4:5]
	v_cndmask_b32_e32 v9, 0x7ff80000, v9, vcc_lo
	v_cmp_nge_f64_e32 vcc_lo, -1.0, v[4:5]
	s_delay_alu instid0(VALU_DEP_4) | instskip(SKIP_1) | instid1(VALU_DEP_4)
	v_cndmask_b32_e32 v8, 0, v8, vcc_lo
	v_cmp_neq_f64_e32 vcc_lo, -1.0, v[4:5]
	v_cndmask_b32_e32 v9, 0xfff00000, v9, vcc_lo
	s_delay_alu instid0(VALU_DEP_1)
	v_add_f64 v[4:5], v[6:7], v[8:9]
.LBB76_40:
	s_or_b32 exec_lo, exec_lo, s19
	v_max_f64 v[24:25], v[86:87], v[86:87]
	s_delay_alu instid0(VALU_DEP_2) | instskip(SKIP_2) | instid1(VALU_DEP_3)
	v_max_f64 v[6:7], v[4:5], v[4:5]
	v_cmp_u_f64_e32 vcc_lo, v[4:5], v[4:5]
	v_cmp_u_f64_e64 s11, v[86:87], v[86:87]
	v_min_f64 v[8:9], v[6:7], v[24:25]
	v_max_f64 v[6:7], v[6:7], v[24:25]
	s_delay_alu instid0(VALU_DEP_2) | instskip(NEXT) | instid1(VALU_DEP_2)
	v_dual_cndmask_b32 v8, v8, v4 :: v_dual_cndmask_b32 v9, v9, v5
	v_dual_cndmask_b32 v7, v7, v5 :: v_dual_cndmask_b32 v6, v6, v4
	s_delay_alu instid0(VALU_DEP_2) | instskip(NEXT) | instid1(VALU_DEP_3)
	v_cndmask_b32_e64 v8, v8, v86, s11
	v_cndmask_b32_e64 v9, v9, v87, s11
	s_delay_alu instid0(VALU_DEP_3) | instskip(NEXT) | instid1(VALU_DEP_4)
	v_cndmask_b32_e64 v7, v7, v87, s11
	v_cndmask_b32_e64 v6, v6, v86, s11
	s_delay_alu instid0(VALU_DEP_3) | instskip(NEXT) | instid1(VALU_DEP_2)
	v_cmp_class_f64_e64 s12, v[8:9], 0x1f8
	v_cmp_neq_f64_e32 vcc_lo, v[8:9], v[6:7]
	s_delay_alu instid0(VALU_DEP_2) | instskip(NEXT) | instid1(SALU_CYCLE_1)
	s_or_b32 s12, vcc_lo, s12
	s_and_saveexec_b32 s19, s12
	s_cbranch_execz .LBB76_42
; %bb.41:
	v_add_f64 v[4:5], v[8:9], -v[6:7]
	s_mov_b32 s12, 0x652b82fe
	s_mov_b32 s13, 0x3ff71547
	;; [unrolled: 1-line block ×10, first 2 shown]
	s_delay_alu instid0(VALU_DEP_1) | instskip(SKIP_3) | instid1(VALU_DEP_2)
	v_mul_f64 v[8:9], v[4:5], s[12:13]
	s_mov_b32 s12, 0xfca7ab0c
	s_mov_b32 s13, 0x3e928af3
	v_cmp_nlt_f64_e32 vcc_lo, 0x40900000, v[4:5]
	v_rndne_f64_e32 v[8:9], v[8:9]
	s_delay_alu instid0(VALU_DEP_1) | instskip(SKIP_2) | instid1(VALU_DEP_2)
	v_fma_f64 v[26:27], v[8:9], s[14:15], v[4:5]
	v_cvt_i32_f64_e32 v30, v[8:9]
	s_mov_b32 s15, 0x3fe62e42
	v_fma_f64 v[26:27], v[8:9], s[16:17], v[26:27]
	s_mov_b32 s17, 0x3c7abc9e
	s_delay_alu instid0(VALU_DEP_1) | instskip(SKIP_4) | instid1(VALU_DEP_1)
	v_fma_f64 v[28:29], v[26:27], s[20:21], s[12:13]
	s_mov_b32 s12, 0x623fde64
	s_mov_b32 s13, 0x3ec71dee
	;; [unrolled: 1-line block ×4, first 2 shown]
	v_fma_f64 v[28:29], v[26:27], v[28:29], s[12:13]
	s_mov_b32 s12, 0x7c89e6b0
	s_mov_b32 s13, 0x3efa0199
	s_delay_alu instid0(VALU_DEP_1) | instid1(SALU_CYCLE_1)
	v_fma_f64 v[28:29], v[26:27], v[28:29], s[12:13]
	s_mov_b32 s12, 0x14761f6e
	s_mov_b32 s13, 0x3f2a01a0
	s_delay_alu instid0(VALU_DEP_1) | instid1(SALU_CYCLE_1)
	;; [unrolled: 4-line block ×7, first 2 shown]
	v_fma_f64 v[28:29], v[26:27], v[28:29], s[12:13]
	v_cmp_ngt_f64_e64 s12, 0xc090cc00, v[4:5]
	s_mov_b32 s13, 0x3fe55555
	s_delay_alu instid0(VALU_DEP_2) | instskip(NEXT) | instid1(VALU_DEP_1)
	v_fma_f64 v[28:29], v[26:27], v[28:29], 1.0
	v_fma_f64 v[8:9], v[26:27], v[28:29], 1.0
	s_delay_alu instid0(VALU_DEP_1) | instskip(NEXT) | instid1(VALU_DEP_1)
	v_ldexp_f64 v[8:9], v[8:9], v30
	v_cndmask_b32_e32 v9, 0x7ff00000, v9, vcc_lo
	s_and_b32 vcc_lo, s12, vcc_lo
	s_delay_alu instid0(VALU_DEP_1) | instskip(NEXT) | instid1(VALU_DEP_3)
	v_cndmask_b32_e64 v5, 0, v9, s12
	v_cndmask_b32_e32 v4, 0, v8, vcc_lo
	s_mov_b32 s12, 0x55555555
	s_delay_alu instid0(VALU_DEP_1) | instskip(NEXT) | instid1(VALU_DEP_1)
	v_add_f64 v[8:9], v[4:5], 1.0
	v_frexp_mant_f64_e32 v[26:27], v[8:9]
	v_frexp_exp_i32_f64_e32 v30, v[8:9]
	v_add_f64 v[28:29], v[8:9], -1.0
	s_delay_alu instid0(VALU_DEP_3) | instskip(SKIP_1) | instid1(VALU_DEP_2)
	v_cmp_gt_f64_e32 vcc_lo, s[12:13], v[26:27]
	s_mov_b32 s12, 0x55555780
	v_add_f64 v[26:27], v[28:29], -v[8:9]
	v_add_f64 v[28:29], v[4:5], -v[28:29]
	v_subrev_co_ci_u32_e32 v160, vcc_lo, 0, v30, vcc_lo
	s_delay_alu instid0(VALU_DEP_3) | instskip(SKIP_1) | instid1(VALU_DEP_3)
	v_add_f64 v[26:27], v[26:27], 1.0
	v_cmp_eq_f64_e32 vcc_lo, 0x7ff00000, v[4:5]
	v_sub_nc_u32_e32 v32, 0, v160
	s_delay_alu instid0(VALU_DEP_1) | instskip(NEXT) | instid1(VALU_DEP_4)
	v_ldexp_f64 v[8:9], v[8:9], v32
	v_add_f64 v[26:27], v[28:29], v[26:27]
	s_delay_alu instid0(VALU_DEP_2) | instskip(SKIP_1) | instid1(VALU_DEP_3)
	v_add_f64 v[30:31], v[8:9], 1.0
	v_add_f64 v[131:132], v[8:9], -1.0
	v_ldexp_f64 v[26:27], v[26:27], v32
	s_delay_alu instid0(VALU_DEP_3) | instskip(NEXT) | instid1(VALU_DEP_3)
	v_add_f64 v[28:29], v[30:31], -1.0
	v_add_f64 v[144:145], v[131:132], 1.0
	s_delay_alu instid0(VALU_DEP_2) | instskip(NEXT) | instid1(VALU_DEP_2)
	v_add_f64 v[28:29], v[8:9], -v[28:29]
	v_add_f64 v[8:9], v[8:9], -v[144:145]
	s_delay_alu instid0(VALU_DEP_2) | instskip(NEXT) | instid1(VALU_DEP_2)
	v_add_f64 v[28:29], v[26:27], v[28:29]
	v_add_f64 v[8:9], v[26:27], v[8:9]
	s_delay_alu instid0(VALU_DEP_2) | instskip(NEXT) | instid1(VALU_DEP_2)
	v_add_f64 v[32:33], v[30:31], v[28:29]
	v_add_f64 v[144:145], v[131:132], v[8:9]
	s_delay_alu instid0(VALU_DEP_2) | instskip(SKIP_1) | instid1(VALU_DEP_2)
	v_rcp_f64_e32 v[34:35], v[32:33]
	v_add_f64 v[30:31], v[32:33], -v[30:31]
	v_add_f64 v[131:132], v[144:145], -v[131:132]
	s_delay_alu instid0(VALU_DEP_2) | instskip(SKIP_3) | instid1(VALU_DEP_2)
	v_add_f64 v[28:29], v[28:29], -v[30:31]
	s_waitcnt_depctr 0xfff
	v_fma_f64 v[146:147], -v[32:33], v[34:35], 1.0
	v_add_f64 v[8:9], v[8:9], -v[131:132]
	v_fma_f64 v[34:35], v[146:147], v[34:35], v[34:35]
	s_delay_alu instid0(VALU_DEP_1) | instskip(NEXT) | instid1(VALU_DEP_1)
	v_fma_f64 v[26:27], -v[32:33], v[34:35], 1.0
	v_fma_f64 v[26:27], v[26:27], v[34:35], v[34:35]
	s_delay_alu instid0(VALU_DEP_1) | instskip(NEXT) | instid1(VALU_DEP_1)
	v_mul_f64 v[34:35], v[144:145], v[26:27]
	v_mul_f64 v[146:147], v[32:33], v[34:35]
	s_delay_alu instid0(VALU_DEP_1) | instskip(NEXT) | instid1(VALU_DEP_1)
	v_fma_f64 v[30:31], v[34:35], v[32:33], -v[146:147]
	v_fma_f64 v[30:31], v[34:35], v[28:29], v[30:31]
	s_delay_alu instid0(VALU_DEP_1) | instskip(NEXT) | instid1(VALU_DEP_1)
	v_add_f64 v[148:149], v[146:147], v[30:31]
	v_add_f64 v[150:151], v[144:145], -v[148:149]
	v_add_f64 v[131:132], v[148:149], -v[146:147]
	s_delay_alu instid0(VALU_DEP_2) | instskip(NEXT) | instid1(VALU_DEP_2)
	v_add_f64 v[144:145], v[144:145], -v[150:151]
	v_add_f64 v[30:31], v[131:132], -v[30:31]
	s_delay_alu instid0(VALU_DEP_2) | instskip(NEXT) | instid1(VALU_DEP_1)
	v_add_f64 v[144:145], v[144:145], -v[148:149]
	v_add_f64 v[8:9], v[8:9], v[144:145]
	s_delay_alu instid0(VALU_DEP_1) | instskip(NEXT) | instid1(VALU_DEP_1)
	v_add_f64 v[8:9], v[30:31], v[8:9]
	v_add_f64 v[30:31], v[150:151], v[8:9]
	s_delay_alu instid0(VALU_DEP_1) | instskip(SKIP_1) | instid1(VALU_DEP_2)
	v_mul_f64 v[131:132], v[26:27], v[30:31]
	v_add_f64 v[148:149], v[150:151], -v[30:31]
	v_mul_f64 v[144:145], v[32:33], v[131:132]
	s_delay_alu instid0(VALU_DEP_2) | instskip(NEXT) | instid1(VALU_DEP_2)
	v_add_f64 v[8:9], v[8:9], v[148:149]
	v_fma_f64 v[32:33], v[131:132], v[32:33], -v[144:145]
	s_delay_alu instid0(VALU_DEP_1) | instskip(NEXT) | instid1(VALU_DEP_1)
	v_fma_f64 v[28:29], v[131:132], v[28:29], v[32:33]
	v_add_f64 v[32:33], v[144:145], v[28:29]
	s_delay_alu instid0(VALU_DEP_1) | instskip(SKIP_1) | instid1(VALU_DEP_2)
	v_add_f64 v[146:147], v[30:31], -v[32:33]
	v_add_f64 v[144:145], v[32:33], -v[144:145]
	;; [unrolled: 1-line block ×3, first 2 shown]
	s_delay_alu instid0(VALU_DEP_2) | instskip(NEXT) | instid1(VALU_DEP_2)
	v_add_f64 v[28:29], v[144:145], -v[28:29]
	v_add_f64 v[30:31], v[30:31], -v[32:33]
	s_delay_alu instid0(VALU_DEP_1) | instskip(SKIP_1) | instid1(VALU_DEP_2)
	v_add_f64 v[8:9], v[8:9], v[30:31]
	v_add_f64 v[30:31], v[34:35], v[131:132]
	;; [unrolled: 1-line block ×3, first 2 shown]
	s_delay_alu instid0(VALU_DEP_2) | instskip(NEXT) | instid1(VALU_DEP_2)
	v_add_f64 v[28:29], v[30:31], -v[34:35]
	v_add_f64 v[8:9], v[146:147], v[8:9]
	s_delay_alu instid0(VALU_DEP_2) | instskip(NEXT) | instid1(VALU_DEP_2)
	v_add_f64 v[28:29], v[131:132], -v[28:29]
	v_mul_f64 v[8:9], v[26:27], v[8:9]
	s_delay_alu instid0(VALU_DEP_1) | instskip(NEXT) | instid1(VALU_DEP_1)
	v_add_f64 v[8:9], v[28:29], v[8:9]
	v_add_f64 v[26:27], v[30:31], v[8:9]
	s_delay_alu instid0(VALU_DEP_1) | instskip(NEXT) | instid1(VALU_DEP_1)
	v_mul_f64 v[28:29], v[26:27], v[26:27]
	v_fma_f64 v[32:33], v[28:29], s[22:23], s[20:21]
	s_mov_b32 s20, 0xd7f4df2e
	s_mov_b32 s21, 0x3fc7474d
	v_mul_f64 v[34:35], v[26:27], v[28:29]
	s_delay_alu instid0(VALU_DEP_2)
	v_fma_f64 v[32:33], v[28:29], v[32:33], s[20:21]
	s_mov_b32 s20, 0x16291751
	s_mov_b32 s21, 0x3fcc71c0
	s_delay_alu instid0(VALU_DEP_1) | instid1(SALU_CYCLE_1)
	v_fma_f64 v[32:33], v[28:29], v[32:33], s[20:21]
	s_mov_b32 s20, 0x9b27acf1
	s_mov_b32 s21, 0x3fd24924
	s_delay_alu instid0(VALU_DEP_1) | instid1(SALU_CYCLE_1)
	;; [unrolled: 4-line block ×3, first 2 shown]
	v_fma_f64 v[32:33], v[28:29], v[32:33], s[20:21]
	s_delay_alu instid0(VALU_DEP_1) | instskip(SKIP_2) | instid1(VALU_DEP_3)
	v_fma_f64 v[28:29], v[28:29], v[32:33], s[12:13]
	v_ldexp_f64 v[32:33], v[26:27], 1
	v_add_f64 v[26:27], v[26:27], -v[30:31]
	v_mul_f64 v[28:29], v[34:35], v[28:29]
	v_cvt_f64_i32_e32 v[34:35], v160
	s_delay_alu instid0(VALU_DEP_3) | instskip(NEXT) | instid1(VALU_DEP_3)
	v_add_f64 v[8:9], v[8:9], -v[26:27]
	v_add_f64 v[30:31], v[32:33], v[28:29]
	s_delay_alu instid0(VALU_DEP_3) | instskip(NEXT) | instid1(VALU_DEP_3)
	v_mul_f64 v[131:132], v[34:35], s[14:15]
	v_ldexp_f64 v[8:9], v[8:9], 1
	s_delay_alu instid0(VALU_DEP_3) | instskip(NEXT) | instid1(VALU_DEP_3)
	v_add_f64 v[26:27], v[30:31], -v[32:33]
	v_fma_f64 v[32:33], v[34:35], s[14:15], -v[131:132]
	s_delay_alu instid0(VALU_DEP_2) | instskip(NEXT) | instid1(VALU_DEP_2)
	v_add_f64 v[26:27], v[28:29], -v[26:27]
	v_fma_f64 v[28:29], v[34:35], s[16:17], v[32:33]
	s_delay_alu instid0(VALU_DEP_2) | instskip(NEXT) | instid1(VALU_DEP_2)
	v_add_f64 v[8:9], v[8:9], v[26:27]
	v_add_f64 v[26:27], v[131:132], v[28:29]
	s_delay_alu instid0(VALU_DEP_2) | instskip(NEXT) | instid1(VALU_DEP_2)
	v_add_f64 v[32:33], v[30:31], v[8:9]
	v_add_f64 v[131:132], v[26:27], -v[131:132]
	s_delay_alu instid0(VALU_DEP_2) | instskip(SKIP_1) | instid1(VALU_DEP_3)
	v_add_f64 v[34:35], v[26:27], v[32:33]
	v_add_f64 v[30:31], v[32:33], -v[30:31]
	v_add_f64 v[28:29], v[28:29], -v[131:132]
	s_delay_alu instid0(VALU_DEP_3) | instskip(NEXT) | instid1(VALU_DEP_3)
	v_add_f64 v[144:145], v[34:35], -v[26:27]
	v_add_f64 v[8:9], v[8:9], -v[30:31]
	s_delay_alu instid0(VALU_DEP_2) | instskip(SKIP_1) | instid1(VALU_DEP_3)
	v_add_f64 v[146:147], v[34:35], -v[144:145]
	v_add_f64 v[30:31], v[32:33], -v[144:145]
	v_add_f64 v[32:33], v[28:29], v[8:9]
	s_delay_alu instid0(VALU_DEP_3) | instskip(NEXT) | instid1(VALU_DEP_1)
	v_add_f64 v[26:27], v[26:27], -v[146:147]
	v_add_f64 v[26:27], v[30:31], v[26:27]
	s_delay_alu instid0(VALU_DEP_3) | instskip(NEXT) | instid1(VALU_DEP_2)
	v_add_f64 v[30:31], v[32:33], -v[28:29]
	v_add_f64 v[26:27], v[32:33], v[26:27]
	s_delay_alu instid0(VALU_DEP_2) | instskip(SKIP_1) | instid1(VALU_DEP_3)
	v_add_f64 v[32:33], v[32:33], -v[30:31]
	v_add_f64 v[8:9], v[8:9], -v[30:31]
	v_add_f64 v[131:132], v[34:35], v[26:27]
	s_delay_alu instid0(VALU_DEP_3) | instskip(NEXT) | instid1(VALU_DEP_2)
	v_add_f64 v[28:29], v[28:29], -v[32:33]
	v_add_f64 v[30:31], v[131:132], -v[34:35]
	s_delay_alu instid0(VALU_DEP_2) | instskip(NEXT) | instid1(VALU_DEP_2)
	v_add_f64 v[8:9], v[8:9], v[28:29]
	v_add_f64 v[26:27], v[26:27], -v[30:31]
	s_delay_alu instid0(VALU_DEP_1) | instskip(NEXT) | instid1(VALU_DEP_1)
	v_add_f64 v[8:9], v[8:9], v[26:27]
	v_add_f64 v[8:9], v[131:132], v[8:9]
	s_delay_alu instid0(VALU_DEP_1) | instskip(SKIP_1) | instid1(VALU_DEP_2)
	v_dual_cndmask_b32 v9, v9, v5 :: v_dual_cndmask_b32 v8, v8, v4
	v_cmp_ngt_f64_e32 vcc_lo, -1.0, v[4:5]
	v_cndmask_b32_e32 v9, 0x7ff80000, v9, vcc_lo
	v_cmp_nge_f64_e32 vcc_lo, -1.0, v[4:5]
	s_delay_alu instid0(VALU_DEP_4) | instskip(SKIP_1) | instid1(VALU_DEP_4)
	v_cndmask_b32_e32 v8, 0, v8, vcc_lo
	v_cmp_neq_f64_e32 vcc_lo, -1.0, v[4:5]
	v_cndmask_b32_e32 v9, 0xfff00000, v9, vcc_lo
	s_delay_alu instid0(VALU_DEP_1)
	v_add_f64 v[4:5], v[6:7], v[8:9]
.LBB76_42:
	s_or_b32 exec_lo, exec_lo, s19
	v_max_f64 v[26:27], v[80:81], v[80:81]
	s_delay_alu instid0(VALU_DEP_2) | instskip(SKIP_2) | instid1(VALU_DEP_3)
	v_max_f64 v[6:7], v[4:5], v[4:5]
	v_cmp_u_f64_e32 vcc_lo, v[4:5], v[4:5]
	v_cmp_u_f64_e64 s12, v[80:81], v[80:81]
	v_min_f64 v[8:9], v[6:7], v[26:27]
	v_max_f64 v[6:7], v[6:7], v[26:27]
	s_delay_alu instid0(VALU_DEP_2) | instskip(NEXT) | instid1(VALU_DEP_2)
	v_dual_cndmask_b32 v8, v8, v4 :: v_dual_cndmask_b32 v9, v9, v5
	v_dual_cndmask_b32 v7, v7, v5 :: v_dual_cndmask_b32 v6, v6, v4
	s_delay_alu instid0(VALU_DEP_2) | instskip(NEXT) | instid1(VALU_DEP_3)
	v_cndmask_b32_e64 v8, v8, v80, s12
	v_cndmask_b32_e64 v9, v9, v81, s12
	s_delay_alu instid0(VALU_DEP_3) | instskip(NEXT) | instid1(VALU_DEP_4)
	v_cndmask_b32_e64 v7, v7, v81, s12
	v_cndmask_b32_e64 v6, v6, v80, s12
	s_delay_alu instid0(VALU_DEP_3) | instskip(NEXT) | instid1(VALU_DEP_2)
	v_cmp_class_f64_e64 s13, v[8:9], 0x1f8
	v_cmp_neq_f64_e32 vcc_lo, v[8:9], v[6:7]
	s_delay_alu instid0(VALU_DEP_2) | instskip(NEXT) | instid1(SALU_CYCLE_1)
	s_or_b32 s13, vcc_lo, s13
	s_and_saveexec_b32 s19, s13
	s_cbranch_execz .LBB76_44
; %bb.43:
	v_add_f64 v[4:5], v[8:9], -v[6:7]
	s_mov_b32 s14, 0x652b82fe
	s_mov_b32 s15, 0x3ff71547
	s_mov_b32 s17, 0xbc7abc9e
	s_mov_b32 s16, 0x3b39803f
	s_mov_b32 s20, 0xfca7ab0c
	s_mov_b32 s22, 0x6a5dcb37
	s_mov_b32 s21, 0x3e928af3
	s_mov_b32 s23, 0x3e5ade15
	s_mov_b32 s24, 0xbf559e2b
	s_mov_b32 s25, 0x3fc3ab76
	s_delay_alu instid0(VALU_DEP_1) | instskip(SKIP_4) | instid1(VALU_DEP_3)
	v_mul_f64 v[8:9], v[4:5], s[14:15]
	s_mov_b32 s15, 0xbfe62e42
	s_mov_b32 s14, 0xfefa39ef
	v_cmp_nlt_f64_e32 vcc_lo, 0x40900000, v[4:5]
	v_cmp_ngt_f64_e64 s13, 0xc090cc00, v[4:5]
	v_rndne_f64_e32 v[8:9], v[8:9]
	s_delay_alu instid0(VALU_DEP_1) | instskip(SKIP_2) | instid1(VALU_DEP_2)
	v_fma_f64 v[28:29], v[8:9], s[14:15], v[4:5]
	v_cvt_i32_f64_e32 v32, v[8:9]
	s_mov_b32 s15, 0x3fe62e42
	v_fma_f64 v[28:29], v[8:9], s[16:17], v[28:29]
	s_mov_b32 s17, 0x3c7abc9e
	s_delay_alu instid0(VALU_DEP_1) | instskip(SKIP_4) | instid1(VALU_DEP_1)
	v_fma_f64 v[30:31], v[28:29], s[22:23], s[20:21]
	s_mov_b32 s20, 0x623fde64
	s_mov_b32 s21, 0x3ec71dee
	;; [unrolled: 1-line block ×4, first 2 shown]
	v_fma_f64 v[30:31], v[28:29], v[30:31], s[20:21]
	s_mov_b32 s20, 0x7c89e6b0
	s_mov_b32 s21, 0x3efa0199
	s_delay_alu instid0(VALU_DEP_1) | instid1(SALU_CYCLE_1)
	v_fma_f64 v[30:31], v[28:29], v[30:31], s[20:21]
	s_mov_b32 s20, 0x14761f6e
	s_mov_b32 s21, 0x3f2a01a0
	s_delay_alu instid0(VALU_DEP_1) | instid1(SALU_CYCLE_1)
	v_fma_f64 v[30:31], v[28:29], v[30:31], s[20:21]
	s_mov_b32 s20, 0x1852b7b0
	s_mov_b32 s21, 0x3f56c16c
	s_delay_alu instid0(VALU_DEP_1) | instid1(SALU_CYCLE_1)
	v_fma_f64 v[30:31], v[28:29], v[30:31], s[20:21]
	s_mov_b32 s20, 0x11122322
	s_mov_b32 s21, 0x3f811111
	s_delay_alu instid0(VALU_DEP_1) | instid1(SALU_CYCLE_1)
	v_fma_f64 v[30:31], v[28:29], v[30:31], s[20:21]
	s_mov_b32 s20, 0x555502a1
	s_mov_b32 s21, 0x3fa55555
	s_delay_alu instid0(VALU_DEP_1) | instid1(SALU_CYCLE_1)
	v_fma_f64 v[30:31], v[28:29], v[30:31], s[20:21]
	s_mov_b32 s20, 0x55555511
	s_mov_b32 s21, 0x3fc55555
	s_delay_alu instid0(VALU_DEP_1) | instid1(SALU_CYCLE_1)
	v_fma_f64 v[30:31], v[28:29], v[30:31], s[20:21]
	s_mov_b32 s20, 11
	s_mov_b32 s21, 0x3fe00000
	s_delay_alu instid0(VALU_DEP_1) | instid1(SALU_CYCLE_1)
	v_fma_f64 v[30:31], v[28:29], v[30:31], s[20:21]
	s_mov_b32 s21, 0x3fe55555
	s_mov_b32 s20, 0x55555555
	s_delay_alu instid0(VALU_DEP_1) | instskip(NEXT) | instid1(VALU_DEP_1)
	v_fma_f64 v[30:31], v[28:29], v[30:31], 1.0
	v_fma_f64 v[8:9], v[28:29], v[30:31], 1.0
	s_delay_alu instid0(VALU_DEP_1) | instskip(NEXT) | instid1(VALU_DEP_1)
	v_ldexp_f64 v[8:9], v[8:9], v32
	v_cndmask_b32_e32 v9, 0x7ff00000, v9, vcc_lo
	s_and_b32 vcc_lo, s13, vcc_lo
	s_delay_alu instid0(VALU_DEP_1) | instskip(NEXT) | instid1(VALU_DEP_3)
	v_cndmask_b32_e64 v5, 0, v9, s13
	v_cndmask_b32_e32 v4, 0, v8, vcc_lo
	s_delay_alu instid0(VALU_DEP_1) | instskip(NEXT) | instid1(VALU_DEP_1)
	v_add_f64 v[8:9], v[4:5], 1.0
	v_frexp_mant_f64_e32 v[28:29], v[8:9]
	v_frexp_exp_i32_f64_e32 v32, v[8:9]
	v_add_f64 v[30:31], v[8:9], -1.0
	s_delay_alu instid0(VALU_DEP_3) | instskip(SKIP_1) | instid1(VALU_DEP_2)
	v_cmp_gt_f64_e32 vcc_lo, s[20:21], v[28:29]
	s_mov_b32 s20, 0x55555780
	v_add_f64 v[28:29], v[30:31], -v[8:9]
	v_add_f64 v[30:31], v[4:5], -v[30:31]
	v_subrev_co_ci_u32_e32 v162, vcc_lo, 0, v32, vcc_lo
	s_delay_alu instid0(VALU_DEP_3) | instskip(SKIP_1) | instid1(VALU_DEP_3)
	v_add_f64 v[28:29], v[28:29], 1.0
	v_cmp_eq_f64_e32 vcc_lo, 0x7ff00000, v[4:5]
	v_sub_nc_u32_e32 v34, 0, v162
	s_delay_alu instid0(VALU_DEP_1) | instskip(NEXT) | instid1(VALU_DEP_4)
	v_ldexp_f64 v[8:9], v[8:9], v34
	v_add_f64 v[28:29], v[30:31], v[28:29]
	s_delay_alu instid0(VALU_DEP_2) | instskip(SKIP_1) | instid1(VALU_DEP_3)
	v_add_f64 v[32:33], v[8:9], 1.0
	v_add_f64 v[144:145], v[8:9], -1.0
	v_ldexp_f64 v[28:29], v[28:29], v34
	s_delay_alu instid0(VALU_DEP_3) | instskip(NEXT) | instid1(VALU_DEP_3)
	v_add_f64 v[30:31], v[32:33], -1.0
	v_add_f64 v[146:147], v[144:145], 1.0
	s_delay_alu instid0(VALU_DEP_2) | instskip(NEXT) | instid1(VALU_DEP_2)
	v_add_f64 v[30:31], v[8:9], -v[30:31]
	v_add_f64 v[8:9], v[8:9], -v[146:147]
	s_delay_alu instid0(VALU_DEP_2) | instskip(NEXT) | instid1(VALU_DEP_2)
	v_add_f64 v[30:31], v[28:29], v[30:31]
	v_add_f64 v[8:9], v[28:29], v[8:9]
	s_delay_alu instid0(VALU_DEP_2) | instskip(NEXT) | instid1(VALU_DEP_2)
	v_add_f64 v[34:35], v[32:33], v[30:31]
	v_add_f64 v[146:147], v[144:145], v[8:9]
	s_delay_alu instid0(VALU_DEP_2) | instskip(SKIP_1) | instid1(VALU_DEP_2)
	v_rcp_f64_e32 v[131:132], v[34:35]
	v_add_f64 v[32:33], v[34:35], -v[32:33]
	v_add_f64 v[144:145], v[146:147], -v[144:145]
	s_delay_alu instid0(VALU_DEP_2) | instskip(SKIP_3) | instid1(VALU_DEP_2)
	v_add_f64 v[30:31], v[30:31], -v[32:33]
	s_waitcnt_depctr 0xfff
	v_fma_f64 v[148:149], -v[34:35], v[131:132], 1.0
	v_add_f64 v[8:9], v[8:9], -v[144:145]
	v_fma_f64 v[131:132], v[148:149], v[131:132], v[131:132]
	s_delay_alu instid0(VALU_DEP_1) | instskip(NEXT) | instid1(VALU_DEP_1)
	v_fma_f64 v[28:29], -v[34:35], v[131:132], 1.0
	v_fma_f64 v[28:29], v[28:29], v[131:132], v[131:132]
	s_delay_alu instid0(VALU_DEP_1) | instskip(NEXT) | instid1(VALU_DEP_1)
	v_mul_f64 v[131:132], v[146:147], v[28:29]
	v_mul_f64 v[148:149], v[34:35], v[131:132]
	s_delay_alu instid0(VALU_DEP_1) | instskip(NEXT) | instid1(VALU_DEP_1)
	v_fma_f64 v[32:33], v[131:132], v[34:35], -v[148:149]
	v_fma_f64 v[32:33], v[131:132], v[30:31], v[32:33]
	s_delay_alu instid0(VALU_DEP_1) | instskip(NEXT) | instid1(VALU_DEP_1)
	v_add_f64 v[150:151], v[148:149], v[32:33]
	v_add_f64 v[160:161], v[146:147], -v[150:151]
	v_add_f64 v[144:145], v[150:151], -v[148:149]
	s_delay_alu instid0(VALU_DEP_2) | instskip(NEXT) | instid1(VALU_DEP_2)
	v_add_f64 v[146:147], v[146:147], -v[160:161]
	v_add_f64 v[32:33], v[144:145], -v[32:33]
	s_delay_alu instid0(VALU_DEP_2) | instskip(NEXT) | instid1(VALU_DEP_1)
	v_add_f64 v[146:147], v[146:147], -v[150:151]
	v_add_f64 v[8:9], v[8:9], v[146:147]
	s_delay_alu instid0(VALU_DEP_1) | instskip(NEXT) | instid1(VALU_DEP_1)
	v_add_f64 v[8:9], v[32:33], v[8:9]
	v_add_f64 v[32:33], v[160:161], v[8:9]
	s_delay_alu instid0(VALU_DEP_1) | instskip(SKIP_1) | instid1(VALU_DEP_2)
	v_mul_f64 v[144:145], v[28:29], v[32:33]
	v_add_f64 v[150:151], v[160:161], -v[32:33]
	v_mul_f64 v[146:147], v[34:35], v[144:145]
	s_delay_alu instid0(VALU_DEP_2) | instskip(NEXT) | instid1(VALU_DEP_2)
	v_add_f64 v[8:9], v[8:9], v[150:151]
	v_fma_f64 v[34:35], v[144:145], v[34:35], -v[146:147]
	s_delay_alu instid0(VALU_DEP_1) | instskip(NEXT) | instid1(VALU_DEP_1)
	v_fma_f64 v[30:31], v[144:145], v[30:31], v[34:35]
	v_add_f64 v[34:35], v[146:147], v[30:31]
	s_delay_alu instid0(VALU_DEP_1) | instskip(SKIP_1) | instid1(VALU_DEP_2)
	v_add_f64 v[148:149], v[32:33], -v[34:35]
	v_add_f64 v[146:147], v[34:35], -v[146:147]
	v_add_f64 v[32:33], v[32:33], -v[148:149]
	s_delay_alu instid0(VALU_DEP_2) | instskip(NEXT) | instid1(VALU_DEP_2)
	v_add_f64 v[30:31], v[146:147], -v[30:31]
	v_add_f64 v[32:33], v[32:33], -v[34:35]
	s_delay_alu instid0(VALU_DEP_1) | instskip(SKIP_1) | instid1(VALU_DEP_2)
	v_add_f64 v[8:9], v[8:9], v[32:33]
	v_add_f64 v[32:33], v[131:132], v[144:145]
	;; [unrolled: 1-line block ×3, first 2 shown]
	s_delay_alu instid0(VALU_DEP_2) | instskip(NEXT) | instid1(VALU_DEP_2)
	v_add_f64 v[30:31], v[32:33], -v[131:132]
	v_add_f64 v[8:9], v[148:149], v[8:9]
	s_delay_alu instid0(VALU_DEP_2) | instskip(NEXT) | instid1(VALU_DEP_2)
	v_add_f64 v[30:31], v[144:145], -v[30:31]
	v_mul_f64 v[8:9], v[28:29], v[8:9]
	s_delay_alu instid0(VALU_DEP_1) | instskip(NEXT) | instid1(VALU_DEP_1)
	v_add_f64 v[8:9], v[30:31], v[8:9]
	v_add_f64 v[28:29], v[32:33], v[8:9]
	s_delay_alu instid0(VALU_DEP_1) | instskip(NEXT) | instid1(VALU_DEP_1)
	v_mul_f64 v[30:31], v[28:29], v[28:29]
	v_fma_f64 v[34:35], v[30:31], s[24:25], s[22:23]
	s_mov_b32 s22, 0xd7f4df2e
	s_mov_b32 s23, 0x3fc7474d
	v_mul_f64 v[131:132], v[28:29], v[30:31]
	s_delay_alu instid0(VALU_DEP_2)
	v_fma_f64 v[34:35], v[30:31], v[34:35], s[22:23]
	s_mov_b32 s22, 0x16291751
	s_mov_b32 s23, 0x3fcc71c0
	s_delay_alu instid0(VALU_DEP_1) | instid1(SALU_CYCLE_1)
	v_fma_f64 v[34:35], v[30:31], v[34:35], s[22:23]
	s_mov_b32 s22, 0x9b27acf1
	s_mov_b32 s23, 0x3fd24924
	s_delay_alu instid0(VALU_DEP_1) | instid1(SALU_CYCLE_1)
	;; [unrolled: 4-line block ×3, first 2 shown]
	v_fma_f64 v[34:35], v[30:31], v[34:35], s[22:23]
	s_delay_alu instid0(VALU_DEP_1) | instskip(SKIP_2) | instid1(VALU_DEP_3)
	v_fma_f64 v[30:31], v[30:31], v[34:35], s[20:21]
	v_ldexp_f64 v[34:35], v[28:29], 1
	v_add_f64 v[28:29], v[28:29], -v[32:33]
	v_mul_f64 v[30:31], v[131:132], v[30:31]
	v_cvt_f64_i32_e32 v[131:132], v162
	s_delay_alu instid0(VALU_DEP_3) | instskip(NEXT) | instid1(VALU_DEP_3)
	v_add_f64 v[8:9], v[8:9], -v[28:29]
	v_add_f64 v[32:33], v[34:35], v[30:31]
	s_delay_alu instid0(VALU_DEP_3) | instskip(NEXT) | instid1(VALU_DEP_3)
	v_mul_f64 v[144:145], v[131:132], s[14:15]
	v_ldexp_f64 v[8:9], v[8:9], 1
	s_delay_alu instid0(VALU_DEP_3) | instskip(NEXT) | instid1(VALU_DEP_3)
	v_add_f64 v[28:29], v[32:33], -v[34:35]
	v_fma_f64 v[34:35], v[131:132], s[14:15], -v[144:145]
	s_delay_alu instid0(VALU_DEP_2) | instskip(NEXT) | instid1(VALU_DEP_2)
	v_add_f64 v[28:29], v[30:31], -v[28:29]
	v_fma_f64 v[30:31], v[131:132], s[16:17], v[34:35]
	s_delay_alu instid0(VALU_DEP_2) | instskip(NEXT) | instid1(VALU_DEP_2)
	v_add_f64 v[8:9], v[8:9], v[28:29]
	v_add_f64 v[28:29], v[144:145], v[30:31]
	s_delay_alu instid0(VALU_DEP_2) | instskip(NEXT) | instid1(VALU_DEP_2)
	v_add_f64 v[34:35], v[32:33], v[8:9]
	v_add_f64 v[144:145], v[28:29], -v[144:145]
	s_delay_alu instid0(VALU_DEP_2) | instskip(SKIP_1) | instid1(VALU_DEP_3)
	v_add_f64 v[131:132], v[28:29], v[34:35]
	v_add_f64 v[32:33], v[34:35], -v[32:33]
	v_add_f64 v[30:31], v[30:31], -v[144:145]
	s_delay_alu instid0(VALU_DEP_3) | instskip(NEXT) | instid1(VALU_DEP_3)
	v_add_f64 v[146:147], v[131:132], -v[28:29]
	v_add_f64 v[8:9], v[8:9], -v[32:33]
	s_delay_alu instid0(VALU_DEP_2) | instskip(SKIP_1) | instid1(VALU_DEP_3)
	v_add_f64 v[148:149], v[131:132], -v[146:147]
	v_add_f64 v[32:33], v[34:35], -v[146:147]
	v_add_f64 v[34:35], v[30:31], v[8:9]
	s_delay_alu instid0(VALU_DEP_3) | instskip(NEXT) | instid1(VALU_DEP_1)
	v_add_f64 v[28:29], v[28:29], -v[148:149]
	v_add_f64 v[28:29], v[32:33], v[28:29]
	s_delay_alu instid0(VALU_DEP_3) | instskip(NEXT) | instid1(VALU_DEP_2)
	v_add_f64 v[32:33], v[34:35], -v[30:31]
	v_add_f64 v[28:29], v[34:35], v[28:29]
	s_delay_alu instid0(VALU_DEP_2) | instskip(SKIP_1) | instid1(VALU_DEP_3)
	v_add_f64 v[34:35], v[34:35], -v[32:33]
	v_add_f64 v[8:9], v[8:9], -v[32:33]
	v_add_f64 v[144:145], v[131:132], v[28:29]
	s_delay_alu instid0(VALU_DEP_3) | instskip(NEXT) | instid1(VALU_DEP_2)
	v_add_f64 v[30:31], v[30:31], -v[34:35]
	v_add_f64 v[32:33], v[144:145], -v[131:132]
	s_delay_alu instid0(VALU_DEP_2) | instskip(NEXT) | instid1(VALU_DEP_2)
	v_add_f64 v[8:9], v[8:9], v[30:31]
	v_add_f64 v[28:29], v[28:29], -v[32:33]
	s_delay_alu instid0(VALU_DEP_1) | instskip(NEXT) | instid1(VALU_DEP_1)
	v_add_f64 v[8:9], v[8:9], v[28:29]
	v_add_f64 v[8:9], v[144:145], v[8:9]
	s_delay_alu instid0(VALU_DEP_1) | instskip(SKIP_1) | instid1(VALU_DEP_2)
	v_dual_cndmask_b32 v9, v9, v5 :: v_dual_cndmask_b32 v8, v8, v4
	v_cmp_ngt_f64_e32 vcc_lo, -1.0, v[4:5]
	v_cndmask_b32_e32 v9, 0x7ff80000, v9, vcc_lo
	v_cmp_nge_f64_e32 vcc_lo, -1.0, v[4:5]
	s_delay_alu instid0(VALU_DEP_4) | instskip(SKIP_1) | instid1(VALU_DEP_4)
	v_cndmask_b32_e32 v8, 0, v8, vcc_lo
	v_cmp_neq_f64_e32 vcc_lo, -1.0, v[4:5]
	v_cndmask_b32_e32 v9, 0xfff00000, v9, vcc_lo
	s_delay_alu instid0(VALU_DEP_1)
	v_add_f64 v[4:5], v[6:7], v[8:9]
.LBB76_44:
	s_or_b32 exec_lo, exec_lo, s19
	v_max_f64 v[28:29], v[82:83], v[82:83]
	s_delay_alu instid0(VALU_DEP_2) | instskip(SKIP_2) | instid1(VALU_DEP_3)
	v_max_f64 v[6:7], v[4:5], v[4:5]
	v_cmp_u_f64_e32 vcc_lo, v[4:5], v[4:5]
	v_cmp_u_f64_e64 s13, v[82:83], v[82:83]
	v_min_f64 v[8:9], v[6:7], v[28:29]
	v_max_f64 v[6:7], v[6:7], v[28:29]
	s_delay_alu instid0(VALU_DEP_2) | instskip(NEXT) | instid1(VALU_DEP_2)
	v_dual_cndmask_b32 v8, v8, v4 :: v_dual_cndmask_b32 v9, v9, v5
	v_dual_cndmask_b32 v7, v7, v5 :: v_dual_cndmask_b32 v6, v6, v4
	s_delay_alu instid0(VALU_DEP_2) | instskip(NEXT) | instid1(VALU_DEP_3)
	v_cndmask_b32_e64 v8, v8, v82, s13
	v_cndmask_b32_e64 v9, v9, v83, s13
	s_delay_alu instid0(VALU_DEP_3) | instskip(NEXT) | instid1(VALU_DEP_4)
	v_cndmask_b32_e64 v7, v7, v83, s13
	v_cndmask_b32_e64 v6, v6, v82, s13
	s_delay_alu instid0(VALU_DEP_3) | instskip(NEXT) | instid1(VALU_DEP_2)
	v_cmp_class_f64_e64 s14, v[8:9], 0x1f8
	v_cmp_neq_f64_e32 vcc_lo, v[8:9], v[6:7]
	s_delay_alu instid0(VALU_DEP_2) | instskip(NEXT) | instid1(SALU_CYCLE_1)
	s_or_b32 s14, vcc_lo, s14
	s_and_saveexec_b32 s19, s14
	s_cbranch_execz .LBB76_46
; %bb.45:
	v_add_f64 v[4:5], v[8:9], -v[6:7]
	s_mov_b32 s14, 0x652b82fe
	s_mov_b32 s15, 0x3ff71547
	s_mov_b32 s17, 0xbfe62e42
	s_mov_b32 s16, 0xfefa39ef
	s_mov_b32 s21, 0xbc7abc9e
	s_mov_b32 s20, 0x3b39803f
	s_mov_b32 s22, 0x6a5dcb37
	s_mov_b32 s23, 0x3e5ade15
	s_mov_b32 s24, 0xbf559e2b
	s_mov_b32 s25, 0x3fc3ab76
	s_delay_alu instid0(VALU_DEP_1) | instskip(SKIP_3) | instid1(VALU_DEP_2)
	v_mul_f64 v[8:9], v[4:5], s[14:15]
	s_mov_b32 s14, 0xfca7ab0c
	s_mov_b32 s15, 0x3e928af3
	v_cmp_nlt_f64_e32 vcc_lo, 0x40900000, v[4:5]
	v_rndne_f64_e32 v[8:9], v[8:9]
	s_delay_alu instid0(VALU_DEP_1) | instskip(SKIP_2) | instid1(VALU_DEP_2)
	v_fma_f64 v[30:31], v[8:9], s[16:17], v[4:5]
	v_cvt_i32_f64_e32 v34, v[8:9]
	s_mov_b32 s17, 0x3fe62e42
	v_fma_f64 v[30:31], v[8:9], s[20:21], v[30:31]
	s_mov_b32 s21, 0x3c7abc9e
	s_delay_alu instid0(VALU_DEP_1) | instskip(SKIP_4) | instid1(VALU_DEP_1)
	v_fma_f64 v[32:33], v[30:31], s[22:23], s[14:15]
	s_mov_b32 s14, 0x623fde64
	s_mov_b32 s15, 0x3ec71dee
	;; [unrolled: 1-line block ×4, first 2 shown]
	v_fma_f64 v[32:33], v[30:31], v[32:33], s[14:15]
	s_mov_b32 s14, 0x7c89e6b0
	s_mov_b32 s15, 0x3efa0199
	s_delay_alu instid0(VALU_DEP_1) | instid1(SALU_CYCLE_1)
	v_fma_f64 v[32:33], v[30:31], v[32:33], s[14:15]
	s_mov_b32 s14, 0x14761f6e
	s_mov_b32 s15, 0x3f2a01a0
	s_delay_alu instid0(VALU_DEP_1) | instid1(SALU_CYCLE_1)
	;; [unrolled: 4-line block ×7, first 2 shown]
	v_fma_f64 v[32:33], v[30:31], v[32:33], s[14:15]
	v_cmp_ngt_f64_e64 s14, 0xc090cc00, v[4:5]
	s_mov_b32 s15, 0x3fe55555
	s_delay_alu instid0(VALU_DEP_2) | instskip(NEXT) | instid1(VALU_DEP_1)
	v_fma_f64 v[32:33], v[30:31], v[32:33], 1.0
	v_fma_f64 v[8:9], v[30:31], v[32:33], 1.0
	s_delay_alu instid0(VALU_DEP_1) | instskip(NEXT) | instid1(VALU_DEP_1)
	v_ldexp_f64 v[8:9], v[8:9], v34
	v_cndmask_b32_e32 v9, 0x7ff00000, v9, vcc_lo
	s_and_b32 vcc_lo, s14, vcc_lo
	s_delay_alu instid0(VALU_DEP_1) | instskip(NEXT) | instid1(VALU_DEP_3)
	v_cndmask_b32_e64 v5, 0, v9, s14
	v_cndmask_b32_e32 v4, 0, v8, vcc_lo
	s_mov_b32 s14, 0x55555555
	s_delay_alu instid0(VALU_DEP_1) | instskip(NEXT) | instid1(VALU_DEP_1)
	v_add_f64 v[8:9], v[4:5], 1.0
	v_frexp_mant_f64_e32 v[30:31], v[8:9]
	v_frexp_exp_i32_f64_e32 v34, v[8:9]
	v_add_f64 v[32:33], v[8:9], -1.0
	s_delay_alu instid0(VALU_DEP_3) | instskip(SKIP_1) | instid1(VALU_DEP_2)
	v_cmp_gt_f64_e32 vcc_lo, s[14:15], v[30:31]
	s_mov_b32 s14, 0x55555780
	v_add_f64 v[30:31], v[32:33], -v[8:9]
	v_add_f64 v[32:33], v[4:5], -v[32:33]
	v_subrev_co_ci_u32_e32 v164, vcc_lo, 0, v34, vcc_lo
	s_delay_alu instid0(VALU_DEP_3) | instskip(SKIP_1) | instid1(VALU_DEP_3)
	v_add_f64 v[30:31], v[30:31], 1.0
	v_cmp_eq_f64_e32 vcc_lo, 0x7ff00000, v[4:5]
	v_sub_nc_u32_e32 v131, 0, v164
	s_delay_alu instid0(VALU_DEP_1) | instskip(NEXT) | instid1(VALU_DEP_4)
	v_ldexp_f64 v[8:9], v[8:9], v131
	v_add_f64 v[30:31], v[32:33], v[30:31]
	s_delay_alu instid0(VALU_DEP_2) | instskip(SKIP_1) | instid1(VALU_DEP_3)
	v_add_f64 v[34:35], v[8:9], 1.0
	v_add_f64 v[146:147], v[8:9], -1.0
	v_ldexp_f64 v[30:31], v[30:31], v131
	s_delay_alu instid0(VALU_DEP_3) | instskip(NEXT) | instid1(VALU_DEP_3)
	v_add_f64 v[32:33], v[34:35], -1.0
	v_add_f64 v[148:149], v[146:147], 1.0
	s_delay_alu instid0(VALU_DEP_2) | instskip(NEXT) | instid1(VALU_DEP_2)
	v_add_f64 v[32:33], v[8:9], -v[32:33]
	v_add_f64 v[8:9], v[8:9], -v[148:149]
	s_delay_alu instid0(VALU_DEP_2) | instskip(NEXT) | instid1(VALU_DEP_2)
	v_add_f64 v[32:33], v[30:31], v[32:33]
	v_add_f64 v[8:9], v[30:31], v[8:9]
	s_delay_alu instid0(VALU_DEP_2) | instskip(NEXT) | instid1(VALU_DEP_2)
	v_add_f64 v[131:132], v[34:35], v[32:33]
	v_add_f64 v[148:149], v[146:147], v[8:9]
	s_delay_alu instid0(VALU_DEP_2) | instskip(SKIP_1) | instid1(VALU_DEP_2)
	v_rcp_f64_e32 v[144:145], v[131:132]
	v_add_f64 v[34:35], v[131:132], -v[34:35]
	v_add_f64 v[146:147], v[148:149], -v[146:147]
	s_delay_alu instid0(VALU_DEP_2) | instskip(SKIP_3) | instid1(VALU_DEP_2)
	v_add_f64 v[32:33], v[32:33], -v[34:35]
	s_waitcnt_depctr 0xfff
	v_fma_f64 v[150:151], -v[131:132], v[144:145], 1.0
	v_add_f64 v[8:9], v[8:9], -v[146:147]
	v_fma_f64 v[144:145], v[150:151], v[144:145], v[144:145]
	s_delay_alu instid0(VALU_DEP_1) | instskip(NEXT) | instid1(VALU_DEP_1)
	v_fma_f64 v[30:31], -v[131:132], v[144:145], 1.0
	v_fma_f64 v[30:31], v[30:31], v[144:145], v[144:145]
	s_delay_alu instid0(VALU_DEP_1) | instskip(NEXT) | instid1(VALU_DEP_1)
	v_mul_f64 v[144:145], v[148:149], v[30:31]
	v_mul_f64 v[150:151], v[131:132], v[144:145]
	s_delay_alu instid0(VALU_DEP_1) | instskip(NEXT) | instid1(VALU_DEP_1)
	v_fma_f64 v[34:35], v[144:145], v[131:132], -v[150:151]
	v_fma_f64 v[34:35], v[144:145], v[32:33], v[34:35]
	s_delay_alu instid0(VALU_DEP_1) | instskip(NEXT) | instid1(VALU_DEP_1)
	v_add_f64 v[160:161], v[150:151], v[34:35]
	v_add_f64 v[162:163], v[148:149], -v[160:161]
	v_add_f64 v[146:147], v[160:161], -v[150:151]
	s_delay_alu instid0(VALU_DEP_2) | instskip(NEXT) | instid1(VALU_DEP_2)
	v_add_f64 v[148:149], v[148:149], -v[162:163]
	v_add_f64 v[34:35], v[146:147], -v[34:35]
	s_delay_alu instid0(VALU_DEP_2) | instskip(NEXT) | instid1(VALU_DEP_1)
	v_add_f64 v[148:149], v[148:149], -v[160:161]
	v_add_f64 v[8:9], v[8:9], v[148:149]
	s_delay_alu instid0(VALU_DEP_1) | instskip(NEXT) | instid1(VALU_DEP_1)
	v_add_f64 v[8:9], v[34:35], v[8:9]
	v_add_f64 v[34:35], v[162:163], v[8:9]
	s_delay_alu instid0(VALU_DEP_1) | instskip(SKIP_1) | instid1(VALU_DEP_2)
	v_mul_f64 v[146:147], v[30:31], v[34:35]
	v_add_f64 v[160:161], v[162:163], -v[34:35]
	v_mul_f64 v[148:149], v[131:132], v[146:147]
	s_delay_alu instid0(VALU_DEP_2) | instskip(NEXT) | instid1(VALU_DEP_2)
	v_add_f64 v[8:9], v[8:9], v[160:161]
	v_fma_f64 v[131:132], v[146:147], v[131:132], -v[148:149]
	s_delay_alu instid0(VALU_DEP_1) | instskip(NEXT) | instid1(VALU_DEP_1)
	v_fma_f64 v[32:33], v[146:147], v[32:33], v[131:132]
	v_add_f64 v[131:132], v[148:149], v[32:33]
	s_delay_alu instid0(VALU_DEP_1) | instskip(SKIP_1) | instid1(VALU_DEP_2)
	v_add_f64 v[150:151], v[34:35], -v[131:132]
	v_add_f64 v[148:149], v[131:132], -v[148:149]
	;; [unrolled: 1-line block ×3, first 2 shown]
	s_delay_alu instid0(VALU_DEP_2) | instskip(NEXT) | instid1(VALU_DEP_2)
	v_add_f64 v[32:33], v[148:149], -v[32:33]
	v_add_f64 v[34:35], v[34:35], -v[131:132]
	s_delay_alu instid0(VALU_DEP_1) | instskip(SKIP_1) | instid1(VALU_DEP_2)
	v_add_f64 v[8:9], v[8:9], v[34:35]
	v_add_f64 v[34:35], v[144:145], v[146:147]
	;; [unrolled: 1-line block ×3, first 2 shown]
	s_delay_alu instid0(VALU_DEP_2) | instskip(NEXT) | instid1(VALU_DEP_2)
	v_add_f64 v[32:33], v[34:35], -v[144:145]
	v_add_f64 v[8:9], v[150:151], v[8:9]
	s_delay_alu instid0(VALU_DEP_2) | instskip(NEXT) | instid1(VALU_DEP_2)
	v_add_f64 v[32:33], v[146:147], -v[32:33]
	v_mul_f64 v[8:9], v[30:31], v[8:9]
	s_delay_alu instid0(VALU_DEP_1) | instskip(NEXT) | instid1(VALU_DEP_1)
	v_add_f64 v[8:9], v[32:33], v[8:9]
	v_add_f64 v[30:31], v[34:35], v[8:9]
	s_delay_alu instid0(VALU_DEP_1) | instskip(NEXT) | instid1(VALU_DEP_1)
	v_mul_f64 v[32:33], v[30:31], v[30:31]
	v_fma_f64 v[131:132], v[32:33], s[24:25], s[22:23]
	s_mov_b32 s22, 0xd7f4df2e
	s_mov_b32 s23, 0x3fc7474d
	v_mul_f64 v[144:145], v[30:31], v[32:33]
	s_delay_alu instid0(VALU_DEP_2)
	v_fma_f64 v[131:132], v[32:33], v[131:132], s[22:23]
	s_mov_b32 s22, 0x16291751
	s_mov_b32 s23, 0x3fcc71c0
	s_delay_alu instid0(VALU_DEP_1) | instid1(SALU_CYCLE_1)
	v_fma_f64 v[131:132], v[32:33], v[131:132], s[22:23]
	s_mov_b32 s22, 0x9b27acf1
	s_mov_b32 s23, 0x3fd24924
	s_delay_alu instid0(VALU_DEP_1) | instid1(SALU_CYCLE_1)
	;; [unrolled: 4-line block ×3, first 2 shown]
	v_fma_f64 v[131:132], v[32:33], v[131:132], s[22:23]
	s_delay_alu instid0(VALU_DEP_1) | instskip(SKIP_2) | instid1(VALU_DEP_3)
	v_fma_f64 v[32:33], v[32:33], v[131:132], s[14:15]
	v_ldexp_f64 v[131:132], v[30:31], 1
	v_add_f64 v[30:31], v[30:31], -v[34:35]
	v_mul_f64 v[32:33], v[144:145], v[32:33]
	v_cvt_f64_i32_e32 v[144:145], v164
	s_delay_alu instid0(VALU_DEP_3) | instskip(NEXT) | instid1(VALU_DEP_3)
	v_add_f64 v[8:9], v[8:9], -v[30:31]
	v_add_f64 v[34:35], v[131:132], v[32:33]
	s_delay_alu instid0(VALU_DEP_3) | instskip(NEXT) | instid1(VALU_DEP_3)
	v_mul_f64 v[146:147], v[144:145], s[16:17]
	v_ldexp_f64 v[8:9], v[8:9], 1
	s_delay_alu instid0(VALU_DEP_3) | instskip(NEXT) | instid1(VALU_DEP_3)
	v_add_f64 v[30:31], v[34:35], -v[131:132]
	v_fma_f64 v[131:132], v[144:145], s[16:17], -v[146:147]
	s_delay_alu instid0(VALU_DEP_2) | instskip(NEXT) | instid1(VALU_DEP_2)
	v_add_f64 v[30:31], v[32:33], -v[30:31]
	v_fma_f64 v[32:33], v[144:145], s[20:21], v[131:132]
	s_delay_alu instid0(VALU_DEP_2) | instskip(NEXT) | instid1(VALU_DEP_2)
	v_add_f64 v[8:9], v[8:9], v[30:31]
	v_add_f64 v[30:31], v[146:147], v[32:33]
	s_delay_alu instid0(VALU_DEP_2) | instskip(NEXT) | instid1(VALU_DEP_2)
	v_add_f64 v[131:132], v[34:35], v[8:9]
	v_add_f64 v[146:147], v[30:31], -v[146:147]
	s_delay_alu instid0(VALU_DEP_2) | instskip(SKIP_1) | instid1(VALU_DEP_3)
	v_add_f64 v[144:145], v[30:31], v[131:132]
	v_add_f64 v[34:35], v[131:132], -v[34:35]
	v_add_f64 v[32:33], v[32:33], -v[146:147]
	s_delay_alu instid0(VALU_DEP_3) | instskip(NEXT) | instid1(VALU_DEP_3)
	v_add_f64 v[148:149], v[144:145], -v[30:31]
	v_add_f64 v[8:9], v[8:9], -v[34:35]
	s_delay_alu instid0(VALU_DEP_2) | instskip(SKIP_1) | instid1(VALU_DEP_3)
	v_add_f64 v[150:151], v[144:145], -v[148:149]
	v_add_f64 v[34:35], v[131:132], -v[148:149]
	v_add_f64 v[131:132], v[32:33], v[8:9]
	s_delay_alu instid0(VALU_DEP_3) | instskip(NEXT) | instid1(VALU_DEP_1)
	v_add_f64 v[30:31], v[30:31], -v[150:151]
	v_add_f64 v[30:31], v[34:35], v[30:31]
	s_delay_alu instid0(VALU_DEP_3) | instskip(NEXT) | instid1(VALU_DEP_2)
	v_add_f64 v[34:35], v[131:132], -v[32:33]
	v_add_f64 v[30:31], v[131:132], v[30:31]
	s_delay_alu instid0(VALU_DEP_2) | instskip(SKIP_1) | instid1(VALU_DEP_3)
	v_add_f64 v[131:132], v[131:132], -v[34:35]
	v_add_f64 v[8:9], v[8:9], -v[34:35]
	v_add_f64 v[146:147], v[144:145], v[30:31]
	s_delay_alu instid0(VALU_DEP_3) | instskip(NEXT) | instid1(VALU_DEP_2)
	v_add_f64 v[32:33], v[32:33], -v[131:132]
	v_add_f64 v[34:35], v[146:147], -v[144:145]
	s_delay_alu instid0(VALU_DEP_2) | instskip(NEXT) | instid1(VALU_DEP_2)
	v_add_f64 v[8:9], v[8:9], v[32:33]
	v_add_f64 v[30:31], v[30:31], -v[34:35]
	s_delay_alu instid0(VALU_DEP_1) | instskip(NEXT) | instid1(VALU_DEP_1)
	v_add_f64 v[8:9], v[8:9], v[30:31]
	v_add_f64 v[8:9], v[146:147], v[8:9]
	s_delay_alu instid0(VALU_DEP_1) | instskip(SKIP_1) | instid1(VALU_DEP_2)
	v_dual_cndmask_b32 v9, v9, v5 :: v_dual_cndmask_b32 v8, v8, v4
	v_cmp_ngt_f64_e32 vcc_lo, -1.0, v[4:5]
	v_cndmask_b32_e32 v9, 0x7ff80000, v9, vcc_lo
	v_cmp_nge_f64_e32 vcc_lo, -1.0, v[4:5]
	s_delay_alu instid0(VALU_DEP_4) | instskip(SKIP_1) | instid1(VALU_DEP_4)
	v_cndmask_b32_e32 v8, 0, v8, vcc_lo
	v_cmp_neq_f64_e32 vcc_lo, -1.0, v[4:5]
	v_cndmask_b32_e32 v9, 0xfff00000, v9, vcc_lo
	s_delay_alu instid0(VALU_DEP_1)
	v_add_f64 v[4:5], v[6:7], v[8:9]
.LBB76_46:
	s_or_b32 exec_lo, exec_lo, s19
	v_max_f64 v[30:31], v[68:69], v[68:69]
	s_delay_alu instid0(VALU_DEP_2) | instskip(SKIP_2) | instid1(VALU_DEP_3)
	v_max_f64 v[6:7], v[4:5], v[4:5]
	v_cmp_u_f64_e32 vcc_lo, v[4:5], v[4:5]
	v_cmp_u_f64_e64 s14, v[68:69], v[68:69]
	v_min_f64 v[8:9], v[6:7], v[30:31]
	v_max_f64 v[6:7], v[6:7], v[30:31]
	s_delay_alu instid0(VALU_DEP_2) | instskip(NEXT) | instid1(VALU_DEP_2)
	v_dual_cndmask_b32 v8, v8, v4 :: v_dual_cndmask_b32 v9, v9, v5
	v_dual_cndmask_b32 v7, v7, v5 :: v_dual_cndmask_b32 v6, v6, v4
	s_delay_alu instid0(VALU_DEP_2) | instskip(NEXT) | instid1(VALU_DEP_3)
	v_cndmask_b32_e64 v8, v8, v68, s14
	v_cndmask_b32_e64 v9, v9, v69, s14
	s_delay_alu instid0(VALU_DEP_3) | instskip(NEXT) | instid1(VALU_DEP_4)
	v_cndmask_b32_e64 v7, v7, v69, s14
	v_cndmask_b32_e64 v6, v6, v68, s14
	s_delay_alu instid0(VALU_DEP_3) | instskip(NEXT) | instid1(VALU_DEP_2)
	v_cmp_class_f64_e64 s15, v[8:9], 0x1f8
	v_cmp_neq_f64_e32 vcc_lo, v[8:9], v[6:7]
	s_delay_alu instid0(VALU_DEP_2) | instskip(NEXT) | instid1(SALU_CYCLE_1)
	s_or_b32 s15, vcc_lo, s15
	s_and_saveexec_b32 s19, s15
	s_cbranch_execz .LBB76_48
; %bb.47:
	v_add_f64 v[4:5], v[8:9], -v[6:7]
	s_mov_b32 s16, 0x652b82fe
	s_mov_b32 s17, 0x3ff71547
	;; [unrolled: 1-line block ×10, first 2 shown]
	s_delay_alu instid0(VALU_DEP_1) | instskip(SKIP_4) | instid1(VALU_DEP_3)
	v_mul_f64 v[8:9], v[4:5], s[16:17]
	s_mov_b32 s17, 0xbfe62e42
	s_mov_b32 s16, 0xfefa39ef
	v_cmp_nlt_f64_e32 vcc_lo, 0x40900000, v[4:5]
	v_cmp_ngt_f64_e64 s15, 0xc090cc00, v[4:5]
	v_rndne_f64_e32 v[8:9], v[8:9]
	s_delay_alu instid0(VALU_DEP_1) | instskip(SKIP_2) | instid1(VALU_DEP_2)
	v_fma_f64 v[32:33], v[8:9], s[16:17], v[4:5]
	v_cvt_i32_f64_e32 v131, v[8:9]
	s_mov_b32 s17, 0x3fe62e42
	v_fma_f64 v[32:33], v[8:9], s[20:21], v[32:33]
	s_mov_b32 s21, 0x3c7abc9e
	s_delay_alu instid0(VALU_DEP_1) | instskip(SKIP_4) | instid1(VALU_DEP_1)
	v_fma_f64 v[34:35], v[32:33], s[24:25], s[22:23]
	s_mov_b32 s22, 0x623fde64
	s_mov_b32 s23, 0x3ec71dee
	;; [unrolled: 1-line block ×4, first 2 shown]
	v_fma_f64 v[34:35], v[32:33], v[34:35], s[22:23]
	s_mov_b32 s22, 0x7c89e6b0
	s_mov_b32 s23, 0x3efa0199
	s_delay_alu instid0(VALU_DEP_1) | instid1(SALU_CYCLE_1)
	v_fma_f64 v[34:35], v[32:33], v[34:35], s[22:23]
	s_mov_b32 s22, 0x14761f6e
	s_mov_b32 s23, 0x3f2a01a0
	s_delay_alu instid0(VALU_DEP_1) | instid1(SALU_CYCLE_1)
	v_fma_f64 v[34:35], v[32:33], v[34:35], s[22:23]
	s_mov_b32 s22, 0x1852b7b0
	s_mov_b32 s23, 0x3f56c16c
	s_delay_alu instid0(VALU_DEP_1) | instid1(SALU_CYCLE_1)
	v_fma_f64 v[34:35], v[32:33], v[34:35], s[22:23]
	s_mov_b32 s22, 0x11122322
	s_mov_b32 s23, 0x3f811111
	s_delay_alu instid0(VALU_DEP_1) | instid1(SALU_CYCLE_1)
	v_fma_f64 v[34:35], v[32:33], v[34:35], s[22:23]
	s_mov_b32 s22, 0x555502a1
	s_mov_b32 s23, 0x3fa55555
	s_delay_alu instid0(VALU_DEP_1) | instid1(SALU_CYCLE_1)
	v_fma_f64 v[34:35], v[32:33], v[34:35], s[22:23]
	s_mov_b32 s22, 0x55555511
	s_mov_b32 s23, 0x3fc55555
	s_delay_alu instid0(VALU_DEP_1) | instid1(SALU_CYCLE_1)
	v_fma_f64 v[34:35], v[32:33], v[34:35], s[22:23]
	s_mov_b32 s22, 11
	s_mov_b32 s23, 0x3fe00000
	s_delay_alu instid0(VALU_DEP_1) | instid1(SALU_CYCLE_1)
	v_fma_f64 v[34:35], v[32:33], v[34:35], s[22:23]
	s_mov_b32 s23, 0x3fe55555
	s_mov_b32 s22, 0x55555555
	s_delay_alu instid0(VALU_DEP_1) | instskip(NEXT) | instid1(VALU_DEP_1)
	v_fma_f64 v[34:35], v[32:33], v[34:35], 1.0
	v_fma_f64 v[8:9], v[32:33], v[34:35], 1.0
	s_delay_alu instid0(VALU_DEP_1) | instskip(NEXT) | instid1(VALU_DEP_1)
	v_ldexp_f64 v[8:9], v[8:9], v131
	v_cndmask_b32_e32 v9, 0x7ff00000, v9, vcc_lo
	s_and_b32 vcc_lo, s15, vcc_lo
	s_delay_alu instid0(VALU_DEP_1) | instskip(NEXT) | instid1(VALU_DEP_3)
	v_cndmask_b32_e64 v5, 0, v9, s15
	v_cndmask_b32_e32 v4, 0, v8, vcc_lo
	s_delay_alu instid0(VALU_DEP_1) | instskip(NEXT) | instid1(VALU_DEP_1)
	v_add_f64 v[8:9], v[4:5], 1.0
	v_frexp_mant_f64_e32 v[32:33], v[8:9]
	v_frexp_exp_i32_f64_e32 v131, v[8:9]
	v_add_f64 v[34:35], v[8:9], -1.0
	s_delay_alu instid0(VALU_DEP_3) | instskip(SKIP_1) | instid1(VALU_DEP_2)
	v_cmp_gt_f64_e32 vcc_lo, s[22:23], v[32:33]
	s_mov_b32 s22, 0x55555780
	v_add_f64 v[32:33], v[34:35], -v[8:9]
	v_add_f64 v[34:35], v[4:5], -v[34:35]
	v_subrev_co_ci_u32_e32 v166, vcc_lo, 0, v131, vcc_lo
	s_delay_alu instid0(VALU_DEP_3) | instskip(SKIP_1) | instid1(VALU_DEP_3)
	v_add_f64 v[32:33], v[32:33], 1.0
	v_cmp_eq_f64_e32 vcc_lo, 0x7ff00000, v[4:5]
	v_sub_nc_u32_e32 v144, 0, v166
	s_delay_alu instid0(VALU_DEP_1) | instskip(NEXT) | instid1(VALU_DEP_4)
	v_ldexp_f64 v[8:9], v[8:9], v144
	v_add_f64 v[32:33], v[34:35], v[32:33]
	s_delay_alu instid0(VALU_DEP_2) | instskip(SKIP_1) | instid1(VALU_DEP_3)
	v_add_f64 v[131:132], v[8:9], 1.0
	v_add_f64 v[148:149], v[8:9], -1.0
	v_ldexp_f64 v[32:33], v[32:33], v144
	s_delay_alu instid0(VALU_DEP_3) | instskip(NEXT) | instid1(VALU_DEP_3)
	v_add_f64 v[34:35], v[131:132], -1.0
	v_add_f64 v[150:151], v[148:149], 1.0
	s_delay_alu instid0(VALU_DEP_2) | instskip(NEXT) | instid1(VALU_DEP_2)
	v_add_f64 v[34:35], v[8:9], -v[34:35]
	v_add_f64 v[8:9], v[8:9], -v[150:151]
	s_delay_alu instid0(VALU_DEP_2) | instskip(NEXT) | instid1(VALU_DEP_2)
	v_add_f64 v[34:35], v[32:33], v[34:35]
	v_add_f64 v[8:9], v[32:33], v[8:9]
	s_delay_alu instid0(VALU_DEP_2) | instskip(NEXT) | instid1(VALU_DEP_2)
	v_add_f64 v[144:145], v[131:132], v[34:35]
	v_add_f64 v[150:151], v[148:149], v[8:9]
	s_delay_alu instid0(VALU_DEP_2) | instskip(SKIP_1) | instid1(VALU_DEP_2)
	v_rcp_f64_e32 v[146:147], v[144:145]
	v_add_f64 v[131:132], v[144:145], -v[131:132]
	v_add_f64 v[148:149], v[150:151], -v[148:149]
	s_delay_alu instid0(VALU_DEP_2) | instskip(SKIP_3) | instid1(VALU_DEP_2)
	v_add_f64 v[34:35], v[34:35], -v[131:132]
	s_waitcnt_depctr 0xfff
	v_fma_f64 v[160:161], -v[144:145], v[146:147], 1.0
	v_add_f64 v[8:9], v[8:9], -v[148:149]
	v_fma_f64 v[146:147], v[160:161], v[146:147], v[146:147]
	s_delay_alu instid0(VALU_DEP_1) | instskip(NEXT) | instid1(VALU_DEP_1)
	v_fma_f64 v[32:33], -v[144:145], v[146:147], 1.0
	v_fma_f64 v[32:33], v[32:33], v[146:147], v[146:147]
	s_delay_alu instid0(VALU_DEP_1) | instskip(NEXT) | instid1(VALU_DEP_1)
	v_mul_f64 v[146:147], v[150:151], v[32:33]
	v_mul_f64 v[160:161], v[144:145], v[146:147]
	s_delay_alu instid0(VALU_DEP_1) | instskip(NEXT) | instid1(VALU_DEP_1)
	v_fma_f64 v[131:132], v[146:147], v[144:145], -v[160:161]
	v_fma_f64 v[131:132], v[146:147], v[34:35], v[131:132]
	s_delay_alu instid0(VALU_DEP_1) | instskip(NEXT) | instid1(VALU_DEP_1)
	v_add_f64 v[162:163], v[160:161], v[131:132]
	v_add_f64 v[164:165], v[150:151], -v[162:163]
	v_add_f64 v[148:149], v[162:163], -v[160:161]
	s_delay_alu instid0(VALU_DEP_2) | instskip(NEXT) | instid1(VALU_DEP_2)
	v_add_f64 v[150:151], v[150:151], -v[164:165]
	v_add_f64 v[131:132], v[148:149], -v[131:132]
	s_delay_alu instid0(VALU_DEP_2) | instskip(NEXT) | instid1(VALU_DEP_1)
	v_add_f64 v[150:151], v[150:151], -v[162:163]
	v_add_f64 v[8:9], v[8:9], v[150:151]
	s_delay_alu instid0(VALU_DEP_1) | instskip(NEXT) | instid1(VALU_DEP_1)
	v_add_f64 v[8:9], v[131:132], v[8:9]
	v_add_f64 v[131:132], v[164:165], v[8:9]
	s_delay_alu instid0(VALU_DEP_1) | instskip(SKIP_1) | instid1(VALU_DEP_2)
	v_mul_f64 v[148:149], v[32:33], v[131:132]
	v_add_f64 v[162:163], v[164:165], -v[131:132]
	v_mul_f64 v[150:151], v[144:145], v[148:149]
	s_delay_alu instid0(VALU_DEP_2) | instskip(NEXT) | instid1(VALU_DEP_2)
	v_add_f64 v[8:9], v[8:9], v[162:163]
	v_fma_f64 v[144:145], v[148:149], v[144:145], -v[150:151]
	s_delay_alu instid0(VALU_DEP_1) | instskip(NEXT) | instid1(VALU_DEP_1)
	v_fma_f64 v[34:35], v[148:149], v[34:35], v[144:145]
	v_add_f64 v[144:145], v[150:151], v[34:35]
	s_delay_alu instid0(VALU_DEP_1) | instskip(SKIP_1) | instid1(VALU_DEP_2)
	v_add_f64 v[160:161], v[131:132], -v[144:145]
	v_add_f64 v[150:151], v[144:145], -v[150:151]
	;; [unrolled: 1-line block ×3, first 2 shown]
	s_delay_alu instid0(VALU_DEP_2) | instskip(NEXT) | instid1(VALU_DEP_2)
	v_add_f64 v[34:35], v[150:151], -v[34:35]
	v_add_f64 v[131:132], v[131:132], -v[144:145]
	s_delay_alu instid0(VALU_DEP_1) | instskip(SKIP_1) | instid1(VALU_DEP_2)
	v_add_f64 v[8:9], v[8:9], v[131:132]
	v_add_f64 v[131:132], v[146:147], v[148:149]
	;; [unrolled: 1-line block ×3, first 2 shown]
	s_delay_alu instid0(VALU_DEP_2) | instskip(NEXT) | instid1(VALU_DEP_2)
	v_add_f64 v[34:35], v[131:132], -v[146:147]
	v_add_f64 v[8:9], v[160:161], v[8:9]
	s_delay_alu instid0(VALU_DEP_2) | instskip(NEXT) | instid1(VALU_DEP_2)
	v_add_f64 v[34:35], v[148:149], -v[34:35]
	v_mul_f64 v[8:9], v[32:33], v[8:9]
	s_delay_alu instid0(VALU_DEP_1) | instskip(NEXT) | instid1(VALU_DEP_1)
	v_add_f64 v[8:9], v[34:35], v[8:9]
	v_add_f64 v[32:33], v[131:132], v[8:9]
	s_delay_alu instid0(VALU_DEP_1) | instskip(NEXT) | instid1(VALU_DEP_1)
	v_mul_f64 v[34:35], v[32:33], v[32:33]
	v_fma_f64 v[144:145], v[34:35], s[26:27], s[24:25]
	s_mov_b32 s24, 0xd7f4df2e
	s_mov_b32 s25, 0x3fc7474d
	v_mul_f64 v[146:147], v[32:33], v[34:35]
	s_delay_alu instid0(VALU_DEP_2)
	v_fma_f64 v[144:145], v[34:35], v[144:145], s[24:25]
	s_mov_b32 s24, 0x16291751
	s_mov_b32 s25, 0x3fcc71c0
	s_delay_alu instid0(VALU_DEP_1) | instid1(SALU_CYCLE_1)
	v_fma_f64 v[144:145], v[34:35], v[144:145], s[24:25]
	s_mov_b32 s24, 0x9b27acf1
	s_mov_b32 s25, 0x3fd24924
	s_delay_alu instid0(VALU_DEP_1) | instid1(SALU_CYCLE_1)
	;; [unrolled: 4-line block ×3, first 2 shown]
	v_fma_f64 v[144:145], v[34:35], v[144:145], s[24:25]
	s_delay_alu instid0(VALU_DEP_1) | instskip(SKIP_2) | instid1(VALU_DEP_3)
	v_fma_f64 v[34:35], v[34:35], v[144:145], s[22:23]
	v_ldexp_f64 v[144:145], v[32:33], 1
	v_add_f64 v[32:33], v[32:33], -v[131:132]
	v_mul_f64 v[34:35], v[146:147], v[34:35]
	v_cvt_f64_i32_e32 v[146:147], v166
	s_delay_alu instid0(VALU_DEP_3) | instskip(NEXT) | instid1(VALU_DEP_3)
	v_add_f64 v[8:9], v[8:9], -v[32:33]
	v_add_f64 v[131:132], v[144:145], v[34:35]
	s_delay_alu instid0(VALU_DEP_3) | instskip(NEXT) | instid1(VALU_DEP_3)
	v_mul_f64 v[148:149], v[146:147], s[16:17]
	v_ldexp_f64 v[8:9], v[8:9], 1
	s_delay_alu instid0(VALU_DEP_3) | instskip(NEXT) | instid1(VALU_DEP_3)
	v_add_f64 v[32:33], v[131:132], -v[144:145]
	v_fma_f64 v[144:145], v[146:147], s[16:17], -v[148:149]
	s_delay_alu instid0(VALU_DEP_2) | instskip(NEXT) | instid1(VALU_DEP_2)
	v_add_f64 v[32:33], v[34:35], -v[32:33]
	v_fma_f64 v[34:35], v[146:147], s[20:21], v[144:145]
	s_delay_alu instid0(VALU_DEP_2) | instskip(NEXT) | instid1(VALU_DEP_2)
	v_add_f64 v[8:9], v[8:9], v[32:33]
	v_add_f64 v[32:33], v[148:149], v[34:35]
	s_delay_alu instid0(VALU_DEP_2) | instskip(NEXT) | instid1(VALU_DEP_2)
	v_add_f64 v[144:145], v[131:132], v[8:9]
	v_add_f64 v[148:149], v[32:33], -v[148:149]
	s_delay_alu instid0(VALU_DEP_2) | instskip(SKIP_1) | instid1(VALU_DEP_3)
	v_add_f64 v[146:147], v[32:33], v[144:145]
	v_add_f64 v[131:132], v[144:145], -v[131:132]
	v_add_f64 v[34:35], v[34:35], -v[148:149]
	s_delay_alu instid0(VALU_DEP_3) | instskip(NEXT) | instid1(VALU_DEP_3)
	v_add_f64 v[150:151], v[146:147], -v[32:33]
	v_add_f64 v[8:9], v[8:9], -v[131:132]
	s_delay_alu instid0(VALU_DEP_2) | instskip(SKIP_1) | instid1(VALU_DEP_3)
	v_add_f64 v[160:161], v[146:147], -v[150:151]
	v_add_f64 v[131:132], v[144:145], -v[150:151]
	v_add_f64 v[144:145], v[34:35], v[8:9]
	s_delay_alu instid0(VALU_DEP_3) | instskip(NEXT) | instid1(VALU_DEP_1)
	v_add_f64 v[32:33], v[32:33], -v[160:161]
	v_add_f64 v[32:33], v[131:132], v[32:33]
	s_delay_alu instid0(VALU_DEP_3) | instskip(NEXT) | instid1(VALU_DEP_2)
	v_add_f64 v[131:132], v[144:145], -v[34:35]
	v_add_f64 v[32:33], v[144:145], v[32:33]
	s_delay_alu instid0(VALU_DEP_2) | instskip(SKIP_1) | instid1(VALU_DEP_3)
	v_add_f64 v[144:145], v[144:145], -v[131:132]
	v_add_f64 v[8:9], v[8:9], -v[131:132]
	v_add_f64 v[148:149], v[146:147], v[32:33]
	s_delay_alu instid0(VALU_DEP_3) | instskip(NEXT) | instid1(VALU_DEP_2)
	v_add_f64 v[34:35], v[34:35], -v[144:145]
	v_add_f64 v[131:132], v[148:149], -v[146:147]
	s_delay_alu instid0(VALU_DEP_2) | instskip(NEXT) | instid1(VALU_DEP_2)
	v_add_f64 v[8:9], v[8:9], v[34:35]
	v_add_f64 v[32:33], v[32:33], -v[131:132]
	s_delay_alu instid0(VALU_DEP_1) | instskip(NEXT) | instid1(VALU_DEP_1)
	v_add_f64 v[8:9], v[8:9], v[32:33]
	v_add_f64 v[8:9], v[148:149], v[8:9]
	s_delay_alu instid0(VALU_DEP_1) | instskip(SKIP_1) | instid1(VALU_DEP_2)
	v_dual_cndmask_b32 v9, v9, v5 :: v_dual_cndmask_b32 v8, v8, v4
	v_cmp_ngt_f64_e32 vcc_lo, -1.0, v[4:5]
	v_cndmask_b32_e32 v9, 0x7ff80000, v9, vcc_lo
	v_cmp_nge_f64_e32 vcc_lo, -1.0, v[4:5]
	s_delay_alu instid0(VALU_DEP_4) | instskip(SKIP_1) | instid1(VALU_DEP_4)
	v_cndmask_b32_e32 v8, 0, v8, vcc_lo
	v_cmp_neq_f64_e32 vcc_lo, -1.0, v[4:5]
	v_cndmask_b32_e32 v9, 0xfff00000, v9, vcc_lo
	s_delay_alu instid0(VALU_DEP_1)
	v_add_f64 v[4:5], v[6:7], v[8:9]
.LBB76_48:
	s_or_b32 exec_lo, exec_lo, s19
	v_max_f64 v[32:33], v[70:71], v[70:71]
	s_delay_alu instid0(VALU_DEP_2) | instskip(SKIP_2) | instid1(VALU_DEP_3)
	v_max_f64 v[6:7], v[4:5], v[4:5]
	v_cmp_u_f64_e32 vcc_lo, v[4:5], v[4:5]
	v_cmp_u_f64_e64 s15, v[70:71], v[70:71]
	v_min_f64 v[8:9], v[6:7], v[32:33]
	v_max_f64 v[6:7], v[6:7], v[32:33]
	s_delay_alu instid0(VALU_DEP_2) | instskip(NEXT) | instid1(VALU_DEP_2)
	v_dual_cndmask_b32 v8, v8, v4 :: v_dual_cndmask_b32 v9, v9, v5
	v_dual_cndmask_b32 v7, v7, v5 :: v_dual_cndmask_b32 v6, v6, v4
	s_delay_alu instid0(VALU_DEP_2) | instskip(NEXT) | instid1(VALU_DEP_3)
	v_cndmask_b32_e64 v8, v8, v70, s15
	v_cndmask_b32_e64 v9, v9, v71, s15
	s_delay_alu instid0(VALU_DEP_3) | instskip(NEXT) | instid1(VALU_DEP_4)
	v_cndmask_b32_e64 v7, v7, v71, s15
	v_cndmask_b32_e64 v6, v6, v70, s15
	s_delay_alu instid0(VALU_DEP_3) | instskip(NEXT) | instid1(VALU_DEP_2)
	v_cmp_class_f64_e64 s16, v[8:9], 0x1f8
	v_cmp_neq_f64_e32 vcc_lo, v[8:9], v[6:7]
	s_delay_alu instid0(VALU_DEP_2) | instskip(NEXT) | instid1(SALU_CYCLE_1)
	s_or_b32 s16, vcc_lo, s16
	s_and_saveexec_b32 s19, s16
	s_cbranch_execz .LBB76_50
; %bb.49:
	v_add_f64 v[4:5], v[8:9], -v[6:7]
	s_mov_b32 s16, 0x652b82fe
	s_mov_b32 s17, 0x3ff71547
	;; [unrolled: 1-line block ×10, first 2 shown]
	s_delay_alu instid0(VALU_DEP_1) | instskip(SKIP_3) | instid1(VALU_DEP_2)
	v_mul_f64 v[8:9], v[4:5], s[16:17]
	s_mov_b32 s16, 0xfca7ab0c
	s_mov_b32 s17, 0x3e928af3
	v_cmp_nlt_f64_e32 vcc_lo, 0x40900000, v[4:5]
	v_rndne_f64_e32 v[8:9], v[8:9]
	s_delay_alu instid0(VALU_DEP_1) | instskip(SKIP_2) | instid1(VALU_DEP_2)
	v_fma_f64 v[34:35], v[8:9], s[20:21], v[4:5]
	v_cvt_i32_f64_e32 v144, v[8:9]
	s_mov_b32 s21, 0x3fe62e42
	v_fma_f64 v[34:35], v[8:9], s[22:23], v[34:35]
	s_mov_b32 s23, 0x3c7abc9e
	s_delay_alu instid0(VALU_DEP_1) | instskip(SKIP_4) | instid1(VALU_DEP_1)
	v_fma_f64 v[131:132], v[34:35], s[24:25], s[16:17]
	s_mov_b32 s16, 0x623fde64
	s_mov_b32 s17, 0x3ec71dee
	;; [unrolled: 1-line block ×4, first 2 shown]
	v_fma_f64 v[131:132], v[34:35], v[131:132], s[16:17]
	s_mov_b32 s16, 0x7c89e6b0
	s_mov_b32 s17, 0x3efa0199
	s_delay_alu instid0(VALU_DEP_1) | instid1(SALU_CYCLE_1)
	v_fma_f64 v[131:132], v[34:35], v[131:132], s[16:17]
	s_mov_b32 s16, 0x14761f6e
	s_mov_b32 s17, 0x3f2a01a0
	s_delay_alu instid0(VALU_DEP_1) | instid1(SALU_CYCLE_1)
	;; [unrolled: 4-line block ×7, first 2 shown]
	v_fma_f64 v[131:132], v[34:35], v[131:132], s[16:17]
	v_cmp_ngt_f64_e64 s16, 0xc090cc00, v[4:5]
	s_mov_b32 s17, 0x3fe55555
	s_delay_alu instid0(VALU_DEP_2) | instskip(NEXT) | instid1(VALU_DEP_1)
	v_fma_f64 v[131:132], v[34:35], v[131:132], 1.0
	v_fma_f64 v[8:9], v[34:35], v[131:132], 1.0
	s_delay_alu instid0(VALU_DEP_1) | instskip(NEXT) | instid1(VALU_DEP_1)
	v_ldexp_f64 v[8:9], v[8:9], v144
	v_cndmask_b32_e32 v9, 0x7ff00000, v9, vcc_lo
	s_and_b32 vcc_lo, s16, vcc_lo
	s_delay_alu instid0(VALU_DEP_1) | instskip(NEXT) | instid1(VALU_DEP_3)
	v_cndmask_b32_e64 v5, 0, v9, s16
	v_cndmask_b32_e32 v4, 0, v8, vcc_lo
	s_mov_b32 s16, 0x55555555
	s_delay_alu instid0(VALU_DEP_1) | instskip(NEXT) | instid1(VALU_DEP_1)
	v_add_f64 v[8:9], v[4:5], 1.0
	v_frexp_mant_f64_e32 v[34:35], v[8:9]
	v_frexp_exp_i32_f64_e32 v144, v[8:9]
	v_add_f64 v[131:132], v[8:9], -1.0
	s_delay_alu instid0(VALU_DEP_3) | instskip(SKIP_1) | instid1(VALU_DEP_2)
	v_cmp_gt_f64_e32 vcc_lo, s[16:17], v[34:35]
	s_mov_b32 s16, 0x55555780
	v_add_f64 v[34:35], v[131:132], -v[8:9]
	v_add_f64 v[131:132], v[4:5], -v[131:132]
	v_subrev_co_ci_u32_e32 v176, vcc_lo, 0, v144, vcc_lo
	s_delay_alu instid0(VALU_DEP_3) | instskip(SKIP_1) | instid1(VALU_DEP_3)
	v_add_f64 v[34:35], v[34:35], 1.0
	v_cmp_eq_f64_e32 vcc_lo, 0x7ff00000, v[4:5]
	v_sub_nc_u32_e32 v146, 0, v176
	s_delay_alu instid0(VALU_DEP_1) | instskip(NEXT) | instid1(VALU_DEP_4)
	v_ldexp_f64 v[8:9], v[8:9], v146
	v_add_f64 v[34:35], v[131:132], v[34:35]
	s_delay_alu instid0(VALU_DEP_2) | instskip(SKIP_1) | instid1(VALU_DEP_3)
	v_add_f64 v[144:145], v[8:9], 1.0
	v_add_f64 v[150:151], v[8:9], -1.0
	v_ldexp_f64 v[34:35], v[34:35], v146
	s_delay_alu instid0(VALU_DEP_3) | instskip(NEXT) | instid1(VALU_DEP_3)
	v_add_f64 v[131:132], v[144:145], -1.0
	v_add_f64 v[160:161], v[150:151], 1.0
	s_delay_alu instid0(VALU_DEP_2) | instskip(NEXT) | instid1(VALU_DEP_2)
	v_add_f64 v[131:132], v[8:9], -v[131:132]
	v_add_f64 v[8:9], v[8:9], -v[160:161]
	s_delay_alu instid0(VALU_DEP_2) | instskip(NEXT) | instid1(VALU_DEP_2)
	v_add_f64 v[131:132], v[34:35], v[131:132]
	v_add_f64 v[8:9], v[34:35], v[8:9]
	s_delay_alu instid0(VALU_DEP_2) | instskip(NEXT) | instid1(VALU_DEP_2)
	v_add_f64 v[146:147], v[144:145], v[131:132]
	v_add_f64 v[160:161], v[150:151], v[8:9]
	s_delay_alu instid0(VALU_DEP_2) | instskip(SKIP_1) | instid1(VALU_DEP_2)
	v_rcp_f64_e32 v[148:149], v[146:147]
	v_add_f64 v[144:145], v[146:147], -v[144:145]
	v_add_f64 v[150:151], v[160:161], -v[150:151]
	s_delay_alu instid0(VALU_DEP_2) | instskip(SKIP_3) | instid1(VALU_DEP_2)
	v_add_f64 v[131:132], v[131:132], -v[144:145]
	s_waitcnt_depctr 0xfff
	v_fma_f64 v[162:163], -v[146:147], v[148:149], 1.0
	v_add_f64 v[8:9], v[8:9], -v[150:151]
	v_fma_f64 v[148:149], v[162:163], v[148:149], v[148:149]
	s_delay_alu instid0(VALU_DEP_1) | instskip(NEXT) | instid1(VALU_DEP_1)
	v_fma_f64 v[34:35], -v[146:147], v[148:149], 1.0
	v_fma_f64 v[34:35], v[34:35], v[148:149], v[148:149]
	s_delay_alu instid0(VALU_DEP_1) | instskip(NEXT) | instid1(VALU_DEP_1)
	v_mul_f64 v[148:149], v[160:161], v[34:35]
	v_mul_f64 v[162:163], v[146:147], v[148:149]
	s_delay_alu instid0(VALU_DEP_1) | instskip(NEXT) | instid1(VALU_DEP_1)
	v_fma_f64 v[144:145], v[148:149], v[146:147], -v[162:163]
	v_fma_f64 v[144:145], v[148:149], v[131:132], v[144:145]
	s_delay_alu instid0(VALU_DEP_1) | instskip(NEXT) | instid1(VALU_DEP_1)
	v_add_f64 v[164:165], v[162:163], v[144:145]
	v_add_f64 v[166:167], v[160:161], -v[164:165]
	v_add_f64 v[150:151], v[164:165], -v[162:163]
	s_delay_alu instid0(VALU_DEP_2) | instskip(NEXT) | instid1(VALU_DEP_2)
	v_add_f64 v[160:161], v[160:161], -v[166:167]
	v_add_f64 v[144:145], v[150:151], -v[144:145]
	s_delay_alu instid0(VALU_DEP_2) | instskip(NEXT) | instid1(VALU_DEP_1)
	v_add_f64 v[160:161], v[160:161], -v[164:165]
	v_add_f64 v[8:9], v[8:9], v[160:161]
	s_delay_alu instid0(VALU_DEP_1) | instskip(NEXT) | instid1(VALU_DEP_1)
	v_add_f64 v[8:9], v[144:145], v[8:9]
	v_add_f64 v[144:145], v[166:167], v[8:9]
	s_delay_alu instid0(VALU_DEP_1) | instskip(SKIP_1) | instid1(VALU_DEP_2)
	v_mul_f64 v[150:151], v[34:35], v[144:145]
	v_add_f64 v[164:165], v[166:167], -v[144:145]
	v_mul_f64 v[160:161], v[146:147], v[150:151]
	s_delay_alu instid0(VALU_DEP_2) | instskip(NEXT) | instid1(VALU_DEP_2)
	v_add_f64 v[8:9], v[8:9], v[164:165]
	v_fma_f64 v[146:147], v[150:151], v[146:147], -v[160:161]
	s_delay_alu instid0(VALU_DEP_1) | instskip(NEXT) | instid1(VALU_DEP_1)
	v_fma_f64 v[131:132], v[150:151], v[131:132], v[146:147]
	v_add_f64 v[146:147], v[160:161], v[131:132]
	s_delay_alu instid0(VALU_DEP_1) | instskip(SKIP_1) | instid1(VALU_DEP_2)
	v_add_f64 v[162:163], v[144:145], -v[146:147]
	v_add_f64 v[160:161], v[146:147], -v[160:161]
	;; [unrolled: 1-line block ×3, first 2 shown]
	s_delay_alu instid0(VALU_DEP_2) | instskip(NEXT) | instid1(VALU_DEP_2)
	v_add_f64 v[131:132], v[160:161], -v[131:132]
	v_add_f64 v[144:145], v[144:145], -v[146:147]
	s_delay_alu instid0(VALU_DEP_1) | instskip(SKIP_1) | instid1(VALU_DEP_2)
	v_add_f64 v[8:9], v[8:9], v[144:145]
	v_add_f64 v[144:145], v[148:149], v[150:151]
	;; [unrolled: 1-line block ×3, first 2 shown]
	s_delay_alu instid0(VALU_DEP_2) | instskip(NEXT) | instid1(VALU_DEP_2)
	v_add_f64 v[131:132], v[144:145], -v[148:149]
	v_add_f64 v[8:9], v[162:163], v[8:9]
	s_delay_alu instid0(VALU_DEP_2) | instskip(NEXT) | instid1(VALU_DEP_2)
	v_add_f64 v[131:132], v[150:151], -v[131:132]
	v_mul_f64 v[8:9], v[34:35], v[8:9]
	s_delay_alu instid0(VALU_DEP_1) | instskip(NEXT) | instid1(VALU_DEP_1)
	v_add_f64 v[8:9], v[131:132], v[8:9]
	v_add_f64 v[34:35], v[144:145], v[8:9]
	s_delay_alu instid0(VALU_DEP_1) | instskip(NEXT) | instid1(VALU_DEP_1)
	v_mul_f64 v[131:132], v[34:35], v[34:35]
	v_fma_f64 v[146:147], v[131:132], s[26:27], s[24:25]
	s_mov_b32 s24, 0xd7f4df2e
	s_mov_b32 s25, 0x3fc7474d
	v_mul_f64 v[148:149], v[34:35], v[131:132]
	s_delay_alu instid0(VALU_DEP_2)
	v_fma_f64 v[146:147], v[131:132], v[146:147], s[24:25]
	s_mov_b32 s24, 0x16291751
	s_mov_b32 s25, 0x3fcc71c0
	s_delay_alu instid0(VALU_DEP_1) | instid1(SALU_CYCLE_1)
	v_fma_f64 v[146:147], v[131:132], v[146:147], s[24:25]
	s_mov_b32 s24, 0x9b27acf1
	s_mov_b32 s25, 0x3fd24924
	s_delay_alu instid0(VALU_DEP_1) | instid1(SALU_CYCLE_1)
	;; [unrolled: 4-line block ×3, first 2 shown]
	v_fma_f64 v[146:147], v[131:132], v[146:147], s[24:25]
	s_delay_alu instid0(VALU_DEP_1) | instskip(SKIP_2) | instid1(VALU_DEP_3)
	v_fma_f64 v[131:132], v[131:132], v[146:147], s[16:17]
	v_ldexp_f64 v[146:147], v[34:35], 1
	v_add_f64 v[34:35], v[34:35], -v[144:145]
	v_mul_f64 v[131:132], v[148:149], v[131:132]
	v_cvt_f64_i32_e32 v[148:149], v176
	s_delay_alu instid0(VALU_DEP_3) | instskip(NEXT) | instid1(VALU_DEP_3)
	v_add_f64 v[8:9], v[8:9], -v[34:35]
	v_add_f64 v[144:145], v[146:147], v[131:132]
	s_delay_alu instid0(VALU_DEP_3) | instskip(NEXT) | instid1(VALU_DEP_3)
	v_mul_f64 v[150:151], v[148:149], s[20:21]
	v_ldexp_f64 v[8:9], v[8:9], 1
	s_delay_alu instid0(VALU_DEP_3) | instskip(NEXT) | instid1(VALU_DEP_3)
	v_add_f64 v[34:35], v[144:145], -v[146:147]
	v_fma_f64 v[146:147], v[148:149], s[20:21], -v[150:151]
	s_delay_alu instid0(VALU_DEP_2) | instskip(NEXT) | instid1(VALU_DEP_2)
	v_add_f64 v[34:35], v[131:132], -v[34:35]
	v_fma_f64 v[131:132], v[148:149], s[22:23], v[146:147]
	s_delay_alu instid0(VALU_DEP_2) | instskip(NEXT) | instid1(VALU_DEP_2)
	v_add_f64 v[8:9], v[8:9], v[34:35]
	v_add_f64 v[34:35], v[150:151], v[131:132]
	s_delay_alu instid0(VALU_DEP_2) | instskip(NEXT) | instid1(VALU_DEP_2)
	v_add_f64 v[146:147], v[144:145], v[8:9]
	v_add_f64 v[150:151], v[34:35], -v[150:151]
	s_delay_alu instid0(VALU_DEP_2) | instskip(SKIP_1) | instid1(VALU_DEP_3)
	v_add_f64 v[148:149], v[34:35], v[146:147]
	v_add_f64 v[144:145], v[146:147], -v[144:145]
	v_add_f64 v[131:132], v[131:132], -v[150:151]
	s_delay_alu instid0(VALU_DEP_3) | instskip(NEXT) | instid1(VALU_DEP_3)
	v_add_f64 v[160:161], v[148:149], -v[34:35]
	v_add_f64 v[8:9], v[8:9], -v[144:145]
	s_delay_alu instid0(VALU_DEP_2) | instskip(SKIP_1) | instid1(VALU_DEP_3)
	v_add_f64 v[162:163], v[148:149], -v[160:161]
	v_add_f64 v[144:145], v[146:147], -v[160:161]
	v_add_f64 v[146:147], v[131:132], v[8:9]
	s_delay_alu instid0(VALU_DEP_3) | instskip(NEXT) | instid1(VALU_DEP_1)
	v_add_f64 v[34:35], v[34:35], -v[162:163]
	v_add_f64 v[34:35], v[144:145], v[34:35]
	s_delay_alu instid0(VALU_DEP_3) | instskip(NEXT) | instid1(VALU_DEP_2)
	v_add_f64 v[144:145], v[146:147], -v[131:132]
	v_add_f64 v[34:35], v[146:147], v[34:35]
	s_delay_alu instid0(VALU_DEP_2) | instskip(SKIP_1) | instid1(VALU_DEP_3)
	v_add_f64 v[146:147], v[146:147], -v[144:145]
	v_add_f64 v[8:9], v[8:9], -v[144:145]
	v_add_f64 v[150:151], v[148:149], v[34:35]
	s_delay_alu instid0(VALU_DEP_3) | instskip(NEXT) | instid1(VALU_DEP_2)
	v_add_f64 v[131:132], v[131:132], -v[146:147]
	v_add_f64 v[144:145], v[150:151], -v[148:149]
	s_delay_alu instid0(VALU_DEP_2) | instskip(NEXT) | instid1(VALU_DEP_2)
	v_add_f64 v[8:9], v[8:9], v[131:132]
	v_add_f64 v[34:35], v[34:35], -v[144:145]
	s_delay_alu instid0(VALU_DEP_1) | instskip(NEXT) | instid1(VALU_DEP_1)
	v_add_f64 v[8:9], v[8:9], v[34:35]
	v_add_f64 v[8:9], v[150:151], v[8:9]
	s_delay_alu instid0(VALU_DEP_1) | instskip(SKIP_1) | instid1(VALU_DEP_2)
	v_dual_cndmask_b32 v9, v9, v5 :: v_dual_cndmask_b32 v8, v8, v4
	v_cmp_ngt_f64_e32 vcc_lo, -1.0, v[4:5]
	v_cndmask_b32_e32 v9, 0x7ff80000, v9, vcc_lo
	v_cmp_nge_f64_e32 vcc_lo, -1.0, v[4:5]
	s_delay_alu instid0(VALU_DEP_4) | instskip(SKIP_1) | instid1(VALU_DEP_4)
	v_cndmask_b32_e32 v8, 0, v8, vcc_lo
	v_cmp_neq_f64_e32 vcc_lo, -1.0, v[4:5]
	v_cndmask_b32_e32 v9, 0xfff00000, v9, vcc_lo
	s_delay_alu instid0(VALU_DEP_1)
	v_add_f64 v[4:5], v[6:7], v[8:9]
.LBB76_50:
	s_or_b32 exec_lo, exec_lo, s19
	v_max_f64 v[34:35], v[64:65], v[64:65]
	s_delay_alu instid0(VALU_DEP_2) | instskip(SKIP_2) | instid1(VALU_DEP_3)
	v_max_f64 v[6:7], v[4:5], v[4:5]
	v_cmp_u_f64_e32 vcc_lo, v[4:5], v[4:5]
	v_cmp_u_f64_e64 s16, v[64:65], v[64:65]
	v_min_f64 v[8:9], v[6:7], v[34:35]
	v_max_f64 v[6:7], v[6:7], v[34:35]
	s_delay_alu instid0(VALU_DEP_2) | instskip(NEXT) | instid1(VALU_DEP_2)
	v_dual_cndmask_b32 v8, v8, v4 :: v_dual_cndmask_b32 v9, v9, v5
	v_dual_cndmask_b32 v7, v7, v5 :: v_dual_cndmask_b32 v6, v6, v4
	s_delay_alu instid0(VALU_DEP_2) | instskip(NEXT) | instid1(VALU_DEP_3)
	v_cndmask_b32_e64 v8, v8, v64, s16
	v_cndmask_b32_e64 v9, v9, v65, s16
	s_delay_alu instid0(VALU_DEP_3) | instskip(NEXT) | instid1(VALU_DEP_4)
	v_cndmask_b32_e64 v7, v7, v65, s16
	v_cndmask_b32_e64 v6, v6, v64, s16
	s_delay_alu instid0(VALU_DEP_3) | instskip(NEXT) | instid1(VALU_DEP_2)
	v_cmp_class_f64_e64 s17, v[8:9], 0x1f8
	v_cmp_neq_f64_e32 vcc_lo, v[8:9], v[6:7]
	s_delay_alu instid0(VALU_DEP_2) | instskip(NEXT) | instid1(SALU_CYCLE_1)
	s_or_b32 s17, vcc_lo, s17
	s_and_saveexec_b32 s19, s17
	s_cbranch_execz .LBB76_52
; %bb.51:
	v_add_f64 v[4:5], v[8:9], -v[6:7]
	s_mov_b32 s20, 0x652b82fe
	s_mov_b32 s21, 0x3ff71547
	;; [unrolled: 1-line block ×10, first 2 shown]
	s_delay_alu instid0(VALU_DEP_1) | instskip(SKIP_4) | instid1(VALU_DEP_3)
	v_mul_f64 v[8:9], v[4:5], s[20:21]
	s_mov_b32 s21, 0xbfe62e42
	s_mov_b32 s20, 0xfefa39ef
	v_cmp_nlt_f64_e32 vcc_lo, 0x40900000, v[4:5]
	v_cmp_ngt_f64_e64 s17, 0xc090cc00, v[4:5]
	v_rndne_f64_e32 v[8:9], v[8:9]
	s_delay_alu instid0(VALU_DEP_1) | instskip(SKIP_2) | instid1(VALU_DEP_2)
	v_fma_f64 v[131:132], v[8:9], s[20:21], v[4:5]
	v_cvt_i32_f64_e32 v146, v[8:9]
	s_mov_b32 s21, 0x3fe62e42
	v_fma_f64 v[131:132], v[8:9], s[22:23], v[131:132]
	s_mov_b32 s23, 0x3c7abc9e
	s_delay_alu instid0(VALU_DEP_1) | instskip(SKIP_4) | instid1(VALU_DEP_1)
	v_fma_f64 v[144:145], v[131:132], s[26:27], s[24:25]
	s_mov_b32 s24, 0x623fde64
	s_mov_b32 s25, 0x3ec71dee
	;; [unrolled: 1-line block ×4, first 2 shown]
	v_fma_f64 v[144:145], v[131:132], v[144:145], s[24:25]
	s_mov_b32 s24, 0x7c89e6b0
	s_mov_b32 s25, 0x3efa0199
	s_delay_alu instid0(VALU_DEP_1) | instid1(SALU_CYCLE_1)
	v_fma_f64 v[144:145], v[131:132], v[144:145], s[24:25]
	s_mov_b32 s24, 0x14761f6e
	s_mov_b32 s25, 0x3f2a01a0
	s_delay_alu instid0(VALU_DEP_1) | instid1(SALU_CYCLE_1)
	;; [unrolled: 4-line block ×7, first 2 shown]
	v_fma_f64 v[144:145], v[131:132], v[144:145], s[24:25]
	s_mov_b32 s25, 0x3fe55555
	s_mov_b32 s24, 0x55555555
	s_delay_alu instid0(VALU_DEP_1) | instskip(NEXT) | instid1(VALU_DEP_1)
	v_fma_f64 v[144:145], v[131:132], v[144:145], 1.0
	v_fma_f64 v[8:9], v[131:132], v[144:145], 1.0
	s_delay_alu instid0(VALU_DEP_1) | instskip(NEXT) | instid1(VALU_DEP_1)
	v_ldexp_f64 v[8:9], v[8:9], v146
	v_cndmask_b32_e32 v9, 0x7ff00000, v9, vcc_lo
	s_and_b32 vcc_lo, s17, vcc_lo
	s_delay_alu instid0(VALU_DEP_1) | instskip(NEXT) | instid1(VALU_DEP_3)
	v_cndmask_b32_e64 v5, 0, v9, s17
	v_cndmask_b32_e32 v4, 0, v8, vcc_lo
	s_delay_alu instid0(VALU_DEP_1) | instskip(NEXT) | instid1(VALU_DEP_1)
	v_add_f64 v[8:9], v[4:5], 1.0
	v_frexp_mant_f64_e32 v[131:132], v[8:9]
	v_frexp_exp_i32_f64_e32 v146, v[8:9]
	v_add_f64 v[144:145], v[8:9], -1.0
	s_delay_alu instid0(VALU_DEP_3) | instskip(SKIP_1) | instid1(VALU_DEP_2)
	v_cmp_gt_f64_e32 vcc_lo, s[24:25], v[131:132]
	s_mov_b32 s24, 0x55555780
	v_add_f64 v[131:132], v[144:145], -v[8:9]
	v_add_f64 v[144:145], v[4:5], -v[144:145]
	v_subrev_co_ci_u32_e32 v212, vcc_lo, 0, v146, vcc_lo
	s_delay_alu instid0(VALU_DEP_3) | instskip(SKIP_1) | instid1(VALU_DEP_3)
	v_add_f64 v[131:132], v[131:132], 1.0
	v_cmp_eq_f64_e32 vcc_lo, 0x7ff00000, v[4:5]
	v_sub_nc_u32_e32 v148, 0, v212
	s_delay_alu instid0(VALU_DEP_1) | instskip(NEXT) | instid1(VALU_DEP_4)
	v_ldexp_f64 v[8:9], v[8:9], v148
	v_add_f64 v[131:132], v[144:145], v[131:132]
	s_delay_alu instid0(VALU_DEP_2) | instskip(SKIP_1) | instid1(VALU_DEP_3)
	v_add_f64 v[146:147], v[8:9], 1.0
	v_add_f64 v[160:161], v[8:9], -1.0
	v_ldexp_f64 v[131:132], v[131:132], v148
	s_delay_alu instid0(VALU_DEP_3) | instskip(NEXT) | instid1(VALU_DEP_3)
	v_add_f64 v[144:145], v[146:147], -1.0
	v_add_f64 v[162:163], v[160:161], 1.0
	s_delay_alu instid0(VALU_DEP_2) | instskip(NEXT) | instid1(VALU_DEP_2)
	v_add_f64 v[144:145], v[8:9], -v[144:145]
	v_add_f64 v[8:9], v[8:9], -v[162:163]
	s_delay_alu instid0(VALU_DEP_2) | instskip(NEXT) | instid1(VALU_DEP_2)
	v_add_f64 v[144:145], v[131:132], v[144:145]
	v_add_f64 v[8:9], v[131:132], v[8:9]
	s_delay_alu instid0(VALU_DEP_2) | instskip(NEXT) | instid1(VALU_DEP_2)
	v_add_f64 v[148:149], v[146:147], v[144:145]
	v_add_f64 v[162:163], v[160:161], v[8:9]
	s_delay_alu instid0(VALU_DEP_2) | instskip(SKIP_1) | instid1(VALU_DEP_2)
	v_rcp_f64_e32 v[150:151], v[148:149]
	v_add_f64 v[146:147], v[148:149], -v[146:147]
	v_add_f64 v[160:161], v[162:163], -v[160:161]
	s_delay_alu instid0(VALU_DEP_2) | instskip(SKIP_3) | instid1(VALU_DEP_2)
	v_add_f64 v[144:145], v[144:145], -v[146:147]
	s_waitcnt_depctr 0xfff
	v_fma_f64 v[164:165], -v[148:149], v[150:151], 1.0
	v_add_f64 v[8:9], v[8:9], -v[160:161]
	v_fma_f64 v[150:151], v[164:165], v[150:151], v[150:151]
	s_delay_alu instid0(VALU_DEP_1) | instskip(NEXT) | instid1(VALU_DEP_1)
	v_fma_f64 v[131:132], -v[148:149], v[150:151], 1.0
	v_fma_f64 v[131:132], v[131:132], v[150:151], v[150:151]
	s_delay_alu instid0(VALU_DEP_1) | instskip(NEXT) | instid1(VALU_DEP_1)
	v_mul_f64 v[150:151], v[162:163], v[131:132]
	v_mul_f64 v[164:165], v[148:149], v[150:151]
	s_delay_alu instid0(VALU_DEP_1) | instskip(NEXT) | instid1(VALU_DEP_1)
	v_fma_f64 v[146:147], v[150:151], v[148:149], -v[164:165]
	v_fma_f64 v[146:147], v[150:151], v[144:145], v[146:147]
	s_delay_alu instid0(VALU_DEP_1) | instskip(NEXT) | instid1(VALU_DEP_1)
	v_add_f64 v[166:167], v[164:165], v[146:147]
	v_add_f64 v[176:177], v[162:163], -v[166:167]
	v_add_f64 v[160:161], v[166:167], -v[164:165]
	s_delay_alu instid0(VALU_DEP_2) | instskip(NEXT) | instid1(VALU_DEP_2)
	v_add_f64 v[162:163], v[162:163], -v[176:177]
	v_add_f64 v[146:147], v[160:161], -v[146:147]
	s_delay_alu instid0(VALU_DEP_2) | instskip(NEXT) | instid1(VALU_DEP_1)
	v_add_f64 v[162:163], v[162:163], -v[166:167]
	v_add_f64 v[8:9], v[8:9], v[162:163]
	s_delay_alu instid0(VALU_DEP_1) | instskip(NEXT) | instid1(VALU_DEP_1)
	v_add_f64 v[8:9], v[146:147], v[8:9]
	v_add_f64 v[146:147], v[176:177], v[8:9]
	s_delay_alu instid0(VALU_DEP_1) | instskip(SKIP_1) | instid1(VALU_DEP_2)
	v_mul_f64 v[160:161], v[131:132], v[146:147]
	v_add_f64 v[166:167], v[176:177], -v[146:147]
	v_mul_f64 v[162:163], v[148:149], v[160:161]
	s_delay_alu instid0(VALU_DEP_2) | instskip(NEXT) | instid1(VALU_DEP_2)
	v_add_f64 v[8:9], v[8:9], v[166:167]
	v_fma_f64 v[148:149], v[160:161], v[148:149], -v[162:163]
	s_delay_alu instid0(VALU_DEP_1) | instskip(NEXT) | instid1(VALU_DEP_1)
	v_fma_f64 v[144:145], v[160:161], v[144:145], v[148:149]
	v_add_f64 v[148:149], v[162:163], v[144:145]
	s_delay_alu instid0(VALU_DEP_1) | instskip(SKIP_1) | instid1(VALU_DEP_2)
	v_add_f64 v[164:165], v[146:147], -v[148:149]
	v_add_f64 v[162:163], v[148:149], -v[162:163]
	;; [unrolled: 1-line block ×3, first 2 shown]
	s_delay_alu instid0(VALU_DEP_2) | instskip(NEXT) | instid1(VALU_DEP_2)
	v_add_f64 v[144:145], v[162:163], -v[144:145]
	v_add_f64 v[146:147], v[146:147], -v[148:149]
	s_delay_alu instid0(VALU_DEP_1) | instskip(SKIP_1) | instid1(VALU_DEP_2)
	v_add_f64 v[8:9], v[8:9], v[146:147]
	v_add_f64 v[146:147], v[150:151], v[160:161]
	;; [unrolled: 1-line block ×3, first 2 shown]
	s_delay_alu instid0(VALU_DEP_2) | instskip(NEXT) | instid1(VALU_DEP_2)
	v_add_f64 v[144:145], v[146:147], -v[150:151]
	v_add_f64 v[8:9], v[164:165], v[8:9]
	s_delay_alu instid0(VALU_DEP_2) | instskip(NEXT) | instid1(VALU_DEP_2)
	v_add_f64 v[144:145], v[160:161], -v[144:145]
	v_mul_f64 v[8:9], v[131:132], v[8:9]
	s_delay_alu instid0(VALU_DEP_1) | instskip(NEXT) | instid1(VALU_DEP_1)
	v_add_f64 v[8:9], v[144:145], v[8:9]
	v_add_f64 v[131:132], v[146:147], v[8:9]
	s_delay_alu instid0(VALU_DEP_1) | instskip(NEXT) | instid1(VALU_DEP_1)
	v_mul_f64 v[144:145], v[131:132], v[131:132]
	v_fma_f64 v[148:149], v[144:145], s[28:29], s[26:27]
	s_mov_b32 s26, 0xd7f4df2e
	s_mov_b32 s27, 0x3fc7474d
	v_mul_f64 v[150:151], v[131:132], v[144:145]
	s_delay_alu instid0(VALU_DEP_2)
	v_fma_f64 v[148:149], v[144:145], v[148:149], s[26:27]
	s_mov_b32 s26, 0x16291751
	s_mov_b32 s27, 0x3fcc71c0
	s_delay_alu instid0(VALU_DEP_1) | instid1(SALU_CYCLE_1)
	v_fma_f64 v[148:149], v[144:145], v[148:149], s[26:27]
	s_mov_b32 s26, 0x9b27acf1
	s_mov_b32 s27, 0x3fd24924
	s_delay_alu instid0(VALU_DEP_1) | instid1(SALU_CYCLE_1)
	;; [unrolled: 4-line block ×3, first 2 shown]
	v_fma_f64 v[148:149], v[144:145], v[148:149], s[26:27]
	s_delay_alu instid0(VALU_DEP_1) | instskip(SKIP_2) | instid1(VALU_DEP_3)
	v_fma_f64 v[144:145], v[144:145], v[148:149], s[24:25]
	v_ldexp_f64 v[148:149], v[131:132], 1
	v_add_f64 v[131:132], v[131:132], -v[146:147]
	v_mul_f64 v[144:145], v[150:151], v[144:145]
	v_cvt_f64_i32_e32 v[150:151], v212
	s_delay_alu instid0(VALU_DEP_3) | instskip(NEXT) | instid1(VALU_DEP_3)
	v_add_f64 v[8:9], v[8:9], -v[131:132]
	v_add_f64 v[146:147], v[148:149], v[144:145]
	s_delay_alu instid0(VALU_DEP_3) | instskip(NEXT) | instid1(VALU_DEP_3)
	v_mul_f64 v[160:161], v[150:151], s[20:21]
	v_ldexp_f64 v[8:9], v[8:9], 1
	s_delay_alu instid0(VALU_DEP_3) | instskip(NEXT) | instid1(VALU_DEP_3)
	v_add_f64 v[131:132], v[146:147], -v[148:149]
	v_fma_f64 v[148:149], v[150:151], s[20:21], -v[160:161]
	s_delay_alu instid0(VALU_DEP_2) | instskip(NEXT) | instid1(VALU_DEP_2)
	v_add_f64 v[131:132], v[144:145], -v[131:132]
	v_fma_f64 v[144:145], v[150:151], s[22:23], v[148:149]
	s_delay_alu instid0(VALU_DEP_2) | instskip(NEXT) | instid1(VALU_DEP_2)
	v_add_f64 v[8:9], v[8:9], v[131:132]
	v_add_f64 v[131:132], v[160:161], v[144:145]
	s_delay_alu instid0(VALU_DEP_2) | instskip(NEXT) | instid1(VALU_DEP_2)
	v_add_f64 v[148:149], v[146:147], v[8:9]
	v_add_f64 v[160:161], v[131:132], -v[160:161]
	s_delay_alu instid0(VALU_DEP_2) | instskip(SKIP_1) | instid1(VALU_DEP_3)
	v_add_f64 v[150:151], v[131:132], v[148:149]
	v_add_f64 v[146:147], v[148:149], -v[146:147]
	v_add_f64 v[144:145], v[144:145], -v[160:161]
	s_delay_alu instid0(VALU_DEP_3) | instskip(NEXT) | instid1(VALU_DEP_3)
	v_add_f64 v[162:163], v[150:151], -v[131:132]
	v_add_f64 v[8:9], v[8:9], -v[146:147]
	s_delay_alu instid0(VALU_DEP_2) | instskip(SKIP_1) | instid1(VALU_DEP_3)
	v_add_f64 v[164:165], v[150:151], -v[162:163]
	v_add_f64 v[146:147], v[148:149], -v[162:163]
	v_add_f64 v[148:149], v[144:145], v[8:9]
	s_delay_alu instid0(VALU_DEP_3) | instskip(NEXT) | instid1(VALU_DEP_1)
	v_add_f64 v[131:132], v[131:132], -v[164:165]
	v_add_f64 v[131:132], v[146:147], v[131:132]
	s_delay_alu instid0(VALU_DEP_3) | instskip(NEXT) | instid1(VALU_DEP_2)
	v_add_f64 v[146:147], v[148:149], -v[144:145]
	v_add_f64 v[131:132], v[148:149], v[131:132]
	s_delay_alu instid0(VALU_DEP_2) | instskip(SKIP_1) | instid1(VALU_DEP_3)
	v_add_f64 v[148:149], v[148:149], -v[146:147]
	v_add_f64 v[8:9], v[8:9], -v[146:147]
	v_add_f64 v[160:161], v[150:151], v[131:132]
	s_delay_alu instid0(VALU_DEP_3) | instskip(NEXT) | instid1(VALU_DEP_2)
	v_add_f64 v[144:145], v[144:145], -v[148:149]
	v_add_f64 v[146:147], v[160:161], -v[150:151]
	s_delay_alu instid0(VALU_DEP_2) | instskip(NEXT) | instid1(VALU_DEP_2)
	v_add_f64 v[8:9], v[8:9], v[144:145]
	v_add_f64 v[131:132], v[131:132], -v[146:147]
	s_delay_alu instid0(VALU_DEP_1) | instskip(NEXT) | instid1(VALU_DEP_1)
	v_add_f64 v[8:9], v[8:9], v[131:132]
	v_add_f64 v[8:9], v[160:161], v[8:9]
	s_delay_alu instid0(VALU_DEP_1) | instskip(SKIP_1) | instid1(VALU_DEP_2)
	v_dual_cndmask_b32 v9, v9, v5 :: v_dual_cndmask_b32 v8, v8, v4
	v_cmp_ngt_f64_e32 vcc_lo, -1.0, v[4:5]
	v_cndmask_b32_e32 v9, 0x7ff80000, v9, vcc_lo
	v_cmp_nge_f64_e32 vcc_lo, -1.0, v[4:5]
	s_delay_alu instid0(VALU_DEP_4) | instskip(SKIP_1) | instid1(VALU_DEP_4)
	v_cndmask_b32_e32 v8, 0, v8, vcc_lo
	v_cmp_neq_f64_e32 vcc_lo, -1.0, v[4:5]
	v_cndmask_b32_e32 v9, 0xfff00000, v9, vcc_lo
	s_delay_alu instid0(VALU_DEP_1)
	v_add_f64 v[4:5], v[6:7], v[8:9]
.LBB76_52:
	s_or_b32 exec_lo, exec_lo, s19
	v_max_f64 v[131:132], v[66:67], v[66:67]
	s_delay_alu instid0(VALU_DEP_2) | instskip(SKIP_2) | instid1(VALU_DEP_3)
	v_max_f64 v[6:7], v[4:5], v[4:5]
	v_cmp_u_f64_e32 vcc_lo, v[4:5], v[4:5]
	v_cmp_u_f64_e64 s17, v[66:67], v[66:67]
	v_min_f64 v[8:9], v[6:7], v[131:132]
	v_max_f64 v[6:7], v[6:7], v[131:132]
	s_delay_alu instid0(VALU_DEP_2) | instskip(NEXT) | instid1(VALU_DEP_2)
	v_dual_cndmask_b32 v8, v8, v4 :: v_dual_cndmask_b32 v9, v9, v5
	v_dual_cndmask_b32 v7, v7, v5 :: v_dual_cndmask_b32 v6, v6, v4
	s_delay_alu instid0(VALU_DEP_2) | instskip(NEXT) | instid1(VALU_DEP_3)
	v_cndmask_b32_e64 v8, v8, v66, s17
	v_cndmask_b32_e64 v9, v9, v67, s17
	s_delay_alu instid0(VALU_DEP_3) | instskip(NEXT) | instid1(VALU_DEP_4)
	v_cndmask_b32_e64 v7, v7, v67, s17
	v_cndmask_b32_e64 v6, v6, v66, s17
	s_delay_alu instid0(VALU_DEP_3) | instskip(NEXT) | instid1(VALU_DEP_2)
	v_cmp_class_f64_e64 s19, v[8:9], 0x1f8
	v_cmp_neq_f64_e32 vcc_lo, v[8:9], v[6:7]
	s_delay_alu instid0(VALU_DEP_2) | instskip(NEXT) | instid1(SALU_CYCLE_1)
	s_or_b32 s19, vcc_lo, s19
	s_and_saveexec_b32 s26, s19
	s_cbranch_execz .LBB76_54
; %bb.53:
	v_add_f64 v[4:5], v[8:9], -v[6:7]
	s_mov_b32 s20, 0x652b82fe
	s_mov_b32 s21, 0x3ff71547
	s_mov_b32 s23, 0xbc7abc9e
	s_mov_b32 s22, 0x3b39803f
	s_mov_b32 s24, 0xfca7ab0c
	s_mov_b32 s28, 0x6a5dcb37
	s_mov_b32 s25, 0x3e928af3
	s_mov_b32 s29, 0x3e5ade15
	s_delay_alu instid0(VALU_DEP_1) | instskip(SKIP_4) | instid1(VALU_DEP_3)
	v_mul_f64 v[8:9], v[4:5], s[20:21]
	s_mov_b32 s21, 0xbfe62e42
	s_mov_b32 s20, 0xfefa39ef
	v_cmp_nlt_f64_e32 vcc_lo, 0x40900000, v[4:5]
	v_cmp_ngt_f64_e64 s19, 0xc090cc00, v[4:5]
	v_rndne_f64_e32 v[8:9], v[8:9]
	s_delay_alu instid0(VALU_DEP_1) | instskip(SKIP_2) | instid1(VALU_DEP_2)
	v_fma_f64 v[144:145], v[8:9], s[20:21], v[4:5]
	v_cvt_i32_f64_e32 v148, v[8:9]
	s_mov_b32 s21, 0x3fe62e42
	v_fma_f64 v[144:145], v[8:9], s[22:23], v[144:145]
	s_mov_b32 s23, 0x3c7abc9e
	s_delay_alu instid0(VALU_DEP_1) | instskip(SKIP_4) | instid1(VALU_DEP_1)
	v_fma_f64 v[146:147], v[144:145], s[28:29], s[24:25]
	s_mov_b32 s24, 0x623fde64
	s_mov_b32 s25, 0x3ec71dee
	;; [unrolled: 1-line block ×4, first 2 shown]
	v_fma_f64 v[146:147], v[144:145], v[146:147], s[24:25]
	s_mov_b32 s24, 0x7c89e6b0
	s_mov_b32 s25, 0x3efa0199
	s_delay_alu instid0(VALU_DEP_1) | instid1(SALU_CYCLE_1)
	v_fma_f64 v[146:147], v[144:145], v[146:147], s[24:25]
	s_mov_b32 s24, 0x14761f6e
	s_mov_b32 s25, 0x3f2a01a0
	s_delay_alu instid0(VALU_DEP_1) | instid1(SALU_CYCLE_1)
	;; [unrolled: 4-line block ×7, first 2 shown]
	v_fma_f64 v[146:147], v[144:145], v[146:147], s[24:25]
	s_mov_b32 s25, 0x3fe55555
	s_mov_b32 s24, 0x55555555
	s_delay_alu instid0(VALU_DEP_1) | instskip(NEXT) | instid1(VALU_DEP_1)
	v_fma_f64 v[146:147], v[144:145], v[146:147], 1.0
	v_fma_f64 v[8:9], v[144:145], v[146:147], 1.0
	s_delay_alu instid0(VALU_DEP_1) | instskip(NEXT) | instid1(VALU_DEP_1)
	v_ldexp_f64 v[8:9], v[8:9], v148
	v_cndmask_b32_e32 v9, 0x7ff00000, v9, vcc_lo
	s_and_b32 vcc_lo, s19, vcc_lo
	s_delay_alu instid0(VALU_DEP_1) | instskip(NEXT) | instid1(VALU_DEP_3)
	v_cndmask_b32_e64 v5, 0, v9, s19
	v_cndmask_b32_e32 v4, 0, v8, vcc_lo
	s_delay_alu instid0(VALU_DEP_1) | instskip(NEXT) | instid1(VALU_DEP_1)
	v_add_f64 v[8:9], v[4:5], 1.0
	v_frexp_mant_f64_e32 v[144:145], v[8:9]
	v_frexp_exp_i32_f64_e32 v148, v[8:9]
	v_add_f64 v[146:147], v[8:9], -1.0
	s_delay_alu instid0(VALU_DEP_3) | instskip(SKIP_1) | instid1(VALU_DEP_2)
	v_cmp_gt_f64_e32 vcc_lo, s[24:25], v[144:145]
	s_mov_b32 s24, 0x55555780
	v_add_f64 v[144:145], v[146:147], -v[8:9]
	v_add_f64 v[146:147], v[4:5], -v[146:147]
	v_subrev_co_ci_u32_e32 v214, vcc_lo, 0, v148, vcc_lo
	s_delay_alu instid0(VALU_DEP_3) | instskip(SKIP_2) | instid1(VALU_DEP_2)
	v_add_f64 v[144:145], v[144:145], 1.0
	s_mov_b32 vcc_lo, 0xbf559e2b
	s_mov_b32 vcc_hi, 0x3fc3ab76
	v_sub_nc_u32_e32 v150, 0, v214
	s_delay_alu instid0(VALU_DEP_1) | instskip(NEXT) | instid1(VALU_DEP_3)
	v_ldexp_f64 v[8:9], v[8:9], v150
	v_add_f64 v[144:145], v[146:147], v[144:145]
	s_delay_alu instid0(VALU_DEP_2) | instskip(SKIP_1) | instid1(VALU_DEP_3)
	v_add_f64 v[148:149], v[8:9], 1.0
	v_add_f64 v[162:163], v[8:9], -1.0
	v_ldexp_f64 v[144:145], v[144:145], v150
	s_delay_alu instid0(VALU_DEP_3) | instskip(NEXT) | instid1(VALU_DEP_3)
	v_add_f64 v[146:147], v[148:149], -1.0
	v_add_f64 v[164:165], v[162:163], 1.0
	s_delay_alu instid0(VALU_DEP_2) | instskip(NEXT) | instid1(VALU_DEP_2)
	v_add_f64 v[146:147], v[8:9], -v[146:147]
	v_add_f64 v[8:9], v[8:9], -v[164:165]
	s_delay_alu instid0(VALU_DEP_2) | instskip(NEXT) | instid1(VALU_DEP_2)
	v_add_f64 v[146:147], v[144:145], v[146:147]
	v_add_f64 v[8:9], v[144:145], v[8:9]
	s_delay_alu instid0(VALU_DEP_2) | instskip(NEXT) | instid1(VALU_DEP_2)
	v_add_f64 v[150:151], v[148:149], v[146:147]
	v_add_f64 v[164:165], v[162:163], v[8:9]
	s_delay_alu instid0(VALU_DEP_2) | instskip(SKIP_1) | instid1(VALU_DEP_2)
	v_rcp_f64_e32 v[160:161], v[150:151]
	v_add_f64 v[148:149], v[150:151], -v[148:149]
	v_add_f64 v[162:163], v[164:165], -v[162:163]
	s_delay_alu instid0(VALU_DEP_2) | instskip(SKIP_3) | instid1(VALU_DEP_2)
	v_add_f64 v[146:147], v[146:147], -v[148:149]
	s_waitcnt_depctr 0xfff
	v_fma_f64 v[166:167], -v[150:151], v[160:161], 1.0
	v_add_f64 v[8:9], v[8:9], -v[162:163]
	v_fma_f64 v[160:161], v[166:167], v[160:161], v[160:161]
	s_delay_alu instid0(VALU_DEP_1) | instskip(NEXT) | instid1(VALU_DEP_1)
	v_fma_f64 v[144:145], -v[150:151], v[160:161], 1.0
	v_fma_f64 v[144:145], v[144:145], v[160:161], v[160:161]
	s_delay_alu instid0(VALU_DEP_1) | instskip(NEXT) | instid1(VALU_DEP_1)
	v_mul_f64 v[160:161], v[164:165], v[144:145]
	v_mul_f64 v[166:167], v[150:151], v[160:161]
	s_delay_alu instid0(VALU_DEP_1) | instskip(NEXT) | instid1(VALU_DEP_1)
	v_fma_f64 v[148:149], v[160:161], v[150:151], -v[166:167]
	v_fma_f64 v[148:149], v[160:161], v[146:147], v[148:149]
	s_delay_alu instid0(VALU_DEP_1) | instskip(NEXT) | instid1(VALU_DEP_1)
	v_add_f64 v[176:177], v[166:167], v[148:149]
	v_add_f64 v[212:213], v[164:165], -v[176:177]
	v_add_f64 v[162:163], v[176:177], -v[166:167]
	s_delay_alu instid0(VALU_DEP_2) | instskip(NEXT) | instid1(VALU_DEP_2)
	v_add_f64 v[164:165], v[164:165], -v[212:213]
	v_add_f64 v[148:149], v[162:163], -v[148:149]
	s_delay_alu instid0(VALU_DEP_2) | instskip(NEXT) | instid1(VALU_DEP_1)
	v_add_f64 v[164:165], v[164:165], -v[176:177]
	v_add_f64 v[8:9], v[8:9], v[164:165]
	s_delay_alu instid0(VALU_DEP_1) | instskip(NEXT) | instid1(VALU_DEP_1)
	v_add_f64 v[8:9], v[148:149], v[8:9]
	v_add_f64 v[148:149], v[212:213], v[8:9]
	s_delay_alu instid0(VALU_DEP_1) | instskip(SKIP_1) | instid1(VALU_DEP_2)
	v_mul_f64 v[162:163], v[144:145], v[148:149]
	v_add_f64 v[176:177], v[212:213], -v[148:149]
	v_mul_f64 v[164:165], v[150:151], v[162:163]
	s_delay_alu instid0(VALU_DEP_2) | instskip(NEXT) | instid1(VALU_DEP_2)
	v_add_f64 v[8:9], v[8:9], v[176:177]
	v_fma_f64 v[150:151], v[162:163], v[150:151], -v[164:165]
	s_delay_alu instid0(VALU_DEP_1) | instskip(NEXT) | instid1(VALU_DEP_1)
	v_fma_f64 v[146:147], v[162:163], v[146:147], v[150:151]
	v_add_f64 v[150:151], v[164:165], v[146:147]
	s_delay_alu instid0(VALU_DEP_1) | instskip(SKIP_1) | instid1(VALU_DEP_2)
	v_add_f64 v[166:167], v[148:149], -v[150:151]
	v_add_f64 v[164:165], v[150:151], -v[164:165]
	;; [unrolled: 1-line block ×3, first 2 shown]
	s_delay_alu instid0(VALU_DEP_2) | instskip(NEXT) | instid1(VALU_DEP_2)
	v_add_f64 v[146:147], v[164:165], -v[146:147]
	v_add_f64 v[148:149], v[148:149], -v[150:151]
	s_delay_alu instid0(VALU_DEP_1) | instskip(SKIP_1) | instid1(VALU_DEP_2)
	v_add_f64 v[8:9], v[8:9], v[148:149]
	v_add_f64 v[148:149], v[160:161], v[162:163]
	;; [unrolled: 1-line block ×3, first 2 shown]
	s_delay_alu instid0(VALU_DEP_2) | instskip(NEXT) | instid1(VALU_DEP_2)
	v_add_f64 v[146:147], v[148:149], -v[160:161]
	v_add_f64 v[8:9], v[166:167], v[8:9]
	s_delay_alu instid0(VALU_DEP_2) | instskip(NEXT) | instid1(VALU_DEP_2)
	v_add_f64 v[146:147], v[162:163], -v[146:147]
	v_mul_f64 v[8:9], v[144:145], v[8:9]
	s_delay_alu instid0(VALU_DEP_1) | instskip(NEXT) | instid1(VALU_DEP_1)
	v_add_f64 v[8:9], v[146:147], v[8:9]
	v_add_f64 v[144:145], v[148:149], v[8:9]
	s_delay_alu instid0(VALU_DEP_1) | instskip(NEXT) | instid1(VALU_DEP_1)
	v_mul_f64 v[146:147], v[144:145], v[144:145]
	v_fma_f64 v[150:151], v[146:147], vcc, s[28:29]
	s_mov_b32 s28, 0xd7f4df2e
	s_mov_b32 s29, 0x3fc7474d
	v_mul_f64 v[160:161], v[144:145], v[146:147]
	v_cmp_eq_f64_e32 vcc_lo, 0x7ff00000, v[4:5]
	s_delay_alu instid0(VALU_DEP_3)
	v_fma_f64 v[150:151], v[146:147], v[150:151], s[28:29]
	s_mov_b32 s28, 0x16291751
	s_mov_b32 s29, 0x3fcc71c0
	s_delay_alu instid0(VALU_DEP_1) | instid1(SALU_CYCLE_1)
	v_fma_f64 v[150:151], v[146:147], v[150:151], s[28:29]
	s_mov_b32 s28, 0x9b27acf1
	s_mov_b32 s29, 0x3fd24924
	s_delay_alu instid0(VALU_DEP_1) | instid1(SALU_CYCLE_1)
	;; [unrolled: 4-line block ×3, first 2 shown]
	v_fma_f64 v[150:151], v[146:147], v[150:151], s[28:29]
	s_delay_alu instid0(VALU_DEP_1) | instskip(SKIP_2) | instid1(VALU_DEP_3)
	v_fma_f64 v[146:147], v[146:147], v[150:151], s[24:25]
	v_ldexp_f64 v[150:151], v[144:145], 1
	v_add_f64 v[144:145], v[144:145], -v[148:149]
	v_mul_f64 v[146:147], v[160:161], v[146:147]
	v_cvt_f64_i32_e32 v[160:161], v214
	s_delay_alu instid0(VALU_DEP_3) | instskip(NEXT) | instid1(VALU_DEP_3)
	v_add_f64 v[8:9], v[8:9], -v[144:145]
	v_add_f64 v[148:149], v[150:151], v[146:147]
	s_delay_alu instid0(VALU_DEP_3) | instskip(NEXT) | instid1(VALU_DEP_3)
	v_mul_f64 v[162:163], v[160:161], s[20:21]
	v_ldexp_f64 v[8:9], v[8:9], 1
	s_delay_alu instid0(VALU_DEP_3) | instskip(NEXT) | instid1(VALU_DEP_3)
	v_add_f64 v[144:145], v[148:149], -v[150:151]
	v_fma_f64 v[150:151], v[160:161], s[20:21], -v[162:163]
	s_delay_alu instid0(VALU_DEP_2) | instskip(NEXT) | instid1(VALU_DEP_2)
	v_add_f64 v[144:145], v[146:147], -v[144:145]
	v_fma_f64 v[146:147], v[160:161], s[22:23], v[150:151]
	s_delay_alu instid0(VALU_DEP_2) | instskip(NEXT) | instid1(VALU_DEP_2)
	v_add_f64 v[8:9], v[8:9], v[144:145]
	v_add_f64 v[144:145], v[162:163], v[146:147]
	s_delay_alu instid0(VALU_DEP_2) | instskip(NEXT) | instid1(VALU_DEP_2)
	v_add_f64 v[150:151], v[148:149], v[8:9]
	v_add_f64 v[162:163], v[144:145], -v[162:163]
	s_delay_alu instid0(VALU_DEP_2) | instskip(SKIP_1) | instid1(VALU_DEP_3)
	v_add_f64 v[160:161], v[144:145], v[150:151]
	v_add_f64 v[148:149], v[150:151], -v[148:149]
	v_add_f64 v[146:147], v[146:147], -v[162:163]
	s_delay_alu instid0(VALU_DEP_3) | instskip(NEXT) | instid1(VALU_DEP_3)
	v_add_f64 v[164:165], v[160:161], -v[144:145]
	v_add_f64 v[8:9], v[8:9], -v[148:149]
	s_delay_alu instid0(VALU_DEP_2) | instskip(SKIP_1) | instid1(VALU_DEP_3)
	v_add_f64 v[166:167], v[160:161], -v[164:165]
	v_add_f64 v[148:149], v[150:151], -v[164:165]
	v_add_f64 v[150:151], v[146:147], v[8:9]
	s_delay_alu instid0(VALU_DEP_3) | instskip(NEXT) | instid1(VALU_DEP_1)
	v_add_f64 v[144:145], v[144:145], -v[166:167]
	v_add_f64 v[144:145], v[148:149], v[144:145]
	s_delay_alu instid0(VALU_DEP_3) | instskip(NEXT) | instid1(VALU_DEP_2)
	v_add_f64 v[148:149], v[150:151], -v[146:147]
	v_add_f64 v[144:145], v[150:151], v[144:145]
	s_delay_alu instid0(VALU_DEP_2) | instskip(SKIP_1) | instid1(VALU_DEP_3)
	v_add_f64 v[150:151], v[150:151], -v[148:149]
	v_add_f64 v[8:9], v[8:9], -v[148:149]
	v_add_f64 v[162:163], v[160:161], v[144:145]
	s_delay_alu instid0(VALU_DEP_3) | instskip(NEXT) | instid1(VALU_DEP_2)
	v_add_f64 v[146:147], v[146:147], -v[150:151]
	v_add_f64 v[148:149], v[162:163], -v[160:161]
	s_delay_alu instid0(VALU_DEP_2) | instskip(NEXT) | instid1(VALU_DEP_2)
	v_add_f64 v[8:9], v[8:9], v[146:147]
	v_add_f64 v[144:145], v[144:145], -v[148:149]
	s_delay_alu instid0(VALU_DEP_1) | instskip(NEXT) | instid1(VALU_DEP_1)
	v_add_f64 v[8:9], v[8:9], v[144:145]
	v_add_f64 v[8:9], v[162:163], v[8:9]
	s_delay_alu instid0(VALU_DEP_1) | instskip(SKIP_1) | instid1(VALU_DEP_2)
	v_dual_cndmask_b32 v9, v9, v5 :: v_dual_cndmask_b32 v8, v8, v4
	v_cmp_ngt_f64_e32 vcc_lo, -1.0, v[4:5]
	v_cndmask_b32_e32 v9, 0x7ff80000, v9, vcc_lo
	v_cmp_nge_f64_e32 vcc_lo, -1.0, v[4:5]
	s_delay_alu instid0(VALU_DEP_4) | instskip(SKIP_1) | instid1(VALU_DEP_4)
	v_cndmask_b32_e32 v8, 0, v8, vcc_lo
	v_cmp_neq_f64_e32 vcc_lo, -1.0, v[4:5]
	v_cndmask_b32_e32 v9, 0xfff00000, v9, vcc_lo
	s_delay_alu instid0(VALU_DEP_1)
	v_add_f64 v[4:5], v[6:7], v[8:9]
.LBB76_54:
	s_or_b32 exec_lo, exec_lo, s26
	v_mbcnt_lo_u32_b32 v212, -1, 0
	s_delay_alu instid0(VALU_DEP_2) | instskip(NEXT) | instid1(VALU_DEP_3)
	v_mov_b32_dpp v6, v4 row_shr:1 row_mask:0xf bank_mask:0xf
	v_mov_b32_dpp v7, v5 row_shr:1 row_mask:0xf bank_mask:0xf
	v_mov_b32_e32 v8, v4
	s_mov_b32 s26, exec_lo
	v_dual_mov_b32 v9, v5 :: v_dual_and_b32 v144, 15, v212
	s_delay_alu instid0(VALU_DEP_1)
	v_cmpx_ne_u32_e32 0, v144
	s_cbranch_execz .LBB76_58
; %bb.55:
	v_max_f64 v[8:9], v[6:7], v[6:7]
	v_max_f64 v[145:146], v[4:5], v[4:5]
	v_cmp_u_f64_e32 vcc_lo, v[6:7], v[6:7]
	v_cmp_u_f64_e64 s19, v[4:5], v[4:5]
	s_delay_alu instid0(VALU_DEP_3) | instskip(SKIP_1) | instid1(VALU_DEP_2)
	v_min_f64 v[147:148], v[8:9], v[145:146]
	v_max_f64 v[8:9], v[8:9], v[145:146]
	v_dual_cndmask_b32 v145, v147, v6 :: v_dual_cndmask_b32 v146, v148, v7
	s_delay_alu instid0(VALU_DEP_2) | instskip(NEXT) | instid1(VALU_DEP_2)
	v_dual_cndmask_b32 v147, v9, v7 :: v_dual_cndmask_b32 v148, v8, v6
	v_cndmask_b32_e64 v8, v145, v4, s19
	s_delay_alu instid0(VALU_DEP_3) | instskip(NEXT) | instid1(VALU_DEP_3)
	v_cndmask_b32_e64 v9, v146, v5, s19
	v_cndmask_b32_e64 v5, v147, v5, s19
	s_delay_alu instid0(VALU_DEP_4) | instskip(NEXT) | instid1(VALU_DEP_3)
	v_cndmask_b32_e64 v4, v148, v4, s19
	v_cmp_class_f64_e64 s19, v[8:9], 0x1f8
	s_delay_alu instid0(VALU_DEP_2) | instskip(NEXT) | instid1(VALU_DEP_2)
	v_cmp_neq_f64_e32 vcc_lo, v[8:9], v[4:5]
	s_or_b32 s19, vcc_lo, s19
	s_delay_alu instid0(SALU_CYCLE_1)
	s_and_saveexec_b32 s27, s19
	s_cbranch_execz .LBB76_57
; %bb.56:
	v_add_f64 v[6:7], v[8:9], -v[4:5]
	s_mov_b32 s20, 0x652b82fe
	s_mov_b32 s21, 0x3ff71547
	;; [unrolled: 1-line block ×8, first 2 shown]
	s_delay_alu instid0(VALU_DEP_1) | instskip(SKIP_4) | instid1(VALU_DEP_3)
	v_mul_f64 v[8:9], v[6:7], s[20:21]
	s_mov_b32 s21, 0xbfe62e42
	s_mov_b32 s20, 0xfefa39ef
	v_cmp_nlt_f64_e32 vcc_lo, 0x40900000, v[6:7]
	v_cmp_ngt_f64_e64 s19, 0xc090cc00, v[6:7]
	v_rndne_f64_e32 v[8:9], v[8:9]
	s_delay_alu instid0(VALU_DEP_1) | instskip(SKIP_2) | instid1(VALU_DEP_2)
	v_fma_f64 v[145:146], v[8:9], s[20:21], v[6:7]
	v_cvt_i32_f64_e32 v149, v[8:9]
	s_mov_b32 s21, 0x3fe62e42
	v_fma_f64 v[145:146], v[8:9], s[22:23], v[145:146]
	s_mov_b32 s23, 0x3c7abc9e
	s_delay_alu instid0(VALU_DEP_1) | instskip(SKIP_4) | instid1(VALU_DEP_1)
	v_fma_f64 v[147:148], v[145:146], s[28:29], s[24:25]
	s_mov_b32 s24, 0x623fde64
	s_mov_b32 s25, 0x3ec71dee
	;; [unrolled: 1-line block ×4, first 2 shown]
	v_fma_f64 v[147:148], v[145:146], v[147:148], s[24:25]
	s_mov_b32 s24, 0x7c89e6b0
	s_mov_b32 s25, 0x3efa0199
	s_delay_alu instid0(VALU_DEP_1) | instid1(SALU_CYCLE_1)
	v_fma_f64 v[147:148], v[145:146], v[147:148], s[24:25]
	s_mov_b32 s24, 0x14761f6e
	s_mov_b32 s25, 0x3f2a01a0
	s_delay_alu instid0(VALU_DEP_1) | instid1(SALU_CYCLE_1)
	;; [unrolled: 4-line block ×7, first 2 shown]
	v_fma_f64 v[147:148], v[145:146], v[147:148], s[24:25]
	s_mov_b32 s25, 0x3fe55555
	s_mov_b32 s24, 0x55555555
	s_delay_alu instid0(VALU_DEP_1) | instskip(NEXT) | instid1(VALU_DEP_1)
	v_fma_f64 v[147:148], v[145:146], v[147:148], 1.0
	v_fma_f64 v[8:9], v[145:146], v[147:148], 1.0
	s_delay_alu instid0(VALU_DEP_1) | instskip(NEXT) | instid1(VALU_DEP_1)
	v_ldexp_f64 v[8:9], v[8:9], v149
	v_cndmask_b32_e32 v9, 0x7ff00000, v9, vcc_lo
	s_and_b32 vcc_lo, s19, vcc_lo
	s_delay_alu instid0(VALU_DEP_1) | instskip(NEXT) | instid1(VALU_DEP_3)
	v_cndmask_b32_e64 v7, 0, v9, s19
	v_cndmask_b32_e32 v6, 0, v8, vcc_lo
	s_delay_alu instid0(VALU_DEP_1) | instskip(NEXT) | instid1(VALU_DEP_1)
	v_add_f64 v[8:9], v[6:7], 1.0
	v_frexp_mant_f64_e32 v[145:146], v[8:9]
	v_frexp_exp_i32_f64_e32 v149, v[8:9]
	v_add_f64 v[147:148], v[8:9], -1.0
	s_delay_alu instid0(VALU_DEP_3) | instskip(SKIP_1) | instid1(VALU_DEP_2)
	v_cmp_gt_f64_e32 vcc_lo, s[24:25], v[145:146]
	s_mov_b32 s24, 0x55555780
	v_add_f64 v[145:146], v[147:148], -v[8:9]
	v_add_f64 v[147:148], v[6:7], -v[147:148]
	v_subrev_co_ci_u32_e32 v151, vcc_lo, 0, v149, vcc_lo
	s_delay_alu instid0(VALU_DEP_3) | instskip(SKIP_2) | instid1(VALU_DEP_2)
	v_add_f64 v[145:146], v[145:146], 1.0
	s_mov_b32 vcc_lo, 0xbf559e2b
	s_mov_b32 vcc_hi, 0x3fc3ab76
	v_sub_nc_u32_e32 v160, 0, v151
	s_delay_alu instid0(VALU_DEP_1) | instskip(NEXT) | instid1(VALU_DEP_3)
	v_ldexp_f64 v[8:9], v[8:9], v160
	v_add_f64 v[145:146], v[147:148], v[145:146]
	s_delay_alu instid0(VALU_DEP_2) | instskip(SKIP_1) | instid1(VALU_DEP_3)
	v_add_f64 v[149:150], v[8:9], 1.0
	v_add_f64 v[164:165], v[8:9], -1.0
	v_ldexp_f64 v[145:146], v[145:146], v160
	s_delay_alu instid0(VALU_DEP_3) | instskip(NEXT) | instid1(VALU_DEP_3)
	v_add_f64 v[147:148], v[149:150], -1.0
	v_add_f64 v[166:167], v[164:165], 1.0
	s_delay_alu instid0(VALU_DEP_2) | instskip(NEXT) | instid1(VALU_DEP_2)
	v_add_f64 v[147:148], v[8:9], -v[147:148]
	v_add_f64 v[8:9], v[8:9], -v[166:167]
	s_delay_alu instid0(VALU_DEP_2) | instskip(NEXT) | instid1(VALU_DEP_2)
	v_add_f64 v[147:148], v[145:146], v[147:148]
	v_add_f64 v[8:9], v[145:146], v[8:9]
	s_delay_alu instid0(VALU_DEP_2) | instskip(NEXT) | instid1(VALU_DEP_2)
	v_add_f64 v[160:161], v[149:150], v[147:148]
	v_add_f64 v[166:167], v[164:165], v[8:9]
	s_delay_alu instid0(VALU_DEP_2) | instskip(SKIP_1) | instid1(VALU_DEP_2)
	v_rcp_f64_e32 v[162:163], v[160:161]
	v_add_f64 v[149:150], v[160:161], -v[149:150]
	v_add_f64 v[164:165], v[166:167], -v[164:165]
	s_delay_alu instid0(VALU_DEP_2) | instskip(SKIP_3) | instid1(VALU_DEP_2)
	v_add_f64 v[147:148], v[147:148], -v[149:150]
	s_waitcnt_depctr 0xfff
	v_fma_f64 v[176:177], -v[160:161], v[162:163], 1.0
	v_add_f64 v[8:9], v[8:9], -v[164:165]
	v_fma_f64 v[162:163], v[176:177], v[162:163], v[162:163]
	s_delay_alu instid0(VALU_DEP_1) | instskip(NEXT) | instid1(VALU_DEP_1)
	v_fma_f64 v[145:146], -v[160:161], v[162:163], 1.0
	v_fma_f64 v[145:146], v[145:146], v[162:163], v[162:163]
	s_delay_alu instid0(VALU_DEP_1) | instskip(NEXT) | instid1(VALU_DEP_1)
	v_mul_f64 v[162:163], v[166:167], v[145:146]
	v_mul_f64 v[176:177], v[160:161], v[162:163]
	s_delay_alu instid0(VALU_DEP_1) | instskip(NEXT) | instid1(VALU_DEP_1)
	v_fma_f64 v[149:150], v[162:163], v[160:161], -v[176:177]
	v_fma_f64 v[149:150], v[162:163], v[147:148], v[149:150]
	s_delay_alu instid0(VALU_DEP_1) | instskip(NEXT) | instid1(VALU_DEP_1)
	v_add_f64 v[213:214], v[176:177], v[149:150]
	v_add_f64 v[224:225], v[166:167], -v[213:214]
	v_add_f64 v[164:165], v[213:214], -v[176:177]
	s_delay_alu instid0(VALU_DEP_2) | instskip(NEXT) | instid1(VALU_DEP_2)
	v_add_f64 v[166:167], v[166:167], -v[224:225]
	v_add_f64 v[149:150], v[164:165], -v[149:150]
	s_delay_alu instid0(VALU_DEP_2) | instskip(NEXT) | instid1(VALU_DEP_1)
	v_add_f64 v[166:167], v[166:167], -v[213:214]
	v_add_f64 v[8:9], v[8:9], v[166:167]
	s_delay_alu instid0(VALU_DEP_1) | instskip(NEXT) | instid1(VALU_DEP_1)
	v_add_f64 v[8:9], v[149:150], v[8:9]
	v_add_f64 v[149:150], v[224:225], v[8:9]
	s_delay_alu instid0(VALU_DEP_1) | instskip(SKIP_1) | instid1(VALU_DEP_2)
	v_mul_f64 v[164:165], v[145:146], v[149:150]
	v_add_f64 v[213:214], v[224:225], -v[149:150]
	v_mul_f64 v[166:167], v[160:161], v[164:165]
	s_delay_alu instid0(VALU_DEP_2) | instskip(NEXT) | instid1(VALU_DEP_2)
	v_add_f64 v[8:9], v[8:9], v[213:214]
	v_fma_f64 v[160:161], v[164:165], v[160:161], -v[166:167]
	s_delay_alu instid0(VALU_DEP_1) | instskip(NEXT) | instid1(VALU_DEP_1)
	v_fma_f64 v[147:148], v[164:165], v[147:148], v[160:161]
	v_add_f64 v[160:161], v[166:167], v[147:148]
	s_delay_alu instid0(VALU_DEP_1) | instskip(SKIP_1) | instid1(VALU_DEP_2)
	v_add_f64 v[176:177], v[149:150], -v[160:161]
	v_add_f64 v[166:167], v[160:161], -v[166:167]
	;; [unrolled: 1-line block ×3, first 2 shown]
	s_delay_alu instid0(VALU_DEP_2) | instskip(NEXT) | instid1(VALU_DEP_2)
	v_add_f64 v[147:148], v[166:167], -v[147:148]
	v_add_f64 v[149:150], v[149:150], -v[160:161]
	s_delay_alu instid0(VALU_DEP_1) | instskip(SKIP_1) | instid1(VALU_DEP_2)
	v_add_f64 v[8:9], v[8:9], v[149:150]
	v_add_f64 v[149:150], v[162:163], v[164:165]
	;; [unrolled: 1-line block ×3, first 2 shown]
	s_delay_alu instid0(VALU_DEP_2) | instskip(NEXT) | instid1(VALU_DEP_2)
	v_add_f64 v[147:148], v[149:150], -v[162:163]
	v_add_f64 v[8:9], v[176:177], v[8:9]
	s_delay_alu instid0(VALU_DEP_2) | instskip(NEXT) | instid1(VALU_DEP_2)
	v_add_f64 v[147:148], v[164:165], -v[147:148]
	v_mul_f64 v[8:9], v[145:146], v[8:9]
	s_delay_alu instid0(VALU_DEP_1) | instskip(NEXT) | instid1(VALU_DEP_1)
	v_add_f64 v[8:9], v[147:148], v[8:9]
	v_add_f64 v[145:146], v[149:150], v[8:9]
	s_delay_alu instid0(VALU_DEP_1) | instskip(NEXT) | instid1(VALU_DEP_1)
	v_mul_f64 v[147:148], v[145:146], v[145:146]
	v_fma_f64 v[160:161], v[147:148], vcc, s[28:29]
	s_mov_b32 s28, 0xd7f4df2e
	s_mov_b32 s29, 0x3fc7474d
	v_mul_f64 v[162:163], v[145:146], v[147:148]
	v_cmp_eq_f64_e32 vcc_lo, 0x7ff00000, v[6:7]
	s_delay_alu instid0(VALU_DEP_3)
	v_fma_f64 v[160:161], v[147:148], v[160:161], s[28:29]
	s_mov_b32 s28, 0x16291751
	s_mov_b32 s29, 0x3fcc71c0
	s_delay_alu instid0(VALU_DEP_1) | instid1(SALU_CYCLE_1)
	v_fma_f64 v[160:161], v[147:148], v[160:161], s[28:29]
	s_mov_b32 s28, 0x9b27acf1
	s_mov_b32 s29, 0x3fd24924
	s_delay_alu instid0(VALU_DEP_1) | instid1(SALU_CYCLE_1)
	;; [unrolled: 4-line block ×3, first 2 shown]
	v_fma_f64 v[160:161], v[147:148], v[160:161], s[28:29]
	s_delay_alu instid0(VALU_DEP_1) | instskip(SKIP_2) | instid1(VALU_DEP_3)
	v_fma_f64 v[147:148], v[147:148], v[160:161], s[24:25]
	v_ldexp_f64 v[160:161], v[145:146], 1
	v_add_f64 v[145:146], v[145:146], -v[149:150]
	v_mul_f64 v[147:148], v[162:163], v[147:148]
	v_cvt_f64_i32_e32 v[162:163], v151
	s_delay_alu instid0(VALU_DEP_3) | instskip(NEXT) | instid1(VALU_DEP_3)
	v_add_f64 v[8:9], v[8:9], -v[145:146]
	v_add_f64 v[149:150], v[160:161], v[147:148]
	s_delay_alu instid0(VALU_DEP_3) | instskip(NEXT) | instid1(VALU_DEP_3)
	v_mul_f64 v[164:165], v[162:163], s[20:21]
	v_ldexp_f64 v[8:9], v[8:9], 1
	s_delay_alu instid0(VALU_DEP_3) | instskip(NEXT) | instid1(VALU_DEP_3)
	v_add_f64 v[145:146], v[149:150], -v[160:161]
	v_fma_f64 v[160:161], v[162:163], s[20:21], -v[164:165]
	s_delay_alu instid0(VALU_DEP_2) | instskip(NEXT) | instid1(VALU_DEP_2)
	v_add_f64 v[145:146], v[147:148], -v[145:146]
	v_fma_f64 v[147:148], v[162:163], s[22:23], v[160:161]
	s_delay_alu instid0(VALU_DEP_2) | instskip(NEXT) | instid1(VALU_DEP_2)
	v_add_f64 v[8:9], v[8:9], v[145:146]
	v_add_f64 v[145:146], v[164:165], v[147:148]
	s_delay_alu instid0(VALU_DEP_2) | instskip(NEXT) | instid1(VALU_DEP_2)
	v_add_f64 v[160:161], v[149:150], v[8:9]
	v_add_f64 v[164:165], v[145:146], -v[164:165]
	s_delay_alu instid0(VALU_DEP_2) | instskip(SKIP_1) | instid1(VALU_DEP_3)
	v_add_f64 v[162:163], v[145:146], v[160:161]
	v_add_f64 v[149:150], v[160:161], -v[149:150]
	v_add_f64 v[147:148], v[147:148], -v[164:165]
	s_delay_alu instid0(VALU_DEP_3) | instskip(NEXT) | instid1(VALU_DEP_3)
	v_add_f64 v[166:167], v[162:163], -v[145:146]
	v_add_f64 v[8:9], v[8:9], -v[149:150]
	s_delay_alu instid0(VALU_DEP_2) | instskip(SKIP_1) | instid1(VALU_DEP_3)
	v_add_f64 v[176:177], v[162:163], -v[166:167]
	v_add_f64 v[149:150], v[160:161], -v[166:167]
	v_add_f64 v[160:161], v[147:148], v[8:9]
	s_delay_alu instid0(VALU_DEP_3) | instskip(NEXT) | instid1(VALU_DEP_1)
	v_add_f64 v[145:146], v[145:146], -v[176:177]
	v_add_f64 v[145:146], v[149:150], v[145:146]
	s_delay_alu instid0(VALU_DEP_3) | instskip(NEXT) | instid1(VALU_DEP_2)
	v_add_f64 v[149:150], v[160:161], -v[147:148]
	v_add_f64 v[145:146], v[160:161], v[145:146]
	s_delay_alu instid0(VALU_DEP_2) | instskip(SKIP_1) | instid1(VALU_DEP_3)
	v_add_f64 v[160:161], v[160:161], -v[149:150]
	v_add_f64 v[8:9], v[8:9], -v[149:150]
	v_add_f64 v[164:165], v[162:163], v[145:146]
	s_delay_alu instid0(VALU_DEP_3) | instskip(NEXT) | instid1(VALU_DEP_2)
	v_add_f64 v[147:148], v[147:148], -v[160:161]
	v_add_f64 v[149:150], v[164:165], -v[162:163]
	s_delay_alu instid0(VALU_DEP_2) | instskip(NEXT) | instid1(VALU_DEP_2)
	v_add_f64 v[8:9], v[8:9], v[147:148]
	v_add_f64 v[145:146], v[145:146], -v[149:150]
	s_delay_alu instid0(VALU_DEP_1) | instskip(NEXT) | instid1(VALU_DEP_1)
	v_add_f64 v[8:9], v[8:9], v[145:146]
	v_add_f64 v[8:9], v[164:165], v[8:9]
	s_delay_alu instid0(VALU_DEP_1) | instskip(SKIP_1) | instid1(VALU_DEP_2)
	v_dual_cndmask_b32 v9, v9, v7 :: v_dual_cndmask_b32 v8, v8, v6
	v_cmp_ngt_f64_e32 vcc_lo, -1.0, v[6:7]
	v_cndmask_b32_e32 v9, 0x7ff80000, v9, vcc_lo
	v_cmp_nge_f64_e32 vcc_lo, -1.0, v[6:7]
	s_delay_alu instid0(VALU_DEP_4) | instskip(SKIP_1) | instid1(VALU_DEP_4)
	v_cndmask_b32_e32 v8, 0, v8, vcc_lo
	v_cmp_neq_f64_e32 vcc_lo, -1.0, v[6:7]
	v_cndmask_b32_e32 v9, 0xfff00000, v9, vcc_lo
	s_delay_alu instid0(VALU_DEP_1)
	v_add_f64 v[6:7], v[4:5], v[8:9]
.LBB76_57:
	s_or_b32 exec_lo, exec_lo, s27
	s_delay_alu instid0(VALU_DEP_1)
	v_dual_mov_b32 v8, v6 :: v_dual_mov_b32 v9, v7
	v_dual_mov_b32 v4, v6 :: v_dual_mov_b32 v5, v7
.LBB76_58:
	s_or_b32 exec_lo, exec_lo, s26
	s_delay_alu instid0(VALU_DEP_2) | instskip(NEXT) | instid1(VALU_DEP_3)
	v_mov_b32_dpp v6, v8 row_shr:2 row_mask:0xf bank_mask:0xf
	v_mov_b32_dpp v7, v9 row_shr:2 row_mask:0xf bank_mask:0xf
	s_mov_b32 s26, exec_lo
	v_cmpx_lt_u32_e32 1, v144
	s_cbranch_execz .LBB76_62
; %bb.59:
	s_delay_alu instid0(VALU_DEP_2) | instskip(SKIP_3) | instid1(VALU_DEP_3)
	v_max_f64 v[8:9], v[6:7], v[6:7]
	v_max_f64 v[145:146], v[4:5], v[4:5]
	v_cmp_u_f64_e32 vcc_lo, v[6:7], v[6:7]
	v_cmp_u_f64_e64 s19, v[4:5], v[4:5]
	v_min_f64 v[147:148], v[8:9], v[145:146]
	v_max_f64 v[8:9], v[8:9], v[145:146]
	s_delay_alu instid0(VALU_DEP_2) | instskip(NEXT) | instid1(VALU_DEP_2)
	v_dual_cndmask_b32 v145, v147, v6 :: v_dual_cndmask_b32 v146, v148, v7
	v_dual_cndmask_b32 v147, v9, v7 :: v_dual_cndmask_b32 v148, v8, v6
	s_delay_alu instid0(VALU_DEP_2) | instskip(NEXT) | instid1(VALU_DEP_3)
	v_cndmask_b32_e64 v8, v145, v4, s19
	v_cndmask_b32_e64 v9, v146, v5, s19
	s_delay_alu instid0(VALU_DEP_3) | instskip(NEXT) | instid1(VALU_DEP_4)
	v_cndmask_b32_e64 v5, v147, v5, s19
	v_cndmask_b32_e64 v4, v148, v4, s19
	s_delay_alu instid0(VALU_DEP_3) | instskip(NEXT) | instid1(VALU_DEP_2)
	v_cmp_class_f64_e64 s19, v[8:9], 0x1f8
	v_cmp_neq_f64_e32 vcc_lo, v[8:9], v[4:5]
	s_delay_alu instid0(VALU_DEP_2) | instskip(NEXT) | instid1(SALU_CYCLE_1)
	s_or_b32 s19, vcc_lo, s19
	s_and_saveexec_b32 s27, s19
	s_cbranch_execz .LBB76_61
; %bb.60:
	v_add_f64 v[6:7], v[8:9], -v[4:5]
	s_mov_b32 s20, 0x652b82fe
	s_mov_b32 s21, 0x3ff71547
	s_mov_b32 s23, 0xbc7abc9e
	s_mov_b32 s22, 0x3b39803f
	s_mov_b32 s24, 0xfca7ab0c
	s_mov_b32 s28, 0x6a5dcb37
	s_mov_b32 s25, 0x3e928af3
	s_mov_b32 s29, 0x3e5ade15
	s_delay_alu instid0(VALU_DEP_1) | instskip(SKIP_4) | instid1(VALU_DEP_3)
	v_mul_f64 v[8:9], v[6:7], s[20:21]
	s_mov_b32 s21, 0xbfe62e42
	s_mov_b32 s20, 0xfefa39ef
	v_cmp_nlt_f64_e32 vcc_lo, 0x40900000, v[6:7]
	v_cmp_ngt_f64_e64 s19, 0xc090cc00, v[6:7]
	v_rndne_f64_e32 v[8:9], v[8:9]
	s_delay_alu instid0(VALU_DEP_1) | instskip(SKIP_2) | instid1(VALU_DEP_2)
	v_fma_f64 v[145:146], v[8:9], s[20:21], v[6:7]
	v_cvt_i32_f64_e32 v149, v[8:9]
	s_mov_b32 s21, 0x3fe62e42
	v_fma_f64 v[145:146], v[8:9], s[22:23], v[145:146]
	s_mov_b32 s23, 0x3c7abc9e
	s_delay_alu instid0(VALU_DEP_1) | instskip(SKIP_4) | instid1(VALU_DEP_1)
	v_fma_f64 v[147:148], v[145:146], s[28:29], s[24:25]
	s_mov_b32 s24, 0x623fde64
	s_mov_b32 s25, 0x3ec71dee
	;; [unrolled: 1-line block ×4, first 2 shown]
	v_fma_f64 v[147:148], v[145:146], v[147:148], s[24:25]
	s_mov_b32 s24, 0x7c89e6b0
	s_mov_b32 s25, 0x3efa0199
	s_delay_alu instid0(VALU_DEP_1) | instid1(SALU_CYCLE_1)
	v_fma_f64 v[147:148], v[145:146], v[147:148], s[24:25]
	s_mov_b32 s24, 0x14761f6e
	s_mov_b32 s25, 0x3f2a01a0
	s_delay_alu instid0(VALU_DEP_1) | instid1(SALU_CYCLE_1)
	;; [unrolled: 4-line block ×7, first 2 shown]
	v_fma_f64 v[147:148], v[145:146], v[147:148], s[24:25]
	s_mov_b32 s25, 0x3fe55555
	s_mov_b32 s24, 0x55555555
	s_delay_alu instid0(VALU_DEP_1) | instskip(NEXT) | instid1(VALU_DEP_1)
	v_fma_f64 v[147:148], v[145:146], v[147:148], 1.0
	v_fma_f64 v[8:9], v[145:146], v[147:148], 1.0
	s_delay_alu instid0(VALU_DEP_1) | instskip(NEXT) | instid1(VALU_DEP_1)
	v_ldexp_f64 v[8:9], v[8:9], v149
	v_cndmask_b32_e32 v9, 0x7ff00000, v9, vcc_lo
	s_and_b32 vcc_lo, s19, vcc_lo
	s_delay_alu instid0(VALU_DEP_1) | instskip(NEXT) | instid1(VALU_DEP_3)
	v_cndmask_b32_e64 v7, 0, v9, s19
	v_cndmask_b32_e32 v6, 0, v8, vcc_lo
	s_delay_alu instid0(VALU_DEP_1) | instskip(NEXT) | instid1(VALU_DEP_1)
	v_add_f64 v[8:9], v[6:7], 1.0
	v_frexp_mant_f64_e32 v[145:146], v[8:9]
	v_frexp_exp_i32_f64_e32 v149, v[8:9]
	v_add_f64 v[147:148], v[8:9], -1.0
	s_delay_alu instid0(VALU_DEP_3) | instskip(SKIP_1) | instid1(VALU_DEP_2)
	v_cmp_gt_f64_e32 vcc_lo, s[24:25], v[145:146]
	s_mov_b32 s24, 0x55555780
	v_add_f64 v[145:146], v[147:148], -v[8:9]
	v_add_f64 v[147:148], v[6:7], -v[147:148]
	v_subrev_co_ci_u32_e32 v151, vcc_lo, 0, v149, vcc_lo
	s_delay_alu instid0(VALU_DEP_3) | instskip(SKIP_2) | instid1(VALU_DEP_2)
	v_add_f64 v[145:146], v[145:146], 1.0
	s_mov_b32 vcc_lo, 0xbf559e2b
	s_mov_b32 vcc_hi, 0x3fc3ab76
	v_sub_nc_u32_e32 v160, 0, v151
	s_delay_alu instid0(VALU_DEP_1) | instskip(NEXT) | instid1(VALU_DEP_3)
	v_ldexp_f64 v[8:9], v[8:9], v160
	v_add_f64 v[145:146], v[147:148], v[145:146]
	s_delay_alu instid0(VALU_DEP_2) | instskip(SKIP_1) | instid1(VALU_DEP_3)
	v_add_f64 v[149:150], v[8:9], 1.0
	v_add_f64 v[164:165], v[8:9], -1.0
	v_ldexp_f64 v[145:146], v[145:146], v160
	s_delay_alu instid0(VALU_DEP_3) | instskip(NEXT) | instid1(VALU_DEP_3)
	v_add_f64 v[147:148], v[149:150], -1.0
	v_add_f64 v[166:167], v[164:165], 1.0
	s_delay_alu instid0(VALU_DEP_2) | instskip(NEXT) | instid1(VALU_DEP_2)
	v_add_f64 v[147:148], v[8:9], -v[147:148]
	v_add_f64 v[8:9], v[8:9], -v[166:167]
	s_delay_alu instid0(VALU_DEP_2) | instskip(NEXT) | instid1(VALU_DEP_2)
	v_add_f64 v[147:148], v[145:146], v[147:148]
	v_add_f64 v[8:9], v[145:146], v[8:9]
	s_delay_alu instid0(VALU_DEP_2) | instskip(NEXT) | instid1(VALU_DEP_2)
	v_add_f64 v[160:161], v[149:150], v[147:148]
	v_add_f64 v[166:167], v[164:165], v[8:9]
	s_delay_alu instid0(VALU_DEP_2) | instskip(SKIP_1) | instid1(VALU_DEP_2)
	v_rcp_f64_e32 v[162:163], v[160:161]
	v_add_f64 v[149:150], v[160:161], -v[149:150]
	v_add_f64 v[164:165], v[166:167], -v[164:165]
	s_delay_alu instid0(VALU_DEP_2) | instskip(SKIP_3) | instid1(VALU_DEP_2)
	v_add_f64 v[147:148], v[147:148], -v[149:150]
	s_waitcnt_depctr 0xfff
	v_fma_f64 v[176:177], -v[160:161], v[162:163], 1.0
	v_add_f64 v[8:9], v[8:9], -v[164:165]
	v_fma_f64 v[162:163], v[176:177], v[162:163], v[162:163]
	s_delay_alu instid0(VALU_DEP_1) | instskip(NEXT) | instid1(VALU_DEP_1)
	v_fma_f64 v[145:146], -v[160:161], v[162:163], 1.0
	v_fma_f64 v[145:146], v[145:146], v[162:163], v[162:163]
	s_delay_alu instid0(VALU_DEP_1) | instskip(NEXT) | instid1(VALU_DEP_1)
	v_mul_f64 v[162:163], v[166:167], v[145:146]
	v_mul_f64 v[176:177], v[160:161], v[162:163]
	s_delay_alu instid0(VALU_DEP_1) | instskip(NEXT) | instid1(VALU_DEP_1)
	v_fma_f64 v[149:150], v[162:163], v[160:161], -v[176:177]
	v_fma_f64 v[149:150], v[162:163], v[147:148], v[149:150]
	s_delay_alu instid0(VALU_DEP_1) | instskip(NEXT) | instid1(VALU_DEP_1)
	v_add_f64 v[213:214], v[176:177], v[149:150]
	v_add_f64 v[224:225], v[166:167], -v[213:214]
	v_add_f64 v[164:165], v[213:214], -v[176:177]
	s_delay_alu instid0(VALU_DEP_2) | instskip(NEXT) | instid1(VALU_DEP_2)
	v_add_f64 v[166:167], v[166:167], -v[224:225]
	v_add_f64 v[149:150], v[164:165], -v[149:150]
	s_delay_alu instid0(VALU_DEP_2) | instskip(NEXT) | instid1(VALU_DEP_1)
	v_add_f64 v[166:167], v[166:167], -v[213:214]
	v_add_f64 v[8:9], v[8:9], v[166:167]
	s_delay_alu instid0(VALU_DEP_1) | instskip(NEXT) | instid1(VALU_DEP_1)
	v_add_f64 v[8:9], v[149:150], v[8:9]
	v_add_f64 v[149:150], v[224:225], v[8:9]
	s_delay_alu instid0(VALU_DEP_1) | instskip(SKIP_1) | instid1(VALU_DEP_2)
	v_mul_f64 v[164:165], v[145:146], v[149:150]
	v_add_f64 v[213:214], v[224:225], -v[149:150]
	v_mul_f64 v[166:167], v[160:161], v[164:165]
	s_delay_alu instid0(VALU_DEP_2) | instskip(NEXT) | instid1(VALU_DEP_2)
	v_add_f64 v[8:9], v[8:9], v[213:214]
	v_fma_f64 v[160:161], v[164:165], v[160:161], -v[166:167]
	s_delay_alu instid0(VALU_DEP_1) | instskip(NEXT) | instid1(VALU_DEP_1)
	v_fma_f64 v[147:148], v[164:165], v[147:148], v[160:161]
	v_add_f64 v[160:161], v[166:167], v[147:148]
	s_delay_alu instid0(VALU_DEP_1) | instskip(SKIP_1) | instid1(VALU_DEP_2)
	v_add_f64 v[176:177], v[149:150], -v[160:161]
	v_add_f64 v[166:167], v[160:161], -v[166:167]
	;; [unrolled: 1-line block ×3, first 2 shown]
	s_delay_alu instid0(VALU_DEP_2) | instskip(NEXT) | instid1(VALU_DEP_2)
	v_add_f64 v[147:148], v[166:167], -v[147:148]
	v_add_f64 v[149:150], v[149:150], -v[160:161]
	s_delay_alu instid0(VALU_DEP_1) | instskip(SKIP_1) | instid1(VALU_DEP_2)
	v_add_f64 v[8:9], v[8:9], v[149:150]
	v_add_f64 v[149:150], v[162:163], v[164:165]
	;; [unrolled: 1-line block ×3, first 2 shown]
	s_delay_alu instid0(VALU_DEP_2) | instskip(NEXT) | instid1(VALU_DEP_2)
	v_add_f64 v[147:148], v[149:150], -v[162:163]
	v_add_f64 v[8:9], v[176:177], v[8:9]
	s_delay_alu instid0(VALU_DEP_2) | instskip(NEXT) | instid1(VALU_DEP_2)
	v_add_f64 v[147:148], v[164:165], -v[147:148]
	v_mul_f64 v[8:9], v[145:146], v[8:9]
	s_delay_alu instid0(VALU_DEP_1) | instskip(NEXT) | instid1(VALU_DEP_1)
	v_add_f64 v[8:9], v[147:148], v[8:9]
	v_add_f64 v[145:146], v[149:150], v[8:9]
	s_delay_alu instid0(VALU_DEP_1) | instskip(NEXT) | instid1(VALU_DEP_1)
	v_mul_f64 v[147:148], v[145:146], v[145:146]
	v_fma_f64 v[160:161], v[147:148], vcc, s[28:29]
	s_mov_b32 s28, 0xd7f4df2e
	s_mov_b32 s29, 0x3fc7474d
	v_mul_f64 v[162:163], v[145:146], v[147:148]
	v_cmp_eq_f64_e32 vcc_lo, 0x7ff00000, v[6:7]
	s_delay_alu instid0(VALU_DEP_3)
	v_fma_f64 v[160:161], v[147:148], v[160:161], s[28:29]
	s_mov_b32 s28, 0x16291751
	s_mov_b32 s29, 0x3fcc71c0
	s_delay_alu instid0(VALU_DEP_1) | instid1(SALU_CYCLE_1)
	v_fma_f64 v[160:161], v[147:148], v[160:161], s[28:29]
	s_mov_b32 s28, 0x9b27acf1
	s_mov_b32 s29, 0x3fd24924
	s_delay_alu instid0(VALU_DEP_1) | instid1(SALU_CYCLE_1)
	;; [unrolled: 4-line block ×3, first 2 shown]
	v_fma_f64 v[160:161], v[147:148], v[160:161], s[28:29]
	s_delay_alu instid0(VALU_DEP_1) | instskip(SKIP_2) | instid1(VALU_DEP_3)
	v_fma_f64 v[147:148], v[147:148], v[160:161], s[24:25]
	v_ldexp_f64 v[160:161], v[145:146], 1
	v_add_f64 v[145:146], v[145:146], -v[149:150]
	v_mul_f64 v[147:148], v[162:163], v[147:148]
	v_cvt_f64_i32_e32 v[162:163], v151
	s_delay_alu instid0(VALU_DEP_3) | instskip(NEXT) | instid1(VALU_DEP_3)
	v_add_f64 v[8:9], v[8:9], -v[145:146]
	v_add_f64 v[149:150], v[160:161], v[147:148]
	s_delay_alu instid0(VALU_DEP_3) | instskip(NEXT) | instid1(VALU_DEP_3)
	v_mul_f64 v[164:165], v[162:163], s[20:21]
	v_ldexp_f64 v[8:9], v[8:9], 1
	s_delay_alu instid0(VALU_DEP_3) | instskip(NEXT) | instid1(VALU_DEP_3)
	v_add_f64 v[145:146], v[149:150], -v[160:161]
	v_fma_f64 v[160:161], v[162:163], s[20:21], -v[164:165]
	s_delay_alu instid0(VALU_DEP_2) | instskip(NEXT) | instid1(VALU_DEP_2)
	v_add_f64 v[145:146], v[147:148], -v[145:146]
	v_fma_f64 v[147:148], v[162:163], s[22:23], v[160:161]
	s_delay_alu instid0(VALU_DEP_2) | instskip(NEXT) | instid1(VALU_DEP_2)
	v_add_f64 v[8:9], v[8:9], v[145:146]
	v_add_f64 v[145:146], v[164:165], v[147:148]
	s_delay_alu instid0(VALU_DEP_2) | instskip(NEXT) | instid1(VALU_DEP_2)
	v_add_f64 v[160:161], v[149:150], v[8:9]
	v_add_f64 v[164:165], v[145:146], -v[164:165]
	s_delay_alu instid0(VALU_DEP_2) | instskip(SKIP_1) | instid1(VALU_DEP_3)
	v_add_f64 v[162:163], v[145:146], v[160:161]
	v_add_f64 v[149:150], v[160:161], -v[149:150]
	v_add_f64 v[147:148], v[147:148], -v[164:165]
	s_delay_alu instid0(VALU_DEP_3) | instskip(NEXT) | instid1(VALU_DEP_3)
	v_add_f64 v[166:167], v[162:163], -v[145:146]
	v_add_f64 v[8:9], v[8:9], -v[149:150]
	s_delay_alu instid0(VALU_DEP_2) | instskip(SKIP_1) | instid1(VALU_DEP_3)
	v_add_f64 v[176:177], v[162:163], -v[166:167]
	v_add_f64 v[149:150], v[160:161], -v[166:167]
	v_add_f64 v[160:161], v[147:148], v[8:9]
	s_delay_alu instid0(VALU_DEP_3) | instskip(NEXT) | instid1(VALU_DEP_1)
	v_add_f64 v[145:146], v[145:146], -v[176:177]
	v_add_f64 v[145:146], v[149:150], v[145:146]
	s_delay_alu instid0(VALU_DEP_3) | instskip(NEXT) | instid1(VALU_DEP_2)
	v_add_f64 v[149:150], v[160:161], -v[147:148]
	v_add_f64 v[145:146], v[160:161], v[145:146]
	s_delay_alu instid0(VALU_DEP_2) | instskip(SKIP_1) | instid1(VALU_DEP_3)
	v_add_f64 v[160:161], v[160:161], -v[149:150]
	v_add_f64 v[8:9], v[8:9], -v[149:150]
	v_add_f64 v[164:165], v[162:163], v[145:146]
	s_delay_alu instid0(VALU_DEP_3) | instskip(NEXT) | instid1(VALU_DEP_2)
	v_add_f64 v[147:148], v[147:148], -v[160:161]
	v_add_f64 v[149:150], v[164:165], -v[162:163]
	s_delay_alu instid0(VALU_DEP_2) | instskip(NEXT) | instid1(VALU_DEP_2)
	v_add_f64 v[8:9], v[8:9], v[147:148]
	v_add_f64 v[145:146], v[145:146], -v[149:150]
	s_delay_alu instid0(VALU_DEP_1) | instskip(NEXT) | instid1(VALU_DEP_1)
	v_add_f64 v[8:9], v[8:9], v[145:146]
	v_add_f64 v[8:9], v[164:165], v[8:9]
	s_delay_alu instid0(VALU_DEP_1) | instskip(SKIP_1) | instid1(VALU_DEP_2)
	v_dual_cndmask_b32 v9, v9, v7 :: v_dual_cndmask_b32 v8, v8, v6
	v_cmp_ngt_f64_e32 vcc_lo, -1.0, v[6:7]
	v_cndmask_b32_e32 v9, 0x7ff80000, v9, vcc_lo
	v_cmp_nge_f64_e32 vcc_lo, -1.0, v[6:7]
	s_delay_alu instid0(VALU_DEP_4) | instskip(SKIP_1) | instid1(VALU_DEP_4)
	v_cndmask_b32_e32 v8, 0, v8, vcc_lo
	v_cmp_neq_f64_e32 vcc_lo, -1.0, v[6:7]
	v_cndmask_b32_e32 v9, 0xfff00000, v9, vcc_lo
	s_delay_alu instid0(VALU_DEP_1)
	v_add_f64 v[6:7], v[4:5], v[8:9]
.LBB76_61:
	s_or_b32 exec_lo, exec_lo, s27
	s_delay_alu instid0(VALU_DEP_1)
	v_dual_mov_b32 v4, v6 :: v_dual_mov_b32 v5, v7
	v_dual_mov_b32 v8, v6 :: v_dual_mov_b32 v9, v7
.LBB76_62:
	s_or_b32 exec_lo, exec_lo, s26
	s_delay_alu instid0(VALU_DEP_1) | instskip(NEXT) | instid1(VALU_DEP_2)
	v_mov_b32_dpp v6, v8 row_shr:4 row_mask:0xf bank_mask:0xf
	v_mov_b32_dpp v7, v9 row_shr:4 row_mask:0xf bank_mask:0xf
	s_mov_b32 s26, exec_lo
	v_cmpx_lt_u32_e32 3, v144
	s_cbranch_execz .LBB76_66
; %bb.63:
	s_delay_alu instid0(VALU_DEP_2) | instskip(SKIP_3) | instid1(VALU_DEP_3)
	v_max_f64 v[8:9], v[6:7], v[6:7]
	v_max_f64 v[145:146], v[4:5], v[4:5]
	v_cmp_u_f64_e32 vcc_lo, v[6:7], v[6:7]
	v_cmp_u_f64_e64 s19, v[4:5], v[4:5]
	v_min_f64 v[147:148], v[8:9], v[145:146]
	v_max_f64 v[8:9], v[8:9], v[145:146]
	s_delay_alu instid0(VALU_DEP_2) | instskip(NEXT) | instid1(VALU_DEP_2)
	v_dual_cndmask_b32 v145, v147, v6 :: v_dual_cndmask_b32 v146, v148, v7
	v_dual_cndmask_b32 v147, v9, v7 :: v_dual_cndmask_b32 v148, v8, v6
	s_delay_alu instid0(VALU_DEP_2) | instskip(NEXT) | instid1(VALU_DEP_3)
	v_cndmask_b32_e64 v8, v145, v4, s19
	v_cndmask_b32_e64 v9, v146, v5, s19
	s_delay_alu instid0(VALU_DEP_3) | instskip(NEXT) | instid1(VALU_DEP_4)
	v_cndmask_b32_e64 v5, v147, v5, s19
	v_cndmask_b32_e64 v4, v148, v4, s19
	s_delay_alu instid0(VALU_DEP_3) | instskip(NEXT) | instid1(VALU_DEP_2)
	v_cmp_class_f64_e64 s19, v[8:9], 0x1f8
	v_cmp_neq_f64_e32 vcc_lo, v[8:9], v[4:5]
	s_delay_alu instid0(VALU_DEP_2) | instskip(NEXT) | instid1(SALU_CYCLE_1)
	s_or_b32 s19, vcc_lo, s19
	s_and_saveexec_b32 s27, s19
	s_cbranch_execz .LBB76_65
; %bb.64:
	v_add_f64 v[6:7], v[8:9], -v[4:5]
	s_mov_b32 s20, 0x652b82fe
	s_mov_b32 s21, 0x3ff71547
	;; [unrolled: 1-line block ×8, first 2 shown]
	s_delay_alu instid0(VALU_DEP_1) | instskip(SKIP_4) | instid1(VALU_DEP_3)
	v_mul_f64 v[8:9], v[6:7], s[20:21]
	s_mov_b32 s21, 0xbfe62e42
	s_mov_b32 s20, 0xfefa39ef
	v_cmp_nlt_f64_e32 vcc_lo, 0x40900000, v[6:7]
	v_cmp_ngt_f64_e64 s19, 0xc090cc00, v[6:7]
	v_rndne_f64_e32 v[8:9], v[8:9]
	s_delay_alu instid0(VALU_DEP_1) | instskip(SKIP_2) | instid1(VALU_DEP_2)
	v_fma_f64 v[145:146], v[8:9], s[20:21], v[6:7]
	v_cvt_i32_f64_e32 v149, v[8:9]
	s_mov_b32 s21, 0x3fe62e42
	v_fma_f64 v[145:146], v[8:9], s[22:23], v[145:146]
	s_mov_b32 s23, 0x3c7abc9e
	s_delay_alu instid0(VALU_DEP_1) | instskip(SKIP_4) | instid1(VALU_DEP_1)
	v_fma_f64 v[147:148], v[145:146], s[28:29], s[24:25]
	s_mov_b32 s24, 0x623fde64
	s_mov_b32 s25, 0x3ec71dee
	;; [unrolled: 1-line block ×4, first 2 shown]
	v_fma_f64 v[147:148], v[145:146], v[147:148], s[24:25]
	s_mov_b32 s24, 0x7c89e6b0
	s_mov_b32 s25, 0x3efa0199
	s_delay_alu instid0(VALU_DEP_1) | instid1(SALU_CYCLE_1)
	v_fma_f64 v[147:148], v[145:146], v[147:148], s[24:25]
	s_mov_b32 s24, 0x14761f6e
	s_mov_b32 s25, 0x3f2a01a0
	s_delay_alu instid0(VALU_DEP_1) | instid1(SALU_CYCLE_1)
	;; [unrolled: 4-line block ×7, first 2 shown]
	v_fma_f64 v[147:148], v[145:146], v[147:148], s[24:25]
	s_mov_b32 s25, 0x3fe55555
	s_mov_b32 s24, 0x55555555
	s_delay_alu instid0(VALU_DEP_1) | instskip(NEXT) | instid1(VALU_DEP_1)
	v_fma_f64 v[147:148], v[145:146], v[147:148], 1.0
	v_fma_f64 v[8:9], v[145:146], v[147:148], 1.0
	s_delay_alu instid0(VALU_DEP_1) | instskip(NEXT) | instid1(VALU_DEP_1)
	v_ldexp_f64 v[8:9], v[8:9], v149
	v_cndmask_b32_e32 v9, 0x7ff00000, v9, vcc_lo
	s_and_b32 vcc_lo, s19, vcc_lo
	s_delay_alu instid0(VALU_DEP_1) | instskip(NEXT) | instid1(VALU_DEP_3)
	v_cndmask_b32_e64 v7, 0, v9, s19
	v_cndmask_b32_e32 v6, 0, v8, vcc_lo
	s_delay_alu instid0(VALU_DEP_1) | instskip(NEXT) | instid1(VALU_DEP_1)
	v_add_f64 v[8:9], v[6:7], 1.0
	v_frexp_mant_f64_e32 v[145:146], v[8:9]
	v_frexp_exp_i32_f64_e32 v149, v[8:9]
	v_add_f64 v[147:148], v[8:9], -1.0
	s_delay_alu instid0(VALU_DEP_3) | instskip(SKIP_1) | instid1(VALU_DEP_2)
	v_cmp_gt_f64_e32 vcc_lo, s[24:25], v[145:146]
	s_mov_b32 s24, 0x55555780
	v_add_f64 v[145:146], v[147:148], -v[8:9]
	v_add_f64 v[147:148], v[6:7], -v[147:148]
	v_subrev_co_ci_u32_e32 v151, vcc_lo, 0, v149, vcc_lo
	s_delay_alu instid0(VALU_DEP_3) | instskip(SKIP_2) | instid1(VALU_DEP_2)
	v_add_f64 v[145:146], v[145:146], 1.0
	s_mov_b32 vcc_lo, 0xbf559e2b
	s_mov_b32 vcc_hi, 0x3fc3ab76
	v_sub_nc_u32_e32 v160, 0, v151
	s_delay_alu instid0(VALU_DEP_1) | instskip(NEXT) | instid1(VALU_DEP_3)
	v_ldexp_f64 v[8:9], v[8:9], v160
	v_add_f64 v[145:146], v[147:148], v[145:146]
	s_delay_alu instid0(VALU_DEP_2) | instskip(SKIP_1) | instid1(VALU_DEP_3)
	v_add_f64 v[149:150], v[8:9], 1.0
	v_add_f64 v[164:165], v[8:9], -1.0
	v_ldexp_f64 v[145:146], v[145:146], v160
	s_delay_alu instid0(VALU_DEP_3) | instskip(NEXT) | instid1(VALU_DEP_3)
	v_add_f64 v[147:148], v[149:150], -1.0
	v_add_f64 v[166:167], v[164:165], 1.0
	s_delay_alu instid0(VALU_DEP_2) | instskip(NEXT) | instid1(VALU_DEP_2)
	v_add_f64 v[147:148], v[8:9], -v[147:148]
	v_add_f64 v[8:9], v[8:9], -v[166:167]
	s_delay_alu instid0(VALU_DEP_2) | instskip(NEXT) | instid1(VALU_DEP_2)
	v_add_f64 v[147:148], v[145:146], v[147:148]
	v_add_f64 v[8:9], v[145:146], v[8:9]
	s_delay_alu instid0(VALU_DEP_2) | instskip(NEXT) | instid1(VALU_DEP_2)
	v_add_f64 v[160:161], v[149:150], v[147:148]
	v_add_f64 v[166:167], v[164:165], v[8:9]
	s_delay_alu instid0(VALU_DEP_2) | instskip(SKIP_1) | instid1(VALU_DEP_2)
	v_rcp_f64_e32 v[162:163], v[160:161]
	v_add_f64 v[149:150], v[160:161], -v[149:150]
	v_add_f64 v[164:165], v[166:167], -v[164:165]
	s_delay_alu instid0(VALU_DEP_2) | instskip(SKIP_3) | instid1(VALU_DEP_2)
	v_add_f64 v[147:148], v[147:148], -v[149:150]
	s_waitcnt_depctr 0xfff
	v_fma_f64 v[176:177], -v[160:161], v[162:163], 1.0
	v_add_f64 v[8:9], v[8:9], -v[164:165]
	v_fma_f64 v[162:163], v[176:177], v[162:163], v[162:163]
	s_delay_alu instid0(VALU_DEP_1) | instskip(NEXT) | instid1(VALU_DEP_1)
	v_fma_f64 v[145:146], -v[160:161], v[162:163], 1.0
	v_fma_f64 v[145:146], v[145:146], v[162:163], v[162:163]
	s_delay_alu instid0(VALU_DEP_1) | instskip(NEXT) | instid1(VALU_DEP_1)
	v_mul_f64 v[162:163], v[166:167], v[145:146]
	v_mul_f64 v[176:177], v[160:161], v[162:163]
	s_delay_alu instid0(VALU_DEP_1) | instskip(NEXT) | instid1(VALU_DEP_1)
	v_fma_f64 v[149:150], v[162:163], v[160:161], -v[176:177]
	v_fma_f64 v[149:150], v[162:163], v[147:148], v[149:150]
	s_delay_alu instid0(VALU_DEP_1) | instskip(NEXT) | instid1(VALU_DEP_1)
	v_add_f64 v[213:214], v[176:177], v[149:150]
	v_add_f64 v[224:225], v[166:167], -v[213:214]
	v_add_f64 v[164:165], v[213:214], -v[176:177]
	s_delay_alu instid0(VALU_DEP_2) | instskip(NEXT) | instid1(VALU_DEP_2)
	v_add_f64 v[166:167], v[166:167], -v[224:225]
	v_add_f64 v[149:150], v[164:165], -v[149:150]
	s_delay_alu instid0(VALU_DEP_2) | instskip(NEXT) | instid1(VALU_DEP_1)
	v_add_f64 v[166:167], v[166:167], -v[213:214]
	v_add_f64 v[8:9], v[8:9], v[166:167]
	s_delay_alu instid0(VALU_DEP_1) | instskip(NEXT) | instid1(VALU_DEP_1)
	v_add_f64 v[8:9], v[149:150], v[8:9]
	v_add_f64 v[149:150], v[224:225], v[8:9]
	s_delay_alu instid0(VALU_DEP_1) | instskip(SKIP_1) | instid1(VALU_DEP_2)
	v_mul_f64 v[164:165], v[145:146], v[149:150]
	v_add_f64 v[213:214], v[224:225], -v[149:150]
	v_mul_f64 v[166:167], v[160:161], v[164:165]
	s_delay_alu instid0(VALU_DEP_2) | instskip(NEXT) | instid1(VALU_DEP_2)
	v_add_f64 v[8:9], v[8:9], v[213:214]
	v_fma_f64 v[160:161], v[164:165], v[160:161], -v[166:167]
	s_delay_alu instid0(VALU_DEP_1) | instskip(NEXT) | instid1(VALU_DEP_1)
	v_fma_f64 v[147:148], v[164:165], v[147:148], v[160:161]
	v_add_f64 v[160:161], v[166:167], v[147:148]
	s_delay_alu instid0(VALU_DEP_1) | instskip(SKIP_1) | instid1(VALU_DEP_2)
	v_add_f64 v[176:177], v[149:150], -v[160:161]
	v_add_f64 v[166:167], v[160:161], -v[166:167]
	;; [unrolled: 1-line block ×3, first 2 shown]
	s_delay_alu instid0(VALU_DEP_2) | instskip(NEXT) | instid1(VALU_DEP_2)
	v_add_f64 v[147:148], v[166:167], -v[147:148]
	v_add_f64 v[149:150], v[149:150], -v[160:161]
	s_delay_alu instid0(VALU_DEP_1) | instskip(SKIP_1) | instid1(VALU_DEP_2)
	v_add_f64 v[8:9], v[8:9], v[149:150]
	v_add_f64 v[149:150], v[162:163], v[164:165]
	;; [unrolled: 1-line block ×3, first 2 shown]
	s_delay_alu instid0(VALU_DEP_2) | instskip(NEXT) | instid1(VALU_DEP_2)
	v_add_f64 v[147:148], v[149:150], -v[162:163]
	v_add_f64 v[8:9], v[176:177], v[8:9]
	s_delay_alu instid0(VALU_DEP_2) | instskip(NEXT) | instid1(VALU_DEP_2)
	v_add_f64 v[147:148], v[164:165], -v[147:148]
	v_mul_f64 v[8:9], v[145:146], v[8:9]
	s_delay_alu instid0(VALU_DEP_1) | instskip(NEXT) | instid1(VALU_DEP_1)
	v_add_f64 v[8:9], v[147:148], v[8:9]
	v_add_f64 v[145:146], v[149:150], v[8:9]
	s_delay_alu instid0(VALU_DEP_1) | instskip(NEXT) | instid1(VALU_DEP_1)
	v_mul_f64 v[147:148], v[145:146], v[145:146]
	v_fma_f64 v[160:161], v[147:148], vcc, s[28:29]
	s_mov_b32 s28, 0xd7f4df2e
	s_mov_b32 s29, 0x3fc7474d
	v_mul_f64 v[162:163], v[145:146], v[147:148]
	v_cmp_eq_f64_e32 vcc_lo, 0x7ff00000, v[6:7]
	s_delay_alu instid0(VALU_DEP_3)
	v_fma_f64 v[160:161], v[147:148], v[160:161], s[28:29]
	s_mov_b32 s28, 0x16291751
	s_mov_b32 s29, 0x3fcc71c0
	s_delay_alu instid0(VALU_DEP_1) | instid1(SALU_CYCLE_1)
	v_fma_f64 v[160:161], v[147:148], v[160:161], s[28:29]
	s_mov_b32 s28, 0x9b27acf1
	s_mov_b32 s29, 0x3fd24924
	s_delay_alu instid0(VALU_DEP_1) | instid1(SALU_CYCLE_1)
	;; [unrolled: 4-line block ×3, first 2 shown]
	v_fma_f64 v[160:161], v[147:148], v[160:161], s[28:29]
	s_delay_alu instid0(VALU_DEP_1) | instskip(SKIP_2) | instid1(VALU_DEP_3)
	v_fma_f64 v[147:148], v[147:148], v[160:161], s[24:25]
	v_ldexp_f64 v[160:161], v[145:146], 1
	v_add_f64 v[145:146], v[145:146], -v[149:150]
	v_mul_f64 v[147:148], v[162:163], v[147:148]
	v_cvt_f64_i32_e32 v[162:163], v151
	s_delay_alu instid0(VALU_DEP_3) | instskip(NEXT) | instid1(VALU_DEP_3)
	v_add_f64 v[8:9], v[8:9], -v[145:146]
	v_add_f64 v[149:150], v[160:161], v[147:148]
	s_delay_alu instid0(VALU_DEP_3) | instskip(NEXT) | instid1(VALU_DEP_3)
	v_mul_f64 v[164:165], v[162:163], s[20:21]
	v_ldexp_f64 v[8:9], v[8:9], 1
	s_delay_alu instid0(VALU_DEP_3) | instskip(NEXT) | instid1(VALU_DEP_3)
	v_add_f64 v[145:146], v[149:150], -v[160:161]
	v_fma_f64 v[160:161], v[162:163], s[20:21], -v[164:165]
	s_delay_alu instid0(VALU_DEP_2) | instskip(NEXT) | instid1(VALU_DEP_2)
	v_add_f64 v[145:146], v[147:148], -v[145:146]
	v_fma_f64 v[147:148], v[162:163], s[22:23], v[160:161]
	s_delay_alu instid0(VALU_DEP_2) | instskip(NEXT) | instid1(VALU_DEP_2)
	v_add_f64 v[8:9], v[8:9], v[145:146]
	v_add_f64 v[145:146], v[164:165], v[147:148]
	s_delay_alu instid0(VALU_DEP_2) | instskip(NEXT) | instid1(VALU_DEP_2)
	v_add_f64 v[160:161], v[149:150], v[8:9]
	v_add_f64 v[164:165], v[145:146], -v[164:165]
	s_delay_alu instid0(VALU_DEP_2) | instskip(SKIP_1) | instid1(VALU_DEP_3)
	v_add_f64 v[162:163], v[145:146], v[160:161]
	v_add_f64 v[149:150], v[160:161], -v[149:150]
	v_add_f64 v[147:148], v[147:148], -v[164:165]
	s_delay_alu instid0(VALU_DEP_3) | instskip(NEXT) | instid1(VALU_DEP_3)
	v_add_f64 v[166:167], v[162:163], -v[145:146]
	v_add_f64 v[8:9], v[8:9], -v[149:150]
	s_delay_alu instid0(VALU_DEP_2) | instskip(SKIP_1) | instid1(VALU_DEP_3)
	v_add_f64 v[176:177], v[162:163], -v[166:167]
	v_add_f64 v[149:150], v[160:161], -v[166:167]
	v_add_f64 v[160:161], v[147:148], v[8:9]
	s_delay_alu instid0(VALU_DEP_3) | instskip(NEXT) | instid1(VALU_DEP_1)
	v_add_f64 v[145:146], v[145:146], -v[176:177]
	v_add_f64 v[145:146], v[149:150], v[145:146]
	s_delay_alu instid0(VALU_DEP_3) | instskip(NEXT) | instid1(VALU_DEP_2)
	v_add_f64 v[149:150], v[160:161], -v[147:148]
	v_add_f64 v[145:146], v[160:161], v[145:146]
	s_delay_alu instid0(VALU_DEP_2) | instskip(SKIP_1) | instid1(VALU_DEP_3)
	v_add_f64 v[160:161], v[160:161], -v[149:150]
	v_add_f64 v[8:9], v[8:9], -v[149:150]
	v_add_f64 v[164:165], v[162:163], v[145:146]
	s_delay_alu instid0(VALU_DEP_3) | instskip(NEXT) | instid1(VALU_DEP_2)
	v_add_f64 v[147:148], v[147:148], -v[160:161]
	v_add_f64 v[149:150], v[164:165], -v[162:163]
	s_delay_alu instid0(VALU_DEP_2) | instskip(NEXT) | instid1(VALU_DEP_2)
	v_add_f64 v[8:9], v[8:9], v[147:148]
	v_add_f64 v[145:146], v[145:146], -v[149:150]
	s_delay_alu instid0(VALU_DEP_1) | instskip(NEXT) | instid1(VALU_DEP_1)
	v_add_f64 v[8:9], v[8:9], v[145:146]
	v_add_f64 v[8:9], v[164:165], v[8:9]
	s_delay_alu instid0(VALU_DEP_1) | instskip(SKIP_1) | instid1(VALU_DEP_2)
	v_dual_cndmask_b32 v9, v9, v7 :: v_dual_cndmask_b32 v8, v8, v6
	v_cmp_ngt_f64_e32 vcc_lo, -1.0, v[6:7]
	v_cndmask_b32_e32 v9, 0x7ff80000, v9, vcc_lo
	v_cmp_nge_f64_e32 vcc_lo, -1.0, v[6:7]
	s_delay_alu instid0(VALU_DEP_4) | instskip(SKIP_1) | instid1(VALU_DEP_4)
	v_cndmask_b32_e32 v8, 0, v8, vcc_lo
	v_cmp_neq_f64_e32 vcc_lo, -1.0, v[6:7]
	v_cndmask_b32_e32 v9, 0xfff00000, v9, vcc_lo
	s_delay_alu instid0(VALU_DEP_1)
	v_add_f64 v[6:7], v[4:5], v[8:9]
.LBB76_65:
	s_or_b32 exec_lo, exec_lo, s27
	s_delay_alu instid0(VALU_DEP_1)
	v_dual_mov_b32 v4, v6 :: v_dual_mov_b32 v5, v7
	v_dual_mov_b32 v8, v6 :: v_dual_mov_b32 v9, v7
.LBB76_66:
	s_or_b32 exec_lo, exec_lo, s26
	s_delay_alu instid0(VALU_DEP_1) | instskip(NEXT) | instid1(VALU_DEP_2)
	v_mov_b32_dpp v6, v8 row_shr:8 row_mask:0xf bank_mask:0xf
	v_mov_b32_dpp v7, v9 row_shr:8 row_mask:0xf bank_mask:0xf
	s_mov_b32 s26, exec_lo
	v_cmpx_lt_u32_e32 7, v144
	s_cbranch_execz .LBB76_70
; %bb.67:
	s_delay_alu instid0(VALU_DEP_2) | instskip(SKIP_3) | instid1(VALU_DEP_3)
	v_max_f64 v[8:9], v[6:7], v[6:7]
	v_max_f64 v[144:145], v[4:5], v[4:5]
	v_cmp_u_f64_e32 vcc_lo, v[6:7], v[6:7]
	v_cmp_u_f64_e64 s19, v[4:5], v[4:5]
	v_min_f64 v[146:147], v[8:9], v[144:145]
	v_max_f64 v[8:9], v[8:9], v[144:145]
	s_delay_alu instid0(VALU_DEP_2) | instskip(NEXT) | instid1(VALU_DEP_2)
	v_dual_cndmask_b32 v144, v146, v6 :: v_dual_cndmask_b32 v145, v147, v7
	v_dual_cndmask_b32 v146, v9, v7 :: v_dual_cndmask_b32 v147, v8, v6
	s_delay_alu instid0(VALU_DEP_2) | instskip(NEXT) | instid1(VALU_DEP_3)
	v_cndmask_b32_e64 v8, v144, v4, s19
	v_cndmask_b32_e64 v9, v145, v5, s19
	s_delay_alu instid0(VALU_DEP_3) | instskip(NEXT) | instid1(VALU_DEP_4)
	v_cndmask_b32_e64 v5, v146, v5, s19
	v_cndmask_b32_e64 v4, v147, v4, s19
	s_delay_alu instid0(VALU_DEP_3) | instskip(NEXT) | instid1(VALU_DEP_2)
	v_cmp_class_f64_e64 s19, v[8:9], 0x1f8
	v_cmp_neq_f64_e32 vcc_lo, v[8:9], v[4:5]
	s_delay_alu instid0(VALU_DEP_2) | instskip(NEXT) | instid1(SALU_CYCLE_1)
	s_or_b32 s19, vcc_lo, s19
	s_and_saveexec_b32 s27, s19
	s_cbranch_execz .LBB76_69
; %bb.68:
	v_add_f64 v[6:7], v[8:9], -v[4:5]
	s_mov_b32 s20, 0x652b82fe
	s_mov_b32 s21, 0x3ff71547
	;; [unrolled: 1-line block ×8, first 2 shown]
	s_delay_alu instid0(VALU_DEP_1) | instskip(SKIP_4) | instid1(VALU_DEP_3)
	v_mul_f64 v[8:9], v[6:7], s[20:21]
	s_mov_b32 s21, 0xbfe62e42
	s_mov_b32 s20, 0xfefa39ef
	v_cmp_nlt_f64_e32 vcc_lo, 0x40900000, v[6:7]
	v_cmp_ngt_f64_e64 s19, 0xc090cc00, v[6:7]
	v_rndne_f64_e32 v[8:9], v[8:9]
	s_delay_alu instid0(VALU_DEP_1) | instskip(SKIP_2) | instid1(VALU_DEP_2)
	v_fma_f64 v[144:145], v[8:9], s[20:21], v[6:7]
	v_cvt_i32_f64_e32 v148, v[8:9]
	s_mov_b32 s21, 0x3fe62e42
	v_fma_f64 v[144:145], v[8:9], s[22:23], v[144:145]
	s_mov_b32 s23, 0x3c7abc9e
	s_delay_alu instid0(VALU_DEP_1) | instskip(SKIP_4) | instid1(VALU_DEP_1)
	v_fma_f64 v[146:147], v[144:145], s[28:29], s[24:25]
	s_mov_b32 s24, 0x623fde64
	s_mov_b32 s25, 0x3ec71dee
	;; [unrolled: 1-line block ×4, first 2 shown]
	v_fma_f64 v[146:147], v[144:145], v[146:147], s[24:25]
	s_mov_b32 s24, 0x7c89e6b0
	s_mov_b32 s25, 0x3efa0199
	s_delay_alu instid0(VALU_DEP_1) | instid1(SALU_CYCLE_1)
	v_fma_f64 v[146:147], v[144:145], v[146:147], s[24:25]
	s_mov_b32 s24, 0x14761f6e
	s_mov_b32 s25, 0x3f2a01a0
	s_delay_alu instid0(VALU_DEP_1) | instid1(SALU_CYCLE_1)
	;; [unrolled: 4-line block ×7, first 2 shown]
	v_fma_f64 v[146:147], v[144:145], v[146:147], s[24:25]
	s_mov_b32 s25, 0x3fe55555
	s_mov_b32 s24, 0x55555555
	s_delay_alu instid0(VALU_DEP_1) | instskip(NEXT) | instid1(VALU_DEP_1)
	v_fma_f64 v[146:147], v[144:145], v[146:147], 1.0
	v_fma_f64 v[8:9], v[144:145], v[146:147], 1.0
	s_delay_alu instid0(VALU_DEP_1) | instskip(NEXT) | instid1(VALU_DEP_1)
	v_ldexp_f64 v[8:9], v[8:9], v148
	v_cndmask_b32_e32 v9, 0x7ff00000, v9, vcc_lo
	s_and_b32 vcc_lo, s19, vcc_lo
	s_delay_alu instid0(VALU_DEP_1) | instskip(NEXT) | instid1(VALU_DEP_3)
	v_cndmask_b32_e64 v7, 0, v9, s19
	v_cndmask_b32_e32 v6, 0, v8, vcc_lo
	s_delay_alu instid0(VALU_DEP_1) | instskip(NEXT) | instid1(VALU_DEP_1)
	v_add_f64 v[8:9], v[6:7], 1.0
	v_frexp_mant_f64_e32 v[144:145], v[8:9]
	v_frexp_exp_i32_f64_e32 v148, v[8:9]
	v_add_f64 v[146:147], v[8:9], -1.0
	s_delay_alu instid0(VALU_DEP_3) | instskip(SKIP_1) | instid1(VALU_DEP_2)
	v_cmp_gt_f64_e32 vcc_lo, s[24:25], v[144:145]
	s_mov_b32 s24, 0x55555780
	v_add_f64 v[144:145], v[146:147], -v[8:9]
	v_add_f64 v[146:147], v[6:7], -v[146:147]
	v_subrev_co_ci_u32_e32 v215, vcc_lo, 0, v148, vcc_lo
	s_delay_alu instid0(VALU_DEP_3) | instskip(SKIP_2) | instid1(VALU_DEP_2)
	v_add_f64 v[144:145], v[144:145], 1.0
	s_mov_b32 vcc_lo, 0xbf559e2b
	s_mov_b32 vcc_hi, 0x3fc3ab76
	v_sub_nc_u32_e32 v150, 0, v215
	s_delay_alu instid0(VALU_DEP_1) | instskip(NEXT) | instid1(VALU_DEP_3)
	v_ldexp_f64 v[8:9], v[8:9], v150
	v_add_f64 v[144:145], v[146:147], v[144:145]
	s_delay_alu instid0(VALU_DEP_2) | instskip(SKIP_1) | instid1(VALU_DEP_3)
	v_add_f64 v[148:149], v[8:9], 1.0
	v_add_f64 v[162:163], v[8:9], -1.0
	v_ldexp_f64 v[144:145], v[144:145], v150
	s_delay_alu instid0(VALU_DEP_3) | instskip(NEXT) | instid1(VALU_DEP_3)
	v_add_f64 v[146:147], v[148:149], -1.0
	v_add_f64 v[164:165], v[162:163], 1.0
	s_delay_alu instid0(VALU_DEP_2) | instskip(NEXT) | instid1(VALU_DEP_2)
	v_add_f64 v[146:147], v[8:9], -v[146:147]
	v_add_f64 v[8:9], v[8:9], -v[164:165]
	s_delay_alu instid0(VALU_DEP_2) | instskip(NEXT) | instid1(VALU_DEP_2)
	v_add_f64 v[146:147], v[144:145], v[146:147]
	v_add_f64 v[8:9], v[144:145], v[8:9]
	s_delay_alu instid0(VALU_DEP_2) | instskip(NEXT) | instid1(VALU_DEP_2)
	v_add_f64 v[150:151], v[148:149], v[146:147]
	v_add_f64 v[164:165], v[162:163], v[8:9]
	s_delay_alu instid0(VALU_DEP_2) | instskip(SKIP_1) | instid1(VALU_DEP_2)
	v_rcp_f64_e32 v[160:161], v[150:151]
	v_add_f64 v[148:149], v[150:151], -v[148:149]
	v_add_f64 v[162:163], v[164:165], -v[162:163]
	s_delay_alu instid0(VALU_DEP_2) | instskip(SKIP_3) | instid1(VALU_DEP_2)
	v_add_f64 v[146:147], v[146:147], -v[148:149]
	s_waitcnt_depctr 0xfff
	v_fma_f64 v[166:167], -v[150:151], v[160:161], 1.0
	v_add_f64 v[8:9], v[8:9], -v[162:163]
	v_fma_f64 v[160:161], v[166:167], v[160:161], v[160:161]
	s_delay_alu instid0(VALU_DEP_1) | instskip(NEXT) | instid1(VALU_DEP_1)
	v_fma_f64 v[144:145], -v[150:151], v[160:161], 1.0
	v_fma_f64 v[144:145], v[144:145], v[160:161], v[160:161]
	s_delay_alu instid0(VALU_DEP_1) | instskip(NEXT) | instid1(VALU_DEP_1)
	v_mul_f64 v[160:161], v[164:165], v[144:145]
	v_mul_f64 v[166:167], v[150:151], v[160:161]
	s_delay_alu instid0(VALU_DEP_1) | instskip(NEXT) | instid1(VALU_DEP_1)
	v_fma_f64 v[148:149], v[160:161], v[150:151], -v[166:167]
	v_fma_f64 v[148:149], v[160:161], v[146:147], v[148:149]
	s_delay_alu instid0(VALU_DEP_1) | instskip(NEXT) | instid1(VALU_DEP_1)
	v_add_f64 v[176:177], v[166:167], v[148:149]
	v_add_f64 v[213:214], v[164:165], -v[176:177]
	v_add_f64 v[162:163], v[176:177], -v[166:167]
	s_delay_alu instid0(VALU_DEP_2) | instskip(NEXT) | instid1(VALU_DEP_2)
	v_add_f64 v[164:165], v[164:165], -v[213:214]
	v_add_f64 v[148:149], v[162:163], -v[148:149]
	s_delay_alu instid0(VALU_DEP_2) | instskip(NEXT) | instid1(VALU_DEP_1)
	v_add_f64 v[164:165], v[164:165], -v[176:177]
	v_add_f64 v[8:9], v[8:9], v[164:165]
	s_delay_alu instid0(VALU_DEP_1) | instskip(NEXT) | instid1(VALU_DEP_1)
	v_add_f64 v[8:9], v[148:149], v[8:9]
	v_add_f64 v[148:149], v[213:214], v[8:9]
	s_delay_alu instid0(VALU_DEP_1) | instskip(SKIP_1) | instid1(VALU_DEP_2)
	v_mul_f64 v[162:163], v[144:145], v[148:149]
	v_add_f64 v[176:177], v[213:214], -v[148:149]
	v_mul_f64 v[164:165], v[150:151], v[162:163]
	s_delay_alu instid0(VALU_DEP_2) | instskip(NEXT) | instid1(VALU_DEP_2)
	v_add_f64 v[8:9], v[8:9], v[176:177]
	v_fma_f64 v[150:151], v[162:163], v[150:151], -v[164:165]
	s_delay_alu instid0(VALU_DEP_1) | instskip(NEXT) | instid1(VALU_DEP_1)
	v_fma_f64 v[146:147], v[162:163], v[146:147], v[150:151]
	v_add_f64 v[150:151], v[164:165], v[146:147]
	s_delay_alu instid0(VALU_DEP_1) | instskip(SKIP_1) | instid1(VALU_DEP_2)
	v_add_f64 v[166:167], v[148:149], -v[150:151]
	v_add_f64 v[164:165], v[150:151], -v[164:165]
	;; [unrolled: 1-line block ×3, first 2 shown]
	s_delay_alu instid0(VALU_DEP_2) | instskip(NEXT) | instid1(VALU_DEP_2)
	v_add_f64 v[146:147], v[164:165], -v[146:147]
	v_add_f64 v[148:149], v[148:149], -v[150:151]
	s_delay_alu instid0(VALU_DEP_1) | instskip(SKIP_1) | instid1(VALU_DEP_2)
	v_add_f64 v[8:9], v[8:9], v[148:149]
	v_add_f64 v[148:149], v[160:161], v[162:163]
	;; [unrolled: 1-line block ×3, first 2 shown]
	s_delay_alu instid0(VALU_DEP_2) | instskip(NEXT) | instid1(VALU_DEP_2)
	v_add_f64 v[146:147], v[148:149], -v[160:161]
	v_add_f64 v[8:9], v[166:167], v[8:9]
	s_delay_alu instid0(VALU_DEP_2) | instskip(NEXT) | instid1(VALU_DEP_2)
	v_add_f64 v[146:147], v[162:163], -v[146:147]
	v_mul_f64 v[8:9], v[144:145], v[8:9]
	s_delay_alu instid0(VALU_DEP_1) | instskip(NEXT) | instid1(VALU_DEP_1)
	v_add_f64 v[8:9], v[146:147], v[8:9]
	v_add_f64 v[144:145], v[148:149], v[8:9]
	s_delay_alu instid0(VALU_DEP_1) | instskip(NEXT) | instid1(VALU_DEP_1)
	v_mul_f64 v[146:147], v[144:145], v[144:145]
	v_fma_f64 v[150:151], v[146:147], vcc, s[28:29]
	s_mov_b32 s28, 0xd7f4df2e
	s_mov_b32 s29, 0x3fc7474d
	v_mul_f64 v[160:161], v[144:145], v[146:147]
	v_cmp_eq_f64_e32 vcc_lo, 0x7ff00000, v[6:7]
	s_delay_alu instid0(VALU_DEP_3)
	v_fma_f64 v[150:151], v[146:147], v[150:151], s[28:29]
	s_mov_b32 s28, 0x16291751
	s_mov_b32 s29, 0x3fcc71c0
	s_delay_alu instid0(VALU_DEP_1) | instid1(SALU_CYCLE_1)
	v_fma_f64 v[150:151], v[146:147], v[150:151], s[28:29]
	s_mov_b32 s28, 0x9b27acf1
	s_mov_b32 s29, 0x3fd24924
	s_delay_alu instid0(VALU_DEP_1) | instid1(SALU_CYCLE_1)
	;; [unrolled: 4-line block ×3, first 2 shown]
	v_fma_f64 v[150:151], v[146:147], v[150:151], s[28:29]
	s_delay_alu instid0(VALU_DEP_1) | instskip(SKIP_2) | instid1(VALU_DEP_3)
	v_fma_f64 v[146:147], v[146:147], v[150:151], s[24:25]
	v_ldexp_f64 v[150:151], v[144:145], 1
	v_add_f64 v[144:145], v[144:145], -v[148:149]
	v_mul_f64 v[146:147], v[160:161], v[146:147]
	v_cvt_f64_i32_e32 v[160:161], v215
	s_delay_alu instid0(VALU_DEP_3) | instskip(NEXT) | instid1(VALU_DEP_3)
	v_add_f64 v[8:9], v[8:9], -v[144:145]
	v_add_f64 v[148:149], v[150:151], v[146:147]
	s_delay_alu instid0(VALU_DEP_3) | instskip(NEXT) | instid1(VALU_DEP_3)
	v_mul_f64 v[162:163], v[160:161], s[20:21]
	v_ldexp_f64 v[8:9], v[8:9], 1
	s_delay_alu instid0(VALU_DEP_3) | instskip(NEXT) | instid1(VALU_DEP_3)
	v_add_f64 v[144:145], v[148:149], -v[150:151]
	v_fma_f64 v[150:151], v[160:161], s[20:21], -v[162:163]
	s_delay_alu instid0(VALU_DEP_2) | instskip(NEXT) | instid1(VALU_DEP_2)
	v_add_f64 v[144:145], v[146:147], -v[144:145]
	v_fma_f64 v[146:147], v[160:161], s[22:23], v[150:151]
	s_delay_alu instid0(VALU_DEP_2) | instskip(NEXT) | instid1(VALU_DEP_2)
	v_add_f64 v[8:9], v[8:9], v[144:145]
	v_add_f64 v[144:145], v[162:163], v[146:147]
	s_delay_alu instid0(VALU_DEP_2) | instskip(NEXT) | instid1(VALU_DEP_2)
	v_add_f64 v[150:151], v[148:149], v[8:9]
	v_add_f64 v[162:163], v[144:145], -v[162:163]
	s_delay_alu instid0(VALU_DEP_2) | instskip(SKIP_1) | instid1(VALU_DEP_3)
	v_add_f64 v[160:161], v[144:145], v[150:151]
	v_add_f64 v[148:149], v[150:151], -v[148:149]
	v_add_f64 v[146:147], v[146:147], -v[162:163]
	s_delay_alu instid0(VALU_DEP_3) | instskip(NEXT) | instid1(VALU_DEP_3)
	v_add_f64 v[164:165], v[160:161], -v[144:145]
	v_add_f64 v[8:9], v[8:9], -v[148:149]
	s_delay_alu instid0(VALU_DEP_2) | instskip(SKIP_1) | instid1(VALU_DEP_3)
	v_add_f64 v[166:167], v[160:161], -v[164:165]
	v_add_f64 v[148:149], v[150:151], -v[164:165]
	v_add_f64 v[150:151], v[146:147], v[8:9]
	s_delay_alu instid0(VALU_DEP_3) | instskip(NEXT) | instid1(VALU_DEP_1)
	v_add_f64 v[144:145], v[144:145], -v[166:167]
	v_add_f64 v[144:145], v[148:149], v[144:145]
	s_delay_alu instid0(VALU_DEP_3) | instskip(NEXT) | instid1(VALU_DEP_2)
	v_add_f64 v[148:149], v[150:151], -v[146:147]
	v_add_f64 v[144:145], v[150:151], v[144:145]
	s_delay_alu instid0(VALU_DEP_2) | instskip(SKIP_1) | instid1(VALU_DEP_3)
	v_add_f64 v[150:151], v[150:151], -v[148:149]
	v_add_f64 v[8:9], v[8:9], -v[148:149]
	v_add_f64 v[162:163], v[160:161], v[144:145]
	s_delay_alu instid0(VALU_DEP_3) | instskip(NEXT) | instid1(VALU_DEP_2)
	v_add_f64 v[146:147], v[146:147], -v[150:151]
	v_add_f64 v[148:149], v[162:163], -v[160:161]
	s_delay_alu instid0(VALU_DEP_2) | instskip(NEXT) | instid1(VALU_DEP_2)
	v_add_f64 v[8:9], v[8:9], v[146:147]
	v_add_f64 v[144:145], v[144:145], -v[148:149]
	s_delay_alu instid0(VALU_DEP_1) | instskip(NEXT) | instid1(VALU_DEP_1)
	v_add_f64 v[8:9], v[8:9], v[144:145]
	v_add_f64 v[8:9], v[162:163], v[8:9]
	s_delay_alu instid0(VALU_DEP_1) | instskip(SKIP_1) | instid1(VALU_DEP_2)
	v_dual_cndmask_b32 v9, v9, v7 :: v_dual_cndmask_b32 v8, v8, v6
	v_cmp_ngt_f64_e32 vcc_lo, -1.0, v[6:7]
	v_cndmask_b32_e32 v9, 0x7ff80000, v9, vcc_lo
	v_cmp_nge_f64_e32 vcc_lo, -1.0, v[6:7]
	s_delay_alu instid0(VALU_DEP_4) | instskip(SKIP_1) | instid1(VALU_DEP_4)
	v_cndmask_b32_e32 v8, 0, v8, vcc_lo
	v_cmp_neq_f64_e32 vcc_lo, -1.0, v[6:7]
	v_cndmask_b32_e32 v9, 0xfff00000, v9, vcc_lo
	s_delay_alu instid0(VALU_DEP_1)
	v_add_f64 v[6:7], v[4:5], v[8:9]
.LBB76_69:
	s_or_b32 exec_lo, exec_lo, s27
	s_delay_alu instid0(VALU_DEP_1)
	v_dual_mov_b32 v8, v6 :: v_dual_mov_b32 v9, v7
	v_dual_mov_b32 v4, v6 :: v_dual_mov_b32 v5, v7
.LBB76_70:
	s_or_b32 exec_lo, exec_lo, s26
	ds_swizzle_b32 v6, v8 offset:swizzle(BROADCAST,32,15)
	ds_swizzle_b32 v7, v9 offset:swizzle(BROADCAST,32,15)
	v_and_b32_e32 v8, 16, v212
	s_mov_b32 s26, exec_lo
	s_delay_alu instid0(VALU_DEP_1)
	v_cmpx_ne_u32_e32 0, v8
	s_cbranch_execz .LBB76_74
; %bb.71:
	s_waitcnt lgkmcnt(0)
	v_max_f64 v[8:9], v[6:7], v[6:7]
	v_max_f64 v[144:145], v[4:5], v[4:5]
	v_cmp_u_f64_e32 vcc_lo, v[6:7], v[6:7]
	v_cmp_u_f64_e64 s19, v[4:5], v[4:5]
	s_delay_alu instid0(VALU_DEP_3) | instskip(SKIP_1) | instid1(VALU_DEP_2)
	v_min_f64 v[146:147], v[8:9], v[144:145]
	v_max_f64 v[8:9], v[8:9], v[144:145]
	v_dual_cndmask_b32 v144, v146, v6 :: v_dual_cndmask_b32 v145, v147, v7
	s_delay_alu instid0(VALU_DEP_2) | instskip(NEXT) | instid1(VALU_DEP_2)
	v_dual_cndmask_b32 v146, v9, v7 :: v_dual_cndmask_b32 v147, v8, v6
	v_cndmask_b32_e64 v8, v144, v4, s19
	s_delay_alu instid0(VALU_DEP_3) | instskip(NEXT) | instid1(VALU_DEP_3)
	v_cndmask_b32_e64 v9, v145, v5, s19
	v_cndmask_b32_e64 v5, v146, v5, s19
	s_delay_alu instid0(VALU_DEP_4) | instskip(NEXT) | instid1(VALU_DEP_3)
	v_cndmask_b32_e64 v4, v147, v4, s19
	v_cmp_class_f64_e64 s19, v[8:9], 0x1f8
	s_delay_alu instid0(VALU_DEP_2) | instskip(NEXT) | instid1(VALU_DEP_2)
	v_cmp_neq_f64_e32 vcc_lo, v[8:9], v[4:5]
	s_or_b32 s19, vcc_lo, s19
	s_delay_alu instid0(SALU_CYCLE_1)
	s_and_saveexec_b32 s27, s19
	s_cbranch_execz .LBB76_73
; %bb.72:
	v_add_f64 v[6:7], v[8:9], -v[4:5]
	s_mov_b32 s20, 0x652b82fe
	s_mov_b32 s21, 0x3ff71547
	;; [unrolled: 1-line block ×8, first 2 shown]
	s_delay_alu instid0(VALU_DEP_1) | instskip(SKIP_4) | instid1(VALU_DEP_3)
	v_mul_f64 v[8:9], v[6:7], s[20:21]
	s_mov_b32 s21, 0xbfe62e42
	s_mov_b32 s20, 0xfefa39ef
	v_cmp_nlt_f64_e32 vcc_lo, 0x40900000, v[6:7]
	v_cmp_ngt_f64_e64 s19, 0xc090cc00, v[6:7]
	v_rndne_f64_e32 v[8:9], v[8:9]
	s_delay_alu instid0(VALU_DEP_1) | instskip(SKIP_2) | instid1(VALU_DEP_2)
	v_fma_f64 v[144:145], v[8:9], s[20:21], v[6:7]
	v_cvt_i32_f64_e32 v148, v[8:9]
	s_mov_b32 s21, 0x3fe62e42
	v_fma_f64 v[144:145], v[8:9], s[22:23], v[144:145]
	s_mov_b32 s23, 0x3c7abc9e
	s_delay_alu instid0(VALU_DEP_1) | instskip(SKIP_4) | instid1(VALU_DEP_1)
	v_fma_f64 v[146:147], v[144:145], s[28:29], s[24:25]
	s_mov_b32 s24, 0x623fde64
	s_mov_b32 s25, 0x3ec71dee
	;; [unrolled: 1-line block ×4, first 2 shown]
	v_fma_f64 v[146:147], v[144:145], v[146:147], s[24:25]
	s_mov_b32 s24, 0x7c89e6b0
	s_mov_b32 s25, 0x3efa0199
	s_delay_alu instid0(VALU_DEP_1) | instid1(SALU_CYCLE_1)
	v_fma_f64 v[146:147], v[144:145], v[146:147], s[24:25]
	s_mov_b32 s24, 0x14761f6e
	s_mov_b32 s25, 0x3f2a01a0
	s_delay_alu instid0(VALU_DEP_1) | instid1(SALU_CYCLE_1)
	;; [unrolled: 4-line block ×7, first 2 shown]
	v_fma_f64 v[146:147], v[144:145], v[146:147], s[24:25]
	s_mov_b32 s25, 0x3fe55555
	s_mov_b32 s24, 0x55555555
	s_delay_alu instid0(VALU_DEP_1) | instskip(NEXT) | instid1(VALU_DEP_1)
	v_fma_f64 v[146:147], v[144:145], v[146:147], 1.0
	v_fma_f64 v[8:9], v[144:145], v[146:147], 1.0
	s_delay_alu instid0(VALU_DEP_1) | instskip(NEXT) | instid1(VALU_DEP_1)
	v_ldexp_f64 v[8:9], v[8:9], v148
	v_cndmask_b32_e32 v9, 0x7ff00000, v9, vcc_lo
	s_and_b32 vcc_lo, s19, vcc_lo
	s_delay_alu instid0(VALU_DEP_1) | instskip(NEXT) | instid1(VALU_DEP_3)
	v_cndmask_b32_e64 v7, 0, v9, s19
	v_cndmask_b32_e32 v6, 0, v8, vcc_lo
	s_delay_alu instid0(VALU_DEP_1) | instskip(NEXT) | instid1(VALU_DEP_1)
	v_add_f64 v[8:9], v[6:7], 1.0
	v_frexp_mant_f64_e32 v[144:145], v[8:9]
	v_frexp_exp_i32_f64_e32 v148, v[8:9]
	v_add_f64 v[146:147], v[8:9], -1.0
	s_delay_alu instid0(VALU_DEP_3) | instskip(SKIP_1) | instid1(VALU_DEP_2)
	v_cmp_gt_f64_e32 vcc_lo, s[24:25], v[144:145]
	s_mov_b32 s24, 0x55555780
	v_add_f64 v[144:145], v[146:147], -v[8:9]
	v_add_f64 v[146:147], v[6:7], -v[146:147]
	v_subrev_co_ci_u32_e32 v215, vcc_lo, 0, v148, vcc_lo
	s_delay_alu instid0(VALU_DEP_3) | instskip(SKIP_2) | instid1(VALU_DEP_2)
	v_add_f64 v[144:145], v[144:145], 1.0
	s_mov_b32 vcc_lo, 0xbf559e2b
	s_mov_b32 vcc_hi, 0x3fc3ab76
	v_sub_nc_u32_e32 v150, 0, v215
	s_delay_alu instid0(VALU_DEP_1) | instskip(NEXT) | instid1(VALU_DEP_3)
	v_ldexp_f64 v[8:9], v[8:9], v150
	v_add_f64 v[144:145], v[146:147], v[144:145]
	s_delay_alu instid0(VALU_DEP_2) | instskip(SKIP_1) | instid1(VALU_DEP_3)
	v_add_f64 v[148:149], v[8:9], 1.0
	v_add_f64 v[162:163], v[8:9], -1.0
	v_ldexp_f64 v[144:145], v[144:145], v150
	s_delay_alu instid0(VALU_DEP_3) | instskip(NEXT) | instid1(VALU_DEP_3)
	v_add_f64 v[146:147], v[148:149], -1.0
	v_add_f64 v[164:165], v[162:163], 1.0
	s_delay_alu instid0(VALU_DEP_2) | instskip(NEXT) | instid1(VALU_DEP_2)
	v_add_f64 v[146:147], v[8:9], -v[146:147]
	v_add_f64 v[8:9], v[8:9], -v[164:165]
	s_delay_alu instid0(VALU_DEP_2) | instskip(NEXT) | instid1(VALU_DEP_2)
	v_add_f64 v[146:147], v[144:145], v[146:147]
	v_add_f64 v[8:9], v[144:145], v[8:9]
	s_delay_alu instid0(VALU_DEP_2) | instskip(NEXT) | instid1(VALU_DEP_2)
	v_add_f64 v[150:151], v[148:149], v[146:147]
	v_add_f64 v[164:165], v[162:163], v[8:9]
	s_delay_alu instid0(VALU_DEP_2) | instskip(SKIP_1) | instid1(VALU_DEP_2)
	v_rcp_f64_e32 v[160:161], v[150:151]
	v_add_f64 v[148:149], v[150:151], -v[148:149]
	v_add_f64 v[162:163], v[164:165], -v[162:163]
	s_delay_alu instid0(VALU_DEP_2) | instskip(SKIP_3) | instid1(VALU_DEP_2)
	v_add_f64 v[146:147], v[146:147], -v[148:149]
	s_waitcnt_depctr 0xfff
	v_fma_f64 v[166:167], -v[150:151], v[160:161], 1.0
	v_add_f64 v[8:9], v[8:9], -v[162:163]
	v_fma_f64 v[160:161], v[166:167], v[160:161], v[160:161]
	s_delay_alu instid0(VALU_DEP_1) | instskip(NEXT) | instid1(VALU_DEP_1)
	v_fma_f64 v[144:145], -v[150:151], v[160:161], 1.0
	v_fma_f64 v[144:145], v[144:145], v[160:161], v[160:161]
	s_delay_alu instid0(VALU_DEP_1) | instskip(NEXT) | instid1(VALU_DEP_1)
	v_mul_f64 v[160:161], v[164:165], v[144:145]
	v_mul_f64 v[166:167], v[150:151], v[160:161]
	s_delay_alu instid0(VALU_DEP_1) | instskip(NEXT) | instid1(VALU_DEP_1)
	v_fma_f64 v[148:149], v[160:161], v[150:151], -v[166:167]
	v_fma_f64 v[148:149], v[160:161], v[146:147], v[148:149]
	s_delay_alu instid0(VALU_DEP_1) | instskip(NEXT) | instid1(VALU_DEP_1)
	v_add_f64 v[176:177], v[166:167], v[148:149]
	v_add_f64 v[213:214], v[164:165], -v[176:177]
	v_add_f64 v[162:163], v[176:177], -v[166:167]
	s_delay_alu instid0(VALU_DEP_2) | instskip(NEXT) | instid1(VALU_DEP_2)
	v_add_f64 v[164:165], v[164:165], -v[213:214]
	v_add_f64 v[148:149], v[162:163], -v[148:149]
	s_delay_alu instid0(VALU_DEP_2) | instskip(NEXT) | instid1(VALU_DEP_1)
	v_add_f64 v[164:165], v[164:165], -v[176:177]
	v_add_f64 v[8:9], v[8:9], v[164:165]
	s_delay_alu instid0(VALU_DEP_1) | instskip(NEXT) | instid1(VALU_DEP_1)
	v_add_f64 v[8:9], v[148:149], v[8:9]
	v_add_f64 v[148:149], v[213:214], v[8:9]
	s_delay_alu instid0(VALU_DEP_1) | instskip(SKIP_1) | instid1(VALU_DEP_2)
	v_mul_f64 v[162:163], v[144:145], v[148:149]
	v_add_f64 v[176:177], v[213:214], -v[148:149]
	v_mul_f64 v[164:165], v[150:151], v[162:163]
	s_delay_alu instid0(VALU_DEP_2) | instskip(NEXT) | instid1(VALU_DEP_2)
	v_add_f64 v[8:9], v[8:9], v[176:177]
	v_fma_f64 v[150:151], v[162:163], v[150:151], -v[164:165]
	s_delay_alu instid0(VALU_DEP_1) | instskip(NEXT) | instid1(VALU_DEP_1)
	v_fma_f64 v[146:147], v[162:163], v[146:147], v[150:151]
	v_add_f64 v[150:151], v[164:165], v[146:147]
	s_delay_alu instid0(VALU_DEP_1) | instskip(SKIP_1) | instid1(VALU_DEP_2)
	v_add_f64 v[166:167], v[148:149], -v[150:151]
	v_add_f64 v[164:165], v[150:151], -v[164:165]
	;; [unrolled: 1-line block ×3, first 2 shown]
	s_delay_alu instid0(VALU_DEP_2) | instskip(NEXT) | instid1(VALU_DEP_2)
	v_add_f64 v[146:147], v[164:165], -v[146:147]
	v_add_f64 v[148:149], v[148:149], -v[150:151]
	s_delay_alu instid0(VALU_DEP_1) | instskip(SKIP_1) | instid1(VALU_DEP_2)
	v_add_f64 v[8:9], v[8:9], v[148:149]
	v_add_f64 v[148:149], v[160:161], v[162:163]
	;; [unrolled: 1-line block ×3, first 2 shown]
	s_delay_alu instid0(VALU_DEP_2) | instskip(NEXT) | instid1(VALU_DEP_2)
	v_add_f64 v[146:147], v[148:149], -v[160:161]
	v_add_f64 v[8:9], v[166:167], v[8:9]
	s_delay_alu instid0(VALU_DEP_2) | instskip(NEXT) | instid1(VALU_DEP_2)
	v_add_f64 v[146:147], v[162:163], -v[146:147]
	v_mul_f64 v[8:9], v[144:145], v[8:9]
	s_delay_alu instid0(VALU_DEP_1) | instskip(NEXT) | instid1(VALU_DEP_1)
	v_add_f64 v[8:9], v[146:147], v[8:9]
	v_add_f64 v[144:145], v[148:149], v[8:9]
	s_delay_alu instid0(VALU_DEP_1) | instskip(NEXT) | instid1(VALU_DEP_1)
	v_mul_f64 v[146:147], v[144:145], v[144:145]
	v_fma_f64 v[150:151], v[146:147], vcc, s[28:29]
	s_mov_b32 s28, 0xd7f4df2e
	s_mov_b32 s29, 0x3fc7474d
	v_mul_f64 v[160:161], v[144:145], v[146:147]
	v_cmp_eq_f64_e32 vcc_lo, 0x7ff00000, v[6:7]
	s_delay_alu instid0(VALU_DEP_3)
	v_fma_f64 v[150:151], v[146:147], v[150:151], s[28:29]
	s_mov_b32 s28, 0x16291751
	s_mov_b32 s29, 0x3fcc71c0
	s_delay_alu instid0(VALU_DEP_1) | instid1(SALU_CYCLE_1)
	v_fma_f64 v[150:151], v[146:147], v[150:151], s[28:29]
	s_mov_b32 s28, 0x9b27acf1
	s_mov_b32 s29, 0x3fd24924
	s_delay_alu instid0(VALU_DEP_1) | instid1(SALU_CYCLE_1)
	;; [unrolled: 4-line block ×3, first 2 shown]
	v_fma_f64 v[150:151], v[146:147], v[150:151], s[28:29]
	s_delay_alu instid0(VALU_DEP_1) | instskip(SKIP_2) | instid1(VALU_DEP_3)
	v_fma_f64 v[146:147], v[146:147], v[150:151], s[24:25]
	v_ldexp_f64 v[150:151], v[144:145], 1
	v_add_f64 v[144:145], v[144:145], -v[148:149]
	v_mul_f64 v[146:147], v[160:161], v[146:147]
	v_cvt_f64_i32_e32 v[160:161], v215
	s_delay_alu instid0(VALU_DEP_3) | instskip(NEXT) | instid1(VALU_DEP_3)
	v_add_f64 v[8:9], v[8:9], -v[144:145]
	v_add_f64 v[148:149], v[150:151], v[146:147]
	s_delay_alu instid0(VALU_DEP_3) | instskip(NEXT) | instid1(VALU_DEP_3)
	v_mul_f64 v[162:163], v[160:161], s[20:21]
	v_ldexp_f64 v[8:9], v[8:9], 1
	s_delay_alu instid0(VALU_DEP_3) | instskip(NEXT) | instid1(VALU_DEP_3)
	v_add_f64 v[144:145], v[148:149], -v[150:151]
	v_fma_f64 v[150:151], v[160:161], s[20:21], -v[162:163]
	s_delay_alu instid0(VALU_DEP_2) | instskip(NEXT) | instid1(VALU_DEP_2)
	v_add_f64 v[144:145], v[146:147], -v[144:145]
	v_fma_f64 v[146:147], v[160:161], s[22:23], v[150:151]
	s_delay_alu instid0(VALU_DEP_2) | instskip(NEXT) | instid1(VALU_DEP_2)
	v_add_f64 v[8:9], v[8:9], v[144:145]
	v_add_f64 v[144:145], v[162:163], v[146:147]
	s_delay_alu instid0(VALU_DEP_2) | instskip(NEXT) | instid1(VALU_DEP_2)
	v_add_f64 v[150:151], v[148:149], v[8:9]
	v_add_f64 v[162:163], v[144:145], -v[162:163]
	s_delay_alu instid0(VALU_DEP_2) | instskip(SKIP_1) | instid1(VALU_DEP_3)
	v_add_f64 v[160:161], v[144:145], v[150:151]
	v_add_f64 v[148:149], v[150:151], -v[148:149]
	v_add_f64 v[146:147], v[146:147], -v[162:163]
	s_delay_alu instid0(VALU_DEP_3) | instskip(NEXT) | instid1(VALU_DEP_3)
	v_add_f64 v[164:165], v[160:161], -v[144:145]
	v_add_f64 v[8:9], v[8:9], -v[148:149]
	s_delay_alu instid0(VALU_DEP_2) | instskip(SKIP_1) | instid1(VALU_DEP_3)
	v_add_f64 v[166:167], v[160:161], -v[164:165]
	v_add_f64 v[148:149], v[150:151], -v[164:165]
	v_add_f64 v[150:151], v[146:147], v[8:9]
	s_delay_alu instid0(VALU_DEP_3) | instskip(NEXT) | instid1(VALU_DEP_1)
	v_add_f64 v[144:145], v[144:145], -v[166:167]
	v_add_f64 v[144:145], v[148:149], v[144:145]
	s_delay_alu instid0(VALU_DEP_3) | instskip(NEXT) | instid1(VALU_DEP_2)
	v_add_f64 v[148:149], v[150:151], -v[146:147]
	v_add_f64 v[144:145], v[150:151], v[144:145]
	s_delay_alu instid0(VALU_DEP_2) | instskip(SKIP_1) | instid1(VALU_DEP_3)
	v_add_f64 v[150:151], v[150:151], -v[148:149]
	v_add_f64 v[8:9], v[8:9], -v[148:149]
	v_add_f64 v[162:163], v[160:161], v[144:145]
	s_delay_alu instid0(VALU_DEP_3) | instskip(NEXT) | instid1(VALU_DEP_2)
	v_add_f64 v[146:147], v[146:147], -v[150:151]
	v_add_f64 v[148:149], v[162:163], -v[160:161]
	s_delay_alu instid0(VALU_DEP_2) | instskip(NEXT) | instid1(VALU_DEP_2)
	v_add_f64 v[8:9], v[8:9], v[146:147]
	v_add_f64 v[144:145], v[144:145], -v[148:149]
	s_delay_alu instid0(VALU_DEP_1) | instskip(NEXT) | instid1(VALU_DEP_1)
	v_add_f64 v[8:9], v[8:9], v[144:145]
	v_add_f64 v[8:9], v[162:163], v[8:9]
	s_delay_alu instid0(VALU_DEP_1) | instskip(SKIP_1) | instid1(VALU_DEP_2)
	v_dual_cndmask_b32 v9, v9, v7 :: v_dual_cndmask_b32 v8, v8, v6
	v_cmp_ngt_f64_e32 vcc_lo, -1.0, v[6:7]
	v_cndmask_b32_e32 v9, 0x7ff80000, v9, vcc_lo
	v_cmp_nge_f64_e32 vcc_lo, -1.0, v[6:7]
	s_delay_alu instid0(VALU_DEP_4) | instskip(SKIP_1) | instid1(VALU_DEP_4)
	v_cndmask_b32_e32 v8, 0, v8, vcc_lo
	v_cmp_neq_f64_e32 vcc_lo, -1.0, v[6:7]
	v_cndmask_b32_e32 v9, 0xfff00000, v9, vcc_lo
	s_delay_alu instid0(VALU_DEP_1)
	v_add_f64 v[6:7], v[4:5], v[8:9]
.LBB76_73:
	s_or_b32 exec_lo, exec_lo, s27
	s_delay_alu instid0(VALU_DEP_1)
	v_dual_mov_b32 v4, v6 :: v_dual_mov_b32 v5, v7
.LBB76_74:
	s_or_b32 exec_lo, exec_lo, s26
	s_waitcnt lgkmcnt(1)
	v_and_b32_e32 v6, 0x3e0, v128
	v_lshrrev_b32_e32 v146, 5, v128
	s_mov_b32 s19, exec_lo
	s_delay_alu instid0(VALU_DEP_2) | instskip(NEXT) | instid1(VALU_DEP_1)
	v_min_u32_e32 v6, 0xe0, v6
	v_or_b32_e32 v6, 31, v6
	s_delay_alu instid0(VALU_DEP_1)
	v_cmpx_eq_u32_e64 v6, v128
	s_cbranch_execz .LBB76_76
; %bb.75:
	v_lshlrev_b32_e32 v6, 3, v146
	ds_store_b64 v6, v[4:5]
.LBB76_76:
	s_or_b32 exec_lo, exec_lo, s19
	s_delay_alu instid0(SALU_CYCLE_1)
	s_mov_b32 s26, exec_lo
	s_waitcnt lgkmcnt(0)
	s_barrier
	buffer_gl0_inv
	v_cmpx_gt_u32_e32 8, v128
	s_cbranch_execz .LBB76_90
; %bb.77:
	ds_load_b64 v[6:7], v198
	v_and_b32_e32 v147, 7, v212
	s_mov_b32 s27, exec_lo
	s_waitcnt lgkmcnt(0)
	v_mov_b32_e32 v144, v6
	v_mov_b32_dpp v8, v6 row_shr:1 row_mask:0xf bank_mask:0xf
	v_mov_b32_dpp v9, v7 row_shr:1 row_mask:0xf bank_mask:0xf
	v_mov_b32_e32 v145, v7
	v_cmpx_ne_u32_e32 0, v147
	s_cbranch_execz .LBB76_81
; %bb.78:
	s_delay_alu instid0(VALU_DEP_3) | instskip(SKIP_3) | instid1(VALU_DEP_3)
	v_max_f64 v[144:145], v[8:9], v[8:9]
	v_max_f64 v[148:149], v[6:7], v[6:7]
	v_cmp_u_f64_e32 vcc_lo, v[8:9], v[8:9]
	v_cmp_u_f64_e64 s19, v[6:7], v[6:7]
	v_min_f64 v[150:151], v[144:145], v[148:149]
	v_max_f64 v[144:145], v[144:145], v[148:149]
	s_delay_alu instid0(VALU_DEP_2) | instskip(NEXT) | instid1(VALU_DEP_2)
	v_dual_cndmask_b32 v148, v150, v8 :: v_dual_cndmask_b32 v149, v151, v9
	v_dual_cndmask_b32 v150, v145, v9 :: v_dual_cndmask_b32 v151, v144, v8
	s_delay_alu instid0(VALU_DEP_2) | instskip(NEXT) | instid1(VALU_DEP_3)
	v_cndmask_b32_e64 v144, v148, v6, s19
	v_cndmask_b32_e64 v145, v149, v7, s19
	s_delay_alu instid0(VALU_DEP_3) | instskip(NEXT) | instid1(VALU_DEP_4)
	v_cndmask_b32_e64 v7, v150, v7, s19
	v_cndmask_b32_e64 v6, v151, v6, s19
	s_delay_alu instid0(VALU_DEP_3) | instskip(NEXT) | instid1(VALU_DEP_2)
	v_cmp_class_f64_e64 s19, v[144:145], 0x1f8
	v_cmp_neq_f64_e32 vcc_lo, v[144:145], v[6:7]
	s_delay_alu instid0(VALU_DEP_2) | instskip(NEXT) | instid1(SALU_CYCLE_1)
	s_or_b32 s19, vcc_lo, s19
	s_and_saveexec_b32 s28, s19
	s_cbranch_execz .LBB76_80
; %bb.79:
	v_add_f64 v[8:9], v[144:145], -v[6:7]
	s_mov_b32 s20, 0x652b82fe
	s_mov_b32 s21, 0x3ff71547
	s_mov_b32 s23, 0xbc7abc9e
	s_mov_b32 s22, 0x3b39803f
	s_mov_b32 s24, 0xfca7ab0c
	s_mov_b32 vcc_lo, 0x6a5dcb37
	s_mov_b32 s25, 0x3e928af3
	s_mov_b32 vcc_hi, 0x3e5ade15
	s_mov_b32 s30, 0xbf559e2b
	s_mov_b32 s31, 0x3fc3ab76
	s_delay_alu instid0(VALU_DEP_1) | instskip(SKIP_3) | instid1(VALU_DEP_2)
	v_mul_f64 v[144:145], v[8:9], s[20:21]
	s_mov_b32 s21, 0xbfe62e42
	s_mov_b32 s20, 0xfefa39ef
	v_cmp_ngt_f64_e64 s19, 0xc090cc00, v[8:9]
	v_rndne_f64_e32 v[144:145], v[144:145]
	s_delay_alu instid0(VALU_DEP_1) | instskip(SKIP_2) | instid1(VALU_DEP_2)
	v_fma_f64 v[148:149], v[144:145], s[20:21], v[8:9]
	v_cvt_i32_f64_e32 v160, v[144:145]
	s_mov_b32 s21, 0x3fe62e42
	v_fma_f64 v[148:149], v[144:145], s[22:23], v[148:149]
	s_mov_b32 s23, 0x3c7abc9e
	s_delay_alu instid0(VALU_DEP_1) | instskip(SKIP_3) | instid1(VALU_DEP_2)
	v_fma_f64 v[150:151], v[148:149], vcc, s[24:25]
	s_mov_b32 s24, 0x623fde64
	s_mov_b32 s25, 0x3ec71dee
	v_cmp_nlt_f64_e32 vcc_lo, 0x40900000, v[8:9]
	v_fma_f64 v[150:151], v[148:149], v[150:151], s[24:25]
	s_mov_b32 s24, 0x7c89e6b0
	s_mov_b32 s25, 0x3efa0199
	s_delay_alu instid0(VALU_DEP_1) | instid1(SALU_CYCLE_1)
	v_fma_f64 v[150:151], v[148:149], v[150:151], s[24:25]
	s_mov_b32 s24, 0x14761f6e
	s_mov_b32 s25, 0x3f2a01a0
	s_delay_alu instid0(VALU_DEP_1) | instid1(SALU_CYCLE_1)
	;; [unrolled: 4-line block ×7, first 2 shown]
	v_fma_f64 v[150:151], v[148:149], v[150:151], s[24:25]
	s_mov_b32 s25, 0x3fe55555
	s_mov_b32 s24, 0x55555555
	s_delay_alu instid0(VALU_DEP_1) | instskip(NEXT) | instid1(VALU_DEP_1)
	v_fma_f64 v[150:151], v[148:149], v[150:151], 1.0
	v_fma_f64 v[144:145], v[148:149], v[150:151], 1.0
	s_delay_alu instid0(VALU_DEP_1) | instskip(NEXT) | instid1(VALU_DEP_1)
	v_ldexp_f64 v[144:145], v[144:145], v160
	v_cndmask_b32_e32 v145, 0x7ff00000, v145, vcc_lo
	s_and_b32 vcc_lo, s19, vcc_lo
	s_delay_alu instid0(VALU_DEP_1) | instskip(NEXT) | instid1(VALU_DEP_3)
	v_cndmask_b32_e64 v9, 0, v145, s19
	v_cndmask_b32_e32 v8, 0, v144, vcc_lo
	s_delay_alu instid0(VALU_DEP_1) | instskip(NEXT) | instid1(VALU_DEP_1)
	v_add_f64 v[144:145], v[8:9], 1.0
	v_frexp_mant_f64_e32 v[148:149], v[144:145]
	v_frexp_exp_i32_f64_e32 v160, v[144:145]
	v_add_f64 v[150:151], v[144:145], -1.0
	s_delay_alu instid0(VALU_DEP_3) | instskip(SKIP_1) | instid1(VALU_DEP_2)
	v_cmp_gt_f64_e32 vcc_lo, s[24:25], v[148:149]
	s_mov_b32 s24, 0x55555780
	v_add_f64 v[148:149], v[150:151], -v[144:145]
	v_add_f64 v[150:151], v[8:9], -v[150:151]
	v_subrev_co_ci_u32_e32 v215, vcc_lo, 0, v160, vcc_lo
	s_delay_alu instid0(VALU_DEP_3) | instskip(SKIP_2) | instid1(VALU_DEP_2)
	v_add_f64 v[148:149], v[148:149], 1.0
	s_mov_b32 vcc_lo, 0x6b47b09a
	s_mov_b32 vcc_hi, 0x3fc38538
	v_sub_nc_u32_e32 v162, 0, v215
	s_delay_alu instid0(VALU_DEP_1) | instskip(NEXT) | instid1(VALU_DEP_3)
	v_ldexp_f64 v[144:145], v[144:145], v162
	v_add_f64 v[148:149], v[150:151], v[148:149]
	s_delay_alu instid0(VALU_DEP_2) | instskip(SKIP_1) | instid1(VALU_DEP_3)
	v_add_f64 v[160:161], v[144:145], 1.0
	v_add_f64 v[166:167], v[144:145], -1.0
	v_ldexp_f64 v[148:149], v[148:149], v162
	s_delay_alu instid0(VALU_DEP_3) | instskip(NEXT) | instid1(VALU_DEP_3)
	v_add_f64 v[150:151], v[160:161], -1.0
	v_add_f64 v[176:177], v[166:167], 1.0
	s_delay_alu instid0(VALU_DEP_2) | instskip(NEXT) | instid1(VALU_DEP_2)
	v_add_f64 v[150:151], v[144:145], -v[150:151]
	v_add_f64 v[144:145], v[144:145], -v[176:177]
	s_delay_alu instid0(VALU_DEP_2) | instskip(NEXT) | instid1(VALU_DEP_2)
	v_add_f64 v[150:151], v[148:149], v[150:151]
	v_add_f64 v[144:145], v[148:149], v[144:145]
	s_delay_alu instid0(VALU_DEP_2) | instskip(NEXT) | instid1(VALU_DEP_2)
	v_add_f64 v[162:163], v[160:161], v[150:151]
	v_add_f64 v[176:177], v[166:167], v[144:145]
	s_delay_alu instid0(VALU_DEP_2) | instskip(SKIP_1) | instid1(VALU_DEP_2)
	v_rcp_f64_e32 v[164:165], v[162:163]
	v_add_f64 v[160:161], v[162:163], -v[160:161]
	v_add_f64 v[166:167], v[176:177], -v[166:167]
	s_delay_alu instid0(VALU_DEP_2) | instskip(SKIP_3) | instid1(VALU_DEP_2)
	v_add_f64 v[150:151], v[150:151], -v[160:161]
	s_waitcnt_depctr 0xfff
	v_fma_f64 v[213:214], -v[162:163], v[164:165], 1.0
	v_add_f64 v[144:145], v[144:145], -v[166:167]
	v_fma_f64 v[164:165], v[213:214], v[164:165], v[164:165]
	s_delay_alu instid0(VALU_DEP_1) | instskip(NEXT) | instid1(VALU_DEP_1)
	v_fma_f64 v[148:149], -v[162:163], v[164:165], 1.0
	v_fma_f64 v[148:149], v[148:149], v[164:165], v[164:165]
	s_delay_alu instid0(VALU_DEP_1) | instskip(NEXT) | instid1(VALU_DEP_1)
	v_mul_f64 v[164:165], v[176:177], v[148:149]
	v_mul_f64 v[213:214], v[162:163], v[164:165]
	s_delay_alu instid0(VALU_DEP_1) | instskip(NEXT) | instid1(VALU_DEP_1)
	v_fma_f64 v[160:161], v[164:165], v[162:163], -v[213:214]
	v_fma_f64 v[160:161], v[164:165], v[150:151], v[160:161]
	s_delay_alu instid0(VALU_DEP_1) | instskip(NEXT) | instid1(VALU_DEP_1)
	v_add_f64 v[224:225], v[213:214], v[160:161]
	v_add_f64 v[226:227], v[176:177], -v[224:225]
	v_add_f64 v[166:167], v[224:225], -v[213:214]
	s_delay_alu instid0(VALU_DEP_2) | instskip(NEXT) | instid1(VALU_DEP_2)
	v_add_f64 v[176:177], v[176:177], -v[226:227]
	v_add_f64 v[160:161], v[166:167], -v[160:161]
	s_delay_alu instid0(VALU_DEP_2) | instskip(NEXT) | instid1(VALU_DEP_1)
	v_add_f64 v[176:177], v[176:177], -v[224:225]
	v_add_f64 v[144:145], v[144:145], v[176:177]
	s_delay_alu instid0(VALU_DEP_1) | instskip(NEXT) | instid1(VALU_DEP_1)
	v_add_f64 v[144:145], v[160:161], v[144:145]
	v_add_f64 v[160:161], v[226:227], v[144:145]
	s_delay_alu instid0(VALU_DEP_1) | instskip(SKIP_1) | instid1(VALU_DEP_2)
	v_mul_f64 v[166:167], v[148:149], v[160:161]
	v_add_f64 v[224:225], v[226:227], -v[160:161]
	v_mul_f64 v[176:177], v[162:163], v[166:167]
	s_delay_alu instid0(VALU_DEP_2) | instskip(NEXT) | instid1(VALU_DEP_2)
	v_add_f64 v[144:145], v[144:145], v[224:225]
	v_fma_f64 v[162:163], v[166:167], v[162:163], -v[176:177]
	s_delay_alu instid0(VALU_DEP_1) | instskip(NEXT) | instid1(VALU_DEP_1)
	v_fma_f64 v[150:151], v[166:167], v[150:151], v[162:163]
	v_add_f64 v[162:163], v[176:177], v[150:151]
	s_delay_alu instid0(VALU_DEP_1) | instskip(SKIP_1) | instid1(VALU_DEP_2)
	v_add_f64 v[213:214], v[160:161], -v[162:163]
	v_add_f64 v[176:177], v[162:163], -v[176:177]
	;; [unrolled: 1-line block ×3, first 2 shown]
	s_delay_alu instid0(VALU_DEP_2) | instskip(NEXT) | instid1(VALU_DEP_2)
	v_add_f64 v[150:151], v[176:177], -v[150:151]
	v_add_f64 v[160:161], v[160:161], -v[162:163]
	s_delay_alu instid0(VALU_DEP_1) | instskip(SKIP_1) | instid1(VALU_DEP_2)
	v_add_f64 v[144:145], v[144:145], v[160:161]
	v_add_f64 v[160:161], v[164:165], v[166:167]
	;; [unrolled: 1-line block ×3, first 2 shown]
	s_delay_alu instid0(VALU_DEP_2) | instskip(NEXT) | instid1(VALU_DEP_2)
	v_add_f64 v[150:151], v[160:161], -v[164:165]
	v_add_f64 v[144:145], v[213:214], v[144:145]
	s_delay_alu instid0(VALU_DEP_2) | instskip(NEXT) | instid1(VALU_DEP_2)
	v_add_f64 v[150:151], v[166:167], -v[150:151]
	v_mul_f64 v[144:145], v[148:149], v[144:145]
	s_delay_alu instid0(VALU_DEP_1) | instskip(NEXT) | instid1(VALU_DEP_1)
	v_add_f64 v[144:145], v[150:151], v[144:145]
	v_add_f64 v[148:149], v[160:161], v[144:145]
	s_delay_alu instid0(VALU_DEP_1) | instskip(NEXT) | instid1(VALU_DEP_1)
	v_mul_f64 v[150:151], v[148:149], v[148:149]
	v_fma_f64 v[162:163], v[150:151], s[30:31], vcc
	s_mov_b32 vcc_lo, 0xd7f4df2e
	s_mov_b32 vcc_hi, 0x3fc7474d
	v_mul_f64 v[164:165], v[148:149], v[150:151]
	s_delay_alu instid0(VALU_DEP_2)
	v_fma_f64 v[162:163], v[150:151], v[162:163], vcc
	s_mov_b32 vcc_lo, 0x16291751
	s_mov_b32 vcc_hi, 0x3fcc71c0
	s_delay_alu instid0(VALU_DEP_1) | instid1(SALU_CYCLE_1)
	v_fma_f64 v[162:163], v[150:151], v[162:163], vcc
	s_mov_b32 vcc_lo, 0x9b27acf1
	s_mov_b32 vcc_hi, 0x3fd24924
	s_delay_alu instid0(VALU_DEP_1) | instid1(SALU_CYCLE_1)
	;; [unrolled: 4-line block ×3, first 2 shown]
	v_fma_f64 v[162:163], v[150:151], v[162:163], vcc
	v_cmp_eq_f64_e32 vcc_lo, 0x7ff00000, v[8:9]
	s_delay_alu instid0(VALU_DEP_2) | instskip(SKIP_2) | instid1(VALU_DEP_3)
	v_fma_f64 v[150:151], v[150:151], v[162:163], s[24:25]
	v_ldexp_f64 v[162:163], v[148:149], 1
	v_add_f64 v[148:149], v[148:149], -v[160:161]
	v_mul_f64 v[150:151], v[164:165], v[150:151]
	v_cvt_f64_i32_e32 v[164:165], v215
	s_delay_alu instid0(VALU_DEP_3) | instskip(NEXT) | instid1(VALU_DEP_3)
	v_add_f64 v[144:145], v[144:145], -v[148:149]
	v_add_f64 v[160:161], v[162:163], v[150:151]
	s_delay_alu instid0(VALU_DEP_3) | instskip(NEXT) | instid1(VALU_DEP_3)
	v_mul_f64 v[166:167], v[164:165], s[20:21]
	v_ldexp_f64 v[144:145], v[144:145], 1
	s_delay_alu instid0(VALU_DEP_3) | instskip(NEXT) | instid1(VALU_DEP_3)
	v_add_f64 v[148:149], v[160:161], -v[162:163]
	v_fma_f64 v[162:163], v[164:165], s[20:21], -v[166:167]
	s_delay_alu instid0(VALU_DEP_2) | instskip(NEXT) | instid1(VALU_DEP_2)
	v_add_f64 v[148:149], v[150:151], -v[148:149]
	v_fma_f64 v[150:151], v[164:165], s[22:23], v[162:163]
	s_delay_alu instid0(VALU_DEP_2) | instskip(NEXT) | instid1(VALU_DEP_2)
	v_add_f64 v[144:145], v[144:145], v[148:149]
	v_add_f64 v[148:149], v[166:167], v[150:151]
	s_delay_alu instid0(VALU_DEP_2) | instskip(NEXT) | instid1(VALU_DEP_2)
	v_add_f64 v[162:163], v[160:161], v[144:145]
	v_add_f64 v[166:167], v[148:149], -v[166:167]
	s_delay_alu instid0(VALU_DEP_2) | instskip(SKIP_1) | instid1(VALU_DEP_3)
	v_add_f64 v[164:165], v[148:149], v[162:163]
	v_add_f64 v[160:161], v[162:163], -v[160:161]
	v_add_f64 v[150:151], v[150:151], -v[166:167]
	s_delay_alu instid0(VALU_DEP_3) | instskip(NEXT) | instid1(VALU_DEP_3)
	v_add_f64 v[176:177], v[164:165], -v[148:149]
	v_add_f64 v[144:145], v[144:145], -v[160:161]
	s_delay_alu instid0(VALU_DEP_2) | instskip(SKIP_1) | instid1(VALU_DEP_3)
	v_add_f64 v[213:214], v[164:165], -v[176:177]
	v_add_f64 v[160:161], v[162:163], -v[176:177]
	v_add_f64 v[162:163], v[150:151], v[144:145]
	s_delay_alu instid0(VALU_DEP_3) | instskip(NEXT) | instid1(VALU_DEP_1)
	v_add_f64 v[148:149], v[148:149], -v[213:214]
	v_add_f64 v[148:149], v[160:161], v[148:149]
	s_delay_alu instid0(VALU_DEP_3) | instskip(NEXT) | instid1(VALU_DEP_2)
	v_add_f64 v[160:161], v[162:163], -v[150:151]
	v_add_f64 v[148:149], v[162:163], v[148:149]
	s_delay_alu instid0(VALU_DEP_2) | instskip(SKIP_1) | instid1(VALU_DEP_3)
	v_add_f64 v[162:163], v[162:163], -v[160:161]
	v_add_f64 v[144:145], v[144:145], -v[160:161]
	v_add_f64 v[166:167], v[164:165], v[148:149]
	s_delay_alu instid0(VALU_DEP_3) | instskip(NEXT) | instid1(VALU_DEP_2)
	v_add_f64 v[150:151], v[150:151], -v[162:163]
	v_add_f64 v[160:161], v[166:167], -v[164:165]
	s_delay_alu instid0(VALU_DEP_2) | instskip(NEXT) | instid1(VALU_DEP_2)
	v_add_f64 v[144:145], v[144:145], v[150:151]
	v_add_f64 v[148:149], v[148:149], -v[160:161]
	s_delay_alu instid0(VALU_DEP_1) | instskip(NEXT) | instid1(VALU_DEP_1)
	v_add_f64 v[144:145], v[144:145], v[148:149]
	v_add_f64 v[144:145], v[166:167], v[144:145]
	s_delay_alu instid0(VALU_DEP_1) | instskip(SKIP_1) | instid1(VALU_DEP_2)
	v_dual_cndmask_b32 v145, v145, v9 :: v_dual_cndmask_b32 v144, v144, v8
	v_cmp_ngt_f64_e32 vcc_lo, -1.0, v[8:9]
	v_cndmask_b32_e32 v145, 0x7ff80000, v145, vcc_lo
	v_cmp_nge_f64_e32 vcc_lo, -1.0, v[8:9]
	s_delay_alu instid0(VALU_DEP_4) | instskip(SKIP_1) | instid1(VALU_DEP_4)
	v_cndmask_b32_e32 v144, 0, v144, vcc_lo
	v_cmp_neq_f64_e32 vcc_lo, -1.0, v[8:9]
	v_cndmask_b32_e32 v145, 0xfff00000, v145, vcc_lo
	s_delay_alu instid0(VALU_DEP_1)
	v_add_f64 v[8:9], v[6:7], v[144:145]
.LBB76_80:
	s_or_b32 exec_lo, exec_lo, s28
	s_delay_alu instid0(VALU_DEP_1)
	v_dual_mov_b32 v144, v8 :: v_dual_mov_b32 v145, v9
	v_dual_mov_b32 v6, v8 :: v_dual_mov_b32 v7, v9
.LBB76_81:
	s_or_b32 exec_lo, exec_lo, s27
	s_delay_alu instid0(VALU_DEP_2) | instskip(NEXT) | instid1(VALU_DEP_3)
	v_mov_b32_dpp v8, v144 row_shr:2 row_mask:0xf bank_mask:0xf
	v_mov_b32_dpp v9, v145 row_shr:2 row_mask:0xf bank_mask:0xf
	s_mov_b32 s27, exec_lo
	v_cmpx_lt_u32_e32 1, v147
	s_cbranch_execz .LBB76_85
; %bb.82:
	s_delay_alu instid0(VALU_DEP_2) | instskip(SKIP_3) | instid1(VALU_DEP_3)
	v_max_f64 v[144:145], v[8:9], v[8:9]
	v_max_f64 v[148:149], v[6:7], v[6:7]
	v_cmp_u_f64_e32 vcc_lo, v[8:9], v[8:9]
	v_cmp_u_f64_e64 s19, v[6:7], v[6:7]
	v_min_f64 v[150:151], v[144:145], v[148:149]
	v_max_f64 v[144:145], v[144:145], v[148:149]
	s_delay_alu instid0(VALU_DEP_2) | instskip(NEXT) | instid1(VALU_DEP_2)
	v_dual_cndmask_b32 v148, v150, v8 :: v_dual_cndmask_b32 v149, v151, v9
	v_dual_cndmask_b32 v150, v145, v9 :: v_dual_cndmask_b32 v151, v144, v8
	s_delay_alu instid0(VALU_DEP_2) | instskip(NEXT) | instid1(VALU_DEP_3)
	v_cndmask_b32_e64 v144, v148, v6, s19
	v_cndmask_b32_e64 v145, v149, v7, s19
	s_delay_alu instid0(VALU_DEP_3) | instskip(NEXT) | instid1(VALU_DEP_4)
	v_cndmask_b32_e64 v7, v150, v7, s19
	v_cndmask_b32_e64 v6, v151, v6, s19
	s_delay_alu instid0(VALU_DEP_3) | instskip(NEXT) | instid1(VALU_DEP_2)
	v_cmp_class_f64_e64 s19, v[144:145], 0x1f8
	v_cmp_neq_f64_e32 vcc_lo, v[144:145], v[6:7]
	s_delay_alu instid0(VALU_DEP_2) | instskip(NEXT) | instid1(SALU_CYCLE_1)
	s_or_b32 s19, vcc_lo, s19
	s_and_saveexec_b32 s28, s19
	s_cbranch_execz .LBB76_84
; %bb.83:
	v_add_f64 v[8:9], v[144:145], -v[6:7]
	s_mov_b32 s20, 0x652b82fe
	s_mov_b32 s21, 0x3ff71547
	;; [unrolled: 1-line block ×5, first 2 shown]
	s_mov_b32 vcc_lo, 0x6a5dcb37
	s_mov_b32 s25, 0x3e928af3
	s_mov_b32 vcc_hi, 0x3e5ade15
	s_mov_b32 s30, 0xbf559e2b
	s_mov_b32 s31, 0x3fc3ab76
	s_delay_alu instid0(VALU_DEP_1) | instskip(SKIP_3) | instid1(VALU_DEP_2)
	v_mul_f64 v[144:145], v[8:9], s[20:21]
	s_mov_b32 s21, 0xbfe62e42
	s_mov_b32 s20, 0xfefa39ef
	v_cmp_ngt_f64_e64 s19, 0xc090cc00, v[8:9]
	v_rndne_f64_e32 v[144:145], v[144:145]
	s_delay_alu instid0(VALU_DEP_1) | instskip(SKIP_2) | instid1(VALU_DEP_2)
	v_fma_f64 v[148:149], v[144:145], s[20:21], v[8:9]
	v_cvt_i32_f64_e32 v160, v[144:145]
	s_mov_b32 s21, 0x3fe62e42
	v_fma_f64 v[148:149], v[144:145], s[22:23], v[148:149]
	s_mov_b32 s23, 0x3c7abc9e
	s_delay_alu instid0(VALU_DEP_1) | instskip(SKIP_3) | instid1(VALU_DEP_2)
	v_fma_f64 v[150:151], v[148:149], vcc, s[24:25]
	s_mov_b32 s24, 0x623fde64
	s_mov_b32 s25, 0x3ec71dee
	v_cmp_nlt_f64_e32 vcc_lo, 0x40900000, v[8:9]
	v_fma_f64 v[150:151], v[148:149], v[150:151], s[24:25]
	s_mov_b32 s24, 0x7c89e6b0
	s_mov_b32 s25, 0x3efa0199
	s_delay_alu instid0(VALU_DEP_1) | instid1(SALU_CYCLE_1)
	v_fma_f64 v[150:151], v[148:149], v[150:151], s[24:25]
	s_mov_b32 s24, 0x14761f6e
	s_mov_b32 s25, 0x3f2a01a0
	s_delay_alu instid0(VALU_DEP_1) | instid1(SALU_CYCLE_1)
	;; [unrolled: 4-line block ×7, first 2 shown]
	v_fma_f64 v[150:151], v[148:149], v[150:151], s[24:25]
	s_mov_b32 s25, 0x3fe55555
	s_mov_b32 s24, 0x55555555
	s_delay_alu instid0(VALU_DEP_1) | instskip(NEXT) | instid1(VALU_DEP_1)
	v_fma_f64 v[150:151], v[148:149], v[150:151], 1.0
	v_fma_f64 v[144:145], v[148:149], v[150:151], 1.0
	s_delay_alu instid0(VALU_DEP_1) | instskip(NEXT) | instid1(VALU_DEP_1)
	v_ldexp_f64 v[144:145], v[144:145], v160
	v_cndmask_b32_e32 v145, 0x7ff00000, v145, vcc_lo
	s_and_b32 vcc_lo, s19, vcc_lo
	s_delay_alu instid0(VALU_DEP_1) | instskip(NEXT) | instid1(VALU_DEP_3)
	v_cndmask_b32_e64 v9, 0, v145, s19
	v_cndmask_b32_e32 v8, 0, v144, vcc_lo
	s_delay_alu instid0(VALU_DEP_1) | instskip(NEXT) | instid1(VALU_DEP_1)
	v_add_f64 v[144:145], v[8:9], 1.0
	v_frexp_mant_f64_e32 v[148:149], v[144:145]
	v_frexp_exp_i32_f64_e32 v160, v[144:145]
	v_add_f64 v[150:151], v[144:145], -1.0
	s_delay_alu instid0(VALU_DEP_3) | instskip(SKIP_1) | instid1(VALU_DEP_2)
	v_cmp_gt_f64_e32 vcc_lo, s[24:25], v[148:149]
	s_mov_b32 s24, 0x55555780
	v_add_f64 v[148:149], v[150:151], -v[144:145]
	v_add_f64 v[150:151], v[8:9], -v[150:151]
	v_subrev_co_ci_u32_e32 v215, vcc_lo, 0, v160, vcc_lo
	s_delay_alu instid0(VALU_DEP_3) | instskip(SKIP_2) | instid1(VALU_DEP_2)
	v_add_f64 v[148:149], v[148:149], 1.0
	s_mov_b32 vcc_lo, 0x6b47b09a
	s_mov_b32 vcc_hi, 0x3fc38538
	v_sub_nc_u32_e32 v162, 0, v215
	s_delay_alu instid0(VALU_DEP_1) | instskip(NEXT) | instid1(VALU_DEP_3)
	v_ldexp_f64 v[144:145], v[144:145], v162
	v_add_f64 v[148:149], v[150:151], v[148:149]
	s_delay_alu instid0(VALU_DEP_2) | instskip(SKIP_1) | instid1(VALU_DEP_3)
	v_add_f64 v[160:161], v[144:145], 1.0
	v_add_f64 v[166:167], v[144:145], -1.0
	v_ldexp_f64 v[148:149], v[148:149], v162
	s_delay_alu instid0(VALU_DEP_3) | instskip(NEXT) | instid1(VALU_DEP_3)
	v_add_f64 v[150:151], v[160:161], -1.0
	v_add_f64 v[176:177], v[166:167], 1.0
	s_delay_alu instid0(VALU_DEP_2) | instskip(NEXT) | instid1(VALU_DEP_2)
	v_add_f64 v[150:151], v[144:145], -v[150:151]
	v_add_f64 v[144:145], v[144:145], -v[176:177]
	s_delay_alu instid0(VALU_DEP_2) | instskip(NEXT) | instid1(VALU_DEP_2)
	v_add_f64 v[150:151], v[148:149], v[150:151]
	v_add_f64 v[144:145], v[148:149], v[144:145]
	s_delay_alu instid0(VALU_DEP_2) | instskip(NEXT) | instid1(VALU_DEP_2)
	v_add_f64 v[162:163], v[160:161], v[150:151]
	v_add_f64 v[176:177], v[166:167], v[144:145]
	s_delay_alu instid0(VALU_DEP_2) | instskip(SKIP_1) | instid1(VALU_DEP_2)
	v_rcp_f64_e32 v[164:165], v[162:163]
	v_add_f64 v[160:161], v[162:163], -v[160:161]
	v_add_f64 v[166:167], v[176:177], -v[166:167]
	s_delay_alu instid0(VALU_DEP_2) | instskip(SKIP_3) | instid1(VALU_DEP_2)
	v_add_f64 v[150:151], v[150:151], -v[160:161]
	s_waitcnt_depctr 0xfff
	v_fma_f64 v[213:214], -v[162:163], v[164:165], 1.0
	v_add_f64 v[144:145], v[144:145], -v[166:167]
	v_fma_f64 v[164:165], v[213:214], v[164:165], v[164:165]
	s_delay_alu instid0(VALU_DEP_1) | instskip(NEXT) | instid1(VALU_DEP_1)
	v_fma_f64 v[148:149], -v[162:163], v[164:165], 1.0
	v_fma_f64 v[148:149], v[148:149], v[164:165], v[164:165]
	s_delay_alu instid0(VALU_DEP_1) | instskip(NEXT) | instid1(VALU_DEP_1)
	v_mul_f64 v[164:165], v[176:177], v[148:149]
	v_mul_f64 v[213:214], v[162:163], v[164:165]
	s_delay_alu instid0(VALU_DEP_1) | instskip(NEXT) | instid1(VALU_DEP_1)
	v_fma_f64 v[160:161], v[164:165], v[162:163], -v[213:214]
	v_fma_f64 v[160:161], v[164:165], v[150:151], v[160:161]
	s_delay_alu instid0(VALU_DEP_1) | instskip(NEXT) | instid1(VALU_DEP_1)
	v_add_f64 v[224:225], v[213:214], v[160:161]
	v_add_f64 v[226:227], v[176:177], -v[224:225]
	v_add_f64 v[166:167], v[224:225], -v[213:214]
	s_delay_alu instid0(VALU_DEP_2) | instskip(NEXT) | instid1(VALU_DEP_2)
	v_add_f64 v[176:177], v[176:177], -v[226:227]
	v_add_f64 v[160:161], v[166:167], -v[160:161]
	s_delay_alu instid0(VALU_DEP_2) | instskip(NEXT) | instid1(VALU_DEP_1)
	v_add_f64 v[176:177], v[176:177], -v[224:225]
	v_add_f64 v[144:145], v[144:145], v[176:177]
	s_delay_alu instid0(VALU_DEP_1) | instskip(NEXT) | instid1(VALU_DEP_1)
	v_add_f64 v[144:145], v[160:161], v[144:145]
	v_add_f64 v[160:161], v[226:227], v[144:145]
	s_delay_alu instid0(VALU_DEP_1) | instskip(SKIP_1) | instid1(VALU_DEP_2)
	v_mul_f64 v[166:167], v[148:149], v[160:161]
	v_add_f64 v[224:225], v[226:227], -v[160:161]
	v_mul_f64 v[176:177], v[162:163], v[166:167]
	s_delay_alu instid0(VALU_DEP_2) | instskip(NEXT) | instid1(VALU_DEP_2)
	v_add_f64 v[144:145], v[144:145], v[224:225]
	v_fma_f64 v[162:163], v[166:167], v[162:163], -v[176:177]
	s_delay_alu instid0(VALU_DEP_1) | instskip(NEXT) | instid1(VALU_DEP_1)
	v_fma_f64 v[150:151], v[166:167], v[150:151], v[162:163]
	v_add_f64 v[162:163], v[176:177], v[150:151]
	s_delay_alu instid0(VALU_DEP_1) | instskip(SKIP_1) | instid1(VALU_DEP_2)
	v_add_f64 v[213:214], v[160:161], -v[162:163]
	v_add_f64 v[176:177], v[162:163], -v[176:177]
	;; [unrolled: 1-line block ×3, first 2 shown]
	s_delay_alu instid0(VALU_DEP_2) | instskip(NEXT) | instid1(VALU_DEP_2)
	v_add_f64 v[150:151], v[176:177], -v[150:151]
	v_add_f64 v[160:161], v[160:161], -v[162:163]
	s_delay_alu instid0(VALU_DEP_1) | instskip(SKIP_1) | instid1(VALU_DEP_2)
	v_add_f64 v[144:145], v[144:145], v[160:161]
	v_add_f64 v[160:161], v[164:165], v[166:167]
	;; [unrolled: 1-line block ×3, first 2 shown]
	s_delay_alu instid0(VALU_DEP_2) | instskip(NEXT) | instid1(VALU_DEP_2)
	v_add_f64 v[150:151], v[160:161], -v[164:165]
	v_add_f64 v[144:145], v[213:214], v[144:145]
	s_delay_alu instid0(VALU_DEP_2) | instskip(NEXT) | instid1(VALU_DEP_2)
	v_add_f64 v[150:151], v[166:167], -v[150:151]
	v_mul_f64 v[144:145], v[148:149], v[144:145]
	s_delay_alu instid0(VALU_DEP_1) | instskip(NEXT) | instid1(VALU_DEP_1)
	v_add_f64 v[144:145], v[150:151], v[144:145]
	v_add_f64 v[148:149], v[160:161], v[144:145]
	s_delay_alu instid0(VALU_DEP_1) | instskip(NEXT) | instid1(VALU_DEP_1)
	v_mul_f64 v[150:151], v[148:149], v[148:149]
	v_fma_f64 v[162:163], v[150:151], s[30:31], vcc
	s_mov_b32 vcc_lo, 0xd7f4df2e
	s_mov_b32 vcc_hi, 0x3fc7474d
	v_mul_f64 v[164:165], v[148:149], v[150:151]
	s_delay_alu instid0(VALU_DEP_2)
	v_fma_f64 v[162:163], v[150:151], v[162:163], vcc
	s_mov_b32 vcc_lo, 0x16291751
	s_mov_b32 vcc_hi, 0x3fcc71c0
	s_delay_alu instid0(VALU_DEP_1) | instid1(SALU_CYCLE_1)
	v_fma_f64 v[162:163], v[150:151], v[162:163], vcc
	s_mov_b32 vcc_lo, 0x9b27acf1
	s_mov_b32 vcc_hi, 0x3fd24924
	s_delay_alu instid0(VALU_DEP_1) | instid1(SALU_CYCLE_1)
	;; [unrolled: 4-line block ×3, first 2 shown]
	v_fma_f64 v[162:163], v[150:151], v[162:163], vcc
	v_cmp_eq_f64_e32 vcc_lo, 0x7ff00000, v[8:9]
	s_delay_alu instid0(VALU_DEP_2) | instskip(SKIP_2) | instid1(VALU_DEP_3)
	v_fma_f64 v[150:151], v[150:151], v[162:163], s[24:25]
	v_ldexp_f64 v[162:163], v[148:149], 1
	v_add_f64 v[148:149], v[148:149], -v[160:161]
	v_mul_f64 v[150:151], v[164:165], v[150:151]
	v_cvt_f64_i32_e32 v[164:165], v215
	s_delay_alu instid0(VALU_DEP_3) | instskip(NEXT) | instid1(VALU_DEP_3)
	v_add_f64 v[144:145], v[144:145], -v[148:149]
	v_add_f64 v[160:161], v[162:163], v[150:151]
	s_delay_alu instid0(VALU_DEP_3) | instskip(NEXT) | instid1(VALU_DEP_3)
	v_mul_f64 v[166:167], v[164:165], s[20:21]
	v_ldexp_f64 v[144:145], v[144:145], 1
	s_delay_alu instid0(VALU_DEP_3) | instskip(NEXT) | instid1(VALU_DEP_3)
	v_add_f64 v[148:149], v[160:161], -v[162:163]
	v_fma_f64 v[162:163], v[164:165], s[20:21], -v[166:167]
	s_delay_alu instid0(VALU_DEP_2) | instskip(NEXT) | instid1(VALU_DEP_2)
	v_add_f64 v[148:149], v[150:151], -v[148:149]
	v_fma_f64 v[150:151], v[164:165], s[22:23], v[162:163]
	s_delay_alu instid0(VALU_DEP_2) | instskip(NEXT) | instid1(VALU_DEP_2)
	v_add_f64 v[144:145], v[144:145], v[148:149]
	v_add_f64 v[148:149], v[166:167], v[150:151]
	s_delay_alu instid0(VALU_DEP_2) | instskip(NEXT) | instid1(VALU_DEP_2)
	v_add_f64 v[162:163], v[160:161], v[144:145]
	v_add_f64 v[166:167], v[148:149], -v[166:167]
	s_delay_alu instid0(VALU_DEP_2) | instskip(SKIP_1) | instid1(VALU_DEP_3)
	v_add_f64 v[164:165], v[148:149], v[162:163]
	v_add_f64 v[160:161], v[162:163], -v[160:161]
	v_add_f64 v[150:151], v[150:151], -v[166:167]
	s_delay_alu instid0(VALU_DEP_3) | instskip(NEXT) | instid1(VALU_DEP_3)
	v_add_f64 v[176:177], v[164:165], -v[148:149]
	v_add_f64 v[144:145], v[144:145], -v[160:161]
	s_delay_alu instid0(VALU_DEP_2) | instskip(SKIP_1) | instid1(VALU_DEP_3)
	v_add_f64 v[213:214], v[164:165], -v[176:177]
	v_add_f64 v[160:161], v[162:163], -v[176:177]
	v_add_f64 v[162:163], v[150:151], v[144:145]
	s_delay_alu instid0(VALU_DEP_3) | instskip(NEXT) | instid1(VALU_DEP_1)
	v_add_f64 v[148:149], v[148:149], -v[213:214]
	v_add_f64 v[148:149], v[160:161], v[148:149]
	s_delay_alu instid0(VALU_DEP_3) | instskip(NEXT) | instid1(VALU_DEP_2)
	v_add_f64 v[160:161], v[162:163], -v[150:151]
	v_add_f64 v[148:149], v[162:163], v[148:149]
	s_delay_alu instid0(VALU_DEP_2) | instskip(SKIP_1) | instid1(VALU_DEP_3)
	v_add_f64 v[162:163], v[162:163], -v[160:161]
	v_add_f64 v[144:145], v[144:145], -v[160:161]
	v_add_f64 v[166:167], v[164:165], v[148:149]
	s_delay_alu instid0(VALU_DEP_3) | instskip(NEXT) | instid1(VALU_DEP_2)
	v_add_f64 v[150:151], v[150:151], -v[162:163]
	v_add_f64 v[160:161], v[166:167], -v[164:165]
	s_delay_alu instid0(VALU_DEP_2) | instskip(NEXT) | instid1(VALU_DEP_2)
	v_add_f64 v[144:145], v[144:145], v[150:151]
	v_add_f64 v[148:149], v[148:149], -v[160:161]
	s_delay_alu instid0(VALU_DEP_1) | instskip(NEXT) | instid1(VALU_DEP_1)
	v_add_f64 v[144:145], v[144:145], v[148:149]
	v_add_f64 v[144:145], v[166:167], v[144:145]
	s_delay_alu instid0(VALU_DEP_1) | instskip(SKIP_1) | instid1(VALU_DEP_2)
	v_dual_cndmask_b32 v145, v145, v9 :: v_dual_cndmask_b32 v144, v144, v8
	v_cmp_ngt_f64_e32 vcc_lo, -1.0, v[8:9]
	v_cndmask_b32_e32 v145, 0x7ff80000, v145, vcc_lo
	v_cmp_nge_f64_e32 vcc_lo, -1.0, v[8:9]
	s_delay_alu instid0(VALU_DEP_4) | instskip(SKIP_1) | instid1(VALU_DEP_4)
	v_cndmask_b32_e32 v144, 0, v144, vcc_lo
	v_cmp_neq_f64_e32 vcc_lo, -1.0, v[8:9]
	v_cndmask_b32_e32 v145, 0xfff00000, v145, vcc_lo
	s_delay_alu instid0(VALU_DEP_1)
	v_add_f64 v[8:9], v[6:7], v[144:145]
.LBB76_84:
	s_or_b32 exec_lo, exec_lo, s28
	s_delay_alu instid0(VALU_DEP_1)
	v_dual_mov_b32 v144, v8 :: v_dual_mov_b32 v145, v9
	v_dual_mov_b32 v6, v8 :: v_dual_mov_b32 v7, v9
.LBB76_85:
	s_or_b32 exec_lo, exec_lo, s27
	s_delay_alu instid0(VALU_DEP_2) | instskip(NEXT) | instid1(VALU_DEP_3)
	v_mov_b32_dpp v8, v144 row_shr:4 row_mask:0xf bank_mask:0xf
	v_mov_b32_dpp v9, v145 row_shr:4 row_mask:0xf bank_mask:0xf
	s_mov_b32 s27, exec_lo
	v_cmpx_lt_u32_e32 3, v147
	s_cbranch_execz .LBB76_89
; %bb.86:
	s_delay_alu instid0(VALU_DEP_2) | instskip(SKIP_3) | instid1(VALU_DEP_3)
	v_max_f64 v[144:145], v[8:9], v[8:9]
	v_max_f64 v[147:148], v[6:7], v[6:7]
	v_cmp_u_f64_e32 vcc_lo, v[8:9], v[8:9]
	v_cmp_u_f64_e64 s19, v[6:7], v[6:7]
	v_min_f64 v[149:150], v[144:145], v[147:148]
	v_max_f64 v[144:145], v[144:145], v[147:148]
	s_delay_alu instid0(VALU_DEP_2) | instskip(NEXT) | instid1(VALU_DEP_2)
	v_dual_cndmask_b32 v147, v149, v8 :: v_dual_cndmask_b32 v148, v150, v9
	v_dual_cndmask_b32 v149, v145, v9 :: v_dual_cndmask_b32 v150, v144, v8
	s_delay_alu instid0(VALU_DEP_2) | instskip(NEXT) | instid1(VALU_DEP_3)
	v_cndmask_b32_e64 v144, v147, v6, s19
	v_cndmask_b32_e64 v145, v148, v7, s19
	s_delay_alu instid0(VALU_DEP_3) | instskip(NEXT) | instid1(VALU_DEP_4)
	v_cndmask_b32_e64 v7, v149, v7, s19
	v_cndmask_b32_e64 v6, v150, v6, s19
	s_delay_alu instid0(VALU_DEP_3) | instskip(NEXT) | instid1(VALU_DEP_2)
	v_cmp_class_f64_e64 s19, v[144:145], 0x1f8
	v_cmp_neq_f64_e32 vcc_lo, v[144:145], v[6:7]
	s_delay_alu instid0(VALU_DEP_2) | instskip(NEXT) | instid1(SALU_CYCLE_1)
	s_or_b32 s19, vcc_lo, s19
	s_and_saveexec_b32 s28, s19
	s_cbranch_execz .LBB76_88
; %bb.87:
	v_add_f64 v[8:9], v[144:145], -v[6:7]
	s_mov_b32 s20, 0x652b82fe
	s_mov_b32 s21, 0x3ff71547
	;; [unrolled: 1-line block ×5, first 2 shown]
	s_mov_b32 vcc_lo, 0x6a5dcb37
	s_mov_b32 s25, 0x3e928af3
	s_mov_b32 vcc_hi, 0x3e5ade15
	s_mov_b32 s30, 0xbf559e2b
	s_mov_b32 s31, 0x3fc3ab76
	s_delay_alu instid0(VALU_DEP_1) | instskip(SKIP_3) | instid1(VALU_DEP_2)
	v_mul_f64 v[144:145], v[8:9], s[20:21]
	s_mov_b32 s21, 0xbfe62e42
	s_mov_b32 s20, 0xfefa39ef
	v_cmp_ngt_f64_e64 s19, 0xc090cc00, v[8:9]
	v_rndne_f64_e32 v[144:145], v[144:145]
	s_delay_alu instid0(VALU_DEP_1) | instskip(SKIP_2) | instid1(VALU_DEP_2)
	v_fma_f64 v[147:148], v[144:145], s[20:21], v[8:9]
	v_cvt_i32_f64_e32 v151, v[144:145]
	s_mov_b32 s21, 0x3fe62e42
	v_fma_f64 v[147:148], v[144:145], s[22:23], v[147:148]
	s_mov_b32 s23, 0x3c7abc9e
	s_delay_alu instid0(VALU_DEP_1) | instskip(SKIP_3) | instid1(VALU_DEP_2)
	v_fma_f64 v[149:150], v[147:148], vcc, s[24:25]
	s_mov_b32 s24, 0x623fde64
	s_mov_b32 s25, 0x3ec71dee
	v_cmp_nlt_f64_e32 vcc_lo, 0x40900000, v[8:9]
	v_fma_f64 v[149:150], v[147:148], v[149:150], s[24:25]
	s_mov_b32 s24, 0x7c89e6b0
	s_mov_b32 s25, 0x3efa0199
	s_delay_alu instid0(VALU_DEP_1) | instid1(SALU_CYCLE_1)
	v_fma_f64 v[149:150], v[147:148], v[149:150], s[24:25]
	s_mov_b32 s24, 0x14761f6e
	s_mov_b32 s25, 0x3f2a01a0
	s_delay_alu instid0(VALU_DEP_1) | instid1(SALU_CYCLE_1)
	v_fma_f64 v[149:150], v[147:148], v[149:150], s[24:25]
	s_mov_b32 s24, 0x1852b7b0
	s_mov_b32 s25, 0x3f56c16c
	s_delay_alu instid0(VALU_DEP_1) | instid1(SALU_CYCLE_1)
	v_fma_f64 v[149:150], v[147:148], v[149:150], s[24:25]
	s_mov_b32 s24, 0x11122322
	s_mov_b32 s25, 0x3f811111
	s_delay_alu instid0(VALU_DEP_1) | instid1(SALU_CYCLE_1)
	v_fma_f64 v[149:150], v[147:148], v[149:150], s[24:25]
	s_mov_b32 s24, 0x555502a1
	s_mov_b32 s25, 0x3fa55555
	s_delay_alu instid0(VALU_DEP_1) | instid1(SALU_CYCLE_1)
	v_fma_f64 v[149:150], v[147:148], v[149:150], s[24:25]
	s_mov_b32 s24, 0x55555511
	s_mov_b32 s25, 0x3fc55555
	s_delay_alu instid0(VALU_DEP_1) | instid1(SALU_CYCLE_1)
	v_fma_f64 v[149:150], v[147:148], v[149:150], s[24:25]
	s_mov_b32 s24, 11
	s_mov_b32 s25, 0x3fe00000
	s_delay_alu instid0(VALU_DEP_1) | instid1(SALU_CYCLE_1)
	v_fma_f64 v[149:150], v[147:148], v[149:150], s[24:25]
	s_mov_b32 s25, 0x3fe55555
	s_mov_b32 s24, 0x55555555
	s_delay_alu instid0(VALU_DEP_1) | instskip(NEXT) | instid1(VALU_DEP_1)
	v_fma_f64 v[149:150], v[147:148], v[149:150], 1.0
	v_fma_f64 v[144:145], v[147:148], v[149:150], 1.0
	s_delay_alu instid0(VALU_DEP_1) | instskip(NEXT) | instid1(VALU_DEP_1)
	v_ldexp_f64 v[144:145], v[144:145], v151
	v_cndmask_b32_e32 v145, 0x7ff00000, v145, vcc_lo
	s_and_b32 vcc_lo, s19, vcc_lo
	s_delay_alu instid0(VALU_DEP_1) | instskip(NEXT) | instid1(VALU_DEP_3)
	v_cndmask_b32_e64 v9, 0, v145, s19
	v_cndmask_b32_e32 v8, 0, v144, vcc_lo
	s_delay_alu instid0(VALU_DEP_1) | instskip(NEXT) | instid1(VALU_DEP_1)
	v_add_f64 v[144:145], v[8:9], 1.0
	v_frexp_mant_f64_e32 v[147:148], v[144:145]
	v_frexp_exp_i32_f64_e32 v151, v[144:145]
	v_add_f64 v[149:150], v[144:145], -1.0
	s_delay_alu instid0(VALU_DEP_3) | instskip(SKIP_1) | instid1(VALU_DEP_2)
	v_cmp_gt_f64_e32 vcc_lo, s[24:25], v[147:148]
	s_mov_b32 s24, 0x55555780
	v_add_f64 v[147:148], v[149:150], -v[144:145]
	v_add_f64 v[149:150], v[8:9], -v[149:150]
	v_subrev_co_ci_u32_e32 v151, vcc_lo, 0, v151, vcc_lo
	s_delay_alu instid0(VALU_DEP_3) | instskip(SKIP_2) | instid1(VALU_DEP_2)
	v_add_f64 v[147:148], v[147:148], 1.0
	s_mov_b32 vcc_lo, 0x6b47b09a
	s_mov_b32 vcc_hi, 0x3fc38538
	v_sub_nc_u32_e32 v162, 0, v151
	s_delay_alu instid0(VALU_DEP_1) | instskip(NEXT) | instid1(VALU_DEP_3)
	v_ldexp_f64 v[144:145], v[144:145], v162
	v_add_f64 v[147:148], v[149:150], v[147:148]
	s_delay_alu instid0(VALU_DEP_2) | instskip(SKIP_1) | instid1(VALU_DEP_3)
	v_add_f64 v[160:161], v[144:145], 1.0
	v_add_f64 v[166:167], v[144:145], -1.0
	v_ldexp_f64 v[147:148], v[147:148], v162
	s_delay_alu instid0(VALU_DEP_3) | instskip(NEXT) | instid1(VALU_DEP_3)
	v_add_f64 v[149:150], v[160:161], -1.0
	v_add_f64 v[176:177], v[166:167], 1.0
	s_delay_alu instid0(VALU_DEP_2) | instskip(NEXT) | instid1(VALU_DEP_2)
	v_add_f64 v[149:150], v[144:145], -v[149:150]
	v_add_f64 v[144:145], v[144:145], -v[176:177]
	s_delay_alu instid0(VALU_DEP_2) | instskip(NEXT) | instid1(VALU_DEP_2)
	v_add_f64 v[149:150], v[147:148], v[149:150]
	v_add_f64 v[144:145], v[147:148], v[144:145]
	s_delay_alu instid0(VALU_DEP_2) | instskip(NEXT) | instid1(VALU_DEP_2)
	v_add_f64 v[162:163], v[160:161], v[149:150]
	v_add_f64 v[176:177], v[166:167], v[144:145]
	s_delay_alu instid0(VALU_DEP_2) | instskip(SKIP_1) | instid1(VALU_DEP_2)
	v_rcp_f64_e32 v[164:165], v[162:163]
	v_add_f64 v[160:161], v[162:163], -v[160:161]
	v_add_f64 v[166:167], v[176:177], -v[166:167]
	s_delay_alu instid0(VALU_DEP_2) | instskip(SKIP_3) | instid1(VALU_DEP_2)
	v_add_f64 v[149:150], v[149:150], -v[160:161]
	s_waitcnt_depctr 0xfff
	v_fma_f64 v[213:214], -v[162:163], v[164:165], 1.0
	v_add_f64 v[144:145], v[144:145], -v[166:167]
	v_fma_f64 v[164:165], v[213:214], v[164:165], v[164:165]
	s_delay_alu instid0(VALU_DEP_1) | instskip(NEXT) | instid1(VALU_DEP_1)
	v_fma_f64 v[147:148], -v[162:163], v[164:165], 1.0
	v_fma_f64 v[147:148], v[147:148], v[164:165], v[164:165]
	s_delay_alu instid0(VALU_DEP_1) | instskip(NEXT) | instid1(VALU_DEP_1)
	v_mul_f64 v[164:165], v[176:177], v[147:148]
	v_mul_f64 v[213:214], v[162:163], v[164:165]
	s_delay_alu instid0(VALU_DEP_1) | instskip(NEXT) | instid1(VALU_DEP_1)
	v_fma_f64 v[160:161], v[164:165], v[162:163], -v[213:214]
	v_fma_f64 v[160:161], v[164:165], v[149:150], v[160:161]
	s_delay_alu instid0(VALU_DEP_1) | instskip(NEXT) | instid1(VALU_DEP_1)
	v_add_f64 v[224:225], v[213:214], v[160:161]
	v_add_f64 v[226:227], v[176:177], -v[224:225]
	v_add_f64 v[166:167], v[224:225], -v[213:214]
	s_delay_alu instid0(VALU_DEP_2) | instskip(NEXT) | instid1(VALU_DEP_2)
	v_add_f64 v[176:177], v[176:177], -v[226:227]
	v_add_f64 v[160:161], v[166:167], -v[160:161]
	s_delay_alu instid0(VALU_DEP_2) | instskip(NEXT) | instid1(VALU_DEP_1)
	v_add_f64 v[176:177], v[176:177], -v[224:225]
	v_add_f64 v[144:145], v[144:145], v[176:177]
	s_delay_alu instid0(VALU_DEP_1) | instskip(NEXT) | instid1(VALU_DEP_1)
	v_add_f64 v[144:145], v[160:161], v[144:145]
	v_add_f64 v[160:161], v[226:227], v[144:145]
	s_delay_alu instid0(VALU_DEP_1) | instskip(SKIP_1) | instid1(VALU_DEP_2)
	v_mul_f64 v[166:167], v[147:148], v[160:161]
	v_add_f64 v[224:225], v[226:227], -v[160:161]
	v_mul_f64 v[176:177], v[162:163], v[166:167]
	s_delay_alu instid0(VALU_DEP_2) | instskip(NEXT) | instid1(VALU_DEP_2)
	v_add_f64 v[144:145], v[144:145], v[224:225]
	v_fma_f64 v[162:163], v[166:167], v[162:163], -v[176:177]
	s_delay_alu instid0(VALU_DEP_1) | instskip(NEXT) | instid1(VALU_DEP_1)
	v_fma_f64 v[149:150], v[166:167], v[149:150], v[162:163]
	v_add_f64 v[162:163], v[176:177], v[149:150]
	s_delay_alu instid0(VALU_DEP_1) | instskip(SKIP_1) | instid1(VALU_DEP_2)
	v_add_f64 v[213:214], v[160:161], -v[162:163]
	v_add_f64 v[176:177], v[162:163], -v[176:177]
	;; [unrolled: 1-line block ×3, first 2 shown]
	s_delay_alu instid0(VALU_DEP_2) | instskip(NEXT) | instid1(VALU_DEP_2)
	v_add_f64 v[149:150], v[176:177], -v[149:150]
	v_add_f64 v[160:161], v[160:161], -v[162:163]
	s_delay_alu instid0(VALU_DEP_1) | instskip(SKIP_1) | instid1(VALU_DEP_2)
	v_add_f64 v[144:145], v[144:145], v[160:161]
	v_add_f64 v[160:161], v[164:165], v[166:167]
	;; [unrolled: 1-line block ×3, first 2 shown]
	s_delay_alu instid0(VALU_DEP_2) | instskip(NEXT) | instid1(VALU_DEP_2)
	v_add_f64 v[149:150], v[160:161], -v[164:165]
	v_add_f64 v[144:145], v[213:214], v[144:145]
	s_delay_alu instid0(VALU_DEP_2) | instskip(NEXT) | instid1(VALU_DEP_2)
	v_add_f64 v[149:150], v[166:167], -v[149:150]
	v_mul_f64 v[144:145], v[147:148], v[144:145]
	s_delay_alu instid0(VALU_DEP_1) | instskip(NEXT) | instid1(VALU_DEP_1)
	v_add_f64 v[144:145], v[149:150], v[144:145]
	v_add_f64 v[147:148], v[160:161], v[144:145]
	s_delay_alu instid0(VALU_DEP_1) | instskip(NEXT) | instid1(VALU_DEP_1)
	v_mul_f64 v[149:150], v[147:148], v[147:148]
	v_fma_f64 v[162:163], v[149:150], s[30:31], vcc
	s_mov_b32 vcc_lo, 0xd7f4df2e
	s_mov_b32 vcc_hi, 0x3fc7474d
	v_mul_f64 v[164:165], v[147:148], v[149:150]
	s_delay_alu instid0(VALU_DEP_2)
	v_fma_f64 v[162:163], v[149:150], v[162:163], vcc
	s_mov_b32 vcc_lo, 0x16291751
	s_mov_b32 vcc_hi, 0x3fcc71c0
	s_delay_alu instid0(VALU_DEP_1) | instid1(SALU_CYCLE_1)
	v_fma_f64 v[162:163], v[149:150], v[162:163], vcc
	s_mov_b32 vcc_lo, 0x9b27acf1
	s_mov_b32 vcc_hi, 0x3fd24924
	s_delay_alu instid0(VALU_DEP_1) | instid1(SALU_CYCLE_1)
	;; [unrolled: 4-line block ×3, first 2 shown]
	v_fma_f64 v[162:163], v[149:150], v[162:163], vcc
	v_cmp_eq_f64_e32 vcc_lo, 0x7ff00000, v[8:9]
	s_delay_alu instid0(VALU_DEP_2) | instskip(SKIP_2) | instid1(VALU_DEP_3)
	v_fma_f64 v[149:150], v[149:150], v[162:163], s[24:25]
	v_ldexp_f64 v[162:163], v[147:148], 1
	v_add_f64 v[147:148], v[147:148], -v[160:161]
	v_mul_f64 v[149:150], v[164:165], v[149:150]
	v_cvt_f64_i32_e32 v[164:165], v151
	s_delay_alu instid0(VALU_DEP_3) | instskip(NEXT) | instid1(VALU_DEP_3)
	v_add_f64 v[144:145], v[144:145], -v[147:148]
	v_add_f64 v[160:161], v[162:163], v[149:150]
	s_delay_alu instid0(VALU_DEP_3) | instskip(NEXT) | instid1(VALU_DEP_3)
	v_mul_f64 v[166:167], v[164:165], s[20:21]
	v_ldexp_f64 v[144:145], v[144:145], 1
	s_delay_alu instid0(VALU_DEP_3) | instskip(NEXT) | instid1(VALU_DEP_3)
	v_add_f64 v[147:148], v[160:161], -v[162:163]
	v_fma_f64 v[162:163], v[164:165], s[20:21], -v[166:167]
	s_delay_alu instid0(VALU_DEP_2) | instskip(NEXT) | instid1(VALU_DEP_2)
	v_add_f64 v[147:148], v[149:150], -v[147:148]
	v_fma_f64 v[149:150], v[164:165], s[22:23], v[162:163]
	s_delay_alu instid0(VALU_DEP_2) | instskip(NEXT) | instid1(VALU_DEP_2)
	v_add_f64 v[144:145], v[144:145], v[147:148]
	v_add_f64 v[147:148], v[166:167], v[149:150]
	s_delay_alu instid0(VALU_DEP_2) | instskip(NEXT) | instid1(VALU_DEP_2)
	v_add_f64 v[162:163], v[160:161], v[144:145]
	v_add_f64 v[166:167], v[147:148], -v[166:167]
	s_delay_alu instid0(VALU_DEP_2) | instskip(SKIP_1) | instid1(VALU_DEP_3)
	v_add_f64 v[164:165], v[147:148], v[162:163]
	v_add_f64 v[160:161], v[162:163], -v[160:161]
	v_add_f64 v[149:150], v[149:150], -v[166:167]
	s_delay_alu instid0(VALU_DEP_3) | instskip(NEXT) | instid1(VALU_DEP_3)
	v_add_f64 v[176:177], v[164:165], -v[147:148]
	v_add_f64 v[144:145], v[144:145], -v[160:161]
	s_delay_alu instid0(VALU_DEP_2) | instskip(SKIP_1) | instid1(VALU_DEP_3)
	v_add_f64 v[213:214], v[164:165], -v[176:177]
	v_add_f64 v[160:161], v[162:163], -v[176:177]
	v_add_f64 v[162:163], v[149:150], v[144:145]
	s_delay_alu instid0(VALU_DEP_3) | instskip(NEXT) | instid1(VALU_DEP_1)
	v_add_f64 v[147:148], v[147:148], -v[213:214]
	v_add_f64 v[147:148], v[160:161], v[147:148]
	s_delay_alu instid0(VALU_DEP_3) | instskip(NEXT) | instid1(VALU_DEP_2)
	v_add_f64 v[160:161], v[162:163], -v[149:150]
	v_add_f64 v[147:148], v[162:163], v[147:148]
	s_delay_alu instid0(VALU_DEP_2) | instskip(SKIP_1) | instid1(VALU_DEP_3)
	v_add_f64 v[162:163], v[162:163], -v[160:161]
	v_add_f64 v[144:145], v[144:145], -v[160:161]
	v_add_f64 v[166:167], v[164:165], v[147:148]
	s_delay_alu instid0(VALU_DEP_3) | instskip(NEXT) | instid1(VALU_DEP_2)
	v_add_f64 v[149:150], v[149:150], -v[162:163]
	v_add_f64 v[160:161], v[166:167], -v[164:165]
	s_delay_alu instid0(VALU_DEP_2) | instskip(NEXT) | instid1(VALU_DEP_2)
	v_add_f64 v[144:145], v[144:145], v[149:150]
	v_add_f64 v[147:148], v[147:148], -v[160:161]
	s_delay_alu instid0(VALU_DEP_1) | instskip(NEXT) | instid1(VALU_DEP_1)
	v_add_f64 v[144:145], v[144:145], v[147:148]
	v_add_f64 v[144:145], v[166:167], v[144:145]
	s_delay_alu instid0(VALU_DEP_1) | instskip(SKIP_1) | instid1(VALU_DEP_2)
	v_dual_cndmask_b32 v145, v145, v9 :: v_dual_cndmask_b32 v144, v144, v8
	v_cmp_ngt_f64_e32 vcc_lo, -1.0, v[8:9]
	v_cndmask_b32_e32 v145, 0x7ff80000, v145, vcc_lo
	v_cmp_nge_f64_e32 vcc_lo, -1.0, v[8:9]
	s_delay_alu instid0(VALU_DEP_4) | instskip(SKIP_1) | instid1(VALU_DEP_4)
	v_cndmask_b32_e32 v144, 0, v144, vcc_lo
	v_cmp_neq_f64_e32 vcc_lo, -1.0, v[8:9]
	v_cndmask_b32_e32 v145, 0xfff00000, v145, vcc_lo
	s_delay_alu instid0(VALU_DEP_1)
	v_add_f64 v[8:9], v[6:7], v[144:145]
.LBB76_88:
	s_or_b32 exec_lo, exec_lo, s28
	s_delay_alu instid0(VALU_DEP_1)
	v_dual_mov_b32 v6, v8 :: v_dual_mov_b32 v7, v9
.LBB76_89:
	s_or_b32 exec_lo, exec_lo, s27
	ds_store_b64 v198, v[6:7]
.LBB76_90:
	s_or_b32 exec_lo, exec_lo, s26
	v_cmp_gt_u32_e32 vcc_lo, 32, v128
	s_mov_b32 s26, exec_lo
	s_waitcnt lgkmcnt(0)
	s_barrier
	buffer_gl0_inv
                                        ; implicit-def: $vgpr144_vgpr145
	v_cmpx_lt_u32_e32 31, v128
	s_cbranch_execz .LBB76_94
; %bb.91:
	v_lshl_add_u32 v6, v146, 3, -8
	v_cmp_u_f64_e64 s20, v[4:5], v[4:5]
	ds_load_b64 v[144:145], v6
	v_max_f64 v[6:7], v[4:5], v[4:5]
	s_waitcnt lgkmcnt(0)
	v_max_f64 v[8:9], v[144:145], v[144:145]
	v_cmp_u_f64_e64 s19, v[144:145], v[144:145]
	s_delay_alu instid0(VALU_DEP_2) | instskip(SKIP_1) | instid1(VALU_DEP_2)
	v_min_f64 v[146:147], v[8:9], v[6:7]
	v_max_f64 v[6:7], v[8:9], v[6:7]
	v_cndmask_b32_e64 v8, v146, v144, s19
	s_delay_alu instid0(VALU_DEP_3) | instskip(NEXT) | instid1(VALU_DEP_3)
	v_cndmask_b32_e64 v9, v147, v145, s19
	v_cndmask_b32_e64 v7, v7, v145, s19
	s_delay_alu instid0(VALU_DEP_4) | instskip(NEXT) | instid1(VALU_DEP_4)
	v_cndmask_b32_e64 v6, v6, v144, s19
	v_cndmask_b32_e64 v8, v8, v4, s20
	s_delay_alu instid0(VALU_DEP_4) | instskip(NEXT) | instid1(VALU_DEP_4)
	v_cndmask_b32_e64 v9, v9, v5, s20
	v_cndmask_b32_e64 v7, v7, v5, s20
	s_delay_alu instid0(VALU_DEP_4) | instskip(SKIP_1) | instid1(VALU_DEP_4)
	v_cndmask_b32_e64 v6, v6, v4, s20
	v_dual_mov_b32 v4, v144 :: v_dual_mov_b32 v5, v145
	v_cmp_class_f64_e64 s20, v[8:9], 0x1f8
	s_delay_alu instid0(VALU_DEP_3) | instskip(NEXT) | instid1(VALU_DEP_1)
	v_cmp_neq_f64_e64 s19, v[8:9], v[6:7]
	s_or_b32 s19, s19, s20
	s_delay_alu instid0(SALU_CYCLE_1)
	s_and_saveexec_b32 s27, s19
	s_cbranch_execz .LBB76_93
; %bb.92:
	v_add_f64 v[4:5], v[8:9], -v[6:7]
	s_mov_b32 s20, 0x652b82fe
	s_mov_b32 s21, 0x3ff71547
	;; [unrolled: 1-line block ×10, first 2 shown]
	s_delay_alu instid0(VALU_DEP_1) | instskip(SKIP_3) | instid1(VALU_DEP_2)
	v_mul_f64 v[8:9], v[4:5], s[20:21]
	s_mov_b32 s20, 0xfca7ab0c
	s_mov_b32 s21, 0x3e928af3
	v_cmp_nlt_f64_e64 s19, 0x40900000, v[4:5]
	v_rndne_f64_e32 v[8:9], v[8:9]
	s_delay_alu instid0(VALU_DEP_1) | instskip(SKIP_2) | instid1(VALU_DEP_2)
	v_fma_f64 v[146:147], v[8:9], s[22:23], v[4:5]
	v_cvt_i32_f64_e32 v150, v[8:9]
	s_mov_b32 s23, 0x3fe62e42
	v_fma_f64 v[146:147], v[8:9], s[24:25], v[146:147]
	s_mov_b32 s25, 0x3c7abc9e
	s_delay_alu instid0(VALU_DEP_1) | instskip(SKIP_4) | instid1(VALU_DEP_1)
	v_fma_f64 v[148:149], v[146:147], s[28:29], s[20:21]
	s_mov_b32 s20, 0x623fde64
	s_mov_b32 s21, 0x3ec71dee
	;; [unrolled: 1-line block ×4, first 2 shown]
	v_fma_f64 v[148:149], v[146:147], v[148:149], s[20:21]
	s_mov_b32 s20, 0x7c89e6b0
	s_mov_b32 s21, 0x3efa0199
	s_delay_alu instid0(VALU_DEP_1) | instid1(SALU_CYCLE_1)
	v_fma_f64 v[148:149], v[146:147], v[148:149], s[20:21]
	s_mov_b32 s20, 0x14761f6e
	s_mov_b32 s21, 0x3f2a01a0
	s_delay_alu instid0(VALU_DEP_1) | instid1(SALU_CYCLE_1)
	;; [unrolled: 4-line block ×7, first 2 shown]
	v_fma_f64 v[148:149], v[146:147], v[148:149], s[20:21]
	v_cmp_ngt_f64_e64 s20, 0xc090cc00, v[4:5]
	s_mov_b32 s21, 0x3fe55555
	s_delay_alu instid0(VALU_DEP_2) | instskip(NEXT) | instid1(VALU_DEP_1)
	v_fma_f64 v[148:149], v[146:147], v[148:149], 1.0
	v_fma_f64 v[8:9], v[146:147], v[148:149], 1.0
	s_delay_alu instid0(VALU_DEP_1) | instskip(NEXT) | instid1(VALU_DEP_1)
	v_ldexp_f64 v[8:9], v[8:9], v150
	v_cndmask_b32_e64 v9, 0x7ff00000, v9, s19
	s_and_b32 s19, s20, s19
	s_delay_alu instid0(VALU_DEP_2) | instid1(SALU_CYCLE_1)
	v_cndmask_b32_e64 v4, 0, v8, s19
	s_delay_alu instid0(VALU_DEP_2) | instskip(SKIP_1) | instid1(VALU_DEP_1)
	v_cndmask_b32_e64 v5, 0, v9, s20
	s_mov_b32 s20, 0x55555555
	v_add_f64 v[8:9], v[4:5], 1.0
	s_delay_alu instid0(VALU_DEP_1) | instskip(SKIP_2) | instid1(VALU_DEP_3)
	v_frexp_mant_f64_e32 v[146:147], v[8:9]
	v_frexp_exp_i32_f64_e32 v150, v[8:9]
	v_add_f64 v[148:149], v[8:9], -1.0
	v_cmp_gt_f64_e64 s19, s[20:21], v[146:147]
	s_mov_b32 s20, 0x55555780
	s_delay_alu instid0(VALU_DEP_2) | instskip(SKIP_1) | instid1(VALU_DEP_3)
	v_add_f64 v[146:147], v[148:149], -v[8:9]
	v_add_f64 v[148:149], v[4:5], -v[148:149]
	v_subrev_co_ci_u32_e64 v215, s19, 0, v150, s19
	s_delay_alu instid0(VALU_DEP_3) | instskip(SKIP_1) | instid1(VALU_DEP_3)
	v_add_f64 v[146:147], v[146:147], 1.0
	v_cmp_eq_f64_e64 s19, 0x7ff00000, v[4:5]
	v_sub_nc_u32_e32 v160, 0, v215
	s_delay_alu instid0(VALU_DEP_1) | instskip(NEXT) | instid1(VALU_DEP_4)
	v_ldexp_f64 v[8:9], v[8:9], v160
	v_add_f64 v[146:147], v[148:149], v[146:147]
	s_delay_alu instid0(VALU_DEP_2) | instskip(SKIP_1) | instid1(VALU_DEP_3)
	v_add_f64 v[150:151], v[8:9], 1.0
	v_add_f64 v[164:165], v[8:9], -1.0
	v_ldexp_f64 v[146:147], v[146:147], v160
	s_delay_alu instid0(VALU_DEP_3) | instskip(NEXT) | instid1(VALU_DEP_3)
	v_add_f64 v[148:149], v[150:151], -1.0
	v_add_f64 v[166:167], v[164:165], 1.0
	s_delay_alu instid0(VALU_DEP_2) | instskip(NEXT) | instid1(VALU_DEP_2)
	v_add_f64 v[148:149], v[8:9], -v[148:149]
	v_add_f64 v[8:9], v[8:9], -v[166:167]
	s_delay_alu instid0(VALU_DEP_2) | instskip(NEXT) | instid1(VALU_DEP_2)
	v_add_f64 v[148:149], v[146:147], v[148:149]
	v_add_f64 v[8:9], v[146:147], v[8:9]
	s_delay_alu instid0(VALU_DEP_2) | instskip(NEXT) | instid1(VALU_DEP_2)
	v_add_f64 v[160:161], v[150:151], v[148:149]
	v_add_f64 v[166:167], v[164:165], v[8:9]
	s_delay_alu instid0(VALU_DEP_2) | instskip(SKIP_1) | instid1(VALU_DEP_2)
	v_rcp_f64_e32 v[162:163], v[160:161]
	v_add_f64 v[150:151], v[160:161], -v[150:151]
	v_add_f64 v[164:165], v[166:167], -v[164:165]
	s_delay_alu instid0(VALU_DEP_2) | instskip(SKIP_3) | instid1(VALU_DEP_2)
	v_add_f64 v[148:149], v[148:149], -v[150:151]
	s_waitcnt_depctr 0xfff
	v_fma_f64 v[176:177], -v[160:161], v[162:163], 1.0
	v_add_f64 v[8:9], v[8:9], -v[164:165]
	v_fma_f64 v[162:163], v[176:177], v[162:163], v[162:163]
	s_delay_alu instid0(VALU_DEP_1) | instskip(NEXT) | instid1(VALU_DEP_1)
	v_fma_f64 v[146:147], -v[160:161], v[162:163], 1.0
	v_fma_f64 v[146:147], v[146:147], v[162:163], v[162:163]
	s_delay_alu instid0(VALU_DEP_1) | instskip(NEXT) | instid1(VALU_DEP_1)
	v_mul_f64 v[162:163], v[166:167], v[146:147]
	v_mul_f64 v[176:177], v[160:161], v[162:163]
	s_delay_alu instid0(VALU_DEP_1) | instskip(NEXT) | instid1(VALU_DEP_1)
	v_fma_f64 v[150:151], v[162:163], v[160:161], -v[176:177]
	v_fma_f64 v[150:151], v[162:163], v[148:149], v[150:151]
	s_delay_alu instid0(VALU_DEP_1) | instskip(NEXT) | instid1(VALU_DEP_1)
	v_add_f64 v[213:214], v[176:177], v[150:151]
	v_add_f64 v[224:225], v[166:167], -v[213:214]
	v_add_f64 v[164:165], v[213:214], -v[176:177]
	s_delay_alu instid0(VALU_DEP_2) | instskip(NEXT) | instid1(VALU_DEP_2)
	v_add_f64 v[166:167], v[166:167], -v[224:225]
	v_add_f64 v[150:151], v[164:165], -v[150:151]
	s_delay_alu instid0(VALU_DEP_2) | instskip(NEXT) | instid1(VALU_DEP_1)
	v_add_f64 v[166:167], v[166:167], -v[213:214]
	v_add_f64 v[8:9], v[8:9], v[166:167]
	s_delay_alu instid0(VALU_DEP_1) | instskip(NEXT) | instid1(VALU_DEP_1)
	v_add_f64 v[8:9], v[150:151], v[8:9]
	v_add_f64 v[150:151], v[224:225], v[8:9]
	s_delay_alu instid0(VALU_DEP_1) | instskip(SKIP_1) | instid1(VALU_DEP_2)
	v_mul_f64 v[164:165], v[146:147], v[150:151]
	v_add_f64 v[213:214], v[224:225], -v[150:151]
	v_mul_f64 v[166:167], v[160:161], v[164:165]
	s_delay_alu instid0(VALU_DEP_2) | instskip(NEXT) | instid1(VALU_DEP_2)
	v_add_f64 v[8:9], v[8:9], v[213:214]
	v_fma_f64 v[160:161], v[164:165], v[160:161], -v[166:167]
	s_delay_alu instid0(VALU_DEP_1) | instskip(NEXT) | instid1(VALU_DEP_1)
	v_fma_f64 v[148:149], v[164:165], v[148:149], v[160:161]
	v_add_f64 v[160:161], v[166:167], v[148:149]
	s_delay_alu instid0(VALU_DEP_1) | instskip(SKIP_1) | instid1(VALU_DEP_2)
	v_add_f64 v[176:177], v[150:151], -v[160:161]
	v_add_f64 v[166:167], v[160:161], -v[166:167]
	;; [unrolled: 1-line block ×3, first 2 shown]
	s_delay_alu instid0(VALU_DEP_2) | instskip(NEXT) | instid1(VALU_DEP_2)
	v_add_f64 v[148:149], v[166:167], -v[148:149]
	v_add_f64 v[150:151], v[150:151], -v[160:161]
	s_delay_alu instid0(VALU_DEP_1) | instskip(SKIP_1) | instid1(VALU_DEP_2)
	v_add_f64 v[8:9], v[8:9], v[150:151]
	v_add_f64 v[150:151], v[162:163], v[164:165]
	;; [unrolled: 1-line block ×3, first 2 shown]
	s_delay_alu instid0(VALU_DEP_2) | instskip(NEXT) | instid1(VALU_DEP_2)
	v_add_f64 v[148:149], v[150:151], -v[162:163]
	v_add_f64 v[8:9], v[176:177], v[8:9]
	s_delay_alu instid0(VALU_DEP_2) | instskip(NEXT) | instid1(VALU_DEP_2)
	v_add_f64 v[148:149], v[164:165], -v[148:149]
	v_mul_f64 v[8:9], v[146:147], v[8:9]
	s_delay_alu instid0(VALU_DEP_1) | instskip(NEXT) | instid1(VALU_DEP_1)
	v_add_f64 v[8:9], v[148:149], v[8:9]
	v_add_f64 v[146:147], v[150:151], v[8:9]
	s_delay_alu instid0(VALU_DEP_1) | instskip(NEXT) | instid1(VALU_DEP_1)
	v_mul_f64 v[148:149], v[146:147], v[146:147]
	v_fma_f64 v[160:161], v[148:149], s[30:31], s[28:29]
	s_mov_b32 s28, 0xd7f4df2e
	s_mov_b32 s29, 0x3fc7474d
	v_mul_f64 v[162:163], v[146:147], v[148:149]
	s_delay_alu instid0(VALU_DEP_2)
	v_fma_f64 v[160:161], v[148:149], v[160:161], s[28:29]
	s_mov_b32 s28, 0x16291751
	s_mov_b32 s29, 0x3fcc71c0
	s_delay_alu instid0(VALU_DEP_1) | instid1(SALU_CYCLE_1)
	v_fma_f64 v[160:161], v[148:149], v[160:161], s[28:29]
	s_mov_b32 s28, 0x9b27acf1
	s_mov_b32 s29, 0x3fd24924
	s_delay_alu instid0(VALU_DEP_1) | instid1(SALU_CYCLE_1)
	;; [unrolled: 4-line block ×3, first 2 shown]
	v_fma_f64 v[160:161], v[148:149], v[160:161], s[28:29]
	s_delay_alu instid0(VALU_DEP_1) | instskip(SKIP_2) | instid1(VALU_DEP_3)
	v_fma_f64 v[148:149], v[148:149], v[160:161], s[20:21]
	v_ldexp_f64 v[160:161], v[146:147], 1
	v_add_f64 v[146:147], v[146:147], -v[150:151]
	v_mul_f64 v[148:149], v[162:163], v[148:149]
	v_cvt_f64_i32_e32 v[162:163], v215
	s_delay_alu instid0(VALU_DEP_3) | instskip(NEXT) | instid1(VALU_DEP_3)
	v_add_f64 v[8:9], v[8:9], -v[146:147]
	v_add_f64 v[150:151], v[160:161], v[148:149]
	s_delay_alu instid0(VALU_DEP_3) | instskip(NEXT) | instid1(VALU_DEP_3)
	v_mul_f64 v[164:165], v[162:163], s[22:23]
	v_ldexp_f64 v[8:9], v[8:9], 1
	s_delay_alu instid0(VALU_DEP_3) | instskip(NEXT) | instid1(VALU_DEP_3)
	v_add_f64 v[146:147], v[150:151], -v[160:161]
	v_fma_f64 v[160:161], v[162:163], s[22:23], -v[164:165]
	s_delay_alu instid0(VALU_DEP_2) | instskip(NEXT) | instid1(VALU_DEP_2)
	v_add_f64 v[146:147], v[148:149], -v[146:147]
	v_fma_f64 v[148:149], v[162:163], s[24:25], v[160:161]
	s_delay_alu instid0(VALU_DEP_2) | instskip(NEXT) | instid1(VALU_DEP_2)
	v_add_f64 v[8:9], v[8:9], v[146:147]
	v_add_f64 v[146:147], v[164:165], v[148:149]
	s_delay_alu instid0(VALU_DEP_2) | instskip(NEXT) | instid1(VALU_DEP_2)
	v_add_f64 v[160:161], v[150:151], v[8:9]
	v_add_f64 v[164:165], v[146:147], -v[164:165]
	s_delay_alu instid0(VALU_DEP_2) | instskip(SKIP_1) | instid1(VALU_DEP_3)
	v_add_f64 v[162:163], v[146:147], v[160:161]
	v_add_f64 v[150:151], v[160:161], -v[150:151]
	v_add_f64 v[148:149], v[148:149], -v[164:165]
	s_delay_alu instid0(VALU_DEP_3) | instskip(NEXT) | instid1(VALU_DEP_3)
	v_add_f64 v[166:167], v[162:163], -v[146:147]
	v_add_f64 v[8:9], v[8:9], -v[150:151]
	s_delay_alu instid0(VALU_DEP_2) | instskip(SKIP_1) | instid1(VALU_DEP_3)
	v_add_f64 v[176:177], v[162:163], -v[166:167]
	v_add_f64 v[150:151], v[160:161], -v[166:167]
	v_add_f64 v[160:161], v[148:149], v[8:9]
	s_delay_alu instid0(VALU_DEP_3) | instskip(NEXT) | instid1(VALU_DEP_1)
	v_add_f64 v[146:147], v[146:147], -v[176:177]
	v_add_f64 v[146:147], v[150:151], v[146:147]
	s_delay_alu instid0(VALU_DEP_3) | instskip(NEXT) | instid1(VALU_DEP_2)
	v_add_f64 v[150:151], v[160:161], -v[148:149]
	v_add_f64 v[146:147], v[160:161], v[146:147]
	s_delay_alu instid0(VALU_DEP_2) | instskip(SKIP_1) | instid1(VALU_DEP_3)
	v_add_f64 v[160:161], v[160:161], -v[150:151]
	v_add_f64 v[8:9], v[8:9], -v[150:151]
	v_add_f64 v[164:165], v[162:163], v[146:147]
	s_delay_alu instid0(VALU_DEP_3) | instskip(NEXT) | instid1(VALU_DEP_2)
	v_add_f64 v[148:149], v[148:149], -v[160:161]
	v_add_f64 v[150:151], v[164:165], -v[162:163]
	s_delay_alu instid0(VALU_DEP_2) | instskip(NEXT) | instid1(VALU_DEP_2)
	v_add_f64 v[8:9], v[8:9], v[148:149]
	v_add_f64 v[146:147], v[146:147], -v[150:151]
	s_delay_alu instid0(VALU_DEP_1) | instskip(NEXT) | instid1(VALU_DEP_1)
	v_add_f64 v[8:9], v[8:9], v[146:147]
	v_add_f64 v[8:9], v[164:165], v[8:9]
	s_delay_alu instid0(VALU_DEP_1) | instskip(NEXT) | instid1(VALU_DEP_2)
	v_cndmask_b32_e64 v8, v8, v4, s19
	v_cndmask_b32_e64 v9, v9, v5, s19
	v_cmp_ngt_f64_e64 s19, -1.0, v[4:5]
	s_delay_alu instid0(VALU_DEP_1) | instskip(SKIP_1) | instid1(VALU_DEP_1)
	v_cndmask_b32_e64 v9, 0x7ff80000, v9, s19
	v_cmp_nge_f64_e64 s19, -1.0, v[4:5]
	v_cndmask_b32_e64 v8, 0, v8, s19
	v_cmp_neq_f64_e64 s19, -1.0, v[4:5]
	s_delay_alu instid0(VALU_DEP_1) | instskip(NEXT) | instid1(VALU_DEP_1)
	v_cndmask_b32_e64 v9, 0xfff00000, v9, s19
	v_add_f64 v[4:5], v[6:7], v[8:9]
.LBB76_93:
	s_or_b32 exec_lo, exec_lo, s27
.LBB76_94:
	s_delay_alu instid0(SALU_CYCLE_1) | instskip(SKIP_1) | instid1(VALU_DEP_1)
	s_or_b32 exec_lo, exec_lo, s26
	v_add_nc_u32_e32 v6, -1, v212
	v_cmp_gt_i32_e64 s19, 0, v6
	s_delay_alu instid0(VALU_DEP_1) | instskip(SKIP_1) | instid1(VALU_DEP_2)
	v_cndmask_b32_e64 v6, v6, v212, s19
	v_cmp_eq_u32_e64 s19, 0, v212
	v_lshlrev_b32_e32 v6, 2, v6
	ds_bpermute_b32 v213, v6, v4
	ds_bpermute_b32 v214, v6, v5
	s_and_saveexec_b32 s73, vcc_lo
	s_cbranch_execz .LBB76_219
; %bb.95:
	v_mov_b32_e32 v8, 0
	ds_load_b64 v[4:5], v8 offset:56
	s_and_saveexec_b32 s20, s19
	s_cbranch_execz .LBB76_104
; %bb.96:
	s_add_i32 s22, s72, 32
	s_mov_b32 s23, 0
	s_mov_b32 s21, exec_lo
	s_lshl_b64 s[22:23], s[22:23], 4
	s_delay_alu instid0(SALU_CYCLE_1)
	v_add_co_u32 v146, vcc_lo, v116, s22
	v_add_co_ci_u32_e32 v147, vcc_lo, s23, v117, vcc_lo
	s_mov_b64 s[22:23], src_shared_base
	s_delay_alu instid0(VALU_DEP_1) | instid1(SALU_CYCLE_1)
	v_cmpx_ne_u32_e64 s23, v147
	s_xor_b32 s21, exec_lo, s21
	s_cbranch_execz .LBB76_102
; %bb.97:
	s_mov_b64 s[22:23], src_private_base
	s_mov_b32 s22, exec_lo
	v_cmpx_ne_u32_e64 s23, v147
	s_xor_b32 s22, exec_lo, s22
	s_cbranch_execz .LBB76_99
; %bb.98:
	v_dual_mov_b32 v6, 1 :: v_dual_mov_b32 v7, 0
	s_waitcnt lgkmcnt(0)
	;;#ASMSTART
	global_store_dwordx4 v[146:147], v[4:7] off	
s_waitcnt vmcnt(0)
	;;#ASMEND
                                        ; implicit-def: $vgpr146_vgpr147
.LBB76_99:
	s_and_not1_saveexec_b32 s22, s22
	s_cbranch_execz .LBB76_101
; %bb.100:
	v_dual_mov_b32 v6, 1 :: v_dual_mov_b32 v7, 0
	s_waitcnt lgkmcnt(0)
	;;#ASMSTART
	flat_store_dwordx4 v[146:147], v[4:7] 	
s_waitcnt vmcnt(0)
	;;#ASMEND
.LBB76_101:
	s_or_b32 exec_lo, exec_lo, s22
                                        ; implicit-def: $vgpr146_vgpr147
.LBB76_102:
	s_and_not1_saveexec_b32 s21, s21
	s_cbranch_execz .LBB76_104
; %bb.103:
	v_cmp_ne_u64_e32 vcc_lo, 0, v[146:147]
	v_dual_mov_b32 v7, 0 :: v_dual_mov_b32 v6, 1
	v_cndmask_b32_e32 v9, -1, v146, vcc_lo
	s_waitcnt lgkmcnt(0)
	;;#ASMSTART
	ds_write_b128 v9, v[4:7] 	
s_waitcnt lgkmcnt(0)
	;;#ASMEND
.LBB76_104:
	s_or_b32 exec_lo, exec_lo, s20
	v_xad_u32 v146, v212, -1, s72
	s_mov_b64 s[20:21], src_shared_base
                                        ; implicit-def: $vgpr160_vgpr161
                                        ; implicit-def: $vgpr161_vgpr162
                                        ; implicit-def: $vgpr162_vgpr163
                                        ; implicit-def: $vgpr163_vgpr164
	s_delay_alu instid0(VALU_DEP_1) | instskip(NEXT) | instid1(VALU_DEP_1)
	v_add_nc_u32_e32 v7, 32, v146
                                        ; implicit-def: $vgpr165_vgpr166
                                        ; implicit-def: $vgpr149_vgpr150
	v_lshlrev_b64 v[6:7], 4, v[7:8]
                                        ; implicit-def: $vgpr8
	s_delay_alu instid0(VALU_DEP_1) | instskip(NEXT) | instid1(VALU_DEP_2)
	v_add_co_u32 v147, vcc_lo, v116, v6
	v_add_co_ci_u32_e32 v148, vcc_lo, v117, v7, vcc_lo
	s_delay_alu instid0(VALU_DEP_1) | instskip(SKIP_1) | instid1(SALU_CYCLE_1)
	v_cmp_ne_u32_e32 vcc_lo, s21, v148
	s_and_saveexec_b32 s20, vcc_lo
	s_xor_b32 s21, exec_lo, s20
	s_cbranch_execz .LBB76_110
; %bb.105:
	s_mov_b64 s[22:23], src_private_base
                                        ; implicit-def: $vgpr160_vgpr161
                                        ; implicit-def: $vgpr161_vgpr162
	s_delay_alu instid0(SALU_CYCLE_1) | instskip(NEXT) | instid1(VALU_DEP_1)
	v_cmp_ne_u32_e64 s20, s23, v148
                                        ; implicit-def: $vgpr162_vgpr163
                                        ; implicit-def: $vgpr8
                                        ; implicit-def: $vgpr163_vgpr164
                                        ; implicit-def: $vgpr165_vgpr166
                                        ; implicit-def: $vgpr149_vgpr150
	s_and_saveexec_b32 s22, s20
	s_delay_alu instid0(SALU_CYCLE_1)
	s_xor_b32 s20, exec_lo, s22
	s_cbranch_execz .LBB76_107
; %bb.106:
	;;#ASMSTART
	global_load_dwordx4 v[6:9], v[147:148] off glc	
s_waitcnt vmcnt(0)
	;;#ASMEND
	v_lshrrev_b64 v[149:150], 8, v[6:7]
	v_lshlrev_b64 v[150:151], 24, v[8:9]
	v_lshlrev_b64 v[160:161], 16, v[8:9]
	v_lshlrev_b64 v[176:177], 8, v[8:9]
	v_lshrrev_b32_e32 v151, 8, v7
	v_lshrrev_b32_e32 v161, 16, v7
	;; [unrolled: 1-line block ×3, first 2 shown]
	v_lshrrev_b64 v[165:166], 16, v[6:7]
	v_lshrrev_b64 v[163:164], 24, v[6:7]
	v_or_b32_e32 v162, v151, v150
	v_or_b32_e32 v161, v161, v160
	;; [unrolled: 1-line block ×3, first 2 shown]
.LBB76_107:
	s_and_not1_saveexec_b32 s20, s20
	s_cbranch_execz .LBB76_109
; %bb.108:
	;;#ASMSTART
	flat_load_dwordx4 v[6:9], v[147:148] glc	
s_waitcnt vmcnt(0)
	;;#ASMEND
	v_lshrrev_b64 v[149:150], 8, v[6:7]
	v_lshlrev_b64 v[150:151], 24, v[8:9]
	v_lshlrev_b64 v[160:161], 16, v[8:9]
	;; [unrolled: 1-line block ×3, first 2 shown]
	v_lshrrev_b32_e32 v151, 8, v7
	v_lshrrev_b32_e32 v161, 16, v7
	;; [unrolled: 1-line block ×3, first 2 shown]
	v_lshrrev_b64 v[165:166], 16, v[6:7]
	v_lshrrev_b64 v[163:164], 24, v[6:7]
	v_or_b32_e32 v162, v151, v150
	v_or_b32_e32 v161, v161, v160
	;; [unrolled: 1-line block ×3, first 2 shown]
.LBB76_109:
	s_or_b32 exec_lo, exec_lo, s20
.LBB76_110:
	s_and_not1_saveexec_b32 s21, s21
	s_cbranch_execz .LBB76_112
; %bb.111:
	v_cmp_ne_u64_e64 s20, 0, v[147:148]
	s_delay_alu instid0(VALU_DEP_1) | instskip(SKIP_1) | instid1(VALU_DEP_1)
	v_cndmask_b32_e64 v6, -1, v147, s20
	;;#ASMSTART
	ds_read_b128 v[6:9], v6 	
s_waitcnt lgkmcnt(0)
	;;#ASMEND
	v_lshrrev_b64 v[149:150], 8, v[6:7]
	v_lshlrev_b64 v[150:151], 24, v[8:9]
	v_lshlrev_b64 v[160:161], 16, v[8:9]
	;; [unrolled: 1-line block ×3, first 2 shown]
	v_lshrrev_b32_e32 v151, 8, v7
	v_lshrrev_b32_e32 v161, 16, v7
	;; [unrolled: 1-line block ×3, first 2 shown]
	v_lshrrev_b64 v[165:166], 16, v[6:7]
	v_lshrrev_b64 v[163:164], 24, v[6:7]
	v_or_b32_e32 v162, v151, v150
	v_or_b32_e32 v161, v161, v160
	;; [unrolled: 1-line block ×3, first 2 shown]
.LBB76_112:
	s_or_b32 exec_lo, exec_lo, s21
	v_lshlrev_b32_e32 v9, 8, v149
	v_lshlrev_b32_e32 v149, 16, v165
	;; [unrolled: 1-line block ×4, first 2 shown]
	v_and_b32_e32 v7, 0xff, v7
	v_perm_b32 v6, v9, v6, 0xc0c0500
	v_and_b32_e32 v9, 0xff0000, v149
	v_lshlrev_b32_e32 v149, 16, v161
	v_and_b32_e32 v151, 0xff00, v151
	s_mov_b32 s23, 0
	s_mov_b32 s22, exec_lo
	v_or3_b32 v6, v6, v9, v150
	v_lshlrev_b32_e32 v9, 24, v160
	v_and_b32_e32 v149, 0xff0000, v149
	v_or3_b32 v7, 0, v7, v151
	v_and_b32_e32 v151, 0xff, v8
	v_or3_b32 v6, v6, 0, 0
	s_delay_alu instid0(VALU_DEP_3) | instskip(NEXT) | instid1(VALU_DEP_2)
	v_or3_b32 v150, v7, v149, v9
	v_or3_b32 v149, v6, 0, 0
	s_delay_alu instid0(VALU_DEP_4)
	v_cmpx_eq_u16_e64 0, v151
	s_cbranch_execz .LBB76_140
; %bb.113:
	s_mov_b64 s[20:21], src_private_base
	s_delay_alu instid0(SALU_CYCLE_1) | instskip(SKIP_1) | instid1(VALU_DEP_1)
	v_cmp_ne_u32_e64 s20, s21, v148
	v_cmp_ne_u64_e64 s21, 0, v[147:148]
	v_cndmask_b32_e64 v151, -1, v147, s21
	s_branch .LBB76_115
.LBB76_114:                             ;   in Loop: Header=BB76_115 Depth=1
	s_or_b32 exec_lo, exec_lo, s21
	v_and_b32_e32 v9, 0xff, v8
	s_delay_alu instid0(VALU_DEP_1) | instskip(NEXT) | instid1(VALU_DEP_1)
	v_cmp_ne_u16_e64 s21, 0, v9
	s_or_b32 s23, s21, s23
	s_delay_alu instid0(SALU_CYCLE_1)
	s_and_not1_b32 exec_lo, exec_lo, s23
	s_cbranch_execz .LBB76_139
.LBB76_115:                             ; =>This Inner Loop Header: Depth=1
                                        ; implicit-def: $vgpr160_vgpr161
                                        ; implicit-def: $vgpr164_vgpr165
                                        ; implicit-def: $vgpr8
                                        ; implicit-def: $vgpr149_vgpr150
                                        ; implicit-def: $vgpr161_vgpr162
                                        ; implicit-def: $vgpr165_vgpr166
                                        ; implicit-def: $vgpr162_vgpr163
	s_and_saveexec_b32 s21, vcc_lo
	s_delay_alu instid0(SALU_CYCLE_1)
	s_xor_b32 s21, exec_lo, s21
	s_cbranch_execz .LBB76_121
; %bb.116:                              ;   in Loop: Header=BB76_115 Depth=1
                                        ; implicit-def: $vgpr160_vgpr161
                                        ; implicit-def: $vgpr164_vgpr165
                                        ; implicit-def: $vgpr8
                                        ; implicit-def: $vgpr149_vgpr150
                                        ; implicit-def: $vgpr161_vgpr162
                                        ; implicit-def: $vgpr165_vgpr166
                                        ; implicit-def: $vgpr162_vgpr163
	s_and_saveexec_b32 s24, s20
	s_delay_alu instid0(SALU_CYCLE_1)
	s_xor_b32 s24, exec_lo, s24
	s_cbranch_execz .LBB76_118
; %bb.117:                              ;   in Loop: Header=BB76_115 Depth=1
	;;#ASMSTART
	global_load_dwordx4 v[6:9], v[147:148] off glc	
s_waitcnt vmcnt(0)
	;;#ASMEND
	v_lshlrev_b64 v[160:161], 24, v[8:9]
	v_lshrrev_b64 v[149:150], 8, v[6:7]
	v_lshlrev_b64 v[161:162], 16, v[8:9]
	v_lshlrev_b64 v[176:177], 8, v[8:9]
	v_lshrrev_b32_e32 v150, 8, v7
	v_lshrrev_b32_e32 v167, 16, v7
	;; [unrolled: 1-line block ×3, first 2 shown]
	v_lshrrev_b64 v[165:166], 16, v[6:7]
	v_lshrrev_b64 v[162:163], 24, v[6:7]
	v_or_b32_e32 v164, v150, v160
	v_or_b32_e32 v161, v167, v161
	v_or_b32_e32 v160, v9, v176
.LBB76_118:                             ;   in Loop: Header=BB76_115 Depth=1
	s_and_not1_saveexec_b32 s24, s24
	s_cbranch_execz .LBB76_120
; %bb.119:                              ;   in Loop: Header=BB76_115 Depth=1
	;;#ASMSTART
	flat_load_dwordx4 v[6:9], v[147:148] glc	
s_waitcnt vmcnt(0)
	;;#ASMEND
	v_lshlrev_b64 v[160:161], 24, v[8:9]
	v_lshrrev_b64 v[149:150], 8, v[6:7]
	v_lshlrev_b64 v[161:162], 16, v[8:9]
	v_lshlrev_b64 v[176:177], 8, v[8:9]
	v_lshrrev_b32_e32 v150, 8, v7
	v_lshrrev_b32_e32 v167, 16, v7
	;; [unrolled: 1-line block ×3, first 2 shown]
	v_lshrrev_b64 v[165:166], 16, v[6:7]
	v_lshrrev_b64 v[162:163], 24, v[6:7]
	v_or_b32_e32 v164, v150, v160
	v_or_b32_e32 v161, v167, v161
	;; [unrolled: 1-line block ×3, first 2 shown]
.LBB76_120:                             ;   in Loop: Header=BB76_115 Depth=1
	s_or_b32 exec_lo, exec_lo, s24
.LBB76_121:                             ;   in Loop: Header=BB76_115 Depth=1
	s_and_not1_saveexec_b32 s21, s21
	s_cbranch_execz .LBB76_114
; %bb.122:                              ;   in Loop: Header=BB76_115 Depth=1
	;;#ASMSTART
	ds_read_b128 v[6:9], v151 	
s_waitcnt lgkmcnt(0)
	;;#ASMEND
	v_lshlrev_b64 v[160:161], 24, v[8:9]
	v_lshrrev_b64 v[149:150], 8, v[6:7]
	v_lshlrev_b64 v[161:162], 16, v[8:9]
	v_lshlrev_b64 v[176:177], 8, v[8:9]
	v_lshrrev_b32_e32 v150, 8, v7
	v_lshrrev_b32_e32 v167, 16, v7
	;; [unrolled: 1-line block ×3, first 2 shown]
	v_lshrrev_b64 v[165:166], 16, v[6:7]
	v_lshrrev_b64 v[162:163], 24, v[6:7]
	v_or_b32_e32 v164, v150, v160
	v_or_b32_e32 v161, v167, v161
	;; [unrolled: 1-line block ×3, first 2 shown]
	s_branch .LBB76_114
.LBB76_123:
                                        ; implicit-def: $vgpr4_vgpr5_vgpr6_vgpr7_vgpr8_vgpr9_vgpr10_vgpr11_vgpr12_vgpr13_vgpr14_vgpr15_vgpr16_vgpr17_vgpr18_vgpr19_vgpr20_vgpr21_vgpr22_vgpr23_vgpr24_vgpr25_vgpr26_vgpr27_vgpr28_vgpr29_vgpr30_vgpr31_vgpr32_vgpr33_vgpr34_vgpr35
	s_cbranch_execnz .LBB76_256
; %bb.471:
	s_getpc_b64 s[74:75]
.Lpost_getpc3:
	s_add_u32 s74, s74, (.LBB76_375-.Lpost_getpc3)&4294967295
	s_addc_u32 s75, s75, (.LBB76_375-.Lpost_getpc3)>>32
	s_setpc_b64 s[74:75]
.LBB76_124:
	v_add_co_u32 v32, vcc_lo, v30, v198
	v_add_co_ci_u32_e32 v33, vcc_lo, 0, v31, vcc_lo
	flat_load_b64 v[32:33], v[32:33]
	s_or_b32 exec_lo, exec_lo, s4
	s_delay_alu instid0(SALU_CYCLE_1)
	s_mov_b32 s4, exec_lo
	v_cmpx_lt_u32_e64 v210, v183
	s_cbranch_execz .LBB76_7
.LBB76_125:
	v_add_co_u32 v16, vcc_lo, v30, v198
	v_add_co_ci_u32_e32 v17, vcc_lo, 0, v31, vcc_lo
	flat_load_b64 v[16:17], v[16:17] offset:2048
	s_or_b32 exec_lo, exec_lo, s4
	s_delay_alu instid0(SALU_CYCLE_1)
	s_mov_b32 s4, exec_lo
	v_cmpx_lt_u32_e64 v209, v183
	s_cbranch_execz .LBB76_8
.LBB76_126:
	v_lshlrev_b32_e32 v26, 3, v209
	s_delay_alu instid0(VALU_DEP_1) | instskip(SKIP_3) | instid1(SALU_CYCLE_1)
	v_add_co_u32 v26, vcc_lo, v30, v26
	v_add_co_ci_u32_e32 v27, vcc_lo, 0, v31, vcc_lo
	flat_load_b64 v[26:27], v[26:27]
	s_or_b32 exec_lo, exec_lo, s4
	s_mov_b32 s4, exec_lo
	v_cmpx_lt_u32_e64 v208, v183
	s_cbranch_execz .LBB76_9
.LBB76_127:
	v_lshlrev_b32_e32 v28, 3, v208
	s_delay_alu instid0(VALU_DEP_1) | instskip(SKIP_3) | instid1(SALU_CYCLE_1)
	v_add_co_u32 v28, vcc_lo, v30, v28
	v_add_co_ci_u32_e32 v29, vcc_lo, 0, v31, vcc_lo
	flat_load_b64 v[28:29], v[28:29]
	s_or_b32 exec_lo, exec_lo, s4
	s_mov_b32 s4, exec_lo
	v_cmpx_lt_u32_e64 v199, v183
	s_cbranch_execz .LBB76_10
.LBB76_128:
	v_lshlrev_b32_e32 v18, 3, v199
	s_delay_alu instid0(VALU_DEP_1) | instskip(SKIP_3) | instid1(SALU_CYCLE_1)
	v_add_co_u32 v18, vcc_lo, v30, v18
	v_add_co_ci_u32_e32 v19, vcc_lo, 0, v31, vcc_lo
	flat_load_b64 v[18:19], v[18:19]
	s_or_b32 exec_lo, exec_lo, s4
	s_mov_b32 s4, exec_lo
	v_cmpx_lt_u32_e64 v197, v183
	s_cbranch_execz .LBB76_11
.LBB76_129:
	v_lshlrev_b32_e32 v20, 3, v197
	s_delay_alu instid0(VALU_DEP_1) | instskip(SKIP_3) | instid1(SALU_CYCLE_1)
	v_add_co_u32 v20, vcc_lo, v30, v20
	v_add_co_ci_u32_e32 v21, vcc_lo, 0, v31, vcc_lo
	flat_load_b64 v[20:21], v[20:21]
	s_or_b32 exec_lo, exec_lo, s4
	s_mov_b32 s4, exec_lo
	v_cmpx_lt_u32_e64 v196, v183
	s_cbranch_execz .LBB76_12
.LBB76_130:
	v_lshlrev_b32_e32 v22, 3, v196
	s_delay_alu instid0(VALU_DEP_1) | instskip(SKIP_3) | instid1(SALU_CYCLE_1)
	v_add_co_u32 v22, vcc_lo, v30, v22
	v_add_co_ci_u32_e32 v23, vcc_lo, 0, v31, vcc_lo
	flat_load_b64 v[22:23], v[22:23]
	s_or_b32 exec_lo, exec_lo, s4
	s_mov_b32 s4, exec_lo
	v_cmpx_lt_u32_e64 v195, v183
	s_cbranch_execz .LBB76_13
.LBB76_131:
	v_lshlrev_b32_e32 v24, 3, v195
	s_delay_alu instid0(VALU_DEP_1) | instskip(SKIP_3) | instid1(SALU_CYCLE_1)
	v_add_co_u32 v24, vcc_lo, v30, v24
	v_add_co_ci_u32_e32 v25, vcc_lo, 0, v31, vcc_lo
	flat_load_b64 v[24:25], v[24:25]
	s_or_b32 exec_lo, exec_lo, s4
	s_mov_b32 s4, exec_lo
	v_cmpx_lt_u32_e64 v194, v183
	s_cbranch_execz .LBB76_14
.LBB76_132:
	v_lshlrev_b32_e32 v0, 3, v194
	s_delay_alu instid0(VALU_DEP_1) | instskip(SKIP_3) | instid1(SALU_CYCLE_1)
	v_add_co_u32 v0, vcc_lo, v30, v0
	v_add_co_ci_u32_e32 v1, vcc_lo, 0, v31, vcc_lo
	flat_load_b64 v[0:1], v[0:1]
	s_or_b32 exec_lo, exec_lo, s4
	s_mov_b32 s4, exec_lo
	v_cmpx_lt_u32_e64 v193, v183
	s_cbranch_execz .LBB76_15
.LBB76_133:
	v_lshlrev_b32_e32 v2, 3, v193
	s_delay_alu instid0(VALU_DEP_1) | instskip(SKIP_3) | instid1(SALU_CYCLE_1)
	v_add_co_u32 v2, vcc_lo, v30, v2
	v_add_co_ci_u32_e32 v3, vcc_lo, 0, v31, vcc_lo
	flat_load_b64 v[2:3], v[2:3]
	s_or_b32 exec_lo, exec_lo, s4
	s_mov_b32 s4, exec_lo
	v_cmpx_lt_u32_e64 v182, v183
	s_cbranch_execz .LBB76_16
.LBB76_134:
	v_lshlrev_b32_e32 v4, 3, v182
	s_delay_alu instid0(VALU_DEP_1) | instskip(SKIP_3) | instid1(SALU_CYCLE_1)
	v_add_co_u32 v4, vcc_lo, v30, v4
	v_add_co_ci_u32_e32 v5, vcc_lo, 0, v31, vcc_lo
	flat_load_b64 v[4:5], v[4:5]
	s_or_b32 exec_lo, exec_lo, s4
	s_mov_b32 s4, exec_lo
	v_cmpx_lt_u32_e64 v181, v183
	s_cbranch_execz .LBB76_17
.LBB76_135:
	v_lshlrev_b32_e32 v6, 3, v181
	s_delay_alu instid0(VALU_DEP_1) | instskip(SKIP_3) | instid1(SALU_CYCLE_1)
	v_add_co_u32 v6, vcc_lo, v30, v6
	v_add_co_ci_u32_e32 v7, vcc_lo, 0, v31, vcc_lo
	flat_load_b64 v[6:7], v[6:7]
	s_or_b32 exec_lo, exec_lo, s4
	s_mov_b32 s4, exec_lo
	v_cmpx_lt_u32_e64 v180, v183
	s_cbranch_execz .LBB76_18
.LBB76_136:
	v_lshlrev_b32_e32 v8, 3, v180
	s_delay_alu instid0(VALU_DEP_1) | instskip(SKIP_3) | instid1(SALU_CYCLE_1)
	v_add_co_u32 v8, vcc_lo, v30, v8
	v_add_co_ci_u32_e32 v9, vcc_lo, 0, v31, vcc_lo
	flat_load_b64 v[8:9], v[8:9]
	s_or_b32 exec_lo, exec_lo, s4
	s_mov_b32 s4, exec_lo
	v_cmpx_lt_u32_e64 v179, v183
	s_cbranch_execz .LBB76_19
.LBB76_137:
	v_lshlrev_b32_e32 v10, 3, v179
	s_delay_alu instid0(VALU_DEP_1) | instskip(SKIP_3) | instid1(SALU_CYCLE_1)
	v_add_co_u32 v10, vcc_lo, v30, v10
	v_add_co_ci_u32_e32 v11, vcc_lo, 0, v31, vcc_lo
	flat_load_b64 v[10:11], v[10:11]
	s_or_b32 exec_lo, exec_lo, s4
	s_mov_b32 s4, exec_lo
	v_cmpx_lt_u32_e64 v178, v183
	s_cbranch_execz .LBB76_20
.LBB76_138:
	v_lshlrev_b32_e32 v12, 3, v178
	s_delay_alu instid0(VALU_DEP_1) | instskip(SKIP_3) | instid1(SALU_CYCLE_1)
	v_add_co_u32 v12, vcc_lo, v30, v12
	v_add_co_ci_u32_e32 v13, vcc_lo, 0, v31, vcc_lo
	flat_load_b64 v[12:13], v[12:13]
	s_or_b32 exec_lo, exec_lo, s4
	s_mov_b32 s4, exec_lo
	v_cmpx_lt_u32_e64 v135, v183
	s_cbranch_execnz .LBB76_21
	s_branch .LBB76_22
.LBB76_139:
	s_or_b32 exec_lo, exec_lo, s23
	v_lshlrev_b32_e32 v9, 8, v149
	v_lshlrev_b32_e32 v147, 16, v165
	;; [unrolled: 1-line block ×3, first 2 shown]
	v_and_b32_e32 v7, 0xff, v7
	v_lshlrev_b32_e32 v149, 16, v161
	v_perm_b32 v6, v9, v6, 0xc0c0500
	v_and_b32_e32 v9, 0xff0000, v147
	v_lshlrev_b32_e32 v147, 24, v162
	v_and_b32_e32 v148, 0xff00, v148
	s_delay_alu instid0(VALU_DEP_2) | instskip(NEXT) | instid1(VALU_DEP_2)
	v_or3_b32 v6, v6, v9, v147
	v_or3_b32 v7, 0, v7, v148
	v_and_b32_e32 v9, 0xff0000, v149
	v_lshlrev_b32_e32 v147, 24, v160
	s_delay_alu instid0(VALU_DEP_4) | instskip(NEXT) | instid1(VALU_DEP_2)
	v_or3_b32 v6, v6, 0, 0
	v_or3_b32 v150, v7, v9, v147
	s_delay_alu instid0(VALU_DEP_2)
	v_or3_b32 v149, v6, 0, 0
.LBB76_140:
	s_or_b32 exec_lo, exec_lo, s22
	v_cmp_ne_u32_e32 vcc_lo, 31, v212
	v_and_b32_e32 v7, 0xff, v8
	v_lshlrev_b32_e64 v224, v212, -1
	s_mov_b32 s26, exec_lo
	v_add_co_ci_u32_e32 v6, vcc_lo, 0, v212, vcc_lo
	s_delay_alu instid0(VALU_DEP_3) | instskip(NEXT) | instid1(VALU_DEP_2)
	v_cmp_eq_u16_e32 vcc_lo, 2, v7
	v_lshlrev_b32_e32 v215, 2, v6
	v_and_or_b32 v6, vcc_lo, v224, 0x80000000
	s_delay_alu instid0(VALU_DEP_1)
	v_ctz_i32_b32_e32 v9, v6
	v_mov_b32_e32 v6, v149
	ds_bpermute_b32 v147, v215, v149
	ds_bpermute_b32 v148, v215, v150
	v_mov_b32_e32 v7, v150
	v_cmpx_lt_u32_e64 v212, v9
	s_cbranch_execz .LBB76_144
; %bb.141:
	s_waitcnt lgkmcnt(0)
	v_max_f64 v[6:7], v[147:148], v[147:148]
	v_max_f64 v[160:161], v[149:150], v[149:150]
	v_cmp_u_f64_e32 vcc_lo, v[147:148], v[147:148]
	v_cmp_u_f64_e64 s20, v[149:150], v[149:150]
	s_delay_alu instid0(VALU_DEP_3) | instskip(SKIP_1) | instid1(VALU_DEP_2)
	v_min_f64 v[162:163], v[6:7], v[160:161]
	v_max_f64 v[6:7], v[6:7], v[160:161]
	v_dual_cndmask_b32 v151, v162, v147 :: v_dual_cndmask_b32 v160, v163, v148
	s_delay_alu instid0(VALU_DEP_2) | instskip(NEXT) | instid1(VALU_DEP_2)
	v_dual_cndmask_b32 v7, v7, v148 :: v_dual_cndmask_b32 v6, v6, v147
	v_cndmask_b32_e64 v161, v160, v150, s20
	s_delay_alu instid0(VALU_DEP_3) | instskip(NEXT) | instid1(VALU_DEP_3)
	v_cndmask_b32_e64 v160, v151, v149, s20
	v_cndmask_b32_e64 v7, v7, v150, s20
	s_delay_alu instid0(VALU_DEP_4) | instskip(NEXT) | instid1(VALU_DEP_3)
	v_cndmask_b32_e64 v6, v6, v149, s20
	v_cmp_class_f64_e64 s20, v[160:161], 0x1f8
	s_delay_alu instid0(VALU_DEP_2) | instskip(NEXT) | instid1(VALU_DEP_2)
	v_cmp_neq_f64_e32 vcc_lo, v[160:161], v[6:7]
	s_or_b32 s20, vcc_lo, s20
	s_delay_alu instid0(SALU_CYCLE_1)
	s_and_saveexec_b32 s27, s20
	s_cbranch_execz .LBB76_143
; %bb.142:
	v_add_f64 v[147:148], v[160:161], -v[6:7]
	s_mov_b32 s20, 0x652b82fe
	s_mov_b32 s21, 0x3ff71547
	s_mov_b32 s23, 0xbfe62e42
	s_mov_b32 s22, 0xfefa39ef
	s_mov_b32 s25, 0xbc7abc9e
	s_mov_b32 s24, 0x3b39803f
	s_mov_b32 s28, 0x6a5dcb37
	s_mov_b32 s29, 0x3e5ade15
	s_delay_alu instid0(VALU_DEP_1) | instskip(SKIP_3) | instid1(VALU_DEP_2)
	v_mul_f64 v[149:150], v[147:148], s[20:21]
	s_mov_b32 s20, 0xfca7ab0c
	s_mov_b32 s21, 0x3e928af3
	v_cmp_nlt_f64_e32 vcc_lo, 0x40900000, v[147:148]
	v_rndne_f64_e32 v[149:150], v[149:150]
	s_delay_alu instid0(VALU_DEP_1) | instskip(SKIP_2) | instid1(VALU_DEP_2)
	v_fma_f64 v[160:161], v[149:150], s[22:23], v[147:148]
	v_cvt_i32_f64_e32 v151, v[149:150]
	s_mov_b32 s23, 0x3fe62e42
	v_fma_f64 v[160:161], v[149:150], s[24:25], v[160:161]
	s_mov_b32 s25, 0x3c7abc9e
	s_delay_alu instid0(VALU_DEP_1) | instskip(SKIP_4) | instid1(VALU_DEP_1)
	v_fma_f64 v[162:163], v[160:161], s[28:29], s[20:21]
	s_mov_b32 s20, 0x623fde64
	s_mov_b32 s21, 0x3ec71dee
	;; [unrolled: 1-line block ×4, first 2 shown]
	v_fma_f64 v[162:163], v[160:161], v[162:163], s[20:21]
	s_mov_b32 s20, 0x7c89e6b0
	s_mov_b32 s21, 0x3efa0199
	s_delay_alu instid0(VALU_DEP_1) | instid1(SALU_CYCLE_1)
	v_fma_f64 v[162:163], v[160:161], v[162:163], s[20:21]
	s_mov_b32 s20, 0x14761f6e
	s_mov_b32 s21, 0x3f2a01a0
	s_delay_alu instid0(VALU_DEP_1) | instid1(SALU_CYCLE_1)
	;; [unrolled: 4-line block ×7, first 2 shown]
	v_fma_f64 v[162:163], v[160:161], v[162:163], s[20:21]
	v_cmp_ngt_f64_e64 s20, 0xc090cc00, v[147:148]
	s_mov_b32 s21, 0x3fe55555
	s_delay_alu instid0(VALU_DEP_2) | instskip(NEXT) | instid1(VALU_DEP_1)
	v_fma_f64 v[162:163], v[160:161], v[162:163], 1.0
	v_fma_f64 v[149:150], v[160:161], v[162:163], 1.0
	s_delay_alu instid0(VALU_DEP_1) | instskip(NEXT) | instid1(VALU_DEP_1)
	v_ldexp_f64 v[149:150], v[149:150], v151
	v_cndmask_b32_e32 v150, 0x7ff00000, v150, vcc_lo
	s_and_b32 vcc_lo, s20, vcc_lo
	s_delay_alu instid0(VALU_DEP_1) | instskip(NEXT) | instid1(VALU_DEP_3)
	v_cndmask_b32_e64 v148, 0, v150, s20
	v_cndmask_b32_e32 v147, 0, v149, vcc_lo
	s_mov_b32 s20, 0x55555555
	s_delay_alu instid0(VALU_DEP_1) | instskip(NEXT) | instid1(VALU_DEP_1)
	v_add_f64 v[149:150], v[147:148], 1.0
	v_frexp_mant_f64_e32 v[160:161], v[149:150]
	v_frexp_exp_i32_f64_e32 v151, v[149:150]
	v_add_f64 v[162:163], v[149:150], -1.0
	s_delay_alu instid0(VALU_DEP_3) | instskip(SKIP_1) | instid1(VALU_DEP_2)
	v_cmp_gt_f64_e32 vcc_lo, s[20:21], v[160:161]
	s_mov_b32 s20, 0x55555780
	v_add_f64 v[160:161], v[162:163], -v[149:150]
	v_add_f64 v[162:163], v[147:148], -v[162:163]
	v_subrev_co_ci_u32_e32 v151, vcc_lo, 0, v151, vcc_lo
	s_delay_alu instid0(VALU_DEP_3) | instskip(SKIP_2) | instid1(VALU_DEP_2)
	v_add_f64 v[160:161], v[160:161], 1.0
	s_mov_b32 vcc_lo, 0xbf559e2b
	s_mov_b32 vcc_hi, 0x3fc3ab76
	v_sub_nc_u32_e32 v166, 0, v151
	s_delay_alu instid0(VALU_DEP_1) | instskip(NEXT) | instid1(VALU_DEP_3)
	v_ldexp_f64 v[149:150], v[149:150], v166
	v_add_f64 v[160:161], v[162:163], v[160:161]
	s_delay_alu instid0(VALU_DEP_2) | instskip(SKIP_1) | instid1(VALU_DEP_3)
	v_add_f64 v[164:165], v[149:150], 1.0
	v_add_f64 v[225:226], v[149:150], -1.0
	v_ldexp_f64 v[160:161], v[160:161], v166
	s_delay_alu instid0(VALU_DEP_3) | instskip(NEXT) | instid1(VALU_DEP_3)
	v_add_f64 v[162:163], v[164:165], -1.0
	v_add_f64 v[227:228], v[225:226], 1.0
	s_delay_alu instid0(VALU_DEP_2) | instskip(NEXT) | instid1(VALU_DEP_2)
	v_add_f64 v[162:163], v[149:150], -v[162:163]
	v_add_f64 v[149:150], v[149:150], -v[227:228]
	s_delay_alu instid0(VALU_DEP_2) | instskip(NEXT) | instid1(VALU_DEP_2)
	v_add_f64 v[162:163], v[160:161], v[162:163]
	v_add_f64 v[149:150], v[160:161], v[149:150]
	s_delay_alu instid0(VALU_DEP_2) | instskip(NEXT) | instid1(VALU_DEP_2)
	v_add_f64 v[166:167], v[164:165], v[162:163]
	v_add_f64 v[227:228], v[225:226], v[149:150]
	s_delay_alu instid0(VALU_DEP_2) | instskip(SKIP_1) | instid1(VALU_DEP_2)
	v_rcp_f64_e32 v[176:177], v[166:167]
	v_add_f64 v[164:165], v[166:167], -v[164:165]
	v_add_f64 v[225:226], v[227:228], -v[225:226]
	s_delay_alu instid0(VALU_DEP_2) | instskip(SKIP_3) | instid1(VALU_DEP_2)
	v_add_f64 v[162:163], v[162:163], -v[164:165]
	s_waitcnt_depctr 0xfff
	v_fma_f64 v[229:230], -v[166:167], v[176:177], 1.0
	v_add_f64 v[149:150], v[149:150], -v[225:226]
	v_fma_f64 v[176:177], v[229:230], v[176:177], v[176:177]
	s_delay_alu instid0(VALU_DEP_1) | instskip(NEXT) | instid1(VALU_DEP_1)
	v_fma_f64 v[160:161], -v[166:167], v[176:177], 1.0
	v_fma_f64 v[160:161], v[160:161], v[176:177], v[176:177]
	s_delay_alu instid0(VALU_DEP_1) | instskip(NEXT) | instid1(VALU_DEP_1)
	v_mul_f64 v[176:177], v[227:228], v[160:161]
	v_mul_f64 v[229:230], v[166:167], v[176:177]
	s_delay_alu instid0(VALU_DEP_1) | instskip(NEXT) | instid1(VALU_DEP_1)
	v_fma_f64 v[164:165], v[176:177], v[166:167], -v[229:230]
	v_fma_f64 v[164:165], v[176:177], v[162:163], v[164:165]
	s_delay_alu instid0(VALU_DEP_1) | instskip(NEXT) | instid1(VALU_DEP_1)
	v_add_f64 v[240:241], v[229:230], v[164:165]
	v_add_f64 v[242:243], v[227:228], -v[240:241]
	v_add_f64 v[225:226], v[240:241], -v[229:230]
	s_delay_alu instid0(VALU_DEP_2) | instskip(NEXT) | instid1(VALU_DEP_2)
	v_add_f64 v[227:228], v[227:228], -v[242:243]
	v_add_f64 v[164:165], v[225:226], -v[164:165]
	s_delay_alu instid0(VALU_DEP_2) | instskip(NEXT) | instid1(VALU_DEP_1)
	v_add_f64 v[227:228], v[227:228], -v[240:241]
	v_add_f64 v[149:150], v[149:150], v[227:228]
	s_delay_alu instid0(VALU_DEP_1) | instskip(NEXT) | instid1(VALU_DEP_1)
	v_add_f64 v[149:150], v[164:165], v[149:150]
	v_add_f64 v[164:165], v[242:243], v[149:150]
	s_delay_alu instid0(VALU_DEP_1) | instskip(SKIP_1) | instid1(VALU_DEP_2)
	v_mul_f64 v[225:226], v[160:161], v[164:165]
	v_add_f64 v[240:241], v[242:243], -v[164:165]
	v_mul_f64 v[227:228], v[166:167], v[225:226]
	s_delay_alu instid0(VALU_DEP_2) | instskip(NEXT) | instid1(VALU_DEP_2)
	v_add_f64 v[149:150], v[149:150], v[240:241]
	v_fma_f64 v[166:167], v[225:226], v[166:167], -v[227:228]
	s_delay_alu instid0(VALU_DEP_1) | instskip(NEXT) | instid1(VALU_DEP_1)
	v_fma_f64 v[162:163], v[225:226], v[162:163], v[166:167]
	v_add_f64 v[166:167], v[227:228], v[162:163]
	s_delay_alu instid0(VALU_DEP_1) | instskip(SKIP_1) | instid1(VALU_DEP_2)
	v_add_f64 v[229:230], v[164:165], -v[166:167]
	v_add_f64 v[227:228], v[166:167], -v[227:228]
	;; [unrolled: 1-line block ×3, first 2 shown]
	s_delay_alu instid0(VALU_DEP_2) | instskip(NEXT) | instid1(VALU_DEP_2)
	v_add_f64 v[162:163], v[227:228], -v[162:163]
	v_add_f64 v[164:165], v[164:165], -v[166:167]
	s_delay_alu instid0(VALU_DEP_1) | instskip(SKIP_1) | instid1(VALU_DEP_2)
	v_add_f64 v[149:150], v[149:150], v[164:165]
	v_add_f64 v[164:165], v[176:177], v[225:226]
	;; [unrolled: 1-line block ×3, first 2 shown]
	s_delay_alu instid0(VALU_DEP_2) | instskip(NEXT) | instid1(VALU_DEP_2)
	v_add_f64 v[162:163], v[164:165], -v[176:177]
	v_add_f64 v[149:150], v[229:230], v[149:150]
	s_delay_alu instid0(VALU_DEP_2) | instskip(NEXT) | instid1(VALU_DEP_2)
	v_add_f64 v[162:163], v[225:226], -v[162:163]
	v_mul_f64 v[149:150], v[160:161], v[149:150]
	s_delay_alu instid0(VALU_DEP_1) | instskip(NEXT) | instid1(VALU_DEP_1)
	v_add_f64 v[149:150], v[162:163], v[149:150]
	v_add_f64 v[160:161], v[164:165], v[149:150]
	s_delay_alu instid0(VALU_DEP_1) | instskip(NEXT) | instid1(VALU_DEP_1)
	v_mul_f64 v[162:163], v[160:161], v[160:161]
	v_fma_f64 v[166:167], v[162:163], vcc, s[28:29]
	s_mov_b32 s28, 0xd7f4df2e
	s_mov_b32 s29, 0x3fc7474d
	v_mul_f64 v[176:177], v[160:161], v[162:163]
	v_cmp_eq_f64_e32 vcc_lo, 0x7ff00000, v[147:148]
	s_delay_alu instid0(VALU_DEP_3)
	v_fma_f64 v[166:167], v[162:163], v[166:167], s[28:29]
	s_mov_b32 s28, 0x16291751
	s_mov_b32 s29, 0x3fcc71c0
	s_delay_alu instid0(VALU_DEP_1) | instid1(SALU_CYCLE_1)
	v_fma_f64 v[166:167], v[162:163], v[166:167], s[28:29]
	s_mov_b32 s28, 0x9b27acf1
	s_mov_b32 s29, 0x3fd24924
	s_delay_alu instid0(VALU_DEP_1) | instid1(SALU_CYCLE_1)
	v_fma_f64 v[166:167], v[162:163], v[166:167], s[28:29]
	s_mov_b32 s28, 0x998ef7b6
	s_mov_b32 s29, 0x3fd99999
	s_delay_alu instid0(VALU_DEP_1) | instid1(SALU_CYCLE_1)
	v_fma_f64 v[166:167], v[162:163], v[166:167], s[28:29]
	s_delay_alu instid0(VALU_DEP_1) | instskip(SKIP_2) | instid1(VALU_DEP_3)
	v_fma_f64 v[162:163], v[162:163], v[166:167], s[20:21]
	v_ldexp_f64 v[166:167], v[160:161], 1
	v_add_f64 v[160:161], v[160:161], -v[164:165]
	v_mul_f64 v[162:163], v[176:177], v[162:163]
	v_cvt_f64_i32_e32 v[176:177], v151
	s_delay_alu instid0(VALU_DEP_3) | instskip(NEXT) | instid1(VALU_DEP_3)
	v_add_f64 v[149:150], v[149:150], -v[160:161]
	v_add_f64 v[164:165], v[166:167], v[162:163]
	s_delay_alu instid0(VALU_DEP_3) | instskip(NEXT) | instid1(VALU_DEP_3)
	v_mul_f64 v[225:226], v[176:177], s[22:23]
	v_ldexp_f64 v[149:150], v[149:150], 1
	s_delay_alu instid0(VALU_DEP_3) | instskip(NEXT) | instid1(VALU_DEP_3)
	v_add_f64 v[160:161], v[164:165], -v[166:167]
	v_fma_f64 v[166:167], v[176:177], s[22:23], -v[225:226]
	s_delay_alu instid0(VALU_DEP_2) | instskip(NEXT) | instid1(VALU_DEP_2)
	v_add_f64 v[160:161], v[162:163], -v[160:161]
	v_fma_f64 v[162:163], v[176:177], s[24:25], v[166:167]
	s_delay_alu instid0(VALU_DEP_2) | instskip(NEXT) | instid1(VALU_DEP_2)
	v_add_f64 v[149:150], v[149:150], v[160:161]
	v_add_f64 v[160:161], v[225:226], v[162:163]
	s_delay_alu instid0(VALU_DEP_2) | instskip(NEXT) | instid1(VALU_DEP_2)
	v_add_f64 v[166:167], v[164:165], v[149:150]
	v_add_f64 v[225:226], v[160:161], -v[225:226]
	s_delay_alu instid0(VALU_DEP_2) | instskip(SKIP_1) | instid1(VALU_DEP_3)
	v_add_f64 v[176:177], v[160:161], v[166:167]
	v_add_f64 v[164:165], v[166:167], -v[164:165]
	v_add_f64 v[162:163], v[162:163], -v[225:226]
	s_delay_alu instid0(VALU_DEP_3) | instskip(NEXT) | instid1(VALU_DEP_3)
	v_add_f64 v[227:228], v[176:177], -v[160:161]
	v_add_f64 v[149:150], v[149:150], -v[164:165]
	s_delay_alu instid0(VALU_DEP_2) | instskip(SKIP_1) | instid1(VALU_DEP_3)
	v_add_f64 v[229:230], v[176:177], -v[227:228]
	v_add_f64 v[164:165], v[166:167], -v[227:228]
	v_add_f64 v[166:167], v[162:163], v[149:150]
	s_delay_alu instid0(VALU_DEP_3) | instskip(NEXT) | instid1(VALU_DEP_1)
	v_add_f64 v[160:161], v[160:161], -v[229:230]
	v_add_f64 v[160:161], v[164:165], v[160:161]
	s_delay_alu instid0(VALU_DEP_3) | instskip(NEXT) | instid1(VALU_DEP_2)
	v_add_f64 v[164:165], v[166:167], -v[162:163]
	v_add_f64 v[160:161], v[166:167], v[160:161]
	s_delay_alu instid0(VALU_DEP_2) | instskip(SKIP_1) | instid1(VALU_DEP_3)
	v_add_f64 v[166:167], v[166:167], -v[164:165]
	v_add_f64 v[149:150], v[149:150], -v[164:165]
	v_add_f64 v[225:226], v[176:177], v[160:161]
	s_delay_alu instid0(VALU_DEP_3) | instskip(NEXT) | instid1(VALU_DEP_2)
	v_add_f64 v[162:163], v[162:163], -v[166:167]
	v_add_f64 v[164:165], v[225:226], -v[176:177]
	s_delay_alu instid0(VALU_DEP_2) | instskip(NEXT) | instid1(VALU_DEP_2)
	v_add_f64 v[149:150], v[149:150], v[162:163]
	v_add_f64 v[160:161], v[160:161], -v[164:165]
	s_delay_alu instid0(VALU_DEP_1) | instskip(NEXT) | instid1(VALU_DEP_1)
	v_add_f64 v[149:150], v[149:150], v[160:161]
	v_add_f64 v[149:150], v[225:226], v[149:150]
	s_delay_alu instid0(VALU_DEP_1) | instskip(SKIP_1) | instid1(VALU_DEP_2)
	v_dual_cndmask_b32 v150, v150, v148 :: v_dual_cndmask_b32 v149, v149, v147
	v_cmp_ngt_f64_e32 vcc_lo, -1.0, v[147:148]
	v_cndmask_b32_e32 v150, 0x7ff80000, v150, vcc_lo
	v_cmp_nge_f64_e32 vcc_lo, -1.0, v[147:148]
	s_delay_alu instid0(VALU_DEP_4) | instskip(SKIP_1) | instid1(VALU_DEP_4)
	v_cndmask_b32_e32 v149, 0, v149, vcc_lo
	v_cmp_neq_f64_e32 vcc_lo, -1.0, v[147:148]
	v_cndmask_b32_e32 v150, 0xfff00000, v150, vcc_lo
	s_delay_alu instid0(VALU_DEP_1)
	v_add_f64 v[147:148], v[6:7], v[149:150]
.LBB76_143:
	s_or_b32 exec_lo, exec_lo, s27
	s_delay_alu instid0(VALU_DEP_1)
	v_dual_mov_b32 v149, v147 :: v_dual_mov_b32 v150, v148
	v_dual_mov_b32 v6, v147 :: v_dual_mov_b32 v7, v148
.LBB76_144:
	s_or_b32 exec_lo, exec_lo, s26
	v_cmp_gt_u32_e32 vcc_lo, 30, v212
	v_add_nc_u32_e32 v226, 2, v212
	s_mov_b32 s26, exec_lo
	s_waitcnt lgkmcnt(1)
	v_cndmask_b32_e64 v147, 0, 1, vcc_lo
	s_delay_alu instid0(VALU_DEP_1) | instskip(NEXT) | instid1(VALU_DEP_1)
	v_lshlrev_b32_e32 v147, 1, v147
	v_add_lshl_u32 v225, v147, v212, 2
	ds_bpermute_b32 v147, v225, v149
	s_waitcnt lgkmcnt(1)
	ds_bpermute_b32 v148, v225, v150
	v_cmpx_le_u32_e64 v226, v9
	s_cbranch_execz .LBB76_148
; %bb.145:
	s_waitcnt lgkmcnt(0)
	v_max_f64 v[149:150], v[147:148], v[147:148]
	v_max_f64 v[160:161], v[6:7], v[6:7]
	v_cmp_u_f64_e32 vcc_lo, v[147:148], v[147:148]
	v_cmp_u_f64_e64 s20, v[6:7], v[6:7]
	s_delay_alu instid0(VALU_DEP_3) | instskip(SKIP_1) | instid1(VALU_DEP_2)
	v_min_f64 v[162:163], v[149:150], v[160:161]
	v_max_f64 v[149:150], v[149:150], v[160:161]
	v_dual_cndmask_b32 v151, v162, v147 :: v_dual_cndmask_b32 v160, v163, v148
	s_delay_alu instid0(VALU_DEP_2) | instskip(NEXT) | instid1(VALU_DEP_2)
	v_dual_cndmask_b32 v161, v150, v148 :: v_dual_cndmask_b32 v162, v149, v147
	v_cndmask_b32_e64 v149, v151, v6, s20
	s_delay_alu instid0(VALU_DEP_3) | instskip(NEXT) | instid1(VALU_DEP_3)
	v_cndmask_b32_e64 v150, v160, v7, s20
	v_cndmask_b32_e64 v7, v161, v7, s20
	s_delay_alu instid0(VALU_DEP_4) | instskip(NEXT) | instid1(VALU_DEP_3)
	v_cndmask_b32_e64 v6, v162, v6, s20
	v_cmp_class_f64_e64 s20, v[149:150], 0x1f8
	s_delay_alu instid0(VALU_DEP_2) | instskip(NEXT) | instid1(VALU_DEP_2)
	v_cmp_neq_f64_e32 vcc_lo, v[149:150], v[6:7]
	s_or_b32 s20, vcc_lo, s20
	s_delay_alu instid0(SALU_CYCLE_1)
	s_and_saveexec_b32 s27, s20
	s_cbranch_execz .LBB76_147
; %bb.146:
	v_add_f64 v[147:148], v[149:150], -v[6:7]
	s_mov_b32 s20, 0x652b82fe
	s_mov_b32 s21, 0x3ff71547
	;; [unrolled: 1-line block ×8, first 2 shown]
	s_delay_alu instid0(VALU_DEP_1) | instskip(SKIP_3) | instid1(VALU_DEP_2)
	v_mul_f64 v[149:150], v[147:148], s[20:21]
	s_mov_b32 s20, 0xfca7ab0c
	s_mov_b32 s21, 0x3e928af3
	v_cmp_nlt_f64_e32 vcc_lo, 0x40900000, v[147:148]
	v_rndne_f64_e32 v[149:150], v[149:150]
	s_delay_alu instid0(VALU_DEP_1) | instskip(SKIP_2) | instid1(VALU_DEP_2)
	v_fma_f64 v[160:161], v[149:150], s[22:23], v[147:148]
	v_cvt_i32_f64_e32 v151, v[149:150]
	s_mov_b32 s23, 0x3fe62e42
	v_fma_f64 v[160:161], v[149:150], s[24:25], v[160:161]
	s_mov_b32 s25, 0x3c7abc9e
	s_delay_alu instid0(VALU_DEP_1) | instskip(SKIP_4) | instid1(VALU_DEP_1)
	v_fma_f64 v[162:163], v[160:161], s[28:29], s[20:21]
	s_mov_b32 s20, 0x623fde64
	s_mov_b32 s21, 0x3ec71dee
	;; [unrolled: 1-line block ×4, first 2 shown]
	v_fma_f64 v[162:163], v[160:161], v[162:163], s[20:21]
	s_mov_b32 s20, 0x7c89e6b0
	s_mov_b32 s21, 0x3efa0199
	s_delay_alu instid0(VALU_DEP_1) | instid1(SALU_CYCLE_1)
	v_fma_f64 v[162:163], v[160:161], v[162:163], s[20:21]
	s_mov_b32 s20, 0x14761f6e
	s_mov_b32 s21, 0x3f2a01a0
	s_delay_alu instid0(VALU_DEP_1) | instid1(SALU_CYCLE_1)
	;; [unrolled: 4-line block ×7, first 2 shown]
	v_fma_f64 v[162:163], v[160:161], v[162:163], s[20:21]
	v_cmp_ngt_f64_e64 s20, 0xc090cc00, v[147:148]
	s_mov_b32 s21, 0x3fe55555
	s_delay_alu instid0(VALU_DEP_2) | instskip(NEXT) | instid1(VALU_DEP_1)
	v_fma_f64 v[162:163], v[160:161], v[162:163], 1.0
	v_fma_f64 v[149:150], v[160:161], v[162:163], 1.0
	s_delay_alu instid0(VALU_DEP_1) | instskip(NEXT) | instid1(VALU_DEP_1)
	v_ldexp_f64 v[149:150], v[149:150], v151
	v_cndmask_b32_e32 v150, 0x7ff00000, v150, vcc_lo
	s_and_b32 vcc_lo, s20, vcc_lo
	s_delay_alu instid0(VALU_DEP_1) | instskip(NEXT) | instid1(VALU_DEP_3)
	v_cndmask_b32_e64 v148, 0, v150, s20
	v_cndmask_b32_e32 v147, 0, v149, vcc_lo
	s_mov_b32 s20, 0x55555555
	s_delay_alu instid0(VALU_DEP_1) | instskip(NEXT) | instid1(VALU_DEP_1)
	v_add_f64 v[149:150], v[147:148], 1.0
	v_frexp_mant_f64_e32 v[160:161], v[149:150]
	v_frexp_exp_i32_f64_e32 v151, v[149:150]
	v_add_f64 v[162:163], v[149:150], -1.0
	s_delay_alu instid0(VALU_DEP_3) | instskip(SKIP_1) | instid1(VALU_DEP_2)
	v_cmp_gt_f64_e32 vcc_lo, s[20:21], v[160:161]
	s_mov_b32 s20, 0x55555780
	v_add_f64 v[160:161], v[162:163], -v[149:150]
	v_add_f64 v[162:163], v[147:148], -v[162:163]
	v_subrev_co_ci_u32_e32 v151, vcc_lo, 0, v151, vcc_lo
	s_delay_alu instid0(VALU_DEP_3) | instskip(SKIP_2) | instid1(VALU_DEP_2)
	v_add_f64 v[160:161], v[160:161], 1.0
	s_mov_b32 vcc_lo, 0xbf559e2b
	s_mov_b32 vcc_hi, 0x3fc3ab76
	v_sub_nc_u32_e32 v166, 0, v151
	s_delay_alu instid0(VALU_DEP_1) | instskip(NEXT) | instid1(VALU_DEP_3)
	v_ldexp_f64 v[149:150], v[149:150], v166
	v_add_f64 v[160:161], v[162:163], v[160:161]
	s_delay_alu instid0(VALU_DEP_2) | instskip(SKIP_1) | instid1(VALU_DEP_3)
	v_add_f64 v[164:165], v[149:150], 1.0
	v_add_f64 v[227:228], v[149:150], -1.0
	v_ldexp_f64 v[160:161], v[160:161], v166
	s_delay_alu instid0(VALU_DEP_3) | instskip(NEXT) | instid1(VALU_DEP_3)
	v_add_f64 v[162:163], v[164:165], -1.0
	v_add_f64 v[229:230], v[227:228], 1.0
	s_delay_alu instid0(VALU_DEP_2) | instskip(NEXT) | instid1(VALU_DEP_2)
	v_add_f64 v[162:163], v[149:150], -v[162:163]
	v_add_f64 v[149:150], v[149:150], -v[229:230]
	s_delay_alu instid0(VALU_DEP_2) | instskip(NEXT) | instid1(VALU_DEP_2)
	v_add_f64 v[162:163], v[160:161], v[162:163]
	v_add_f64 v[149:150], v[160:161], v[149:150]
	s_delay_alu instid0(VALU_DEP_2) | instskip(NEXT) | instid1(VALU_DEP_2)
	v_add_f64 v[166:167], v[164:165], v[162:163]
	v_add_f64 v[229:230], v[227:228], v[149:150]
	s_delay_alu instid0(VALU_DEP_2) | instskip(SKIP_1) | instid1(VALU_DEP_2)
	v_rcp_f64_e32 v[176:177], v[166:167]
	v_add_f64 v[164:165], v[166:167], -v[164:165]
	v_add_f64 v[227:228], v[229:230], -v[227:228]
	s_delay_alu instid0(VALU_DEP_2) | instskip(SKIP_3) | instid1(VALU_DEP_2)
	v_add_f64 v[162:163], v[162:163], -v[164:165]
	s_waitcnt_depctr 0xfff
	v_fma_f64 v[240:241], -v[166:167], v[176:177], 1.0
	v_add_f64 v[149:150], v[149:150], -v[227:228]
	v_fma_f64 v[176:177], v[240:241], v[176:177], v[176:177]
	s_delay_alu instid0(VALU_DEP_1) | instskip(NEXT) | instid1(VALU_DEP_1)
	v_fma_f64 v[160:161], -v[166:167], v[176:177], 1.0
	v_fma_f64 v[160:161], v[160:161], v[176:177], v[176:177]
	s_delay_alu instid0(VALU_DEP_1) | instskip(NEXT) | instid1(VALU_DEP_1)
	v_mul_f64 v[176:177], v[229:230], v[160:161]
	v_mul_f64 v[240:241], v[166:167], v[176:177]
	s_delay_alu instid0(VALU_DEP_1) | instskip(NEXT) | instid1(VALU_DEP_1)
	v_fma_f64 v[164:165], v[176:177], v[166:167], -v[240:241]
	v_fma_f64 v[164:165], v[176:177], v[162:163], v[164:165]
	s_delay_alu instid0(VALU_DEP_1) | instskip(NEXT) | instid1(VALU_DEP_1)
	v_add_f64 v[242:243], v[240:241], v[164:165]
	v_add_f64 v[244:245], v[229:230], -v[242:243]
	v_add_f64 v[227:228], v[242:243], -v[240:241]
	s_delay_alu instid0(VALU_DEP_2) | instskip(NEXT) | instid1(VALU_DEP_2)
	v_add_f64 v[229:230], v[229:230], -v[244:245]
	v_add_f64 v[164:165], v[227:228], -v[164:165]
	s_delay_alu instid0(VALU_DEP_2) | instskip(NEXT) | instid1(VALU_DEP_1)
	v_add_f64 v[229:230], v[229:230], -v[242:243]
	v_add_f64 v[149:150], v[149:150], v[229:230]
	s_delay_alu instid0(VALU_DEP_1) | instskip(NEXT) | instid1(VALU_DEP_1)
	v_add_f64 v[149:150], v[164:165], v[149:150]
	v_add_f64 v[164:165], v[244:245], v[149:150]
	s_delay_alu instid0(VALU_DEP_1) | instskip(SKIP_1) | instid1(VALU_DEP_2)
	v_mul_f64 v[227:228], v[160:161], v[164:165]
	v_add_f64 v[242:243], v[244:245], -v[164:165]
	v_mul_f64 v[229:230], v[166:167], v[227:228]
	s_delay_alu instid0(VALU_DEP_2) | instskip(NEXT) | instid1(VALU_DEP_2)
	v_add_f64 v[149:150], v[149:150], v[242:243]
	v_fma_f64 v[166:167], v[227:228], v[166:167], -v[229:230]
	s_delay_alu instid0(VALU_DEP_1) | instskip(NEXT) | instid1(VALU_DEP_1)
	v_fma_f64 v[162:163], v[227:228], v[162:163], v[166:167]
	v_add_f64 v[166:167], v[229:230], v[162:163]
	s_delay_alu instid0(VALU_DEP_1) | instskip(SKIP_1) | instid1(VALU_DEP_2)
	v_add_f64 v[240:241], v[164:165], -v[166:167]
	v_add_f64 v[229:230], v[166:167], -v[229:230]
	;; [unrolled: 1-line block ×3, first 2 shown]
	s_delay_alu instid0(VALU_DEP_2) | instskip(NEXT) | instid1(VALU_DEP_2)
	v_add_f64 v[162:163], v[229:230], -v[162:163]
	v_add_f64 v[164:165], v[164:165], -v[166:167]
	s_delay_alu instid0(VALU_DEP_1) | instskip(SKIP_1) | instid1(VALU_DEP_2)
	v_add_f64 v[149:150], v[149:150], v[164:165]
	v_add_f64 v[164:165], v[176:177], v[227:228]
	;; [unrolled: 1-line block ×3, first 2 shown]
	s_delay_alu instid0(VALU_DEP_2) | instskip(NEXT) | instid1(VALU_DEP_2)
	v_add_f64 v[162:163], v[164:165], -v[176:177]
	v_add_f64 v[149:150], v[240:241], v[149:150]
	s_delay_alu instid0(VALU_DEP_2) | instskip(NEXT) | instid1(VALU_DEP_2)
	v_add_f64 v[162:163], v[227:228], -v[162:163]
	v_mul_f64 v[149:150], v[160:161], v[149:150]
	s_delay_alu instid0(VALU_DEP_1) | instskip(NEXT) | instid1(VALU_DEP_1)
	v_add_f64 v[149:150], v[162:163], v[149:150]
	v_add_f64 v[160:161], v[164:165], v[149:150]
	s_delay_alu instid0(VALU_DEP_1) | instskip(NEXT) | instid1(VALU_DEP_1)
	v_mul_f64 v[162:163], v[160:161], v[160:161]
	v_fma_f64 v[166:167], v[162:163], vcc, s[28:29]
	s_mov_b32 s28, 0xd7f4df2e
	s_mov_b32 s29, 0x3fc7474d
	v_mul_f64 v[176:177], v[160:161], v[162:163]
	v_cmp_eq_f64_e32 vcc_lo, 0x7ff00000, v[147:148]
	s_delay_alu instid0(VALU_DEP_3)
	v_fma_f64 v[166:167], v[162:163], v[166:167], s[28:29]
	s_mov_b32 s28, 0x16291751
	s_mov_b32 s29, 0x3fcc71c0
	s_delay_alu instid0(VALU_DEP_1) | instid1(SALU_CYCLE_1)
	v_fma_f64 v[166:167], v[162:163], v[166:167], s[28:29]
	s_mov_b32 s28, 0x9b27acf1
	s_mov_b32 s29, 0x3fd24924
	s_delay_alu instid0(VALU_DEP_1) | instid1(SALU_CYCLE_1)
	;; [unrolled: 4-line block ×3, first 2 shown]
	v_fma_f64 v[166:167], v[162:163], v[166:167], s[28:29]
	s_delay_alu instid0(VALU_DEP_1) | instskip(SKIP_2) | instid1(VALU_DEP_3)
	v_fma_f64 v[162:163], v[162:163], v[166:167], s[20:21]
	v_ldexp_f64 v[166:167], v[160:161], 1
	v_add_f64 v[160:161], v[160:161], -v[164:165]
	v_mul_f64 v[162:163], v[176:177], v[162:163]
	v_cvt_f64_i32_e32 v[176:177], v151
	s_delay_alu instid0(VALU_DEP_3) | instskip(NEXT) | instid1(VALU_DEP_3)
	v_add_f64 v[149:150], v[149:150], -v[160:161]
	v_add_f64 v[164:165], v[166:167], v[162:163]
	s_delay_alu instid0(VALU_DEP_3) | instskip(NEXT) | instid1(VALU_DEP_3)
	v_mul_f64 v[227:228], v[176:177], s[22:23]
	v_ldexp_f64 v[149:150], v[149:150], 1
	s_delay_alu instid0(VALU_DEP_3) | instskip(NEXT) | instid1(VALU_DEP_3)
	v_add_f64 v[160:161], v[164:165], -v[166:167]
	v_fma_f64 v[166:167], v[176:177], s[22:23], -v[227:228]
	s_delay_alu instid0(VALU_DEP_2) | instskip(NEXT) | instid1(VALU_DEP_2)
	v_add_f64 v[160:161], v[162:163], -v[160:161]
	v_fma_f64 v[162:163], v[176:177], s[24:25], v[166:167]
	s_delay_alu instid0(VALU_DEP_2) | instskip(NEXT) | instid1(VALU_DEP_2)
	v_add_f64 v[149:150], v[149:150], v[160:161]
	v_add_f64 v[160:161], v[227:228], v[162:163]
	s_delay_alu instid0(VALU_DEP_2) | instskip(NEXT) | instid1(VALU_DEP_2)
	v_add_f64 v[166:167], v[164:165], v[149:150]
	v_add_f64 v[227:228], v[160:161], -v[227:228]
	s_delay_alu instid0(VALU_DEP_2) | instskip(SKIP_1) | instid1(VALU_DEP_3)
	v_add_f64 v[176:177], v[160:161], v[166:167]
	v_add_f64 v[164:165], v[166:167], -v[164:165]
	v_add_f64 v[162:163], v[162:163], -v[227:228]
	s_delay_alu instid0(VALU_DEP_3) | instskip(NEXT) | instid1(VALU_DEP_3)
	v_add_f64 v[229:230], v[176:177], -v[160:161]
	v_add_f64 v[149:150], v[149:150], -v[164:165]
	s_delay_alu instid0(VALU_DEP_2) | instskip(SKIP_1) | instid1(VALU_DEP_3)
	v_add_f64 v[240:241], v[176:177], -v[229:230]
	v_add_f64 v[164:165], v[166:167], -v[229:230]
	v_add_f64 v[166:167], v[162:163], v[149:150]
	s_delay_alu instid0(VALU_DEP_3) | instskip(NEXT) | instid1(VALU_DEP_1)
	v_add_f64 v[160:161], v[160:161], -v[240:241]
	v_add_f64 v[160:161], v[164:165], v[160:161]
	s_delay_alu instid0(VALU_DEP_3) | instskip(NEXT) | instid1(VALU_DEP_2)
	v_add_f64 v[164:165], v[166:167], -v[162:163]
	v_add_f64 v[160:161], v[166:167], v[160:161]
	s_delay_alu instid0(VALU_DEP_2) | instskip(SKIP_1) | instid1(VALU_DEP_3)
	v_add_f64 v[166:167], v[166:167], -v[164:165]
	v_add_f64 v[149:150], v[149:150], -v[164:165]
	v_add_f64 v[227:228], v[176:177], v[160:161]
	s_delay_alu instid0(VALU_DEP_3) | instskip(NEXT) | instid1(VALU_DEP_2)
	v_add_f64 v[162:163], v[162:163], -v[166:167]
	v_add_f64 v[164:165], v[227:228], -v[176:177]
	s_delay_alu instid0(VALU_DEP_2) | instskip(NEXT) | instid1(VALU_DEP_2)
	v_add_f64 v[149:150], v[149:150], v[162:163]
	v_add_f64 v[160:161], v[160:161], -v[164:165]
	s_delay_alu instid0(VALU_DEP_1) | instskip(NEXT) | instid1(VALU_DEP_1)
	v_add_f64 v[149:150], v[149:150], v[160:161]
	v_add_f64 v[149:150], v[227:228], v[149:150]
	s_delay_alu instid0(VALU_DEP_1) | instskip(SKIP_1) | instid1(VALU_DEP_2)
	v_dual_cndmask_b32 v150, v150, v148 :: v_dual_cndmask_b32 v149, v149, v147
	v_cmp_ngt_f64_e32 vcc_lo, -1.0, v[147:148]
	v_cndmask_b32_e32 v150, 0x7ff80000, v150, vcc_lo
	v_cmp_nge_f64_e32 vcc_lo, -1.0, v[147:148]
	s_delay_alu instid0(VALU_DEP_4) | instskip(SKIP_1) | instid1(VALU_DEP_4)
	v_cndmask_b32_e32 v149, 0, v149, vcc_lo
	v_cmp_neq_f64_e32 vcc_lo, -1.0, v[147:148]
	v_cndmask_b32_e32 v150, 0xfff00000, v150, vcc_lo
	s_delay_alu instid0(VALU_DEP_1)
	v_add_f64 v[147:148], v[6:7], v[149:150]
.LBB76_147:
	s_or_b32 exec_lo, exec_lo, s27
	s_delay_alu instid0(VALU_DEP_1)
	v_dual_mov_b32 v149, v147 :: v_dual_mov_b32 v150, v148
	v_dual_mov_b32 v6, v147 :: v_dual_mov_b32 v7, v148
.LBB76_148:
	s_or_b32 exec_lo, exec_lo, s26
	v_cmp_gt_u32_e32 vcc_lo, 28, v212
	v_add_nc_u32_e32 v228, 4, v212
	s_mov_b32 s26, exec_lo
	s_waitcnt lgkmcnt(1)
	v_cndmask_b32_e64 v147, 0, 1, vcc_lo
	s_delay_alu instid0(VALU_DEP_1) | instskip(NEXT) | instid1(VALU_DEP_1)
	v_lshlrev_b32_e32 v147, 2, v147
	v_add_lshl_u32 v227, v147, v212, 2
	ds_bpermute_b32 v147, v227, v149
	s_waitcnt lgkmcnt(1)
	ds_bpermute_b32 v148, v227, v150
	v_cmpx_le_u32_e64 v228, v9
	s_cbranch_execz .LBB76_152
; %bb.149:
	s_waitcnt lgkmcnt(0)
	v_max_f64 v[149:150], v[147:148], v[147:148]
	v_max_f64 v[160:161], v[6:7], v[6:7]
	v_cmp_u_f64_e32 vcc_lo, v[147:148], v[147:148]
	v_cmp_u_f64_e64 s20, v[6:7], v[6:7]
	s_delay_alu instid0(VALU_DEP_3) | instskip(SKIP_1) | instid1(VALU_DEP_2)
	v_min_f64 v[162:163], v[149:150], v[160:161]
	v_max_f64 v[149:150], v[149:150], v[160:161]
	v_dual_cndmask_b32 v151, v162, v147 :: v_dual_cndmask_b32 v160, v163, v148
	s_delay_alu instid0(VALU_DEP_2) | instskip(NEXT) | instid1(VALU_DEP_2)
	v_dual_cndmask_b32 v161, v150, v148 :: v_dual_cndmask_b32 v162, v149, v147
	v_cndmask_b32_e64 v149, v151, v6, s20
	s_delay_alu instid0(VALU_DEP_3) | instskip(NEXT) | instid1(VALU_DEP_3)
	v_cndmask_b32_e64 v150, v160, v7, s20
	v_cndmask_b32_e64 v7, v161, v7, s20
	s_delay_alu instid0(VALU_DEP_4) | instskip(NEXT) | instid1(VALU_DEP_3)
	v_cndmask_b32_e64 v6, v162, v6, s20
	v_cmp_class_f64_e64 s20, v[149:150], 0x1f8
	s_delay_alu instid0(VALU_DEP_2) | instskip(NEXT) | instid1(VALU_DEP_2)
	v_cmp_neq_f64_e32 vcc_lo, v[149:150], v[6:7]
	s_or_b32 s20, vcc_lo, s20
	s_delay_alu instid0(SALU_CYCLE_1)
	s_and_saveexec_b32 s27, s20
	s_cbranch_execz .LBB76_151
; %bb.150:
	v_add_f64 v[147:148], v[149:150], -v[6:7]
	s_mov_b32 s20, 0x652b82fe
	s_mov_b32 s21, 0x3ff71547
	s_mov_b32 s23, 0xbfe62e42
	s_mov_b32 s22, 0xfefa39ef
	s_mov_b32 s25, 0xbc7abc9e
	s_mov_b32 s24, 0x3b39803f
	s_mov_b32 s28, 0x6a5dcb37
	s_mov_b32 s29, 0x3e5ade15
	s_delay_alu instid0(VALU_DEP_1) | instskip(SKIP_3) | instid1(VALU_DEP_2)
	v_mul_f64 v[149:150], v[147:148], s[20:21]
	s_mov_b32 s20, 0xfca7ab0c
	s_mov_b32 s21, 0x3e928af3
	v_cmp_nlt_f64_e32 vcc_lo, 0x40900000, v[147:148]
	v_rndne_f64_e32 v[149:150], v[149:150]
	s_delay_alu instid0(VALU_DEP_1) | instskip(SKIP_1) | instid1(VALU_DEP_1)
	v_fma_f64 v[160:161], v[149:150], s[22:23], v[147:148]
	s_mov_b32 s23, 0x3fe62e42
	v_fma_f64 v[160:161], v[149:150], s[24:25], v[160:161]
	v_cvt_i32_f64_e32 v149, v[149:150]
	s_mov_b32 s25, 0x3c7abc9e
	s_delay_alu instid0(VALU_DEP_2) | instskip(SKIP_4) | instid1(VALU_DEP_1)
	v_fma_f64 v[162:163], v[160:161], s[28:29], s[20:21]
	s_mov_b32 s20, 0x623fde64
	s_mov_b32 s21, 0x3ec71dee
	;; [unrolled: 1-line block ×4, first 2 shown]
	v_fma_f64 v[162:163], v[160:161], v[162:163], s[20:21]
	s_mov_b32 s20, 0x7c89e6b0
	s_mov_b32 s21, 0x3efa0199
	s_delay_alu instid0(VALU_DEP_1) | instid1(SALU_CYCLE_1)
	v_fma_f64 v[162:163], v[160:161], v[162:163], s[20:21]
	s_mov_b32 s20, 0x14761f6e
	s_mov_b32 s21, 0x3f2a01a0
	s_delay_alu instid0(VALU_DEP_1) | instid1(SALU_CYCLE_1)
	v_fma_f64 v[162:163], v[160:161], v[162:163], s[20:21]
	s_mov_b32 s20, 0x1852b7b0
	s_mov_b32 s21, 0x3f56c16c
	s_delay_alu instid0(VALU_DEP_1) | instid1(SALU_CYCLE_1)
	v_fma_f64 v[162:163], v[160:161], v[162:163], s[20:21]
	s_mov_b32 s20, 0x11122322
	s_mov_b32 s21, 0x3f811111
	s_delay_alu instid0(VALU_DEP_1) | instid1(SALU_CYCLE_1)
	v_fma_f64 v[162:163], v[160:161], v[162:163], s[20:21]
	s_mov_b32 s20, 0x555502a1
	s_mov_b32 s21, 0x3fa55555
	s_delay_alu instid0(VALU_DEP_1) | instid1(SALU_CYCLE_1)
	v_fma_f64 v[162:163], v[160:161], v[162:163], s[20:21]
	s_mov_b32 s20, 0x55555511
	s_mov_b32 s21, 0x3fc55555
	s_delay_alu instid0(VALU_DEP_1) | instid1(SALU_CYCLE_1)
	v_fma_f64 v[162:163], v[160:161], v[162:163], s[20:21]
	s_mov_b32 s20, 11
	s_mov_b32 s21, 0x3fe00000
	s_delay_alu instid0(VALU_DEP_1) | instid1(SALU_CYCLE_1)
	v_fma_f64 v[162:163], v[160:161], v[162:163], s[20:21]
	v_cmp_ngt_f64_e64 s20, 0xc090cc00, v[147:148]
	s_mov_b32 s21, 0x3fe55555
	s_delay_alu instid0(VALU_DEP_2) | instskip(NEXT) | instid1(VALU_DEP_1)
	v_fma_f64 v[162:163], v[160:161], v[162:163], 1.0
	v_fma_f64 v[160:161], v[160:161], v[162:163], 1.0
	s_delay_alu instid0(VALU_DEP_1) | instskip(NEXT) | instid1(VALU_DEP_1)
	v_ldexp_f64 v[149:150], v[160:161], v149
	v_cndmask_b32_e32 v150, 0x7ff00000, v150, vcc_lo
	s_and_b32 vcc_lo, s20, vcc_lo
	s_delay_alu instid0(VALU_DEP_1) | instskip(NEXT) | instid1(VALU_DEP_3)
	v_cndmask_b32_e64 v148, 0, v150, s20
	v_cndmask_b32_e32 v147, 0, v149, vcc_lo
	s_mov_b32 s20, 0x55555555
	s_delay_alu instid0(VALU_DEP_1) | instskip(NEXT) | instid1(VALU_DEP_1)
	v_add_f64 v[149:150], v[147:148], 1.0
	v_add_f64 v[160:161], v[149:150], -1.0
	v_frexp_exp_i32_f64_e32 v151, v[149:150]
	s_delay_alu instid0(VALU_DEP_2) | instskip(SKIP_1) | instid1(VALU_DEP_2)
	v_add_f64 v[162:163], v[160:161], -v[149:150]
	v_add_f64 v[160:161], v[147:148], -v[160:161]
	v_add_f64 v[162:163], v[162:163], 1.0
	s_delay_alu instid0(VALU_DEP_1) | instskip(SKIP_1) | instid1(VALU_DEP_1)
	v_add_f64 v[160:161], v[160:161], v[162:163]
	v_frexp_mant_f64_e32 v[162:163], v[149:150]
	v_cmp_gt_f64_e32 vcc_lo, s[20:21], v[162:163]
	s_mov_b32 s20, 0x55555780
	v_subrev_co_ci_u32_e32 v151, vcc_lo, 0, v151, vcc_lo
	s_mov_b32 vcc_lo, 0xbf559e2b
	s_mov_b32 vcc_hi, 0x3fc3ab76
	s_delay_alu instid0(VALU_DEP_1) | instskip(NEXT) | instid1(VALU_DEP_1)
	v_sub_nc_u32_e32 v162, 0, v151
	v_ldexp_f64 v[149:150], v[149:150], v162
	v_ldexp_f64 v[160:161], v[160:161], v162
	s_delay_alu instid0(VALU_DEP_2) | instskip(NEXT) | instid1(VALU_DEP_1)
	v_add_f64 v[162:163], v[149:150], -1.0
	v_add_f64 v[164:165], v[162:163], 1.0
	s_delay_alu instid0(VALU_DEP_1) | instskip(NEXT) | instid1(VALU_DEP_1)
	v_add_f64 v[164:165], v[149:150], -v[164:165]
	v_add_f64 v[164:165], v[160:161], v[164:165]
	s_delay_alu instid0(VALU_DEP_1) | instskip(NEXT) | instid1(VALU_DEP_1)
	v_add_f64 v[166:167], v[162:163], v[164:165]
	v_add_f64 v[162:163], v[166:167], -v[162:163]
	s_delay_alu instid0(VALU_DEP_1) | instskip(SKIP_1) | instid1(VALU_DEP_1)
	v_add_f64 v[162:163], v[164:165], -v[162:163]
	v_add_f64 v[164:165], v[149:150], 1.0
	v_add_f64 v[176:177], v[164:165], -1.0
	s_delay_alu instid0(VALU_DEP_1) | instskip(NEXT) | instid1(VALU_DEP_1)
	v_add_f64 v[149:150], v[149:150], -v[176:177]
	v_add_f64 v[149:150], v[160:161], v[149:150]
	s_delay_alu instid0(VALU_DEP_1) | instskip(NEXT) | instid1(VALU_DEP_1)
	v_add_f64 v[160:161], v[164:165], v[149:150]
	v_add_f64 v[164:165], v[160:161], -v[164:165]
	s_delay_alu instid0(VALU_DEP_1) | instskip(SKIP_3) | instid1(VALU_DEP_1)
	v_add_f64 v[149:150], v[149:150], -v[164:165]
	v_rcp_f64_e32 v[164:165], v[160:161]
	s_waitcnt_depctr 0xfff
	v_fma_f64 v[176:177], -v[160:161], v[164:165], 1.0
	v_fma_f64 v[164:165], v[176:177], v[164:165], v[164:165]
	s_delay_alu instid0(VALU_DEP_1) | instskip(NEXT) | instid1(VALU_DEP_1)
	v_fma_f64 v[176:177], -v[160:161], v[164:165], 1.0
	v_fma_f64 v[164:165], v[176:177], v[164:165], v[164:165]
	s_delay_alu instid0(VALU_DEP_1) | instskip(NEXT) | instid1(VALU_DEP_1)
	v_mul_f64 v[176:177], v[166:167], v[164:165]
	v_mul_f64 v[229:230], v[160:161], v[176:177]
	s_delay_alu instid0(VALU_DEP_1) | instskip(NEXT) | instid1(VALU_DEP_1)
	v_fma_f64 v[240:241], v[176:177], v[160:161], -v[229:230]
	v_fma_f64 v[240:241], v[176:177], v[149:150], v[240:241]
	s_delay_alu instid0(VALU_DEP_1) | instskip(NEXT) | instid1(VALU_DEP_1)
	v_add_f64 v[242:243], v[229:230], v[240:241]
	v_add_f64 v[244:245], v[166:167], -v[242:243]
	v_add_f64 v[229:230], v[242:243], -v[229:230]
	s_delay_alu instid0(VALU_DEP_2) | instskip(NEXT) | instid1(VALU_DEP_1)
	v_add_f64 v[166:167], v[166:167], -v[244:245]
	v_add_f64 v[166:167], v[166:167], -v[242:243]
	s_delay_alu instid0(VALU_DEP_1) | instskip(NEXT) | instid1(VALU_DEP_4)
	v_add_f64 v[162:163], v[162:163], v[166:167]
	v_add_f64 v[166:167], v[229:230], -v[240:241]
	s_delay_alu instid0(VALU_DEP_1) | instskip(NEXT) | instid1(VALU_DEP_1)
	v_add_f64 v[162:163], v[166:167], v[162:163]
	v_add_f64 v[166:167], v[244:245], v[162:163]
	s_delay_alu instid0(VALU_DEP_1) | instskip(NEXT) | instid1(VALU_DEP_1)
	v_add_f64 v[229:230], v[244:245], -v[166:167]
	v_add_f64 v[162:163], v[162:163], v[229:230]
	v_mul_f64 v[229:230], v[164:165], v[166:167]
	s_delay_alu instid0(VALU_DEP_1) | instskip(NEXT) | instid1(VALU_DEP_1)
	v_mul_f64 v[240:241], v[160:161], v[229:230]
	v_fma_f64 v[160:161], v[229:230], v[160:161], -v[240:241]
	s_delay_alu instid0(VALU_DEP_1) | instskip(NEXT) | instid1(VALU_DEP_1)
	v_fma_f64 v[149:150], v[229:230], v[149:150], v[160:161]
	v_add_f64 v[160:161], v[240:241], v[149:150]
	s_delay_alu instid0(VALU_DEP_1) | instskip(SKIP_1) | instid1(VALU_DEP_2)
	v_add_f64 v[242:243], v[166:167], -v[160:161]
	v_add_f64 v[240:241], v[160:161], -v[240:241]
	;; [unrolled: 1-line block ×3, first 2 shown]
	s_delay_alu instid0(VALU_DEP_2) | instskip(NEXT) | instid1(VALU_DEP_2)
	v_add_f64 v[149:150], v[240:241], -v[149:150]
	v_add_f64 v[160:161], v[166:167], -v[160:161]
	v_cvt_f64_i32_e32 v[166:167], v151
	s_delay_alu instid0(VALU_DEP_2) | instskip(NEXT) | instid1(VALU_DEP_1)
	v_add_f64 v[160:161], v[162:163], v[160:161]
	v_add_f64 v[149:150], v[149:150], v[160:161]
	v_add_f64 v[160:161], v[176:177], v[229:230]
	s_delay_alu instid0(VALU_DEP_2) | instskip(NEXT) | instid1(VALU_DEP_2)
	v_add_f64 v[149:150], v[242:243], v[149:150]
	v_add_f64 v[162:163], v[160:161], -v[176:177]
	v_mul_f64 v[176:177], v[166:167], s[22:23]
	s_delay_alu instid0(VALU_DEP_3) | instskip(NEXT) | instid1(VALU_DEP_3)
	v_mul_f64 v[149:150], v[164:165], v[149:150]
	v_add_f64 v[162:163], v[229:230], -v[162:163]
	s_delay_alu instid0(VALU_DEP_3) | instskip(NEXT) | instid1(VALU_DEP_2)
	v_fma_f64 v[229:230], v[166:167], s[22:23], -v[176:177]
	v_add_f64 v[149:150], v[162:163], v[149:150]
	s_delay_alu instid0(VALU_DEP_2) | instskip(NEXT) | instid1(VALU_DEP_2)
	v_fma_f64 v[166:167], v[166:167], s[24:25], v[229:230]
	v_add_f64 v[162:163], v[160:161], v[149:150]
	s_delay_alu instid0(VALU_DEP_2) | instskip(NEXT) | instid1(VALU_DEP_2)
	v_add_f64 v[229:230], v[176:177], v[166:167]
	v_add_f64 v[160:161], v[162:163], -v[160:161]
	s_delay_alu instid0(VALU_DEP_2) | instskip(NEXT) | instid1(VALU_DEP_2)
	v_add_f64 v[176:177], v[229:230], -v[176:177]
	v_add_f64 v[149:150], v[149:150], -v[160:161]
	v_mul_f64 v[160:161], v[162:163], v[162:163]
	s_delay_alu instid0(VALU_DEP_3) | instskip(SKIP_1) | instid1(VALU_DEP_4)
	v_add_f64 v[166:167], v[166:167], -v[176:177]
	v_ldexp_f64 v[176:177], v[162:163], 1
	v_ldexp_f64 v[149:150], v[149:150], 1
	s_delay_alu instid0(VALU_DEP_4) | instskip(SKIP_3) | instid1(VALU_DEP_2)
	v_fma_f64 v[164:165], v[160:161], vcc, s[28:29]
	s_mov_b32 s28, 0xd7f4df2e
	s_mov_b32 s29, 0x3fc7474d
	v_cmp_eq_f64_e32 vcc_lo, 0x7ff00000, v[147:148]
	v_fma_f64 v[164:165], v[160:161], v[164:165], s[28:29]
	s_mov_b32 s28, 0x16291751
	s_mov_b32 s29, 0x3fcc71c0
	s_delay_alu instid0(VALU_DEP_1) | instid1(SALU_CYCLE_1)
	v_fma_f64 v[164:165], v[160:161], v[164:165], s[28:29]
	s_mov_b32 s28, 0x9b27acf1
	s_mov_b32 s29, 0x3fd24924
	s_delay_alu instid0(VALU_DEP_1) | instid1(SALU_CYCLE_1)
	;; [unrolled: 4-line block ×3, first 2 shown]
	v_fma_f64 v[164:165], v[160:161], v[164:165], s[28:29]
	s_delay_alu instid0(VALU_DEP_1) | instskip(SKIP_1) | instid1(VALU_DEP_1)
	v_fma_f64 v[164:165], v[160:161], v[164:165], s[20:21]
	v_mul_f64 v[160:161], v[162:163], v[160:161]
	v_mul_f64 v[160:161], v[160:161], v[164:165]
	s_delay_alu instid0(VALU_DEP_1) | instskip(NEXT) | instid1(VALU_DEP_1)
	v_add_f64 v[162:163], v[176:177], v[160:161]
	v_add_f64 v[164:165], v[162:163], -v[176:177]
	s_delay_alu instid0(VALU_DEP_1) | instskip(NEXT) | instid1(VALU_DEP_1)
	v_add_f64 v[160:161], v[160:161], -v[164:165]
	v_add_f64 v[149:150], v[149:150], v[160:161]
	s_delay_alu instid0(VALU_DEP_1) | instskip(NEXT) | instid1(VALU_DEP_1)
	v_add_f64 v[160:161], v[162:163], v[149:150]
	v_add_f64 v[162:163], v[160:161], -v[162:163]
	s_delay_alu instid0(VALU_DEP_1) | instskip(SKIP_1) | instid1(VALU_DEP_1)
	v_add_f64 v[149:150], v[149:150], -v[162:163]
	v_add_f64 v[162:163], v[229:230], v[160:161]
	v_add_f64 v[164:165], v[162:163], -v[229:230]
	s_delay_alu instid0(VALU_DEP_1) | instskip(SKIP_2) | instid1(VALU_DEP_3)
	v_add_f64 v[176:177], v[162:163], -v[164:165]
	v_add_f64 v[160:161], v[160:161], -v[164:165]
	v_add_f64 v[164:165], v[166:167], v[149:150]
	v_add_f64 v[176:177], v[229:230], -v[176:177]
	s_delay_alu instid0(VALU_DEP_1) | instskip(NEXT) | instid1(VALU_DEP_3)
	v_add_f64 v[160:161], v[160:161], v[176:177]
	v_add_f64 v[176:177], v[164:165], -v[166:167]
	s_delay_alu instid0(VALU_DEP_2) | instskip(NEXT) | instid1(VALU_DEP_2)
	v_add_f64 v[160:161], v[164:165], v[160:161]
	v_add_f64 v[229:230], v[164:165], -v[176:177]
	v_add_f64 v[149:150], v[149:150], -v[176:177]
	s_delay_alu instid0(VALU_DEP_3) | instskip(NEXT) | instid1(VALU_DEP_3)
	v_add_f64 v[164:165], v[162:163], v[160:161]
	v_add_f64 v[166:167], v[166:167], -v[229:230]
	s_delay_alu instid0(VALU_DEP_2) | instskip(NEXT) | instid1(VALU_DEP_2)
	v_add_f64 v[162:163], v[164:165], -v[162:163]
	v_add_f64 v[149:150], v[149:150], v[166:167]
	s_delay_alu instid0(VALU_DEP_2) | instskip(NEXT) | instid1(VALU_DEP_1)
	v_add_f64 v[160:161], v[160:161], -v[162:163]
	v_add_f64 v[149:150], v[149:150], v[160:161]
	s_delay_alu instid0(VALU_DEP_1) | instskip(NEXT) | instid1(VALU_DEP_1)
	v_add_f64 v[149:150], v[164:165], v[149:150]
	v_dual_cndmask_b32 v150, v150, v148 :: v_dual_cndmask_b32 v149, v149, v147
	v_cmp_ngt_f64_e32 vcc_lo, -1.0, v[147:148]
	s_delay_alu instid0(VALU_DEP_2) | instskip(SKIP_1) | instid1(VALU_DEP_4)
	v_cndmask_b32_e32 v150, 0x7ff80000, v150, vcc_lo
	v_cmp_nge_f64_e32 vcc_lo, -1.0, v[147:148]
	v_cndmask_b32_e32 v149, 0, v149, vcc_lo
	v_cmp_neq_f64_e32 vcc_lo, -1.0, v[147:148]
	s_delay_alu instid0(VALU_DEP_4) | instskip(NEXT) | instid1(VALU_DEP_1)
	v_cndmask_b32_e32 v150, 0xfff00000, v150, vcc_lo
	v_add_f64 v[147:148], v[6:7], v[149:150]
.LBB76_151:
	s_or_b32 exec_lo, exec_lo, s27
	s_delay_alu instid0(VALU_DEP_1)
	v_dual_mov_b32 v149, v147 :: v_dual_mov_b32 v150, v148
	v_dual_mov_b32 v6, v147 :: v_dual_mov_b32 v7, v148
.LBB76_152:
	s_or_b32 exec_lo, exec_lo, s26
	v_cmp_gt_u32_e32 vcc_lo, 24, v212
	v_add_nc_u32_e32 v230, 8, v212
	s_mov_b32 s26, exec_lo
	s_waitcnt lgkmcnt(1)
	v_cndmask_b32_e64 v147, 0, 1, vcc_lo
	s_delay_alu instid0(VALU_DEP_1) | instskip(NEXT) | instid1(VALU_DEP_1)
	v_lshlrev_b32_e32 v147, 3, v147
	v_add_lshl_u32 v229, v147, v212, 2
	ds_bpermute_b32 v147, v229, v149
	s_waitcnt lgkmcnt(1)
	ds_bpermute_b32 v148, v229, v150
	v_cmpx_le_u32_e64 v230, v9
	s_cbranch_execz .LBB76_156
; %bb.153:
	s_waitcnt lgkmcnt(0)
	v_max_f64 v[149:150], v[147:148], v[147:148]
	v_max_f64 v[160:161], v[6:7], v[6:7]
	v_cmp_u_f64_e32 vcc_lo, v[147:148], v[147:148]
	v_cmp_u_f64_e64 s20, v[6:7], v[6:7]
	s_delay_alu instid0(VALU_DEP_3) | instskip(SKIP_1) | instid1(VALU_DEP_2)
	v_min_f64 v[162:163], v[149:150], v[160:161]
	v_max_f64 v[149:150], v[149:150], v[160:161]
	v_dual_cndmask_b32 v151, v162, v147 :: v_dual_cndmask_b32 v160, v163, v148
	s_delay_alu instid0(VALU_DEP_2) | instskip(NEXT) | instid1(VALU_DEP_2)
	v_dual_cndmask_b32 v161, v150, v148 :: v_dual_cndmask_b32 v162, v149, v147
	v_cndmask_b32_e64 v149, v151, v6, s20
	s_delay_alu instid0(VALU_DEP_3) | instskip(NEXT) | instid1(VALU_DEP_3)
	v_cndmask_b32_e64 v150, v160, v7, s20
	v_cndmask_b32_e64 v7, v161, v7, s20
	s_delay_alu instid0(VALU_DEP_4) | instskip(NEXT) | instid1(VALU_DEP_3)
	v_cndmask_b32_e64 v6, v162, v6, s20
	v_cmp_class_f64_e64 s20, v[149:150], 0x1f8
	s_delay_alu instid0(VALU_DEP_2) | instskip(NEXT) | instid1(VALU_DEP_2)
	v_cmp_neq_f64_e32 vcc_lo, v[149:150], v[6:7]
	s_or_b32 s20, vcc_lo, s20
	s_delay_alu instid0(SALU_CYCLE_1)
	s_and_saveexec_b32 s27, s20
	s_cbranch_execz .LBB76_155
; %bb.154:
	v_add_f64 v[147:148], v[149:150], -v[6:7]
	s_mov_b32 s20, 0x652b82fe
	s_mov_b32 s21, 0x3ff71547
	;; [unrolled: 1-line block ×8, first 2 shown]
	s_delay_alu instid0(VALU_DEP_1) | instskip(SKIP_3) | instid1(VALU_DEP_2)
	v_mul_f64 v[149:150], v[147:148], s[20:21]
	s_mov_b32 s20, 0xfca7ab0c
	s_mov_b32 s21, 0x3e928af3
	v_cmp_nlt_f64_e32 vcc_lo, 0x40900000, v[147:148]
	v_rndne_f64_e32 v[149:150], v[149:150]
	s_delay_alu instid0(VALU_DEP_1) | instskip(SKIP_2) | instid1(VALU_DEP_2)
	v_fma_f64 v[160:161], v[149:150], s[22:23], v[147:148]
	v_cvt_i32_f64_e32 v151, v[149:150]
	s_mov_b32 s23, 0x3fe62e42
	v_fma_f64 v[160:161], v[149:150], s[24:25], v[160:161]
	s_mov_b32 s25, 0x3c7abc9e
	s_delay_alu instid0(VALU_DEP_1) | instskip(SKIP_4) | instid1(VALU_DEP_1)
	v_fma_f64 v[162:163], v[160:161], s[28:29], s[20:21]
	s_mov_b32 s20, 0x623fde64
	s_mov_b32 s21, 0x3ec71dee
	;; [unrolled: 1-line block ×4, first 2 shown]
	v_fma_f64 v[162:163], v[160:161], v[162:163], s[20:21]
	s_mov_b32 s20, 0x7c89e6b0
	s_mov_b32 s21, 0x3efa0199
	s_delay_alu instid0(VALU_DEP_1) | instid1(SALU_CYCLE_1)
	v_fma_f64 v[162:163], v[160:161], v[162:163], s[20:21]
	s_mov_b32 s20, 0x14761f6e
	s_mov_b32 s21, 0x3f2a01a0
	s_delay_alu instid0(VALU_DEP_1) | instid1(SALU_CYCLE_1)
	;; [unrolled: 4-line block ×7, first 2 shown]
	v_fma_f64 v[162:163], v[160:161], v[162:163], s[20:21]
	v_cmp_ngt_f64_e64 s20, 0xc090cc00, v[147:148]
	s_mov_b32 s21, 0x3fe55555
	s_delay_alu instid0(VALU_DEP_2) | instskip(NEXT) | instid1(VALU_DEP_1)
	v_fma_f64 v[162:163], v[160:161], v[162:163], 1.0
	v_fma_f64 v[149:150], v[160:161], v[162:163], 1.0
	s_delay_alu instid0(VALU_DEP_1) | instskip(NEXT) | instid1(VALU_DEP_1)
	v_ldexp_f64 v[149:150], v[149:150], v151
	v_cndmask_b32_e32 v150, 0x7ff00000, v150, vcc_lo
	s_and_b32 vcc_lo, s20, vcc_lo
	s_delay_alu instid0(VALU_DEP_1) | instskip(NEXT) | instid1(VALU_DEP_3)
	v_cndmask_b32_e64 v148, 0, v150, s20
	v_cndmask_b32_e32 v147, 0, v149, vcc_lo
	s_mov_b32 s20, 0x55555555
	s_delay_alu instid0(VALU_DEP_1) | instskip(NEXT) | instid1(VALU_DEP_1)
	v_add_f64 v[149:150], v[147:148], 1.0
	v_frexp_mant_f64_e32 v[160:161], v[149:150]
	v_frexp_exp_i32_f64_e32 v151, v[149:150]
	v_add_f64 v[162:163], v[149:150], -1.0
	s_delay_alu instid0(VALU_DEP_3) | instskip(SKIP_1) | instid1(VALU_DEP_2)
	v_cmp_gt_f64_e32 vcc_lo, s[20:21], v[160:161]
	s_mov_b32 s20, 0x55555780
	v_add_f64 v[160:161], v[162:163], -v[149:150]
	v_add_f64 v[162:163], v[147:148], -v[162:163]
	v_subrev_co_ci_u32_e32 v151, vcc_lo, 0, v151, vcc_lo
	s_delay_alu instid0(VALU_DEP_3) | instskip(SKIP_2) | instid1(VALU_DEP_2)
	v_add_f64 v[160:161], v[160:161], 1.0
	s_mov_b32 vcc_lo, 0xbf559e2b
	s_mov_b32 vcc_hi, 0x3fc3ab76
	v_sub_nc_u32_e32 v166, 0, v151
	s_delay_alu instid0(VALU_DEP_1) | instskip(NEXT) | instid1(VALU_DEP_3)
	v_ldexp_f64 v[149:150], v[149:150], v166
	v_add_f64 v[160:161], v[162:163], v[160:161]
	s_delay_alu instid0(VALU_DEP_2) | instskip(SKIP_1) | instid1(VALU_DEP_3)
	v_add_f64 v[164:165], v[149:150], 1.0
	v_add_f64 v[240:241], v[149:150], -1.0
	v_ldexp_f64 v[160:161], v[160:161], v166
	s_delay_alu instid0(VALU_DEP_3) | instskip(NEXT) | instid1(VALU_DEP_3)
	v_add_f64 v[162:163], v[164:165], -1.0
	v_add_f64 v[242:243], v[240:241], 1.0
	s_delay_alu instid0(VALU_DEP_2) | instskip(NEXT) | instid1(VALU_DEP_2)
	v_add_f64 v[162:163], v[149:150], -v[162:163]
	v_add_f64 v[149:150], v[149:150], -v[242:243]
	s_delay_alu instid0(VALU_DEP_2) | instskip(NEXT) | instid1(VALU_DEP_2)
	v_add_f64 v[162:163], v[160:161], v[162:163]
	v_add_f64 v[149:150], v[160:161], v[149:150]
	s_delay_alu instid0(VALU_DEP_2) | instskip(NEXT) | instid1(VALU_DEP_2)
	v_add_f64 v[166:167], v[164:165], v[162:163]
	v_add_f64 v[242:243], v[240:241], v[149:150]
	s_delay_alu instid0(VALU_DEP_2) | instskip(SKIP_1) | instid1(VALU_DEP_2)
	v_rcp_f64_e32 v[176:177], v[166:167]
	v_add_f64 v[164:165], v[166:167], -v[164:165]
	v_add_f64 v[240:241], v[242:243], -v[240:241]
	s_delay_alu instid0(VALU_DEP_2) | instskip(SKIP_3) | instid1(VALU_DEP_2)
	v_add_f64 v[162:163], v[162:163], -v[164:165]
	s_waitcnt_depctr 0xfff
	v_fma_f64 v[244:245], -v[166:167], v[176:177], 1.0
	v_add_f64 v[149:150], v[149:150], -v[240:241]
	v_fma_f64 v[176:177], v[244:245], v[176:177], v[176:177]
	s_delay_alu instid0(VALU_DEP_1) | instskip(NEXT) | instid1(VALU_DEP_1)
	v_fma_f64 v[160:161], -v[166:167], v[176:177], 1.0
	v_fma_f64 v[160:161], v[160:161], v[176:177], v[176:177]
	s_delay_alu instid0(VALU_DEP_1) | instskip(NEXT) | instid1(VALU_DEP_1)
	v_mul_f64 v[176:177], v[242:243], v[160:161]
	v_mul_f64 v[244:245], v[166:167], v[176:177]
	s_delay_alu instid0(VALU_DEP_1) | instskip(NEXT) | instid1(VALU_DEP_1)
	v_fma_f64 v[164:165], v[176:177], v[166:167], -v[244:245]
	v_fma_f64 v[164:165], v[176:177], v[162:163], v[164:165]
	s_delay_alu instid0(VALU_DEP_1) | instskip(NEXT) | instid1(VALU_DEP_1)
	v_add_f64 v[246:247], v[244:245], v[164:165]
	v_add_f64 v[40:41], v[242:243], -v[246:247]
	v_add_f64 v[240:241], v[246:247], -v[244:245]
	s_delay_alu instid0(VALU_DEP_2) | instskip(NEXT) | instid1(VALU_DEP_2)
	v_add_f64 v[242:243], v[242:243], -v[40:41]
	v_add_f64 v[164:165], v[240:241], -v[164:165]
	s_delay_alu instid0(VALU_DEP_2) | instskip(NEXT) | instid1(VALU_DEP_1)
	v_add_f64 v[242:243], v[242:243], -v[246:247]
	v_add_f64 v[149:150], v[149:150], v[242:243]
	s_delay_alu instid0(VALU_DEP_1) | instskip(NEXT) | instid1(VALU_DEP_1)
	v_add_f64 v[149:150], v[164:165], v[149:150]
	v_add_f64 v[164:165], v[40:41], v[149:150]
	s_delay_alu instid0(VALU_DEP_1) | instskip(SKIP_1) | instid1(VALU_DEP_2)
	v_mul_f64 v[240:241], v[160:161], v[164:165]
	v_add_f64 v[246:247], v[40:41], -v[164:165]
	v_mul_f64 v[242:243], v[166:167], v[240:241]
	s_delay_alu instid0(VALU_DEP_2) | instskip(NEXT) | instid1(VALU_DEP_2)
	v_add_f64 v[149:150], v[149:150], v[246:247]
	v_fma_f64 v[166:167], v[240:241], v[166:167], -v[242:243]
	s_delay_alu instid0(VALU_DEP_1) | instskip(NEXT) | instid1(VALU_DEP_1)
	v_fma_f64 v[162:163], v[240:241], v[162:163], v[166:167]
	v_add_f64 v[166:167], v[242:243], v[162:163]
	s_delay_alu instid0(VALU_DEP_1) | instskip(SKIP_1) | instid1(VALU_DEP_2)
	v_add_f64 v[244:245], v[164:165], -v[166:167]
	v_add_f64 v[242:243], v[166:167], -v[242:243]
	;; [unrolled: 1-line block ×3, first 2 shown]
	s_delay_alu instid0(VALU_DEP_2) | instskip(NEXT) | instid1(VALU_DEP_2)
	v_add_f64 v[162:163], v[242:243], -v[162:163]
	v_add_f64 v[164:165], v[164:165], -v[166:167]
	s_delay_alu instid0(VALU_DEP_1) | instskip(SKIP_1) | instid1(VALU_DEP_2)
	v_add_f64 v[149:150], v[149:150], v[164:165]
	v_add_f64 v[164:165], v[176:177], v[240:241]
	;; [unrolled: 1-line block ×3, first 2 shown]
	s_delay_alu instid0(VALU_DEP_2) | instskip(NEXT) | instid1(VALU_DEP_2)
	v_add_f64 v[162:163], v[164:165], -v[176:177]
	v_add_f64 v[149:150], v[244:245], v[149:150]
	s_delay_alu instid0(VALU_DEP_2) | instskip(NEXT) | instid1(VALU_DEP_2)
	v_add_f64 v[162:163], v[240:241], -v[162:163]
	v_mul_f64 v[149:150], v[160:161], v[149:150]
	s_delay_alu instid0(VALU_DEP_1) | instskip(NEXT) | instid1(VALU_DEP_1)
	v_add_f64 v[149:150], v[162:163], v[149:150]
	v_add_f64 v[160:161], v[164:165], v[149:150]
	s_delay_alu instid0(VALU_DEP_1) | instskip(NEXT) | instid1(VALU_DEP_1)
	v_mul_f64 v[162:163], v[160:161], v[160:161]
	v_fma_f64 v[166:167], v[162:163], vcc, s[28:29]
	s_mov_b32 s28, 0xd7f4df2e
	s_mov_b32 s29, 0x3fc7474d
	v_mul_f64 v[176:177], v[160:161], v[162:163]
	v_cmp_eq_f64_e32 vcc_lo, 0x7ff00000, v[147:148]
	s_delay_alu instid0(VALU_DEP_3)
	v_fma_f64 v[166:167], v[162:163], v[166:167], s[28:29]
	s_mov_b32 s28, 0x16291751
	s_mov_b32 s29, 0x3fcc71c0
	s_delay_alu instid0(VALU_DEP_1) | instid1(SALU_CYCLE_1)
	v_fma_f64 v[166:167], v[162:163], v[166:167], s[28:29]
	s_mov_b32 s28, 0x9b27acf1
	s_mov_b32 s29, 0x3fd24924
	s_delay_alu instid0(VALU_DEP_1) | instid1(SALU_CYCLE_1)
	;; [unrolled: 4-line block ×3, first 2 shown]
	v_fma_f64 v[166:167], v[162:163], v[166:167], s[28:29]
	s_delay_alu instid0(VALU_DEP_1) | instskip(SKIP_2) | instid1(VALU_DEP_3)
	v_fma_f64 v[162:163], v[162:163], v[166:167], s[20:21]
	v_ldexp_f64 v[166:167], v[160:161], 1
	v_add_f64 v[160:161], v[160:161], -v[164:165]
	v_mul_f64 v[162:163], v[176:177], v[162:163]
	v_cvt_f64_i32_e32 v[176:177], v151
	s_delay_alu instid0(VALU_DEP_3) | instskip(NEXT) | instid1(VALU_DEP_3)
	v_add_f64 v[149:150], v[149:150], -v[160:161]
	v_add_f64 v[164:165], v[166:167], v[162:163]
	s_delay_alu instid0(VALU_DEP_3) | instskip(NEXT) | instid1(VALU_DEP_3)
	v_mul_f64 v[240:241], v[176:177], s[22:23]
	v_ldexp_f64 v[149:150], v[149:150], 1
	s_delay_alu instid0(VALU_DEP_3) | instskip(NEXT) | instid1(VALU_DEP_3)
	v_add_f64 v[160:161], v[164:165], -v[166:167]
	v_fma_f64 v[166:167], v[176:177], s[22:23], -v[240:241]
	s_delay_alu instid0(VALU_DEP_2) | instskip(NEXT) | instid1(VALU_DEP_2)
	v_add_f64 v[160:161], v[162:163], -v[160:161]
	v_fma_f64 v[162:163], v[176:177], s[24:25], v[166:167]
	s_delay_alu instid0(VALU_DEP_2) | instskip(NEXT) | instid1(VALU_DEP_2)
	v_add_f64 v[149:150], v[149:150], v[160:161]
	v_add_f64 v[160:161], v[240:241], v[162:163]
	s_delay_alu instid0(VALU_DEP_2) | instskip(NEXT) | instid1(VALU_DEP_2)
	v_add_f64 v[166:167], v[164:165], v[149:150]
	v_add_f64 v[240:241], v[160:161], -v[240:241]
	s_delay_alu instid0(VALU_DEP_2) | instskip(SKIP_1) | instid1(VALU_DEP_3)
	v_add_f64 v[176:177], v[160:161], v[166:167]
	v_add_f64 v[164:165], v[166:167], -v[164:165]
	v_add_f64 v[162:163], v[162:163], -v[240:241]
	s_delay_alu instid0(VALU_DEP_3) | instskip(NEXT) | instid1(VALU_DEP_3)
	v_add_f64 v[242:243], v[176:177], -v[160:161]
	v_add_f64 v[149:150], v[149:150], -v[164:165]
	s_delay_alu instid0(VALU_DEP_2) | instskip(SKIP_1) | instid1(VALU_DEP_3)
	v_add_f64 v[244:245], v[176:177], -v[242:243]
	v_add_f64 v[164:165], v[166:167], -v[242:243]
	v_add_f64 v[166:167], v[162:163], v[149:150]
	s_delay_alu instid0(VALU_DEP_3) | instskip(NEXT) | instid1(VALU_DEP_1)
	v_add_f64 v[160:161], v[160:161], -v[244:245]
	v_add_f64 v[160:161], v[164:165], v[160:161]
	s_delay_alu instid0(VALU_DEP_3) | instskip(NEXT) | instid1(VALU_DEP_2)
	v_add_f64 v[164:165], v[166:167], -v[162:163]
	v_add_f64 v[160:161], v[166:167], v[160:161]
	s_delay_alu instid0(VALU_DEP_2) | instskip(SKIP_1) | instid1(VALU_DEP_3)
	v_add_f64 v[166:167], v[166:167], -v[164:165]
	v_add_f64 v[149:150], v[149:150], -v[164:165]
	v_add_f64 v[240:241], v[176:177], v[160:161]
	s_delay_alu instid0(VALU_DEP_3) | instskip(NEXT) | instid1(VALU_DEP_2)
	v_add_f64 v[162:163], v[162:163], -v[166:167]
	v_add_f64 v[164:165], v[240:241], -v[176:177]
	s_delay_alu instid0(VALU_DEP_2) | instskip(NEXT) | instid1(VALU_DEP_2)
	v_add_f64 v[149:150], v[149:150], v[162:163]
	v_add_f64 v[160:161], v[160:161], -v[164:165]
	s_delay_alu instid0(VALU_DEP_1) | instskip(NEXT) | instid1(VALU_DEP_1)
	v_add_f64 v[149:150], v[149:150], v[160:161]
	v_add_f64 v[149:150], v[240:241], v[149:150]
	s_delay_alu instid0(VALU_DEP_1) | instskip(SKIP_1) | instid1(VALU_DEP_2)
	v_dual_cndmask_b32 v150, v150, v148 :: v_dual_cndmask_b32 v149, v149, v147
	v_cmp_ngt_f64_e32 vcc_lo, -1.0, v[147:148]
	v_cndmask_b32_e32 v150, 0x7ff80000, v150, vcc_lo
	v_cmp_nge_f64_e32 vcc_lo, -1.0, v[147:148]
	s_delay_alu instid0(VALU_DEP_4) | instskip(SKIP_1) | instid1(VALU_DEP_4)
	v_cndmask_b32_e32 v149, 0, v149, vcc_lo
	v_cmp_neq_f64_e32 vcc_lo, -1.0, v[147:148]
	v_cndmask_b32_e32 v150, 0xfff00000, v150, vcc_lo
	s_delay_alu instid0(VALU_DEP_1)
	v_add_f64 v[147:148], v[6:7], v[149:150]
.LBB76_155:
	s_or_b32 exec_lo, exec_lo, s27
	s_delay_alu instid0(VALU_DEP_1)
	v_dual_mov_b32 v149, v147 :: v_dual_mov_b32 v150, v148
	v_dual_mov_b32 v6, v147 :: v_dual_mov_b32 v7, v148
.LBB76_156:
	s_or_b32 exec_lo, exec_lo, s26
	v_cmp_gt_u32_e32 vcc_lo, 16, v212
	v_add_nc_u32_e32 v240, 16, v212
	s_mov_b32 s26, exec_lo
	s_waitcnt lgkmcnt(1)
	v_cndmask_b32_e64 v147, 0, 1, vcc_lo
	s_delay_alu instid0(VALU_DEP_1) | instskip(NEXT) | instid1(VALU_DEP_1)
	v_lshlrev_b32_e32 v147, 4, v147
	v_add_lshl_u32 v231, v147, v212, 2
	ds_bpermute_b32 v147, v231, v149
	s_waitcnt lgkmcnt(1)
	ds_bpermute_b32 v148, v231, v150
	v_cmpx_le_u32_e64 v240, v9
	s_cbranch_execz .LBB76_160
; %bb.157:
	s_waitcnt lgkmcnt(0)
	v_max_f64 v[149:150], v[147:148], v[147:148]
	v_max_f64 v[160:161], v[6:7], v[6:7]
	v_cmp_u_f64_e32 vcc_lo, v[147:148], v[147:148]
	v_cmp_u_f64_e64 s20, v[6:7], v[6:7]
	s_delay_alu instid0(VALU_DEP_3) | instskip(SKIP_1) | instid1(VALU_DEP_2)
	v_min_f64 v[162:163], v[149:150], v[160:161]
	v_max_f64 v[149:150], v[149:150], v[160:161]
	v_cndmask_b32_e32 v9, v162, v147, vcc_lo
	s_delay_alu instid0(VALU_DEP_3) | instskip(NEXT) | instid1(VALU_DEP_3)
	v_cndmask_b32_e32 v151, v163, v148, vcc_lo
	v_dual_cndmask_b32 v160, v150, v148 :: v_dual_cndmask_b32 v161, v149, v147
	s_delay_alu instid0(VALU_DEP_3) | instskip(NEXT) | instid1(VALU_DEP_3)
	v_cndmask_b32_e64 v149, v9, v6, s20
	v_cndmask_b32_e64 v150, v151, v7, s20
	s_delay_alu instid0(VALU_DEP_3) | instskip(NEXT) | instid1(VALU_DEP_4)
	v_cndmask_b32_e64 v7, v160, v7, s20
	v_cndmask_b32_e64 v6, v161, v6, s20
	s_delay_alu instid0(VALU_DEP_3) | instskip(NEXT) | instid1(VALU_DEP_2)
	v_cmp_class_f64_e64 s20, v[149:150], 0x1f8
	v_cmp_neq_f64_e32 vcc_lo, v[149:150], v[6:7]
	s_delay_alu instid0(VALU_DEP_2) | instskip(NEXT) | instid1(SALU_CYCLE_1)
	s_or_b32 s20, vcc_lo, s20
	s_and_saveexec_b32 s27, s20
	s_cbranch_execz .LBB76_159
; %bb.158:
	v_add_f64 v[147:148], v[149:150], -v[6:7]
	s_mov_b32 s20, 0x652b82fe
	s_mov_b32 s21, 0x3ff71547
	;; [unrolled: 1-line block ×8, first 2 shown]
	s_delay_alu instid0(VALU_DEP_1) | instskip(SKIP_3) | instid1(VALU_DEP_2)
	v_mul_f64 v[149:150], v[147:148], s[20:21]
	s_mov_b32 s20, 0xfca7ab0c
	s_mov_b32 s21, 0x3e928af3
	v_cmp_nlt_f64_e32 vcc_lo, 0x40900000, v[147:148]
	v_rndne_f64_e32 v[149:150], v[149:150]
	s_delay_alu instid0(VALU_DEP_1) | instskip(SKIP_2) | instid1(VALU_DEP_2)
	v_fma_f64 v[160:161], v[149:150], s[22:23], v[147:148]
	v_cvt_i32_f64_e32 v9, v[149:150]
	s_mov_b32 s23, 0x3fe62e42
	v_fma_f64 v[160:161], v[149:150], s[24:25], v[160:161]
	s_mov_b32 s25, 0x3c7abc9e
	s_delay_alu instid0(VALU_DEP_1) | instskip(SKIP_4) | instid1(VALU_DEP_1)
	v_fma_f64 v[162:163], v[160:161], s[28:29], s[20:21]
	s_mov_b32 s20, 0x623fde64
	s_mov_b32 s21, 0x3ec71dee
	;; [unrolled: 1-line block ×4, first 2 shown]
	v_fma_f64 v[162:163], v[160:161], v[162:163], s[20:21]
	s_mov_b32 s20, 0x7c89e6b0
	s_mov_b32 s21, 0x3efa0199
	s_delay_alu instid0(VALU_DEP_1) | instid1(SALU_CYCLE_1)
	v_fma_f64 v[162:163], v[160:161], v[162:163], s[20:21]
	s_mov_b32 s20, 0x14761f6e
	s_mov_b32 s21, 0x3f2a01a0
	s_delay_alu instid0(VALU_DEP_1) | instid1(SALU_CYCLE_1)
	;; [unrolled: 4-line block ×7, first 2 shown]
	v_fma_f64 v[162:163], v[160:161], v[162:163], s[20:21]
	v_cmp_ngt_f64_e64 s20, 0xc090cc00, v[147:148]
	s_mov_b32 s21, 0x3fe55555
	s_delay_alu instid0(VALU_DEP_2) | instskip(NEXT) | instid1(VALU_DEP_1)
	v_fma_f64 v[162:163], v[160:161], v[162:163], 1.0
	v_fma_f64 v[149:150], v[160:161], v[162:163], 1.0
	s_delay_alu instid0(VALU_DEP_1) | instskip(NEXT) | instid1(VALU_DEP_1)
	v_ldexp_f64 v[149:150], v[149:150], v9
	v_cndmask_b32_e32 v9, 0x7ff00000, v150, vcc_lo
	s_and_b32 vcc_lo, s20, vcc_lo
	s_delay_alu instid0(VALU_DEP_2) | instskip(NEXT) | instid1(VALU_DEP_2)
	v_cndmask_b32_e32 v147, 0, v149, vcc_lo
	v_cndmask_b32_e64 v148, 0, v9, s20
	s_mov_b32 s20, 0x55555555
	s_delay_alu instid0(VALU_DEP_1) | instskip(NEXT) | instid1(VALU_DEP_1)
	v_add_f64 v[149:150], v[147:148], 1.0
	v_frexp_mant_f64_e32 v[160:161], v[149:150]
	v_frexp_exp_i32_f64_e32 v9, v[149:150]
	v_add_f64 v[162:163], v[149:150], -1.0
	s_delay_alu instid0(VALU_DEP_3) | instskip(SKIP_1) | instid1(VALU_DEP_2)
	v_cmp_gt_f64_e32 vcc_lo, s[20:21], v[160:161]
	s_mov_b32 s20, 0x55555780
	v_add_f64 v[160:161], v[162:163], -v[149:150]
	v_add_f64 v[162:163], v[147:148], -v[162:163]
	v_subrev_co_ci_u32_e32 v9, vcc_lo, 0, v9, vcc_lo
	s_delay_alu instid0(VALU_DEP_3) | instskip(SKIP_2) | instid1(VALU_DEP_2)
	v_add_f64 v[160:161], v[160:161], 1.0
	s_mov_b32 vcc_lo, 0xbf559e2b
	s_mov_b32 vcc_hi, 0x3fc3ab76
	v_sub_nc_u32_e32 v151, 0, v9
	s_delay_alu instid0(VALU_DEP_1) | instskip(NEXT) | instid1(VALU_DEP_3)
	v_ldexp_f64 v[149:150], v[149:150], v151
	v_add_f64 v[160:161], v[162:163], v[160:161]
	s_delay_alu instid0(VALU_DEP_2) | instskip(SKIP_1) | instid1(VALU_DEP_3)
	v_add_f64 v[164:165], v[149:150], 1.0
	v_add_f64 v[241:242], v[149:150], -1.0
	v_ldexp_f64 v[160:161], v[160:161], v151
	s_delay_alu instid0(VALU_DEP_3) | instskip(NEXT) | instid1(VALU_DEP_3)
	v_add_f64 v[162:163], v[164:165], -1.0
	v_add_f64 v[243:244], v[241:242], 1.0
	s_delay_alu instid0(VALU_DEP_2) | instskip(NEXT) | instid1(VALU_DEP_2)
	v_add_f64 v[162:163], v[149:150], -v[162:163]
	v_add_f64 v[149:150], v[149:150], -v[243:244]
	s_delay_alu instid0(VALU_DEP_2) | instskip(NEXT) | instid1(VALU_DEP_2)
	v_add_f64 v[162:163], v[160:161], v[162:163]
	v_add_f64 v[149:150], v[160:161], v[149:150]
	s_delay_alu instid0(VALU_DEP_2) | instskip(NEXT) | instid1(VALU_DEP_2)
	v_add_f64 v[166:167], v[164:165], v[162:163]
	v_add_f64 v[243:244], v[241:242], v[149:150]
	s_delay_alu instid0(VALU_DEP_2) | instskip(SKIP_1) | instid1(VALU_DEP_2)
	v_rcp_f64_e32 v[176:177], v[166:167]
	v_add_f64 v[164:165], v[166:167], -v[164:165]
	v_add_f64 v[241:242], v[243:244], -v[241:242]
	s_delay_alu instid0(VALU_DEP_2) | instskip(SKIP_3) | instid1(VALU_DEP_2)
	v_add_f64 v[162:163], v[162:163], -v[164:165]
	s_waitcnt_depctr 0xfff
	v_fma_f64 v[245:246], -v[166:167], v[176:177], 1.0
	v_add_f64 v[149:150], v[149:150], -v[241:242]
	v_fma_f64 v[176:177], v[245:246], v[176:177], v[176:177]
	s_delay_alu instid0(VALU_DEP_1) | instskip(NEXT) | instid1(VALU_DEP_1)
	v_fma_f64 v[160:161], -v[166:167], v[176:177], 1.0
	v_fma_f64 v[160:161], v[160:161], v[176:177], v[176:177]
	s_delay_alu instid0(VALU_DEP_1) | instskip(NEXT) | instid1(VALU_DEP_1)
	v_mul_f64 v[176:177], v[243:244], v[160:161]
	v_mul_f64 v[245:246], v[166:167], v[176:177]
	s_delay_alu instid0(VALU_DEP_1) | instskip(NEXT) | instid1(VALU_DEP_1)
	v_fma_f64 v[164:165], v[176:177], v[166:167], -v[245:246]
	v_fma_f64 v[164:165], v[176:177], v[162:163], v[164:165]
	s_delay_alu instid0(VALU_DEP_1) | instskip(NEXT) | instid1(VALU_DEP_1)
	v_add_f64 v[40:41], v[245:246], v[164:165]
	v_add_f64 v[42:43], v[243:244], -v[40:41]
	v_add_f64 v[241:242], v[40:41], -v[245:246]
	s_delay_alu instid0(VALU_DEP_2) | instskip(NEXT) | instid1(VALU_DEP_2)
	v_add_f64 v[243:244], v[243:244], -v[42:43]
	v_add_f64 v[164:165], v[241:242], -v[164:165]
	s_delay_alu instid0(VALU_DEP_2) | instskip(NEXT) | instid1(VALU_DEP_1)
	v_add_f64 v[243:244], v[243:244], -v[40:41]
	v_add_f64 v[149:150], v[149:150], v[243:244]
	s_delay_alu instid0(VALU_DEP_1) | instskip(NEXT) | instid1(VALU_DEP_1)
	v_add_f64 v[149:150], v[164:165], v[149:150]
	v_add_f64 v[164:165], v[42:43], v[149:150]
	s_delay_alu instid0(VALU_DEP_1) | instskip(SKIP_1) | instid1(VALU_DEP_2)
	v_mul_f64 v[241:242], v[160:161], v[164:165]
	v_add_f64 v[40:41], v[42:43], -v[164:165]
	v_mul_f64 v[243:244], v[166:167], v[241:242]
	s_delay_alu instid0(VALU_DEP_2) | instskip(NEXT) | instid1(VALU_DEP_2)
	v_add_f64 v[149:150], v[149:150], v[40:41]
	v_fma_f64 v[166:167], v[241:242], v[166:167], -v[243:244]
	s_delay_alu instid0(VALU_DEP_1) | instskip(NEXT) | instid1(VALU_DEP_1)
	v_fma_f64 v[162:163], v[241:242], v[162:163], v[166:167]
	v_add_f64 v[166:167], v[243:244], v[162:163]
	s_delay_alu instid0(VALU_DEP_1) | instskip(SKIP_1) | instid1(VALU_DEP_2)
	v_add_f64 v[245:246], v[164:165], -v[166:167]
	v_add_f64 v[243:244], v[166:167], -v[243:244]
	;; [unrolled: 1-line block ×3, first 2 shown]
	s_delay_alu instid0(VALU_DEP_2) | instskip(NEXT) | instid1(VALU_DEP_2)
	v_add_f64 v[162:163], v[243:244], -v[162:163]
	v_add_f64 v[164:165], v[164:165], -v[166:167]
	s_delay_alu instid0(VALU_DEP_1) | instskip(SKIP_1) | instid1(VALU_DEP_2)
	v_add_f64 v[149:150], v[149:150], v[164:165]
	v_add_f64 v[164:165], v[176:177], v[241:242]
	;; [unrolled: 1-line block ×3, first 2 shown]
	s_delay_alu instid0(VALU_DEP_2) | instskip(NEXT) | instid1(VALU_DEP_2)
	v_add_f64 v[162:163], v[164:165], -v[176:177]
	v_add_f64 v[149:150], v[245:246], v[149:150]
	s_delay_alu instid0(VALU_DEP_2) | instskip(NEXT) | instid1(VALU_DEP_2)
	v_add_f64 v[162:163], v[241:242], -v[162:163]
	v_mul_f64 v[149:150], v[160:161], v[149:150]
	s_delay_alu instid0(VALU_DEP_1) | instskip(NEXT) | instid1(VALU_DEP_1)
	v_add_f64 v[149:150], v[162:163], v[149:150]
	v_add_f64 v[160:161], v[164:165], v[149:150]
	s_delay_alu instid0(VALU_DEP_1) | instskip(NEXT) | instid1(VALU_DEP_1)
	v_mul_f64 v[162:163], v[160:161], v[160:161]
	v_fma_f64 v[166:167], v[162:163], vcc, s[28:29]
	s_mov_b32 s28, 0xd7f4df2e
	s_mov_b32 s29, 0x3fc7474d
	v_mul_f64 v[176:177], v[160:161], v[162:163]
	v_cmp_eq_f64_e32 vcc_lo, 0x7ff00000, v[147:148]
	s_delay_alu instid0(VALU_DEP_3)
	v_fma_f64 v[166:167], v[162:163], v[166:167], s[28:29]
	s_mov_b32 s28, 0x16291751
	s_mov_b32 s29, 0x3fcc71c0
	s_delay_alu instid0(VALU_DEP_1) | instid1(SALU_CYCLE_1)
	v_fma_f64 v[166:167], v[162:163], v[166:167], s[28:29]
	s_mov_b32 s28, 0x9b27acf1
	s_mov_b32 s29, 0x3fd24924
	s_delay_alu instid0(VALU_DEP_1) | instid1(SALU_CYCLE_1)
	;; [unrolled: 4-line block ×3, first 2 shown]
	v_fma_f64 v[166:167], v[162:163], v[166:167], s[28:29]
	s_delay_alu instid0(VALU_DEP_1) | instskip(SKIP_2) | instid1(VALU_DEP_3)
	v_fma_f64 v[162:163], v[162:163], v[166:167], s[20:21]
	v_ldexp_f64 v[166:167], v[160:161], 1
	v_add_f64 v[160:161], v[160:161], -v[164:165]
	v_mul_f64 v[162:163], v[176:177], v[162:163]
	v_cvt_f64_i32_e32 v[176:177], v9
	s_delay_alu instid0(VALU_DEP_3) | instskip(NEXT) | instid1(VALU_DEP_3)
	v_add_f64 v[149:150], v[149:150], -v[160:161]
	v_add_f64 v[164:165], v[166:167], v[162:163]
	s_delay_alu instid0(VALU_DEP_3) | instskip(NEXT) | instid1(VALU_DEP_3)
	v_mul_f64 v[241:242], v[176:177], s[22:23]
	v_ldexp_f64 v[149:150], v[149:150], 1
	s_delay_alu instid0(VALU_DEP_3) | instskip(NEXT) | instid1(VALU_DEP_3)
	v_add_f64 v[160:161], v[164:165], -v[166:167]
	v_fma_f64 v[166:167], v[176:177], s[22:23], -v[241:242]
	s_delay_alu instid0(VALU_DEP_2) | instskip(NEXT) | instid1(VALU_DEP_2)
	v_add_f64 v[160:161], v[162:163], -v[160:161]
	v_fma_f64 v[162:163], v[176:177], s[24:25], v[166:167]
	s_delay_alu instid0(VALU_DEP_2) | instskip(NEXT) | instid1(VALU_DEP_2)
	v_add_f64 v[149:150], v[149:150], v[160:161]
	v_add_f64 v[160:161], v[241:242], v[162:163]
	s_delay_alu instid0(VALU_DEP_2) | instskip(NEXT) | instid1(VALU_DEP_2)
	v_add_f64 v[166:167], v[164:165], v[149:150]
	v_add_f64 v[241:242], v[160:161], -v[241:242]
	s_delay_alu instid0(VALU_DEP_2) | instskip(SKIP_1) | instid1(VALU_DEP_3)
	v_add_f64 v[176:177], v[160:161], v[166:167]
	v_add_f64 v[164:165], v[166:167], -v[164:165]
	v_add_f64 v[162:163], v[162:163], -v[241:242]
	s_delay_alu instid0(VALU_DEP_3) | instskip(NEXT) | instid1(VALU_DEP_3)
	v_add_f64 v[243:244], v[176:177], -v[160:161]
	v_add_f64 v[149:150], v[149:150], -v[164:165]
	s_delay_alu instid0(VALU_DEP_2) | instskip(SKIP_1) | instid1(VALU_DEP_3)
	v_add_f64 v[245:246], v[176:177], -v[243:244]
	v_add_f64 v[164:165], v[166:167], -v[243:244]
	v_add_f64 v[166:167], v[162:163], v[149:150]
	s_delay_alu instid0(VALU_DEP_3) | instskip(NEXT) | instid1(VALU_DEP_1)
	v_add_f64 v[160:161], v[160:161], -v[245:246]
	v_add_f64 v[160:161], v[164:165], v[160:161]
	s_delay_alu instid0(VALU_DEP_3) | instskip(NEXT) | instid1(VALU_DEP_2)
	v_add_f64 v[164:165], v[166:167], -v[162:163]
	v_add_f64 v[160:161], v[166:167], v[160:161]
	s_delay_alu instid0(VALU_DEP_2) | instskip(SKIP_1) | instid1(VALU_DEP_3)
	v_add_f64 v[166:167], v[166:167], -v[164:165]
	v_add_f64 v[149:150], v[149:150], -v[164:165]
	v_add_f64 v[241:242], v[176:177], v[160:161]
	s_delay_alu instid0(VALU_DEP_3) | instskip(NEXT) | instid1(VALU_DEP_2)
	v_add_f64 v[162:163], v[162:163], -v[166:167]
	v_add_f64 v[164:165], v[241:242], -v[176:177]
	s_delay_alu instid0(VALU_DEP_2) | instskip(NEXT) | instid1(VALU_DEP_2)
	v_add_f64 v[149:150], v[149:150], v[162:163]
	v_add_f64 v[160:161], v[160:161], -v[164:165]
	s_delay_alu instid0(VALU_DEP_1) | instskip(NEXT) | instid1(VALU_DEP_1)
	v_add_f64 v[149:150], v[149:150], v[160:161]
	v_add_f64 v[149:150], v[241:242], v[149:150]
	s_delay_alu instid0(VALU_DEP_1) | instskip(NEXT) | instid1(VALU_DEP_2)
	v_cndmask_b32_e32 v9, v149, v147, vcc_lo
	v_cndmask_b32_e32 v149, v150, v148, vcc_lo
	v_cmp_ngt_f64_e32 vcc_lo, -1.0, v[147:148]
	s_delay_alu instid0(VALU_DEP_2) | instskip(SKIP_3) | instid1(VALU_DEP_4)
	v_cndmask_b32_e32 v150, 0x7ff80000, v149, vcc_lo
	v_cmp_nge_f64_e32 vcc_lo, -1.0, v[147:148]
	v_cndmask_b32_e32 v149, 0, v9, vcc_lo
	v_cmp_neq_f64_e32 vcc_lo, -1.0, v[147:148]
	v_cndmask_b32_e32 v150, 0xfff00000, v150, vcc_lo
	s_delay_alu instid0(VALU_DEP_1)
	v_add_f64 v[147:148], v[6:7], v[149:150]
.LBB76_159:
	s_or_b32 exec_lo, exec_lo, s27
	s_delay_alu instid0(VALU_DEP_1)
	v_dual_mov_b32 v6, v147 :: v_dual_mov_b32 v7, v148
.LBB76_160:
	s_or_b32 exec_lo, exec_lo, s26
	s_waitcnt lgkmcnt(1)
	v_mov_b32_e32 v147, 0
	s_mov_b32 s24, 0x652b82fe
	s_mov_b32 s26, 0xfefa39ef
	;; [unrolled: 1-line block ×20, first 2 shown]
	s_mov_b64 s[22:23], src_shared_base
	s_mov_b32 s25, 0x3ff71547
	s_mov_b32 s27, 0xbfe62e42
	;; [unrolled: 1-line block ×20, first 2 shown]
	s_mov_b64 vcc, src_private_base
	s_mov_b32 s66, 0x55555780
	s_mov_b32 s69, 0x3fe62e42
	;; [unrolled: 1-line block ×3, first 2 shown]
	s_branch .LBB76_162
.LBB76_161:                             ;   in Loop: Header=BB76_162 Depth=1
	s_or_b32 exec_lo, exec_lo, s21
	v_subrev_nc_u32_e32 v146, 32, v146
.LBB76_162:                             ; =>This Loop Header: Depth=1
                                        ;     Child Loop BB76_174 Depth 2
	s_waitcnt lgkmcnt(0)
	s_delay_alu instid0(VALU_DEP_2) | instskip(NEXT) | instid1(VALU_DEP_3)
	v_dual_mov_b32 v149, v7 :: v_dual_and_b32 v8, 0xff, v8
	v_mov_b32_e32 v148, v6
	s_delay_alu instid0(VALU_DEP_2) | instskip(SKIP_2) | instid1(VALU_DEP_1)
	v_cmp_ne_u16_e32 vcc_lo, 2, v8
	v_cndmask_b32_e64 v8, 0, 1, vcc_lo
	;;#ASMSTART
	;;#ASMEND
	v_cmp_ne_u32_e32 vcc_lo, 0, v8
	s_cmp_lg_u32 vcc_lo, exec_lo
	s_cbranch_scc1 .LBB76_182
; %bb.163:                              ;   in Loop: Header=BB76_162 Depth=1
	v_lshlrev_b64 v[6:7], 4, v[146:147]
                                        ; implicit-def: $vgpr162_vgpr163
                                        ; implicit-def: $vgpr163_vgpr164
                                        ; implicit-def: $vgpr164_vgpr165
                                        ; implicit-def: $vgpr8
                                        ; implicit-def: $vgpr165_vgpr166
                                        ; implicit-def: $vgpr176_vgpr177
                                        ; implicit-def: $vgpr160_vgpr161
	s_delay_alu instid0(VALU_DEP_1) | instskip(NEXT) | instid1(VALU_DEP_2)
	v_add_co_u32 v150, vcc_lo, v116, v6
	v_add_co_ci_u32_e32 v151, vcc_lo, v117, v7, vcc_lo
	s_delay_alu instid0(VALU_DEP_1) | instskip(SKIP_1) | instid1(SALU_CYCLE_1)
	v_cmp_ne_u32_e32 vcc_lo, s23, v151
	s_and_saveexec_b32 s20, vcc_lo
	s_xor_b32 s21, exec_lo, s20
	s_cbranch_execz .LBB76_169
; %bb.164:                              ;   in Loop: Header=BB76_162 Depth=1
	v_cmp_ne_u32_e64 s20, vcc_hi, v151
                                        ; implicit-def: $vgpr162_vgpr163
                                        ; implicit-def: $vgpr163_vgpr164
                                        ; implicit-def: $vgpr164_vgpr165
                                        ; implicit-def: $vgpr8
                                        ; implicit-def: $vgpr165_vgpr166
                                        ; implicit-def: $vgpr176_vgpr177
                                        ; implicit-def: $vgpr160_vgpr161
	s_delay_alu instid0(VALU_DEP_1) | instskip(NEXT) | instid1(SALU_CYCLE_1)
	s_and_saveexec_b32 s22, s20
	s_xor_b32 s20, exec_lo, s22
	s_cbranch_execz .LBB76_166
; %bb.165:                              ;   in Loop: Header=BB76_162 Depth=1
	;;#ASMSTART
	global_load_dwordx4 v[6:9], v[150:151] off glc	
s_waitcnt vmcnt(0)
	;;#ASMEND
	v_lshrrev_b64 v[160:161], 8, v[6:7]
	v_lshlrev_b64 v[161:162], 24, v[8:9]
	v_lshlrev_b64 v[162:163], 16, v[8:9]
	;; [unrolled: 1-line block ×3, first 2 shown]
	v_lshrrev_b32_e32 v164, 8, v7
	v_lshrrev_b32_e32 v163, 16, v7
	;; [unrolled: 1-line block ×3, first 2 shown]
	v_lshrrev_b64 v[176:177], 16, v[6:7]
	v_lshrrev_b64 v[165:166], 24, v[6:7]
	v_or_b32_e32 v164, v164, v161
	v_or_b32_e32 v163, v163, v162
	;; [unrolled: 1-line block ×3, first 2 shown]
.LBB76_166:                             ;   in Loop: Header=BB76_162 Depth=1
	s_and_not1_saveexec_b32 s20, s20
	s_cbranch_execz .LBB76_168
; %bb.167:                              ;   in Loop: Header=BB76_162 Depth=1
	;;#ASMSTART
	flat_load_dwordx4 v[6:9], v[150:151] glc	
s_waitcnt vmcnt(0)
	;;#ASMEND
	v_lshrrev_b64 v[160:161], 8, v[6:7]
	v_lshlrev_b64 v[161:162], 24, v[8:9]
	v_lshlrev_b64 v[162:163], 16, v[8:9]
	;; [unrolled: 1-line block ×3, first 2 shown]
	v_lshrrev_b32_e32 v164, 8, v7
	v_lshrrev_b32_e32 v163, 16, v7
	v_lshrrev_b32_e32 v9, 24, v7
	v_lshrrev_b64 v[176:177], 16, v[6:7]
	v_lshrrev_b64 v[165:166], 24, v[6:7]
	v_or_b32_e32 v164, v164, v161
	v_or_b32_e32 v163, v163, v162
	;; [unrolled: 1-line block ×3, first 2 shown]
.LBB76_168:                             ;   in Loop: Header=BB76_162 Depth=1
	s_or_b32 exec_lo, exec_lo, s20
.LBB76_169:                             ;   in Loop: Header=BB76_162 Depth=1
	s_and_not1_saveexec_b32 s21, s21
	s_cbranch_execz .LBB76_171
; %bb.170:                              ;   in Loop: Header=BB76_162 Depth=1
	v_cmp_ne_u64_e64 s20, 0, v[150:151]
	s_delay_alu instid0(VALU_DEP_1) | instskip(SKIP_1) | instid1(VALU_DEP_1)
	v_cndmask_b32_e64 v6, -1, v150, s20
	;;#ASMSTART
	ds_read_b128 v[6:9], v6 	
s_waitcnt lgkmcnt(0)
	;;#ASMEND
	v_lshrrev_b64 v[160:161], 8, v[6:7]
	v_lshlrev_b64 v[161:162], 24, v[8:9]
	v_lshlrev_b64 v[162:163], 16, v[8:9]
	;; [unrolled: 1-line block ×3, first 2 shown]
	v_lshrrev_b32_e32 v164, 8, v7
	v_lshrrev_b32_e32 v163, 16, v7
	;; [unrolled: 1-line block ×3, first 2 shown]
	v_lshrrev_b64 v[176:177], 16, v[6:7]
	v_lshrrev_b64 v[165:166], 24, v[6:7]
	v_or_b32_e32 v164, v164, v161
	v_or_b32_e32 v163, v163, v162
	;; [unrolled: 1-line block ×3, first 2 shown]
.LBB76_171:                             ;   in Loop: Header=BB76_162 Depth=1
	s_or_b32 exec_lo, exec_lo, s21
	v_lshlrev_b32_e32 v9, 8, v160
	v_lshlrev_b32_e32 v160, 16, v176
	v_lshlrev_b32_e32 v161, 24, v165
	v_lshlrev_b32_e32 v164, 8, v164
	v_and_b32_e32 v7, 0xff, v7
	v_perm_b32 v6, v9, v6, 0xc0c0500
	v_and_b32_e32 v9, 0xff0000, v160
	v_lshlrev_b32_e32 v160, 16, v163
	v_and_b32_e32 v163, 0xff00, v164
	s_mov_b32 s22, exec_lo
	s_delay_alu instid0(VALU_DEP_3)
	v_or3_b32 v6, v6, v9, v161
	v_lshlrev_b32_e32 v9, 24, v162
	v_and_b32_e32 v160, 0xff0000, v160
	v_or3_b32 v7, 0, v7, v163
	v_and_b32_e32 v162, 0xff, v8
	v_or3_b32 v6, v6, 0, 0
	s_delay_alu instid0(VALU_DEP_3) | instskip(NEXT) | instid1(VALU_DEP_2)
	v_or3_b32 v161, v7, v160, v9
	v_or3_b32 v160, v6, 0, 0
	s_delay_alu instid0(VALU_DEP_4)
	v_cmpx_eq_u16_e64 0, v162
	s_cbranch_execz .LBB76_184
; %bb.172:                              ;   in Loop: Header=BB76_162 Depth=1
	v_cmp_ne_u64_e64 s21, 0, v[150:151]
	v_cmp_ne_u32_e64 s20, vcc_hi, v151
	s_mov_b32 s67, 0
	s_delay_alu instid0(VALU_DEP_2)
	v_cndmask_b32_e64 v241, -1, v150, s21
	s_branch .LBB76_174
.LBB76_173:                             ;   in Loop: Header=BB76_174 Depth=2
	s_or_b32 exec_lo, exec_lo, s21
	v_and_b32_e32 v9, 0xff, v8
	s_delay_alu instid0(VALU_DEP_1) | instskip(NEXT) | instid1(VALU_DEP_1)
	v_cmp_ne_u16_e64 s21, 0, v9
	s_or_b32 s67, s21, s67
	s_delay_alu instid0(SALU_CYCLE_1)
	s_and_not1_b32 exec_lo, exec_lo, s67
	s_cbranch_execz .LBB76_183
.LBB76_174:                             ;   Parent Loop BB76_162 Depth=1
                                        ; =>  This Inner Loop Header: Depth=2
                                        ; implicit-def: $vgpr162_vgpr163
                                        ; implicit-def: $vgpr8
                                        ; implicit-def: $vgpr166_vgpr167
                                        ; implicit-def: $vgpr176_vgpr177
                                        ; implicit-def: $vgpr160_vgpr161
                                        ; implicit-def: $vgpr163_vgpr164
                                        ; implicit-def: $vgpr164_vgpr165
	s_and_saveexec_b32 s21, vcc_lo
	s_delay_alu instid0(SALU_CYCLE_1)
	s_xor_b32 s21, exec_lo, s21
	s_cbranch_execz .LBB76_180
; %bb.175:                              ;   in Loop: Header=BB76_174 Depth=2
                                        ; implicit-def: $vgpr162_vgpr163
                                        ; implicit-def: $vgpr8
                                        ; implicit-def: $vgpr166_vgpr167
                                        ; implicit-def: $vgpr176_vgpr177
                                        ; implicit-def: $vgpr160_vgpr161
                                        ; implicit-def: $vgpr163_vgpr164
                                        ; implicit-def: $vgpr164_vgpr165
	s_and_saveexec_b32 s68, s20
	s_delay_alu instid0(SALU_CYCLE_1)
	s_xor_b32 s68, exec_lo, s68
	s_cbranch_execz .LBB76_177
; %bb.176:                              ;   in Loop: Header=BB76_174 Depth=2
	;;#ASMSTART
	global_load_dwordx4 v[6:9], v[150:151] off glc	
s_waitcnt vmcnt(0)
	;;#ASMEND
	v_lshrrev_b64 v[160:161], 8, v[6:7]
	v_lshlrev_b64 v[161:162], 24, v[8:9]
	v_lshlrev_b64 v[162:163], 16, v[8:9]
	;; [unrolled: 1-line block ×3, first 2 shown]
	v_lshrrev_b32_e32 v166, 8, v7
	v_lshrrev_b32_e32 v163, 16, v7
	;; [unrolled: 1-line block ×3, first 2 shown]
	v_lshrrev_b64 v[176:177], 16, v[6:7]
	v_lshrrev_b64 v[164:165], 24, v[6:7]
	v_or_b32_e32 v166, v166, v161
	v_or_b32_e32 v163, v163, v162
	;; [unrolled: 1-line block ×3, first 2 shown]
.LBB76_177:                             ;   in Loop: Header=BB76_174 Depth=2
	s_and_not1_saveexec_b32 s68, s68
	s_cbranch_execz .LBB76_179
; %bb.178:                              ;   in Loop: Header=BB76_174 Depth=2
	;;#ASMSTART
	flat_load_dwordx4 v[6:9], v[150:151] glc	
s_waitcnt vmcnt(0)
	;;#ASMEND
	v_lshrrev_b64 v[160:161], 8, v[6:7]
	v_lshlrev_b64 v[161:162], 24, v[8:9]
	v_lshlrev_b64 v[162:163], 16, v[8:9]
	;; [unrolled: 1-line block ×3, first 2 shown]
	v_lshrrev_b32_e32 v166, 8, v7
	v_lshrrev_b32_e32 v163, 16, v7
	;; [unrolled: 1-line block ×3, first 2 shown]
	v_lshrrev_b64 v[176:177], 16, v[6:7]
	v_lshrrev_b64 v[164:165], 24, v[6:7]
	v_or_b32_e32 v166, v166, v161
	v_or_b32_e32 v163, v163, v162
	v_or_b32_e32 v162, v9, v242
.LBB76_179:                             ;   in Loop: Header=BB76_174 Depth=2
	s_or_b32 exec_lo, exec_lo, s68
.LBB76_180:                             ;   in Loop: Header=BB76_174 Depth=2
	s_and_not1_saveexec_b32 s21, s21
	s_cbranch_execz .LBB76_173
; %bb.181:                              ;   in Loop: Header=BB76_174 Depth=2
	;;#ASMSTART
	ds_read_b128 v[6:9], v241 	
s_waitcnt lgkmcnt(0)
	;;#ASMEND
	v_lshrrev_b64 v[160:161], 8, v[6:7]
	v_lshlrev_b64 v[161:162], 24, v[8:9]
	v_lshlrev_b64 v[162:163], 16, v[8:9]
	v_lshlrev_b64 v[242:243], 8, v[8:9]
	v_lshrrev_b32_e32 v166, 8, v7
	v_lshrrev_b32_e32 v163, 16, v7
	;; [unrolled: 1-line block ×3, first 2 shown]
	v_lshrrev_b64 v[176:177], 16, v[6:7]
	v_lshrrev_b64 v[164:165], 24, v[6:7]
	v_or_b32_e32 v166, v166, v161
	v_or_b32_e32 v163, v163, v162
	;; [unrolled: 1-line block ×3, first 2 shown]
	s_branch .LBB76_173
.LBB76_182:                             ;   in Loop: Header=BB76_162 Depth=1
                                        ; implicit-def: $vgpr6_vgpr7
                                        ; implicit-def: $vgpr8
	s_cbranch_execz .LBB76_162
	s_branch .LBB76_206
.LBB76_183:                             ;   in Loop: Header=BB76_162 Depth=1
	s_or_b32 exec_lo, exec_lo, s67
	v_lshlrev_b32_e32 v9, 8, v160
	v_lshlrev_b32_e32 v150, 16, v176
	;; [unrolled: 1-line block ×3, first 2 shown]
	v_and_b32_e32 v7, 0xff, v7
	v_lshlrev_b32_e32 v160, 16, v163
	v_perm_b32 v6, v9, v6, 0xc0c0500
	v_and_b32_e32 v9, 0xff0000, v150
	v_lshlrev_b32_e32 v150, 24, v164
	v_and_b32_e32 v151, 0xff00, v151
	s_delay_alu instid0(VALU_DEP_2) | instskip(NEXT) | instid1(VALU_DEP_2)
	v_or3_b32 v6, v6, v9, v150
	v_or3_b32 v7, 0, v7, v151
	v_and_b32_e32 v9, 0xff0000, v160
	v_lshlrev_b32_e32 v150, 24, v162
	s_delay_alu instid0(VALU_DEP_4) | instskip(NEXT) | instid1(VALU_DEP_2)
	v_or3_b32 v6, v6, 0, 0
	v_or3_b32 v161, v7, v9, v150
	s_delay_alu instid0(VALU_DEP_2)
	v_or3_b32 v160, v6, 0, 0
.LBB76_184:                             ;   in Loop: Header=BB76_162 Depth=1
	s_or_b32 exec_lo, exec_lo, s22
	v_and_b32_e32 v6, 0xff, v8
	ds_bpermute_b32 v150, v215, v160
	ds_bpermute_b32 v151, v215, v161
	s_mov_b32 s21, exec_lo
	v_cmp_eq_u16_e32 vcc_lo, 2, v6
	v_and_or_b32 v6, vcc_lo, v224, 0x80000000
	s_delay_alu instid0(VALU_DEP_1) | instskip(SKIP_1) | instid1(VALU_DEP_2)
	v_ctz_i32_b32_e32 v9, v6
	v_dual_mov_b32 v6, v160 :: v_dual_mov_b32 v7, v161
	v_cmpx_lt_u32_e64 v212, v9
	s_cbranch_execz .LBB76_188
; %bb.185:                              ;   in Loop: Header=BB76_162 Depth=1
	s_waitcnt lgkmcnt(0)
	v_max_f64 v[6:7], v[150:151], v[150:151]
	v_max_f64 v[162:163], v[160:161], v[160:161]
	v_cmp_u_f64_e32 vcc_lo, v[150:151], v[150:151]
	v_cmp_u_f64_e64 s20, v[160:161], v[160:161]
	s_delay_alu instid0(VALU_DEP_3) | instskip(SKIP_1) | instid1(VALU_DEP_2)
	v_min_f64 v[164:165], v[6:7], v[162:163]
	v_max_f64 v[6:7], v[6:7], v[162:163]
	v_dual_cndmask_b32 v162, v164, v150 :: v_dual_cndmask_b32 v163, v165, v151
	s_delay_alu instid0(VALU_DEP_2) | instskip(NEXT) | instid1(VALU_DEP_2)
	v_dual_cndmask_b32 v7, v7, v151 :: v_dual_cndmask_b32 v6, v6, v150
	v_cndmask_b32_e64 v162, v162, v160, s20
	s_delay_alu instid0(VALU_DEP_3) | instskip(NEXT) | instid1(VALU_DEP_3)
	v_cndmask_b32_e64 v163, v163, v161, s20
	v_cndmask_b32_e64 v7, v7, v161, s20
	s_delay_alu instid0(VALU_DEP_4) | instskip(NEXT) | instid1(VALU_DEP_3)
	v_cndmask_b32_e64 v6, v6, v160, s20
	v_cmp_class_f64_e64 s20, v[162:163], 0x1f8
	s_delay_alu instid0(VALU_DEP_2) | instskip(NEXT) | instid1(VALU_DEP_2)
	v_cmp_neq_f64_e32 vcc_lo, v[162:163], v[6:7]
	s_or_b32 s20, vcc_lo, s20
	s_delay_alu instid0(SALU_CYCLE_1)
	s_and_saveexec_b32 s22, s20
	s_cbranch_execz .LBB76_187
; %bb.186:                              ;   in Loop: Header=BB76_162 Depth=1
	v_add_f64 v[150:151], v[162:163], -v[6:7]
	s_mov_b32 s67, s53
	s_mov_b32 s68, s26
	;; [unrolled: 1-line block ×3, first 2 shown]
	s_delay_alu instid0(VALU_DEP_1) | instskip(SKIP_2) | instid1(VALU_DEP_3)
	v_mul_f64 v[160:161], v[150:151], s[24:25]
	v_cmp_nlt_f64_e32 vcc_lo, 0x40900000, v[150:151]
	v_cmp_ngt_f64_e64 s20, 0xc090cc00, v[150:151]
	v_rndne_f64_e32 v[160:161], v[160:161]
	s_delay_alu instid0(VALU_DEP_1) | instskip(SKIP_1) | instid1(VALU_DEP_2)
	v_fma_f64 v[162:163], v[160:161], s[26:27], v[150:151]
	v_cvt_i32_f64_e32 v166, v[160:161]
	v_fma_f64 v[162:163], v[160:161], s[28:29], v[162:163]
	s_delay_alu instid0(VALU_DEP_1) | instskip(NEXT) | instid1(VALU_DEP_1)
	v_fma_f64 v[164:165], v[162:163], s[34:35], s[30:31]
	v_fma_f64 v[164:165], v[162:163], v[164:165], s[36:37]
	s_delay_alu instid0(VALU_DEP_1) | instskip(NEXT) | instid1(VALU_DEP_1)
	v_fma_f64 v[164:165], v[162:163], v[164:165], s[38:39]
	;; [unrolled: 3-line block ×5, first 2 shown]
	v_fma_f64 v[164:165], v[162:163], v[164:165], 1.0
	s_delay_alu instid0(VALU_DEP_1) | instskip(NEXT) | instid1(VALU_DEP_1)
	v_fma_f64 v[160:161], v[162:163], v[164:165], 1.0
	v_ldexp_f64 v[160:161], v[160:161], v166
	s_delay_alu instid0(VALU_DEP_1) | instskip(SKIP_1) | instid1(VALU_DEP_1)
	v_cndmask_b32_e32 v161, 0x7ff00000, v161, vcc_lo
	s_and_b32 vcc_lo, s20, vcc_lo
	v_cndmask_b32_e64 v151, 0, v161, s20
	s_delay_alu instid0(VALU_DEP_3) | instskip(NEXT) | instid1(VALU_DEP_1)
	v_cndmask_b32_e32 v150, 0, v160, vcc_lo
	v_add_f64 v[160:161], v[150:151], 1.0
	s_delay_alu instid0(VALU_DEP_1) | instskip(SKIP_2) | instid1(VALU_DEP_3)
	v_frexp_mant_f64_e32 v[162:163], v[160:161]
	v_frexp_exp_i32_f64_e32 v166, v[160:161]
	v_add_f64 v[164:165], v[160:161], -1.0
	v_cmp_gt_f64_e32 vcc_lo, s[52:53], v[162:163]
	s_delay_alu instid0(VALU_DEP_2) | instskip(SKIP_2) | instid1(VALU_DEP_3)
	v_add_f64 v[162:163], v[164:165], -v[160:161]
	v_add_f64 v[164:165], v[150:151], -v[164:165]
	v_subrev_co_ci_u32_e32 v247, vcc_lo, 0, v166, vcc_lo
	v_add_f64 v[162:163], v[162:163], 1.0
	v_cmp_eq_f64_e32 vcc_lo, 0x7ff00000, v[150:151]
	s_delay_alu instid0(VALU_DEP_3) | instskip(NEXT) | instid1(VALU_DEP_1)
	v_sub_nc_u32_e32 v176, 0, v247
	v_ldexp_f64 v[160:161], v[160:161], v176
	s_delay_alu instid0(VALU_DEP_4) | instskip(NEXT) | instid1(VALU_DEP_2)
	v_add_f64 v[162:163], v[164:165], v[162:163]
	v_add_f64 v[166:167], v[160:161], 1.0
	v_add_f64 v[243:244], v[160:161], -1.0
	s_delay_alu instid0(VALU_DEP_3) | instskip(NEXT) | instid1(VALU_DEP_3)
	v_ldexp_f64 v[162:163], v[162:163], v176
	v_add_f64 v[164:165], v[166:167], -1.0
	s_delay_alu instid0(VALU_DEP_3) | instskip(NEXT) | instid1(VALU_DEP_2)
	v_add_f64 v[245:246], v[243:244], 1.0
	v_add_f64 v[164:165], v[160:161], -v[164:165]
	s_delay_alu instid0(VALU_DEP_2) | instskip(NEXT) | instid1(VALU_DEP_2)
	v_add_f64 v[160:161], v[160:161], -v[245:246]
	v_add_f64 v[164:165], v[162:163], v[164:165]
	s_delay_alu instid0(VALU_DEP_2) | instskip(NEXT) | instid1(VALU_DEP_2)
	v_add_f64 v[160:161], v[162:163], v[160:161]
	v_add_f64 v[176:177], v[166:167], v[164:165]
	s_delay_alu instid0(VALU_DEP_2) | instskip(NEXT) | instid1(VALU_DEP_2)
	v_add_f64 v[245:246], v[243:244], v[160:161]
	v_rcp_f64_e32 v[241:242], v[176:177]
	v_add_f64 v[166:167], v[176:177], -v[166:167]
	s_delay_alu instid0(VALU_DEP_2) | instskip(NEXT) | instid1(VALU_DEP_2)
	v_add_f64 v[243:244], v[245:246], -v[243:244]
	v_add_f64 v[164:165], v[164:165], -v[166:167]
	s_waitcnt_depctr 0xfff
	v_fma_f64 v[40:41], -v[176:177], v[241:242], 1.0
	v_add_f64 v[160:161], v[160:161], -v[243:244]
	s_delay_alu instid0(VALU_DEP_2) | instskip(NEXT) | instid1(VALU_DEP_1)
	v_fma_f64 v[241:242], v[40:41], v[241:242], v[241:242]
	v_fma_f64 v[162:163], -v[176:177], v[241:242], 1.0
	s_delay_alu instid0(VALU_DEP_1) | instskip(NEXT) | instid1(VALU_DEP_1)
	v_fma_f64 v[162:163], v[162:163], v[241:242], v[241:242]
	v_mul_f64 v[241:242], v[245:246], v[162:163]
	s_delay_alu instid0(VALU_DEP_1) | instskip(NEXT) | instid1(VALU_DEP_1)
	v_mul_f64 v[40:41], v[176:177], v[241:242]
	v_fma_f64 v[166:167], v[241:242], v[176:177], -v[40:41]
	s_delay_alu instid0(VALU_DEP_1) | instskip(NEXT) | instid1(VALU_DEP_1)
	v_fma_f64 v[166:167], v[241:242], v[164:165], v[166:167]
	v_add_f64 v[42:43], v[40:41], v[166:167]
	s_delay_alu instid0(VALU_DEP_1) | instskip(SKIP_1) | instid1(VALU_DEP_2)
	v_add_f64 v[44:45], v[245:246], -v[42:43]
	v_add_f64 v[243:244], v[42:43], -v[40:41]
	;; [unrolled: 1-line block ×3, first 2 shown]
	s_delay_alu instid0(VALU_DEP_2) | instskip(NEXT) | instid1(VALU_DEP_2)
	v_add_f64 v[166:167], v[243:244], -v[166:167]
	v_add_f64 v[245:246], v[245:246], -v[42:43]
	s_delay_alu instid0(VALU_DEP_1) | instskip(NEXT) | instid1(VALU_DEP_1)
	v_add_f64 v[160:161], v[160:161], v[245:246]
	v_add_f64 v[160:161], v[166:167], v[160:161]
	s_delay_alu instid0(VALU_DEP_1) | instskip(NEXT) | instid1(VALU_DEP_1)
	v_add_f64 v[166:167], v[44:45], v[160:161]
	v_mul_f64 v[243:244], v[162:163], v[166:167]
	v_add_f64 v[42:43], v[44:45], -v[166:167]
	s_delay_alu instid0(VALU_DEP_2) | instskip(NEXT) | instid1(VALU_DEP_2)
	v_mul_f64 v[245:246], v[176:177], v[243:244]
	v_add_f64 v[160:161], v[160:161], v[42:43]
	s_delay_alu instid0(VALU_DEP_2) | instskip(NEXT) | instid1(VALU_DEP_1)
	v_fma_f64 v[176:177], v[243:244], v[176:177], -v[245:246]
	v_fma_f64 v[164:165], v[243:244], v[164:165], v[176:177]
	s_delay_alu instid0(VALU_DEP_1) | instskip(NEXT) | instid1(VALU_DEP_1)
	v_add_f64 v[176:177], v[245:246], v[164:165]
	v_add_f64 v[40:41], v[166:167], -v[176:177]
	v_add_f64 v[245:246], v[176:177], -v[245:246]
	s_delay_alu instid0(VALU_DEP_2) | instskip(NEXT) | instid1(VALU_DEP_2)
	v_add_f64 v[166:167], v[166:167], -v[40:41]
	v_add_f64 v[164:165], v[245:246], -v[164:165]
	s_delay_alu instid0(VALU_DEP_2) | instskip(NEXT) | instid1(VALU_DEP_1)
	v_add_f64 v[166:167], v[166:167], -v[176:177]
	v_add_f64 v[160:161], v[160:161], v[166:167]
	v_add_f64 v[166:167], v[241:242], v[243:244]
	s_delay_alu instid0(VALU_DEP_2) | instskip(NEXT) | instid1(VALU_DEP_2)
	v_add_f64 v[160:161], v[164:165], v[160:161]
	v_add_f64 v[164:165], v[166:167], -v[241:242]
	s_delay_alu instid0(VALU_DEP_2) | instskip(NEXT) | instid1(VALU_DEP_2)
	v_add_f64 v[160:161], v[40:41], v[160:161]
	v_add_f64 v[164:165], v[243:244], -v[164:165]
	s_delay_alu instid0(VALU_DEP_2) | instskip(NEXT) | instid1(VALU_DEP_1)
	v_mul_f64 v[160:161], v[162:163], v[160:161]
	v_add_f64 v[160:161], v[164:165], v[160:161]
	s_delay_alu instid0(VALU_DEP_1) | instskip(NEXT) | instid1(VALU_DEP_1)
	v_add_f64 v[162:163], v[166:167], v[160:161]
	v_mul_f64 v[164:165], v[162:163], v[162:163]
	s_delay_alu instid0(VALU_DEP_1) | instskip(SKIP_1) | instid1(VALU_DEP_2)
	v_fma_f64 v[176:177], v[164:165], s[56:57], s[54:55]
	v_mul_f64 v[241:242], v[162:163], v[164:165]
	v_fma_f64 v[176:177], v[164:165], v[176:177], s[58:59]
	s_delay_alu instid0(VALU_DEP_1) | instskip(NEXT) | instid1(VALU_DEP_1)
	v_fma_f64 v[176:177], v[164:165], v[176:177], s[60:61]
	v_fma_f64 v[176:177], v[164:165], v[176:177], s[62:63]
	s_delay_alu instid0(VALU_DEP_1) | instskip(NEXT) | instid1(VALU_DEP_1)
	v_fma_f64 v[176:177], v[164:165], v[176:177], s[64:65]
	v_fma_f64 v[164:165], v[164:165], v[176:177], s[66:67]
	v_ldexp_f64 v[176:177], v[162:163], 1
	v_add_f64 v[162:163], v[162:163], -v[166:167]
	s_delay_alu instid0(VALU_DEP_3) | instskip(SKIP_1) | instid1(VALU_DEP_3)
	v_mul_f64 v[164:165], v[241:242], v[164:165]
	v_cvt_f64_i32_e32 v[241:242], v247
	v_add_f64 v[160:161], v[160:161], -v[162:163]
	s_delay_alu instid0(VALU_DEP_3) | instskip(NEXT) | instid1(VALU_DEP_3)
	v_add_f64 v[166:167], v[176:177], v[164:165]
	v_mul_f64 v[243:244], v[241:242], s[68:69]
	s_delay_alu instid0(VALU_DEP_3) | instskip(NEXT) | instid1(VALU_DEP_3)
	v_ldexp_f64 v[160:161], v[160:161], 1
	v_add_f64 v[162:163], v[166:167], -v[176:177]
	s_delay_alu instid0(VALU_DEP_3) | instskip(NEXT) | instid1(VALU_DEP_2)
	v_fma_f64 v[176:177], v[241:242], s[68:69], -v[243:244]
	v_add_f64 v[162:163], v[164:165], -v[162:163]
	s_delay_alu instid0(VALU_DEP_2) | instskip(NEXT) | instid1(VALU_DEP_2)
	v_fma_f64 v[164:165], v[241:242], s[70:71], v[176:177]
	v_add_f64 v[160:161], v[160:161], v[162:163]
	s_delay_alu instid0(VALU_DEP_2) | instskip(NEXT) | instid1(VALU_DEP_2)
	v_add_f64 v[162:163], v[243:244], v[164:165]
	v_add_f64 v[176:177], v[166:167], v[160:161]
	s_delay_alu instid0(VALU_DEP_2) | instskip(NEXT) | instid1(VALU_DEP_2)
	v_add_f64 v[243:244], v[162:163], -v[243:244]
	v_add_f64 v[241:242], v[162:163], v[176:177]
	v_add_f64 v[166:167], v[176:177], -v[166:167]
	s_delay_alu instid0(VALU_DEP_3) | instskip(NEXT) | instid1(VALU_DEP_3)
	v_add_f64 v[164:165], v[164:165], -v[243:244]
	v_add_f64 v[245:246], v[241:242], -v[162:163]
	s_delay_alu instid0(VALU_DEP_3) | instskip(NEXT) | instid1(VALU_DEP_2)
	v_add_f64 v[160:161], v[160:161], -v[166:167]
	v_add_f64 v[40:41], v[241:242], -v[245:246]
	;; [unrolled: 1-line block ×3, first 2 shown]
	s_delay_alu instid0(VALU_DEP_3) | instskip(NEXT) | instid1(VALU_DEP_3)
	v_add_f64 v[176:177], v[164:165], v[160:161]
	v_add_f64 v[162:163], v[162:163], -v[40:41]
	s_delay_alu instid0(VALU_DEP_1) | instskip(NEXT) | instid1(VALU_DEP_3)
	v_add_f64 v[162:163], v[166:167], v[162:163]
	v_add_f64 v[166:167], v[176:177], -v[164:165]
	s_delay_alu instid0(VALU_DEP_2) | instskip(NEXT) | instid1(VALU_DEP_2)
	v_add_f64 v[162:163], v[176:177], v[162:163]
	v_add_f64 v[176:177], v[176:177], -v[166:167]
	v_add_f64 v[160:161], v[160:161], -v[166:167]
	s_delay_alu instid0(VALU_DEP_3) | instskip(NEXT) | instid1(VALU_DEP_3)
	v_add_f64 v[243:244], v[241:242], v[162:163]
	v_add_f64 v[164:165], v[164:165], -v[176:177]
	s_delay_alu instid0(VALU_DEP_2) | instskip(NEXT) | instid1(VALU_DEP_2)
	v_add_f64 v[166:167], v[243:244], -v[241:242]
	v_add_f64 v[160:161], v[160:161], v[164:165]
	s_delay_alu instid0(VALU_DEP_2) | instskip(NEXT) | instid1(VALU_DEP_1)
	v_add_f64 v[162:163], v[162:163], -v[166:167]
	v_add_f64 v[160:161], v[160:161], v[162:163]
	s_delay_alu instid0(VALU_DEP_1) | instskip(NEXT) | instid1(VALU_DEP_1)
	v_add_f64 v[160:161], v[243:244], v[160:161]
	v_dual_cndmask_b32 v161, v161, v151 :: v_dual_cndmask_b32 v160, v160, v150
	v_cmp_ngt_f64_e32 vcc_lo, -1.0, v[150:151]
	s_delay_alu instid0(VALU_DEP_2) | instskip(SKIP_1) | instid1(VALU_DEP_4)
	v_cndmask_b32_e32 v161, 0x7ff80000, v161, vcc_lo
	v_cmp_nge_f64_e32 vcc_lo, -1.0, v[150:151]
	v_cndmask_b32_e32 v160, 0, v160, vcc_lo
	v_cmp_neq_f64_e32 vcc_lo, -1.0, v[150:151]
	s_delay_alu instid0(VALU_DEP_4) | instskip(NEXT) | instid1(VALU_DEP_1)
	v_cndmask_b32_e32 v161, 0xfff00000, v161, vcc_lo
	v_add_f64 v[150:151], v[6:7], v[160:161]
.LBB76_187:                             ;   in Loop: Header=BB76_162 Depth=1
	s_or_b32 exec_lo, exec_lo, s22
	s_delay_alu instid0(VALU_DEP_1)
	v_dual_mov_b32 v160, v150 :: v_dual_mov_b32 v161, v151
	v_dual_mov_b32 v6, v150 :: v_dual_mov_b32 v7, v151
.LBB76_188:                             ;   in Loop: Header=BB76_162 Depth=1
	s_or_b32 exec_lo, exec_lo, s21
	s_waitcnt lgkmcnt(1)
	ds_bpermute_b32 v150, v225, v160
	s_waitcnt lgkmcnt(1)
	ds_bpermute_b32 v151, v225, v161
	s_mov_b32 s21, exec_lo
	v_cmpx_le_u32_e64 v226, v9
	s_cbranch_execz .LBB76_192
; %bb.189:                              ;   in Loop: Header=BB76_162 Depth=1
	s_waitcnt lgkmcnt(0)
	v_max_f64 v[160:161], v[150:151], v[150:151]
	v_max_f64 v[162:163], v[6:7], v[6:7]
	v_cmp_u_f64_e32 vcc_lo, v[150:151], v[150:151]
	v_cmp_u_f64_e64 s20, v[6:7], v[6:7]
	s_delay_alu instid0(VALU_DEP_3) | instskip(SKIP_1) | instid1(VALU_DEP_2)
	v_min_f64 v[164:165], v[160:161], v[162:163]
	v_max_f64 v[160:161], v[160:161], v[162:163]
	v_dual_cndmask_b32 v162, v164, v150 :: v_dual_cndmask_b32 v163, v165, v151
	s_delay_alu instid0(VALU_DEP_2) | instskip(NEXT) | instid1(VALU_DEP_2)
	v_dual_cndmask_b32 v164, v161, v151 :: v_dual_cndmask_b32 v165, v160, v150
	v_cndmask_b32_e64 v160, v162, v6, s20
	s_delay_alu instid0(VALU_DEP_3) | instskip(NEXT) | instid1(VALU_DEP_3)
	v_cndmask_b32_e64 v161, v163, v7, s20
	v_cndmask_b32_e64 v7, v164, v7, s20
	s_delay_alu instid0(VALU_DEP_4) | instskip(NEXT) | instid1(VALU_DEP_3)
	v_cndmask_b32_e64 v6, v165, v6, s20
	v_cmp_class_f64_e64 s20, v[160:161], 0x1f8
	s_delay_alu instid0(VALU_DEP_2) | instskip(NEXT) | instid1(VALU_DEP_2)
	v_cmp_neq_f64_e32 vcc_lo, v[160:161], v[6:7]
	s_or_b32 s20, vcc_lo, s20
	s_delay_alu instid0(SALU_CYCLE_1)
	s_and_saveexec_b32 s22, s20
	s_cbranch_execz .LBB76_191
; %bb.190:                              ;   in Loop: Header=BB76_162 Depth=1
	v_add_f64 v[150:151], v[160:161], -v[6:7]
	s_mov_b32 s67, s53
	s_mov_b32 s68, s26
	;; [unrolled: 1-line block ×3, first 2 shown]
	s_delay_alu instid0(VALU_DEP_1) | instskip(SKIP_2) | instid1(VALU_DEP_3)
	v_mul_f64 v[160:161], v[150:151], s[24:25]
	v_cmp_nlt_f64_e32 vcc_lo, 0x40900000, v[150:151]
	v_cmp_ngt_f64_e64 s20, 0xc090cc00, v[150:151]
	v_rndne_f64_e32 v[160:161], v[160:161]
	s_delay_alu instid0(VALU_DEP_1) | instskip(SKIP_1) | instid1(VALU_DEP_2)
	v_fma_f64 v[162:163], v[160:161], s[26:27], v[150:151]
	v_cvt_i32_f64_e32 v166, v[160:161]
	v_fma_f64 v[162:163], v[160:161], s[28:29], v[162:163]
	s_delay_alu instid0(VALU_DEP_1) | instskip(NEXT) | instid1(VALU_DEP_1)
	v_fma_f64 v[164:165], v[162:163], s[34:35], s[30:31]
	v_fma_f64 v[164:165], v[162:163], v[164:165], s[36:37]
	s_delay_alu instid0(VALU_DEP_1) | instskip(NEXT) | instid1(VALU_DEP_1)
	v_fma_f64 v[164:165], v[162:163], v[164:165], s[38:39]
	;; [unrolled: 3-line block ×5, first 2 shown]
	v_fma_f64 v[164:165], v[162:163], v[164:165], 1.0
	s_delay_alu instid0(VALU_DEP_1) | instskip(NEXT) | instid1(VALU_DEP_1)
	v_fma_f64 v[160:161], v[162:163], v[164:165], 1.0
	v_ldexp_f64 v[160:161], v[160:161], v166
	s_delay_alu instid0(VALU_DEP_1) | instskip(SKIP_1) | instid1(VALU_DEP_1)
	v_cndmask_b32_e32 v161, 0x7ff00000, v161, vcc_lo
	s_and_b32 vcc_lo, s20, vcc_lo
	v_cndmask_b32_e64 v151, 0, v161, s20
	s_delay_alu instid0(VALU_DEP_3) | instskip(NEXT) | instid1(VALU_DEP_1)
	v_cndmask_b32_e32 v150, 0, v160, vcc_lo
	v_add_f64 v[160:161], v[150:151], 1.0
	s_delay_alu instid0(VALU_DEP_1) | instskip(SKIP_2) | instid1(VALU_DEP_3)
	v_frexp_mant_f64_e32 v[162:163], v[160:161]
	v_frexp_exp_i32_f64_e32 v166, v[160:161]
	v_add_f64 v[164:165], v[160:161], -1.0
	v_cmp_gt_f64_e32 vcc_lo, s[52:53], v[162:163]
	s_delay_alu instid0(VALU_DEP_2) | instskip(SKIP_2) | instid1(VALU_DEP_3)
	v_add_f64 v[162:163], v[164:165], -v[160:161]
	v_add_f64 v[164:165], v[150:151], -v[164:165]
	v_subrev_co_ci_u32_e32 v247, vcc_lo, 0, v166, vcc_lo
	v_add_f64 v[162:163], v[162:163], 1.0
	v_cmp_eq_f64_e32 vcc_lo, 0x7ff00000, v[150:151]
	s_delay_alu instid0(VALU_DEP_3) | instskip(NEXT) | instid1(VALU_DEP_1)
	v_sub_nc_u32_e32 v176, 0, v247
	v_ldexp_f64 v[160:161], v[160:161], v176
	s_delay_alu instid0(VALU_DEP_4) | instskip(NEXT) | instid1(VALU_DEP_2)
	v_add_f64 v[162:163], v[164:165], v[162:163]
	v_add_f64 v[166:167], v[160:161], 1.0
	v_add_f64 v[243:244], v[160:161], -1.0
	s_delay_alu instid0(VALU_DEP_3) | instskip(NEXT) | instid1(VALU_DEP_3)
	v_ldexp_f64 v[162:163], v[162:163], v176
	v_add_f64 v[164:165], v[166:167], -1.0
	s_delay_alu instid0(VALU_DEP_3) | instskip(NEXT) | instid1(VALU_DEP_2)
	v_add_f64 v[245:246], v[243:244], 1.0
	v_add_f64 v[164:165], v[160:161], -v[164:165]
	s_delay_alu instid0(VALU_DEP_2) | instskip(NEXT) | instid1(VALU_DEP_2)
	v_add_f64 v[160:161], v[160:161], -v[245:246]
	v_add_f64 v[164:165], v[162:163], v[164:165]
	s_delay_alu instid0(VALU_DEP_2) | instskip(NEXT) | instid1(VALU_DEP_2)
	v_add_f64 v[160:161], v[162:163], v[160:161]
	v_add_f64 v[176:177], v[166:167], v[164:165]
	s_delay_alu instid0(VALU_DEP_2) | instskip(NEXT) | instid1(VALU_DEP_2)
	v_add_f64 v[245:246], v[243:244], v[160:161]
	v_rcp_f64_e32 v[241:242], v[176:177]
	v_add_f64 v[166:167], v[176:177], -v[166:167]
	s_delay_alu instid0(VALU_DEP_2) | instskip(NEXT) | instid1(VALU_DEP_2)
	v_add_f64 v[243:244], v[245:246], -v[243:244]
	v_add_f64 v[164:165], v[164:165], -v[166:167]
	s_waitcnt_depctr 0xfff
	v_fma_f64 v[40:41], -v[176:177], v[241:242], 1.0
	v_add_f64 v[160:161], v[160:161], -v[243:244]
	s_delay_alu instid0(VALU_DEP_2) | instskip(NEXT) | instid1(VALU_DEP_1)
	v_fma_f64 v[241:242], v[40:41], v[241:242], v[241:242]
	v_fma_f64 v[162:163], -v[176:177], v[241:242], 1.0
	s_delay_alu instid0(VALU_DEP_1) | instskip(NEXT) | instid1(VALU_DEP_1)
	v_fma_f64 v[162:163], v[162:163], v[241:242], v[241:242]
	v_mul_f64 v[241:242], v[245:246], v[162:163]
	s_delay_alu instid0(VALU_DEP_1) | instskip(NEXT) | instid1(VALU_DEP_1)
	v_mul_f64 v[40:41], v[176:177], v[241:242]
	v_fma_f64 v[166:167], v[241:242], v[176:177], -v[40:41]
	s_delay_alu instid0(VALU_DEP_1) | instskip(NEXT) | instid1(VALU_DEP_1)
	v_fma_f64 v[166:167], v[241:242], v[164:165], v[166:167]
	v_add_f64 v[42:43], v[40:41], v[166:167]
	s_delay_alu instid0(VALU_DEP_1) | instskip(SKIP_1) | instid1(VALU_DEP_2)
	v_add_f64 v[44:45], v[245:246], -v[42:43]
	v_add_f64 v[243:244], v[42:43], -v[40:41]
	;; [unrolled: 1-line block ×3, first 2 shown]
	s_delay_alu instid0(VALU_DEP_2) | instskip(NEXT) | instid1(VALU_DEP_2)
	v_add_f64 v[166:167], v[243:244], -v[166:167]
	v_add_f64 v[245:246], v[245:246], -v[42:43]
	s_delay_alu instid0(VALU_DEP_1) | instskip(NEXT) | instid1(VALU_DEP_1)
	v_add_f64 v[160:161], v[160:161], v[245:246]
	v_add_f64 v[160:161], v[166:167], v[160:161]
	s_delay_alu instid0(VALU_DEP_1) | instskip(NEXT) | instid1(VALU_DEP_1)
	v_add_f64 v[166:167], v[44:45], v[160:161]
	v_mul_f64 v[243:244], v[162:163], v[166:167]
	v_add_f64 v[42:43], v[44:45], -v[166:167]
	s_delay_alu instid0(VALU_DEP_2) | instskip(NEXT) | instid1(VALU_DEP_2)
	v_mul_f64 v[245:246], v[176:177], v[243:244]
	v_add_f64 v[160:161], v[160:161], v[42:43]
	s_delay_alu instid0(VALU_DEP_2) | instskip(NEXT) | instid1(VALU_DEP_1)
	v_fma_f64 v[176:177], v[243:244], v[176:177], -v[245:246]
	v_fma_f64 v[164:165], v[243:244], v[164:165], v[176:177]
	s_delay_alu instid0(VALU_DEP_1) | instskip(NEXT) | instid1(VALU_DEP_1)
	v_add_f64 v[176:177], v[245:246], v[164:165]
	v_add_f64 v[40:41], v[166:167], -v[176:177]
	v_add_f64 v[245:246], v[176:177], -v[245:246]
	s_delay_alu instid0(VALU_DEP_2) | instskip(NEXT) | instid1(VALU_DEP_2)
	v_add_f64 v[166:167], v[166:167], -v[40:41]
	v_add_f64 v[164:165], v[245:246], -v[164:165]
	s_delay_alu instid0(VALU_DEP_2) | instskip(NEXT) | instid1(VALU_DEP_1)
	v_add_f64 v[166:167], v[166:167], -v[176:177]
	v_add_f64 v[160:161], v[160:161], v[166:167]
	v_add_f64 v[166:167], v[241:242], v[243:244]
	s_delay_alu instid0(VALU_DEP_2) | instskip(NEXT) | instid1(VALU_DEP_2)
	v_add_f64 v[160:161], v[164:165], v[160:161]
	v_add_f64 v[164:165], v[166:167], -v[241:242]
	s_delay_alu instid0(VALU_DEP_2) | instskip(NEXT) | instid1(VALU_DEP_2)
	v_add_f64 v[160:161], v[40:41], v[160:161]
	v_add_f64 v[164:165], v[243:244], -v[164:165]
	s_delay_alu instid0(VALU_DEP_2) | instskip(NEXT) | instid1(VALU_DEP_1)
	v_mul_f64 v[160:161], v[162:163], v[160:161]
	v_add_f64 v[160:161], v[164:165], v[160:161]
	s_delay_alu instid0(VALU_DEP_1) | instskip(NEXT) | instid1(VALU_DEP_1)
	v_add_f64 v[162:163], v[166:167], v[160:161]
	v_mul_f64 v[164:165], v[162:163], v[162:163]
	s_delay_alu instid0(VALU_DEP_1) | instskip(SKIP_1) | instid1(VALU_DEP_2)
	v_fma_f64 v[176:177], v[164:165], s[56:57], s[54:55]
	v_mul_f64 v[241:242], v[162:163], v[164:165]
	v_fma_f64 v[176:177], v[164:165], v[176:177], s[58:59]
	s_delay_alu instid0(VALU_DEP_1) | instskip(NEXT) | instid1(VALU_DEP_1)
	v_fma_f64 v[176:177], v[164:165], v[176:177], s[60:61]
	v_fma_f64 v[176:177], v[164:165], v[176:177], s[62:63]
	s_delay_alu instid0(VALU_DEP_1) | instskip(NEXT) | instid1(VALU_DEP_1)
	v_fma_f64 v[176:177], v[164:165], v[176:177], s[64:65]
	v_fma_f64 v[164:165], v[164:165], v[176:177], s[66:67]
	v_ldexp_f64 v[176:177], v[162:163], 1
	v_add_f64 v[162:163], v[162:163], -v[166:167]
	s_delay_alu instid0(VALU_DEP_3) | instskip(SKIP_1) | instid1(VALU_DEP_3)
	v_mul_f64 v[164:165], v[241:242], v[164:165]
	v_cvt_f64_i32_e32 v[241:242], v247
	v_add_f64 v[160:161], v[160:161], -v[162:163]
	s_delay_alu instid0(VALU_DEP_3) | instskip(NEXT) | instid1(VALU_DEP_3)
	v_add_f64 v[166:167], v[176:177], v[164:165]
	v_mul_f64 v[243:244], v[241:242], s[68:69]
	s_delay_alu instid0(VALU_DEP_3) | instskip(NEXT) | instid1(VALU_DEP_3)
	v_ldexp_f64 v[160:161], v[160:161], 1
	v_add_f64 v[162:163], v[166:167], -v[176:177]
	s_delay_alu instid0(VALU_DEP_3) | instskip(NEXT) | instid1(VALU_DEP_2)
	v_fma_f64 v[176:177], v[241:242], s[68:69], -v[243:244]
	v_add_f64 v[162:163], v[164:165], -v[162:163]
	s_delay_alu instid0(VALU_DEP_2) | instskip(NEXT) | instid1(VALU_DEP_2)
	v_fma_f64 v[164:165], v[241:242], s[70:71], v[176:177]
	v_add_f64 v[160:161], v[160:161], v[162:163]
	s_delay_alu instid0(VALU_DEP_2) | instskip(NEXT) | instid1(VALU_DEP_2)
	v_add_f64 v[162:163], v[243:244], v[164:165]
	v_add_f64 v[176:177], v[166:167], v[160:161]
	s_delay_alu instid0(VALU_DEP_2) | instskip(NEXT) | instid1(VALU_DEP_2)
	v_add_f64 v[243:244], v[162:163], -v[243:244]
	v_add_f64 v[241:242], v[162:163], v[176:177]
	v_add_f64 v[166:167], v[176:177], -v[166:167]
	s_delay_alu instid0(VALU_DEP_3) | instskip(NEXT) | instid1(VALU_DEP_3)
	v_add_f64 v[164:165], v[164:165], -v[243:244]
	v_add_f64 v[245:246], v[241:242], -v[162:163]
	s_delay_alu instid0(VALU_DEP_3) | instskip(NEXT) | instid1(VALU_DEP_2)
	v_add_f64 v[160:161], v[160:161], -v[166:167]
	v_add_f64 v[40:41], v[241:242], -v[245:246]
	;; [unrolled: 1-line block ×3, first 2 shown]
	s_delay_alu instid0(VALU_DEP_3) | instskip(NEXT) | instid1(VALU_DEP_3)
	v_add_f64 v[176:177], v[164:165], v[160:161]
	v_add_f64 v[162:163], v[162:163], -v[40:41]
	s_delay_alu instid0(VALU_DEP_1) | instskip(NEXT) | instid1(VALU_DEP_3)
	v_add_f64 v[162:163], v[166:167], v[162:163]
	v_add_f64 v[166:167], v[176:177], -v[164:165]
	s_delay_alu instid0(VALU_DEP_2) | instskip(NEXT) | instid1(VALU_DEP_2)
	v_add_f64 v[162:163], v[176:177], v[162:163]
	v_add_f64 v[176:177], v[176:177], -v[166:167]
	v_add_f64 v[160:161], v[160:161], -v[166:167]
	s_delay_alu instid0(VALU_DEP_3) | instskip(NEXT) | instid1(VALU_DEP_3)
	v_add_f64 v[243:244], v[241:242], v[162:163]
	v_add_f64 v[164:165], v[164:165], -v[176:177]
	s_delay_alu instid0(VALU_DEP_2) | instskip(NEXT) | instid1(VALU_DEP_2)
	v_add_f64 v[166:167], v[243:244], -v[241:242]
	v_add_f64 v[160:161], v[160:161], v[164:165]
	s_delay_alu instid0(VALU_DEP_2) | instskip(NEXT) | instid1(VALU_DEP_1)
	v_add_f64 v[162:163], v[162:163], -v[166:167]
	v_add_f64 v[160:161], v[160:161], v[162:163]
	s_delay_alu instid0(VALU_DEP_1) | instskip(NEXT) | instid1(VALU_DEP_1)
	v_add_f64 v[160:161], v[243:244], v[160:161]
	v_dual_cndmask_b32 v161, v161, v151 :: v_dual_cndmask_b32 v160, v160, v150
	v_cmp_ngt_f64_e32 vcc_lo, -1.0, v[150:151]
	s_delay_alu instid0(VALU_DEP_2) | instskip(SKIP_1) | instid1(VALU_DEP_4)
	v_cndmask_b32_e32 v161, 0x7ff80000, v161, vcc_lo
	v_cmp_nge_f64_e32 vcc_lo, -1.0, v[150:151]
	v_cndmask_b32_e32 v160, 0, v160, vcc_lo
	v_cmp_neq_f64_e32 vcc_lo, -1.0, v[150:151]
	s_delay_alu instid0(VALU_DEP_4) | instskip(NEXT) | instid1(VALU_DEP_1)
	v_cndmask_b32_e32 v161, 0xfff00000, v161, vcc_lo
	v_add_f64 v[150:151], v[6:7], v[160:161]
.LBB76_191:                             ;   in Loop: Header=BB76_162 Depth=1
	s_or_b32 exec_lo, exec_lo, s22
	s_delay_alu instid0(VALU_DEP_1)
	v_dual_mov_b32 v160, v150 :: v_dual_mov_b32 v161, v151
	v_dual_mov_b32 v6, v150 :: v_dual_mov_b32 v7, v151
.LBB76_192:                             ;   in Loop: Header=BB76_162 Depth=1
	s_or_b32 exec_lo, exec_lo, s21
	s_waitcnt lgkmcnt(1)
	ds_bpermute_b32 v150, v227, v160
	s_waitcnt lgkmcnt(1)
	ds_bpermute_b32 v151, v227, v161
	s_mov_b32 s21, exec_lo
	v_cmpx_le_u32_e64 v228, v9
	s_cbranch_execz .LBB76_196
; %bb.193:                              ;   in Loop: Header=BB76_162 Depth=1
	s_waitcnt lgkmcnt(0)
	v_max_f64 v[160:161], v[150:151], v[150:151]
	v_max_f64 v[162:163], v[6:7], v[6:7]
	v_cmp_u_f64_e32 vcc_lo, v[150:151], v[150:151]
	v_cmp_u_f64_e64 s20, v[6:7], v[6:7]
	s_delay_alu instid0(VALU_DEP_3) | instskip(SKIP_1) | instid1(VALU_DEP_2)
	v_min_f64 v[164:165], v[160:161], v[162:163]
	v_max_f64 v[160:161], v[160:161], v[162:163]
	v_dual_cndmask_b32 v162, v164, v150 :: v_dual_cndmask_b32 v163, v165, v151
	s_delay_alu instid0(VALU_DEP_2) | instskip(NEXT) | instid1(VALU_DEP_2)
	v_dual_cndmask_b32 v164, v161, v151 :: v_dual_cndmask_b32 v165, v160, v150
	v_cndmask_b32_e64 v160, v162, v6, s20
	s_delay_alu instid0(VALU_DEP_3) | instskip(NEXT) | instid1(VALU_DEP_3)
	v_cndmask_b32_e64 v161, v163, v7, s20
	v_cndmask_b32_e64 v7, v164, v7, s20
	s_delay_alu instid0(VALU_DEP_4) | instskip(NEXT) | instid1(VALU_DEP_3)
	v_cndmask_b32_e64 v6, v165, v6, s20
	v_cmp_class_f64_e64 s20, v[160:161], 0x1f8
	s_delay_alu instid0(VALU_DEP_2) | instskip(NEXT) | instid1(VALU_DEP_2)
	v_cmp_neq_f64_e32 vcc_lo, v[160:161], v[6:7]
	s_or_b32 s20, vcc_lo, s20
	s_delay_alu instid0(SALU_CYCLE_1)
	s_and_saveexec_b32 s22, s20
	s_cbranch_execz .LBB76_195
; %bb.194:                              ;   in Loop: Header=BB76_162 Depth=1
	v_add_f64 v[150:151], v[160:161], -v[6:7]
	s_mov_b32 s67, s53
	s_mov_b32 s68, s26
	;; [unrolled: 1-line block ×3, first 2 shown]
	s_delay_alu instid0(VALU_DEP_1) | instskip(SKIP_2) | instid1(VALU_DEP_3)
	v_mul_f64 v[160:161], v[150:151], s[24:25]
	v_cmp_nlt_f64_e32 vcc_lo, 0x40900000, v[150:151]
	v_cmp_ngt_f64_e64 s20, 0xc090cc00, v[150:151]
	v_rndne_f64_e32 v[160:161], v[160:161]
	s_delay_alu instid0(VALU_DEP_1) | instskip(SKIP_1) | instid1(VALU_DEP_2)
	v_fma_f64 v[162:163], v[160:161], s[26:27], v[150:151]
	v_cvt_i32_f64_e32 v166, v[160:161]
	v_fma_f64 v[162:163], v[160:161], s[28:29], v[162:163]
	s_delay_alu instid0(VALU_DEP_1) | instskip(NEXT) | instid1(VALU_DEP_1)
	v_fma_f64 v[164:165], v[162:163], s[34:35], s[30:31]
	v_fma_f64 v[164:165], v[162:163], v[164:165], s[36:37]
	s_delay_alu instid0(VALU_DEP_1) | instskip(NEXT) | instid1(VALU_DEP_1)
	v_fma_f64 v[164:165], v[162:163], v[164:165], s[38:39]
	;; [unrolled: 3-line block ×5, first 2 shown]
	v_fma_f64 v[164:165], v[162:163], v[164:165], 1.0
	s_delay_alu instid0(VALU_DEP_1) | instskip(NEXT) | instid1(VALU_DEP_1)
	v_fma_f64 v[160:161], v[162:163], v[164:165], 1.0
	v_ldexp_f64 v[160:161], v[160:161], v166
	s_delay_alu instid0(VALU_DEP_1) | instskip(SKIP_1) | instid1(VALU_DEP_1)
	v_cndmask_b32_e32 v161, 0x7ff00000, v161, vcc_lo
	s_and_b32 vcc_lo, s20, vcc_lo
	v_cndmask_b32_e64 v151, 0, v161, s20
	s_delay_alu instid0(VALU_DEP_3) | instskip(NEXT) | instid1(VALU_DEP_1)
	v_cndmask_b32_e32 v150, 0, v160, vcc_lo
	v_add_f64 v[160:161], v[150:151], 1.0
	s_delay_alu instid0(VALU_DEP_1) | instskip(SKIP_2) | instid1(VALU_DEP_3)
	v_frexp_mant_f64_e32 v[162:163], v[160:161]
	v_frexp_exp_i32_f64_e32 v166, v[160:161]
	v_add_f64 v[164:165], v[160:161], -1.0
	v_cmp_gt_f64_e32 vcc_lo, s[52:53], v[162:163]
	s_delay_alu instid0(VALU_DEP_2) | instskip(SKIP_2) | instid1(VALU_DEP_3)
	v_add_f64 v[162:163], v[164:165], -v[160:161]
	v_add_f64 v[164:165], v[150:151], -v[164:165]
	v_subrev_co_ci_u32_e32 v247, vcc_lo, 0, v166, vcc_lo
	v_add_f64 v[162:163], v[162:163], 1.0
	v_cmp_eq_f64_e32 vcc_lo, 0x7ff00000, v[150:151]
	s_delay_alu instid0(VALU_DEP_3) | instskip(NEXT) | instid1(VALU_DEP_1)
	v_sub_nc_u32_e32 v176, 0, v247
	v_ldexp_f64 v[160:161], v[160:161], v176
	s_delay_alu instid0(VALU_DEP_4) | instskip(NEXT) | instid1(VALU_DEP_2)
	v_add_f64 v[162:163], v[164:165], v[162:163]
	v_add_f64 v[166:167], v[160:161], 1.0
	v_add_f64 v[243:244], v[160:161], -1.0
	s_delay_alu instid0(VALU_DEP_3) | instskip(NEXT) | instid1(VALU_DEP_3)
	v_ldexp_f64 v[162:163], v[162:163], v176
	v_add_f64 v[164:165], v[166:167], -1.0
	s_delay_alu instid0(VALU_DEP_3) | instskip(NEXT) | instid1(VALU_DEP_2)
	v_add_f64 v[245:246], v[243:244], 1.0
	v_add_f64 v[164:165], v[160:161], -v[164:165]
	s_delay_alu instid0(VALU_DEP_2) | instskip(NEXT) | instid1(VALU_DEP_2)
	v_add_f64 v[160:161], v[160:161], -v[245:246]
	v_add_f64 v[164:165], v[162:163], v[164:165]
	s_delay_alu instid0(VALU_DEP_2) | instskip(NEXT) | instid1(VALU_DEP_2)
	v_add_f64 v[160:161], v[162:163], v[160:161]
	v_add_f64 v[176:177], v[166:167], v[164:165]
	s_delay_alu instid0(VALU_DEP_2) | instskip(NEXT) | instid1(VALU_DEP_2)
	v_add_f64 v[245:246], v[243:244], v[160:161]
	v_rcp_f64_e32 v[241:242], v[176:177]
	v_add_f64 v[166:167], v[176:177], -v[166:167]
	s_delay_alu instid0(VALU_DEP_2) | instskip(NEXT) | instid1(VALU_DEP_2)
	v_add_f64 v[243:244], v[245:246], -v[243:244]
	v_add_f64 v[164:165], v[164:165], -v[166:167]
	s_waitcnt_depctr 0xfff
	v_fma_f64 v[40:41], -v[176:177], v[241:242], 1.0
	v_add_f64 v[160:161], v[160:161], -v[243:244]
	s_delay_alu instid0(VALU_DEP_2) | instskip(NEXT) | instid1(VALU_DEP_1)
	v_fma_f64 v[241:242], v[40:41], v[241:242], v[241:242]
	v_fma_f64 v[162:163], -v[176:177], v[241:242], 1.0
	s_delay_alu instid0(VALU_DEP_1) | instskip(NEXT) | instid1(VALU_DEP_1)
	v_fma_f64 v[162:163], v[162:163], v[241:242], v[241:242]
	v_mul_f64 v[241:242], v[245:246], v[162:163]
	s_delay_alu instid0(VALU_DEP_1) | instskip(NEXT) | instid1(VALU_DEP_1)
	v_mul_f64 v[40:41], v[176:177], v[241:242]
	v_fma_f64 v[166:167], v[241:242], v[176:177], -v[40:41]
	s_delay_alu instid0(VALU_DEP_1) | instskip(NEXT) | instid1(VALU_DEP_1)
	v_fma_f64 v[166:167], v[241:242], v[164:165], v[166:167]
	v_add_f64 v[42:43], v[40:41], v[166:167]
	s_delay_alu instid0(VALU_DEP_1) | instskip(SKIP_1) | instid1(VALU_DEP_2)
	v_add_f64 v[44:45], v[245:246], -v[42:43]
	v_add_f64 v[243:244], v[42:43], -v[40:41]
	;; [unrolled: 1-line block ×3, first 2 shown]
	s_delay_alu instid0(VALU_DEP_2) | instskip(NEXT) | instid1(VALU_DEP_2)
	v_add_f64 v[166:167], v[243:244], -v[166:167]
	v_add_f64 v[245:246], v[245:246], -v[42:43]
	s_delay_alu instid0(VALU_DEP_1) | instskip(NEXT) | instid1(VALU_DEP_1)
	v_add_f64 v[160:161], v[160:161], v[245:246]
	v_add_f64 v[160:161], v[166:167], v[160:161]
	s_delay_alu instid0(VALU_DEP_1) | instskip(NEXT) | instid1(VALU_DEP_1)
	v_add_f64 v[166:167], v[44:45], v[160:161]
	v_mul_f64 v[243:244], v[162:163], v[166:167]
	v_add_f64 v[42:43], v[44:45], -v[166:167]
	s_delay_alu instid0(VALU_DEP_2) | instskip(NEXT) | instid1(VALU_DEP_2)
	v_mul_f64 v[245:246], v[176:177], v[243:244]
	v_add_f64 v[160:161], v[160:161], v[42:43]
	s_delay_alu instid0(VALU_DEP_2) | instskip(NEXT) | instid1(VALU_DEP_1)
	v_fma_f64 v[176:177], v[243:244], v[176:177], -v[245:246]
	v_fma_f64 v[164:165], v[243:244], v[164:165], v[176:177]
	s_delay_alu instid0(VALU_DEP_1) | instskip(NEXT) | instid1(VALU_DEP_1)
	v_add_f64 v[176:177], v[245:246], v[164:165]
	v_add_f64 v[40:41], v[166:167], -v[176:177]
	v_add_f64 v[245:246], v[176:177], -v[245:246]
	s_delay_alu instid0(VALU_DEP_2) | instskip(NEXT) | instid1(VALU_DEP_2)
	v_add_f64 v[166:167], v[166:167], -v[40:41]
	v_add_f64 v[164:165], v[245:246], -v[164:165]
	s_delay_alu instid0(VALU_DEP_2) | instskip(NEXT) | instid1(VALU_DEP_1)
	v_add_f64 v[166:167], v[166:167], -v[176:177]
	v_add_f64 v[160:161], v[160:161], v[166:167]
	v_add_f64 v[166:167], v[241:242], v[243:244]
	s_delay_alu instid0(VALU_DEP_2) | instskip(NEXT) | instid1(VALU_DEP_2)
	v_add_f64 v[160:161], v[164:165], v[160:161]
	v_add_f64 v[164:165], v[166:167], -v[241:242]
	s_delay_alu instid0(VALU_DEP_2) | instskip(NEXT) | instid1(VALU_DEP_2)
	v_add_f64 v[160:161], v[40:41], v[160:161]
	v_add_f64 v[164:165], v[243:244], -v[164:165]
	s_delay_alu instid0(VALU_DEP_2) | instskip(NEXT) | instid1(VALU_DEP_1)
	v_mul_f64 v[160:161], v[162:163], v[160:161]
	v_add_f64 v[160:161], v[164:165], v[160:161]
	s_delay_alu instid0(VALU_DEP_1) | instskip(NEXT) | instid1(VALU_DEP_1)
	v_add_f64 v[162:163], v[166:167], v[160:161]
	v_mul_f64 v[164:165], v[162:163], v[162:163]
	s_delay_alu instid0(VALU_DEP_1) | instskip(SKIP_1) | instid1(VALU_DEP_2)
	v_fma_f64 v[176:177], v[164:165], s[56:57], s[54:55]
	v_mul_f64 v[241:242], v[162:163], v[164:165]
	v_fma_f64 v[176:177], v[164:165], v[176:177], s[58:59]
	s_delay_alu instid0(VALU_DEP_1) | instskip(NEXT) | instid1(VALU_DEP_1)
	v_fma_f64 v[176:177], v[164:165], v[176:177], s[60:61]
	v_fma_f64 v[176:177], v[164:165], v[176:177], s[62:63]
	s_delay_alu instid0(VALU_DEP_1) | instskip(NEXT) | instid1(VALU_DEP_1)
	v_fma_f64 v[176:177], v[164:165], v[176:177], s[64:65]
	v_fma_f64 v[164:165], v[164:165], v[176:177], s[66:67]
	v_ldexp_f64 v[176:177], v[162:163], 1
	v_add_f64 v[162:163], v[162:163], -v[166:167]
	s_delay_alu instid0(VALU_DEP_3) | instskip(SKIP_1) | instid1(VALU_DEP_3)
	v_mul_f64 v[164:165], v[241:242], v[164:165]
	v_cvt_f64_i32_e32 v[241:242], v247
	v_add_f64 v[160:161], v[160:161], -v[162:163]
	s_delay_alu instid0(VALU_DEP_3) | instskip(NEXT) | instid1(VALU_DEP_3)
	v_add_f64 v[166:167], v[176:177], v[164:165]
	v_mul_f64 v[243:244], v[241:242], s[68:69]
	s_delay_alu instid0(VALU_DEP_3) | instskip(NEXT) | instid1(VALU_DEP_3)
	v_ldexp_f64 v[160:161], v[160:161], 1
	v_add_f64 v[162:163], v[166:167], -v[176:177]
	s_delay_alu instid0(VALU_DEP_3) | instskip(NEXT) | instid1(VALU_DEP_2)
	v_fma_f64 v[176:177], v[241:242], s[68:69], -v[243:244]
	v_add_f64 v[162:163], v[164:165], -v[162:163]
	s_delay_alu instid0(VALU_DEP_2) | instskip(NEXT) | instid1(VALU_DEP_2)
	v_fma_f64 v[164:165], v[241:242], s[70:71], v[176:177]
	v_add_f64 v[160:161], v[160:161], v[162:163]
	s_delay_alu instid0(VALU_DEP_2) | instskip(NEXT) | instid1(VALU_DEP_2)
	v_add_f64 v[162:163], v[243:244], v[164:165]
	v_add_f64 v[176:177], v[166:167], v[160:161]
	s_delay_alu instid0(VALU_DEP_2) | instskip(NEXT) | instid1(VALU_DEP_2)
	v_add_f64 v[243:244], v[162:163], -v[243:244]
	v_add_f64 v[241:242], v[162:163], v[176:177]
	v_add_f64 v[166:167], v[176:177], -v[166:167]
	s_delay_alu instid0(VALU_DEP_3) | instskip(NEXT) | instid1(VALU_DEP_3)
	v_add_f64 v[164:165], v[164:165], -v[243:244]
	v_add_f64 v[245:246], v[241:242], -v[162:163]
	s_delay_alu instid0(VALU_DEP_3) | instskip(NEXT) | instid1(VALU_DEP_2)
	v_add_f64 v[160:161], v[160:161], -v[166:167]
	v_add_f64 v[40:41], v[241:242], -v[245:246]
	;; [unrolled: 1-line block ×3, first 2 shown]
	s_delay_alu instid0(VALU_DEP_3) | instskip(NEXT) | instid1(VALU_DEP_3)
	v_add_f64 v[176:177], v[164:165], v[160:161]
	v_add_f64 v[162:163], v[162:163], -v[40:41]
	s_delay_alu instid0(VALU_DEP_1) | instskip(NEXT) | instid1(VALU_DEP_3)
	v_add_f64 v[162:163], v[166:167], v[162:163]
	v_add_f64 v[166:167], v[176:177], -v[164:165]
	s_delay_alu instid0(VALU_DEP_2) | instskip(NEXT) | instid1(VALU_DEP_2)
	v_add_f64 v[162:163], v[176:177], v[162:163]
	v_add_f64 v[176:177], v[176:177], -v[166:167]
	v_add_f64 v[160:161], v[160:161], -v[166:167]
	s_delay_alu instid0(VALU_DEP_3) | instskip(NEXT) | instid1(VALU_DEP_3)
	v_add_f64 v[243:244], v[241:242], v[162:163]
	v_add_f64 v[164:165], v[164:165], -v[176:177]
	s_delay_alu instid0(VALU_DEP_2) | instskip(NEXT) | instid1(VALU_DEP_2)
	v_add_f64 v[166:167], v[243:244], -v[241:242]
	v_add_f64 v[160:161], v[160:161], v[164:165]
	s_delay_alu instid0(VALU_DEP_2) | instskip(NEXT) | instid1(VALU_DEP_1)
	v_add_f64 v[162:163], v[162:163], -v[166:167]
	v_add_f64 v[160:161], v[160:161], v[162:163]
	s_delay_alu instid0(VALU_DEP_1) | instskip(NEXT) | instid1(VALU_DEP_1)
	v_add_f64 v[160:161], v[243:244], v[160:161]
	v_dual_cndmask_b32 v161, v161, v151 :: v_dual_cndmask_b32 v160, v160, v150
	v_cmp_ngt_f64_e32 vcc_lo, -1.0, v[150:151]
	s_delay_alu instid0(VALU_DEP_2) | instskip(SKIP_1) | instid1(VALU_DEP_4)
	v_cndmask_b32_e32 v161, 0x7ff80000, v161, vcc_lo
	v_cmp_nge_f64_e32 vcc_lo, -1.0, v[150:151]
	v_cndmask_b32_e32 v160, 0, v160, vcc_lo
	v_cmp_neq_f64_e32 vcc_lo, -1.0, v[150:151]
	s_delay_alu instid0(VALU_DEP_4) | instskip(NEXT) | instid1(VALU_DEP_1)
	v_cndmask_b32_e32 v161, 0xfff00000, v161, vcc_lo
	v_add_f64 v[150:151], v[6:7], v[160:161]
.LBB76_195:                             ;   in Loop: Header=BB76_162 Depth=1
	s_or_b32 exec_lo, exec_lo, s22
	s_delay_alu instid0(VALU_DEP_1)
	v_dual_mov_b32 v160, v150 :: v_dual_mov_b32 v161, v151
	v_dual_mov_b32 v6, v150 :: v_dual_mov_b32 v7, v151
.LBB76_196:                             ;   in Loop: Header=BB76_162 Depth=1
	s_or_b32 exec_lo, exec_lo, s21
	s_waitcnt lgkmcnt(1)
	ds_bpermute_b32 v150, v229, v160
	s_waitcnt lgkmcnt(1)
	ds_bpermute_b32 v151, v229, v161
	s_mov_b32 s21, exec_lo
	v_cmpx_le_u32_e64 v230, v9
	s_cbranch_execz .LBB76_200
; %bb.197:                              ;   in Loop: Header=BB76_162 Depth=1
	s_waitcnt lgkmcnt(0)
	v_max_f64 v[160:161], v[150:151], v[150:151]
	v_max_f64 v[162:163], v[6:7], v[6:7]
	v_cmp_u_f64_e32 vcc_lo, v[150:151], v[150:151]
	v_cmp_u_f64_e64 s20, v[6:7], v[6:7]
	s_delay_alu instid0(VALU_DEP_3) | instskip(SKIP_1) | instid1(VALU_DEP_2)
	v_min_f64 v[164:165], v[160:161], v[162:163]
	v_max_f64 v[160:161], v[160:161], v[162:163]
	v_dual_cndmask_b32 v162, v164, v150 :: v_dual_cndmask_b32 v163, v165, v151
	s_delay_alu instid0(VALU_DEP_2) | instskip(NEXT) | instid1(VALU_DEP_2)
	v_dual_cndmask_b32 v164, v161, v151 :: v_dual_cndmask_b32 v165, v160, v150
	v_cndmask_b32_e64 v160, v162, v6, s20
	s_delay_alu instid0(VALU_DEP_3) | instskip(NEXT) | instid1(VALU_DEP_3)
	v_cndmask_b32_e64 v161, v163, v7, s20
	v_cndmask_b32_e64 v7, v164, v7, s20
	s_delay_alu instid0(VALU_DEP_4) | instskip(NEXT) | instid1(VALU_DEP_3)
	v_cndmask_b32_e64 v6, v165, v6, s20
	v_cmp_class_f64_e64 s20, v[160:161], 0x1f8
	s_delay_alu instid0(VALU_DEP_2) | instskip(NEXT) | instid1(VALU_DEP_2)
	v_cmp_neq_f64_e32 vcc_lo, v[160:161], v[6:7]
	s_or_b32 s20, vcc_lo, s20
	s_delay_alu instid0(SALU_CYCLE_1)
	s_and_saveexec_b32 s22, s20
	s_cbranch_execz .LBB76_199
; %bb.198:                              ;   in Loop: Header=BB76_162 Depth=1
	v_add_f64 v[150:151], v[160:161], -v[6:7]
	s_mov_b32 s67, s53
	s_mov_b32 s68, s26
	;; [unrolled: 1-line block ×3, first 2 shown]
	s_delay_alu instid0(VALU_DEP_1) | instskip(SKIP_2) | instid1(VALU_DEP_3)
	v_mul_f64 v[160:161], v[150:151], s[24:25]
	v_cmp_nlt_f64_e32 vcc_lo, 0x40900000, v[150:151]
	v_cmp_ngt_f64_e64 s20, 0xc090cc00, v[150:151]
	v_rndne_f64_e32 v[160:161], v[160:161]
	s_delay_alu instid0(VALU_DEP_1) | instskip(SKIP_1) | instid1(VALU_DEP_2)
	v_fma_f64 v[162:163], v[160:161], s[26:27], v[150:151]
	v_cvt_i32_f64_e32 v166, v[160:161]
	v_fma_f64 v[162:163], v[160:161], s[28:29], v[162:163]
	s_delay_alu instid0(VALU_DEP_1) | instskip(NEXT) | instid1(VALU_DEP_1)
	v_fma_f64 v[164:165], v[162:163], s[34:35], s[30:31]
	v_fma_f64 v[164:165], v[162:163], v[164:165], s[36:37]
	s_delay_alu instid0(VALU_DEP_1) | instskip(NEXT) | instid1(VALU_DEP_1)
	v_fma_f64 v[164:165], v[162:163], v[164:165], s[38:39]
	;; [unrolled: 3-line block ×5, first 2 shown]
	v_fma_f64 v[164:165], v[162:163], v[164:165], 1.0
	s_delay_alu instid0(VALU_DEP_1) | instskip(NEXT) | instid1(VALU_DEP_1)
	v_fma_f64 v[160:161], v[162:163], v[164:165], 1.0
	v_ldexp_f64 v[160:161], v[160:161], v166
	s_delay_alu instid0(VALU_DEP_1) | instskip(SKIP_1) | instid1(VALU_DEP_1)
	v_cndmask_b32_e32 v161, 0x7ff00000, v161, vcc_lo
	s_and_b32 vcc_lo, s20, vcc_lo
	v_cndmask_b32_e64 v151, 0, v161, s20
	s_delay_alu instid0(VALU_DEP_3) | instskip(NEXT) | instid1(VALU_DEP_1)
	v_cndmask_b32_e32 v150, 0, v160, vcc_lo
	v_add_f64 v[160:161], v[150:151], 1.0
	s_delay_alu instid0(VALU_DEP_1) | instskip(SKIP_2) | instid1(VALU_DEP_3)
	v_frexp_mant_f64_e32 v[162:163], v[160:161]
	v_frexp_exp_i32_f64_e32 v166, v[160:161]
	v_add_f64 v[164:165], v[160:161], -1.0
	v_cmp_gt_f64_e32 vcc_lo, s[52:53], v[162:163]
	s_delay_alu instid0(VALU_DEP_2) | instskip(SKIP_2) | instid1(VALU_DEP_3)
	v_add_f64 v[162:163], v[164:165], -v[160:161]
	v_add_f64 v[164:165], v[150:151], -v[164:165]
	v_subrev_co_ci_u32_e32 v247, vcc_lo, 0, v166, vcc_lo
	v_add_f64 v[162:163], v[162:163], 1.0
	v_cmp_eq_f64_e32 vcc_lo, 0x7ff00000, v[150:151]
	s_delay_alu instid0(VALU_DEP_3) | instskip(NEXT) | instid1(VALU_DEP_1)
	v_sub_nc_u32_e32 v176, 0, v247
	v_ldexp_f64 v[160:161], v[160:161], v176
	s_delay_alu instid0(VALU_DEP_4) | instskip(NEXT) | instid1(VALU_DEP_2)
	v_add_f64 v[162:163], v[164:165], v[162:163]
	v_add_f64 v[166:167], v[160:161], 1.0
	v_add_f64 v[243:244], v[160:161], -1.0
	s_delay_alu instid0(VALU_DEP_3) | instskip(NEXT) | instid1(VALU_DEP_3)
	v_ldexp_f64 v[162:163], v[162:163], v176
	v_add_f64 v[164:165], v[166:167], -1.0
	s_delay_alu instid0(VALU_DEP_3) | instskip(NEXT) | instid1(VALU_DEP_2)
	v_add_f64 v[245:246], v[243:244], 1.0
	v_add_f64 v[164:165], v[160:161], -v[164:165]
	s_delay_alu instid0(VALU_DEP_2) | instskip(NEXT) | instid1(VALU_DEP_2)
	v_add_f64 v[160:161], v[160:161], -v[245:246]
	v_add_f64 v[164:165], v[162:163], v[164:165]
	s_delay_alu instid0(VALU_DEP_2) | instskip(NEXT) | instid1(VALU_DEP_2)
	v_add_f64 v[160:161], v[162:163], v[160:161]
	v_add_f64 v[176:177], v[166:167], v[164:165]
	s_delay_alu instid0(VALU_DEP_2) | instskip(NEXT) | instid1(VALU_DEP_2)
	v_add_f64 v[245:246], v[243:244], v[160:161]
	v_rcp_f64_e32 v[241:242], v[176:177]
	v_add_f64 v[166:167], v[176:177], -v[166:167]
	s_delay_alu instid0(VALU_DEP_2) | instskip(NEXT) | instid1(VALU_DEP_2)
	v_add_f64 v[243:244], v[245:246], -v[243:244]
	v_add_f64 v[164:165], v[164:165], -v[166:167]
	s_waitcnt_depctr 0xfff
	v_fma_f64 v[40:41], -v[176:177], v[241:242], 1.0
	v_add_f64 v[160:161], v[160:161], -v[243:244]
	s_delay_alu instid0(VALU_DEP_2) | instskip(NEXT) | instid1(VALU_DEP_1)
	v_fma_f64 v[241:242], v[40:41], v[241:242], v[241:242]
	v_fma_f64 v[162:163], -v[176:177], v[241:242], 1.0
	s_delay_alu instid0(VALU_DEP_1) | instskip(NEXT) | instid1(VALU_DEP_1)
	v_fma_f64 v[162:163], v[162:163], v[241:242], v[241:242]
	v_mul_f64 v[241:242], v[245:246], v[162:163]
	s_delay_alu instid0(VALU_DEP_1) | instskip(NEXT) | instid1(VALU_DEP_1)
	v_mul_f64 v[40:41], v[176:177], v[241:242]
	v_fma_f64 v[166:167], v[241:242], v[176:177], -v[40:41]
	s_delay_alu instid0(VALU_DEP_1) | instskip(NEXT) | instid1(VALU_DEP_1)
	v_fma_f64 v[166:167], v[241:242], v[164:165], v[166:167]
	v_add_f64 v[42:43], v[40:41], v[166:167]
	s_delay_alu instid0(VALU_DEP_1) | instskip(SKIP_1) | instid1(VALU_DEP_2)
	v_add_f64 v[44:45], v[245:246], -v[42:43]
	v_add_f64 v[243:244], v[42:43], -v[40:41]
	;; [unrolled: 1-line block ×3, first 2 shown]
	s_delay_alu instid0(VALU_DEP_2) | instskip(NEXT) | instid1(VALU_DEP_2)
	v_add_f64 v[166:167], v[243:244], -v[166:167]
	v_add_f64 v[245:246], v[245:246], -v[42:43]
	s_delay_alu instid0(VALU_DEP_1) | instskip(NEXT) | instid1(VALU_DEP_1)
	v_add_f64 v[160:161], v[160:161], v[245:246]
	v_add_f64 v[160:161], v[166:167], v[160:161]
	s_delay_alu instid0(VALU_DEP_1) | instskip(NEXT) | instid1(VALU_DEP_1)
	v_add_f64 v[166:167], v[44:45], v[160:161]
	v_mul_f64 v[243:244], v[162:163], v[166:167]
	v_add_f64 v[42:43], v[44:45], -v[166:167]
	s_delay_alu instid0(VALU_DEP_2) | instskip(NEXT) | instid1(VALU_DEP_2)
	v_mul_f64 v[245:246], v[176:177], v[243:244]
	v_add_f64 v[160:161], v[160:161], v[42:43]
	s_delay_alu instid0(VALU_DEP_2) | instskip(NEXT) | instid1(VALU_DEP_1)
	v_fma_f64 v[176:177], v[243:244], v[176:177], -v[245:246]
	v_fma_f64 v[164:165], v[243:244], v[164:165], v[176:177]
	s_delay_alu instid0(VALU_DEP_1) | instskip(NEXT) | instid1(VALU_DEP_1)
	v_add_f64 v[176:177], v[245:246], v[164:165]
	v_add_f64 v[40:41], v[166:167], -v[176:177]
	v_add_f64 v[245:246], v[176:177], -v[245:246]
	s_delay_alu instid0(VALU_DEP_2) | instskip(NEXT) | instid1(VALU_DEP_2)
	v_add_f64 v[166:167], v[166:167], -v[40:41]
	v_add_f64 v[164:165], v[245:246], -v[164:165]
	s_delay_alu instid0(VALU_DEP_2) | instskip(NEXT) | instid1(VALU_DEP_1)
	v_add_f64 v[166:167], v[166:167], -v[176:177]
	v_add_f64 v[160:161], v[160:161], v[166:167]
	v_add_f64 v[166:167], v[241:242], v[243:244]
	s_delay_alu instid0(VALU_DEP_2) | instskip(NEXT) | instid1(VALU_DEP_2)
	v_add_f64 v[160:161], v[164:165], v[160:161]
	v_add_f64 v[164:165], v[166:167], -v[241:242]
	s_delay_alu instid0(VALU_DEP_2) | instskip(NEXT) | instid1(VALU_DEP_2)
	v_add_f64 v[160:161], v[40:41], v[160:161]
	v_add_f64 v[164:165], v[243:244], -v[164:165]
	s_delay_alu instid0(VALU_DEP_2) | instskip(NEXT) | instid1(VALU_DEP_1)
	v_mul_f64 v[160:161], v[162:163], v[160:161]
	v_add_f64 v[160:161], v[164:165], v[160:161]
	s_delay_alu instid0(VALU_DEP_1) | instskip(NEXT) | instid1(VALU_DEP_1)
	v_add_f64 v[162:163], v[166:167], v[160:161]
	v_mul_f64 v[164:165], v[162:163], v[162:163]
	s_delay_alu instid0(VALU_DEP_1) | instskip(SKIP_1) | instid1(VALU_DEP_2)
	v_fma_f64 v[176:177], v[164:165], s[56:57], s[54:55]
	v_mul_f64 v[241:242], v[162:163], v[164:165]
	v_fma_f64 v[176:177], v[164:165], v[176:177], s[58:59]
	s_delay_alu instid0(VALU_DEP_1) | instskip(NEXT) | instid1(VALU_DEP_1)
	v_fma_f64 v[176:177], v[164:165], v[176:177], s[60:61]
	v_fma_f64 v[176:177], v[164:165], v[176:177], s[62:63]
	s_delay_alu instid0(VALU_DEP_1) | instskip(NEXT) | instid1(VALU_DEP_1)
	v_fma_f64 v[176:177], v[164:165], v[176:177], s[64:65]
	v_fma_f64 v[164:165], v[164:165], v[176:177], s[66:67]
	v_ldexp_f64 v[176:177], v[162:163], 1
	v_add_f64 v[162:163], v[162:163], -v[166:167]
	s_delay_alu instid0(VALU_DEP_3) | instskip(SKIP_1) | instid1(VALU_DEP_3)
	v_mul_f64 v[164:165], v[241:242], v[164:165]
	v_cvt_f64_i32_e32 v[241:242], v247
	v_add_f64 v[160:161], v[160:161], -v[162:163]
	s_delay_alu instid0(VALU_DEP_3) | instskip(NEXT) | instid1(VALU_DEP_3)
	v_add_f64 v[166:167], v[176:177], v[164:165]
	v_mul_f64 v[243:244], v[241:242], s[68:69]
	s_delay_alu instid0(VALU_DEP_3) | instskip(NEXT) | instid1(VALU_DEP_3)
	v_ldexp_f64 v[160:161], v[160:161], 1
	v_add_f64 v[162:163], v[166:167], -v[176:177]
	s_delay_alu instid0(VALU_DEP_3) | instskip(NEXT) | instid1(VALU_DEP_2)
	v_fma_f64 v[176:177], v[241:242], s[68:69], -v[243:244]
	v_add_f64 v[162:163], v[164:165], -v[162:163]
	s_delay_alu instid0(VALU_DEP_2) | instskip(NEXT) | instid1(VALU_DEP_2)
	v_fma_f64 v[164:165], v[241:242], s[70:71], v[176:177]
	v_add_f64 v[160:161], v[160:161], v[162:163]
	s_delay_alu instid0(VALU_DEP_2) | instskip(NEXT) | instid1(VALU_DEP_2)
	v_add_f64 v[162:163], v[243:244], v[164:165]
	v_add_f64 v[176:177], v[166:167], v[160:161]
	s_delay_alu instid0(VALU_DEP_2) | instskip(NEXT) | instid1(VALU_DEP_2)
	v_add_f64 v[243:244], v[162:163], -v[243:244]
	v_add_f64 v[241:242], v[162:163], v[176:177]
	v_add_f64 v[166:167], v[176:177], -v[166:167]
	s_delay_alu instid0(VALU_DEP_3) | instskip(NEXT) | instid1(VALU_DEP_3)
	v_add_f64 v[164:165], v[164:165], -v[243:244]
	v_add_f64 v[245:246], v[241:242], -v[162:163]
	s_delay_alu instid0(VALU_DEP_3) | instskip(NEXT) | instid1(VALU_DEP_2)
	v_add_f64 v[160:161], v[160:161], -v[166:167]
	v_add_f64 v[40:41], v[241:242], -v[245:246]
	v_add_f64 v[166:167], v[176:177], -v[245:246]
	s_delay_alu instid0(VALU_DEP_3) | instskip(NEXT) | instid1(VALU_DEP_3)
	v_add_f64 v[176:177], v[164:165], v[160:161]
	v_add_f64 v[162:163], v[162:163], -v[40:41]
	s_delay_alu instid0(VALU_DEP_1) | instskip(NEXT) | instid1(VALU_DEP_3)
	v_add_f64 v[162:163], v[166:167], v[162:163]
	v_add_f64 v[166:167], v[176:177], -v[164:165]
	s_delay_alu instid0(VALU_DEP_2) | instskip(NEXT) | instid1(VALU_DEP_2)
	v_add_f64 v[162:163], v[176:177], v[162:163]
	v_add_f64 v[176:177], v[176:177], -v[166:167]
	v_add_f64 v[160:161], v[160:161], -v[166:167]
	s_delay_alu instid0(VALU_DEP_3) | instskip(NEXT) | instid1(VALU_DEP_3)
	v_add_f64 v[243:244], v[241:242], v[162:163]
	v_add_f64 v[164:165], v[164:165], -v[176:177]
	s_delay_alu instid0(VALU_DEP_2) | instskip(NEXT) | instid1(VALU_DEP_2)
	v_add_f64 v[166:167], v[243:244], -v[241:242]
	v_add_f64 v[160:161], v[160:161], v[164:165]
	s_delay_alu instid0(VALU_DEP_2) | instskip(NEXT) | instid1(VALU_DEP_1)
	v_add_f64 v[162:163], v[162:163], -v[166:167]
	v_add_f64 v[160:161], v[160:161], v[162:163]
	s_delay_alu instid0(VALU_DEP_1) | instskip(NEXT) | instid1(VALU_DEP_1)
	v_add_f64 v[160:161], v[243:244], v[160:161]
	v_dual_cndmask_b32 v161, v161, v151 :: v_dual_cndmask_b32 v160, v160, v150
	v_cmp_ngt_f64_e32 vcc_lo, -1.0, v[150:151]
	s_delay_alu instid0(VALU_DEP_2) | instskip(SKIP_1) | instid1(VALU_DEP_4)
	v_cndmask_b32_e32 v161, 0x7ff80000, v161, vcc_lo
	v_cmp_nge_f64_e32 vcc_lo, -1.0, v[150:151]
	v_cndmask_b32_e32 v160, 0, v160, vcc_lo
	v_cmp_neq_f64_e32 vcc_lo, -1.0, v[150:151]
	s_delay_alu instid0(VALU_DEP_4) | instskip(NEXT) | instid1(VALU_DEP_1)
	v_cndmask_b32_e32 v161, 0xfff00000, v161, vcc_lo
	v_add_f64 v[150:151], v[6:7], v[160:161]
.LBB76_199:                             ;   in Loop: Header=BB76_162 Depth=1
	s_or_b32 exec_lo, exec_lo, s22
	s_delay_alu instid0(VALU_DEP_1)
	v_dual_mov_b32 v160, v150 :: v_dual_mov_b32 v161, v151
	v_dual_mov_b32 v6, v150 :: v_dual_mov_b32 v7, v151
.LBB76_200:                             ;   in Loop: Header=BB76_162 Depth=1
	s_or_b32 exec_lo, exec_lo, s21
	s_waitcnt lgkmcnt(1)
	ds_bpermute_b32 v150, v231, v160
	s_waitcnt lgkmcnt(1)
	ds_bpermute_b32 v151, v231, v161
	s_mov_b32 s21, exec_lo
	v_cmpx_le_u32_e64 v240, v9
	s_cbranch_execz .LBB76_204
; %bb.201:                              ;   in Loop: Header=BB76_162 Depth=1
	s_waitcnt lgkmcnt(0)
	v_max_f64 v[160:161], v[150:151], v[150:151]
	v_max_f64 v[162:163], v[6:7], v[6:7]
	v_cmp_u_f64_e32 vcc_lo, v[150:151], v[150:151]
	v_cmp_u_f64_e64 s20, v[6:7], v[6:7]
	s_delay_alu instid0(VALU_DEP_3) | instskip(SKIP_1) | instid1(VALU_DEP_2)
	v_min_f64 v[164:165], v[160:161], v[162:163]
	v_max_f64 v[160:161], v[160:161], v[162:163]
	v_dual_cndmask_b32 v9, v164, v150 :: v_dual_cndmask_b32 v162, v165, v151
	s_delay_alu instid0(VALU_DEP_2) | instskip(NEXT) | instid1(VALU_DEP_2)
	v_dual_cndmask_b32 v163, v161, v151 :: v_dual_cndmask_b32 v164, v160, v150
	v_cndmask_b32_e64 v160, v9, v6, s20
	s_delay_alu instid0(VALU_DEP_3) | instskip(NEXT) | instid1(VALU_DEP_3)
	v_cndmask_b32_e64 v161, v162, v7, s20
	v_cndmask_b32_e64 v7, v163, v7, s20
	s_delay_alu instid0(VALU_DEP_4) | instskip(NEXT) | instid1(VALU_DEP_3)
	v_cndmask_b32_e64 v6, v164, v6, s20
	v_cmp_class_f64_e64 s20, v[160:161], 0x1f8
	s_delay_alu instid0(VALU_DEP_2) | instskip(NEXT) | instid1(VALU_DEP_2)
	v_cmp_neq_f64_e32 vcc_lo, v[160:161], v[6:7]
	s_or_b32 s20, vcc_lo, s20
	s_delay_alu instid0(SALU_CYCLE_1)
	s_and_saveexec_b32 s22, s20
	s_cbranch_execz .LBB76_203
; %bb.202:                              ;   in Loop: Header=BB76_162 Depth=1
	v_add_f64 v[150:151], v[160:161], -v[6:7]
	s_mov_b32 s67, s53
	s_mov_b32 s68, s26
	;; [unrolled: 1-line block ×3, first 2 shown]
	s_delay_alu instid0(VALU_DEP_1) | instskip(SKIP_2) | instid1(VALU_DEP_3)
	v_mul_f64 v[160:161], v[150:151], s[24:25]
	v_cmp_nlt_f64_e32 vcc_lo, 0x40900000, v[150:151]
	v_cmp_ngt_f64_e64 s20, 0xc090cc00, v[150:151]
	v_rndne_f64_e32 v[160:161], v[160:161]
	s_delay_alu instid0(VALU_DEP_1) | instskip(SKIP_1) | instid1(VALU_DEP_2)
	v_fma_f64 v[162:163], v[160:161], s[26:27], v[150:151]
	v_cvt_i32_f64_e32 v9, v[160:161]
	v_fma_f64 v[162:163], v[160:161], s[28:29], v[162:163]
	s_delay_alu instid0(VALU_DEP_1) | instskip(NEXT) | instid1(VALU_DEP_1)
	v_fma_f64 v[164:165], v[162:163], s[34:35], s[30:31]
	v_fma_f64 v[164:165], v[162:163], v[164:165], s[36:37]
	s_delay_alu instid0(VALU_DEP_1) | instskip(NEXT) | instid1(VALU_DEP_1)
	v_fma_f64 v[164:165], v[162:163], v[164:165], s[38:39]
	;; [unrolled: 3-line block ×5, first 2 shown]
	v_fma_f64 v[164:165], v[162:163], v[164:165], 1.0
	s_delay_alu instid0(VALU_DEP_1) | instskip(NEXT) | instid1(VALU_DEP_1)
	v_fma_f64 v[160:161], v[162:163], v[164:165], 1.0
	v_ldexp_f64 v[160:161], v[160:161], v9
	s_delay_alu instid0(VALU_DEP_1) | instskip(SKIP_1) | instid1(VALU_DEP_2)
	v_cndmask_b32_e32 v9, 0x7ff00000, v161, vcc_lo
	s_and_b32 vcc_lo, s20, vcc_lo
	v_cndmask_b32_e32 v150, 0, v160, vcc_lo
	s_delay_alu instid0(VALU_DEP_2) | instskip(NEXT) | instid1(VALU_DEP_1)
	v_cndmask_b32_e64 v151, 0, v9, s20
	v_add_f64 v[160:161], v[150:151], 1.0
	s_delay_alu instid0(VALU_DEP_1) | instskip(SKIP_2) | instid1(VALU_DEP_3)
	v_frexp_mant_f64_e32 v[162:163], v[160:161]
	v_frexp_exp_i32_f64_e32 v9, v[160:161]
	v_add_f64 v[164:165], v[160:161], -1.0
	v_cmp_gt_f64_e32 vcc_lo, s[52:53], v[162:163]
	s_delay_alu instid0(VALU_DEP_2) | instskip(SKIP_2) | instid1(VALU_DEP_3)
	v_add_f64 v[162:163], v[164:165], -v[160:161]
	v_add_f64 v[164:165], v[150:151], -v[164:165]
	v_subrev_co_ci_u32_e32 v9, vcc_lo, 0, v9, vcc_lo
	v_add_f64 v[162:163], v[162:163], 1.0
	v_cmp_eq_f64_e32 vcc_lo, 0x7ff00000, v[150:151]
	s_delay_alu instid0(VALU_DEP_3) | instskip(NEXT) | instid1(VALU_DEP_1)
	v_sub_nc_u32_e32 v176, 0, v9
	v_ldexp_f64 v[160:161], v[160:161], v176
	s_delay_alu instid0(VALU_DEP_4) | instskip(NEXT) | instid1(VALU_DEP_2)
	v_add_f64 v[162:163], v[164:165], v[162:163]
	v_add_f64 v[166:167], v[160:161], 1.0
	v_add_f64 v[243:244], v[160:161], -1.0
	s_delay_alu instid0(VALU_DEP_3) | instskip(NEXT) | instid1(VALU_DEP_3)
	v_ldexp_f64 v[162:163], v[162:163], v176
	v_add_f64 v[164:165], v[166:167], -1.0
	s_delay_alu instid0(VALU_DEP_3) | instskip(NEXT) | instid1(VALU_DEP_2)
	v_add_f64 v[245:246], v[243:244], 1.0
	v_add_f64 v[164:165], v[160:161], -v[164:165]
	s_delay_alu instid0(VALU_DEP_2) | instskip(NEXT) | instid1(VALU_DEP_2)
	v_add_f64 v[160:161], v[160:161], -v[245:246]
	v_add_f64 v[164:165], v[162:163], v[164:165]
	s_delay_alu instid0(VALU_DEP_2) | instskip(NEXT) | instid1(VALU_DEP_2)
	v_add_f64 v[160:161], v[162:163], v[160:161]
	v_add_f64 v[176:177], v[166:167], v[164:165]
	s_delay_alu instid0(VALU_DEP_2) | instskip(NEXT) | instid1(VALU_DEP_2)
	v_add_f64 v[245:246], v[243:244], v[160:161]
	v_rcp_f64_e32 v[241:242], v[176:177]
	v_add_f64 v[166:167], v[176:177], -v[166:167]
	s_delay_alu instid0(VALU_DEP_2) | instskip(NEXT) | instid1(VALU_DEP_2)
	v_add_f64 v[243:244], v[245:246], -v[243:244]
	v_add_f64 v[164:165], v[164:165], -v[166:167]
	s_waitcnt_depctr 0xfff
	v_fma_f64 v[40:41], -v[176:177], v[241:242], 1.0
	v_add_f64 v[160:161], v[160:161], -v[243:244]
	s_delay_alu instid0(VALU_DEP_2) | instskip(NEXT) | instid1(VALU_DEP_1)
	v_fma_f64 v[241:242], v[40:41], v[241:242], v[241:242]
	v_fma_f64 v[162:163], -v[176:177], v[241:242], 1.0
	s_delay_alu instid0(VALU_DEP_1) | instskip(NEXT) | instid1(VALU_DEP_1)
	v_fma_f64 v[162:163], v[162:163], v[241:242], v[241:242]
	v_mul_f64 v[241:242], v[245:246], v[162:163]
	s_delay_alu instid0(VALU_DEP_1) | instskip(NEXT) | instid1(VALU_DEP_1)
	v_mul_f64 v[40:41], v[176:177], v[241:242]
	v_fma_f64 v[166:167], v[241:242], v[176:177], -v[40:41]
	s_delay_alu instid0(VALU_DEP_1) | instskip(NEXT) | instid1(VALU_DEP_1)
	v_fma_f64 v[166:167], v[241:242], v[164:165], v[166:167]
	v_add_f64 v[42:43], v[40:41], v[166:167]
	s_delay_alu instid0(VALU_DEP_1) | instskip(SKIP_1) | instid1(VALU_DEP_2)
	v_add_f64 v[44:45], v[245:246], -v[42:43]
	v_add_f64 v[243:244], v[42:43], -v[40:41]
	;; [unrolled: 1-line block ×3, first 2 shown]
	s_delay_alu instid0(VALU_DEP_2) | instskip(NEXT) | instid1(VALU_DEP_2)
	v_add_f64 v[166:167], v[243:244], -v[166:167]
	v_add_f64 v[245:246], v[245:246], -v[42:43]
	s_delay_alu instid0(VALU_DEP_1) | instskip(NEXT) | instid1(VALU_DEP_1)
	v_add_f64 v[160:161], v[160:161], v[245:246]
	v_add_f64 v[160:161], v[166:167], v[160:161]
	s_delay_alu instid0(VALU_DEP_1) | instskip(NEXT) | instid1(VALU_DEP_1)
	v_add_f64 v[166:167], v[44:45], v[160:161]
	v_mul_f64 v[243:244], v[162:163], v[166:167]
	v_add_f64 v[42:43], v[44:45], -v[166:167]
	s_delay_alu instid0(VALU_DEP_2) | instskip(NEXT) | instid1(VALU_DEP_2)
	v_mul_f64 v[245:246], v[176:177], v[243:244]
	v_add_f64 v[160:161], v[160:161], v[42:43]
	s_delay_alu instid0(VALU_DEP_2) | instskip(NEXT) | instid1(VALU_DEP_1)
	v_fma_f64 v[176:177], v[243:244], v[176:177], -v[245:246]
	v_fma_f64 v[164:165], v[243:244], v[164:165], v[176:177]
	s_delay_alu instid0(VALU_DEP_1) | instskip(NEXT) | instid1(VALU_DEP_1)
	v_add_f64 v[176:177], v[245:246], v[164:165]
	v_add_f64 v[40:41], v[166:167], -v[176:177]
	v_add_f64 v[245:246], v[176:177], -v[245:246]
	s_delay_alu instid0(VALU_DEP_2) | instskip(NEXT) | instid1(VALU_DEP_2)
	v_add_f64 v[166:167], v[166:167], -v[40:41]
	v_add_f64 v[164:165], v[245:246], -v[164:165]
	s_delay_alu instid0(VALU_DEP_2) | instskip(NEXT) | instid1(VALU_DEP_1)
	v_add_f64 v[166:167], v[166:167], -v[176:177]
	v_add_f64 v[160:161], v[160:161], v[166:167]
	v_add_f64 v[166:167], v[241:242], v[243:244]
	s_delay_alu instid0(VALU_DEP_2) | instskip(NEXT) | instid1(VALU_DEP_2)
	v_add_f64 v[160:161], v[164:165], v[160:161]
	v_add_f64 v[164:165], v[166:167], -v[241:242]
	s_delay_alu instid0(VALU_DEP_2) | instskip(NEXT) | instid1(VALU_DEP_2)
	v_add_f64 v[160:161], v[40:41], v[160:161]
	v_add_f64 v[164:165], v[243:244], -v[164:165]
	s_delay_alu instid0(VALU_DEP_2) | instskip(NEXT) | instid1(VALU_DEP_1)
	v_mul_f64 v[160:161], v[162:163], v[160:161]
	v_add_f64 v[160:161], v[164:165], v[160:161]
	s_delay_alu instid0(VALU_DEP_1) | instskip(NEXT) | instid1(VALU_DEP_1)
	v_add_f64 v[162:163], v[166:167], v[160:161]
	v_mul_f64 v[164:165], v[162:163], v[162:163]
	s_delay_alu instid0(VALU_DEP_1) | instskip(SKIP_1) | instid1(VALU_DEP_2)
	v_fma_f64 v[176:177], v[164:165], s[56:57], s[54:55]
	v_mul_f64 v[241:242], v[162:163], v[164:165]
	v_fma_f64 v[176:177], v[164:165], v[176:177], s[58:59]
	s_delay_alu instid0(VALU_DEP_1) | instskip(NEXT) | instid1(VALU_DEP_1)
	v_fma_f64 v[176:177], v[164:165], v[176:177], s[60:61]
	v_fma_f64 v[176:177], v[164:165], v[176:177], s[62:63]
	s_delay_alu instid0(VALU_DEP_1) | instskip(NEXT) | instid1(VALU_DEP_1)
	v_fma_f64 v[176:177], v[164:165], v[176:177], s[64:65]
	v_fma_f64 v[164:165], v[164:165], v[176:177], s[66:67]
	v_ldexp_f64 v[176:177], v[162:163], 1
	v_add_f64 v[162:163], v[162:163], -v[166:167]
	s_delay_alu instid0(VALU_DEP_3) | instskip(SKIP_1) | instid1(VALU_DEP_3)
	v_mul_f64 v[164:165], v[241:242], v[164:165]
	v_cvt_f64_i32_e32 v[241:242], v9
	v_add_f64 v[160:161], v[160:161], -v[162:163]
	s_delay_alu instid0(VALU_DEP_3) | instskip(NEXT) | instid1(VALU_DEP_3)
	v_add_f64 v[166:167], v[176:177], v[164:165]
	v_mul_f64 v[243:244], v[241:242], s[68:69]
	s_delay_alu instid0(VALU_DEP_3) | instskip(NEXT) | instid1(VALU_DEP_3)
	v_ldexp_f64 v[160:161], v[160:161], 1
	v_add_f64 v[162:163], v[166:167], -v[176:177]
	s_delay_alu instid0(VALU_DEP_3) | instskip(NEXT) | instid1(VALU_DEP_2)
	v_fma_f64 v[176:177], v[241:242], s[68:69], -v[243:244]
	v_add_f64 v[162:163], v[164:165], -v[162:163]
	s_delay_alu instid0(VALU_DEP_2) | instskip(NEXT) | instid1(VALU_DEP_2)
	v_fma_f64 v[164:165], v[241:242], s[70:71], v[176:177]
	v_add_f64 v[160:161], v[160:161], v[162:163]
	s_delay_alu instid0(VALU_DEP_2) | instskip(NEXT) | instid1(VALU_DEP_2)
	v_add_f64 v[162:163], v[243:244], v[164:165]
	v_add_f64 v[176:177], v[166:167], v[160:161]
	s_delay_alu instid0(VALU_DEP_2) | instskip(NEXT) | instid1(VALU_DEP_2)
	v_add_f64 v[243:244], v[162:163], -v[243:244]
	v_add_f64 v[241:242], v[162:163], v[176:177]
	v_add_f64 v[166:167], v[176:177], -v[166:167]
	s_delay_alu instid0(VALU_DEP_3) | instskip(NEXT) | instid1(VALU_DEP_3)
	v_add_f64 v[164:165], v[164:165], -v[243:244]
	v_add_f64 v[245:246], v[241:242], -v[162:163]
	s_delay_alu instid0(VALU_DEP_3) | instskip(NEXT) | instid1(VALU_DEP_2)
	v_add_f64 v[160:161], v[160:161], -v[166:167]
	v_add_f64 v[40:41], v[241:242], -v[245:246]
	;; [unrolled: 1-line block ×3, first 2 shown]
	s_delay_alu instid0(VALU_DEP_3) | instskip(NEXT) | instid1(VALU_DEP_3)
	v_add_f64 v[176:177], v[164:165], v[160:161]
	v_add_f64 v[162:163], v[162:163], -v[40:41]
	s_delay_alu instid0(VALU_DEP_1) | instskip(NEXT) | instid1(VALU_DEP_3)
	v_add_f64 v[162:163], v[166:167], v[162:163]
	v_add_f64 v[166:167], v[176:177], -v[164:165]
	s_delay_alu instid0(VALU_DEP_2) | instskip(NEXT) | instid1(VALU_DEP_2)
	v_add_f64 v[162:163], v[176:177], v[162:163]
	v_add_f64 v[176:177], v[176:177], -v[166:167]
	v_add_f64 v[160:161], v[160:161], -v[166:167]
	s_delay_alu instid0(VALU_DEP_3) | instskip(NEXT) | instid1(VALU_DEP_3)
	v_add_f64 v[243:244], v[241:242], v[162:163]
	v_add_f64 v[164:165], v[164:165], -v[176:177]
	s_delay_alu instid0(VALU_DEP_2) | instskip(NEXT) | instid1(VALU_DEP_2)
	v_add_f64 v[166:167], v[243:244], -v[241:242]
	v_add_f64 v[160:161], v[160:161], v[164:165]
	s_delay_alu instid0(VALU_DEP_2) | instskip(NEXT) | instid1(VALU_DEP_1)
	v_add_f64 v[162:163], v[162:163], -v[166:167]
	v_add_f64 v[160:161], v[160:161], v[162:163]
	s_delay_alu instid0(VALU_DEP_1) | instskip(NEXT) | instid1(VALU_DEP_1)
	v_add_f64 v[160:161], v[243:244], v[160:161]
	v_dual_cndmask_b32 v9, v160, v150 :: v_dual_cndmask_b32 v160, v161, v151
	v_cmp_ngt_f64_e32 vcc_lo, -1.0, v[150:151]
	s_delay_alu instid0(VALU_DEP_2) | instskip(SKIP_1) | instid1(VALU_DEP_4)
	v_cndmask_b32_e32 v161, 0x7ff80000, v160, vcc_lo
	v_cmp_nge_f64_e32 vcc_lo, -1.0, v[150:151]
	v_cndmask_b32_e32 v160, 0, v9, vcc_lo
	v_cmp_neq_f64_e32 vcc_lo, -1.0, v[150:151]
	s_delay_alu instid0(VALU_DEP_4) | instskip(NEXT) | instid1(VALU_DEP_1)
	v_cndmask_b32_e32 v161, 0xfff00000, v161, vcc_lo
	v_add_f64 v[150:151], v[6:7], v[160:161]
.LBB76_203:                             ;   in Loop: Header=BB76_162 Depth=1
	s_or_b32 exec_lo, exec_lo, s22
	s_delay_alu instid0(VALU_DEP_1)
	v_dual_mov_b32 v6, v150 :: v_dual_mov_b32 v7, v151
.LBB76_204:                             ;   in Loop: Header=BB76_162 Depth=1
	s_or_b32 exec_lo, exec_lo, s21
	s_waitcnt lgkmcnt(0)
	v_max_f64 v[150:151], v[148:149], v[148:149]
	s_delay_alu instid0(VALU_DEP_2) | instskip(SKIP_2) | instid1(VALU_DEP_3)
	v_max_f64 v[160:161], v[6:7], v[6:7]
	v_cmp_u_f64_e32 vcc_lo, v[6:7], v[6:7]
	v_cmp_u_f64_e64 s20, v[148:149], v[148:149]
	v_min_f64 v[162:163], v[160:161], v[150:151]
	v_max_f64 v[150:151], v[160:161], v[150:151]
	s_delay_alu instid0(VALU_DEP_2) | instskip(NEXT) | instid1(VALU_DEP_2)
	v_dual_cndmask_b32 v9, v162, v6 :: v_dual_cndmask_b32 v160, v163, v7
	v_dual_cndmask_b32 v151, v151, v7 :: v_dual_cndmask_b32 v150, v150, v6
	s_delay_alu instid0(VALU_DEP_2) | instskip(NEXT) | instid1(VALU_DEP_3)
	v_cndmask_b32_e64 v161, v160, v149, s20
	v_cndmask_b32_e64 v160, v9, v148, s20
	s_delay_alu instid0(VALU_DEP_3) | instskip(NEXT) | instid1(VALU_DEP_4)
	v_cndmask_b32_e64 v151, v151, v149, s20
	v_cndmask_b32_e64 v150, v150, v148, s20
	s_delay_alu instid0(VALU_DEP_3) | instskip(NEXT) | instid1(VALU_DEP_2)
	v_cmp_class_f64_e64 s20, v[160:161], 0x1f8
	v_cmp_neq_f64_e32 vcc_lo, v[160:161], v[150:151]
	s_delay_alu instid0(VALU_DEP_2) | instskip(NEXT) | instid1(SALU_CYCLE_1)
	s_or_b32 s20, vcc_lo, s20
	s_and_saveexec_b32 s21, s20
	s_delay_alu instid0(SALU_CYCLE_1)
	s_xor_b32 s21, exec_lo, s21
	s_cbranch_execz .LBB76_161
; %bb.205:                              ;   in Loop: Header=BB76_162 Depth=1
	v_add_f64 v[6:7], v[160:161], -v[150:151]
	s_mov_b32 s67, s53
	s_mov_b32 s68, s26
	s_mov_b32 s70, s28
	s_delay_alu instid0(VALU_DEP_1) | instskip(SKIP_2) | instid1(VALU_DEP_3)
	v_mul_f64 v[160:161], v[6:7], s[24:25]
	v_cmp_nlt_f64_e32 vcc_lo, 0x40900000, v[6:7]
	v_cmp_ngt_f64_e64 s20, 0xc090cc00, v[6:7]
	v_rndne_f64_e32 v[160:161], v[160:161]
	s_delay_alu instid0(VALU_DEP_1) | instskip(SKIP_1) | instid1(VALU_DEP_2)
	v_fma_f64 v[162:163], v[160:161], s[26:27], v[6:7]
	v_cvt_i32_f64_e32 v9, v[160:161]
	v_fma_f64 v[162:163], v[160:161], s[28:29], v[162:163]
	s_delay_alu instid0(VALU_DEP_1) | instskip(NEXT) | instid1(VALU_DEP_1)
	v_fma_f64 v[164:165], v[162:163], s[34:35], s[30:31]
	v_fma_f64 v[164:165], v[162:163], v[164:165], s[36:37]
	s_delay_alu instid0(VALU_DEP_1) | instskip(NEXT) | instid1(VALU_DEP_1)
	v_fma_f64 v[164:165], v[162:163], v[164:165], s[38:39]
	;; [unrolled: 3-line block ×5, first 2 shown]
	v_fma_f64 v[164:165], v[162:163], v[164:165], 1.0
	s_delay_alu instid0(VALU_DEP_1) | instskip(NEXT) | instid1(VALU_DEP_1)
	v_fma_f64 v[160:161], v[162:163], v[164:165], 1.0
	v_ldexp_f64 v[160:161], v[160:161], v9
	s_delay_alu instid0(VALU_DEP_1) | instskip(SKIP_1) | instid1(VALU_DEP_2)
	v_cndmask_b32_e32 v9, 0x7ff00000, v161, vcc_lo
	s_and_b32 vcc_lo, s20, vcc_lo
	v_cndmask_b32_e32 v6, 0, v160, vcc_lo
	s_delay_alu instid0(VALU_DEP_2) | instskip(NEXT) | instid1(VALU_DEP_1)
	v_cndmask_b32_e64 v7, 0, v9, s20
	v_add_f64 v[160:161], v[6:7], 1.0
	s_delay_alu instid0(VALU_DEP_1) | instskip(SKIP_2) | instid1(VALU_DEP_3)
	v_frexp_mant_f64_e32 v[162:163], v[160:161]
	v_frexp_exp_i32_f64_e32 v9, v[160:161]
	v_add_f64 v[164:165], v[160:161], -1.0
	v_cmp_gt_f64_e32 vcc_lo, s[52:53], v[162:163]
	s_delay_alu instid0(VALU_DEP_2) | instskip(SKIP_2) | instid1(VALU_DEP_3)
	v_add_f64 v[162:163], v[164:165], -v[160:161]
	v_add_f64 v[164:165], v[6:7], -v[164:165]
	v_subrev_co_ci_u32_e32 v9, vcc_lo, 0, v9, vcc_lo
	v_add_f64 v[162:163], v[162:163], 1.0
	v_cmp_eq_f64_e32 vcc_lo, 0x7ff00000, v[6:7]
	s_delay_alu instid0(VALU_DEP_3) | instskip(NEXT) | instid1(VALU_DEP_1)
	v_sub_nc_u32_e32 v176, 0, v9
	v_ldexp_f64 v[160:161], v[160:161], v176
	s_delay_alu instid0(VALU_DEP_4) | instskip(NEXT) | instid1(VALU_DEP_2)
	v_add_f64 v[162:163], v[164:165], v[162:163]
	v_add_f64 v[166:167], v[160:161], 1.0
	v_add_f64 v[243:244], v[160:161], -1.0
	s_delay_alu instid0(VALU_DEP_3) | instskip(NEXT) | instid1(VALU_DEP_3)
	v_ldexp_f64 v[162:163], v[162:163], v176
	v_add_f64 v[164:165], v[166:167], -1.0
	s_delay_alu instid0(VALU_DEP_3) | instskip(NEXT) | instid1(VALU_DEP_2)
	v_add_f64 v[245:246], v[243:244], 1.0
	v_add_f64 v[164:165], v[160:161], -v[164:165]
	s_delay_alu instid0(VALU_DEP_2) | instskip(NEXT) | instid1(VALU_DEP_2)
	v_add_f64 v[160:161], v[160:161], -v[245:246]
	v_add_f64 v[164:165], v[162:163], v[164:165]
	s_delay_alu instid0(VALU_DEP_2) | instskip(NEXT) | instid1(VALU_DEP_2)
	v_add_f64 v[160:161], v[162:163], v[160:161]
	v_add_f64 v[176:177], v[166:167], v[164:165]
	s_delay_alu instid0(VALU_DEP_2) | instskip(NEXT) | instid1(VALU_DEP_2)
	v_add_f64 v[245:246], v[243:244], v[160:161]
	v_rcp_f64_e32 v[241:242], v[176:177]
	v_add_f64 v[166:167], v[176:177], -v[166:167]
	s_delay_alu instid0(VALU_DEP_2) | instskip(NEXT) | instid1(VALU_DEP_2)
	v_add_f64 v[243:244], v[245:246], -v[243:244]
	v_add_f64 v[164:165], v[164:165], -v[166:167]
	s_waitcnt_depctr 0xfff
	v_fma_f64 v[40:41], -v[176:177], v[241:242], 1.0
	v_add_f64 v[160:161], v[160:161], -v[243:244]
	s_delay_alu instid0(VALU_DEP_2) | instskip(NEXT) | instid1(VALU_DEP_1)
	v_fma_f64 v[241:242], v[40:41], v[241:242], v[241:242]
	v_fma_f64 v[162:163], -v[176:177], v[241:242], 1.0
	s_delay_alu instid0(VALU_DEP_1) | instskip(NEXT) | instid1(VALU_DEP_1)
	v_fma_f64 v[162:163], v[162:163], v[241:242], v[241:242]
	v_mul_f64 v[241:242], v[245:246], v[162:163]
	s_delay_alu instid0(VALU_DEP_1) | instskip(NEXT) | instid1(VALU_DEP_1)
	v_mul_f64 v[40:41], v[176:177], v[241:242]
	v_fma_f64 v[166:167], v[241:242], v[176:177], -v[40:41]
	s_delay_alu instid0(VALU_DEP_1) | instskip(NEXT) | instid1(VALU_DEP_1)
	v_fma_f64 v[166:167], v[241:242], v[164:165], v[166:167]
	v_add_f64 v[42:43], v[40:41], v[166:167]
	s_delay_alu instid0(VALU_DEP_1) | instskip(SKIP_1) | instid1(VALU_DEP_2)
	v_add_f64 v[44:45], v[245:246], -v[42:43]
	v_add_f64 v[243:244], v[42:43], -v[40:41]
	;; [unrolled: 1-line block ×3, first 2 shown]
	s_delay_alu instid0(VALU_DEP_2) | instskip(NEXT) | instid1(VALU_DEP_2)
	v_add_f64 v[166:167], v[243:244], -v[166:167]
	v_add_f64 v[245:246], v[245:246], -v[42:43]
	s_delay_alu instid0(VALU_DEP_1) | instskip(NEXT) | instid1(VALU_DEP_1)
	v_add_f64 v[160:161], v[160:161], v[245:246]
	v_add_f64 v[160:161], v[166:167], v[160:161]
	s_delay_alu instid0(VALU_DEP_1) | instskip(NEXT) | instid1(VALU_DEP_1)
	v_add_f64 v[166:167], v[44:45], v[160:161]
	v_mul_f64 v[243:244], v[162:163], v[166:167]
	v_add_f64 v[42:43], v[44:45], -v[166:167]
	s_delay_alu instid0(VALU_DEP_2) | instskip(NEXT) | instid1(VALU_DEP_2)
	v_mul_f64 v[245:246], v[176:177], v[243:244]
	v_add_f64 v[160:161], v[160:161], v[42:43]
	s_delay_alu instid0(VALU_DEP_2) | instskip(NEXT) | instid1(VALU_DEP_1)
	v_fma_f64 v[176:177], v[243:244], v[176:177], -v[245:246]
	v_fma_f64 v[164:165], v[243:244], v[164:165], v[176:177]
	s_delay_alu instid0(VALU_DEP_1) | instskip(NEXT) | instid1(VALU_DEP_1)
	v_add_f64 v[176:177], v[245:246], v[164:165]
	v_add_f64 v[40:41], v[166:167], -v[176:177]
	v_add_f64 v[245:246], v[176:177], -v[245:246]
	s_delay_alu instid0(VALU_DEP_2) | instskip(NEXT) | instid1(VALU_DEP_2)
	v_add_f64 v[166:167], v[166:167], -v[40:41]
	v_add_f64 v[164:165], v[245:246], -v[164:165]
	s_delay_alu instid0(VALU_DEP_2) | instskip(NEXT) | instid1(VALU_DEP_1)
	v_add_f64 v[166:167], v[166:167], -v[176:177]
	v_add_f64 v[160:161], v[160:161], v[166:167]
	v_add_f64 v[166:167], v[241:242], v[243:244]
	s_delay_alu instid0(VALU_DEP_2) | instskip(NEXT) | instid1(VALU_DEP_2)
	v_add_f64 v[160:161], v[164:165], v[160:161]
	v_add_f64 v[164:165], v[166:167], -v[241:242]
	s_delay_alu instid0(VALU_DEP_2) | instskip(NEXT) | instid1(VALU_DEP_2)
	v_add_f64 v[160:161], v[40:41], v[160:161]
	v_add_f64 v[164:165], v[243:244], -v[164:165]
	s_delay_alu instid0(VALU_DEP_2) | instskip(NEXT) | instid1(VALU_DEP_1)
	v_mul_f64 v[160:161], v[162:163], v[160:161]
	v_add_f64 v[160:161], v[164:165], v[160:161]
	s_delay_alu instid0(VALU_DEP_1) | instskip(NEXT) | instid1(VALU_DEP_1)
	v_add_f64 v[162:163], v[166:167], v[160:161]
	v_mul_f64 v[164:165], v[162:163], v[162:163]
	s_delay_alu instid0(VALU_DEP_1) | instskip(SKIP_1) | instid1(VALU_DEP_2)
	v_fma_f64 v[176:177], v[164:165], s[56:57], s[54:55]
	v_mul_f64 v[241:242], v[162:163], v[164:165]
	v_fma_f64 v[176:177], v[164:165], v[176:177], s[58:59]
	s_delay_alu instid0(VALU_DEP_1) | instskip(NEXT) | instid1(VALU_DEP_1)
	v_fma_f64 v[176:177], v[164:165], v[176:177], s[60:61]
	v_fma_f64 v[176:177], v[164:165], v[176:177], s[62:63]
	s_delay_alu instid0(VALU_DEP_1) | instskip(NEXT) | instid1(VALU_DEP_1)
	v_fma_f64 v[176:177], v[164:165], v[176:177], s[64:65]
	v_fma_f64 v[164:165], v[164:165], v[176:177], s[66:67]
	v_ldexp_f64 v[176:177], v[162:163], 1
	v_add_f64 v[162:163], v[162:163], -v[166:167]
	s_delay_alu instid0(VALU_DEP_3) | instskip(SKIP_1) | instid1(VALU_DEP_3)
	v_mul_f64 v[164:165], v[241:242], v[164:165]
	v_cvt_f64_i32_e32 v[241:242], v9
	v_add_f64 v[160:161], v[160:161], -v[162:163]
	s_delay_alu instid0(VALU_DEP_3) | instskip(NEXT) | instid1(VALU_DEP_3)
	v_add_f64 v[166:167], v[176:177], v[164:165]
	v_mul_f64 v[243:244], v[241:242], s[68:69]
	s_delay_alu instid0(VALU_DEP_3) | instskip(NEXT) | instid1(VALU_DEP_3)
	v_ldexp_f64 v[160:161], v[160:161], 1
	v_add_f64 v[162:163], v[166:167], -v[176:177]
	s_delay_alu instid0(VALU_DEP_3) | instskip(NEXT) | instid1(VALU_DEP_2)
	v_fma_f64 v[176:177], v[241:242], s[68:69], -v[243:244]
	v_add_f64 v[162:163], v[164:165], -v[162:163]
	s_delay_alu instid0(VALU_DEP_2) | instskip(NEXT) | instid1(VALU_DEP_2)
	v_fma_f64 v[164:165], v[241:242], s[70:71], v[176:177]
	v_add_f64 v[160:161], v[160:161], v[162:163]
	s_delay_alu instid0(VALU_DEP_2) | instskip(NEXT) | instid1(VALU_DEP_2)
	v_add_f64 v[162:163], v[243:244], v[164:165]
	v_add_f64 v[176:177], v[166:167], v[160:161]
	s_delay_alu instid0(VALU_DEP_2) | instskip(NEXT) | instid1(VALU_DEP_2)
	v_add_f64 v[243:244], v[162:163], -v[243:244]
	v_add_f64 v[241:242], v[162:163], v[176:177]
	v_add_f64 v[166:167], v[176:177], -v[166:167]
	s_delay_alu instid0(VALU_DEP_3) | instskip(NEXT) | instid1(VALU_DEP_3)
	v_add_f64 v[164:165], v[164:165], -v[243:244]
	v_add_f64 v[245:246], v[241:242], -v[162:163]
	s_delay_alu instid0(VALU_DEP_3) | instskip(NEXT) | instid1(VALU_DEP_2)
	v_add_f64 v[160:161], v[160:161], -v[166:167]
	v_add_f64 v[40:41], v[241:242], -v[245:246]
	;; [unrolled: 1-line block ×3, first 2 shown]
	s_delay_alu instid0(VALU_DEP_3) | instskip(NEXT) | instid1(VALU_DEP_3)
	v_add_f64 v[176:177], v[164:165], v[160:161]
	v_add_f64 v[162:163], v[162:163], -v[40:41]
	s_delay_alu instid0(VALU_DEP_1) | instskip(NEXT) | instid1(VALU_DEP_3)
	v_add_f64 v[162:163], v[166:167], v[162:163]
	v_add_f64 v[166:167], v[176:177], -v[164:165]
	s_delay_alu instid0(VALU_DEP_2) | instskip(NEXT) | instid1(VALU_DEP_2)
	v_add_f64 v[162:163], v[176:177], v[162:163]
	v_add_f64 v[176:177], v[176:177], -v[166:167]
	v_add_f64 v[160:161], v[160:161], -v[166:167]
	s_delay_alu instid0(VALU_DEP_3) | instskip(NEXT) | instid1(VALU_DEP_3)
	v_add_f64 v[243:244], v[241:242], v[162:163]
	v_add_f64 v[164:165], v[164:165], -v[176:177]
	s_delay_alu instid0(VALU_DEP_2) | instskip(NEXT) | instid1(VALU_DEP_2)
	v_add_f64 v[166:167], v[243:244], -v[241:242]
	v_add_f64 v[160:161], v[160:161], v[164:165]
	s_delay_alu instid0(VALU_DEP_2) | instskip(NEXT) | instid1(VALU_DEP_1)
	v_add_f64 v[162:163], v[162:163], -v[166:167]
	v_add_f64 v[160:161], v[160:161], v[162:163]
	s_delay_alu instid0(VALU_DEP_1) | instskip(NEXT) | instid1(VALU_DEP_1)
	v_add_f64 v[160:161], v[243:244], v[160:161]
	v_dual_cndmask_b32 v9, v160, v6 :: v_dual_cndmask_b32 v160, v161, v7
	v_cmp_ngt_f64_e32 vcc_lo, -1.0, v[6:7]
	s_delay_alu instid0(VALU_DEP_2) | instskip(SKIP_1) | instid1(VALU_DEP_4)
	v_cndmask_b32_e32 v161, 0x7ff80000, v160, vcc_lo
	v_cmp_nge_f64_e32 vcc_lo, -1.0, v[6:7]
	v_cndmask_b32_e32 v160, 0, v9, vcc_lo
	v_cmp_neq_f64_e32 vcc_lo, -1.0, v[6:7]
	s_delay_alu instid0(VALU_DEP_4) | instskip(NEXT) | instid1(VALU_DEP_1)
	v_cndmask_b32_e32 v161, 0xfff00000, v161, vcc_lo
	v_add_f64 v[6:7], v[150:151], v[160:161]
	s_branch .LBB76_161
.LBB76_206:
	s_and_saveexec_b32 s26, s19
	s_cbranch_execz .LBB76_217
; %bb.207:
	v_max_f64 v[6:7], v[4:5], v[4:5]
	v_max_f64 v[8:9], v[148:149], v[148:149]
	v_cmp_u_f64_e32 vcc_lo, v[148:149], v[148:149]
	v_cmp_u_f64_e64 s20, v[4:5], v[4:5]
	s_delay_alu instid0(VALU_DEP_3) | instskip(SKIP_1) | instid1(VALU_DEP_2)
	v_min_f64 v[146:147], v[8:9], v[6:7]
	v_max_f64 v[6:7], v[8:9], v[6:7]
	v_dual_cndmask_b32 v8, v146, v148 :: v_dual_cndmask_b32 v9, v147, v149
	s_delay_alu instid0(VALU_DEP_2) | instskip(NEXT) | instid1(VALU_DEP_2)
	v_dual_cndmask_b32 v7, v7, v149 :: v_dual_cndmask_b32 v6, v6, v148
	v_cndmask_b32_e64 v8, v8, v4, s20
	s_delay_alu instid0(VALU_DEP_3) | instskip(NEXT) | instid1(VALU_DEP_3)
	v_cndmask_b32_e64 v9, v9, v5, s20
	v_cndmask_b32_e64 v7, v7, v5, s20
	s_delay_alu instid0(VALU_DEP_4) | instskip(SKIP_1) | instid1(VALU_DEP_4)
	v_cndmask_b32_e64 v6, v6, v4, s20
	v_dual_mov_b32 v4, v148 :: v_dual_mov_b32 v5, v149
	v_cmp_class_f64_e64 s20, v[8:9], 0x1f8
	s_delay_alu instid0(VALU_DEP_3) | instskip(NEXT) | instid1(VALU_DEP_2)
	v_cmp_neq_f64_e32 vcc_lo, v[8:9], v[6:7]
	s_or_b32 s20, vcc_lo, s20
	s_delay_alu instid0(SALU_CYCLE_1)
	s_and_saveexec_b32 s27, s20
	s_cbranch_execz .LBB76_209
; %bb.208:
	v_add_f64 v[4:5], v[8:9], -v[6:7]
	s_mov_b32 s20, 0x652b82fe
	s_mov_b32 s21, 0x3ff71547
	;; [unrolled: 1-line block ×8, first 2 shown]
	s_delay_alu instid0(VALU_DEP_1) | instskip(SKIP_3) | instid1(VALU_DEP_2)
	v_mul_f64 v[8:9], v[4:5], s[20:21]
	s_mov_b32 s20, 0xfca7ab0c
	s_mov_b32 s21, 0x3e928af3
	v_cmp_nlt_f64_e32 vcc_lo, 0x40900000, v[4:5]
	v_rndne_f64_e32 v[8:9], v[8:9]
	s_delay_alu instid0(VALU_DEP_1) | instskip(SKIP_2) | instid1(VALU_DEP_2)
	v_fma_f64 v[146:147], v[8:9], s[22:23], v[4:5]
	v_cvt_i32_f64_e32 v160, v[8:9]
	s_mov_b32 s23, 0x3fe62e42
	v_fma_f64 v[146:147], v[8:9], s[24:25], v[146:147]
	s_mov_b32 s25, 0x3c7abc9e
	s_delay_alu instid0(VALU_DEP_1) | instskip(SKIP_4) | instid1(VALU_DEP_1)
	v_fma_f64 v[150:151], v[146:147], s[28:29], s[20:21]
	s_mov_b32 s20, 0x623fde64
	s_mov_b32 s21, 0x3ec71dee
	;; [unrolled: 1-line block ×4, first 2 shown]
	v_fma_f64 v[150:151], v[146:147], v[150:151], s[20:21]
	s_mov_b32 s20, 0x7c89e6b0
	s_mov_b32 s21, 0x3efa0199
	s_delay_alu instid0(VALU_DEP_1) | instid1(SALU_CYCLE_1)
	v_fma_f64 v[150:151], v[146:147], v[150:151], s[20:21]
	s_mov_b32 s20, 0x14761f6e
	s_mov_b32 s21, 0x3f2a01a0
	s_delay_alu instid0(VALU_DEP_1) | instid1(SALU_CYCLE_1)
	;; [unrolled: 4-line block ×7, first 2 shown]
	v_fma_f64 v[150:151], v[146:147], v[150:151], s[20:21]
	v_cmp_ngt_f64_e64 s20, 0xc090cc00, v[4:5]
	s_mov_b32 s21, 0x3fe55555
	s_delay_alu instid0(VALU_DEP_2) | instskip(NEXT) | instid1(VALU_DEP_1)
	v_fma_f64 v[150:151], v[146:147], v[150:151], 1.0
	v_fma_f64 v[8:9], v[146:147], v[150:151], 1.0
	s_delay_alu instid0(VALU_DEP_1) | instskip(NEXT) | instid1(VALU_DEP_1)
	v_ldexp_f64 v[8:9], v[8:9], v160
	v_cndmask_b32_e32 v9, 0x7ff00000, v9, vcc_lo
	s_and_b32 vcc_lo, s20, vcc_lo
	s_delay_alu instid0(VALU_DEP_1) | instskip(NEXT) | instid1(VALU_DEP_3)
	v_cndmask_b32_e64 v5, 0, v9, s20
	v_cndmask_b32_e32 v4, 0, v8, vcc_lo
	s_mov_b32 s20, 0x55555555
	s_delay_alu instid0(VALU_DEP_1) | instskip(NEXT) | instid1(VALU_DEP_1)
	v_add_f64 v[8:9], v[4:5], 1.0
	v_frexp_mant_f64_e32 v[146:147], v[8:9]
	v_frexp_exp_i32_f64_e32 v160, v[8:9]
	v_add_f64 v[150:151], v[8:9], -1.0
	s_delay_alu instid0(VALU_DEP_3) | instskip(SKIP_1) | instid1(VALU_DEP_2)
	v_cmp_gt_f64_e32 vcc_lo, s[20:21], v[146:147]
	s_mov_b32 s20, 0x55555780
	v_add_f64 v[146:147], v[150:151], -v[8:9]
	v_add_f64 v[150:151], v[4:5], -v[150:151]
	v_subrev_co_ci_u32_e32 v212, vcc_lo, 0, v160, vcc_lo
	s_delay_alu instid0(VALU_DEP_3) | instskip(SKIP_2) | instid1(VALU_DEP_2)
	v_add_f64 v[146:147], v[146:147], 1.0
	s_mov_b32 vcc_lo, 0xbf559e2b
	s_mov_b32 vcc_hi, 0x3fc3ab76
	v_sub_nc_u32_e32 v162, 0, v212
	s_delay_alu instid0(VALU_DEP_1) | instskip(NEXT) | instid1(VALU_DEP_3)
	v_ldexp_f64 v[8:9], v[8:9], v162
	v_add_f64 v[146:147], v[150:151], v[146:147]
	s_delay_alu instid0(VALU_DEP_2) | instskip(SKIP_1) | instid1(VALU_DEP_3)
	v_add_f64 v[160:161], v[8:9], 1.0
	v_add_f64 v[166:167], v[8:9], -1.0
	v_ldexp_f64 v[146:147], v[146:147], v162
	s_delay_alu instid0(VALU_DEP_3) | instskip(NEXT) | instid1(VALU_DEP_3)
	v_add_f64 v[150:151], v[160:161], -1.0
	v_add_f64 v[176:177], v[166:167], 1.0
	s_delay_alu instid0(VALU_DEP_2) | instskip(NEXT) | instid1(VALU_DEP_2)
	v_add_f64 v[150:151], v[8:9], -v[150:151]
	v_add_f64 v[8:9], v[8:9], -v[176:177]
	s_delay_alu instid0(VALU_DEP_2) | instskip(NEXT) | instid1(VALU_DEP_2)
	v_add_f64 v[150:151], v[146:147], v[150:151]
	v_add_f64 v[8:9], v[146:147], v[8:9]
	s_delay_alu instid0(VALU_DEP_2) | instskip(NEXT) | instid1(VALU_DEP_2)
	v_add_f64 v[162:163], v[160:161], v[150:151]
	v_add_f64 v[176:177], v[166:167], v[8:9]
	s_delay_alu instid0(VALU_DEP_2) | instskip(SKIP_1) | instid1(VALU_DEP_2)
	v_rcp_f64_e32 v[164:165], v[162:163]
	v_add_f64 v[160:161], v[162:163], -v[160:161]
	v_add_f64 v[166:167], v[176:177], -v[166:167]
	s_delay_alu instid0(VALU_DEP_2) | instskip(SKIP_3) | instid1(VALU_DEP_2)
	v_add_f64 v[150:151], v[150:151], -v[160:161]
	s_waitcnt_depctr 0xfff
	v_fma_f64 v[224:225], -v[162:163], v[164:165], 1.0
	v_add_f64 v[8:9], v[8:9], -v[166:167]
	v_fma_f64 v[164:165], v[224:225], v[164:165], v[164:165]
	s_delay_alu instid0(VALU_DEP_1) | instskip(NEXT) | instid1(VALU_DEP_1)
	v_fma_f64 v[146:147], -v[162:163], v[164:165], 1.0
	v_fma_f64 v[146:147], v[146:147], v[164:165], v[164:165]
	s_delay_alu instid0(VALU_DEP_1) | instskip(NEXT) | instid1(VALU_DEP_1)
	v_mul_f64 v[164:165], v[176:177], v[146:147]
	v_mul_f64 v[224:225], v[162:163], v[164:165]
	s_delay_alu instid0(VALU_DEP_1) | instskip(NEXT) | instid1(VALU_DEP_1)
	v_fma_f64 v[160:161], v[164:165], v[162:163], -v[224:225]
	v_fma_f64 v[160:161], v[164:165], v[150:151], v[160:161]
	s_delay_alu instid0(VALU_DEP_1) | instskip(NEXT) | instid1(VALU_DEP_1)
	v_add_f64 v[226:227], v[224:225], v[160:161]
	v_add_f64 v[228:229], v[176:177], -v[226:227]
	v_add_f64 v[166:167], v[226:227], -v[224:225]
	s_delay_alu instid0(VALU_DEP_2) | instskip(NEXT) | instid1(VALU_DEP_2)
	v_add_f64 v[176:177], v[176:177], -v[228:229]
	v_add_f64 v[160:161], v[166:167], -v[160:161]
	s_delay_alu instid0(VALU_DEP_2) | instskip(NEXT) | instid1(VALU_DEP_1)
	v_add_f64 v[176:177], v[176:177], -v[226:227]
	v_add_f64 v[8:9], v[8:9], v[176:177]
	s_delay_alu instid0(VALU_DEP_1) | instskip(NEXT) | instid1(VALU_DEP_1)
	v_add_f64 v[8:9], v[160:161], v[8:9]
	v_add_f64 v[160:161], v[228:229], v[8:9]
	s_delay_alu instid0(VALU_DEP_1) | instskip(SKIP_1) | instid1(VALU_DEP_2)
	v_mul_f64 v[166:167], v[146:147], v[160:161]
	v_add_f64 v[226:227], v[228:229], -v[160:161]
	v_mul_f64 v[176:177], v[162:163], v[166:167]
	s_delay_alu instid0(VALU_DEP_2) | instskip(NEXT) | instid1(VALU_DEP_2)
	v_add_f64 v[8:9], v[8:9], v[226:227]
	v_fma_f64 v[162:163], v[166:167], v[162:163], -v[176:177]
	s_delay_alu instid0(VALU_DEP_1) | instskip(NEXT) | instid1(VALU_DEP_1)
	v_fma_f64 v[150:151], v[166:167], v[150:151], v[162:163]
	v_add_f64 v[162:163], v[176:177], v[150:151]
	s_delay_alu instid0(VALU_DEP_1) | instskip(SKIP_1) | instid1(VALU_DEP_2)
	v_add_f64 v[224:225], v[160:161], -v[162:163]
	v_add_f64 v[176:177], v[162:163], -v[176:177]
	;; [unrolled: 1-line block ×3, first 2 shown]
	s_delay_alu instid0(VALU_DEP_2) | instskip(NEXT) | instid1(VALU_DEP_2)
	v_add_f64 v[150:151], v[176:177], -v[150:151]
	v_add_f64 v[160:161], v[160:161], -v[162:163]
	s_delay_alu instid0(VALU_DEP_1) | instskip(SKIP_1) | instid1(VALU_DEP_2)
	v_add_f64 v[8:9], v[8:9], v[160:161]
	v_add_f64 v[160:161], v[164:165], v[166:167]
	;; [unrolled: 1-line block ×3, first 2 shown]
	s_delay_alu instid0(VALU_DEP_2) | instskip(NEXT) | instid1(VALU_DEP_2)
	v_add_f64 v[150:151], v[160:161], -v[164:165]
	v_add_f64 v[8:9], v[224:225], v[8:9]
	s_delay_alu instid0(VALU_DEP_2) | instskip(NEXT) | instid1(VALU_DEP_2)
	v_add_f64 v[150:151], v[166:167], -v[150:151]
	v_mul_f64 v[8:9], v[146:147], v[8:9]
	s_delay_alu instid0(VALU_DEP_1) | instskip(NEXT) | instid1(VALU_DEP_1)
	v_add_f64 v[8:9], v[150:151], v[8:9]
	v_add_f64 v[146:147], v[160:161], v[8:9]
	s_delay_alu instid0(VALU_DEP_1) | instskip(NEXT) | instid1(VALU_DEP_1)
	v_mul_f64 v[150:151], v[146:147], v[146:147]
	v_fma_f64 v[162:163], v[150:151], vcc, s[28:29]
	s_mov_b32 s28, 0xd7f4df2e
	s_mov_b32 s29, 0x3fc7474d
	v_mul_f64 v[164:165], v[146:147], v[150:151]
	v_cmp_eq_f64_e32 vcc_lo, 0x7ff00000, v[4:5]
	s_delay_alu instid0(VALU_DEP_3)
	v_fma_f64 v[162:163], v[150:151], v[162:163], s[28:29]
	s_mov_b32 s28, 0x16291751
	s_mov_b32 s29, 0x3fcc71c0
	s_delay_alu instid0(VALU_DEP_1) | instid1(SALU_CYCLE_1)
	v_fma_f64 v[162:163], v[150:151], v[162:163], s[28:29]
	s_mov_b32 s28, 0x9b27acf1
	s_mov_b32 s29, 0x3fd24924
	s_delay_alu instid0(VALU_DEP_1) | instid1(SALU_CYCLE_1)
	;; [unrolled: 4-line block ×3, first 2 shown]
	v_fma_f64 v[162:163], v[150:151], v[162:163], s[28:29]
	s_delay_alu instid0(VALU_DEP_1) | instskip(SKIP_2) | instid1(VALU_DEP_3)
	v_fma_f64 v[150:151], v[150:151], v[162:163], s[20:21]
	v_ldexp_f64 v[162:163], v[146:147], 1
	v_add_f64 v[146:147], v[146:147], -v[160:161]
	v_mul_f64 v[150:151], v[164:165], v[150:151]
	v_cvt_f64_i32_e32 v[164:165], v212
	s_delay_alu instid0(VALU_DEP_3) | instskip(NEXT) | instid1(VALU_DEP_3)
	v_add_f64 v[8:9], v[8:9], -v[146:147]
	v_add_f64 v[160:161], v[162:163], v[150:151]
	s_delay_alu instid0(VALU_DEP_3) | instskip(NEXT) | instid1(VALU_DEP_3)
	v_mul_f64 v[166:167], v[164:165], s[22:23]
	v_ldexp_f64 v[8:9], v[8:9], 1
	s_delay_alu instid0(VALU_DEP_3) | instskip(NEXT) | instid1(VALU_DEP_3)
	v_add_f64 v[146:147], v[160:161], -v[162:163]
	v_fma_f64 v[162:163], v[164:165], s[22:23], -v[166:167]
	s_delay_alu instid0(VALU_DEP_2) | instskip(NEXT) | instid1(VALU_DEP_2)
	v_add_f64 v[146:147], v[150:151], -v[146:147]
	v_fma_f64 v[150:151], v[164:165], s[24:25], v[162:163]
	s_delay_alu instid0(VALU_DEP_2) | instskip(NEXT) | instid1(VALU_DEP_2)
	v_add_f64 v[8:9], v[8:9], v[146:147]
	v_add_f64 v[146:147], v[166:167], v[150:151]
	s_delay_alu instid0(VALU_DEP_2) | instskip(NEXT) | instid1(VALU_DEP_2)
	v_add_f64 v[162:163], v[160:161], v[8:9]
	v_add_f64 v[166:167], v[146:147], -v[166:167]
	s_delay_alu instid0(VALU_DEP_2) | instskip(SKIP_1) | instid1(VALU_DEP_3)
	v_add_f64 v[164:165], v[146:147], v[162:163]
	v_add_f64 v[160:161], v[162:163], -v[160:161]
	v_add_f64 v[150:151], v[150:151], -v[166:167]
	s_delay_alu instid0(VALU_DEP_3) | instskip(NEXT) | instid1(VALU_DEP_3)
	v_add_f64 v[176:177], v[164:165], -v[146:147]
	v_add_f64 v[8:9], v[8:9], -v[160:161]
	s_delay_alu instid0(VALU_DEP_2) | instskip(SKIP_1) | instid1(VALU_DEP_3)
	v_add_f64 v[224:225], v[164:165], -v[176:177]
	v_add_f64 v[160:161], v[162:163], -v[176:177]
	v_add_f64 v[162:163], v[150:151], v[8:9]
	s_delay_alu instid0(VALU_DEP_3) | instskip(NEXT) | instid1(VALU_DEP_1)
	v_add_f64 v[146:147], v[146:147], -v[224:225]
	v_add_f64 v[146:147], v[160:161], v[146:147]
	s_delay_alu instid0(VALU_DEP_3) | instskip(NEXT) | instid1(VALU_DEP_2)
	v_add_f64 v[160:161], v[162:163], -v[150:151]
	v_add_f64 v[146:147], v[162:163], v[146:147]
	s_delay_alu instid0(VALU_DEP_2) | instskip(SKIP_1) | instid1(VALU_DEP_3)
	v_add_f64 v[162:163], v[162:163], -v[160:161]
	v_add_f64 v[8:9], v[8:9], -v[160:161]
	v_add_f64 v[166:167], v[164:165], v[146:147]
	s_delay_alu instid0(VALU_DEP_3) | instskip(NEXT) | instid1(VALU_DEP_2)
	v_add_f64 v[150:151], v[150:151], -v[162:163]
	v_add_f64 v[160:161], v[166:167], -v[164:165]
	s_delay_alu instid0(VALU_DEP_2) | instskip(NEXT) | instid1(VALU_DEP_2)
	v_add_f64 v[8:9], v[8:9], v[150:151]
	v_add_f64 v[146:147], v[146:147], -v[160:161]
	s_delay_alu instid0(VALU_DEP_1) | instskip(NEXT) | instid1(VALU_DEP_1)
	v_add_f64 v[8:9], v[8:9], v[146:147]
	v_add_f64 v[8:9], v[166:167], v[8:9]
	s_delay_alu instid0(VALU_DEP_1) | instskip(SKIP_1) | instid1(VALU_DEP_2)
	v_dual_cndmask_b32 v9, v9, v5 :: v_dual_cndmask_b32 v8, v8, v4
	v_cmp_ngt_f64_e32 vcc_lo, -1.0, v[4:5]
	v_cndmask_b32_e32 v9, 0x7ff80000, v9, vcc_lo
	v_cmp_nge_f64_e32 vcc_lo, -1.0, v[4:5]
	s_delay_alu instid0(VALU_DEP_4) | instskip(SKIP_1) | instid1(VALU_DEP_4)
	v_cndmask_b32_e32 v8, 0, v8, vcc_lo
	v_cmp_neq_f64_e32 vcc_lo, -1.0, v[4:5]
	v_cndmask_b32_e32 v9, 0xfff00000, v9, vcc_lo
	s_delay_alu instid0(VALU_DEP_1)
	v_add_f64 v[4:5], v[6:7], v[8:9]
.LBB76_209:
	s_or_b32 exec_lo, exec_lo, s27
	s_add_i32 s20, s72, 32
	s_mov_b32 s21, 0
	s_delay_alu instid0(SALU_CYCLE_1) | instskip(NEXT) | instid1(SALU_CYCLE_1)
	s_lshl_b64 s[20:21], s[20:21], 4
	v_add_co_u32 v8, vcc_lo, v116, s20
	v_add_co_ci_u32_e32 v9, vcc_lo, s21, v117, vcc_lo
	s_mov_b64 s[20:21], src_shared_base
	s_mov_b32 s20, exec_lo
	s_delay_alu instid0(VALU_DEP_1)
	v_cmpx_ne_u32_e64 s21, v9
	s_xor_b32 s20, exec_lo, s20
	s_cbranch_execz .LBB76_215
; %bb.210:
	s_mov_b64 s[22:23], src_private_base
	s_mov_b32 s21, exec_lo
	v_cmpx_ne_u32_e64 s23, v9
	s_xor_b32 s21, exec_lo, s21
	s_cbranch_execz .LBB76_212
; %bb.211:
	v_dual_mov_b32 v7, 0 :: v_dual_mov_b32 v6, 2
	;;#ASMSTART
	global_store_dwordx4 v[8:9], v[4:7] off	
s_waitcnt vmcnt(0)
	;;#ASMEND
                                        ; implicit-def: $vgpr4_vgpr5
                                        ; implicit-def: $vgpr8_vgpr9
.LBB76_212:
	s_and_not1_saveexec_b32 s21, s21
	s_cbranch_execz .LBB76_214
; %bb.213:
	v_dual_mov_b32 v7, 0 :: v_dual_mov_b32 v6, 2
	;;#ASMSTART
	flat_store_dwordx4 v[8:9], v[4:7] 	
s_waitcnt vmcnt(0)
	;;#ASMEND
.LBB76_214:
	s_or_b32 exec_lo, exec_lo, s21
                                        ; implicit-def: $vgpr8_vgpr9
                                        ; implicit-def: $vgpr4_vgpr5
.LBB76_215:
	s_and_not1_saveexec_b32 s20, s20
	s_cbranch_execz .LBB76_217
; %bb.216:
	v_cmp_ne_u64_e32 vcc_lo, 0, v[8:9]
	v_dual_mov_b32 v6, 2 :: v_dual_mov_b32 v7, 0
	v_cndmask_b32_e32 v8, -1, v8, vcc_lo
	;;#ASMSTART
	ds_write_b128 v8, v[4:7] 	
s_waitcnt lgkmcnt(0)
	;;#ASMEND
.LBB76_217:
	s_or_b32 exec_lo, exec_lo, s26
	s_delay_alu instid0(SALU_CYCLE_1)
	s_and_b32 exec_lo, exec_lo, s2
	s_cbranch_execz .LBB76_219
; %bb.218:
	v_mov_b32_e32 v4, 0
	ds_store_b64 v4, v[148:149] offset:56
.LBB76_219:
	s_or_b32 exec_lo, exec_lo, s73
	v_dual_mov_b32 v4, 0 :: v_dual_mov_b32 v9, v1
	s_waitcnt lgkmcnt(0)
	s_barrier
	buffer_gl0_inv
	ds_load_b64 v[4:5], v4 offset:56
	v_mov_b32_e32 v8, v0
	s_and_saveexec_b32 s24, s1
	s_cbranch_execz .LBB76_223
; %bb.220:
	v_cndmask_b32_e64 v9, v214, v145, s19
	v_cndmask_b32_e64 v8, v213, v144, s19
	s_delay_alu instid0(VALU_DEP_1) | instskip(SKIP_1) | instid1(VALU_DEP_2)
	v_max_f64 v[6:7], v[8:9], v[8:9]
	v_cmp_u_f64_e32 vcc_lo, v[8:9], v[8:9]
	v_min_f64 v[144:145], v[6:7], v[133:134]
	v_max_f64 v[6:7], v[6:7], v[133:134]
	s_delay_alu instid0(VALU_DEP_2) | instskip(NEXT) | instid1(VALU_DEP_2)
	v_dual_cndmask_b32 v133, v144, v8 :: v_dual_cndmask_b32 v134, v145, v9
	v_dual_cndmask_b32 v7, v7, v9 :: v_dual_cndmask_b32 v6, v6, v8
	s_delay_alu instid0(VALU_DEP_2) | instskip(NEXT) | instid1(VALU_DEP_3)
	v_cndmask_b32_e64 v133, v133, v0, s18
	v_cndmask_b32_e64 v134, v134, v1, s18
	s_delay_alu instid0(VALU_DEP_3) | instskip(NEXT) | instid1(VALU_DEP_4)
	v_cndmask_b32_e64 v7, v7, v1, s18
	v_cndmask_b32_e64 v6, v6, v0, s18
	s_delay_alu instid0(VALU_DEP_3) | instskip(NEXT) | instid1(VALU_DEP_2)
	v_cmp_class_f64_e64 s18, v[133:134], 0x1f8
	v_cmp_neq_f64_e32 vcc_lo, v[133:134], v[6:7]
	s_delay_alu instid0(VALU_DEP_2) | instskip(NEXT) | instid1(SALU_CYCLE_1)
	s_or_b32 s18, vcc_lo, s18
	s_and_saveexec_b32 s25, s18
	s_cbranch_execz .LBB76_222
; %bb.221:
	v_add_f64 v[8:9], v[133:134], -v[6:7]
	s_mov_b32 s18, 0x652b82fe
	s_mov_b32 s19, 0x3ff71547
	;; [unrolled: 1-line block ×10, first 2 shown]
	s_delay_alu instid0(VALU_DEP_1) | instskip(SKIP_3) | instid1(VALU_DEP_2)
	v_mul_f64 v[133:134], v[8:9], s[18:19]
	s_mov_b32 s18, 0xfca7ab0c
	s_mov_b32 s19, 0x3e928af3
	v_cmp_nlt_f64_e32 vcc_lo, 0x40900000, v[8:9]
	v_rndne_f64_e32 v[133:134], v[133:134]
	s_delay_alu instid0(VALU_DEP_1) | instskip(SKIP_2) | instid1(VALU_DEP_2)
	v_fma_f64 v[144:145], v[133:134], s[20:21], v[8:9]
	v_cvt_i32_f64_e32 v148, v[133:134]
	s_mov_b32 s21, 0x3fe62e42
	v_fma_f64 v[144:145], v[133:134], s[22:23], v[144:145]
	s_mov_b32 s23, 0x3c7abc9e
	s_delay_alu instid0(VALU_DEP_1) | instskip(SKIP_4) | instid1(VALU_DEP_1)
	v_fma_f64 v[146:147], v[144:145], s[26:27], s[18:19]
	s_mov_b32 s18, 0x623fde64
	s_mov_b32 s19, 0x3ec71dee
	;; [unrolled: 1-line block ×4, first 2 shown]
	v_fma_f64 v[146:147], v[144:145], v[146:147], s[18:19]
	s_mov_b32 s18, 0x7c89e6b0
	s_mov_b32 s19, 0x3efa0199
	s_delay_alu instid0(VALU_DEP_1) | instid1(SALU_CYCLE_1)
	v_fma_f64 v[146:147], v[144:145], v[146:147], s[18:19]
	s_mov_b32 s18, 0x14761f6e
	s_mov_b32 s19, 0x3f2a01a0
	s_delay_alu instid0(VALU_DEP_1) | instid1(SALU_CYCLE_1)
	;; [unrolled: 4-line block ×7, first 2 shown]
	v_fma_f64 v[146:147], v[144:145], v[146:147], s[18:19]
	v_cmp_ngt_f64_e64 s18, 0xc090cc00, v[8:9]
	s_mov_b32 s19, 0x3fe55555
	s_delay_alu instid0(VALU_DEP_2) | instskip(NEXT) | instid1(VALU_DEP_1)
	v_fma_f64 v[146:147], v[144:145], v[146:147], 1.0
	v_fma_f64 v[133:134], v[144:145], v[146:147], 1.0
	s_delay_alu instid0(VALU_DEP_1) | instskip(NEXT) | instid1(VALU_DEP_1)
	v_ldexp_f64 v[133:134], v[133:134], v148
	v_cndmask_b32_e32 v134, 0x7ff00000, v134, vcc_lo
	s_and_b32 vcc_lo, s18, vcc_lo
	s_delay_alu instid0(VALU_DEP_2) | instskip(NEXT) | instid1(VALU_DEP_2)
	v_cndmask_b32_e32 v8, 0, v133, vcc_lo
	v_cndmask_b32_e64 v9, 0, v134, s18
	s_mov_b32 s18, 0x55555555
	s_delay_alu instid0(VALU_DEP_1) | instskip(NEXT) | instid1(VALU_DEP_1)
	v_add_f64 v[133:134], v[8:9], 1.0
	v_frexp_mant_f64_e32 v[144:145], v[133:134]
	v_frexp_exp_i32_f64_e32 v148, v[133:134]
	v_add_f64 v[146:147], v[133:134], -1.0
	s_delay_alu instid0(VALU_DEP_3) | instskip(SKIP_1) | instid1(VALU_DEP_2)
	v_cmp_gt_f64_e32 vcc_lo, s[18:19], v[144:145]
	s_mov_b32 s18, 0x55555780
	v_add_f64 v[144:145], v[146:147], -v[133:134]
	v_add_f64 v[146:147], v[8:9], -v[146:147]
	v_subrev_co_ci_u32_e32 v214, vcc_lo, 0, v148, vcc_lo
	s_delay_alu instid0(VALU_DEP_3) | instskip(SKIP_1) | instid1(VALU_DEP_3)
	v_add_f64 v[144:145], v[144:145], 1.0
	v_cmp_eq_f64_e32 vcc_lo, 0x7ff00000, v[8:9]
	v_sub_nc_u32_e32 v150, 0, v214
	s_delay_alu instid0(VALU_DEP_1) | instskip(NEXT) | instid1(VALU_DEP_4)
	v_ldexp_f64 v[133:134], v[133:134], v150
	v_add_f64 v[144:145], v[146:147], v[144:145]
	s_delay_alu instid0(VALU_DEP_2) | instskip(SKIP_1) | instid1(VALU_DEP_3)
	v_add_f64 v[148:149], v[133:134], 1.0
	v_add_f64 v[162:163], v[133:134], -1.0
	v_ldexp_f64 v[144:145], v[144:145], v150
	s_delay_alu instid0(VALU_DEP_3) | instskip(NEXT) | instid1(VALU_DEP_3)
	v_add_f64 v[146:147], v[148:149], -1.0
	v_add_f64 v[164:165], v[162:163], 1.0
	s_delay_alu instid0(VALU_DEP_2) | instskip(NEXT) | instid1(VALU_DEP_2)
	v_add_f64 v[146:147], v[133:134], -v[146:147]
	v_add_f64 v[133:134], v[133:134], -v[164:165]
	s_delay_alu instid0(VALU_DEP_2) | instskip(NEXT) | instid1(VALU_DEP_2)
	v_add_f64 v[146:147], v[144:145], v[146:147]
	v_add_f64 v[133:134], v[144:145], v[133:134]
	s_delay_alu instid0(VALU_DEP_2) | instskip(NEXT) | instid1(VALU_DEP_2)
	v_add_f64 v[150:151], v[148:149], v[146:147]
	v_add_f64 v[164:165], v[162:163], v[133:134]
	s_delay_alu instid0(VALU_DEP_2) | instskip(SKIP_1) | instid1(VALU_DEP_2)
	v_rcp_f64_e32 v[160:161], v[150:151]
	v_add_f64 v[148:149], v[150:151], -v[148:149]
	v_add_f64 v[162:163], v[164:165], -v[162:163]
	s_delay_alu instid0(VALU_DEP_2) | instskip(SKIP_3) | instid1(VALU_DEP_2)
	v_add_f64 v[146:147], v[146:147], -v[148:149]
	s_waitcnt_depctr 0xfff
	v_fma_f64 v[166:167], -v[150:151], v[160:161], 1.0
	v_add_f64 v[133:134], v[133:134], -v[162:163]
	v_fma_f64 v[160:161], v[166:167], v[160:161], v[160:161]
	s_delay_alu instid0(VALU_DEP_1) | instskip(NEXT) | instid1(VALU_DEP_1)
	v_fma_f64 v[144:145], -v[150:151], v[160:161], 1.0
	v_fma_f64 v[144:145], v[144:145], v[160:161], v[160:161]
	s_delay_alu instid0(VALU_DEP_1) | instskip(NEXT) | instid1(VALU_DEP_1)
	v_mul_f64 v[160:161], v[164:165], v[144:145]
	v_mul_f64 v[166:167], v[150:151], v[160:161]
	s_delay_alu instid0(VALU_DEP_1) | instskip(NEXT) | instid1(VALU_DEP_1)
	v_fma_f64 v[148:149], v[160:161], v[150:151], -v[166:167]
	v_fma_f64 v[148:149], v[160:161], v[146:147], v[148:149]
	s_delay_alu instid0(VALU_DEP_1) | instskip(NEXT) | instid1(VALU_DEP_1)
	v_add_f64 v[176:177], v[166:167], v[148:149]
	v_add_f64 v[212:213], v[164:165], -v[176:177]
	v_add_f64 v[162:163], v[176:177], -v[166:167]
	s_delay_alu instid0(VALU_DEP_2) | instskip(NEXT) | instid1(VALU_DEP_2)
	v_add_f64 v[164:165], v[164:165], -v[212:213]
	v_add_f64 v[148:149], v[162:163], -v[148:149]
	s_delay_alu instid0(VALU_DEP_2) | instskip(NEXT) | instid1(VALU_DEP_1)
	v_add_f64 v[164:165], v[164:165], -v[176:177]
	v_add_f64 v[133:134], v[133:134], v[164:165]
	s_delay_alu instid0(VALU_DEP_1) | instskip(NEXT) | instid1(VALU_DEP_1)
	v_add_f64 v[133:134], v[148:149], v[133:134]
	v_add_f64 v[148:149], v[212:213], v[133:134]
	s_delay_alu instid0(VALU_DEP_1) | instskip(SKIP_1) | instid1(VALU_DEP_2)
	v_mul_f64 v[162:163], v[144:145], v[148:149]
	v_add_f64 v[176:177], v[212:213], -v[148:149]
	v_mul_f64 v[164:165], v[150:151], v[162:163]
	s_delay_alu instid0(VALU_DEP_2) | instskip(NEXT) | instid1(VALU_DEP_2)
	v_add_f64 v[133:134], v[133:134], v[176:177]
	v_fma_f64 v[150:151], v[162:163], v[150:151], -v[164:165]
	s_delay_alu instid0(VALU_DEP_1) | instskip(NEXT) | instid1(VALU_DEP_1)
	v_fma_f64 v[146:147], v[162:163], v[146:147], v[150:151]
	v_add_f64 v[150:151], v[164:165], v[146:147]
	s_delay_alu instid0(VALU_DEP_1) | instskip(SKIP_1) | instid1(VALU_DEP_2)
	v_add_f64 v[166:167], v[148:149], -v[150:151]
	v_add_f64 v[164:165], v[150:151], -v[164:165]
	;; [unrolled: 1-line block ×3, first 2 shown]
	s_delay_alu instid0(VALU_DEP_2) | instskip(NEXT) | instid1(VALU_DEP_2)
	v_add_f64 v[146:147], v[164:165], -v[146:147]
	v_add_f64 v[148:149], v[148:149], -v[150:151]
	s_delay_alu instid0(VALU_DEP_1) | instskip(SKIP_1) | instid1(VALU_DEP_2)
	v_add_f64 v[133:134], v[133:134], v[148:149]
	v_add_f64 v[148:149], v[160:161], v[162:163]
	;; [unrolled: 1-line block ×3, first 2 shown]
	s_delay_alu instid0(VALU_DEP_2) | instskip(NEXT) | instid1(VALU_DEP_2)
	v_add_f64 v[146:147], v[148:149], -v[160:161]
	v_add_f64 v[133:134], v[166:167], v[133:134]
	s_delay_alu instid0(VALU_DEP_2) | instskip(NEXT) | instid1(VALU_DEP_2)
	v_add_f64 v[146:147], v[162:163], -v[146:147]
	v_mul_f64 v[133:134], v[144:145], v[133:134]
	s_delay_alu instid0(VALU_DEP_1) | instskip(NEXT) | instid1(VALU_DEP_1)
	v_add_f64 v[133:134], v[146:147], v[133:134]
	v_add_f64 v[144:145], v[148:149], v[133:134]
	s_delay_alu instid0(VALU_DEP_1) | instskip(NEXT) | instid1(VALU_DEP_1)
	v_mul_f64 v[146:147], v[144:145], v[144:145]
	v_fma_f64 v[150:151], v[146:147], s[28:29], s[26:27]
	s_mov_b32 s26, 0xd7f4df2e
	s_mov_b32 s27, 0x3fc7474d
	v_mul_f64 v[160:161], v[144:145], v[146:147]
	s_delay_alu instid0(VALU_DEP_2)
	v_fma_f64 v[150:151], v[146:147], v[150:151], s[26:27]
	s_mov_b32 s26, 0x16291751
	s_mov_b32 s27, 0x3fcc71c0
	s_delay_alu instid0(VALU_DEP_1) | instid1(SALU_CYCLE_1)
	v_fma_f64 v[150:151], v[146:147], v[150:151], s[26:27]
	s_mov_b32 s26, 0x9b27acf1
	s_mov_b32 s27, 0x3fd24924
	s_delay_alu instid0(VALU_DEP_1) | instid1(SALU_CYCLE_1)
	;; [unrolled: 4-line block ×3, first 2 shown]
	v_fma_f64 v[150:151], v[146:147], v[150:151], s[26:27]
	s_delay_alu instid0(VALU_DEP_1) | instskip(SKIP_2) | instid1(VALU_DEP_3)
	v_fma_f64 v[146:147], v[146:147], v[150:151], s[18:19]
	v_ldexp_f64 v[150:151], v[144:145], 1
	v_add_f64 v[144:145], v[144:145], -v[148:149]
	v_mul_f64 v[146:147], v[160:161], v[146:147]
	v_cvt_f64_i32_e32 v[160:161], v214
	s_delay_alu instid0(VALU_DEP_3) | instskip(NEXT) | instid1(VALU_DEP_3)
	v_add_f64 v[133:134], v[133:134], -v[144:145]
	v_add_f64 v[148:149], v[150:151], v[146:147]
	s_delay_alu instid0(VALU_DEP_3) | instskip(NEXT) | instid1(VALU_DEP_3)
	v_mul_f64 v[162:163], v[160:161], s[20:21]
	v_ldexp_f64 v[133:134], v[133:134], 1
	s_delay_alu instid0(VALU_DEP_3) | instskip(NEXT) | instid1(VALU_DEP_3)
	v_add_f64 v[144:145], v[148:149], -v[150:151]
	v_fma_f64 v[150:151], v[160:161], s[20:21], -v[162:163]
	s_delay_alu instid0(VALU_DEP_2) | instskip(NEXT) | instid1(VALU_DEP_2)
	v_add_f64 v[144:145], v[146:147], -v[144:145]
	v_fma_f64 v[146:147], v[160:161], s[22:23], v[150:151]
	s_delay_alu instid0(VALU_DEP_2) | instskip(NEXT) | instid1(VALU_DEP_2)
	v_add_f64 v[133:134], v[133:134], v[144:145]
	v_add_f64 v[144:145], v[162:163], v[146:147]
	s_delay_alu instid0(VALU_DEP_2) | instskip(NEXT) | instid1(VALU_DEP_2)
	v_add_f64 v[150:151], v[148:149], v[133:134]
	v_add_f64 v[162:163], v[144:145], -v[162:163]
	s_delay_alu instid0(VALU_DEP_2) | instskip(SKIP_1) | instid1(VALU_DEP_3)
	v_add_f64 v[160:161], v[144:145], v[150:151]
	v_add_f64 v[148:149], v[150:151], -v[148:149]
	v_add_f64 v[146:147], v[146:147], -v[162:163]
	s_delay_alu instid0(VALU_DEP_3) | instskip(NEXT) | instid1(VALU_DEP_3)
	v_add_f64 v[164:165], v[160:161], -v[144:145]
	v_add_f64 v[133:134], v[133:134], -v[148:149]
	s_delay_alu instid0(VALU_DEP_2) | instskip(SKIP_1) | instid1(VALU_DEP_3)
	v_add_f64 v[166:167], v[160:161], -v[164:165]
	v_add_f64 v[148:149], v[150:151], -v[164:165]
	v_add_f64 v[150:151], v[146:147], v[133:134]
	s_delay_alu instid0(VALU_DEP_3) | instskip(NEXT) | instid1(VALU_DEP_1)
	v_add_f64 v[144:145], v[144:145], -v[166:167]
	v_add_f64 v[144:145], v[148:149], v[144:145]
	s_delay_alu instid0(VALU_DEP_3) | instskip(NEXT) | instid1(VALU_DEP_2)
	v_add_f64 v[148:149], v[150:151], -v[146:147]
	v_add_f64 v[144:145], v[150:151], v[144:145]
	s_delay_alu instid0(VALU_DEP_2) | instskip(SKIP_1) | instid1(VALU_DEP_3)
	v_add_f64 v[150:151], v[150:151], -v[148:149]
	v_add_f64 v[133:134], v[133:134], -v[148:149]
	v_add_f64 v[162:163], v[160:161], v[144:145]
	s_delay_alu instid0(VALU_DEP_3) | instskip(NEXT) | instid1(VALU_DEP_2)
	v_add_f64 v[146:147], v[146:147], -v[150:151]
	v_add_f64 v[148:149], v[162:163], -v[160:161]
	s_delay_alu instid0(VALU_DEP_2) | instskip(NEXT) | instid1(VALU_DEP_2)
	v_add_f64 v[133:134], v[133:134], v[146:147]
	v_add_f64 v[144:145], v[144:145], -v[148:149]
	s_delay_alu instid0(VALU_DEP_1) | instskip(NEXT) | instid1(VALU_DEP_1)
	v_add_f64 v[133:134], v[133:134], v[144:145]
	v_add_f64 v[133:134], v[162:163], v[133:134]
	s_delay_alu instid0(VALU_DEP_1) | instskip(SKIP_1) | instid1(VALU_DEP_2)
	v_dual_cndmask_b32 v133, v133, v8 :: v_dual_cndmask_b32 v134, v134, v9
	v_cmp_ngt_f64_e32 vcc_lo, -1.0, v[8:9]
	v_cndmask_b32_e32 v134, 0x7ff80000, v134, vcc_lo
	v_cmp_nge_f64_e32 vcc_lo, -1.0, v[8:9]
	s_delay_alu instid0(VALU_DEP_4) | instskip(SKIP_1) | instid1(VALU_DEP_4)
	v_cndmask_b32_e32 v133, 0, v133, vcc_lo
	v_cmp_neq_f64_e32 vcc_lo, -1.0, v[8:9]
	v_cndmask_b32_e32 v134, 0xfff00000, v134, vcc_lo
	s_delay_alu instid0(VALU_DEP_1)
	v_add_f64 v[8:9], v[6:7], v[133:134]
.LBB76_222:
	s_or_b32 exec_lo, exec_lo, s25
.LBB76_223:
	s_delay_alu instid0(SALU_CYCLE_1) | instskip(NEXT) | instid1(VALU_DEP_1)
	s_or_b32 exec_lo, exec_lo, s24
	v_max_f64 v[6:7], v[8:9], v[8:9]
	s_waitcnt lgkmcnt(0)
	v_max_f64 v[133:134], v[4:5], v[4:5]
	v_cmp_u_f64_e32 vcc_lo, v[4:5], v[4:5]
	v_cmp_u_f64_e64 s18, v[8:9], v[8:9]
	s_delay_alu instid0(VALU_DEP_3) | instskip(SKIP_1) | instid1(VALU_DEP_2)
	v_min_f64 v[144:145], v[133:134], v[6:7]
	v_max_f64 v[6:7], v[133:134], v[6:7]
	v_dual_cndmask_b32 v133, v144, v4 :: v_dual_cndmask_b32 v134, v145, v5
	s_delay_alu instid0(VALU_DEP_2) | instskip(NEXT) | instid1(VALU_DEP_2)
	v_dual_cndmask_b32 v7, v7, v5 :: v_dual_cndmask_b32 v6, v6, v4
	v_cndmask_b32_e64 v133, v133, v8, s18
	s_delay_alu instid0(VALU_DEP_3) | instskip(NEXT) | instid1(VALU_DEP_3)
	v_cndmask_b32_e64 v134, v134, v9, s18
	v_cndmask_b32_e64 v7, v7, v9, s18
	s_delay_alu instid0(VALU_DEP_4) | instskip(NEXT) | instid1(VALU_DEP_3)
	v_cndmask_b32_e64 v6, v6, v8, s18
	v_cmp_class_f64_e64 s18, v[133:134], 0x1f8
	s_delay_alu instid0(VALU_DEP_2) | instskip(NEXT) | instid1(VALU_DEP_2)
	v_cmp_neq_f64_e32 vcc_lo, v[133:134], v[6:7]
	s_or_b32 s18, vcc_lo, s18
	s_delay_alu instid0(SALU_CYCLE_1)
	s_and_saveexec_b32 s24, s18
	s_cbranch_execz .LBB76_225
; %bb.224:
	v_add_f64 v[4:5], v[133:134], -v[6:7]
	s_mov_b32 s18, 0x652b82fe
	s_mov_b32 s19, 0x3ff71547
	s_mov_b32 s21, 0xbfe62e42
	s_mov_b32 s20, 0xfefa39ef
	s_mov_b32 s23, 0xbc7abc9e
	s_mov_b32 s22, 0x3b39803f
	s_mov_b32 s26, 0x6a5dcb37
	s_mov_b32 s27, 0x3e5ade15
	s_mov_b32 s28, 0xbf559e2b
	s_mov_b32 s29, 0x3fc3ab76
	s_delay_alu instid0(VALU_DEP_1) | instskip(SKIP_3) | instid1(VALU_DEP_2)
	v_mul_f64 v[8:9], v[4:5], s[18:19]
	s_mov_b32 s18, 0xfca7ab0c
	s_mov_b32 s19, 0x3e928af3
	v_cmp_nlt_f64_e32 vcc_lo, 0x40900000, v[4:5]
	v_rndne_f64_e32 v[8:9], v[8:9]
	s_delay_alu instid0(VALU_DEP_1) | instskip(SKIP_2) | instid1(VALU_DEP_2)
	v_fma_f64 v[133:134], v[8:9], s[20:21], v[4:5]
	v_cvt_i32_f64_e32 v146, v[8:9]
	s_mov_b32 s21, 0x3fe62e42
	v_fma_f64 v[133:134], v[8:9], s[22:23], v[133:134]
	s_mov_b32 s23, 0x3c7abc9e
	s_delay_alu instid0(VALU_DEP_1) | instskip(SKIP_4) | instid1(VALU_DEP_1)
	v_fma_f64 v[144:145], v[133:134], s[26:27], s[18:19]
	s_mov_b32 s18, 0x623fde64
	s_mov_b32 s19, 0x3ec71dee
	;; [unrolled: 1-line block ×4, first 2 shown]
	v_fma_f64 v[144:145], v[133:134], v[144:145], s[18:19]
	s_mov_b32 s18, 0x7c89e6b0
	s_mov_b32 s19, 0x3efa0199
	s_delay_alu instid0(VALU_DEP_1) | instid1(SALU_CYCLE_1)
	v_fma_f64 v[144:145], v[133:134], v[144:145], s[18:19]
	s_mov_b32 s18, 0x14761f6e
	s_mov_b32 s19, 0x3f2a01a0
	s_delay_alu instid0(VALU_DEP_1) | instid1(SALU_CYCLE_1)
	;; [unrolled: 4-line block ×7, first 2 shown]
	v_fma_f64 v[144:145], v[133:134], v[144:145], s[18:19]
	v_cmp_ngt_f64_e64 s18, 0xc090cc00, v[4:5]
	s_mov_b32 s19, 0x3fe55555
	s_delay_alu instid0(VALU_DEP_2) | instskip(NEXT) | instid1(VALU_DEP_1)
	v_fma_f64 v[144:145], v[133:134], v[144:145], 1.0
	v_fma_f64 v[8:9], v[133:134], v[144:145], 1.0
	s_delay_alu instid0(VALU_DEP_1) | instskip(NEXT) | instid1(VALU_DEP_1)
	v_ldexp_f64 v[8:9], v[8:9], v146
	v_cndmask_b32_e32 v9, 0x7ff00000, v9, vcc_lo
	s_and_b32 vcc_lo, s18, vcc_lo
	s_delay_alu instid0(VALU_DEP_1) | instskip(NEXT) | instid1(VALU_DEP_3)
	v_cndmask_b32_e64 v5, 0, v9, s18
	v_cndmask_b32_e32 v4, 0, v8, vcc_lo
	s_mov_b32 s18, 0x55555555
	s_delay_alu instid0(VALU_DEP_1) | instskip(NEXT) | instid1(VALU_DEP_1)
	v_add_f64 v[8:9], v[4:5], 1.0
	v_frexp_mant_f64_e32 v[133:134], v[8:9]
	v_frexp_exp_i32_f64_e32 v146, v[8:9]
	v_add_f64 v[144:145], v[8:9], -1.0
	s_delay_alu instid0(VALU_DEP_3) | instskip(SKIP_1) | instid1(VALU_DEP_2)
	v_cmp_gt_f64_e32 vcc_lo, s[18:19], v[133:134]
	s_mov_b32 s18, 0x55555780
	v_add_f64 v[133:134], v[144:145], -v[8:9]
	v_add_f64 v[144:145], v[4:5], -v[144:145]
	v_subrev_co_ci_u32_e32 v212, vcc_lo, 0, v146, vcc_lo
	s_delay_alu instid0(VALU_DEP_3) | instskip(SKIP_1) | instid1(VALU_DEP_3)
	v_add_f64 v[133:134], v[133:134], 1.0
	v_cmp_eq_f64_e32 vcc_lo, 0x7ff00000, v[4:5]
	v_sub_nc_u32_e32 v148, 0, v212
	s_delay_alu instid0(VALU_DEP_1) | instskip(NEXT) | instid1(VALU_DEP_4)
	v_ldexp_f64 v[8:9], v[8:9], v148
	v_add_f64 v[133:134], v[144:145], v[133:134]
	s_delay_alu instid0(VALU_DEP_2) | instskip(SKIP_1) | instid1(VALU_DEP_3)
	v_add_f64 v[146:147], v[8:9], 1.0
	v_add_f64 v[160:161], v[8:9], -1.0
	v_ldexp_f64 v[133:134], v[133:134], v148
	s_delay_alu instid0(VALU_DEP_3) | instskip(NEXT) | instid1(VALU_DEP_3)
	v_add_f64 v[144:145], v[146:147], -1.0
	v_add_f64 v[162:163], v[160:161], 1.0
	s_delay_alu instid0(VALU_DEP_2) | instskip(NEXT) | instid1(VALU_DEP_2)
	v_add_f64 v[144:145], v[8:9], -v[144:145]
	v_add_f64 v[8:9], v[8:9], -v[162:163]
	s_delay_alu instid0(VALU_DEP_2) | instskip(NEXT) | instid1(VALU_DEP_2)
	v_add_f64 v[144:145], v[133:134], v[144:145]
	v_add_f64 v[8:9], v[133:134], v[8:9]
	s_delay_alu instid0(VALU_DEP_2) | instskip(NEXT) | instid1(VALU_DEP_2)
	v_add_f64 v[148:149], v[146:147], v[144:145]
	v_add_f64 v[162:163], v[160:161], v[8:9]
	s_delay_alu instid0(VALU_DEP_2) | instskip(SKIP_1) | instid1(VALU_DEP_2)
	v_rcp_f64_e32 v[150:151], v[148:149]
	v_add_f64 v[146:147], v[148:149], -v[146:147]
	v_add_f64 v[160:161], v[162:163], -v[160:161]
	s_delay_alu instid0(VALU_DEP_2) | instskip(SKIP_3) | instid1(VALU_DEP_2)
	v_add_f64 v[144:145], v[144:145], -v[146:147]
	s_waitcnt_depctr 0xfff
	v_fma_f64 v[164:165], -v[148:149], v[150:151], 1.0
	v_add_f64 v[8:9], v[8:9], -v[160:161]
	v_fma_f64 v[150:151], v[164:165], v[150:151], v[150:151]
	s_delay_alu instid0(VALU_DEP_1) | instskip(NEXT) | instid1(VALU_DEP_1)
	v_fma_f64 v[133:134], -v[148:149], v[150:151], 1.0
	v_fma_f64 v[133:134], v[133:134], v[150:151], v[150:151]
	s_delay_alu instid0(VALU_DEP_1) | instskip(NEXT) | instid1(VALU_DEP_1)
	v_mul_f64 v[150:151], v[162:163], v[133:134]
	v_mul_f64 v[164:165], v[148:149], v[150:151]
	s_delay_alu instid0(VALU_DEP_1) | instskip(NEXT) | instid1(VALU_DEP_1)
	v_fma_f64 v[146:147], v[150:151], v[148:149], -v[164:165]
	v_fma_f64 v[146:147], v[150:151], v[144:145], v[146:147]
	s_delay_alu instid0(VALU_DEP_1) | instskip(NEXT) | instid1(VALU_DEP_1)
	v_add_f64 v[166:167], v[164:165], v[146:147]
	v_add_f64 v[176:177], v[162:163], -v[166:167]
	v_add_f64 v[160:161], v[166:167], -v[164:165]
	s_delay_alu instid0(VALU_DEP_2) | instskip(NEXT) | instid1(VALU_DEP_2)
	v_add_f64 v[162:163], v[162:163], -v[176:177]
	v_add_f64 v[146:147], v[160:161], -v[146:147]
	s_delay_alu instid0(VALU_DEP_2) | instskip(NEXT) | instid1(VALU_DEP_1)
	v_add_f64 v[162:163], v[162:163], -v[166:167]
	v_add_f64 v[8:9], v[8:9], v[162:163]
	s_delay_alu instid0(VALU_DEP_1) | instskip(NEXT) | instid1(VALU_DEP_1)
	v_add_f64 v[8:9], v[146:147], v[8:9]
	v_add_f64 v[146:147], v[176:177], v[8:9]
	s_delay_alu instid0(VALU_DEP_1) | instskip(SKIP_1) | instid1(VALU_DEP_2)
	v_mul_f64 v[160:161], v[133:134], v[146:147]
	v_add_f64 v[166:167], v[176:177], -v[146:147]
	v_mul_f64 v[162:163], v[148:149], v[160:161]
	s_delay_alu instid0(VALU_DEP_2) | instskip(NEXT) | instid1(VALU_DEP_2)
	v_add_f64 v[8:9], v[8:9], v[166:167]
	v_fma_f64 v[148:149], v[160:161], v[148:149], -v[162:163]
	s_delay_alu instid0(VALU_DEP_1) | instskip(NEXT) | instid1(VALU_DEP_1)
	v_fma_f64 v[144:145], v[160:161], v[144:145], v[148:149]
	v_add_f64 v[148:149], v[162:163], v[144:145]
	s_delay_alu instid0(VALU_DEP_1) | instskip(SKIP_1) | instid1(VALU_DEP_2)
	v_add_f64 v[164:165], v[146:147], -v[148:149]
	v_add_f64 v[162:163], v[148:149], -v[162:163]
	v_add_f64 v[146:147], v[146:147], -v[164:165]
	s_delay_alu instid0(VALU_DEP_2) | instskip(NEXT) | instid1(VALU_DEP_2)
	v_add_f64 v[144:145], v[162:163], -v[144:145]
	v_add_f64 v[146:147], v[146:147], -v[148:149]
	s_delay_alu instid0(VALU_DEP_1) | instskip(SKIP_1) | instid1(VALU_DEP_2)
	v_add_f64 v[8:9], v[8:9], v[146:147]
	v_add_f64 v[146:147], v[150:151], v[160:161]
	;; [unrolled: 1-line block ×3, first 2 shown]
	s_delay_alu instid0(VALU_DEP_2) | instskip(NEXT) | instid1(VALU_DEP_2)
	v_add_f64 v[144:145], v[146:147], -v[150:151]
	v_add_f64 v[8:9], v[164:165], v[8:9]
	s_delay_alu instid0(VALU_DEP_2) | instskip(NEXT) | instid1(VALU_DEP_2)
	v_add_f64 v[144:145], v[160:161], -v[144:145]
	v_mul_f64 v[8:9], v[133:134], v[8:9]
	s_delay_alu instid0(VALU_DEP_1) | instskip(NEXT) | instid1(VALU_DEP_1)
	v_add_f64 v[8:9], v[144:145], v[8:9]
	v_add_f64 v[133:134], v[146:147], v[8:9]
	s_delay_alu instid0(VALU_DEP_1) | instskip(NEXT) | instid1(VALU_DEP_1)
	v_mul_f64 v[144:145], v[133:134], v[133:134]
	v_fma_f64 v[148:149], v[144:145], s[28:29], s[26:27]
	s_mov_b32 s26, 0xd7f4df2e
	s_mov_b32 s27, 0x3fc7474d
	v_mul_f64 v[150:151], v[133:134], v[144:145]
	s_delay_alu instid0(VALU_DEP_2)
	v_fma_f64 v[148:149], v[144:145], v[148:149], s[26:27]
	s_mov_b32 s26, 0x16291751
	s_mov_b32 s27, 0x3fcc71c0
	s_delay_alu instid0(VALU_DEP_1) | instid1(SALU_CYCLE_1)
	v_fma_f64 v[148:149], v[144:145], v[148:149], s[26:27]
	s_mov_b32 s26, 0x9b27acf1
	s_mov_b32 s27, 0x3fd24924
	s_delay_alu instid0(VALU_DEP_1) | instid1(SALU_CYCLE_1)
	;; [unrolled: 4-line block ×3, first 2 shown]
	v_fma_f64 v[148:149], v[144:145], v[148:149], s[26:27]
	s_delay_alu instid0(VALU_DEP_1) | instskip(SKIP_2) | instid1(VALU_DEP_3)
	v_fma_f64 v[144:145], v[144:145], v[148:149], s[18:19]
	v_ldexp_f64 v[148:149], v[133:134], 1
	v_add_f64 v[133:134], v[133:134], -v[146:147]
	v_mul_f64 v[144:145], v[150:151], v[144:145]
	v_cvt_f64_i32_e32 v[150:151], v212
	s_delay_alu instid0(VALU_DEP_3) | instskip(NEXT) | instid1(VALU_DEP_3)
	v_add_f64 v[8:9], v[8:9], -v[133:134]
	v_add_f64 v[146:147], v[148:149], v[144:145]
	s_delay_alu instid0(VALU_DEP_3) | instskip(NEXT) | instid1(VALU_DEP_3)
	v_mul_f64 v[160:161], v[150:151], s[20:21]
	v_ldexp_f64 v[8:9], v[8:9], 1
	s_delay_alu instid0(VALU_DEP_3) | instskip(NEXT) | instid1(VALU_DEP_3)
	v_add_f64 v[133:134], v[146:147], -v[148:149]
	v_fma_f64 v[148:149], v[150:151], s[20:21], -v[160:161]
	s_delay_alu instid0(VALU_DEP_2) | instskip(NEXT) | instid1(VALU_DEP_2)
	v_add_f64 v[133:134], v[144:145], -v[133:134]
	v_fma_f64 v[144:145], v[150:151], s[22:23], v[148:149]
	s_delay_alu instid0(VALU_DEP_2) | instskip(NEXT) | instid1(VALU_DEP_2)
	v_add_f64 v[8:9], v[8:9], v[133:134]
	v_add_f64 v[133:134], v[160:161], v[144:145]
	s_delay_alu instid0(VALU_DEP_2) | instskip(NEXT) | instid1(VALU_DEP_2)
	v_add_f64 v[148:149], v[146:147], v[8:9]
	v_add_f64 v[160:161], v[133:134], -v[160:161]
	s_delay_alu instid0(VALU_DEP_2) | instskip(SKIP_1) | instid1(VALU_DEP_3)
	v_add_f64 v[150:151], v[133:134], v[148:149]
	v_add_f64 v[146:147], v[148:149], -v[146:147]
	v_add_f64 v[144:145], v[144:145], -v[160:161]
	s_delay_alu instid0(VALU_DEP_3) | instskip(NEXT) | instid1(VALU_DEP_3)
	v_add_f64 v[162:163], v[150:151], -v[133:134]
	v_add_f64 v[8:9], v[8:9], -v[146:147]
	s_delay_alu instid0(VALU_DEP_2) | instskip(SKIP_1) | instid1(VALU_DEP_3)
	v_add_f64 v[164:165], v[150:151], -v[162:163]
	v_add_f64 v[146:147], v[148:149], -v[162:163]
	v_add_f64 v[148:149], v[144:145], v[8:9]
	s_delay_alu instid0(VALU_DEP_3) | instskip(NEXT) | instid1(VALU_DEP_1)
	v_add_f64 v[133:134], v[133:134], -v[164:165]
	v_add_f64 v[133:134], v[146:147], v[133:134]
	s_delay_alu instid0(VALU_DEP_3) | instskip(NEXT) | instid1(VALU_DEP_2)
	v_add_f64 v[146:147], v[148:149], -v[144:145]
	v_add_f64 v[133:134], v[148:149], v[133:134]
	s_delay_alu instid0(VALU_DEP_2) | instskip(SKIP_1) | instid1(VALU_DEP_3)
	v_add_f64 v[148:149], v[148:149], -v[146:147]
	v_add_f64 v[8:9], v[8:9], -v[146:147]
	v_add_f64 v[160:161], v[150:151], v[133:134]
	s_delay_alu instid0(VALU_DEP_3) | instskip(NEXT) | instid1(VALU_DEP_2)
	v_add_f64 v[144:145], v[144:145], -v[148:149]
	v_add_f64 v[146:147], v[160:161], -v[150:151]
	s_delay_alu instid0(VALU_DEP_2) | instskip(NEXT) | instid1(VALU_DEP_2)
	v_add_f64 v[8:9], v[8:9], v[144:145]
	v_add_f64 v[133:134], v[133:134], -v[146:147]
	s_delay_alu instid0(VALU_DEP_1) | instskip(NEXT) | instid1(VALU_DEP_1)
	v_add_f64 v[8:9], v[8:9], v[133:134]
	v_add_f64 v[8:9], v[160:161], v[8:9]
	s_delay_alu instid0(VALU_DEP_1) | instskip(SKIP_1) | instid1(VALU_DEP_2)
	v_dual_cndmask_b32 v9, v9, v5 :: v_dual_cndmask_b32 v8, v8, v4
	v_cmp_ngt_f64_e32 vcc_lo, -1.0, v[4:5]
	v_cndmask_b32_e32 v9, 0x7ff80000, v9, vcc_lo
	v_cmp_nge_f64_e32 vcc_lo, -1.0, v[4:5]
	s_delay_alu instid0(VALU_DEP_4) | instskip(SKIP_1) | instid1(VALU_DEP_4)
	v_cndmask_b32_e32 v8, 0, v8, vcc_lo
	v_cmp_neq_f64_e32 vcc_lo, -1.0, v[4:5]
	v_cndmask_b32_e32 v9, 0xfff00000, v9, vcc_lo
	s_delay_alu instid0(VALU_DEP_1)
	v_add_f64 v[4:5], v[6:7], v[8:9]
.LBB76_225:
	s_or_b32 exec_lo, exec_lo, s24
	s_delay_alu instid0(VALU_DEP_1) | instskip(SKIP_1) | instid1(VALU_DEP_2)
	v_max_f64 v[6:7], v[4:5], v[4:5]
	v_cmp_u_f64_e32 vcc_lo, v[4:5], v[4:5]
	v_min_f64 v[8:9], v[6:7], v[54:55]
	v_max_f64 v[6:7], v[6:7], v[54:55]
	s_delay_alu instid0(VALU_DEP_2) | instskip(NEXT) | instid1(VALU_DEP_2)
	v_dual_cndmask_b32 v8, v8, v4 :: v_dual_cndmask_b32 v9, v9, v5
	v_dual_cndmask_b32 v7, v7, v5 :: v_dual_cndmask_b32 v6, v6, v4
	s_delay_alu instid0(VALU_DEP_2) | instskip(NEXT) | instid1(VALU_DEP_3)
	v_cndmask_b32_e64 v133, v8, v2, s3
	v_cndmask_b32_e64 v134, v9, v3, s3
	s_delay_alu instid0(VALU_DEP_3) | instskip(NEXT) | instid1(VALU_DEP_4)
	v_cndmask_b32_e64 v9, v7, v3, s3
	v_cndmask_b32_e64 v8, v6, v2, s3
	v_dual_mov_b32 v7, v5 :: v_dual_mov_b32 v6, v4
	s_delay_alu instid0(VALU_DEP_4) | instskip(NEXT) | instid1(VALU_DEP_3)
	v_cmp_class_f64_e64 s3, v[133:134], 0x1f8
	v_cmp_neq_f64_e32 vcc_lo, v[133:134], v[8:9]
	s_delay_alu instid0(VALU_DEP_2) | instskip(NEXT) | instid1(SALU_CYCLE_1)
	s_or_b32 s3, vcc_lo, s3
	s_and_saveexec_b32 s24, s3
	s_cbranch_execz .LBB76_227
; %bb.226:
	v_add_f64 v[6:7], v[133:134], -v[8:9]
	s_mov_b32 s18, 0x652b82fe
	s_mov_b32 s19, 0x3ff71547
	;; [unrolled: 1-line block ×10, first 2 shown]
	s_delay_alu instid0(VALU_DEP_1) | instskip(SKIP_4) | instid1(VALU_DEP_3)
	v_mul_f64 v[133:134], v[6:7], s[18:19]
	s_mov_b32 s19, 0xbfe62e42
	s_mov_b32 s18, 0xfefa39ef
	v_cmp_nlt_f64_e32 vcc_lo, 0x40900000, v[6:7]
	v_cmp_ngt_f64_e64 s3, 0xc090cc00, v[6:7]
	v_rndne_f64_e32 v[133:134], v[133:134]
	s_delay_alu instid0(VALU_DEP_1) | instskip(SKIP_2) | instid1(VALU_DEP_2)
	v_fma_f64 v[144:145], v[133:134], s[18:19], v[6:7]
	v_cvt_i32_f64_e32 v148, v[133:134]
	s_mov_b32 s19, 0x3fe62e42
	v_fma_f64 v[144:145], v[133:134], s[20:21], v[144:145]
	s_mov_b32 s21, 0x3c7abc9e
	s_delay_alu instid0(VALU_DEP_1) | instskip(SKIP_4) | instid1(VALU_DEP_1)
	v_fma_f64 v[146:147], v[144:145], s[26:27], s[22:23]
	s_mov_b32 s22, 0x623fde64
	s_mov_b32 s23, 0x3ec71dee
	s_mov_b32 s26, 0x6b47b09a
	s_mov_b32 s27, 0x3fc38538
	v_fma_f64 v[146:147], v[144:145], v[146:147], s[22:23]
	s_mov_b32 s22, 0x7c89e6b0
	s_mov_b32 s23, 0x3efa0199
	s_delay_alu instid0(VALU_DEP_1) | instid1(SALU_CYCLE_1)
	v_fma_f64 v[146:147], v[144:145], v[146:147], s[22:23]
	s_mov_b32 s22, 0x14761f6e
	s_mov_b32 s23, 0x3f2a01a0
	s_delay_alu instid0(VALU_DEP_1) | instid1(SALU_CYCLE_1)
	;; [unrolled: 4-line block ×7, first 2 shown]
	v_fma_f64 v[146:147], v[144:145], v[146:147], s[22:23]
	s_mov_b32 s23, 0x3fe55555
	s_mov_b32 s22, 0x55555555
	s_delay_alu instid0(VALU_DEP_1) | instskip(NEXT) | instid1(VALU_DEP_1)
	v_fma_f64 v[146:147], v[144:145], v[146:147], 1.0
	v_fma_f64 v[133:134], v[144:145], v[146:147], 1.0
	s_delay_alu instid0(VALU_DEP_1) | instskip(NEXT) | instid1(VALU_DEP_1)
	v_ldexp_f64 v[133:134], v[133:134], v148
	v_cndmask_b32_e32 v134, 0x7ff00000, v134, vcc_lo
	s_and_b32 vcc_lo, s3, vcc_lo
	s_delay_alu instid0(VALU_DEP_2) | instskip(NEXT) | instid1(VALU_DEP_2)
	v_cndmask_b32_e32 v6, 0, v133, vcc_lo
	v_cndmask_b32_e64 v7, 0, v134, s3
	s_delay_alu instid0(VALU_DEP_1) | instskip(NEXT) | instid1(VALU_DEP_1)
	v_add_f64 v[133:134], v[6:7], 1.0
	v_frexp_mant_f64_e32 v[144:145], v[133:134]
	v_frexp_exp_i32_f64_e32 v148, v[133:134]
	v_add_f64 v[146:147], v[133:134], -1.0
	s_delay_alu instid0(VALU_DEP_3) | instskip(SKIP_1) | instid1(VALU_DEP_2)
	v_cmp_gt_f64_e32 vcc_lo, s[22:23], v[144:145]
	s_mov_b32 s22, 0x55555780
	v_add_f64 v[144:145], v[146:147], -v[133:134]
	v_add_f64 v[146:147], v[6:7], -v[146:147]
	v_subrev_co_ci_u32_e32 v214, vcc_lo, 0, v148, vcc_lo
	s_delay_alu instid0(VALU_DEP_3) | instskip(SKIP_1) | instid1(VALU_DEP_3)
	v_add_f64 v[144:145], v[144:145], 1.0
	v_cmp_eq_f64_e32 vcc_lo, 0x7ff00000, v[6:7]
	v_sub_nc_u32_e32 v150, 0, v214
	s_delay_alu instid0(VALU_DEP_1) | instskip(NEXT) | instid1(VALU_DEP_4)
	v_ldexp_f64 v[133:134], v[133:134], v150
	v_add_f64 v[144:145], v[146:147], v[144:145]
	s_delay_alu instid0(VALU_DEP_2) | instskip(SKIP_1) | instid1(VALU_DEP_3)
	v_add_f64 v[148:149], v[133:134], 1.0
	v_add_f64 v[162:163], v[133:134], -1.0
	v_ldexp_f64 v[144:145], v[144:145], v150
	s_delay_alu instid0(VALU_DEP_3) | instskip(NEXT) | instid1(VALU_DEP_3)
	v_add_f64 v[146:147], v[148:149], -1.0
	v_add_f64 v[164:165], v[162:163], 1.0
	s_delay_alu instid0(VALU_DEP_2) | instskip(NEXT) | instid1(VALU_DEP_2)
	v_add_f64 v[146:147], v[133:134], -v[146:147]
	v_add_f64 v[133:134], v[133:134], -v[164:165]
	s_delay_alu instid0(VALU_DEP_2) | instskip(NEXT) | instid1(VALU_DEP_2)
	v_add_f64 v[146:147], v[144:145], v[146:147]
	v_add_f64 v[133:134], v[144:145], v[133:134]
	s_delay_alu instid0(VALU_DEP_2) | instskip(NEXT) | instid1(VALU_DEP_2)
	v_add_f64 v[150:151], v[148:149], v[146:147]
	v_add_f64 v[164:165], v[162:163], v[133:134]
	s_delay_alu instid0(VALU_DEP_2) | instskip(SKIP_1) | instid1(VALU_DEP_2)
	v_rcp_f64_e32 v[160:161], v[150:151]
	v_add_f64 v[148:149], v[150:151], -v[148:149]
	v_add_f64 v[162:163], v[164:165], -v[162:163]
	s_delay_alu instid0(VALU_DEP_2) | instskip(SKIP_3) | instid1(VALU_DEP_2)
	v_add_f64 v[146:147], v[146:147], -v[148:149]
	s_waitcnt_depctr 0xfff
	v_fma_f64 v[166:167], -v[150:151], v[160:161], 1.0
	v_add_f64 v[133:134], v[133:134], -v[162:163]
	v_fma_f64 v[160:161], v[166:167], v[160:161], v[160:161]
	s_delay_alu instid0(VALU_DEP_1) | instskip(NEXT) | instid1(VALU_DEP_1)
	v_fma_f64 v[144:145], -v[150:151], v[160:161], 1.0
	v_fma_f64 v[144:145], v[144:145], v[160:161], v[160:161]
	s_delay_alu instid0(VALU_DEP_1) | instskip(NEXT) | instid1(VALU_DEP_1)
	v_mul_f64 v[160:161], v[164:165], v[144:145]
	v_mul_f64 v[166:167], v[150:151], v[160:161]
	s_delay_alu instid0(VALU_DEP_1) | instskip(NEXT) | instid1(VALU_DEP_1)
	v_fma_f64 v[148:149], v[160:161], v[150:151], -v[166:167]
	v_fma_f64 v[148:149], v[160:161], v[146:147], v[148:149]
	s_delay_alu instid0(VALU_DEP_1) | instskip(NEXT) | instid1(VALU_DEP_1)
	v_add_f64 v[176:177], v[166:167], v[148:149]
	v_add_f64 v[212:213], v[164:165], -v[176:177]
	v_add_f64 v[162:163], v[176:177], -v[166:167]
	s_delay_alu instid0(VALU_DEP_2) | instskip(NEXT) | instid1(VALU_DEP_2)
	v_add_f64 v[164:165], v[164:165], -v[212:213]
	v_add_f64 v[148:149], v[162:163], -v[148:149]
	s_delay_alu instid0(VALU_DEP_2) | instskip(NEXT) | instid1(VALU_DEP_1)
	v_add_f64 v[164:165], v[164:165], -v[176:177]
	v_add_f64 v[133:134], v[133:134], v[164:165]
	s_delay_alu instid0(VALU_DEP_1) | instskip(NEXT) | instid1(VALU_DEP_1)
	v_add_f64 v[133:134], v[148:149], v[133:134]
	v_add_f64 v[148:149], v[212:213], v[133:134]
	s_delay_alu instid0(VALU_DEP_1) | instskip(SKIP_1) | instid1(VALU_DEP_2)
	v_mul_f64 v[162:163], v[144:145], v[148:149]
	v_add_f64 v[176:177], v[212:213], -v[148:149]
	v_mul_f64 v[164:165], v[150:151], v[162:163]
	s_delay_alu instid0(VALU_DEP_2) | instskip(NEXT) | instid1(VALU_DEP_2)
	v_add_f64 v[133:134], v[133:134], v[176:177]
	v_fma_f64 v[150:151], v[162:163], v[150:151], -v[164:165]
	s_delay_alu instid0(VALU_DEP_1) | instskip(NEXT) | instid1(VALU_DEP_1)
	v_fma_f64 v[146:147], v[162:163], v[146:147], v[150:151]
	v_add_f64 v[150:151], v[164:165], v[146:147]
	s_delay_alu instid0(VALU_DEP_1) | instskip(SKIP_1) | instid1(VALU_DEP_2)
	v_add_f64 v[166:167], v[148:149], -v[150:151]
	v_add_f64 v[164:165], v[150:151], -v[164:165]
	v_add_f64 v[148:149], v[148:149], -v[166:167]
	s_delay_alu instid0(VALU_DEP_2) | instskip(NEXT) | instid1(VALU_DEP_2)
	v_add_f64 v[146:147], v[164:165], -v[146:147]
	v_add_f64 v[148:149], v[148:149], -v[150:151]
	s_delay_alu instid0(VALU_DEP_1) | instskip(SKIP_1) | instid1(VALU_DEP_2)
	v_add_f64 v[133:134], v[133:134], v[148:149]
	v_add_f64 v[148:149], v[160:161], v[162:163]
	;; [unrolled: 1-line block ×3, first 2 shown]
	s_delay_alu instid0(VALU_DEP_2) | instskip(NEXT) | instid1(VALU_DEP_2)
	v_add_f64 v[146:147], v[148:149], -v[160:161]
	v_add_f64 v[133:134], v[166:167], v[133:134]
	s_delay_alu instid0(VALU_DEP_2) | instskip(NEXT) | instid1(VALU_DEP_2)
	v_add_f64 v[146:147], v[162:163], -v[146:147]
	v_mul_f64 v[133:134], v[144:145], v[133:134]
	s_delay_alu instid0(VALU_DEP_1) | instskip(NEXT) | instid1(VALU_DEP_1)
	v_add_f64 v[133:134], v[146:147], v[133:134]
	v_add_f64 v[144:145], v[148:149], v[133:134]
	s_delay_alu instid0(VALU_DEP_1) | instskip(NEXT) | instid1(VALU_DEP_1)
	v_mul_f64 v[146:147], v[144:145], v[144:145]
	v_fma_f64 v[150:151], v[146:147], s[28:29], s[26:27]
	s_mov_b32 s26, 0xd7f4df2e
	s_mov_b32 s27, 0x3fc7474d
	v_mul_f64 v[160:161], v[144:145], v[146:147]
	s_delay_alu instid0(VALU_DEP_2)
	v_fma_f64 v[150:151], v[146:147], v[150:151], s[26:27]
	s_mov_b32 s26, 0x16291751
	s_mov_b32 s27, 0x3fcc71c0
	s_delay_alu instid0(VALU_DEP_1) | instid1(SALU_CYCLE_1)
	v_fma_f64 v[150:151], v[146:147], v[150:151], s[26:27]
	s_mov_b32 s26, 0x9b27acf1
	s_mov_b32 s27, 0x3fd24924
	s_delay_alu instid0(VALU_DEP_1) | instid1(SALU_CYCLE_1)
	;; [unrolled: 4-line block ×3, first 2 shown]
	v_fma_f64 v[150:151], v[146:147], v[150:151], s[26:27]
	s_delay_alu instid0(VALU_DEP_1) | instskip(SKIP_2) | instid1(VALU_DEP_3)
	v_fma_f64 v[146:147], v[146:147], v[150:151], s[22:23]
	v_ldexp_f64 v[150:151], v[144:145], 1
	v_add_f64 v[144:145], v[144:145], -v[148:149]
	v_mul_f64 v[146:147], v[160:161], v[146:147]
	v_cvt_f64_i32_e32 v[160:161], v214
	s_delay_alu instid0(VALU_DEP_3) | instskip(NEXT) | instid1(VALU_DEP_3)
	v_add_f64 v[133:134], v[133:134], -v[144:145]
	v_add_f64 v[148:149], v[150:151], v[146:147]
	s_delay_alu instid0(VALU_DEP_3) | instskip(NEXT) | instid1(VALU_DEP_3)
	v_mul_f64 v[162:163], v[160:161], s[18:19]
	v_ldexp_f64 v[133:134], v[133:134], 1
	s_delay_alu instid0(VALU_DEP_3) | instskip(NEXT) | instid1(VALU_DEP_3)
	v_add_f64 v[144:145], v[148:149], -v[150:151]
	v_fma_f64 v[150:151], v[160:161], s[18:19], -v[162:163]
	s_delay_alu instid0(VALU_DEP_2) | instskip(NEXT) | instid1(VALU_DEP_2)
	v_add_f64 v[144:145], v[146:147], -v[144:145]
	v_fma_f64 v[146:147], v[160:161], s[20:21], v[150:151]
	s_delay_alu instid0(VALU_DEP_2) | instskip(NEXT) | instid1(VALU_DEP_2)
	v_add_f64 v[133:134], v[133:134], v[144:145]
	v_add_f64 v[144:145], v[162:163], v[146:147]
	s_delay_alu instid0(VALU_DEP_2) | instskip(NEXT) | instid1(VALU_DEP_2)
	v_add_f64 v[150:151], v[148:149], v[133:134]
	v_add_f64 v[162:163], v[144:145], -v[162:163]
	s_delay_alu instid0(VALU_DEP_2) | instskip(SKIP_1) | instid1(VALU_DEP_3)
	v_add_f64 v[160:161], v[144:145], v[150:151]
	v_add_f64 v[148:149], v[150:151], -v[148:149]
	v_add_f64 v[146:147], v[146:147], -v[162:163]
	s_delay_alu instid0(VALU_DEP_3) | instskip(NEXT) | instid1(VALU_DEP_3)
	v_add_f64 v[164:165], v[160:161], -v[144:145]
	v_add_f64 v[133:134], v[133:134], -v[148:149]
	s_delay_alu instid0(VALU_DEP_2) | instskip(SKIP_1) | instid1(VALU_DEP_3)
	v_add_f64 v[166:167], v[160:161], -v[164:165]
	v_add_f64 v[148:149], v[150:151], -v[164:165]
	v_add_f64 v[150:151], v[146:147], v[133:134]
	s_delay_alu instid0(VALU_DEP_3) | instskip(NEXT) | instid1(VALU_DEP_1)
	v_add_f64 v[144:145], v[144:145], -v[166:167]
	v_add_f64 v[144:145], v[148:149], v[144:145]
	s_delay_alu instid0(VALU_DEP_3) | instskip(NEXT) | instid1(VALU_DEP_2)
	v_add_f64 v[148:149], v[150:151], -v[146:147]
	v_add_f64 v[144:145], v[150:151], v[144:145]
	s_delay_alu instid0(VALU_DEP_2) | instskip(SKIP_1) | instid1(VALU_DEP_3)
	v_add_f64 v[150:151], v[150:151], -v[148:149]
	v_add_f64 v[133:134], v[133:134], -v[148:149]
	v_add_f64 v[162:163], v[160:161], v[144:145]
	s_delay_alu instid0(VALU_DEP_3) | instskip(NEXT) | instid1(VALU_DEP_2)
	v_add_f64 v[146:147], v[146:147], -v[150:151]
	v_add_f64 v[148:149], v[162:163], -v[160:161]
	s_delay_alu instid0(VALU_DEP_2) | instskip(NEXT) | instid1(VALU_DEP_2)
	v_add_f64 v[133:134], v[133:134], v[146:147]
	v_add_f64 v[144:145], v[144:145], -v[148:149]
	s_delay_alu instid0(VALU_DEP_1) | instskip(NEXT) | instid1(VALU_DEP_1)
	v_add_f64 v[133:134], v[133:134], v[144:145]
	v_add_f64 v[133:134], v[162:163], v[133:134]
	s_delay_alu instid0(VALU_DEP_1) | instskip(SKIP_1) | instid1(VALU_DEP_2)
	v_dual_cndmask_b32 v133, v133, v6 :: v_dual_cndmask_b32 v134, v134, v7
	v_cmp_ngt_f64_e32 vcc_lo, -1.0, v[6:7]
	v_cndmask_b32_e32 v134, 0x7ff80000, v134, vcc_lo
	v_cmp_nge_f64_e32 vcc_lo, -1.0, v[6:7]
	s_delay_alu instid0(VALU_DEP_4) | instskip(SKIP_1) | instid1(VALU_DEP_4)
	v_cndmask_b32_e32 v133, 0, v133, vcc_lo
	v_cmp_neq_f64_e32 vcc_lo, -1.0, v[6:7]
	v_cndmask_b32_e32 v134, 0xfff00000, v134, vcc_lo
	s_delay_alu instid0(VALU_DEP_1)
	v_add_f64 v[6:7], v[8:9], v[133:134]
.LBB76_227:
	s_or_b32 exec_lo, exec_lo, s24
	s_delay_alu instid0(VALU_DEP_1) | instskip(SKIP_1) | instid1(VALU_DEP_2)
	v_max_f64 v[8:9], v[6:7], v[6:7]
	v_cmp_u_f64_e32 vcc_lo, v[6:7], v[6:7]
	v_min_f64 v[133:134], v[8:9], v[10:11]
	v_max_f64 v[8:9], v[8:9], v[10:11]
	s_delay_alu instid0(VALU_DEP_2) | instskip(NEXT) | instid1(VALU_DEP_2)
	v_dual_cndmask_b32 v10, v133, v6 :: v_dual_cndmask_b32 v11, v134, v7
	v_dual_cndmask_b32 v9, v9, v7 :: v_dual_cndmask_b32 v8, v8, v6
	s_delay_alu instid0(VALU_DEP_2) | instskip(NEXT) | instid1(VALU_DEP_3)
	v_cndmask_b32_e64 v133, v10, v112, s4
	v_cndmask_b32_e64 v134, v11, v113, s4
	s_delay_alu instid0(VALU_DEP_3) | instskip(NEXT) | instid1(VALU_DEP_4)
	v_cndmask_b32_e64 v11, v9, v113, s4
	v_cndmask_b32_e64 v10, v8, v112, s4
	v_dual_mov_b32 v9, v7 :: v_dual_mov_b32 v8, v6
	s_delay_alu instid0(VALU_DEP_4) | instskip(NEXT) | instid1(VALU_DEP_3)
	v_cmp_class_f64_e64 s3, v[133:134], 0x1f8
	v_cmp_neq_f64_e32 vcc_lo, v[133:134], v[10:11]
	s_delay_alu instid0(VALU_DEP_2) | instskip(NEXT) | instid1(SALU_CYCLE_1)
	s_or_b32 s3, vcc_lo, s3
	s_and_saveexec_b32 s4, s3
	s_cbranch_execz .LBB76_229
; %bb.228:
	v_add_f64 v[8:9], v[133:134], -v[10:11]
	s_mov_b32 s18, 0x652b82fe
	s_mov_b32 s19, 0x3ff71547
	;; [unrolled: 1-line block ×10, first 2 shown]
	s_delay_alu instid0(VALU_DEP_1) | instskip(SKIP_4) | instid1(VALU_DEP_3)
	v_mul_f64 v[133:134], v[8:9], s[18:19]
	s_mov_b32 s19, 0xbfe62e42
	s_mov_b32 s18, 0xfefa39ef
	v_cmp_nlt_f64_e32 vcc_lo, 0x40900000, v[8:9]
	v_cmp_ngt_f64_e64 s3, 0xc090cc00, v[8:9]
	v_rndne_f64_e32 v[133:134], v[133:134]
	s_delay_alu instid0(VALU_DEP_1) | instskip(SKIP_2) | instid1(VALU_DEP_2)
	v_fma_f64 v[144:145], v[133:134], s[18:19], v[8:9]
	v_cvt_i32_f64_e32 v148, v[133:134]
	s_mov_b32 s19, 0x3fe62e42
	v_fma_f64 v[144:145], v[133:134], s[20:21], v[144:145]
	s_mov_b32 s21, 0x3c7abc9e
	s_delay_alu instid0(VALU_DEP_1) | instskip(SKIP_4) | instid1(VALU_DEP_1)
	v_fma_f64 v[146:147], v[144:145], s[24:25], s[22:23]
	s_mov_b32 s22, 0x623fde64
	s_mov_b32 s23, 0x3ec71dee
	;; [unrolled: 1-line block ×4, first 2 shown]
	v_fma_f64 v[146:147], v[144:145], v[146:147], s[22:23]
	s_mov_b32 s22, 0x7c89e6b0
	s_mov_b32 s23, 0x3efa0199
	s_delay_alu instid0(VALU_DEP_1) | instid1(SALU_CYCLE_1)
	v_fma_f64 v[146:147], v[144:145], v[146:147], s[22:23]
	s_mov_b32 s22, 0x14761f6e
	s_mov_b32 s23, 0x3f2a01a0
	s_delay_alu instid0(VALU_DEP_1) | instid1(SALU_CYCLE_1)
	;; [unrolled: 4-line block ×7, first 2 shown]
	v_fma_f64 v[146:147], v[144:145], v[146:147], s[22:23]
	s_mov_b32 s23, 0x3fe55555
	s_mov_b32 s22, 0x55555555
	s_delay_alu instid0(VALU_DEP_1) | instskip(NEXT) | instid1(VALU_DEP_1)
	v_fma_f64 v[146:147], v[144:145], v[146:147], 1.0
	v_fma_f64 v[133:134], v[144:145], v[146:147], 1.0
	s_delay_alu instid0(VALU_DEP_1) | instskip(NEXT) | instid1(VALU_DEP_1)
	v_ldexp_f64 v[133:134], v[133:134], v148
	v_cndmask_b32_e32 v134, 0x7ff00000, v134, vcc_lo
	s_and_b32 vcc_lo, s3, vcc_lo
	s_delay_alu instid0(VALU_DEP_2) | instskip(NEXT) | instid1(VALU_DEP_2)
	v_cndmask_b32_e32 v8, 0, v133, vcc_lo
	v_cndmask_b32_e64 v9, 0, v134, s3
	s_delay_alu instid0(VALU_DEP_1) | instskip(NEXT) | instid1(VALU_DEP_1)
	v_add_f64 v[133:134], v[8:9], 1.0
	v_frexp_mant_f64_e32 v[144:145], v[133:134]
	v_frexp_exp_i32_f64_e32 v148, v[133:134]
	v_add_f64 v[146:147], v[133:134], -1.0
	s_delay_alu instid0(VALU_DEP_3) | instskip(SKIP_1) | instid1(VALU_DEP_2)
	v_cmp_gt_f64_e32 vcc_lo, s[22:23], v[144:145]
	s_mov_b32 s22, 0x55555780
	v_add_f64 v[144:145], v[146:147], -v[133:134]
	v_add_f64 v[146:147], v[8:9], -v[146:147]
	v_subrev_co_ci_u32_e32 v214, vcc_lo, 0, v148, vcc_lo
	s_delay_alu instid0(VALU_DEP_3) | instskip(SKIP_1) | instid1(VALU_DEP_3)
	v_add_f64 v[144:145], v[144:145], 1.0
	v_cmp_eq_f64_e32 vcc_lo, 0x7ff00000, v[8:9]
	v_sub_nc_u32_e32 v150, 0, v214
	s_delay_alu instid0(VALU_DEP_1) | instskip(NEXT) | instid1(VALU_DEP_4)
	v_ldexp_f64 v[133:134], v[133:134], v150
	v_add_f64 v[144:145], v[146:147], v[144:145]
	s_delay_alu instid0(VALU_DEP_2) | instskip(SKIP_1) | instid1(VALU_DEP_3)
	v_add_f64 v[148:149], v[133:134], 1.0
	v_add_f64 v[162:163], v[133:134], -1.0
	v_ldexp_f64 v[144:145], v[144:145], v150
	s_delay_alu instid0(VALU_DEP_3) | instskip(NEXT) | instid1(VALU_DEP_3)
	v_add_f64 v[146:147], v[148:149], -1.0
	v_add_f64 v[164:165], v[162:163], 1.0
	s_delay_alu instid0(VALU_DEP_2) | instskip(NEXT) | instid1(VALU_DEP_2)
	v_add_f64 v[146:147], v[133:134], -v[146:147]
	v_add_f64 v[133:134], v[133:134], -v[164:165]
	s_delay_alu instid0(VALU_DEP_2) | instskip(NEXT) | instid1(VALU_DEP_2)
	v_add_f64 v[146:147], v[144:145], v[146:147]
	v_add_f64 v[133:134], v[144:145], v[133:134]
	s_delay_alu instid0(VALU_DEP_2) | instskip(NEXT) | instid1(VALU_DEP_2)
	v_add_f64 v[150:151], v[148:149], v[146:147]
	v_add_f64 v[164:165], v[162:163], v[133:134]
	s_delay_alu instid0(VALU_DEP_2) | instskip(SKIP_1) | instid1(VALU_DEP_2)
	v_rcp_f64_e32 v[160:161], v[150:151]
	v_add_f64 v[148:149], v[150:151], -v[148:149]
	v_add_f64 v[162:163], v[164:165], -v[162:163]
	s_delay_alu instid0(VALU_DEP_2) | instskip(SKIP_3) | instid1(VALU_DEP_2)
	v_add_f64 v[146:147], v[146:147], -v[148:149]
	s_waitcnt_depctr 0xfff
	v_fma_f64 v[166:167], -v[150:151], v[160:161], 1.0
	v_add_f64 v[133:134], v[133:134], -v[162:163]
	v_fma_f64 v[160:161], v[166:167], v[160:161], v[160:161]
	s_delay_alu instid0(VALU_DEP_1) | instskip(NEXT) | instid1(VALU_DEP_1)
	v_fma_f64 v[144:145], -v[150:151], v[160:161], 1.0
	v_fma_f64 v[144:145], v[144:145], v[160:161], v[160:161]
	s_delay_alu instid0(VALU_DEP_1) | instskip(NEXT) | instid1(VALU_DEP_1)
	v_mul_f64 v[160:161], v[164:165], v[144:145]
	v_mul_f64 v[166:167], v[150:151], v[160:161]
	s_delay_alu instid0(VALU_DEP_1) | instskip(NEXT) | instid1(VALU_DEP_1)
	v_fma_f64 v[148:149], v[160:161], v[150:151], -v[166:167]
	v_fma_f64 v[148:149], v[160:161], v[146:147], v[148:149]
	s_delay_alu instid0(VALU_DEP_1) | instskip(NEXT) | instid1(VALU_DEP_1)
	v_add_f64 v[176:177], v[166:167], v[148:149]
	v_add_f64 v[212:213], v[164:165], -v[176:177]
	v_add_f64 v[162:163], v[176:177], -v[166:167]
	s_delay_alu instid0(VALU_DEP_2) | instskip(NEXT) | instid1(VALU_DEP_2)
	v_add_f64 v[164:165], v[164:165], -v[212:213]
	v_add_f64 v[148:149], v[162:163], -v[148:149]
	s_delay_alu instid0(VALU_DEP_2) | instskip(NEXT) | instid1(VALU_DEP_1)
	v_add_f64 v[164:165], v[164:165], -v[176:177]
	v_add_f64 v[133:134], v[133:134], v[164:165]
	s_delay_alu instid0(VALU_DEP_1) | instskip(NEXT) | instid1(VALU_DEP_1)
	v_add_f64 v[133:134], v[148:149], v[133:134]
	v_add_f64 v[148:149], v[212:213], v[133:134]
	s_delay_alu instid0(VALU_DEP_1) | instskip(SKIP_1) | instid1(VALU_DEP_2)
	v_mul_f64 v[162:163], v[144:145], v[148:149]
	v_add_f64 v[176:177], v[212:213], -v[148:149]
	v_mul_f64 v[164:165], v[150:151], v[162:163]
	s_delay_alu instid0(VALU_DEP_2) | instskip(NEXT) | instid1(VALU_DEP_2)
	v_add_f64 v[133:134], v[133:134], v[176:177]
	v_fma_f64 v[150:151], v[162:163], v[150:151], -v[164:165]
	s_delay_alu instid0(VALU_DEP_1) | instskip(NEXT) | instid1(VALU_DEP_1)
	v_fma_f64 v[146:147], v[162:163], v[146:147], v[150:151]
	v_add_f64 v[150:151], v[164:165], v[146:147]
	s_delay_alu instid0(VALU_DEP_1) | instskip(SKIP_1) | instid1(VALU_DEP_2)
	v_add_f64 v[166:167], v[148:149], -v[150:151]
	v_add_f64 v[164:165], v[150:151], -v[164:165]
	;; [unrolled: 1-line block ×3, first 2 shown]
	s_delay_alu instid0(VALU_DEP_2) | instskip(NEXT) | instid1(VALU_DEP_2)
	v_add_f64 v[146:147], v[164:165], -v[146:147]
	v_add_f64 v[148:149], v[148:149], -v[150:151]
	s_delay_alu instid0(VALU_DEP_1) | instskip(SKIP_1) | instid1(VALU_DEP_2)
	v_add_f64 v[133:134], v[133:134], v[148:149]
	v_add_f64 v[148:149], v[160:161], v[162:163]
	v_add_f64 v[133:134], v[146:147], v[133:134]
	s_delay_alu instid0(VALU_DEP_2) | instskip(NEXT) | instid1(VALU_DEP_2)
	v_add_f64 v[146:147], v[148:149], -v[160:161]
	v_add_f64 v[133:134], v[166:167], v[133:134]
	s_delay_alu instid0(VALU_DEP_2) | instskip(NEXT) | instid1(VALU_DEP_2)
	v_add_f64 v[146:147], v[162:163], -v[146:147]
	v_mul_f64 v[133:134], v[144:145], v[133:134]
	s_delay_alu instid0(VALU_DEP_1) | instskip(NEXT) | instid1(VALU_DEP_1)
	v_add_f64 v[133:134], v[146:147], v[133:134]
	v_add_f64 v[144:145], v[148:149], v[133:134]
	s_delay_alu instid0(VALU_DEP_1) | instskip(NEXT) | instid1(VALU_DEP_1)
	v_mul_f64 v[146:147], v[144:145], v[144:145]
	v_fma_f64 v[150:151], v[146:147], s[26:27], s[24:25]
	s_mov_b32 s24, 0xd7f4df2e
	s_mov_b32 s25, 0x3fc7474d
	v_mul_f64 v[160:161], v[144:145], v[146:147]
	s_delay_alu instid0(VALU_DEP_2)
	v_fma_f64 v[150:151], v[146:147], v[150:151], s[24:25]
	s_mov_b32 s24, 0x16291751
	s_mov_b32 s25, 0x3fcc71c0
	s_delay_alu instid0(VALU_DEP_1) | instid1(SALU_CYCLE_1)
	v_fma_f64 v[150:151], v[146:147], v[150:151], s[24:25]
	s_mov_b32 s24, 0x9b27acf1
	s_mov_b32 s25, 0x3fd24924
	s_delay_alu instid0(VALU_DEP_1) | instid1(SALU_CYCLE_1)
	;; [unrolled: 4-line block ×3, first 2 shown]
	v_fma_f64 v[150:151], v[146:147], v[150:151], s[24:25]
	s_delay_alu instid0(VALU_DEP_1) | instskip(SKIP_2) | instid1(VALU_DEP_3)
	v_fma_f64 v[146:147], v[146:147], v[150:151], s[22:23]
	v_ldexp_f64 v[150:151], v[144:145], 1
	v_add_f64 v[144:145], v[144:145], -v[148:149]
	v_mul_f64 v[146:147], v[160:161], v[146:147]
	v_cvt_f64_i32_e32 v[160:161], v214
	s_delay_alu instid0(VALU_DEP_3) | instskip(NEXT) | instid1(VALU_DEP_3)
	v_add_f64 v[133:134], v[133:134], -v[144:145]
	v_add_f64 v[148:149], v[150:151], v[146:147]
	s_delay_alu instid0(VALU_DEP_3) | instskip(NEXT) | instid1(VALU_DEP_3)
	v_mul_f64 v[162:163], v[160:161], s[18:19]
	v_ldexp_f64 v[133:134], v[133:134], 1
	s_delay_alu instid0(VALU_DEP_3) | instskip(NEXT) | instid1(VALU_DEP_3)
	v_add_f64 v[144:145], v[148:149], -v[150:151]
	v_fma_f64 v[150:151], v[160:161], s[18:19], -v[162:163]
	s_delay_alu instid0(VALU_DEP_2) | instskip(NEXT) | instid1(VALU_DEP_2)
	v_add_f64 v[144:145], v[146:147], -v[144:145]
	v_fma_f64 v[146:147], v[160:161], s[20:21], v[150:151]
	s_delay_alu instid0(VALU_DEP_2) | instskip(NEXT) | instid1(VALU_DEP_2)
	v_add_f64 v[133:134], v[133:134], v[144:145]
	v_add_f64 v[144:145], v[162:163], v[146:147]
	s_delay_alu instid0(VALU_DEP_2) | instskip(NEXT) | instid1(VALU_DEP_2)
	v_add_f64 v[150:151], v[148:149], v[133:134]
	v_add_f64 v[162:163], v[144:145], -v[162:163]
	s_delay_alu instid0(VALU_DEP_2) | instskip(SKIP_1) | instid1(VALU_DEP_3)
	v_add_f64 v[160:161], v[144:145], v[150:151]
	v_add_f64 v[148:149], v[150:151], -v[148:149]
	v_add_f64 v[146:147], v[146:147], -v[162:163]
	s_delay_alu instid0(VALU_DEP_3) | instskip(NEXT) | instid1(VALU_DEP_3)
	v_add_f64 v[164:165], v[160:161], -v[144:145]
	v_add_f64 v[133:134], v[133:134], -v[148:149]
	s_delay_alu instid0(VALU_DEP_2) | instskip(SKIP_1) | instid1(VALU_DEP_3)
	v_add_f64 v[166:167], v[160:161], -v[164:165]
	v_add_f64 v[148:149], v[150:151], -v[164:165]
	v_add_f64 v[150:151], v[146:147], v[133:134]
	s_delay_alu instid0(VALU_DEP_3) | instskip(NEXT) | instid1(VALU_DEP_1)
	v_add_f64 v[144:145], v[144:145], -v[166:167]
	v_add_f64 v[144:145], v[148:149], v[144:145]
	s_delay_alu instid0(VALU_DEP_3) | instskip(NEXT) | instid1(VALU_DEP_2)
	v_add_f64 v[148:149], v[150:151], -v[146:147]
	v_add_f64 v[144:145], v[150:151], v[144:145]
	s_delay_alu instid0(VALU_DEP_2) | instskip(SKIP_1) | instid1(VALU_DEP_3)
	v_add_f64 v[150:151], v[150:151], -v[148:149]
	v_add_f64 v[133:134], v[133:134], -v[148:149]
	v_add_f64 v[162:163], v[160:161], v[144:145]
	s_delay_alu instid0(VALU_DEP_3) | instskip(NEXT) | instid1(VALU_DEP_2)
	v_add_f64 v[146:147], v[146:147], -v[150:151]
	v_add_f64 v[148:149], v[162:163], -v[160:161]
	s_delay_alu instid0(VALU_DEP_2) | instskip(NEXT) | instid1(VALU_DEP_2)
	v_add_f64 v[133:134], v[133:134], v[146:147]
	v_add_f64 v[144:145], v[144:145], -v[148:149]
	s_delay_alu instid0(VALU_DEP_1) | instskip(NEXT) | instid1(VALU_DEP_1)
	v_add_f64 v[133:134], v[133:134], v[144:145]
	v_add_f64 v[133:134], v[162:163], v[133:134]
	s_delay_alu instid0(VALU_DEP_1) | instskip(SKIP_1) | instid1(VALU_DEP_2)
	v_dual_cndmask_b32 v133, v133, v8 :: v_dual_cndmask_b32 v134, v134, v9
	v_cmp_ngt_f64_e32 vcc_lo, -1.0, v[8:9]
	v_cndmask_b32_e32 v134, 0x7ff80000, v134, vcc_lo
	v_cmp_nge_f64_e32 vcc_lo, -1.0, v[8:9]
	s_delay_alu instid0(VALU_DEP_4) | instskip(SKIP_1) | instid1(VALU_DEP_4)
	v_cndmask_b32_e32 v133, 0, v133, vcc_lo
	v_cmp_neq_f64_e32 vcc_lo, -1.0, v[8:9]
	v_cndmask_b32_e32 v134, 0xfff00000, v134, vcc_lo
	s_delay_alu instid0(VALU_DEP_1)
	v_add_f64 v[8:9], v[10:11], v[133:134]
.LBB76_229:
	s_or_b32 exec_lo, exec_lo, s4
	s_delay_alu instid0(VALU_DEP_1) | instskip(SKIP_1) | instid1(VALU_DEP_2)
	v_max_f64 v[10:11], v[8:9], v[8:9]
	v_cmp_u_f64_e32 vcc_lo, v[8:9], v[8:9]
	v_min_f64 v[133:134], v[10:11], v[12:13]
	v_max_f64 v[10:11], v[10:11], v[12:13]
	s_delay_alu instid0(VALU_DEP_2) | instskip(NEXT) | instid1(VALU_DEP_2)
	v_dual_cndmask_b32 v12, v133, v8 :: v_dual_cndmask_b32 v13, v134, v9
	v_dual_cndmask_b32 v11, v11, v9 :: v_dual_cndmask_b32 v10, v10, v8
	s_delay_alu instid0(VALU_DEP_2) | instskip(NEXT) | instid1(VALU_DEP_3)
	v_cndmask_b32_e64 v133, v12, v114, s5
	v_cndmask_b32_e64 v134, v13, v115, s5
	s_delay_alu instid0(VALU_DEP_3) | instskip(NEXT) | instid1(VALU_DEP_4)
	v_cndmask_b32_e64 v13, v11, v115, s5
	v_cndmask_b32_e64 v12, v10, v114, s5
	v_dual_mov_b32 v11, v9 :: v_dual_mov_b32 v10, v8
	s_delay_alu instid0(VALU_DEP_4) | instskip(NEXT) | instid1(VALU_DEP_3)
	v_cmp_class_f64_e64 s3, v[133:134], 0x1f8
	v_cmp_neq_f64_e32 vcc_lo, v[133:134], v[12:13]
	s_delay_alu instid0(VALU_DEP_2) | instskip(NEXT) | instid1(SALU_CYCLE_1)
	s_or_b32 s3, vcc_lo, s3
	s_and_saveexec_b32 s22, s3
	s_cbranch_execz .LBB76_231
; %bb.230:
	v_add_f64 v[10:11], v[133:134], -v[12:13]
	s_mov_b32 s4, 0x652b82fe
	s_mov_b32 s5, 0x3ff71547
	;; [unrolled: 1-line block ×10, first 2 shown]
	s_delay_alu instid0(VALU_DEP_1) | instskip(SKIP_4) | instid1(VALU_DEP_3)
	v_mul_f64 v[133:134], v[10:11], s[4:5]
	s_mov_b32 s5, 0xbfe62e42
	s_mov_b32 s4, 0xfefa39ef
	v_cmp_nlt_f64_e32 vcc_lo, 0x40900000, v[10:11]
	v_cmp_ngt_f64_e64 s3, 0xc090cc00, v[10:11]
	v_rndne_f64_e32 v[133:134], v[133:134]
	s_delay_alu instid0(VALU_DEP_1) | instskip(SKIP_2) | instid1(VALU_DEP_2)
	v_fma_f64 v[144:145], v[133:134], s[4:5], v[10:11]
	v_cvt_i32_f64_e32 v148, v[133:134]
	s_mov_b32 s5, 0x3fe62e42
	v_fma_f64 v[144:145], v[133:134], s[18:19], v[144:145]
	s_mov_b32 s19, 0x3c7abc9e
	s_delay_alu instid0(VALU_DEP_1) | instskip(SKIP_4) | instid1(VALU_DEP_1)
	v_fma_f64 v[146:147], v[144:145], s[24:25], s[20:21]
	s_mov_b32 s20, 0x623fde64
	s_mov_b32 s21, 0x3ec71dee
	;; [unrolled: 1-line block ×4, first 2 shown]
	v_fma_f64 v[146:147], v[144:145], v[146:147], s[20:21]
	s_mov_b32 s20, 0x7c89e6b0
	s_mov_b32 s21, 0x3efa0199
	s_delay_alu instid0(VALU_DEP_1) | instid1(SALU_CYCLE_1)
	v_fma_f64 v[146:147], v[144:145], v[146:147], s[20:21]
	s_mov_b32 s20, 0x14761f6e
	s_mov_b32 s21, 0x3f2a01a0
	s_delay_alu instid0(VALU_DEP_1) | instid1(SALU_CYCLE_1)
	;; [unrolled: 4-line block ×7, first 2 shown]
	v_fma_f64 v[146:147], v[144:145], v[146:147], s[20:21]
	s_mov_b32 s21, 0x3fe55555
	s_mov_b32 s20, 0x55555555
	s_delay_alu instid0(VALU_DEP_1) | instskip(NEXT) | instid1(VALU_DEP_1)
	v_fma_f64 v[146:147], v[144:145], v[146:147], 1.0
	v_fma_f64 v[133:134], v[144:145], v[146:147], 1.0
	s_delay_alu instid0(VALU_DEP_1) | instskip(NEXT) | instid1(VALU_DEP_1)
	v_ldexp_f64 v[133:134], v[133:134], v148
	v_cndmask_b32_e32 v134, 0x7ff00000, v134, vcc_lo
	s_and_b32 vcc_lo, s3, vcc_lo
	s_delay_alu instid0(VALU_DEP_2) | instskip(NEXT) | instid1(VALU_DEP_2)
	v_cndmask_b32_e32 v10, 0, v133, vcc_lo
	v_cndmask_b32_e64 v11, 0, v134, s3
	s_delay_alu instid0(VALU_DEP_1) | instskip(NEXT) | instid1(VALU_DEP_1)
	v_add_f64 v[133:134], v[10:11], 1.0
	v_frexp_mant_f64_e32 v[144:145], v[133:134]
	v_frexp_exp_i32_f64_e32 v148, v[133:134]
	v_add_f64 v[146:147], v[133:134], -1.0
	s_delay_alu instid0(VALU_DEP_3) | instskip(SKIP_1) | instid1(VALU_DEP_2)
	v_cmp_gt_f64_e32 vcc_lo, s[20:21], v[144:145]
	s_mov_b32 s20, 0x55555780
	v_add_f64 v[144:145], v[146:147], -v[133:134]
	v_add_f64 v[146:147], v[10:11], -v[146:147]
	v_subrev_co_ci_u32_e32 v214, vcc_lo, 0, v148, vcc_lo
	s_delay_alu instid0(VALU_DEP_3) | instskip(SKIP_1) | instid1(VALU_DEP_3)
	v_add_f64 v[144:145], v[144:145], 1.0
	v_cmp_eq_f64_e32 vcc_lo, 0x7ff00000, v[10:11]
	v_sub_nc_u32_e32 v150, 0, v214
	s_delay_alu instid0(VALU_DEP_1) | instskip(NEXT) | instid1(VALU_DEP_4)
	v_ldexp_f64 v[133:134], v[133:134], v150
	v_add_f64 v[144:145], v[146:147], v[144:145]
	s_delay_alu instid0(VALU_DEP_2) | instskip(SKIP_1) | instid1(VALU_DEP_3)
	v_add_f64 v[148:149], v[133:134], 1.0
	v_add_f64 v[162:163], v[133:134], -1.0
	v_ldexp_f64 v[144:145], v[144:145], v150
	s_delay_alu instid0(VALU_DEP_3) | instskip(NEXT) | instid1(VALU_DEP_3)
	v_add_f64 v[146:147], v[148:149], -1.0
	v_add_f64 v[164:165], v[162:163], 1.0
	s_delay_alu instid0(VALU_DEP_2) | instskip(NEXT) | instid1(VALU_DEP_2)
	v_add_f64 v[146:147], v[133:134], -v[146:147]
	v_add_f64 v[133:134], v[133:134], -v[164:165]
	s_delay_alu instid0(VALU_DEP_2) | instskip(NEXT) | instid1(VALU_DEP_2)
	v_add_f64 v[146:147], v[144:145], v[146:147]
	v_add_f64 v[133:134], v[144:145], v[133:134]
	s_delay_alu instid0(VALU_DEP_2) | instskip(NEXT) | instid1(VALU_DEP_2)
	v_add_f64 v[150:151], v[148:149], v[146:147]
	v_add_f64 v[164:165], v[162:163], v[133:134]
	s_delay_alu instid0(VALU_DEP_2) | instskip(SKIP_1) | instid1(VALU_DEP_2)
	v_rcp_f64_e32 v[160:161], v[150:151]
	v_add_f64 v[148:149], v[150:151], -v[148:149]
	v_add_f64 v[162:163], v[164:165], -v[162:163]
	s_delay_alu instid0(VALU_DEP_2) | instskip(SKIP_3) | instid1(VALU_DEP_2)
	v_add_f64 v[146:147], v[146:147], -v[148:149]
	s_waitcnt_depctr 0xfff
	v_fma_f64 v[166:167], -v[150:151], v[160:161], 1.0
	v_add_f64 v[133:134], v[133:134], -v[162:163]
	v_fma_f64 v[160:161], v[166:167], v[160:161], v[160:161]
	s_delay_alu instid0(VALU_DEP_1) | instskip(NEXT) | instid1(VALU_DEP_1)
	v_fma_f64 v[144:145], -v[150:151], v[160:161], 1.0
	v_fma_f64 v[144:145], v[144:145], v[160:161], v[160:161]
	s_delay_alu instid0(VALU_DEP_1) | instskip(NEXT) | instid1(VALU_DEP_1)
	v_mul_f64 v[160:161], v[164:165], v[144:145]
	v_mul_f64 v[166:167], v[150:151], v[160:161]
	s_delay_alu instid0(VALU_DEP_1) | instskip(NEXT) | instid1(VALU_DEP_1)
	v_fma_f64 v[148:149], v[160:161], v[150:151], -v[166:167]
	v_fma_f64 v[148:149], v[160:161], v[146:147], v[148:149]
	s_delay_alu instid0(VALU_DEP_1) | instskip(NEXT) | instid1(VALU_DEP_1)
	v_add_f64 v[176:177], v[166:167], v[148:149]
	v_add_f64 v[212:213], v[164:165], -v[176:177]
	v_add_f64 v[162:163], v[176:177], -v[166:167]
	s_delay_alu instid0(VALU_DEP_2) | instskip(NEXT) | instid1(VALU_DEP_2)
	v_add_f64 v[164:165], v[164:165], -v[212:213]
	v_add_f64 v[148:149], v[162:163], -v[148:149]
	s_delay_alu instid0(VALU_DEP_2) | instskip(NEXT) | instid1(VALU_DEP_1)
	v_add_f64 v[164:165], v[164:165], -v[176:177]
	v_add_f64 v[133:134], v[133:134], v[164:165]
	s_delay_alu instid0(VALU_DEP_1) | instskip(NEXT) | instid1(VALU_DEP_1)
	v_add_f64 v[133:134], v[148:149], v[133:134]
	v_add_f64 v[148:149], v[212:213], v[133:134]
	s_delay_alu instid0(VALU_DEP_1) | instskip(SKIP_1) | instid1(VALU_DEP_2)
	v_mul_f64 v[162:163], v[144:145], v[148:149]
	v_add_f64 v[176:177], v[212:213], -v[148:149]
	v_mul_f64 v[164:165], v[150:151], v[162:163]
	s_delay_alu instid0(VALU_DEP_2) | instskip(NEXT) | instid1(VALU_DEP_2)
	v_add_f64 v[133:134], v[133:134], v[176:177]
	v_fma_f64 v[150:151], v[162:163], v[150:151], -v[164:165]
	s_delay_alu instid0(VALU_DEP_1) | instskip(NEXT) | instid1(VALU_DEP_1)
	v_fma_f64 v[146:147], v[162:163], v[146:147], v[150:151]
	v_add_f64 v[150:151], v[164:165], v[146:147]
	s_delay_alu instid0(VALU_DEP_1) | instskip(SKIP_1) | instid1(VALU_DEP_2)
	v_add_f64 v[166:167], v[148:149], -v[150:151]
	v_add_f64 v[164:165], v[150:151], -v[164:165]
	;; [unrolled: 1-line block ×3, first 2 shown]
	s_delay_alu instid0(VALU_DEP_2) | instskip(NEXT) | instid1(VALU_DEP_2)
	v_add_f64 v[146:147], v[164:165], -v[146:147]
	v_add_f64 v[148:149], v[148:149], -v[150:151]
	s_delay_alu instid0(VALU_DEP_1) | instskip(SKIP_1) | instid1(VALU_DEP_2)
	v_add_f64 v[133:134], v[133:134], v[148:149]
	v_add_f64 v[148:149], v[160:161], v[162:163]
	;; [unrolled: 1-line block ×3, first 2 shown]
	s_delay_alu instid0(VALU_DEP_2) | instskip(NEXT) | instid1(VALU_DEP_2)
	v_add_f64 v[146:147], v[148:149], -v[160:161]
	v_add_f64 v[133:134], v[166:167], v[133:134]
	s_delay_alu instid0(VALU_DEP_2) | instskip(NEXT) | instid1(VALU_DEP_2)
	v_add_f64 v[146:147], v[162:163], -v[146:147]
	v_mul_f64 v[133:134], v[144:145], v[133:134]
	s_delay_alu instid0(VALU_DEP_1) | instskip(NEXT) | instid1(VALU_DEP_1)
	v_add_f64 v[133:134], v[146:147], v[133:134]
	v_add_f64 v[144:145], v[148:149], v[133:134]
	s_delay_alu instid0(VALU_DEP_1) | instskip(NEXT) | instid1(VALU_DEP_1)
	v_mul_f64 v[146:147], v[144:145], v[144:145]
	v_fma_f64 v[150:151], v[146:147], s[26:27], s[24:25]
	s_mov_b32 s24, 0xd7f4df2e
	s_mov_b32 s25, 0x3fc7474d
	v_mul_f64 v[160:161], v[144:145], v[146:147]
	s_delay_alu instid0(VALU_DEP_2)
	v_fma_f64 v[150:151], v[146:147], v[150:151], s[24:25]
	s_mov_b32 s24, 0x16291751
	s_mov_b32 s25, 0x3fcc71c0
	s_delay_alu instid0(VALU_DEP_1) | instid1(SALU_CYCLE_1)
	v_fma_f64 v[150:151], v[146:147], v[150:151], s[24:25]
	s_mov_b32 s24, 0x9b27acf1
	s_mov_b32 s25, 0x3fd24924
	s_delay_alu instid0(VALU_DEP_1) | instid1(SALU_CYCLE_1)
	;; [unrolled: 4-line block ×3, first 2 shown]
	v_fma_f64 v[150:151], v[146:147], v[150:151], s[24:25]
	s_delay_alu instid0(VALU_DEP_1) | instskip(SKIP_2) | instid1(VALU_DEP_3)
	v_fma_f64 v[146:147], v[146:147], v[150:151], s[20:21]
	v_ldexp_f64 v[150:151], v[144:145], 1
	v_add_f64 v[144:145], v[144:145], -v[148:149]
	v_mul_f64 v[146:147], v[160:161], v[146:147]
	v_cvt_f64_i32_e32 v[160:161], v214
	s_delay_alu instid0(VALU_DEP_3) | instskip(NEXT) | instid1(VALU_DEP_3)
	v_add_f64 v[133:134], v[133:134], -v[144:145]
	v_add_f64 v[148:149], v[150:151], v[146:147]
	s_delay_alu instid0(VALU_DEP_3) | instskip(NEXT) | instid1(VALU_DEP_3)
	v_mul_f64 v[162:163], v[160:161], s[4:5]
	v_ldexp_f64 v[133:134], v[133:134], 1
	s_delay_alu instid0(VALU_DEP_3) | instskip(NEXT) | instid1(VALU_DEP_3)
	v_add_f64 v[144:145], v[148:149], -v[150:151]
	v_fma_f64 v[150:151], v[160:161], s[4:5], -v[162:163]
	s_delay_alu instid0(VALU_DEP_2) | instskip(NEXT) | instid1(VALU_DEP_2)
	v_add_f64 v[144:145], v[146:147], -v[144:145]
	v_fma_f64 v[146:147], v[160:161], s[18:19], v[150:151]
	s_delay_alu instid0(VALU_DEP_2) | instskip(NEXT) | instid1(VALU_DEP_2)
	v_add_f64 v[133:134], v[133:134], v[144:145]
	v_add_f64 v[144:145], v[162:163], v[146:147]
	s_delay_alu instid0(VALU_DEP_2) | instskip(NEXT) | instid1(VALU_DEP_2)
	v_add_f64 v[150:151], v[148:149], v[133:134]
	v_add_f64 v[162:163], v[144:145], -v[162:163]
	s_delay_alu instid0(VALU_DEP_2) | instskip(SKIP_1) | instid1(VALU_DEP_3)
	v_add_f64 v[160:161], v[144:145], v[150:151]
	v_add_f64 v[148:149], v[150:151], -v[148:149]
	v_add_f64 v[146:147], v[146:147], -v[162:163]
	s_delay_alu instid0(VALU_DEP_3) | instskip(NEXT) | instid1(VALU_DEP_3)
	v_add_f64 v[164:165], v[160:161], -v[144:145]
	v_add_f64 v[133:134], v[133:134], -v[148:149]
	s_delay_alu instid0(VALU_DEP_2) | instskip(SKIP_1) | instid1(VALU_DEP_3)
	v_add_f64 v[166:167], v[160:161], -v[164:165]
	v_add_f64 v[148:149], v[150:151], -v[164:165]
	v_add_f64 v[150:151], v[146:147], v[133:134]
	s_delay_alu instid0(VALU_DEP_3) | instskip(NEXT) | instid1(VALU_DEP_1)
	v_add_f64 v[144:145], v[144:145], -v[166:167]
	v_add_f64 v[144:145], v[148:149], v[144:145]
	s_delay_alu instid0(VALU_DEP_3) | instskip(NEXT) | instid1(VALU_DEP_2)
	v_add_f64 v[148:149], v[150:151], -v[146:147]
	v_add_f64 v[144:145], v[150:151], v[144:145]
	s_delay_alu instid0(VALU_DEP_2) | instskip(SKIP_1) | instid1(VALU_DEP_3)
	v_add_f64 v[150:151], v[150:151], -v[148:149]
	v_add_f64 v[133:134], v[133:134], -v[148:149]
	v_add_f64 v[162:163], v[160:161], v[144:145]
	s_delay_alu instid0(VALU_DEP_3) | instskip(NEXT) | instid1(VALU_DEP_2)
	v_add_f64 v[146:147], v[146:147], -v[150:151]
	v_add_f64 v[148:149], v[162:163], -v[160:161]
	s_delay_alu instid0(VALU_DEP_2) | instskip(NEXT) | instid1(VALU_DEP_2)
	v_add_f64 v[133:134], v[133:134], v[146:147]
	v_add_f64 v[144:145], v[144:145], -v[148:149]
	s_delay_alu instid0(VALU_DEP_1) | instskip(NEXT) | instid1(VALU_DEP_1)
	v_add_f64 v[133:134], v[133:134], v[144:145]
	v_add_f64 v[133:134], v[162:163], v[133:134]
	s_delay_alu instid0(VALU_DEP_1) | instskip(SKIP_1) | instid1(VALU_DEP_2)
	v_dual_cndmask_b32 v133, v133, v10 :: v_dual_cndmask_b32 v134, v134, v11
	v_cmp_ngt_f64_e32 vcc_lo, -1.0, v[10:11]
	v_cndmask_b32_e32 v134, 0x7ff80000, v134, vcc_lo
	v_cmp_nge_f64_e32 vcc_lo, -1.0, v[10:11]
	s_delay_alu instid0(VALU_DEP_4) | instskip(SKIP_1) | instid1(VALU_DEP_4)
	v_cndmask_b32_e32 v133, 0, v133, vcc_lo
	v_cmp_neq_f64_e32 vcc_lo, -1.0, v[10:11]
	v_cndmask_b32_e32 v134, 0xfff00000, v134, vcc_lo
	s_delay_alu instid0(VALU_DEP_1)
	v_add_f64 v[10:11], v[12:13], v[133:134]
.LBB76_231:
	s_or_b32 exec_lo, exec_lo, s22
	s_delay_alu instid0(VALU_DEP_1) | instskip(SKIP_1) | instid1(VALU_DEP_2)
	v_max_f64 v[12:13], v[10:11], v[10:11]
	v_cmp_u_f64_e32 vcc_lo, v[10:11], v[10:11]
	v_min_f64 v[133:134], v[12:13], v[14:15]
	v_max_f64 v[12:13], v[12:13], v[14:15]
	s_delay_alu instid0(VALU_DEP_2) | instskip(NEXT) | instid1(VALU_DEP_2)
	v_dual_cndmask_b32 v14, v133, v10 :: v_dual_cndmask_b32 v15, v134, v11
	v_dual_cndmask_b32 v13, v13, v11 :: v_dual_cndmask_b32 v12, v12, v10
	s_delay_alu instid0(VALU_DEP_2) | instskip(NEXT) | instid1(VALU_DEP_3)
	v_cndmask_b32_e64 v133, v14, v100, s6
	v_cndmask_b32_e64 v134, v15, v101, s6
	s_delay_alu instid0(VALU_DEP_3) | instskip(NEXT) | instid1(VALU_DEP_4)
	v_cndmask_b32_e64 v15, v13, v101, s6
	v_cndmask_b32_e64 v14, v12, v100, s6
	v_dual_mov_b32 v13, v11 :: v_dual_mov_b32 v12, v10
	s_delay_alu instid0(VALU_DEP_4) | instskip(NEXT) | instid1(VALU_DEP_3)
	v_cmp_class_f64_e64 s3, v[133:134], 0x1f8
	v_cmp_neq_f64_e32 vcc_lo, v[133:134], v[14:15]
	s_delay_alu instid0(VALU_DEP_2) | instskip(NEXT) | instid1(SALU_CYCLE_1)
	s_or_b32 s3, vcc_lo, s3
	s_and_saveexec_b32 s6, s3
	s_cbranch_execz .LBB76_233
; %bb.232:
	v_add_f64 v[12:13], v[133:134], -v[14:15]
	s_mov_b32 s4, 0x652b82fe
	s_mov_b32 s5, 0x3ff71547
	;; [unrolled: 1-line block ×10, first 2 shown]
	s_delay_alu instid0(VALU_DEP_1) | instskip(SKIP_4) | instid1(VALU_DEP_3)
	v_mul_f64 v[133:134], v[12:13], s[4:5]
	s_mov_b32 s5, 0xbfe62e42
	s_mov_b32 s4, 0xfefa39ef
	v_cmp_nlt_f64_e32 vcc_lo, 0x40900000, v[12:13]
	v_cmp_ngt_f64_e64 s3, 0xc090cc00, v[12:13]
	v_rndne_f64_e32 v[133:134], v[133:134]
	s_delay_alu instid0(VALU_DEP_1) | instskip(SKIP_2) | instid1(VALU_DEP_2)
	v_fma_f64 v[144:145], v[133:134], s[4:5], v[12:13]
	v_cvt_i32_f64_e32 v148, v[133:134]
	s_mov_b32 s5, 0x3fe62e42
	v_fma_f64 v[144:145], v[133:134], s[18:19], v[144:145]
	s_mov_b32 s19, 0x3c7abc9e
	s_delay_alu instid0(VALU_DEP_1) | instskip(SKIP_4) | instid1(VALU_DEP_1)
	v_fma_f64 v[146:147], v[144:145], s[22:23], s[20:21]
	s_mov_b32 s20, 0x623fde64
	s_mov_b32 s21, 0x3ec71dee
	;; [unrolled: 1-line block ×4, first 2 shown]
	v_fma_f64 v[146:147], v[144:145], v[146:147], s[20:21]
	s_mov_b32 s20, 0x7c89e6b0
	s_mov_b32 s21, 0x3efa0199
	s_delay_alu instid0(VALU_DEP_1) | instid1(SALU_CYCLE_1)
	v_fma_f64 v[146:147], v[144:145], v[146:147], s[20:21]
	s_mov_b32 s20, 0x14761f6e
	s_mov_b32 s21, 0x3f2a01a0
	s_delay_alu instid0(VALU_DEP_1) | instid1(SALU_CYCLE_1)
	;; [unrolled: 4-line block ×7, first 2 shown]
	v_fma_f64 v[146:147], v[144:145], v[146:147], s[20:21]
	s_mov_b32 s21, 0x3fe55555
	s_mov_b32 s20, 0x55555555
	s_delay_alu instid0(VALU_DEP_1) | instskip(NEXT) | instid1(VALU_DEP_1)
	v_fma_f64 v[146:147], v[144:145], v[146:147], 1.0
	v_fma_f64 v[133:134], v[144:145], v[146:147], 1.0
	s_delay_alu instid0(VALU_DEP_1) | instskip(NEXT) | instid1(VALU_DEP_1)
	v_ldexp_f64 v[133:134], v[133:134], v148
	v_cndmask_b32_e32 v134, 0x7ff00000, v134, vcc_lo
	s_and_b32 vcc_lo, s3, vcc_lo
	s_delay_alu instid0(VALU_DEP_2) | instskip(NEXT) | instid1(VALU_DEP_2)
	v_cndmask_b32_e32 v12, 0, v133, vcc_lo
	v_cndmask_b32_e64 v13, 0, v134, s3
	s_delay_alu instid0(VALU_DEP_1) | instskip(NEXT) | instid1(VALU_DEP_1)
	v_add_f64 v[133:134], v[12:13], 1.0
	v_frexp_mant_f64_e32 v[144:145], v[133:134]
	v_frexp_exp_i32_f64_e32 v148, v[133:134]
	v_add_f64 v[146:147], v[133:134], -1.0
	s_delay_alu instid0(VALU_DEP_3) | instskip(SKIP_1) | instid1(VALU_DEP_2)
	v_cmp_gt_f64_e32 vcc_lo, s[20:21], v[144:145]
	s_mov_b32 s20, 0x55555780
	v_add_f64 v[144:145], v[146:147], -v[133:134]
	v_add_f64 v[146:147], v[12:13], -v[146:147]
	v_subrev_co_ci_u32_e32 v214, vcc_lo, 0, v148, vcc_lo
	s_delay_alu instid0(VALU_DEP_3) | instskip(SKIP_1) | instid1(VALU_DEP_3)
	v_add_f64 v[144:145], v[144:145], 1.0
	v_cmp_eq_f64_e32 vcc_lo, 0x7ff00000, v[12:13]
	v_sub_nc_u32_e32 v150, 0, v214
	s_delay_alu instid0(VALU_DEP_1) | instskip(NEXT) | instid1(VALU_DEP_4)
	v_ldexp_f64 v[133:134], v[133:134], v150
	v_add_f64 v[144:145], v[146:147], v[144:145]
	s_delay_alu instid0(VALU_DEP_2) | instskip(SKIP_1) | instid1(VALU_DEP_3)
	v_add_f64 v[148:149], v[133:134], 1.0
	v_add_f64 v[162:163], v[133:134], -1.0
	v_ldexp_f64 v[144:145], v[144:145], v150
	s_delay_alu instid0(VALU_DEP_3) | instskip(NEXT) | instid1(VALU_DEP_3)
	v_add_f64 v[146:147], v[148:149], -1.0
	v_add_f64 v[164:165], v[162:163], 1.0
	s_delay_alu instid0(VALU_DEP_2) | instskip(NEXT) | instid1(VALU_DEP_2)
	v_add_f64 v[146:147], v[133:134], -v[146:147]
	v_add_f64 v[133:134], v[133:134], -v[164:165]
	s_delay_alu instid0(VALU_DEP_2) | instskip(NEXT) | instid1(VALU_DEP_2)
	v_add_f64 v[146:147], v[144:145], v[146:147]
	v_add_f64 v[133:134], v[144:145], v[133:134]
	s_delay_alu instid0(VALU_DEP_2) | instskip(NEXT) | instid1(VALU_DEP_2)
	v_add_f64 v[150:151], v[148:149], v[146:147]
	v_add_f64 v[164:165], v[162:163], v[133:134]
	s_delay_alu instid0(VALU_DEP_2) | instskip(SKIP_1) | instid1(VALU_DEP_2)
	v_rcp_f64_e32 v[160:161], v[150:151]
	v_add_f64 v[148:149], v[150:151], -v[148:149]
	v_add_f64 v[162:163], v[164:165], -v[162:163]
	s_delay_alu instid0(VALU_DEP_2) | instskip(SKIP_3) | instid1(VALU_DEP_2)
	v_add_f64 v[146:147], v[146:147], -v[148:149]
	s_waitcnt_depctr 0xfff
	v_fma_f64 v[166:167], -v[150:151], v[160:161], 1.0
	v_add_f64 v[133:134], v[133:134], -v[162:163]
	v_fma_f64 v[160:161], v[166:167], v[160:161], v[160:161]
	s_delay_alu instid0(VALU_DEP_1) | instskip(NEXT) | instid1(VALU_DEP_1)
	v_fma_f64 v[144:145], -v[150:151], v[160:161], 1.0
	v_fma_f64 v[144:145], v[144:145], v[160:161], v[160:161]
	s_delay_alu instid0(VALU_DEP_1) | instskip(NEXT) | instid1(VALU_DEP_1)
	v_mul_f64 v[160:161], v[164:165], v[144:145]
	v_mul_f64 v[166:167], v[150:151], v[160:161]
	s_delay_alu instid0(VALU_DEP_1) | instskip(NEXT) | instid1(VALU_DEP_1)
	v_fma_f64 v[148:149], v[160:161], v[150:151], -v[166:167]
	v_fma_f64 v[148:149], v[160:161], v[146:147], v[148:149]
	s_delay_alu instid0(VALU_DEP_1) | instskip(NEXT) | instid1(VALU_DEP_1)
	v_add_f64 v[176:177], v[166:167], v[148:149]
	v_add_f64 v[212:213], v[164:165], -v[176:177]
	v_add_f64 v[162:163], v[176:177], -v[166:167]
	s_delay_alu instid0(VALU_DEP_2) | instskip(NEXT) | instid1(VALU_DEP_2)
	v_add_f64 v[164:165], v[164:165], -v[212:213]
	v_add_f64 v[148:149], v[162:163], -v[148:149]
	s_delay_alu instid0(VALU_DEP_2) | instskip(NEXT) | instid1(VALU_DEP_1)
	v_add_f64 v[164:165], v[164:165], -v[176:177]
	v_add_f64 v[133:134], v[133:134], v[164:165]
	s_delay_alu instid0(VALU_DEP_1) | instskip(NEXT) | instid1(VALU_DEP_1)
	v_add_f64 v[133:134], v[148:149], v[133:134]
	v_add_f64 v[148:149], v[212:213], v[133:134]
	s_delay_alu instid0(VALU_DEP_1) | instskip(SKIP_1) | instid1(VALU_DEP_2)
	v_mul_f64 v[162:163], v[144:145], v[148:149]
	v_add_f64 v[176:177], v[212:213], -v[148:149]
	v_mul_f64 v[164:165], v[150:151], v[162:163]
	s_delay_alu instid0(VALU_DEP_2) | instskip(NEXT) | instid1(VALU_DEP_2)
	v_add_f64 v[133:134], v[133:134], v[176:177]
	v_fma_f64 v[150:151], v[162:163], v[150:151], -v[164:165]
	s_delay_alu instid0(VALU_DEP_1) | instskip(NEXT) | instid1(VALU_DEP_1)
	v_fma_f64 v[146:147], v[162:163], v[146:147], v[150:151]
	v_add_f64 v[150:151], v[164:165], v[146:147]
	s_delay_alu instid0(VALU_DEP_1) | instskip(SKIP_1) | instid1(VALU_DEP_2)
	v_add_f64 v[166:167], v[148:149], -v[150:151]
	v_add_f64 v[164:165], v[150:151], -v[164:165]
	;; [unrolled: 1-line block ×3, first 2 shown]
	s_delay_alu instid0(VALU_DEP_2) | instskip(NEXT) | instid1(VALU_DEP_2)
	v_add_f64 v[146:147], v[164:165], -v[146:147]
	v_add_f64 v[148:149], v[148:149], -v[150:151]
	s_delay_alu instid0(VALU_DEP_1) | instskip(SKIP_1) | instid1(VALU_DEP_2)
	v_add_f64 v[133:134], v[133:134], v[148:149]
	v_add_f64 v[148:149], v[160:161], v[162:163]
	;; [unrolled: 1-line block ×3, first 2 shown]
	s_delay_alu instid0(VALU_DEP_2) | instskip(NEXT) | instid1(VALU_DEP_2)
	v_add_f64 v[146:147], v[148:149], -v[160:161]
	v_add_f64 v[133:134], v[166:167], v[133:134]
	s_delay_alu instid0(VALU_DEP_2) | instskip(NEXT) | instid1(VALU_DEP_2)
	v_add_f64 v[146:147], v[162:163], -v[146:147]
	v_mul_f64 v[133:134], v[144:145], v[133:134]
	s_delay_alu instid0(VALU_DEP_1) | instskip(NEXT) | instid1(VALU_DEP_1)
	v_add_f64 v[133:134], v[146:147], v[133:134]
	v_add_f64 v[144:145], v[148:149], v[133:134]
	s_delay_alu instid0(VALU_DEP_1) | instskip(NEXT) | instid1(VALU_DEP_1)
	v_mul_f64 v[146:147], v[144:145], v[144:145]
	v_fma_f64 v[150:151], v[146:147], s[24:25], s[22:23]
	s_mov_b32 s22, 0xd7f4df2e
	s_mov_b32 s23, 0x3fc7474d
	v_mul_f64 v[160:161], v[144:145], v[146:147]
	s_delay_alu instid0(VALU_DEP_2)
	v_fma_f64 v[150:151], v[146:147], v[150:151], s[22:23]
	s_mov_b32 s22, 0x16291751
	s_mov_b32 s23, 0x3fcc71c0
	s_delay_alu instid0(VALU_DEP_1) | instid1(SALU_CYCLE_1)
	v_fma_f64 v[150:151], v[146:147], v[150:151], s[22:23]
	s_mov_b32 s22, 0x9b27acf1
	s_mov_b32 s23, 0x3fd24924
	s_delay_alu instid0(VALU_DEP_1) | instid1(SALU_CYCLE_1)
	;; [unrolled: 4-line block ×3, first 2 shown]
	v_fma_f64 v[150:151], v[146:147], v[150:151], s[22:23]
	s_delay_alu instid0(VALU_DEP_1) | instskip(SKIP_2) | instid1(VALU_DEP_3)
	v_fma_f64 v[146:147], v[146:147], v[150:151], s[20:21]
	v_ldexp_f64 v[150:151], v[144:145], 1
	v_add_f64 v[144:145], v[144:145], -v[148:149]
	v_mul_f64 v[146:147], v[160:161], v[146:147]
	v_cvt_f64_i32_e32 v[160:161], v214
	s_delay_alu instid0(VALU_DEP_3) | instskip(NEXT) | instid1(VALU_DEP_3)
	v_add_f64 v[133:134], v[133:134], -v[144:145]
	v_add_f64 v[148:149], v[150:151], v[146:147]
	s_delay_alu instid0(VALU_DEP_3) | instskip(NEXT) | instid1(VALU_DEP_3)
	v_mul_f64 v[162:163], v[160:161], s[4:5]
	v_ldexp_f64 v[133:134], v[133:134], 1
	s_delay_alu instid0(VALU_DEP_3) | instskip(NEXT) | instid1(VALU_DEP_3)
	v_add_f64 v[144:145], v[148:149], -v[150:151]
	v_fma_f64 v[150:151], v[160:161], s[4:5], -v[162:163]
	s_delay_alu instid0(VALU_DEP_2) | instskip(NEXT) | instid1(VALU_DEP_2)
	v_add_f64 v[144:145], v[146:147], -v[144:145]
	v_fma_f64 v[146:147], v[160:161], s[18:19], v[150:151]
	s_delay_alu instid0(VALU_DEP_2) | instskip(NEXT) | instid1(VALU_DEP_2)
	v_add_f64 v[133:134], v[133:134], v[144:145]
	v_add_f64 v[144:145], v[162:163], v[146:147]
	s_delay_alu instid0(VALU_DEP_2) | instskip(NEXT) | instid1(VALU_DEP_2)
	v_add_f64 v[150:151], v[148:149], v[133:134]
	v_add_f64 v[162:163], v[144:145], -v[162:163]
	s_delay_alu instid0(VALU_DEP_2) | instskip(SKIP_1) | instid1(VALU_DEP_3)
	v_add_f64 v[160:161], v[144:145], v[150:151]
	v_add_f64 v[148:149], v[150:151], -v[148:149]
	v_add_f64 v[146:147], v[146:147], -v[162:163]
	s_delay_alu instid0(VALU_DEP_3) | instskip(NEXT) | instid1(VALU_DEP_3)
	v_add_f64 v[164:165], v[160:161], -v[144:145]
	v_add_f64 v[133:134], v[133:134], -v[148:149]
	s_delay_alu instid0(VALU_DEP_2) | instskip(SKIP_1) | instid1(VALU_DEP_3)
	v_add_f64 v[166:167], v[160:161], -v[164:165]
	v_add_f64 v[148:149], v[150:151], -v[164:165]
	v_add_f64 v[150:151], v[146:147], v[133:134]
	s_delay_alu instid0(VALU_DEP_3) | instskip(NEXT) | instid1(VALU_DEP_1)
	v_add_f64 v[144:145], v[144:145], -v[166:167]
	v_add_f64 v[144:145], v[148:149], v[144:145]
	s_delay_alu instid0(VALU_DEP_3) | instskip(NEXT) | instid1(VALU_DEP_2)
	v_add_f64 v[148:149], v[150:151], -v[146:147]
	v_add_f64 v[144:145], v[150:151], v[144:145]
	s_delay_alu instid0(VALU_DEP_2) | instskip(SKIP_1) | instid1(VALU_DEP_3)
	v_add_f64 v[150:151], v[150:151], -v[148:149]
	v_add_f64 v[133:134], v[133:134], -v[148:149]
	v_add_f64 v[162:163], v[160:161], v[144:145]
	s_delay_alu instid0(VALU_DEP_3) | instskip(NEXT) | instid1(VALU_DEP_2)
	v_add_f64 v[146:147], v[146:147], -v[150:151]
	v_add_f64 v[148:149], v[162:163], -v[160:161]
	s_delay_alu instid0(VALU_DEP_2) | instskip(NEXT) | instid1(VALU_DEP_2)
	v_add_f64 v[133:134], v[133:134], v[146:147]
	v_add_f64 v[144:145], v[144:145], -v[148:149]
	s_delay_alu instid0(VALU_DEP_1) | instskip(NEXT) | instid1(VALU_DEP_1)
	v_add_f64 v[133:134], v[133:134], v[144:145]
	v_add_f64 v[133:134], v[162:163], v[133:134]
	s_delay_alu instid0(VALU_DEP_1) | instskip(SKIP_1) | instid1(VALU_DEP_2)
	v_dual_cndmask_b32 v133, v133, v12 :: v_dual_cndmask_b32 v134, v134, v13
	v_cmp_ngt_f64_e32 vcc_lo, -1.0, v[12:13]
	v_cndmask_b32_e32 v134, 0x7ff80000, v134, vcc_lo
	v_cmp_nge_f64_e32 vcc_lo, -1.0, v[12:13]
	s_delay_alu instid0(VALU_DEP_4) | instskip(SKIP_1) | instid1(VALU_DEP_4)
	v_cndmask_b32_e32 v133, 0, v133, vcc_lo
	v_cmp_neq_f64_e32 vcc_lo, -1.0, v[12:13]
	v_cndmask_b32_e32 v134, 0xfff00000, v134, vcc_lo
	s_delay_alu instid0(VALU_DEP_1)
	v_add_f64 v[12:13], v[14:15], v[133:134]
.LBB76_233:
	s_or_b32 exec_lo, exec_lo, s6
	s_delay_alu instid0(VALU_DEP_1) | instskip(SKIP_1) | instid1(VALU_DEP_2)
	v_max_f64 v[14:15], v[12:13], v[12:13]
	v_cmp_u_f64_e32 vcc_lo, v[12:13], v[12:13]
	v_min_f64 v[133:134], v[14:15], v[16:17]
	v_max_f64 v[14:15], v[14:15], v[16:17]
	s_delay_alu instid0(VALU_DEP_2) | instskip(NEXT) | instid1(VALU_DEP_2)
	v_dual_cndmask_b32 v16, v133, v12 :: v_dual_cndmask_b32 v17, v134, v13
	v_dual_cndmask_b32 v15, v15, v13 :: v_dual_cndmask_b32 v14, v14, v12
	s_delay_alu instid0(VALU_DEP_2) | instskip(NEXT) | instid1(VALU_DEP_3)
	v_cndmask_b32_e64 v133, v16, v102, s7
	v_cndmask_b32_e64 v134, v17, v103, s7
	s_delay_alu instid0(VALU_DEP_3) | instskip(NEXT) | instid1(VALU_DEP_4)
	v_cndmask_b32_e64 v17, v15, v103, s7
	v_cndmask_b32_e64 v16, v14, v102, s7
	v_dual_mov_b32 v15, v13 :: v_dual_mov_b32 v14, v12
	s_delay_alu instid0(VALU_DEP_4) | instskip(NEXT) | instid1(VALU_DEP_3)
	v_cmp_class_f64_e64 s3, v[133:134], 0x1f8
	v_cmp_neq_f64_e32 vcc_lo, v[133:134], v[16:17]
	s_delay_alu instid0(VALU_DEP_2) | instskip(NEXT) | instid1(SALU_CYCLE_1)
	s_or_b32 s3, vcc_lo, s3
	s_and_saveexec_b32 s20, s3
	s_cbranch_execz .LBB76_235
; %bb.234:
	v_add_f64 v[14:15], v[133:134], -v[16:17]
	s_mov_b32 s4, 0x652b82fe
	s_mov_b32 s5, 0x3ff71547
	;; [unrolled: 1-line block ×10, first 2 shown]
	s_delay_alu instid0(VALU_DEP_1) | instskip(SKIP_4) | instid1(VALU_DEP_3)
	v_mul_f64 v[133:134], v[14:15], s[4:5]
	s_mov_b32 s5, 0xbfe62e42
	s_mov_b32 s4, 0xfefa39ef
	v_cmp_nlt_f64_e32 vcc_lo, 0x40900000, v[14:15]
	v_cmp_ngt_f64_e64 s3, 0xc090cc00, v[14:15]
	v_rndne_f64_e32 v[133:134], v[133:134]
	s_delay_alu instid0(VALU_DEP_1) | instskip(SKIP_2) | instid1(VALU_DEP_2)
	v_fma_f64 v[144:145], v[133:134], s[4:5], v[14:15]
	v_cvt_i32_f64_e32 v148, v[133:134]
	s_mov_b32 s5, 0x3fe62e42
	v_fma_f64 v[144:145], v[133:134], s[6:7], v[144:145]
	s_mov_b32 s7, 0x3c7abc9e
	s_delay_alu instid0(VALU_DEP_1) | instskip(SKIP_4) | instid1(VALU_DEP_1)
	v_fma_f64 v[146:147], v[144:145], s[22:23], s[18:19]
	s_mov_b32 s18, 0x623fde64
	s_mov_b32 s19, 0x3ec71dee
	;; [unrolled: 1-line block ×4, first 2 shown]
	v_fma_f64 v[146:147], v[144:145], v[146:147], s[18:19]
	s_mov_b32 s18, 0x7c89e6b0
	s_mov_b32 s19, 0x3efa0199
	s_delay_alu instid0(VALU_DEP_1) | instid1(SALU_CYCLE_1)
	v_fma_f64 v[146:147], v[144:145], v[146:147], s[18:19]
	s_mov_b32 s18, 0x14761f6e
	s_mov_b32 s19, 0x3f2a01a0
	s_delay_alu instid0(VALU_DEP_1) | instid1(SALU_CYCLE_1)
	;; [unrolled: 4-line block ×7, first 2 shown]
	v_fma_f64 v[146:147], v[144:145], v[146:147], s[18:19]
	s_mov_b32 s19, 0x3fe55555
	s_mov_b32 s18, 0x55555555
	s_delay_alu instid0(VALU_DEP_1) | instskip(NEXT) | instid1(VALU_DEP_1)
	v_fma_f64 v[146:147], v[144:145], v[146:147], 1.0
	v_fma_f64 v[133:134], v[144:145], v[146:147], 1.0
	s_delay_alu instid0(VALU_DEP_1) | instskip(NEXT) | instid1(VALU_DEP_1)
	v_ldexp_f64 v[133:134], v[133:134], v148
	v_cndmask_b32_e32 v134, 0x7ff00000, v134, vcc_lo
	s_and_b32 vcc_lo, s3, vcc_lo
	s_delay_alu instid0(VALU_DEP_2) | instskip(NEXT) | instid1(VALU_DEP_2)
	v_cndmask_b32_e32 v14, 0, v133, vcc_lo
	v_cndmask_b32_e64 v15, 0, v134, s3
	s_delay_alu instid0(VALU_DEP_1) | instskip(NEXT) | instid1(VALU_DEP_1)
	v_add_f64 v[133:134], v[14:15], 1.0
	v_frexp_mant_f64_e32 v[144:145], v[133:134]
	v_frexp_exp_i32_f64_e32 v148, v[133:134]
	v_add_f64 v[146:147], v[133:134], -1.0
	s_delay_alu instid0(VALU_DEP_3) | instskip(SKIP_1) | instid1(VALU_DEP_2)
	v_cmp_gt_f64_e32 vcc_lo, s[18:19], v[144:145]
	s_mov_b32 s18, 0x55555780
	v_add_f64 v[144:145], v[146:147], -v[133:134]
	v_add_f64 v[146:147], v[14:15], -v[146:147]
	v_subrev_co_ci_u32_e32 v214, vcc_lo, 0, v148, vcc_lo
	s_delay_alu instid0(VALU_DEP_3) | instskip(SKIP_1) | instid1(VALU_DEP_3)
	v_add_f64 v[144:145], v[144:145], 1.0
	v_cmp_eq_f64_e32 vcc_lo, 0x7ff00000, v[14:15]
	v_sub_nc_u32_e32 v150, 0, v214
	s_delay_alu instid0(VALU_DEP_1) | instskip(NEXT) | instid1(VALU_DEP_4)
	v_ldexp_f64 v[133:134], v[133:134], v150
	v_add_f64 v[144:145], v[146:147], v[144:145]
	s_delay_alu instid0(VALU_DEP_2) | instskip(SKIP_1) | instid1(VALU_DEP_3)
	v_add_f64 v[148:149], v[133:134], 1.0
	v_add_f64 v[162:163], v[133:134], -1.0
	v_ldexp_f64 v[144:145], v[144:145], v150
	s_delay_alu instid0(VALU_DEP_3) | instskip(NEXT) | instid1(VALU_DEP_3)
	v_add_f64 v[146:147], v[148:149], -1.0
	v_add_f64 v[164:165], v[162:163], 1.0
	s_delay_alu instid0(VALU_DEP_2) | instskip(NEXT) | instid1(VALU_DEP_2)
	v_add_f64 v[146:147], v[133:134], -v[146:147]
	v_add_f64 v[133:134], v[133:134], -v[164:165]
	s_delay_alu instid0(VALU_DEP_2) | instskip(NEXT) | instid1(VALU_DEP_2)
	v_add_f64 v[146:147], v[144:145], v[146:147]
	v_add_f64 v[133:134], v[144:145], v[133:134]
	s_delay_alu instid0(VALU_DEP_2) | instskip(NEXT) | instid1(VALU_DEP_2)
	v_add_f64 v[150:151], v[148:149], v[146:147]
	v_add_f64 v[164:165], v[162:163], v[133:134]
	s_delay_alu instid0(VALU_DEP_2) | instskip(SKIP_1) | instid1(VALU_DEP_2)
	v_rcp_f64_e32 v[160:161], v[150:151]
	v_add_f64 v[148:149], v[150:151], -v[148:149]
	v_add_f64 v[162:163], v[164:165], -v[162:163]
	s_delay_alu instid0(VALU_DEP_2) | instskip(SKIP_3) | instid1(VALU_DEP_2)
	v_add_f64 v[146:147], v[146:147], -v[148:149]
	s_waitcnt_depctr 0xfff
	v_fma_f64 v[166:167], -v[150:151], v[160:161], 1.0
	v_add_f64 v[133:134], v[133:134], -v[162:163]
	v_fma_f64 v[160:161], v[166:167], v[160:161], v[160:161]
	s_delay_alu instid0(VALU_DEP_1) | instskip(NEXT) | instid1(VALU_DEP_1)
	v_fma_f64 v[144:145], -v[150:151], v[160:161], 1.0
	v_fma_f64 v[144:145], v[144:145], v[160:161], v[160:161]
	s_delay_alu instid0(VALU_DEP_1) | instskip(NEXT) | instid1(VALU_DEP_1)
	v_mul_f64 v[160:161], v[164:165], v[144:145]
	v_mul_f64 v[166:167], v[150:151], v[160:161]
	s_delay_alu instid0(VALU_DEP_1) | instskip(NEXT) | instid1(VALU_DEP_1)
	v_fma_f64 v[148:149], v[160:161], v[150:151], -v[166:167]
	v_fma_f64 v[148:149], v[160:161], v[146:147], v[148:149]
	s_delay_alu instid0(VALU_DEP_1) | instskip(NEXT) | instid1(VALU_DEP_1)
	v_add_f64 v[176:177], v[166:167], v[148:149]
	v_add_f64 v[212:213], v[164:165], -v[176:177]
	v_add_f64 v[162:163], v[176:177], -v[166:167]
	s_delay_alu instid0(VALU_DEP_2) | instskip(NEXT) | instid1(VALU_DEP_2)
	v_add_f64 v[164:165], v[164:165], -v[212:213]
	v_add_f64 v[148:149], v[162:163], -v[148:149]
	s_delay_alu instid0(VALU_DEP_2) | instskip(NEXT) | instid1(VALU_DEP_1)
	v_add_f64 v[164:165], v[164:165], -v[176:177]
	v_add_f64 v[133:134], v[133:134], v[164:165]
	s_delay_alu instid0(VALU_DEP_1) | instskip(NEXT) | instid1(VALU_DEP_1)
	v_add_f64 v[133:134], v[148:149], v[133:134]
	v_add_f64 v[148:149], v[212:213], v[133:134]
	s_delay_alu instid0(VALU_DEP_1) | instskip(SKIP_1) | instid1(VALU_DEP_2)
	v_mul_f64 v[162:163], v[144:145], v[148:149]
	v_add_f64 v[176:177], v[212:213], -v[148:149]
	v_mul_f64 v[164:165], v[150:151], v[162:163]
	s_delay_alu instid0(VALU_DEP_2) | instskip(NEXT) | instid1(VALU_DEP_2)
	v_add_f64 v[133:134], v[133:134], v[176:177]
	v_fma_f64 v[150:151], v[162:163], v[150:151], -v[164:165]
	s_delay_alu instid0(VALU_DEP_1) | instskip(NEXT) | instid1(VALU_DEP_1)
	v_fma_f64 v[146:147], v[162:163], v[146:147], v[150:151]
	v_add_f64 v[150:151], v[164:165], v[146:147]
	s_delay_alu instid0(VALU_DEP_1) | instskip(SKIP_1) | instid1(VALU_DEP_2)
	v_add_f64 v[166:167], v[148:149], -v[150:151]
	v_add_f64 v[164:165], v[150:151], -v[164:165]
	v_add_f64 v[148:149], v[148:149], -v[166:167]
	s_delay_alu instid0(VALU_DEP_2) | instskip(NEXT) | instid1(VALU_DEP_2)
	v_add_f64 v[146:147], v[164:165], -v[146:147]
	v_add_f64 v[148:149], v[148:149], -v[150:151]
	s_delay_alu instid0(VALU_DEP_1) | instskip(SKIP_1) | instid1(VALU_DEP_2)
	v_add_f64 v[133:134], v[133:134], v[148:149]
	v_add_f64 v[148:149], v[160:161], v[162:163]
	;; [unrolled: 1-line block ×3, first 2 shown]
	s_delay_alu instid0(VALU_DEP_2) | instskip(NEXT) | instid1(VALU_DEP_2)
	v_add_f64 v[146:147], v[148:149], -v[160:161]
	v_add_f64 v[133:134], v[166:167], v[133:134]
	s_delay_alu instid0(VALU_DEP_2) | instskip(NEXT) | instid1(VALU_DEP_2)
	v_add_f64 v[146:147], v[162:163], -v[146:147]
	v_mul_f64 v[133:134], v[144:145], v[133:134]
	s_delay_alu instid0(VALU_DEP_1) | instskip(NEXT) | instid1(VALU_DEP_1)
	v_add_f64 v[133:134], v[146:147], v[133:134]
	v_add_f64 v[144:145], v[148:149], v[133:134]
	s_delay_alu instid0(VALU_DEP_1) | instskip(NEXT) | instid1(VALU_DEP_1)
	v_mul_f64 v[146:147], v[144:145], v[144:145]
	v_fma_f64 v[150:151], v[146:147], s[24:25], s[22:23]
	s_mov_b32 s22, 0xd7f4df2e
	s_mov_b32 s23, 0x3fc7474d
	v_mul_f64 v[160:161], v[144:145], v[146:147]
	s_delay_alu instid0(VALU_DEP_2)
	v_fma_f64 v[150:151], v[146:147], v[150:151], s[22:23]
	s_mov_b32 s22, 0x16291751
	s_mov_b32 s23, 0x3fcc71c0
	s_delay_alu instid0(VALU_DEP_1) | instid1(SALU_CYCLE_1)
	v_fma_f64 v[150:151], v[146:147], v[150:151], s[22:23]
	s_mov_b32 s22, 0x9b27acf1
	s_mov_b32 s23, 0x3fd24924
	s_delay_alu instid0(VALU_DEP_1) | instid1(SALU_CYCLE_1)
	;; [unrolled: 4-line block ×3, first 2 shown]
	v_fma_f64 v[150:151], v[146:147], v[150:151], s[22:23]
	s_delay_alu instid0(VALU_DEP_1) | instskip(SKIP_2) | instid1(VALU_DEP_3)
	v_fma_f64 v[146:147], v[146:147], v[150:151], s[18:19]
	v_ldexp_f64 v[150:151], v[144:145], 1
	v_add_f64 v[144:145], v[144:145], -v[148:149]
	v_mul_f64 v[146:147], v[160:161], v[146:147]
	v_cvt_f64_i32_e32 v[160:161], v214
	s_delay_alu instid0(VALU_DEP_3) | instskip(NEXT) | instid1(VALU_DEP_3)
	v_add_f64 v[133:134], v[133:134], -v[144:145]
	v_add_f64 v[148:149], v[150:151], v[146:147]
	s_delay_alu instid0(VALU_DEP_3) | instskip(NEXT) | instid1(VALU_DEP_3)
	v_mul_f64 v[162:163], v[160:161], s[4:5]
	v_ldexp_f64 v[133:134], v[133:134], 1
	s_delay_alu instid0(VALU_DEP_3) | instskip(NEXT) | instid1(VALU_DEP_3)
	v_add_f64 v[144:145], v[148:149], -v[150:151]
	v_fma_f64 v[150:151], v[160:161], s[4:5], -v[162:163]
	s_delay_alu instid0(VALU_DEP_2) | instskip(NEXT) | instid1(VALU_DEP_2)
	v_add_f64 v[144:145], v[146:147], -v[144:145]
	v_fma_f64 v[146:147], v[160:161], s[6:7], v[150:151]
	s_delay_alu instid0(VALU_DEP_2) | instskip(NEXT) | instid1(VALU_DEP_2)
	v_add_f64 v[133:134], v[133:134], v[144:145]
	v_add_f64 v[144:145], v[162:163], v[146:147]
	s_delay_alu instid0(VALU_DEP_2) | instskip(NEXT) | instid1(VALU_DEP_2)
	v_add_f64 v[150:151], v[148:149], v[133:134]
	v_add_f64 v[162:163], v[144:145], -v[162:163]
	s_delay_alu instid0(VALU_DEP_2) | instskip(SKIP_1) | instid1(VALU_DEP_3)
	v_add_f64 v[160:161], v[144:145], v[150:151]
	v_add_f64 v[148:149], v[150:151], -v[148:149]
	v_add_f64 v[146:147], v[146:147], -v[162:163]
	s_delay_alu instid0(VALU_DEP_3) | instskip(NEXT) | instid1(VALU_DEP_3)
	v_add_f64 v[164:165], v[160:161], -v[144:145]
	v_add_f64 v[133:134], v[133:134], -v[148:149]
	s_delay_alu instid0(VALU_DEP_2) | instskip(SKIP_1) | instid1(VALU_DEP_3)
	v_add_f64 v[166:167], v[160:161], -v[164:165]
	v_add_f64 v[148:149], v[150:151], -v[164:165]
	v_add_f64 v[150:151], v[146:147], v[133:134]
	s_delay_alu instid0(VALU_DEP_3) | instskip(NEXT) | instid1(VALU_DEP_1)
	v_add_f64 v[144:145], v[144:145], -v[166:167]
	v_add_f64 v[144:145], v[148:149], v[144:145]
	s_delay_alu instid0(VALU_DEP_3) | instskip(NEXT) | instid1(VALU_DEP_2)
	v_add_f64 v[148:149], v[150:151], -v[146:147]
	v_add_f64 v[144:145], v[150:151], v[144:145]
	s_delay_alu instid0(VALU_DEP_2) | instskip(SKIP_1) | instid1(VALU_DEP_3)
	v_add_f64 v[150:151], v[150:151], -v[148:149]
	v_add_f64 v[133:134], v[133:134], -v[148:149]
	v_add_f64 v[162:163], v[160:161], v[144:145]
	s_delay_alu instid0(VALU_DEP_3) | instskip(NEXT) | instid1(VALU_DEP_2)
	v_add_f64 v[146:147], v[146:147], -v[150:151]
	v_add_f64 v[148:149], v[162:163], -v[160:161]
	s_delay_alu instid0(VALU_DEP_2) | instskip(NEXT) | instid1(VALU_DEP_2)
	v_add_f64 v[133:134], v[133:134], v[146:147]
	v_add_f64 v[144:145], v[144:145], -v[148:149]
	s_delay_alu instid0(VALU_DEP_1) | instskip(NEXT) | instid1(VALU_DEP_1)
	v_add_f64 v[133:134], v[133:134], v[144:145]
	v_add_f64 v[133:134], v[162:163], v[133:134]
	s_delay_alu instid0(VALU_DEP_1) | instskip(SKIP_1) | instid1(VALU_DEP_2)
	v_dual_cndmask_b32 v133, v133, v14 :: v_dual_cndmask_b32 v134, v134, v15
	v_cmp_ngt_f64_e32 vcc_lo, -1.0, v[14:15]
	v_cndmask_b32_e32 v134, 0x7ff80000, v134, vcc_lo
	v_cmp_nge_f64_e32 vcc_lo, -1.0, v[14:15]
	s_delay_alu instid0(VALU_DEP_4) | instskip(SKIP_1) | instid1(VALU_DEP_4)
	v_cndmask_b32_e32 v133, 0, v133, vcc_lo
	v_cmp_neq_f64_e32 vcc_lo, -1.0, v[14:15]
	v_cndmask_b32_e32 v134, 0xfff00000, v134, vcc_lo
	s_delay_alu instid0(VALU_DEP_1)
	v_add_f64 v[14:15], v[16:17], v[133:134]
.LBB76_235:
	s_or_b32 exec_lo, exec_lo, s20
	s_delay_alu instid0(VALU_DEP_1) | instskip(SKIP_1) | instid1(VALU_DEP_2)
	v_max_f64 v[16:17], v[14:15], v[14:15]
	v_cmp_u_f64_e32 vcc_lo, v[14:15], v[14:15]
	v_min_f64 v[133:134], v[16:17], v[18:19]
	v_max_f64 v[16:17], v[16:17], v[18:19]
	s_delay_alu instid0(VALU_DEP_2) | instskip(NEXT) | instid1(VALU_DEP_2)
	v_dual_cndmask_b32 v18, v133, v14 :: v_dual_cndmask_b32 v19, v134, v15
	v_dual_cndmask_b32 v17, v17, v15 :: v_dual_cndmask_b32 v16, v16, v14
	s_delay_alu instid0(VALU_DEP_2) | instskip(NEXT) | instid1(VALU_DEP_3)
	v_cndmask_b32_e64 v133, v18, v96, s8
	v_cndmask_b32_e64 v134, v19, v97, s8
	s_delay_alu instid0(VALU_DEP_3) | instskip(NEXT) | instid1(VALU_DEP_4)
	v_cndmask_b32_e64 v19, v17, v97, s8
	v_cndmask_b32_e64 v18, v16, v96, s8
	v_dual_mov_b32 v17, v15 :: v_dual_mov_b32 v16, v14
	s_delay_alu instid0(VALU_DEP_4) | instskip(NEXT) | instid1(VALU_DEP_3)
	v_cmp_class_f64_e64 s3, v[133:134], 0x1f8
	v_cmp_neq_f64_e32 vcc_lo, v[133:134], v[18:19]
	s_delay_alu instid0(VALU_DEP_2) | instskip(NEXT) | instid1(SALU_CYCLE_1)
	s_or_b32 s3, vcc_lo, s3
	s_and_saveexec_b32 s8, s3
	s_cbranch_execz .LBB76_237
; %bb.236:
	v_add_f64 v[16:17], v[133:134], -v[18:19]
	s_mov_b32 s4, 0x652b82fe
	s_mov_b32 s5, 0x3ff71547
	;; [unrolled: 1-line block ×10, first 2 shown]
	s_delay_alu instid0(VALU_DEP_1) | instskip(SKIP_4) | instid1(VALU_DEP_3)
	v_mul_f64 v[133:134], v[16:17], s[4:5]
	s_mov_b32 s5, 0xbfe62e42
	s_mov_b32 s4, 0xfefa39ef
	v_cmp_nlt_f64_e32 vcc_lo, 0x40900000, v[16:17]
	v_cmp_ngt_f64_e64 s3, 0xc090cc00, v[16:17]
	v_rndne_f64_e32 v[133:134], v[133:134]
	s_delay_alu instid0(VALU_DEP_1) | instskip(SKIP_2) | instid1(VALU_DEP_2)
	v_fma_f64 v[144:145], v[133:134], s[4:5], v[16:17]
	v_cvt_i32_f64_e32 v148, v[133:134]
	s_mov_b32 s5, 0x3fe62e42
	v_fma_f64 v[144:145], v[133:134], s[6:7], v[144:145]
	s_mov_b32 s7, 0x3c7abc9e
	s_delay_alu instid0(VALU_DEP_1) | instskip(SKIP_4) | instid1(VALU_DEP_1)
	v_fma_f64 v[146:147], v[144:145], s[20:21], s[18:19]
	s_mov_b32 s18, 0x623fde64
	s_mov_b32 s19, 0x3ec71dee
	;; [unrolled: 1-line block ×4, first 2 shown]
	v_fma_f64 v[146:147], v[144:145], v[146:147], s[18:19]
	s_mov_b32 s18, 0x7c89e6b0
	s_mov_b32 s19, 0x3efa0199
	s_delay_alu instid0(VALU_DEP_1) | instid1(SALU_CYCLE_1)
	v_fma_f64 v[146:147], v[144:145], v[146:147], s[18:19]
	s_mov_b32 s18, 0x14761f6e
	s_mov_b32 s19, 0x3f2a01a0
	s_delay_alu instid0(VALU_DEP_1) | instid1(SALU_CYCLE_1)
	;; [unrolled: 4-line block ×7, first 2 shown]
	v_fma_f64 v[146:147], v[144:145], v[146:147], s[18:19]
	s_mov_b32 s19, 0x3fe55555
	s_mov_b32 s18, 0x55555555
	s_delay_alu instid0(VALU_DEP_1) | instskip(NEXT) | instid1(VALU_DEP_1)
	v_fma_f64 v[146:147], v[144:145], v[146:147], 1.0
	v_fma_f64 v[133:134], v[144:145], v[146:147], 1.0
	s_delay_alu instid0(VALU_DEP_1) | instskip(NEXT) | instid1(VALU_DEP_1)
	v_ldexp_f64 v[133:134], v[133:134], v148
	v_cndmask_b32_e32 v134, 0x7ff00000, v134, vcc_lo
	s_and_b32 vcc_lo, s3, vcc_lo
	s_delay_alu instid0(VALU_DEP_2) | instskip(NEXT) | instid1(VALU_DEP_2)
	v_cndmask_b32_e32 v16, 0, v133, vcc_lo
	v_cndmask_b32_e64 v17, 0, v134, s3
	s_delay_alu instid0(VALU_DEP_1) | instskip(NEXT) | instid1(VALU_DEP_1)
	v_add_f64 v[133:134], v[16:17], 1.0
	v_frexp_mant_f64_e32 v[144:145], v[133:134]
	v_frexp_exp_i32_f64_e32 v148, v[133:134]
	v_add_f64 v[146:147], v[133:134], -1.0
	s_delay_alu instid0(VALU_DEP_3) | instskip(SKIP_1) | instid1(VALU_DEP_2)
	v_cmp_gt_f64_e32 vcc_lo, s[18:19], v[144:145]
	s_mov_b32 s18, 0x55555780
	v_add_f64 v[144:145], v[146:147], -v[133:134]
	v_add_f64 v[146:147], v[16:17], -v[146:147]
	v_subrev_co_ci_u32_e32 v214, vcc_lo, 0, v148, vcc_lo
	s_delay_alu instid0(VALU_DEP_3) | instskip(SKIP_1) | instid1(VALU_DEP_3)
	v_add_f64 v[144:145], v[144:145], 1.0
	v_cmp_eq_f64_e32 vcc_lo, 0x7ff00000, v[16:17]
	v_sub_nc_u32_e32 v150, 0, v214
	s_delay_alu instid0(VALU_DEP_1) | instskip(NEXT) | instid1(VALU_DEP_4)
	v_ldexp_f64 v[133:134], v[133:134], v150
	v_add_f64 v[144:145], v[146:147], v[144:145]
	s_delay_alu instid0(VALU_DEP_2) | instskip(SKIP_1) | instid1(VALU_DEP_3)
	v_add_f64 v[148:149], v[133:134], 1.0
	v_add_f64 v[162:163], v[133:134], -1.0
	v_ldexp_f64 v[144:145], v[144:145], v150
	s_delay_alu instid0(VALU_DEP_3) | instskip(NEXT) | instid1(VALU_DEP_3)
	v_add_f64 v[146:147], v[148:149], -1.0
	v_add_f64 v[164:165], v[162:163], 1.0
	s_delay_alu instid0(VALU_DEP_2) | instskip(NEXT) | instid1(VALU_DEP_2)
	v_add_f64 v[146:147], v[133:134], -v[146:147]
	v_add_f64 v[133:134], v[133:134], -v[164:165]
	s_delay_alu instid0(VALU_DEP_2) | instskip(NEXT) | instid1(VALU_DEP_2)
	v_add_f64 v[146:147], v[144:145], v[146:147]
	v_add_f64 v[133:134], v[144:145], v[133:134]
	s_delay_alu instid0(VALU_DEP_2) | instskip(NEXT) | instid1(VALU_DEP_2)
	v_add_f64 v[150:151], v[148:149], v[146:147]
	v_add_f64 v[164:165], v[162:163], v[133:134]
	s_delay_alu instid0(VALU_DEP_2) | instskip(SKIP_1) | instid1(VALU_DEP_2)
	v_rcp_f64_e32 v[160:161], v[150:151]
	v_add_f64 v[148:149], v[150:151], -v[148:149]
	v_add_f64 v[162:163], v[164:165], -v[162:163]
	s_delay_alu instid0(VALU_DEP_2) | instskip(SKIP_3) | instid1(VALU_DEP_2)
	v_add_f64 v[146:147], v[146:147], -v[148:149]
	s_waitcnt_depctr 0xfff
	v_fma_f64 v[166:167], -v[150:151], v[160:161], 1.0
	v_add_f64 v[133:134], v[133:134], -v[162:163]
	v_fma_f64 v[160:161], v[166:167], v[160:161], v[160:161]
	s_delay_alu instid0(VALU_DEP_1) | instskip(NEXT) | instid1(VALU_DEP_1)
	v_fma_f64 v[144:145], -v[150:151], v[160:161], 1.0
	v_fma_f64 v[144:145], v[144:145], v[160:161], v[160:161]
	s_delay_alu instid0(VALU_DEP_1) | instskip(NEXT) | instid1(VALU_DEP_1)
	v_mul_f64 v[160:161], v[164:165], v[144:145]
	v_mul_f64 v[166:167], v[150:151], v[160:161]
	s_delay_alu instid0(VALU_DEP_1) | instskip(NEXT) | instid1(VALU_DEP_1)
	v_fma_f64 v[148:149], v[160:161], v[150:151], -v[166:167]
	v_fma_f64 v[148:149], v[160:161], v[146:147], v[148:149]
	s_delay_alu instid0(VALU_DEP_1) | instskip(NEXT) | instid1(VALU_DEP_1)
	v_add_f64 v[176:177], v[166:167], v[148:149]
	v_add_f64 v[212:213], v[164:165], -v[176:177]
	v_add_f64 v[162:163], v[176:177], -v[166:167]
	s_delay_alu instid0(VALU_DEP_2) | instskip(NEXT) | instid1(VALU_DEP_2)
	v_add_f64 v[164:165], v[164:165], -v[212:213]
	v_add_f64 v[148:149], v[162:163], -v[148:149]
	s_delay_alu instid0(VALU_DEP_2) | instskip(NEXT) | instid1(VALU_DEP_1)
	v_add_f64 v[164:165], v[164:165], -v[176:177]
	v_add_f64 v[133:134], v[133:134], v[164:165]
	s_delay_alu instid0(VALU_DEP_1) | instskip(NEXT) | instid1(VALU_DEP_1)
	v_add_f64 v[133:134], v[148:149], v[133:134]
	v_add_f64 v[148:149], v[212:213], v[133:134]
	s_delay_alu instid0(VALU_DEP_1) | instskip(SKIP_1) | instid1(VALU_DEP_2)
	v_mul_f64 v[162:163], v[144:145], v[148:149]
	v_add_f64 v[176:177], v[212:213], -v[148:149]
	v_mul_f64 v[164:165], v[150:151], v[162:163]
	s_delay_alu instid0(VALU_DEP_2) | instskip(NEXT) | instid1(VALU_DEP_2)
	v_add_f64 v[133:134], v[133:134], v[176:177]
	v_fma_f64 v[150:151], v[162:163], v[150:151], -v[164:165]
	s_delay_alu instid0(VALU_DEP_1) | instskip(NEXT) | instid1(VALU_DEP_1)
	v_fma_f64 v[146:147], v[162:163], v[146:147], v[150:151]
	v_add_f64 v[150:151], v[164:165], v[146:147]
	s_delay_alu instid0(VALU_DEP_1) | instskip(SKIP_1) | instid1(VALU_DEP_2)
	v_add_f64 v[166:167], v[148:149], -v[150:151]
	v_add_f64 v[164:165], v[150:151], -v[164:165]
	;; [unrolled: 1-line block ×3, first 2 shown]
	s_delay_alu instid0(VALU_DEP_2) | instskip(NEXT) | instid1(VALU_DEP_2)
	v_add_f64 v[146:147], v[164:165], -v[146:147]
	v_add_f64 v[148:149], v[148:149], -v[150:151]
	s_delay_alu instid0(VALU_DEP_1) | instskip(SKIP_1) | instid1(VALU_DEP_2)
	v_add_f64 v[133:134], v[133:134], v[148:149]
	v_add_f64 v[148:149], v[160:161], v[162:163]
	;; [unrolled: 1-line block ×3, first 2 shown]
	s_delay_alu instid0(VALU_DEP_2) | instskip(NEXT) | instid1(VALU_DEP_2)
	v_add_f64 v[146:147], v[148:149], -v[160:161]
	v_add_f64 v[133:134], v[166:167], v[133:134]
	s_delay_alu instid0(VALU_DEP_2) | instskip(NEXT) | instid1(VALU_DEP_2)
	v_add_f64 v[146:147], v[162:163], -v[146:147]
	v_mul_f64 v[133:134], v[144:145], v[133:134]
	s_delay_alu instid0(VALU_DEP_1) | instskip(NEXT) | instid1(VALU_DEP_1)
	v_add_f64 v[133:134], v[146:147], v[133:134]
	v_add_f64 v[144:145], v[148:149], v[133:134]
	s_delay_alu instid0(VALU_DEP_1) | instskip(NEXT) | instid1(VALU_DEP_1)
	v_mul_f64 v[146:147], v[144:145], v[144:145]
	v_fma_f64 v[150:151], v[146:147], s[22:23], s[20:21]
	s_mov_b32 s20, 0xd7f4df2e
	s_mov_b32 s21, 0x3fc7474d
	v_mul_f64 v[160:161], v[144:145], v[146:147]
	s_delay_alu instid0(VALU_DEP_2)
	v_fma_f64 v[150:151], v[146:147], v[150:151], s[20:21]
	s_mov_b32 s20, 0x16291751
	s_mov_b32 s21, 0x3fcc71c0
	s_delay_alu instid0(VALU_DEP_1) | instid1(SALU_CYCLE_1)
	v_fma_f64 v[150:151], v[146:147], v[150:151], s[20:21]
	s_mov_b32 s20, 0x9b27acf1
	s_mov_b32 s21, 0x3fd24924
	s_delay_alu instid0(VALU_DEP_1) | instid1(SALU_CYCLE_1)
	;; [unrolled: 4-line block ×3, first 2 shown]
	v_fma_f64 v[150:151], v[146:147], v[150:151], s[20:21]
	s_delay_alu instid0(VALU_DEP_1) | instskip(SKIP_2) | instid1(VALU_DEP_3)
	v_fma_f64 v[146:147], v[146:147], v[150:151], s[18:19]
	v_ldexp_f64 v[150:151], v[144:145], 1
	v_add_f64 v[144:145], v[144:145], -v[148:149]
	v_mul_f64 v[146:147], v[160:161], v[146:147]
	v_cvt_f64_i32_e32 v[160:161], v214
	s_delay_alu instid0(VALU_DEP_3) | instskip(NEXT) | instid1(VALU_DEP_3)
	v_add_f64 v[133:134], v[133:134], -v[144:145]
	v_add_f64 v[148:149], v[150:151], v[146:147]
	s_delay_alu instid0(VALU_DEP_3) | instskip(NEXT) | instid1(VALU_DEP_3)
	v_mul_f64 v[162:163], v[160:161], s[4:5]
	v_ldexp_f64 v[133:134], v[133:134], 1
	s_delay_alu instid0(VALU_DEP_3) | instskip(NEXT) | instid1(VALU_DEP_3)
	v_add_f64 v[144:145], v[148:149], -v[150:151]
	v_fma_f64 v[150:151], v[160:161], s[4:5], -v[162:163]
	s_delay_alu instid0(VALU_DEP_2) | instskip(NEXT) | instid1(VALU_DEP_2)
	v_add_f64 v[144:145], v[146:147], -v[144:145]
	v_fma_f64 v[146:147], v[160:161], s[6:7], v[150:151]
	s_delay_alu instid0(VALU_DEP_2) | instskip(NEXT) | instid1(VALU_DEP_2)
	v_add_f64 v[133:134], v[133:134], v[144:145]
	v_add_f64 v[144:145], v[162:163], v[146:147]
	s_delay_alu instid0(VALU_DEP_2) | instskip(NEXT) | instid1(VALU_DEP_2)
	v_add_f64 v[150:151], v[148:149], v[133:134]
	v_add_f64 v[162:163], v[144:145], -v[162:163]
	s_delay_alu instid0(VALU_DEP_2) | instskip(SKIP_1) | instid1(VALU_DEP_3)
	v_add_f64 v[160:161], v[144:145], v[150:151]
	v_add_f64 v[148:149], v[150:151], -v[148:149]
	v_add_f64 v[146:147], v[146:147], -v[162:163]
	s_delay_alu instid0(VALU_DEP_3) | instskip(NEXT) | instid1(VALU_DEP_3)
	v_add_f64 v[164:165], v[160:161], -v[144:145]
	v_add_f64 v[133:134], v[133:134], -v[148:149]
	s_delay_alu instid0(VALU_DEP_2) | instskip(SKIP_1) | instid1(VALU_DEP_3)
	v_add_f64 v[166:167], v[160:161], -v[164:165]
	v_add_f64 v[148:149], v[150:151], -v[164:165]
	v_add_f64 v[150:151], v[146:147], v[133:134]
	s_delay_alu instid0(VALU_DEP_3) | instskip(NEXT) | instid1(VALU_DEP_1)
	v_add_f64 v[144:145], v[144:145], -v[166:167]
	v_add_f64 v[144:145], v[148:149], v[144:145]
	s_delay_alu instid0(VALU_DEP_3) | instskip(NEXT) | instid1(VALU_DEP_2)
	v_add_f64 v[148:149], v[150:151], -v[146:147]
	v_add_f64 v[144:145], v[150:151], v[144:145]
	s_delay_alu instid0(VALU_DEP_2) | instskip(SKIP_1) | instid1(VALU_DEP_3)
	v_add_f64 v[150:151], v[150:151], -v[148:149]
	v_add_f64 v[133:134], v[133:134], -v[148:149]
	v_add_f64 v[162:163], v[160:161], v[144:145]
	s_delay_alu instid0(VALU_DEP_3) | instskip(NEXT) | instid1(VALU_DEP_2)
	v_add_f64 v[146:147], v[146:147], -v[150:151]
	v_add_f64 v[148:149], v[162:163], -v[160:161]
	s_delay_alu instid0(VALU_DEP_2) | instskip(NEXT) | instid1(VALU_DEP_2)
	v_add_f64 v[133:134], v[133:134], v[146:147]
	v_add_f64 v[144:145], v[144:145], -v[148:149]
	s_delay_alu instid0(VALU_DEP_1) | instskip(NEXT) | instid1(VALU_DEP_1)
	v_add_f64 v[133:134], v[133:134], v[144:145]
	v_add_f64 v[133:134], v[162:163], v[133:134]
	s_delay_alu instid0(VALU_DEP_1) | instskip(SKIP_1) | instid1(VALU_DEP_2)
	v_dual_cndmask_b32 v133, v133, v16 :: v_dual_cndmask_b32 v134, v134, v17
	v_cmp_ngt_f64_e32 vcc_lo, -1.0, v[16:17]
	v_cndmask_b32_e32 v134, 0x7ff80000, v134, vcc_lo
	v_cmp_nge_f64_e32 vcc_lo, -1.0, v[16:17]
	s_delay_alu instid0(VALU_DEP_4) | instskip(SKIP_1) | instid1(VALU_DEP_4)
	v_cndmask_b32_e32 v133, 0, v133, vcc_lo
	v_cmp_neq_f64_e32 vcc_lo, -1.0, v[16:17]
	v_cndmask_b32_e32 v134, 0xfff00000, v134, vcc_lo
	s_delay_alu instid0(VALU_DEP_1)
	v_add_f64 v[16:17], v[18:19], v[133:134]
.LBB76_237:
	s_or_b32 exec_lo, exec_lo, s8
	s_delay_alu instid0(VALU_DEP_1) | instskip(SKIP_1) | instid1(VALU_DEP_2)
	v_max_f64 v[18:19], v[16:17], v[16:17]
	v_cmp_u_f64_e32 vcc_lo, v[16:17], v[16:17]
	v_min_f64 v[133:134], v[18:19], v[20:21]
	v_max_f64 v[18:19], v[18:19], v[20:21]
	s_delay_alu instid0(VALU_DEP_2) | instskip(NEXT) | instid1(VALU_DEP_2)
	v_dual_cndmask_b32 v20, v133, v16 :: v_dual_cndmask_b32 v21, v134, v17
	v_dual_cndmask_b32 v19, v19, v17 :: v_dual_cndmask_b32 v18, v18, v16
	s_delay_alu instid0(VALU_DEP_2) | instskip(NEXT) | instid1(VALU_DEP_3)
	v_cndmask_b32_e64 v133, v20, v98, s9
	v_cndmask_b32_e64 v134, v21, v99, s9
	s_delay_alu instid0(VALU_DEP_3) | instskip(NEXT) | instid1(VALU_DEP_4)
	v_cndmask_b32_e64 v21, v19, v99, s9
	v_cndmask_b32_e64 v20, v18, v98, s9
	v_dual_mov_b32 v19, v17 :: v_dual_mov_b32 v18, v16
	s_delay_alu instid0(VALU_DEP_4) | instskip(NEXT) | instid1(VALU_DEP_3)
	v_cmp_class_f64_e64 s3, v[133:134], 0x1f8
	v_cmp_neq_f64_e32 vcc_lo, v[133:134], v[20:21]
	s_delay_alu instid0(VALU_DEP_2) | instskip(NEXT) | instid1(SALU_CYCLE_1)
	s_or_b32 s3, vcc_lo, s3
	s_and_saveexec_b32 s18, s3
	s_cbranch_execz .LBB76_239
; %bb.238:
	v_add_f64 v[18:19], v[133:134], -v[20:21]
	s_mov_b32 s4, 0x652b82fe
	s_mov_b32 s5, 0x3ff71547
	s_mov_b32 s7, 0xbc7abc9e
	s_mov_b32 s6, 0x3b39803f
	s_mov_b32 s8, 0xfca7ab0c
	s_mov_b32 s20, 0x6a5dcb37
	s_mov_b32 s9, 0x3e928af3
	s_mov_b32 s21, 0x3e5ade15
	s_mov_b32 s22, 0xbf559e2b
	s_mov_b32 s23, 0x3fc3ab76
	s_delay_alu instid0(VALU_DEP_1) | instskip(SKIP_4) | instid1(VALU_DEP_3)
	v_mul_f64 v[133:134], v[18:19], s[4:5]
	s_mov_b32 s5, 0xbfe62e42
	s_mov_b32 s4, 0xfefa39ef
	v_cmp_nlt_f64_e32 vcc_lo, 0x40900000, v[18:19]
	v_cmp_ngt_f64_e64 s3, 0xc090cc00, v[18:19]
	v_rndne_f64_e32 v[133:134], v[133:134]
	s_delay_alu instid0(VALU_DEP_1) | instskip(SKIP_2) | instid1(VALU_DEP_2)
	v_fma_f64 v[144:145], v[133:134], s[4:5], v[18:19]
	v_cvt_i32_f64_e32 v148, v[133:134]
	s_mov_b32 s5, 0x3fe62e42
	v_fma_f64 v[144:145], v[133:134], s[6:7], v[144:145]
	s_mov_b32 s7, 0x3c7abc9e
	s_delay_alu instid0(VALU_DEP_1) | instskip(SKIP_4) | instid1(VALU_DEP_1)
	v_fma_f64 v[146:147], v[144:145], s[20:21], s[8:9]
	s_mov_b32 s8, 0x623fde64
	s_mov_b32 s9, 0x3ec71dee
	;; [unrolled: 1-line block ×4, first 2 shown]
	v_fma_f64 v[146:147], v[144:145], v[146:147], s[8:9]
	s_mov_b32 s8, 0x7c89e6b0
	s_mov_b32 s9, 0x3efa0199
	s_delay_alu instid0(VALU_DEP_1) | instid1(SALU_CYCLE_1)
	v_fma_f64 v[146:147], v[144:145], v[146:147], s[8:9]
	s_mov_b32 s8, 0x14761f6e
	s_mov_b32 s9, 0x3f2a01a0
	s_delay_alu instid0(VALU_DEP_1) | instid1(SALU_CYCLE_1)
	;; [unrolled: 4-line block ×7, first 2 shown]
	v_fma_f64 v[146:147], v[144:145], v[146:147], s[8:9]
	s_mov_b32 s9, 0x3fe55555
	s_mov_b32 s8, 0x55555555
	s_delay_alu instid0(VALU_DEP_1) | instskip(NEXT) | instid1(VALU_DEP_1)
	v_fma_f64 v[146:147], v[144:145], v[146:147], 1.0
	v_fma_f64 v[133:134], v[144:145], v[146:147], 1.0
	s_delay_alu instid0(VALU_DEP_1) | instskip(NEXT) | instid1(VALU_DEP_1)
	v_ldexp_f64 v[133:134], v[133:134], v148
	v_cndmask_b32_e32 v134, 0x7ff00000, v134, vcc_lo
	s_and_b32 vcc_lo, s3, vcc_lo
	s_delay_alu instid0(VALU_DEP_2) | instskip(NEXT) | instid1(VALU_DEP_2)
	v_cndmask_b32_e32 v18, 0, v133, vcc_lo
	v_cndmask_b32_e64 v19, 0, v134, s3
	s_delay_alu instid0(VALU_DEP_1) | instskip(NEXT) | instid1(VALU_DEP_1)
	v_add_f64 v[133:134], v[18:19], 1.0
	v_frexp_mant_f64_e32 v[144:145], v[133:134]
	v_frexp_exp_i32_f64_e32 v148, v[133:134]
	v_add_f64 v[146:147], v[133:134], -1.0
	s_delay_alu instid0(VALU_DEP_3) | instskip(SKIP_1) | instid1(VALU_DEP_2)
	v_cmp_gt_f64_e32 vcc_lo, s[8:9], v[144:145]
	s_mov_b32 s8, 0x55555780
	v_add_f64 v[144:145], v[146:147], -v[133:134]
	v_add_f64 v[146:147], v[18:19], -v[146:147]
	v_subrev_co_ci_u32_e32 v214, vcc_lo, 0, v148, vcc_lo
	s_delay_alu instid0(VALU_DEP_3) | instskip(SKIP_1) | instid1(VALU_DEP_3)
	v_add_f64 v[144:145], v[144:145], 1.0
	v_cmp_eq_f64_e32 vcc_lo, 0x7ff00000, v[18:19]
	v_sub_nc_u32_e32 v150, 0, v214
	s_delay_alu instid0(VALU_DEP_1) | instskip(NEXT) | instid1(VALU_DEP_4)
	v_ldexp_f64 v[133:134], v[133:134], v150
	v_add_f64 v[144:145], v[146:147], v[144:145]
	s_delay_alu instid0(VALU_DEP_2) | instskip(SKIP_1) | instid1(VALU_DEP_3)
	v_add_f64 v[148:149], v[133:134], 1.0
	v_add_f64 v[162:163], v[133:134], -1.0
	v_ldexp_f64 v[144:145], v[144:145], v150
	s_delay_alu instid0(VALU_DEP_3) | instskip(NEXT) | instid1(VALU_DEP_3)
	v_add_f64 v[146:147], v[148:149], -1.0
	v_add_f64 v[164:165], v[162:163], 1.0
	s_delay_alu instid0(VALU_DEP_2) | instskip(NEXT) | instid1(VALU_DEP_2)
	v_add_f64 v[146:147], v[133:134], -v[146:147]
	v_add_f64 v[133:134], v[133:134], -v[164:165]
	s_delay_alu instid0(VALU_DEP_2) | instskip(NEXT) | instid1(VALU_DEP_2)
	v_add_f64 v[146:147], v[144:145], v[146:147]
	v_add_f64 v[133:134], v[144:145], v[133:134]
	s_delay_alu instid0(VALU_DEP_2) | instskip(NEXT) | instid1(VALU_DEP_2)
	v_add_f64 v[150:151], v[148:149], v[146:147]
	v_add_f64 v[164:165], v[162:163], v[133:134]
	s_delay_alu instid0(VALU_DEP_2) | instskip(SKIP_1) | instid1(VALU_DEP_2)
	v_rcp_f64_e32 v[160:161], v[150:151]
	v_add_f64 v[148:149], v[150:151], -v[148:149]
	v_add_f64 v[162:163], v[164:165], -v[162:163]
	s_delay_alu instid0(VALU_DEP_2) | instskip(SKIP_3) | instid1(VALU_DEP_2)
	v_add_f64 v[146:147], v[146:147], -v[148:149]
	s_waitcnt_depctr 0xfff
	v_fma_f64 v[166:167], -v[150:151], v[160:161], 1.0
	v_add_f64 v[133:134], v[133:134], -v[162:163]
	v_fma_f64 v[160:161], v[166:167], v[160:161], v[160:161]
	s_delay_alu instid0(VALU_DEP_1) | instskip(NEXT) | instid1(VALU_DEP_1)
	v_fma_f64 v[144:145], -v[150:151], v[160:161], 1.0
	v_fma_f64 v[144:145], v[144:145], v[160:161], v[160:161]
	s_delay_alu instid0(VALU_DEP_1) | instskip(NEXT) | instid1(VALU_DEP_1)
	v_mul_f64 v[160:161], v[164:165], v[144:145]
	v_mul_f64 v[166:167], v[150:151], v[160:161]
	s_delay_alu instid0(VALU_DEP_1) | instskip(NEXT) | instid1(VALU_DEP_1)
	v_fma_f64 v[148:149], v[160:161], v[150:151], -v[166:167]
	v_fma_f64 v[148:149], v[160:161], v[146:147], v[148:149]
	s_delay_alu instid0(VALU_DEP_1) | instskip(NEXT) | instid1(VALU_DEP_1)
	v_add_f64 v[176:177], v[166:167], v[148:149]
	v_add_f64 v[212:213], v[164:165], -v[176:177]
	v_add_f64 v[162:163], v[176:177], -v[166:167]
	s_delay_alu instid0(VALU_DEP_2) | instskip(NEXT) | instid1(VALU_DEP_2)
	v_add_f64 v[164:165], v[164:165], -v[212:213]
	v_add_f64 v[148:149], v[162:163], -v[148:149]
	s_delay_alu instid0(VALU_DEP_2) | instskip(NEXT) | instid1(VALU_DEP_1)
	v_add_f64 v[164:165], v[164:165], -v[176:177]
	v_add_f64 v[133:134], v[133:134], v[164:165]
	s_delay_alu instid0(VALU_DEP_1) | instskip(NEXT) | instid1(VALU_DEP_1)
	v_add_f64 v[133:134], v[148:149], v[133:134]
	v_add_f64 v[148:149], v[212:213], v[133:134]
	s_delay_alu instid0(VALU_DEP_1) | instskip(SKIP_1) | instid1(VALU_DEP_2)
	v_mul_f64 v[162:163], v[144:145], v[148:149]
	v_add_f64 v[176:177], v[212:213], -v[148:149]
	v_mul_f64 v[164:165], v[150:151], v[162:163]
	s_delay_alu instid0(VALU_DEP_2) | instskip(NEXT) | instid1(VALU_DEP_2)
	v_add_f64 v[133:134], v[133:134], v[176:177]
	v_fma_f64 v[150:151], v[162:163], v[150:151], -v[164:165]
	s_delay_alu instid0(VALU_DEP_1) | instskip(NEXT) | instid1(VALU_DEP_1)
	v_fma_f64 v[146:147], v[162:163], v[146:147], v[150:151]
	v_add_f64 v[150:151], v[164:165], v[146:147]
	s_delay_alu instid0(VALU_DEP_1) | instskip(SKIP_1) | instid1(VALU_DEP_2)
	v_add_f64 v[166:167], v[148:149], -v[150:151]
	v_add_f64 v[164:165], v[150:151], -v[164:165]
	;; [unrolled: 1-line block ×3, first 2 shown]
	s_delay_alu instid0(VALU_DEP_2) | instskip(NEXT) | instid1(VALU_DEP_2)
	v_add_f64 v[146:147], v[164:165], -v[146:147]
	v_add_f64 v[148:149], v[148:149], -v[150:151]
	s_delay_alu instid0(VALU_DEP_1) | instskip(SKIP_1) | instid1(VALU_DEP_2)
	v_add_f64 v[133:134], v[133:134], v[148:149]
	v_add_f64 v[148:149], v[160:161], v[162:163]
	;; [unrolled: 1-line block ×3, first 2 shown]
	s_delay_alu instid0(VALU_DEP_2) | instskip(NEXT) | instid1(VALU_DEP_2)
	v_add_f64 v[146:147], v[148:149], -v[160:161]
	v_add_f64 v[133:134], v[166:167], v[133:134]
	s_delay_alu instid0(VALU_DEP_2) | instskip(NEXT) | instid1(VALU_DEP_2)
	v_add_f64 v[146:147], v[162:163], -v[146:147]
	v_mul_f64 v[133:134], v[144:145], v[133:134]
	s_delay_alu instid0(VALU_DEP_1) | instskip(NEXT) | instid1(VALU_DEP_1)
	v_add_f64 v[133:134], v[146:147], v[133:134]
	v_add_f64 v[144:145], v[148:149], v[133:134]
	s_delay_alu instid0(VALU_DEP_1) | instskip(NEXT) | instid1(VALU_DEP_1)
	v_mul_f64 v[146:147], v[144:145], v[144:145]
	v_fma_f64 v[150:151], v[146:147], s[22:23], s[20:21]
	s_mov_b32 s20, 0xd7f4df2e
	s_mov_b32 s21, 0x3fc7474d
	v_mul_f64 v[160:161], v[144:145], v[146:147]
	s_delay_alu instid0(VALU_DEP_2)
	v_fma_f64 v[150:151], v[146:147], v[150:151], s[20:21]
	s_mov_b32 s20, 0x16291751
	s_mov_b32 s21, 0x3fcc71c0
	s_delay_alu instid0(VALU_DEP_1) | instid1(SALU_CYCLE_1)
	v_fma_f64 v[150:151], v[146:147], v[150:151], s[20:21]
	s_mov_b32 s20, 0x9b27acf1
	s_mov_b32 s21, 0x3fd24924
	s_delay_alu instid0(VALU_DEP_1) | instid1(SALU_CYCLE_1)
	;; [unrolled: 4-line block ×3, first 2 shown]
	v_fma_f64 v[150:151], v[146:147], v[150:151], s[20:21]
	s_delay_alu instid0(VALU_DEP_1) | instskip(SKIP_2) | instid1(VALU_DEP_3)
	v_fma_f64 v[146:147], v[146:147], v[150:151], s[8:9]
	v_ldexp_f64 v[150:151], v[144:145], 1
	v_add_f64 v[144:145], v[144:145], -v[148:149]
	v_mul_f64 v[146:147], v[160:161], v[146:147]
	v_cvt_f64_i32_e32 v[160:161], v214
	s_delay_alu instid0(VALU_DEP_3) | instskip(NEXT) | instid1(VALU_DEP_3)
	v_add_f64 v[133:134], v[133:134], -v[144:145]
	v_add_f64 v[148:149], v[150:151], v[146:147]
	s_delay_alu instid0(VALU_DEP_3) | instskip(NEXT) | instid1(VALU_DEP_3)
	v_mul_f64 v[162:163], v[160:161], s[4:5]
	v_ldexp_f64 v[133:134], v[133:134], 1
	s_delay_alu instid0(VALU_DEP_3) | instskip(NEXT) | instid1(VALU_DEP_3)
	v_add_f64 v[144:145], v[148:149], -v[150:151]
	v_fma_f64 v[150:151], v[160:161], s[4:5], -v[162:163]
	s_delay_alu instid0(VALU_DEP_2) | instskip(NEXT) | instid1(VALU_DEP_2)
	v_add_f64 v[144:145], v[146:147], -v[144:145]
	v_fma_f64 v[146:147], v[160:161], s[6:7], v[150:151]
	s_delay_alu instid0(VALU_DEP_2) | instskip(NEXT) | instid1(VALU_DEP_2)
	v_add_f64 v[133:134], v[133:134], v[144:145]
	v_add_f64 v[144:145], v[162:163], v[146:147]
	s_delay_alu instid0(VALU_DEP_2) | instskip(NEXT) | instid1(VALU_DEP_2)
	v_add_f64 v[150:151], v[148:149], v[133:134]
	v_add_f64 v[162:163], v[144:145], -v[162:163]
	s_delay_alu instid0(VALU_DEP_2) | instskip(SKIP_1) | instid1(VALU_DEP_3)
	v_add_f64 v[160:161], v[144:145], v[150:151]
	v_add_f64 v[148:149], v[150:151], -v[148:149]
	v_add_f64 v[146:147], v[146:147], -v[162:163]
	s_delay_alu instid0(VALU_DEP_3) | instskip(NEXT) | instid1(VALU_DEP_3)
	v_add_f64 v[164:165], v[160:161], -v[144:145]
	v_add_f64 v[133:134], v[133:134], -v[148:149]
	s_delay_alu instid0(VALU_DEP_2) | instskip(SKIP_1) | instid1(VALU_DEP_3)
	v_add_f64 v[166:167], v[160:161], -v[164:165]
	v_add_f64 v[148:149], v[150:151], -v[164:165]
	v_add_f64 v[150:151], v[146:147], v[133:134]
	s_delay_alu instid0(VALU_DEP_3) | instskip(NEXT) | instid1(VALU_DEP_1)
	v_add_f64 v[144:145], v[144:145], -v[166:167]
	v_add_f64 v[144:145], v[148:149], v[144:145]
	s_delay_alu instid0(VALU_DEP_3) | instskip(NEXT) | instid1(VALU_DEP_2)
	v_add_f64 v[148:149], v[150:151], -v[146:147]
	v_add_f64 v[144:145], v[150:151], v[144:145]
	s_delay_alu instid0(VALU_DEP_2) | instskip(SKIP_1) | instid1(VALU_DEP_3)
	v_add_f64 v[150:151], v[150:151], -v[148:149]
	v_add_f64 v[133:134], v[133:134], -v[148:149]
	v_add_f64 v[162:163], v[160:161], v[144:145]
	s_delay_alu instid0(VALU_DEP_3) | instskip(NEXT) | instid1(VALU_DEP_2)
	v_add_f64 v[146:147], v[146:147], -v[150:151]
	v_add_f64 v[148:149], v[162:163], -v[160:161]
	s_delay_alu instid0(VALU_DEP_2) | instskip(NEXT) | instid1(VALU_DEP_2)
	v_add_f64 v[133:134], v[133:134], v[146:147]
	v_add_f64 v[144:145], v[144:145], -v[148:149]
	s_delay_alu instid0(VALU_DEP_1) | instskip(NEXT) | instid1(VALU_DEP_1)
	v_add_f64 v[133:134], v[133:134], v[144:145]
	v_add_f64 v[133:134], v[162:163], v[133:134]
	s_delay_alu instid0(VALU_DEP_1) | instskip(SKIP_1) | instid1(VALU_DEP_2)
	v_dual_cndmask_b32 v133, v133, v18 :: v_dual_cndmask_b32 v134, v134, v19
	v_cmp_ngt_f64_e32 vcc_lo, -1.0, v[18:19]
	v_cndmask_b32_e32 v134, 0x7ff80000, v134, vcc_lo
	v_cmp_nge_f64_e32 vcc_lo, -1.0, v[18:19]
	s_delay_alu instid0(VALU_DEP_4) | instskip(SKIP_1) | instid1(VALU_DEP_4)
	v_cndmask_b32_e32 v133, 0, v133, vcc_lo
	v_cmp_neq_f64_e32 vcc_lo, -1.0, v[18:19]
	v_cndmask_b32_e32 v134, 0xfff00000, v134, vcc_lo
	s_delay_alu instid0(VALU_DEP_1)
	v_add_f64 v[18:19], v[20:21], v[133:134]
.LBB76_239:
	s_or_b32 exec_lo, exec_lo, s18
	s_delay_alu instid0(VALU_DEP_1) | instskip(SKIP_1) | instid1(VALU_DEP_2)
	v_max_f64 v[20:21], v[18:19], v[18:19]
	v_cmp_u_f64_e32 vcc_lo, v[18:19], v[18:19]
	v_min_f64 v[133:134], v[20:21], v[22:23]
	v_max_f64 v[20:21], v[20:21], v[22:23]
	s_delay_alu instid0(VALU_DEP_2) | instskip(NEXT) | instid1(VALU_DEP_2)
	v_dual_cndmask_b32 v22, v133, v18 :: v_dual_cndmask_b32 v23, v134, v19
	v_dual_cndmask_b32 v21, v21, v19 :: v_dual_cndmask_b32 v20, v20, v18
	s_delay_alu instid0(VALU_DEP_2) | instskip(NEXT) | instid1(VALU_DEP_3)
	v_cndmask_b32_e64 v133, v22, v84, s10
	v_cndmask_b32_e64 v134, v23, v85, s10
	s_delay_alu instid0(VALU_DEP_3) | instskip(NEXT) | instid1(VALU_DEP_4)
	v_cndmask_b32_e64 v23, v21, v85, s10
	v_cndmask_b32_e64 v22, v20, v84, s10
	v_dual_mov_b32 v21, v19 :: v_dual_mov_b32 v20, v18
	s_delay_alu instid0(VALU_DEP_4) | instskip(NEXT) | instid1(VALU_DEP_3)
	v_cmp_class_f64_e64 s3, v[133:134], 0x1f8
	v_cmp_neq_f64_e32 vcc_lo, v[133:134], v[22:23]
	s_delay_alu instid0(VALU_DEP_2) | instskip(NEXT) | instid1(SALU_CYCLE_1)
	s_or_b32 s3, vcc_lo, s3
	s_and_saveexec_b32 s10, s3
	s_cbranch_execz .LBB76_241
; %bb.240:
	v_add_f64 v[20:21], v[133:134], -v[22:23]
	s_mov_b32 s4, 0x652b82fe
	s_mov_b32 s5, 0x3ff71547
	;; [unrolled: 1-line block ×10, first 2 shown]
	s_delay_alu instid0(VALU_DEP_1) | instskip(SKIP_4) | instid1(VALU_DEP_3)
	v_mul_f64 v[133:134], v[20:21], s[4:5]
	s_mov_b32 s5, 0xbfe62e42
	s_mov_b32 s4, 0xfefa39ef
	v_cmp_nlt_f64_e32 vcc_lo, 0x40900000, v[20:21]
	v_cmp_ngt_f64_e64 s3, 0xc090cc00, v[20:21]
	v_rndne_f64_e32 v[133:134], v[133:134]
	s_delay_alu instid0(VALU_DEP_1) | instskip(SKIP_2) | instid1(VALU_DEP_2)
	v_fma_f64 v[144:145], v[133:134], s[4:5], v[20:21]
	v_cvt_i32_f64_e32 v148, v[133:134]
	s_mov_b32 s5, 0x3fe62e42
	v_fma_f64 v[144:145], v[133:134], s[6:7], v[144:145]
	s_mov_b32 s7, 0x3c7abc9e
	s_delay_alu instid0(VALU_DEP_1) | instskip(SKIP_4) | instid1(VALU_DEP_1)
	v_fma_f64 v[146:147], v[144:145], s[18:19], s[8:9]
	s_mov_b32 s8, 0x623fde64
	s_mov_b32 s9, 0x3ec71dee
	;; [unrolled: 1-line block ×4, first 2 shown]
	v_fma_f64 v[146:147], v[144:145], v[146:147], s[8:9]
	s_mov_b32 s8, 0x7c89e6b0
	s_mov_b32 s9, 0x3efa0199
	s_delay_alu instid0(VALU_DEP_1) | instid1(SALU_CYCLE_1)
	v_fma_f64 v[146:147], v[144:145], v[146:147], s[8:9]
	s_mov_b32 s8, 0x14761f6e
	s_mov_b32 s9, 0x3f2a01a0
	s_delay_alu instid0(VALU_DEP_1) | instid1(SALU_CYCLE_1)
	;; [unrolled: 4-line block ×7, first 2 shown]
	v_fma_f64 v[146:147], v[144:145], v[146:147], s[8:9]
	s_mov_b32 s9, 0x3fe55555
	s_mov_b32 s8, 0x55555555
	s_delay_alu instid0(VALU_DEP_1) | instskip(NEXT) | instid1(VALU_DEP_1)
	v_fma_f64 v[146:147], v[144:145], v[146:147], 1.0
	v_fma_f64 v[133:134], v[144:145], v[146:147], 1.0
	s_delay_alu instid0(VALU_DEP_1) | instskip(NEXT) | instid1(VALU_DEP_1)
	v_ldexp_f64 v[133:134], v[133:134], v148
	v_cndmask_b32_e32 v134, 0x7ff00000, v134, vcc_lo
	s_and_b32 vcc_lo, s3, vcc_lo
	s_delay_alu instid0(VALU_DEP_2) | instskip(NEXT) | instid1(VALU_DEP_2)
	v_cndmask_b32_e32 v20, 0, v133, vcc_lo
	v_cndmask_b32_e64 v21, 0, v134, s3
	s_delay_alu instid0(VALU_DEP_1) | instskip(NEXT) | instid1(VALU_DEP_1)
	v_add_f64 v[133:134], v[20:21], 1.0
	v_frexp_mant_f64_e32 v[144:145], v[133:134]
	v_frexp_exp_i32_f64_e32 v148, v[133:134]
	v_add_f64 v[146:147], v[133:134], -1.0
	s_delay_alu instid0(VALU_DEP_3) | instskip(SKIP_1) | instid1(VALU_DEP_2)
	v_cmp_gt_f64_e32 vcc_lo, s[8:9], v[144:145]
	s_mov_b32 s8, 0x55555780
	v_add_f64 v[144:145], v[146:147], -v[133:134]
	v_add_f64 v[146:147], v[20:21], -v[146:147]
	v_subrev_co_ci_u32_e32 v214, vcc_lo, 0, v148, vcc_lo
	s_delay_alu instid0(VALU_DEP_3) | instskip(SKIP_1) | instid1(VALU_DEP_3)
	v_add_f64 v[144:145], v[144:145], 1.0
	v_cmp_eq_f64_e32 vcc_lo, 0x7ff00000, v[20:21]
	v_sub_nc_u32_e32 v150, 0, v214
	s_delay_alu instid0(VALU_DEP_1) | instskip(NEXT) | instid1(VALU_DEP_4)
	v_ldexp_f64 v[133:134], v[133:134], v150
	v_add_f64 v[144:145], v[146:147], v[144:145]
	s_delay_alu instid0(VALU_DEP_2) | instskip(SKIP_1) | instid1(VALU_DEP_3)
	v_add_f64 v[148:149], v[133:134], 1.0
	v_add_f64 v[162:163], v[133:134], -1.0
	v_ldexp_f64 v[144:145], v[144:145], v150
	s_delay_alu instid0(VALU_DEP_3) | instskip(NEXT) | instid1(VALU_DEP_3)
	v_add_f64 v[146:147], v[148:149], -1.0
	v_add_f64 v[164:165], v[162:163], 1.0
	s_delay_alu instid0(VALU_DEP_2) | instskip(NEXT) | instid1(VALU_DEP_2)
	v_add_f64 v[146:147], v[133:134], -v[146:147]
	v_add_f64 v[133:134], v[133:134], -v[164:165]
	s_delay_alu instid0(VALU_DEP_2) | instskip(NEXT) | instid1(VALU_DEP_2)
	v_add_f64 v[146:147], v[144:145], v[146:147]
	v_add_f64 v[133:134], v[144:145], v[133:134]
	s_delay_alu instid0(VALU_DEP_2) | instskip(NEXT) | instid1(VALU_DEP_2)
	v_add_f64 v[150:151], v[148:149], v[146:147]
	v_add_f64 v[164:165], v[162:163], v[133:134]
	s_delay_alu instid0(VALU_DEP_2) | instskip(SKIP_1) | instid1(VALU_DEP_2)
	v_rcp_f64_e32 v[160:161], v[150:151]
	v_add_f64 v[148:149], v[150:151], -v[148:149]
	v_add_f64 v[162:163], v[164:165], -v[162:163]
	s_delay_alu instid0(VALU_DEP_2) | instskip(SKIP_3) | instid1(VALU_DEP_2)
	v_add_f64 v[146:147], v[146:147], -v[148:149]
	s_waitcnt_depctr 0xfff
	v_fma_f64 v[166:167], -v[150:151], v[160:161], 1.0
	v_add_f64 v[133:134], v[133:134], -v[162:163]
	v_fma_f64 v[160:161], v[166:167], v[160:161], v[160:161]
	s_delay_alu instid0(VALU_DEP_1) | instskip(NEXT) | instid1(VALU_DEP_1)
	v_fma_f64 v[144:145], -v[150:151], v[160:161], 1.0
	v_fma_f64 v[144:145], v[144:145], v[160:161], v[160:161]
	s_delay_alu instid0(VALU_DEP_1) | instskip(NEXT) | instid1(VALU_DEP_1)
	v_mul_f64 v[160:161], v[164:165], v[144:145]
	v_mul_f64 v[166:167], v[150:151], v[160:161]
	s_delay_alu instid0(VALU_DEP_1) | instskip(NEXT) | instid1(VALU_DEP_1)
	v_fma_f64 v[148:149], v[160:161], v[150:151], -v[166:167]
	v_fma_f64 v[148:149], v[160:161], v[146:147], v[148:149]
	s_delay_alu instid0(VALU_DEP_1) | instskip(NEXT) | instid1(VALU_DEP_1)
	v_add_f64 v[176:177], v[166:167], v[148:149]
	v_add_f64 v[212:213], v[164:165], -v[176:177]
	v_add_f64 v[162:163], v[176:177], -v[166:167]
	s_delay_alu instid0(VALU_DEP_2) | instskip(NEXT) | instid1(VALU_DEP_2)
	v_add_f64 v[164:165], v[164:165], -v[212:213]
	v_add_f64 v[148:149], v[162:163], -v[148:149]
	s_delay_alu instid0(VALU_DEP_2) | instskip(NEXT) | instid1(VALU_DEP_1)
	v_add_f64 v[164:165], v[164:165], -v[176:177]
	v_add_f64 v[133:134], v[133:134], v[164:165]
	s_delay_alu instid0(VALU_DEP_1) | instskip(NEXT) | instid1(VALU_DEP_1)
	v_add_f64 v[133:134], v[148:149], v[133:134]
	v_add_f64 v[148:149], v[212:213], v[133:134]
	s_delay_alu instid0(VALU_DEP_1) | instskip(SKIP_1) | instid1(VALU_DEP_2)
	v_mul_f64 v[162:163], v[144:145], v[148:149]
	v_add_f64 v[176:177], v[212:213], -v[148:149]
	v_mul_f64 v[164:165], v[150:151], v[162:163]
	s_delay_alu instid0(VALU_DEP_2) | instskip(NEXT) | instid1(VALU_DEP_2)
	v_add_f64 v[133:134], v[133:134], v[176:177]
	v_fma_f64 v[150:151], v[162:163], v[150:151], -v[164:165]
	s_delay_alu instid0(VALU_DEP_1) | instskip(NEXT) | instid1(VALU_DEP_1)
	v_fma_f64 v[146:147], v[162:163], v[146:147], v[150:151]
	v_add_f64 v[150:151], v[164:165], v[146:147]
	s_delay_alu instid0(VALU_DEP_1) | instskip(SKIP_1) | instid1(VALU_DEP_2)
	v_add_f64 v[166:167], v[148:149], -v[150:151]
	v_add_f64 v[164:165], v[150:151], -v[164:165]
	v_add_f64 v[148:149], v[148:149], -v[166:167]
	s_delay_alu instid0(VALU_DEP_2) | instskip(NEXT) | instid1(VALU_DEP_2)
	v_add_f64 v[146:147], v[164:165], -v[146:147]
	v_add_f64 v[148:149], v[148:149], -v[150:151]
	s_delay_alu instid0(VALU_DEP_1) | instskip(SKIP_1) | instid1(VALU_DEP_2)
	v_add_f64 v[133:134], v[133:134], v[148:149]
	v_add_f64 v[148:149], v[160:161], v[162:163]
	;; [unrolled: 1-line block ×3, first 2 shown]
	s_delay_alu instid0(VALU_DEP_2) | instskip(NEXT) | instid1(VALU_DEP_2)
	v_add_f64 v[146:147], v[148:149], -v[160:161]
	v_add_f64 v[133:134], v[166:167], v[133:134]
	s_delay_alu instid0(VALU_DEP_2) | instskip(NEXT) | instid1(VALU_DEP_2)
	v_add_f64 v[146:147], v[162:163], -v[146:147]
	v_mul_f64 v[133:134], v[144:145], v[133:134]
	s_delay_alu instid0(VALU_DEP_1) | instskip(NEXT) | instid1(VALU_DEP_1)
	v_add_f64 v[133:134], v[146:147], v[133:134]
	v_add_f64 v[144:145], v[148:149], v[133:134]
	s_delay_alu instid0(VALU_DEP_1) | instskip(NEXT) | instid1(VALU_DEP_1)
	v_mul_f64 v[146:147], v[144:145], v[144:145]
	v_fma_f64 v[150:151], v[146:147], s[20:21], s[18:19]
	s_mov_b32 s18, 0xd7f4df2e
	s_mov_b32 s19, 0x3fc7474d
	v_mul_f64 v[160:161], v[144:145], v[146:147]
	s_delay_alu instid0(VALU_DEP_2)
	v_fma_f64 v[150:151], v[146:147], v[150:151], s[18:19]
	s_mov_b32 s18, 0x16291751
	s_mov_b32 s19, 0x3fcc71c0
	s_delay_alu instid0(VALU_DEP_1) | instid1(SALU_CYCLE_1)
	v_fma_f64 v[150:151], v[146:147], v[150:151], s[18:19]
	s_mov_b32 s18, 0x9b27acf1
	s_mov_b32 s19, 0x3fd24924
	s_delay_alu instid0(VALU_DEP_1) | instid1(SALU_CYCLE_1)
	;; [unrolled: 4-line block ×3, first 2 shown]
	v_fma_f64 v[150:151], v[146:147], v[150:151], s[18:19]
	s_delay_alu instid0(VALU_DEP_1) | instskip(SKIP_2) | instid1(VALU_DEP_3)
	v_fma_f64 v[146:147], v[146:147], v[150:151], s[8:9]
	v_ldexp_f64 v[150:151], v[144:145], 1
	v_add_f64 v[144:145], v[144:145], -v[148:149]
	v_mul_f64 v[146:147], v[160:161], v[146:147]
	v_cvt_f64_i32_e32 v[160:161], v214
	s_delay_alu instid0(VALU_DEP_3) | instskip(NEXT) | instid1(VALU_DEP_3)
	v_add_f64 v[133:134], v[133:134], -v[144:145]
	v_add_f64 v[148:149], v[150:151], v[146:147]
	s_delay_alu instid0(VALU_DEP_3) | instskip(NEXT) | instid1(VALU_DEP_3)
	v_mul_f64 v[162:163], v[160:161], s[4:5]
	v_ldexp_f64 v[133:134], v[133:134], 1
	s_delay_alu instid0(VALU_DEP_3) | instskip(NEXT) | instid1(VALU_DEP_3)
	v_add_f64 v[144:145], v[148:149], -v[150:151]
	v_fma_f64 v[150:151], v[160:161], s[4:5], -v[162:163]
	s_delay_alu instid0(VALU_DEP_2) | instskip(NEXT) | instid1(VALU_DEP_2)
	v_add_f64 v[144:145], v[146:147], -v[144:145]
	v_fma_f64 v[146:147], v[160:161], s[6:7], v[150:151]
	s_delay_alu instid0(VALU_DEP_2) | instskip(NEXT) | instid1(VALU_DEP_2)
	v_add_f64 v[133:134], v[133:134], v[144:145]
	v_add_f64 v[144:145], v[162:163], v[146:147]
	s_delay_alu instid0(VALU_DEP_2) | instskip(NEXT) | instid1(VALU_DEP_2)
	v_add_f64 v[150:151], v[148:149], v[133:134]
	v_add_f64 v[162:163], v[144:145], -v[162:163]
	s_delay_alu instid0(VALU_DEP_2) | instskip(SKIP_1) | instid1(VALU_DEP_3)
	v_add_f64 v[160:161], v[144:145], v[150:151]
	v_add_f64 v[148:149], v[150:151], -v[148:149]
	v_add_f64 v[146:147], v[146:147], -v[162:163]
	s_delay_alu instid0(VALU_DEP_3) | instskip(NEXT) | instid1(VALU_DEP_3)
	v_add_f64 v[164:165], v[160:161], -v[144:145]
	v_add_f64 v[133:134], v[133:134], -v[148:149]
	s_delay_alu instid0(VALU_DEP_2) | instskip(SKIP_1) | instid1(VALU_DEP_3)
	v_add_f64 v[166:167], v[160:161], -v[164:165]
	v_add_f64 v[148:149], v[150:151], -v[164:165]
	v_add_f64 v[150:151], v[146:147], v[133:134]
	s_delay_alu instid0(VALU_DEP_3) | instskip(NEXT) | instid1(VALU_DEP_1)
	v_add_f64 v[144:145], v[144:145], -v[166:167]
	v_add_f64 v[144:145], v[148:149], v[144:145]
	s_delay_alu instid0(VALU_DEP_3) | instskip(NEXT) | instid1(VALU_DEP_2)
	v_add_f64 v[148:149], v[150:151], -v[146:147]
	v_add_f64 v[144:145], v[150:151], v[144:145]
	s_delay_alu instid0(VALU_DEP_2) | instskip(SKIP_1) | instid1(VALU_DEP_3)
	v_add_f64 v[150:151], v[150:151], -v[148:149]
	v_add_f64 v[133:134], v[133:134], -v[148:149]
	v_add_f64 v[162:163], v[160:161], v[144:145]
	s_delay_alu instid0(VALU_DEP_3) | instskip(NEXT) | instid1(VALU_DEP_2)
	v_add_f64 v[146:147], v[146:147], -v[150:151]
	v_add_f64 v[148:149], v[162:163], -v[160:161]
	s_delay_alu instid0(VALU_DEP_2) | instskip(NEXT) | instid1(VALU_DEP_2)
	v_add_f64 v[133:134], v[133:134], v[146:147]
	v_add_f64 v[144:145], v[144:145], -v[148:149]
	s_delay_alu instid0(VALU_DEP_1) | instskip(NEXT) | instid1(VALU_DEP_1)
	v_add_f64 v[133:134], v[133:134], v[144:145]
	v_add_f64 v[133:134], v[162:163], v[133:134]
	s_delay_alu instid0(VALU_DEP_1) | instskip(SKIP_1) | instid1(VALU_DEP_2)
	v_dual_cndmask_b32 v133, v133, v20 :: v_dual_cndmask_b32 v134, v134, v21
	v_cmp_ngt_f64_e32 vcc_lo, -1.0, v[20:21]
	v_cndmask_b32_e32 v134, 0x7ff80000, v134, vcc_lo
	v_cmp_nge_f64_e32 vcc_lo, -1.0, v[20:21]
	s_delay_alu instid0(VALU_DEP_4) | instskip(SKIP_1) | instid1(VALU_DEP_4)
	v_cndmask_b32_e32 v133, 0, v133, vcc_lo
	v_cmp_neq_f64_e32 vcc_lo, -1.0, v[20:21]
	v_cndmask_b32_e32 v134, 0xfff00000, v134, vcc_lo
	s_delay_alu instid0(VALU_DEP_1)
	v_add_f64 v[20:21], v[22:23], v[133:134]
.LBB76_241:
	s_or_b32 exec_lo, exec_lo, s10
	s_delay_alu instid0(VALU_DEP_1) | instskip(SKIP_1) | instid1(VALU_DEP_2)
	v_max_f64 v[22:23], v[20:21], v[20:21]
	v_cmp_u_f64_e32 vcc_lo, v[20:21], v[20:21]
	v_min_f64 v[133:134], v[22:23], v[24:25]
	v_max_f64 v[22:23], v[22:23], v[24:25]
	s_delay_alu instid0(VALU_DEP_2) | instskip(NEXT) | instid1(VALU_DEP_2)
	v_dual_cndmask_b32 v24, v133, v20 :: v_dual_cndmask_b32 v25, v134, v21
	v_dual_cndmask_b32 v23, v23, v21 :: v_dual_cndmask_b32 v22, v22, v20
	s_delay_alu instid0(VALU_DEP_2) | instskip(NEXT) | instid1(VALU_DEP_3)
	v_cndmask_b32_e64 v133, v24, v86, s11
	v_cndmask_b32_e64 v134, v25, v87, s11
	s_delay_alu instid0(VALU_DEP_3) | instskip(NEXT) | instid1(VALU_DEP_4)
	v_cndmask_b32_e64 v25, v23, v87, s11
	v_cndmask_b32_e64 v24, v22, v86, s11
	v_dual_mov_b32 v23, v21 :: v_dual_mov_b32 v22, v20
	s_delay_alu instid0(VALU_DEP_4) | instskip(NEXT) | instid1(VALU_DEP_3)
	v_cmp_class_f64_e64 s3, v[133:134], 0x1f8
	v_cmp_neq_f64_e32 vcc_lo, v[133:134], v[24:25]
	s_delay_alu instid0(VALU_DEP_2) | instskip(NEXT) | instid1(SALU_CYCLE_1)
	s_or_b32 s3, vcc_lo, s3
	s_and_saveexec_b32 s10, s3
	s_cbranch_execz .LBB76_243
; %bb.242:
	v_add_f64 v[22:23], v[133:134], -v[24:25]
	s_mov_b32 s4, 0x652b82fe
	s_mov_b32 s5, 0x3ff71547
	;; [unrolled: 1-line block ×10, first 2 shown]
	s_delay_alu instid0(VALU_DEP_1) | instskip(SKIP_4) | instid1(VALU_DEP_3)
	v_mul_f64 v[133:134], v[22:23], s[4:5]
	s_mov_b32 s5, 0xbfe62e42
	s_mov_b32 s4, 0xfefa39ef
	v_cmp_nlt_f64_e32 vcc_lo, 0x40900000, v[22:23]
	v_cmp_ngt_f64_e64 s3, 0xc090cc00, v[22:23]
	v_rndne_f64_e32 v[133:134], v[133:134]
	s_delay_alu instid0(VALU_DEP_1) | instskip(SKIP_2) | instid1(VALU_DEP_2)
	v_fma_f64 v[144:145], v[133:134], s[4:5], v[22:23]
	v_cvt_i32_f64_e32 v148, v[133:134]
	s_mov_b32 s5, 0x3fe62e42
	v_fma_f64 v[144:145], v[133:134], s[6:7], v[144:145]
	s_mov_b32 s7, 0x3c7abc9e
	s_delay_alu instid0(VALU_DEP_1) | instskip(SKIP_4) | instid1(VALU_DEP_1)
	v_fma_f64 v[146:147], v[144:145], s[18:19], s[8:9]
	s_mov_b32 s8, 0x623fde64
	s_mov_b32 s9, 0x3ec71dee
	;; [unrolled: 1-line block ×4, first 2 shown]
	v_fma_f64 v[146:147], v[144:145], v[146:147], s[8:9]
	s_mov_b32 s8, 0x7c89e6b0
	s_mov_b32 s9, 0x3efa0199
	s_delay_alu instid0(VALU_DEP_1) | instid1(SALU_CYCLE_1)
	v_fma_f64 v[146:147], v[144:145], v[146:147], s[8:9]
	s_mov_b32 s8, 0x14761f6e
	s_mov_b32 s9, 0x3f2a01a0
	s_delay_alu instid0(VALU_DEP_1) | instid1(SALU_CYCLE_1)
	;; [unrolled: 4-line block ×7, first 2 shown]
	v_fma_f64 v[146:147], v[144:145], v[146:147], s[8:9]
	s_mov_b32 s9, 0x3fe55555
	s_mov_b32 s8, 0x55555555
	s_delay_alu instid0(VALU_DEP_1) | instskip(NEXT) | instid1(VALU_DEP_1)
	v_fma_f64 v[146:147], v[144:145], v[146:147], 1.0
	v_fma_f64 v[133:134], v[144:145], v[146:147], 1.0
	s_delay_alu instid0(VALU_DEP_1) | instskip(NEXT) | instid1(VALU_DEP_1)
	v_ldexp_f64 v[133:134], v[133:134], v148
	v_cndmask_b32_e32 v134, 0x7ff00000, v134, vcc_lo
	s_and_b32 vcc_lo, s3, vcc_lo
	s_delay_alu instid0(VALU_DEP_2) | instskip(NEXT) | instid1(VALU_DEP_2)
	v_cndmask_b32_e32 v22, 0, v133, vcc_lo
	v_cndmask_b32_e64 v23, 0, v134, s3
	s_delay_alu instid0(VALU_DEP_1) | instskip(NEXT) | instid1(VALU_DEP_1)
	v_add_f64 v[133:134], v[22:23], 1.0
	v_frexp_mant_f64_e32 v[144:145], v[133:134]
	v_frexp_exp_i32_f64_e32 v148, v[133:134]
	v_add_f64 v[146:147], v[133:134], -1.0
	s_delay_alu instid0(VALU_DEP_3) | instskip(SKIP_1) | instid1(VALU_DEP_2)
	v_cmp_gt_f64_e32 vcc_lo, s[8:9], v[144:145]
	s_mov_b32 s8, 0x55555780
	v_add_f64 v[144:145], v[146:147], -v[133:134]
	v_add_f64 v[146:147], v[22:23], -v[146:147]
	v_subrev_co_ci_u32_e32 v214, vcc_lo, 0, v148, vcc_lo
	s_delay_alu instid0(VALU_DEP_3) | instskip(SKIP_1) | instid1(VALU_DEP_3)
	v_add_f64 v[144:145], v[144:145], 1.0
	v_cmp_eq_f64_e32 vcc_lo, 0x7ff00000, v[22:23]
	v_sub_nc_u32_e32 v150, 0, v214
	s_delay_alu instid0(VALU_DEP_1) | instskip(NEXT) | instid1(VALU_DEP_4)
	v_ldexp_f64 v[133:134], v[133:134], v150
	v_add_f64 v[144:145], v[146:147], v[144:145]
	s_delay_alu instid0(VALU_DEP_2) | instskip(SKIP_1) | instid1(VALU_DEP_3)
	v_add_f64 v[148:149], v[133:134], 1.0
	v_add_f64 v[162:163], v[133:134], -1.0
	v_ldexp_f64 v[144:145], v[144:145], v150
	s_delay_alu instid0(VALU_DEP_3) | instskip(NEXT) | instid1(VALU_DEP_3)
	v_add_f64 v[146:147], v[148:149], -1.0
	v_add_f64 v[164:165], v[162:163], 1.0
	s_delay_alu instid0(VALU_DEP_2) | instskip(NEXT) | instid1(VALU_DEP_2)
	v_add_f64 v[146:147], v[133:134], -v[146:147]
	v_add_f64 v[133:134], v[133:134], -v[164:165]
	s_delay_alu instid0(VALU_DEP_2) | instskip(NEXT) | instid1(VALU_DEP_2)
	v_add_f64 v[146:147], v[144:145], v[146:147]
	v_add_f64 v[133:134], v[144:145], v[133:134]
	s_delay_alu instid0(VALU_DEP_2) | instskip(NEXT) | instid1(VALU_DEP_2)
	v_add_f64 v[150:151], v[148:149], v[146:147]
	v_add_f64 v[164:165], v[162:163], v[133:134]
	s_delay_alu instid0(VALU_DEP_2) | instskip(SKIP_1) | instid1(VALU_DEP_2)
	v_rcp_f64_e32 v[160:161], v[150:151]
	v_add_f64 v[148:149], v[150:151], -v[148:149]
	v_add_f64 v[162:163], v[164:165], -v[162:163]
	s_delay_alu instid0(VALU_DEP_2) | instskip(SKIP_3) | instid1(VALU_DEP_2)
	v_add_f64 v[146:147], v[146:147], -v[148:149]
	s_waitcnt_depctr 0xfff
	v_fma_f64 v[166:167], -v[150:151], v[160:161], 1.0
	v_add_f64 v[133:134], v[133:134], -v[162:163]
	v_fma_f64 v[160:161], v[166:167], v[160:161], v[160:161]
	s_delay_alu instid0(VALU_DEP_1) | instskip(NEXT) | instid1(VALU_DEP_1)
	v_fma_f64 v[144:145], -v[150:151], v[160:161], 1.0
	v_fma_f64 v[144:145], v[144:145], v[160:161], v[160:161]
	s_delay_alu instid0(VALU_DEP_1) | instskip(NEXT) | instid1(VALU_DEP_1)
	v_mul_f64 v[160:161], v[164:165], v[144:145]
	v_mul_f64 v[166:167], v[150:151], v[160:161]
	s_delay_alu instid0(VALU_DEP_1) | instskip(NEXT) | instid1(VALU_DEP_1)
	v_fma_f64 v[148:149], v[160:161], v[150:151], -v[166:167]
	v_fma_f64 v[148:149], v[160:161], v[146:147], v[148:149]
	s_delay_alu instid0(VALU_DEP_1) | instskip(NEXT) | instid1(VALU_DEP_1)
	v_add_f64 v[176:177], v[166:167], v[148:149]
	v_add_f64 v[212:213], v[164:165], -v[176:177]
	v_add_f64 v[162:163], v[176:177], -v[166:167]
	s_delay_alu instid0(VALU_DEP_2) | instskip(NEXT) | instid1(VALU_DEP_2)
	v_add_f64 v[164:165], v[164:165], -v[212:213]
	v_add_f64 v[148:149], v[162:163], -v[148:149]
	s_delay_alu instid0(VALU_DEP_2) | instskip(NEXT) | instid1(VALU_DEP_1)
	v_add_f64 v[164:165], v[164:165], -v[176:177]
	v_add_f64 v[133:134], v[133:134], v[164:165]
	s_delay_alu instid0(VALU_DEP_1) | instskip(NEXT) | instid1(VALU_DEP_1)
	v_add_f64 v[133:134], v[148:149], v[133:134]
	v_add_f64 v[148:149], v[212:213], v[133:134]
	s_delay_alu instid0(VALU_DEP_1) | instskip(SKIP_1) | instid1(VALU_DEP_2)
	v_mul_f64 v[162:163], v[144:145], v[148:149]
	v_add_f64 v[176:177], v[212:213], -v[148:149]
	v_mul_f64 v[164:165], v[150:151], v[162:163]
	s_delay_alu instid0(VALU_DEP_2) | instskip(NEXT) | instid1(VALU_DEP_2)
	v_add_f64 v[133:134], v[133:134], v[176:177]
	v_fma_f64 v[150:151], v[162:163], v[150:151], -v[164:165]
	s_delay_alu instid0(VALU_DEP_1) | instskip(NEXT) | instid1(VALU_DEP_1)
	v_fma_f64 v[146:147], v[162:163], v[146:147], v[150:151]
	v_add_f64 v[150:151], v[164:165], v[146:147]
	s_delay_alu instid0(VALU_DEP_1) | instskip(SKIP_1) | instid1(VALU_DEP_2)
	v_add_f64 v[166:167], v[148:149], -v[150:151]
	v_add_f64 v[164:165], v[150:151], -v[164:165]
	;; [unrolled: 1-line block ×3, first 2 shown]
	s_delay_alu instid0(VALU_DEP_2) | instskip(NEXT) | instid1(VALU_DEP_2)
	v_add_f64 v[146:147], v[164:165], -v[146:147]
	v_add_f64 v[148:149], v[148:149], -v[150:151]
	s_delay_alu instid0(VALU_DEP_1) | instskip(SKIP_1) | instid1(VALU_DEP_2)
	v_add_f64 v[133:134], v[133:134], v[148:149]
	v_add_f64 v[148:149], v[160:161], v[162:163]
	;; [unrolled: 1-line block ×3, first 2 shown]
	s_delay_alu instid0(VALU_DEP_2) | instskip(NEXT) | instid1(VALU_DEP_2)
	v_add_f64 v[146:147], v[148:149], -v[160:161]
	v_add_f64 v[133:134], v[166:167], v[133:134]
	s_delay_alu instid0(VALU_DEP_2) | instskip(NEXT) | instid1(VALU_DEP_2)
	v_add_f64 v[146:147], v[162:163], -v[146:147]
	v_mul_f64 v[133:134], v[144:145], v[133:134]
	s_delay_alu instid0(VALU_DEP_1) | instskip(NEXT) | instid1(VALU_DEP_1)
	v_add_f64 v[133:134], v[146:147], v[133:134]
	v_add_f64 v[144:145], v[148:149], v[133:134]
	s_delay_alu instid0(VALU_DEP_1) | instskip(NEXT) | instid1(VALU_DEP_1)
	v_mul_f64 v[146:147], v[144:145], v[144:145]
	v_fma_f64 v[150:151], v[146:147], s[20:21], s[18:19]
	s_mov_b32 s18, 0xd7f4df2e
	s_mov_b32 s19, 0x3fc7474d
	v_mul_f64 v[160:161], v[144:145], v[146:147]
	s_delay_alu instid0(VALU_DEP_2)
	v_fma_f64 v[150:151], v[146:147], v[150:151], s[18:19]
	s_mov_b32 s18, 0x16291751
	s_mov_b32 s19, 0x3fcc71c0
	s_delay_alu instid0(VALU_DEP_1) | instid1(SALU_CYCLE_1)
	v_fma_f64 v[150:151], v[146:147], v[150:151], s[18:19]
	s_mov_b32 s18, 0x9b27acf1
	s_mov_b32 s19, 0x3fd24924
	s_delay_alu instid0(VALU_DEP_1) | instid1(SALU_CYCLE_1)
	;; [unrolled: 4-line block ×3, first 2 shown]
	v_fma_f64 v[150:151], v[146:147], v[150:151], s[18:19]
	s_delay_alu instid0(VALU_DEP_1) | instskip(SKIP_2) | instid1(VALU_DEP_3)
	v_fma_f64 v[146:147], v[146:147], v[150:151], s[8:9]
	v_ldexp_f64 v[150:151], v[144:145], 1
	v_add_f64 v[144:145], v[144:145], -v[148:149]
	v_mul_f64 v[146:147], v[160:161], v[146:147]
	v_cvt_f64_i32_e32 v[160:161], v214
	s_delay_alu instid0(VALU_DEP_3) | instskip(NEXT) | instid1(VALU_DEP_3)
	v_add_f64 v[133:134], v[133:134], -v[144:145]
	v_add_f64 v[148:149], v[150:151], v[146:147]
	s_delay_alu instid0(VALU_DEP_3) | instskip(NEXT) | instid1(VALU_DEP_3)
	v_mul_f64 v[162:163], v[160:161], s[4:5]
	v_ldexp_f64 v[133:134], v[133:134], 1
	s_delay_alu instid0(VALU_DEP_3) | instskip(NEXT) | instid1(VALU_DEP_3)
	v_add_f64 v[144:145], v[148:149], -v[150:151]
	v_fma_f64 v[150:151], v[160:161], s[4:5], -v[162:163]
	s_delay_alu instid0(VALU_DEP_2) | instskip(NEXT) | instid1(VALU_DEP_2)
	v_add_f64 v[144:145], v[146:147], -v[144:145]
	v_fma_f64 v[146:147], v[160:161], s[6:7], v[150:151]
	s_delay_alu instid0(VALU_DEP_2) | instskip(NEXT) | instid1(VALU_DEP_2)
	v_add_f64 v[133:134], v[133:134], v[144:145]
	v_add_f64 v[144:145], v[162:163], v[146:147]
	s_delay_alu instid0(VALU_DEP_2) | instskip(NEXT) | instid1(VALU_DEP_2)
	v_add_f64 v[150:151], v[148:149], v[133:134]
	v_add_f64 v[162:163], v[144:145], -v[162:163]
	s_delay_alu instid0(VALU_DEP_2) | instskip(SKIP_1) | instid1(VALU_DEP_3)
	v_add_f64 v[160:161], v[144:145], v[150:151]
	v_add_f64 v[148:149], v[150:151], -v[148:149]
	v_add_f64 v[146:147], v[146:147], -v[162:163]
	s_delay_alu instid0(VALU_DEP_3) | instskip(NEXT) | instid1(VALU_DEP_3)
	v_add_f64 v[164:165], v[160:161], -v[144:145]
	v_add_f64 v[133:134], v[133:134], -v[148:149]
	s_delay_alu instid0(VALU_DEP_2) | instskip(SKIP_1) | instid1(VALU_DEP_3)
	v_add_f64 v[166:167], v[160:161], -v[164:165]
	v_add_f64 v[148:149], v[150:151], -v[164:165]
	v_add_f64 v[150:151], v[146:147], v[133:134]
	s_delay_alu instid0(VALU_DEP_3) | instskip(NEXT) | instid1(VALU_DEP_1)
	v_add_f64 v[144:145], v[144:145], -v[166:167]
	v_add_f64 v[144:145], v[148:149], v[144:145]
	s_delay_alu instid0(VALU_DEP_3) | instskip(NEXT) | instid1(VALU_DEP_2)
	v_add_f64 v[148:149], v[150:151], -v[146:147]
	v_add_f64 v[144:145], v[150:151], v[144:145]
	s_delay_alu instid0(VALU_DEP_2) | instskip(SKIP_1) | instid1(VALU_DEP_3)
	v_add_f64 v[150:151], v[150:151], -v[148:149]
	v_add_f64 v[133:134], v[133:134], -v[148:149]
	v_add_f64 v[162:163], v[160:161], v[144:145]
	s_delay_alu instid0(VALU_DEP_3) | instskip(NEXT) | instid1(VALU_DEP_2)
	v_add_f64 v[146:147], v[146:147], -v[150:151]
	v_add_f64 v[148:149], v[162:163], -v[160:161]
	s_delay_alu instid0(VALU_DEP_2) | instskip(NEXT) | instid1(VALU_DEP_2)
	v_add_f64 v[133:134], v[133:134], v[146:147]
	v_add_f64 v[144:145], v[144:145], -v[148:149]
	s_delay_alu instid0(VALU_DEP_1) | instskip(NEXT) | instid1(VALU_DEP_1)
	v_add_f64 v[133:134], v[133:134], v[144:145]
	v_add_f64 v[133:134], v[162:163], v[133:134]
	s_delay_alu instid0(VALU_DEP_1) | instskip(SKIP_1) | instid1(VALU_DEP_2)
	v_dual_cndmask_b32 v133, v133, v22 :: v_dual_cndmask_b32 v134, v134, v23
	v_cmp_ngt_f64_e32 vcc_lo, -1.0, v[22:23]
	v_cndmask_b32_e32 v134, 0x7ff80000, v134, vcc_lo
	v_cmp_nge_f64_e32 vcc_lo, -1.0, v[22:23]
	s_delay_alu instid0(VALU_DEP_4) | instskip(SKIP_1) | instid1(VALU_DEP_4)
	v_cndmask_b32_e32 v133, 0, v133, vcc_lo
	v_cmp_neq_f64_e32 vcc_lo, -1.0, v[22:23]
	v_cndmask_b32_e32 v134, 0xfff00000, v134, vcc_lo
	s_delay_alu instid0(VALU_DEP_1)
	v_add_f64 v[22:23], v[24:25], v[133:134]
.LBB76_243:
	s_or_b32 exec_lo, exec_lo, s10
	s_delay_alu instid0(VALU_DEP_1) | instskip(SKIP_1) | instid1(VALU_DEP_2)
	v_max_f64 v[24:25], v[22:23], v[22:23]
	v_cmp_u_f64_e32 vcc_lo, v[22:23], v[22:23]
	v_min_f64 v[133:134], v[24:25], v[26:27]
	v_max_f64 v[24:25], v[24:25], v[26:27]
	s_delay_alu instid0(VALU_DEP_2) | instskip(NEXT) | instid1(VALU_DEP_2)
	v_dual_cndmask_b32 v26, v133, v22 :: v_dual_cndmask_b32 v27, v134, v23
	v_dual_cndmask_b32 v25, v25, v23 :: v_dual_cndmask_b32 v24, v24, v22
	s_delay_alu instid0(VALU_DEP_2) | instskip(NEXT) | instid1(VALU_DEP_3)
	v_cndmask_b32_e64 v133, v26, v80, s12
	v_cndmask_b32_e64 v134, v27, v81, s12
	s_delay_alu instid0(VALU_DEP_3) | instskip(NEXT) | instid1(VALU_DEP_4)
	v_cndmask_b32_e64 v27, v25, v81, s12
	v_cndmask_b32_e64 v26, v24, v80, s12
	v_dual_mov_b32 v25, v23 :: v_dual_mov_b32 v24, v22
	s_delay_alu instid0(VALU_DEP_4) | instskip(NEXT) | instid1(VALU_DEP_3)
	v_cmp_class_f64_e64 s3, v[133:134], 0x1f8
	v_cmp_neq_f64_e32 vcc_lo, v[133:134], v[26:27]
	s_delay_alu instid0(VALU_DEP_2) | instskip(NEXT) | instid1(SALU_CYCLE_1)
	s_or_b32 s3, vcc_lo, s3
	s_and_saveexec_b32 s10, s3
	s_cbranch_execz .LBB76_245
; %bb.244:
	v_add_f64 v[24:25], v[133:134], -v[26:27]
	s_mov_b32 s4, 0x652b82fe
	s_mov_b32 s5, 0x3ff71547
	;; [unrolled: 1-line block ×10, first 2 shown]
	s_delay_alu instid0(VALU_DEP_1) | instskip(SKIP_4) | instid1(VALU_DEP_3)
	v_mul_f64 v[133:134], v[24:25], s[4:5]
	s_mov_b32 s5, 0xbfe62e42
	s_mov_b32 s4, 0xfefa39ef
	v_cmp_nlt_f64_e32 vcc_lo, 0x40900000, v[24:25]
	v_cmp_ngt_f64_e64 s3, 0xc090cc00, v[24:25]
	v_rndne_f64_e32 v[133:134], v[133:134]
	s_delay_alu instid0(VALU_DEP_1) | instskip(SKIP_2) | instid1(VALU_DEP_2)
	v_fma_f64 v[144:145], v[133:134], s[4:5], v[24:25]
	v_cvt_i32_f64_e32 v148, v[133:134]
	s_mov_b32 s5, 0x3fe62e42
	v_fma_f64 v[144:145], v[133:134], s[6:7], v[144:145]
	s_mov_b32 s7, 0x3c7abc9e
	s_delay_alu instid0(VALU_DEP_1) | instskip(SKIP_4) | instid1(VALU_DEP_1)
	v_fma_f64 v[146:147], v[144:145], s[18:19], s[8:9]
	s_mov_b32 s8, 0x623fde64
	s_mov_b32 s9, 0x3ec71dee
	;; [unrolled: 1-line block ×4, first 2 shown]
	v_fma_f64 v[146:147], v[144:145], v[146:147], s[8:9]
	s_mov_b32 s8, 0x7c89e6b0
	s_mov_b32 s9, 0x3efa0199
	s_delay_alu instid0(VALU_DEP_1) | instid1(SALU_CYCLE_1)
	v_fma_f64 v[146:147], v[144:145], v[146:147], s[8:9]
	s_mov_b32 s8, 0x14761f6e
	s_mov_b32 s9, 0x3f2a01a0
	s_delay_alu instid0(VALU_DEP_1) | instid1(SALU_CYCLE_1)
	;; [unrolled: 4-line block ×7, first 2 shown]
	v_fma_f64 v[146:147], v[144:145], v[146:147], s[8:9]
	s_mov_b32 s9, 0x3fe55555
	s_mov_b32 s8, 0x55555555
	s_delay_alu instid0(VALU_DEP_1) | instskip(NEXT) | instid1(VALU_DEP_1)
	v_fma_f64 v[146:147], v[144:145], v[146:147], 1.0
	v_fma_f64 v[133:134], v[144:145], v[146:147], 1.0
	s_delay_alu instid0(VALU_DEP_1) | instskip(NEXT) | instid1(VALU_DEP_1)
	v_ldexp_f64 v[133:134], v[133:134], v148
	v_cndmask_b32_e32 v134, 0x7ff00000, v134, vcc_lo
	s_and_b32 vcc_lo, s3, vcc_lo
	s_delay_alu instid0(VALU_DEP_2) | instskip(NEXT) | instid1(VALU_DEP_2)
	v_cndmask_b32_e32 v24, 0, v133, vcc_lo
	v_cndmask_b32_e64 v25, 0, v134, s3
	s_delay_alu instid0(VALU_DEP_1) | instskip(NEXT) | instid1(VALU_DEP_1)
	v_add_f64 v[133:134], v[24:25], 1.0
	v_frexp_mant_f64_e32 v[144:145], v[133:134]
	v_frexp_exp_i32_f64_e32 v148, v[133:134]
	v_add_f64 v[146:147], v[133:134], -1.0
	s_delay_alu instid0(VALU_DEP_3) | instskip(SKIP_1) | instid1(VALU_DEP_2)
	v_cmp_gt_f64_e32 vcc_lo, s[8:9], v[144:145]
	s_mov_b32 s8, 0x55555780
	v_add_f64 v[144:145], v[146:147], -v[133:134]
	v_add_f64 v[146:147], v[24:25], -v[146:147]
	v_subrev_co_ci_u32_e32 v214, vcc_lo, 0, v148, vcc_lo
	s_delay_alu instid0(VALU_DEP_3) | instskip(SKIP_1) | instid1(VALU_DEP_3)
	v_add_f64 v[144:145], v[144:145], 1.0
	v_cmp_eq_f64_e32 vcc_lo, 0x7ff00000, v[24:25]
	v_sub_nc_u32_e32 v150, 0, v214
	s_delay_alu instid0(VALU_DEP_1) | instskip(NEXT) | instid1(VALU_DEP_4)
	v_ldexp_f64 v[133:134], v[133:134], v150
	v_add_f64 v[144:145], v[146:147], v[144:145]
	s_delay_alu instid0(VALU_DEP_2) | instskip(SKIP_1) | instid1(VALU_DEP_3)
	v_add_f64 v[148:149], v[133:134], 1.0
	v_add_f64 v[162:163], v[133:134], -1.0
	v_ldexp_f64 v[144:145], v[144:145], v150
	s_delay_alu instid0(VALU_DEP_3) | instskip(NEXT) | instid1(VALU_DEP_3)
	v_add_f64 v[146:147], v[148:149], -1.0
	v_add_f64 v[164:165], v[162:163], 1.0
	s_delay_alu instid0(VALU_DEP_2) | instskip(NEXT) | instid1(VALU_DEP_2)
	v_add_f64 v[146:147], v[133:134], -v[146:147]
	v_add_f64 v[133:134], v[133:134], -v[164:165]
	s_delay_alu instid0(VALU_DEP_2) | instskip(NEXT) | instid1(VALU_DEP_2)
	v_add_f64 v[146:147], v[144:145], v[146:147]
	v_add_f64 v[133:134], v[144:145], v[133:134]
	s_delay_alu instid0(VALU_DEP_2) | instskip(NEXT) | instid1(VALU_DEP_2)
	v_add_f64 v[150:151], v[148:149], v[146:147]
	v_add_f64 v[164:165], v[162:163], v[133:134]
	s_delay_alu instid0(VALU_DEP_2) | instskip(SKIP_1) | instid1(VALU_DEP_2)
	v_rcp_f64_e32 v[160:161], v[150:151]
	v_add_f64 v[148:149], v[150:151], -v[148:149]
	v_add_f64 v[162:163], v[164:165], -v[162:163]
	s_delay_alu instid0(VALU_DEP_2) | instskip(SKIP_3) | instid1(VALU_DEP_2)
	v_add_f64 v[146:147], v[146:147], -v[148:149]
	s_waitcnt_depctr 0xfff
	v_fma_f64 v[166:167], -v[150:151], v[160:161], 1.0
	v_add_f64 v[133:134], v[133:134], -v[162:163]
	v_fma_f64 v[160:161], v[166:167], v[160:161], v[160:161]
	s_delay_alu instid0(VALU_DEP_1) | instskip(NEXT) | instid1(VALU_DEP_1)
	v_fma_f64 v[144:145], -v[150:151], v[160:161], 1.0
	v_fma_f64 v[144:145], v[144:145], v[160:161], v[160:161]
	s_delay_alu instid0(VALU_DEP_1) | instskip(NEXT) | instid1(VALU_DEP_1)
	v_mul_f64 v[160:161], v[164:165], v[144:145]
	v_mul_f64 v[166:167], v[150:151], v[160:161]
	s_delay_alu instid0(VALU_DEP_1) | instskip(NEXT) | instid1(VALU_DEP_1)
	v_fma_f64 v[148:149], v[160:161], v[150:151], -v[166:167]
	v_fma_f64 v[148:149], v[160:161], v[146:147], v[148:149]
	s_delay_alu instid0(VALU_DEP_1) | instskip(NEXT) | instid1(VALU_DEP_1)
	v_add_f64 v[176:177], v[166:167], v[148:149]
	v_add_f64 v[212:213], v[164:165], -v[176:177]
	v_add_f64 v[162:163], v[176:177], -v[166:167]
	s_delay_alu instid0(VALU_DEP_2) | instskip(NEXT) | instid1(VALU_DEP_2)
	v_add_f64 v[164:165], v[164:165], -v[212:213]
	v_add_f64 v[148:149], v[162:163], -v[148:149]
	s_delay_alu instid0(VALU_DEP_2) | instskip(NEXT) | instid1(VALU_DEP_1)
	v_add_f64 v[164:165], v[164:165], -v[176:177]
	v_add_f64 v[133:134], v[133:134], v[164:165]
	s_delay_alu instid0(VALU_DEP_1) | instskip(NEXT) | instid1(VALU_DEP_1)
	v_add_f64 v[133:134], v[148:149], v[133:134]
	v_add_f64 v[148:149], v[212:213], v[133:134]
	s_delay_alu instid0(VALU_DEP_1) | instskip(SKIP_1) | instid1(VALU_DEP_2)
	v_mul_f64 v[162:163], v[144:145], v[148:149]
	v_add_f64 v[176:177], v[212:213], -v[148:149]
	v_mul_f64 v[164:165], v[150:151], v[162:163]
	s_delay_alu instid0(VALU_DEP_2) | instskip(NEXT) | instid1(VALU_DEP_2)
	v_add_f64 v[133:134], v[133:134], v[176:177]
	v_fma_f64 v[150:151], v[162:163], v[150:151], -v[164:165]
	s_delay_alu instid0(VALU_DEP_1) | instskip(NEXT) | instid1(VALU_DEP_1)
	v_fma_f64 v[146:147], v[162:163], v[146:147], v[150:151]
	v_add_f64 v[150:151], v[164:165], v[146:147]
	s_delay_alu instid0(VALU_DEP_1) | instskip(SKIP_1) | instid1(VALU_DEP_2)
	v_add_f64 v[166:167], v[148:149], -v[150:151]
	v_add_f64 v[164:165], v[150:151], -v[164:165]
	;; [unrolled: 1-line block ×3, first 2 shown]
	s_delay_alu instid0(VALU_DEP_2) | instskip(NEXT) | instid1(VALU_DEP_2)
	v_add_f64 v[146:147], v[164:165], -v[146:147]
	v_add_f64 v[148:149], v[148:149], -v[150:151]
	s_delay_alu instid0(VALU_DEP_1) | instskip(SKIP_1) | instid1(VALU_DEP_2)
	v_add_f64 v[133:134], v[133:134], v[148:149]
	v_add_f64 v[148:149], v[160:161], v[162:163]
	;; [unrolled: 1-line block ×3, first 2 shown]
	s_delay_alu instid0(VALU_DEP_2) | instskip(NEXT) | instid1(VALU_DEP_2)
	v_add_f64 v[146:147], v[148:149], -v[160:161]
	v_add_f64 v[133:134], v[166:167], v[133:134]
	s_delay_alu instid0(VALU_DEP_2) | instskip(NEXT) | instid1(VALU_DEP_2)
	v_add_f64 v[146:147], v[162:163], -v[146:147]
	v_mul_f64 v[133:134], v[144:145], v[133:134]
	s_delay_alu instid0(VALU_DEP_1) | instskip(NEXT) | instid1(VALU_DEP_1)
	v_add_f64 v[133:134], v[146:147], v[133:134]
	v_add_f64 v[144:145], v[148:149], v[133:134]
	s_delay_alu instid0(VALU_DEP_1) | instskip(NEXT) | instid1(VALU_DEP_1)
	v_mul_f64 v[146:147], v[144:145], v[144:145]
	v_fma_f64 v[150:151], v[146:147], s[20:21], s[18:19]
	s_mov_b32 s18, 0xd7f4df2e
	s_mov_b32 s19, 0x3fc7474d
	v_mul_f64 v[160:161], v[144:145], v[146:147]
	s_delay_alu instid0(VALU_DEP_2)
	v_fma_f64 v[150:151], v[146:147], v[150:151], s[18:19]
	s_mov_b32 s18, 0x16291751
	s_mov_b32 s19, 0x3fcc71c0
	s_delay_alu instid0(VALU_DEP_1) | instid1(SALU_CYCLE_1)
	v_fma_f64 v[150:151], v[146:147], v[150:151], s[18:19]
	s_mov_b32 s18, 0x9b27acf1
	s_mov_b32 s19, 0x3fd24924
	s_delay_alu instid0(VALU_DEP_1) | instid1(SALU_CYCLE_1)
	;; [unrolled: 4-line block ×3, first 2 shown]
	v_fma_f64 v[150:151], v[146:147], v[150:151], s[18:19]
	s_delay_alu instid0(VALU_DEP_1) | instskip(SKIP_2) | instid1(VALU_DEP_3)
	v_fma_f64 v[146:147], v[146:147], v[150:151], s[8:9]
	v_ldexp_f64 v[150:151], v[144:145], 1
	v_add_f64 v[144:145], v[144:145], -v[148:149]
	v_mul_f64 v[146:147], v[160:161], v[146:147]
	v_cvt_f64_i32_e32 v[160:161], v214
	s_delay_alu instid0(VALU_DEP_3) | instskip(NEXT) | instid1(VALU_DEP_3)
	v_add_f64 v[133:134], v[133:134], -v[144:145]
	v_add_f64 v[148:149], v[150:151], v[146:147]
	s_delay_alu instid0(VALU_DEP_3) | instskip(NEXT) | instid1(VALU_DEP_3)
	v_mul_f64 v[162:163], v[160:161], s[4:5]
	v_ldexp_f64 v[133:134], v[133:134], 1
	s_delay_alu instid0(VALU_DEP_3) | instskip(NEXT) | instid1(VALU_DEP_3)
	v_add_f64 v[144:145], v[148:149], -v[150:151]
	v_fma_f64 v[150:151], v[160:161], s[4:5], -v[162:163]
	s_delay_alu instid0(VALU_DEP_2) | instskip(NEXT) | instid1(VALU_DEP_2)
	v_add_f64 v[144:145], v[146:147], -v[144:145]
	v_fma_f64 v[146:147], v[160:161], s[6:7], v[150:151]
	s_delay_alu instid0(VALU_DEP_2) | instskip(NEXT) | instid1(VALU_DEP_2)
	v_add_f64 v[133:134], v[133:134], v[144:145]
	v_add_f64 v[144:145], v[162:163], v[146:147]
	s_delay_alu instid0(VALU_DEP_2) | instskip(NEXT) | instid1(VALU_DEP_2)
	v_add_f64 v[150:151], v[148:149], v[133:134]
	v_add_f64 v[162:163], v[144:145], -v[162:163]
	s_delay_alu instid0(VALU_DEP_2) | instskip(SKIP_1) | instid1(VALU_DEP_3)
	v_add_f64 v[160:161], v[144:145], v[150:151]
	v_add_f64 v[148:149], v[150:151], -v[148:149]
	v_add_f64 v[146:147], v[146:147], -v[162:163]
	s_delay_alu instid0(VALU_DEP_3) | instskip(NEXT) | instid1(VALU_DEP_3)
	v_add_f64 v[164:165], v[160:161], -v[144:145]
	v_add_f64 v[133:134], v[133:134], -v[148:149]
	s_delay_alu instid0(VALU_DEP_2) | instskip(SKIP_1) | instid1(VALU_DEP_3)
	v_add_f64 v[166:167], v[160:161], -v[164:165]
	v_add_f64 v[148:149], v[150:151], -v[164:165]
	v_add_f64 v[150:151], v[146:147], v[133:134]
	s_delay_alu instid0(VALU_DEP_3) | instskip(NEXT) | instid1(VALU_DEP_1)
	v_add_f64 v[144:145], v[144:145], -v[166:167]
	v_add_f64 v[144:145], v[148:149], v[144:145]
	s_delay_alu instid0(VALU_DEP_3) | instskip(NEXT) | instid1(VALU_DEP_2)
	v_add_f64 v[148:149], v[150:151], -v[146:147]
	v_add_f64 v[144:145], v[150:151], v[144:145]
	s_delay_alu instid0(VALU_DEP_2) | instskip(SKIP_1) | instid1(VALU_DEP_3)
	v_add_f64 v[150:151], v[150:151], -v[148:149]
	v_add_f64 v[133:134], v[133:134], -v[148:149]
	v_add_f64 v[162:163], v[160:161], v[144:145]
	s_delay_alu instid0(VALU_DEP_3) | instskip(NEXT) | instid1(VALU_DEP_2)
	v_add_f64 v[146:147], v[146:147], -v[150:151]
	v_add_f64 v[148:149], v[162:163], -v[160:161]
	s_delay_alu instid0(VALU_DEP_2) | instskip(NEXT) | instid1(VALU_DEP_2)
	v_add_f64 v[133:134], v[133:134], v[146:147]
	v_add_f64 v[144:145], v[144:145], -v[148:149]
	s_delay_alu instid0(VALU_DEP_1) | instskip(NEXT) | instid1(VALU_DEP_1)
	v_add_f64 v[133:134], v[133:134], v[144:145]
	v_add_f64 v[133:134], v[162:163], v[133:134]
	s_delay_alu instid0(VALU_DEP_1) | instskip(SKIP_1) | instid1(VALU_DEP_2)
	v_dual_cndmask_b32 v133, v133, v24 :: v_dual_cndmask_b32 v134, v134, v25
	v_cmp_ngt_f64_e32 vcc_lo, -1.0, v[24:25]
	v_cndmask_b32_e32 v134, 0x7ff80000, v134, vcc_lo
	v_cmp_nge_f64_e32 vcc_lo, -1.0, v[24:25]
	s_delay_alu instid0(VALU_DEP_4) | instskip(SKIP_1) | instid1(VALU_DEP_4)
	v_cndmask_b32_e32 v133, 0, v133, vcc_lo
	v_cmp_neq_f64_e32 vcc_lo, -1.0, v[24:25]
	v_cndmask_b32_e32 v134, 0xfff00000, v134, vcc_lo
	s_delay_alu instid0(VALU_DEP_1)
	v_add_f64 v[24:25], v[26:27], v[133:134]
.LBB76_245:
	s_or_b32 exec_lo, exec_lo, s10
	s_delay_alu instid0(VALU_DEP_1) | instskip(SKIP_1) | instid1(VALU_DEP_2)
	v_max_f64 v[26:27], v[24:25], v[24:25]
	v_cmp_u_f64_e32 vcc_lo, v[24:25], v[24:25]
	v_min_f64 v[133:134], v[26:27], v[28:29]
	v_max_f64 v[26:27], v[26:27], v[28:29]
	s_delay_alu instid0(VALU_DEP_2) | instskip(NEXT) | instid1(VALU_DEP_2)
	v_dual_cndmask_b32 v28, v133, v24 :: v_dual_cndmask_b32 v29, v134, v25
	v_dual_cndmask_b32 v27, v27, v25 :: v_dual_cndmask_b32 v26, v26, v24
	s_delay_alu instid0(VALU_DEP_2) | instskip(NEXT) | instid1(VALU_DEP_3)
	v_cndmask_b32_e64 v133, v28, v82, s13
	v_cndmask_b32_e64 v134, v29, v83, s13
	s_delay_alu instid0(VALU_DEP_3) | instskip(NEXT) | instid1(VALU_DEP_4)
	v_cndmask_b32_e64 v29, v27, v83, s13
	v_cndmask_b32_e64 v28, v26, v82, s13
	v_dual_mov_b32 v27, v25 :: v_dual_mov_b32 v26, v24
	s_delay_alu instid0(VALU_DEP_4) | instskip(NEXT) | instid1(VALU_DEP_3)
	v_cmp_class_f64_e64 s3, v[133:134], 0x1f8
	v_cmp_neq_f64_e32 vcc_lo, v[133:134], v[28:29]
	s_delay_alu instid0(VALU_DEP_2) | instskip(NEXT) | instid1(SALU_CYCLE_1)
	s_or_b32 s3, vcc_lo, s3
	s_and_saveexec_b32 s10, s3
	s_cbranch_execz .LBB76_247
; %bb.246:
	v_add_f64 v[26:27], v[133:134], -v[28:29]
	s_mov_b32 s4, 0x652b82fe
	s_mov_b32 s5, 0x3ff71547
	;; [unrolled: 1-line block ×10, first 2 shown]
	s_delay_alu instid0(VALU_DEP_1) | instskip(SKIP_4) | instid1(VALU_DEP_3)
	v_mul_f64 v[133:134], v[26:27], s[4:5]
	s_mov_b32 s5, 0xbfe62e42
	s_mov_b32 s4, 0xfefa39ef
	v_cmp_nlt_f64_e32 vcc_lo, 0x40900000, v[26:27]
	v_cmp_ngt_f64_e64 s3, 0xc090cc00, v[26:27]
	v_rndne_f64_e32 v[133:134], v[133:134]
	s_delay_alu instid0(VALU_DEP_1) | instskip(SKIP_2) | instid1(VALU_DEP_2)
	v_fma_f64 v[144:145], v[133:134], s[4:5], v[26:27]
	v_cvt_i32_f64_e32 v148, v[133:134]
	s_mov_b32 s5, 0x3fe62e42
	v_fma_f64 v[144:145], v[133:134], s[6:7], v[144:145]
	s_mov_b32 s7, 0x3c7abc9e
	s_delay_alu instid0(VALU_DEP_1) | instskip(SKIP_4) | instid1(VALU_DEP_1)
	v_fma_f64 v[146:147], v[144:145], s[12:13], s[8:9]
	s_mov_b32 s8, 0x623fde64
	s_mov_b32 s9, 0x3ec71dee
	;; [unrolled: 1-line block ×4, first 2 shown]
	v_fma_f64 v[146:147], v[144:145], v[146:147], s[8:9]
	s_mov_b32 s8, 0x7c89e6b0
	s_mov_b32 s9, 0x3efa0199
	s_delay_alu instid0(VALU_DEP_1) | instid1(SALU_CYCLE_1)
	v_fma_f64 v[146:147], v[144:145], v[146:147], s[8:9]
	s_mov_b32 s8, 0x14761f6e
	s_mov_b32 s9, 0x3f2a01a0
	s_delay_alu instid0(VALU_DEP_1) | instid1(SALU_CYCLE_1)
	;; [unrolled: 4-line block ×7, first 2 shown]
	v_fma_f64 v[146:147], v[144:145], v[146:147], s[8:9]
	s_mov_b32 s9, 0x3fe55555
	s_mov_b32 s8, 0x55555555
	s_delay_alu instid0(VALU_DEP_1) | instskip(NEXT) | instid1(VALU_DEP_1)
	v_fma_f64 v[146:147], v[144:145], v[146:147], 1.0
	v_fma_f64 v[133:134], v[144:145], v[146:147], 1.0
	s_delay_alu instid0(VALU_DEP_1) | instskip(NEXT) | instid1(VALU_DEP_1)
	v_ldexp_f64 v[133:134], v[133:134], v148
	v_cndmask_b32_e32 v134, 0x7ff00000, v134, vcc_lo
	s_and_b32 vcc_lo, s3, vcc_lo
	s_delay_alu instid0(VALU_DEP_2) | instskip(NEXT) | instid1(VALU_DEP_2)
	v_cndmask_b32_e32 v26, 0, v133, vcc_lo
	v_cndmask_b32_e64 v27, 0, v134, s3
	s_delay_alu instid0(VALU_DEP_1) | instskip(NEXT) | instid1(VALU_DEP_1)
	v_add_f64 v[133:134], v[26:27], 1.0
	v_frexp_mant_f64_e32 v[144:145], v[133:134]
	v_frexp_exp_i32_f64_e32 v148, v[133:134]
	v_add_f64 v[146:147], v[133:134], -1.0
	s_delay_alu instid0(VALU_DEP_3) | instskip(SKIP_1) | instid1(VALU_DEP_2)
	v_cmp_gt_f64_e32 vcc_lo, s[8:9], v[144:145]
	s_mov_b32 s8, 0x55555780
	v_add_f64 v[144:145], v[146:147], -v[133:134]
	v_add_f64 v[146:147], v[26:27], -v[146:147]
	v_subrev_co_ci_u32_e32 v214, vcc_lo, 0, v148, vcc_lo
	s_delay_alu instid0(VALU_DEP_3) | instskip(SKIP_1) | instid1(VALU_DEP_3)
	v_add_f64 v[144:145], v[144:145], 1.0
	v_cmp_eq_f64_e32 vcc_lo, 0x7ff00000, v[26:27]
	v_sub_nc_u32_e32 v150, 0, v214
	s_delay_alu instid0(VALU_DEP_1) | instskip(NEXT) | instid1(VALU_DEP_4)
	v_ldexp_f64 v[133:134], v[133:134], v150
	v_add_f64 v[144:145], v[146:147], v[144:145]
	s_delay_alu instid0(VALU_DEP_2) | instskip(SKIP_1) | instid1(VALU_DEP_3)
	v_add_f64 v[148:149], v[133:134], 1.0
	v_add_f64 v[162:163], v[133:134], -1.0
	v_ldexp_f64 v[144:145], v[144:145], v150
	s_delay_alu instid0(VALU_DEP_3) | instskip(NEXT) | instid1(VALU_DEP_3)
	v_add_f64 v[146:147], v[148:149], -1.0
	v_add_f64 v[164:165], v[162:163], 1.0
	s_delay_alu instid0(VALU_DEP_2) | instskip(NEXT) | instid1(VALU_DEP_2)
	v_add_f64 v[146:147], v[133:134], -v[146:147]
	v_add_f64 v[133:134], v[133:134], -v[164:165]
	s_delay_alu instid0(VALU_DEP_2) | instskip(NEXT) | instid1(VALU_DEP_2)
	v_add_f64 v[146:147], v[144:145], v[146:147]
	v_add_f64 v[133:134], v[144:145], v[133:134]
	s_delay_alu instid0(VALU_DEP_2) | instskip(NEXT) | instid1(VALU_DEP_2)
	v_add_f64 v[150:151], v[148:149], v[146:147]
	v_add_f64 v[164:165], v[162:163], v[133:134]
	s_delay_alu instid0(VALU_DEP_2) | instskip(SKIP_1) | instid1(VALU_DEP_2)
	v_rcp_f64_e32 v[160:161], v[150:151]
	v_add_f64 v[148:149], v[150:151], -v[148:149]
	v_add_f64 v[162:163], v[164:165], -v[162:163]
	s_delay_alu instid0(VALU_DEP_2) | instskip(SKIP_3) | instid1(VALU_DEP_2)
	v_add_f64 v[146:147], v[146:147], -v[148:149]
	s_waitcnt_depctr 0xfff
	v_fma_f64 v[166:167], -v[150:151], v[160:161], 1.0
	v_add_f64 v[133:134], v[133:134], -v[162:163]
	v_fma_f64 v[160:161], v[166:167], v[160:161], v[160:161]
	s_delay_alu instid0(VALU_DEP_1) | instskip(NEXT) | instid1(VALU_DEP_1)
	v_fma_f64 v[144:145], -v[150:151], v[160:161], 1.0
	v_fma_f64 v[144:145], v[144:145], v[160:161], v[160:161]
	s_delay_alu instid0(VALU_DEP_1) | instskip(NEXT) | instid1(VALU_DEP_1)
	v_mul_f64 v[160:161], v[164:165], v[144:145]
	v_mul_f64 v[166:167], v[150:151], v[160:161]
	s_delay_alu instid0(VALU_DEP_1) | instskip(NEXT) | instid1(VALU_DEP_1)
	v_fma_f64 v[148:149], v[160:161], v[150:151], -v[166:167]
	v_fma_f64 v[148:149], v[160:161], v[146:147], v[148:149]
	s_delay_alu instid0(VALU_DEP_1) | instskip(NEXT) | instid1(VALU_DEP_1)
	v_add_f64 v[176:177], v[166:167], v[148:149]
	v_add_f64 v[212:213], v[164:165], -v[176:177]
	v_add_f64 v[162:163], v[176:177], -v[166:167]
	s_delay_alu instid0(VALU_DEP_2) | instskip(NEXT) | instid1(VALU_DEP_2)
	v_add_f64 v[164:165], v[164:165], -v[212:213]
	v_add_f64 v[148:149], v[162:163], -v[148:149]
	s_delay_alu instid0(VALU_DEP_2) | instskip(NEXT) | instid1(VALU_DEP_1)
	v_add_f64 v[164:165], v[164:165], -v[176:177]
	v_add_f64 v[133:134], v[133:134], v[164:165]
	s_delay_alu instid0(VALU_DEP_1) | instskip(NEXT) | instid1(VALU_DEP_1)
	v_add_f64 v[133:134], v[148:149], v[133:134]
	v_add_f64 v[148:149], v[212:213], v[133:134]
	s_delay_alu instid0(VALU_DEP_1) | instskip(SKIP_1) | instid1(VALU_DEP_2)
	v_mul_f64 v[162:163], v[144:145], v[148:149]
	v_add_f64 v[176:177], v[212:213], -v[148:149]
	v_mul_f64 v[164:165], v[150:151], v[162:163]
	s_delay_alu instid0(VALU_DEP_2) | instskip(NEXT) | instid1(VALU_DEP_2)
	v_add_f64 v[133:134], v[133:134], v[176:177]
	v_fma_f64 v[150:151], v[162:163], v[150:151], -v[164:165]
	s_delay_alu instid0(VALU_DEP_1) | instskip(NEXT) | instid1(VALU_DEP_1)
	v_fma_f64 v[146:147], v[162:163], v[146:147], v[150:151]
	v_add_f64 v[150:151], v[164:165], v[146:147]
	s_delay_alu instid0(VALU_DEP_1) | instskip(SKIP_1) | instid1(VALU_DEP_2)
	v_add_f64 v[166:167], v[148:149], -v[150:151]
	v_add_f64 v[164:165], v[150:151], -v[164:165]
	;; [unrolled: 1-line block ×3, first 2 shown]
	s_delay_alu instid0(VALU_DEP_2) | instskip(NEXT) | instid1(VALU_DEP_2)
	v_add_f64 v[146:147], v[164:165], -v[146:147]
	v_add_f64 v[148:149], v[148:149], -v[150:151]
	s_delay_alu instid0(VALU_DEP_1) | instskip(SKIP_1) | instid1(VALU_DEP_2)
	v_add_f64 v[133:134], v[133:134], v[148:149]
	v_add_f64 v[148:149], v[160:161], v[162:163]
	v_add_f64 v[133:134], v[146:147], v[133:134]
	s_delay_alu instid0(VALU_DEP_2) | instskip(NEXT) | instid1(VALU_DEP_2)
	v_add_f64 v[146:147], v[148:149], -v[160:161]
	v_add_f64 v[133:134], v[166:167], v[133:134]
	s_delay_alu instid0(VALU_DEP_2) | instskip(NEXT) | instid1(VALU_DEP_2)
	v_add_f64 v[146:147], v[162:163], -v[146:147]
	v_mul_f64 v[133:134], v[144:145], v[133:134]
	s_delay_alu instid0(VALU_DEP_1) | instskip(NEXT) | instid1(VALU_DEP_1)
	v_add_f64 v[133:134], v[146:147], v[133:134]
	v_add_f64 v[144:145], v[148:149], v[133:134]
	s_delay_alu instid0(VALU_DEP_1) | instskip(NEXT) | instid1(VALU_DEP_1)
	v_mul_f64 v[146:147], v[144:145], v[144:145]
	v_fma_f64 v[150:151], v[146:147], s[18:19], s[12:13]
	s_mov_b32 s12, 0xd7f4df2e
	s_mov_b32 s13, 0x3fc7474d
	v_mul_f64 v[160:161], v[144:145], v[146:147]
	s_delay_alu instid0(VALU_DEP_2)
	v_fma_f64 v[150:151], v[146:147], v[150:151], s[12:13]
	s_mov_b32 s12, 0x16291751
	s_mov_b32 s13, 0x3fcc71c0
	s_delay_alu instid0(VALU_DEP_1) | instid1(SALU_CYCLE_1)
	v_fma_f64 v[150:151], v[146:147], v[150:151], s[12:13]
	s_mov_b32 s12, 0x9b27acf1
	s_mov_b32 s13, 0x3fd24924
	s_delay_alu instid0(VALU_DEP_1) | instid1(SALU_CYCLE_1)
	;; [unrolled: 4-line block ×3, first 2 shown]
	v_fma_f64 v[150:151], v[146:147], v[150:151], s[12:13]
	s_delay_alu instid0(VALU_DEP_1) | instskip(SKIP_2) | instid1(VALU_DEP_3)
	v_fma_f64 v[146:147], v[146:147], v[150:151], s[8:9]
	v_ldexp_f64 v[150:151], v[144:145], 1
	v_add_f64 v[144:145], v[144:145], -v[148:149]
	v_mul_f64 v[146:147], v[160:161], v[146:147]
	v_cvt_f64_i32_e32 v[160:161], v214
	s_delay_alu instid0(VALU_DEP_3) | instskip(NEXT) | instid1(VALU_DEP_3)
	v_add_f64 v[133:134], v[133:134], -v[144:145]
	v_add_f64 v[148:149], v[150:151], v[146:147]
	s_delay_alu instid0(VALU_DEP_3) | instskip(NEXT) | instid1(VALU_DEP_3)
	v_mul_f64 v[162:163], v[160:161], s[4:5]
	v_ldexp_f64 v[133:134], v[133:134], 1
	s_delay_alu instid0(VALU_DEP_3) | instskip(NEXT) | instid1(VALU_DEP_3)
	v_add_f64 v[144:145], v[148:149], -v[150:151]
	v_fma_f64 v[150:151], v[160:161], s[4:5], -v[162:163]
	s_delay_alu instid0(VALU_DEP_2) | instskip(NEXT) | instid1(VALU_DEP_2)
	v_add_f64 v[144:145], v[146:147], -v[144:145]
	v_fma_f64 v[146:147], v[160:161], s[6:7], v[150:151]
	s_delay_alu instid0(VALU_DEP_2) | instskip(NEXT) | instid1(VALU_DEP_2)
	v_add_f64 v[133:134], v[133:134], v[144:145]
	v_add_f64 v[144:145], v[162:163], v[146:147]
	s_delay_alu instid0(VALU_DEP_2) | instskip(NEXT) | instid1(VALU_DEP_2)
	v_add_f64 v[150:151], v[148:149], v[133:134]
	v_add_f64 v[162:163], v[144:145], -v[162:163]
	s_delay_alu instid0(VALU_DEP_2) | instskip(SKIP_1) | instid1(VALU_DEP_3)
	v_add_f64 v[160:161], v[144:145], v[150:151]
	v_add_f64 v[148:149], v[150:151], -v[148:149]
	v_add_f64 v[146:147], v[146:147], -v[162:163]
	s_delay_alu instid0(VALU_DEP_3) | instskip(NEXT) | instid1(VALU_DEP_3)
	v_add_f64 v[164:165], v[160:161], -v[144:145]
	v_add_f64 v[133:134], v[133:134], -v[148:149]
	s_delay_alu instid0(VALU_DEP_2) | instskip(SKIP_1) | instid1(VALU_DEP_3)
	v_add_f64 v[166:167], v[160:161], -v[164:165]
	v_add_f64 v[148:149], v[150:151], -v[164:165]
	v_add_f64 v[150:151], v[146:147], v[133:134]
	s_delay_alu instid0(VALU_DEP_3) | instskip(NEXT) | instid1(VALU_DEP_1)
	v_add_f64 v[144:145], v[144:145], -v[166:167]
	v_add_f64 v[144:145], v[148:149], v[144:145]
	s_delay_alu instid0(VALU_DEP_3) | instskip(NEXT) | instid1(VALU_DEP_2)
	v_add_f64 v[148:149], v[150:151], -v[146:147]
	v_add_f64 v[144:145], v[150:151], v[144:145]
	s_delay_alu instid0(VALU_DEP_2) | instskip(SKIP_1) | instid1(VALU_DEP_3)
	v_add_f64 v[150:151], v[150:151], -v[148:149]
	v_add_f64 v[133:134], v[133:134], -v[148:149]
	v_add_f64 v[162:163], v[160:161], v[144:145]
	s_delay_alu instid0(VALU_DEP_3) | instskip(NEXT) | instid1(VALU_DEP_2)
	v_add_f64 v[146:147], v[146:147], -v[150:151]
	v_add_f64 v[148:149], v[162:163], -v[160:161]
	s_delay_alu instid0(VALU_DEP_2) | instskip(NEXT) | instid1(VALU_DEP_2)
	v_add_f64 v[133:134], v[133:134], v[146:147]
	v_add_f64 v[144:145], v[144:145], -v[148:149]
	s_delay_alu instid0(VALU_DEP_1) | instskip(NEXT) | instid1(VALU_DEP_1)
	v_add_f64 v[133:134], v[133:134], v[144:145]
	v_add_f64 v[133:134], v[162:163], v[133:134]
	s_delay_alu instid0(VALU_DEP_1) | instskip(SKIP_1) | instid1(VALU_DEP_2)
	v_dual_cndmask_b32 v133, v133, v26 :: v_dual_cndmask_b32 v134, v134, v27
	v_cmp_ngt_f64_e32 vcc_lo, -1.0, v[26:27]
	v_cndmask_b32_e32 v134, 0x7ff80000, v134, vcc_lo
	v_cmp_nge_f64_e32 vcc_lo, -1.0, v[26:27]
	s_delay_alu instid0(VALU_DEP_4) | instskip(SKIP_1) | instid1(VALU_DEP_4)
	v_cndmask_b32_e32 v133, 0, v133, vcc_lo
	v_cmp_neq_f64_e32 vcc_lo, -1.0, v[26:27]
	v_cndmask_b32_e32 v134, 0xfff00000, v134, vcc_lo
	s_delay_alu instid0(VALU_DEP_1)
	v_add_f64 v[26:27], v[28:29], v[133:134]
.LBB76_247:
	s_or_b32 exec_lo, exec_lo, s10
	s_delay_alu instid0(VALU_DEP_1) | instskip(SKIP_1) | instid1(VALU_DEP_2)
	v_max_f64 v[28:29], v[26:27], v[26:27]
	v_cmp_u_f64_e32 vcc_lo, v[26:27], v[26:27]
	v_min_f64 v[133:134], v[28:29], v[30:31]
	v_max_f64 v[28:29], v[28:29], v[30:31]
	s_delay_alu instid0(VALU_DEP_2) | instskip(NEXT) | instid1(VALU_DEP_2)
	v_dual_cndmask_b32 v30, v133, v26 :: v_dual_cndmask_b32 v31, v134, v27
	v_dual_cndmask_b32 v29, v29, v27 :: v_dual_cndmask_b32 v28, v28, v26
	s_delay_alu instid0(VALU_DEP_2) | instskip(NEXT) | instid1(VALU_DEP_3)
	v_cndmask_b32_e64 v133, v30, v68, s14
	v_cndmask_b32_e64 v134, v31, v69, s14
	s_delay_alu instid0(VALU_DEP_3) | instskip(NEXT) | instid1(VALU_DEP_4)
	v_cndmask_b32_e64 v31, v29, v69, s14
	v_cndmask_b32_e64 v30, v28, v68, s14
	v_dual_mov_b32 v29, v27 :: v_dual_mov_b32 v28, v26
	s_delay_alu instid0(VALU_DEP_4) | instskip(NEXT) | instid1(VALU_DEP_3)
	v_cmp_class_f64_e64 s3, v[133:134], 0x1f8
	v_cmp_neq_f64_e32 vcc_lo, v[133:134], v[30:31]
	s_delay_alu instid0(VALU_DEP_2) | instskip(NEXT) | instid1(SALU_CYCLE_1)
	s_or_b32 s3, vcc_lo, s3
	s_and_saveexec_b32 s10, s3
	s_cbranch_execz .LBB76_249
; %bb.248:
	v_add_f64 v[28:29], v[133:134], -v[30:31]
	s_mov_b32 s4, 0x652b82fe
	s_mov_b32 s5, 0x3ff71547
	;; [unrolled: 1-line block ×10, first 2 shown]
	s_delay_alu instid0(VALU_DEP_1) | instskip(SKIP_4) | instid1(VALU_DEP_3)
	v_mul_f64 v[133:134], v[28:29], s[4:5]
	s_mov_b32 s5, 0xbfe62e42
	s_mov_b32 s4, 0xfefa39ef
	v_cmp_nlt_f64_e32 vcc_lo, 0x40900000, v[28:29]
	v_cmp_ngt_f64_e64 s3, 0xc090cc00, v[28:29]
	v_rndne_f64_e32 v[133:134], v[133:134]
	s_delay_alu instid0(VALU_DEP_1) | instskip(SKIP_2) | instid1(VALU_DEP_2)
	v_fma_f64 v[144:145], v[133:134], s[4:5], v[28:29]
	v_cvt_i32_f64_e32 v148, v[133:134]
	s_mov_b32 s5, 0x3fe62e42
	v_fma_f64 v[144:145], v[133:134], s[6:7], v[144:145]
	s_mov_b32 s7, 0x3c7abc9e
	s_delay_alu instid0(VALU_DEP_1) | instskip(SKIP_4) | instid1(VALU_DEP_1)
	v_fma_f64 v[146:147], v[144:145], s[12:13], s[8:9]
	s_mov_b32 s8, 0x623fde64
	s_mov_b32 s9, 0x3ec71dee
	;; [unrolled: 1-line block ×4, first 2 shown]
	v_fma_f64 v[146:147], v[144:145], v[146:147], s[8:9]
	s_mov_b32 s8, 0x7c89e6b0
	s_mov_b32 s9, 0x3efa0199
	s_delay_alu instid0(VALU_DEP_1) | instid1(SALU_CYCLE_1)
	v_fma_f64 v[146:147], v[144:145], v[146:147], s[8:9]
	s_mov_b32 s8, 0x14761f6e
	s_mov_b32 s9, 0x3f2a01a0
	s_delay_alu instid0(VALU_DEP_1) | instid1(SALU_CYCLE_1)
	;; [unrolled: 4-line block ×7, first 2 shown]
	v_fma_f64 v[146:147], v[144:145], v[146:147], s[8:9]
	s_mov_b32 s9, 0x3fe55555
	s_mov_b32 s8, 0x55555555
	s_delay_alu instid0(VALU_DEP_1) | instskip(NEXT) | instid1(VALU_DEP_1)
	v_fma_f64 v[146:147], v[144:145], v[146:147], 1.0
	v_fma_f64 v[133:134], v[144:145], v[146:147], 1.0
	s_delay_alu instid0(VALU_DEP_1) | instskip(NEXT) | instid1(VALU_DEP_1)
	v_ldexp_f64 v[133:134], v[133:134], v148
	v_cndmask_b32_e32 v134, 0x7ff00000, v134, vcc_lo
	s_and_b32 vcc_lo, s3, vcc_lo
	s_delay_alu instid0(VALU_DEP_2) | instskip(NEXT) | instid1(VALU_DEP_2)
	v_cndmask_b32_e32 v28, 0, v133, vcc_lo
	v_cndmask_b32_e64 v29, 0, v134, s3
	s_delay_alu instid0(VALU_DEP_1) | instskip(NEXT) | instid1(VALU_DEP_1)
	v_add_f64 v[133:134], v[28:29], 1.0
	v_frexp_mant_f64_e32 v[144:145], v[133:134]
	v_frexp_exp_i32_f64_e32 v148, v[133:134]
	v_add_f64 v[146:147], v[133:134], -1.0
	s_delay_alu instid0(VALU_DEP_3) | instskip(SKIP_1) | instid1(VALU_DEP_2)
	v_cmp_gt_f64_e32 vcc_lo, s[8:9], v[144:145]
	s_mov_b32 s8, 0x55555780
	v_add_f64 v[144:145], v[146:147], -v[133:134]
	v_add_f64 v[146:147], v[28:29], -v[146:147]
	v_subrev_co_ci_u32_e32 v214, vcc_lo, 0, v148, vcc_lo
	s_delay_alu instid0(VALU_DEP_3) | instskip(SKIP_1) | instid1(VALU_DEP_3)
	v_add_f64 v[144:145], v[144:145], 1.0
	v_cmp_eq_f64_e32 vcc_lo, 0x7ff00000, v[28:29]
	v_sub_nc_u32_e32 v150, 0, v214
	s_delay_alu instid0(VALU_DEP_1) | instskip(NEXT) | instid1(VALU_DEP_4)
	v_ldexp_f64 v[133:134], v[133:134], v150
	v_add_f64 v[144:145], v[146:147], v[144:145]
	s_delay_alu instid0(VALU_DEP_2) | instskip(SKIP_1) | instid1(VALU_DEP_3)
	v_add_f64 v[148:149], v[133:134], 1.0
	v_add_f64 v[162:163], v[133:134], -1.0
	v_ldexp_f64 v[144:145], v[144:145], v150
	s_delay_alu instid0(VALU_DEP_3) | instskip(NEXT) | instid1(VALU_DEP_3)
	v_add_f64 v[146:147], v[148:149], -1.0
	v_add_f64 v[164:165], v[162:163], 1.0
	s_delay_alu instid0(VALU_DEP_2) | instskip(NEXT) | instid1(VALU_DEP_2)
	v_add_f64 v[146:147], v[133:134], -v[146:147]
	v_add_f64 v[133:134], v[133:134], -v[164:165]
	s_delay_alu instid0(VALU_DEP_2) | instskip(NEXT) | instid1(VALU_DEP_2)
	v_add_f64 v[146:147], v[144:145], v[146:147]
	v_add_f64 v[133:134], v[144:145], v[133:134]
	s_delay_alu instid0(VALU_DEP_2) | instskip(NEXT) | instid1(VALU_DEP_2)
	v_add_f64 v[150:151], v[148:149], v[146:147]
	v_add_f64 v[164:165], v[162:163], v[133:134]
	s_delay_alu instid0(VALU_DEP_2) | instskip(SKIP_1) | instid1(VALU_DEP_2)
	v_rcp_f64_e32 v[160:161], v[150:151]
	v_add_f64 v[148:149], v[150:151], -v[148:149]
	v_add_f64 v[162:163], v[164:165], -v[162:163]
	s_delay_alu instid0(VALU_DEP_2) | instskip(SKIP_3) | instid1(VALU_DEP_2)
	v_add_f64 v[146:147], v[146:147], -v[148:149]
	s_waitcnt_depctr 0xfff
	v_fma_f64 v[166:167], -v[150:151], v[160:161], 1.0
	v_add_f64 v[133:134], v[133:134], -v[162:163]
	v_fma_f64 v[160:161], v[166:167], v[160:161], v[160:161]
	s_delay_alu instid0(VALU_DEP_1) | instskip(NEXT) | instid1(VALU_DEP_1)
	v_fma_f64 v[144:145], -v[150:151], v[160:161], 1.0
	v_fma_f64 v[144:145], v[144:145], v[160:161], v[160:161]
	s_delay_alu instid0(VALU_DEP_1) | instskip(NEXT) | instid1(VALU_DEP_1)
	v_mul_f64 v[160:161], v[164:165], v[144:145]
	v_mul_f64 v[166:167], v[150:151], v[160:161]
	s_delay_alu instid0(VALU_DEP_1) | instskip(NEXT) | instid1(VALU_DEP_1)
	v_fma_f64 v[148:149], v[160:161], v[150:151], -v[166:167]
	v_fma_f64 v[148:149], v[160:161], v[146:147], v[148:149]
	s_delay_alu instid0(VALU_DEP_1) | instskip(NEXT) | instid1(VALU_DEP_1)
	v_add_f64 v[176:177], v[166:167], v[148:149]
	v_add_f64 v[212:213], v[164:165], -v[176:177]
	v_add_f64 v[162:163], v[176:177], -v[166:167]
	s_delay_alu instid0(VALU_DEP_2) | instskip(NEXT) | instid1(VALU_DEP_2)
	v_add_f64 v[164:165], v[164:165], -v[212:213]
	v_add_f64 v[148:149], v[162:163], -v[148:149]
	s_delay_alu instid0(VALU_DEP_2) | instskip(NEXT) | instid1(VALU_DEP_1)
	v_add_f64 v[164:165], v[164:165], -v[176:177]
	v_add_f64 v[133:134], v[133:134], v[164:165]
	s_delay_alu instid0(VALU_DEP_1) | instskip(NEXT) | instid1(VALU_DEP_1)
	v_add_f64 v[133:134], v[148:149], v[133:134]
	v_add_f64 v[148:149], v[212:213], v[133:134]
	s_delay_alu instid0(VALU_DEP_1) | instskip(SKIP_1) | instid1(VALU_DEP_2)
	v_mul_f64 v[162:163], v[144:145], v[148:149]
	v_add_f64 v[176:177], v[212:213], -v[148:149]
	v_mul_f64 v[164:165], v[150:151], v[162:163]
	s_delay_alu instid0(VALU_DEP_2) | instskip(NEXT) | instid1(VALU_DEP_2)
	v_add_f64 v[133:134], v[133:134], v[176:177]
	v_fma_f64 v[150:151], v[162:163], v[150:151], -v[164:165]
	s_delay_alu instid0(VALU_DEP_1) | instskip(NEXT) | instid1(VALU_DEP_1)
	v_fma_f64 v[146:147], v[162:163], v[146:147], v[150:151]
	v_add_f64 v[150:151], v[164:165], v[146:147]
	s_delay_alu instid0(VALU_DEP_1) | instskip(SKIP_1) | instid1(VALU_DEP_2)
	v_add_f64 v[166:167], v[148:149], -v[150:151]
	v_add_f64 v[164:165], v[150:151], -v[164:165]
	;; [unrolled: 1-line block ×3, first 2 shown]
	s_delay_alu instid0(VALU_DEP_2) | instskip(NEXT) | instid1(VALU_DEP_2)
	v_add_f64 v[146:147], v[164:165], -v[146:147]
	v_add_f64 v[148:149], v[148:149], -v[150:151]
	s_delay_alu instid0(VALU_DEP_1) | instskip(SKIP_1) | instid1(VALU_DEP_2)
	v_add_f64 v[133:134], v[133:134], v[148:149]
	v_add_f64 v[148:149], v[160:161], v[162:163]
	;; [unrolled: 1-line block ×3, first 2 shown]
	s_delay_alu instid0(VALU_DEP_2) | instskip(NEXT) | instid1(VALU_DEP_2)
	v_add_f64 v[146:147], v[148:149], -v[160:161]
	v_add_f64 v[133:134], v[166:167], v[133:134]
	s_delay_alu instid0(VALU_DEP_2) | instskip(NEXT) | instid1(VALU_DEP_2)
	v_add_f64 v[146:147], v[162:163], -v[146:147]
	v_mul_f64 v[133:134], v[144:145], v[133:134]
	s_delay_alu instid0(VALU_DEP_1) | instskip(NEXT) | instid1(VALU_DEP_1)
	v_add_f64 v[133:134], v[146:147], v[133:134]
	v_add_f64 v[144:145], v[148:149], v[133:134]
	s_delay_alu instid0(VALU_DEP_1) | instskip(NEXT) | instid1(VALU_DEP_1)
	v_mul_f64 v[146:147], v[144:145], v[144:145]
	v_fma_f64 v[150:151], v[146:147], s[18:19], s[12:13]
	s_mov_b32 s12, 0xd7f4df2e
	s_mov_b32 s13, 0x3fc7474d
	v_mul_f64 v[160:161], v[144:145], v[146:147]
	s_delay_alu instid0(VALU_DEP_2)
	v_fma_f64 v[150:151], v[146:147], v[150:151], s[12:13]
	s_mov_b32 s12, 0x16291751
	s_mov_b32 s13, 0x3fcc71c0
	s_delay_alu instid0(VALU_DEP_1) | instid1(SALU_CYCLE_1)
	v_fma_f64 v[150:151], v[146:147], v[150:151], s[12:13]
	s_mov_b32 s12, 0x9b27acf1
	s_mov_b32 s13, 0x3fd24924
	s_delay_alu instid0(VALU_DEP_1) | instid1(SALU_CYCLE_1)
	;; [unrolled: 4-line block ×3, first 2 shown]
	v_fma_f64 v[150:151], v[146:147], v[150:151], s[12:13]
	s_delay_alu instid0(VALU_DEP_1) | instskip(SKIP_2) | instid1(VALU_DEP_3)
	v_fma_f64 v[146:147], v[146:147], v[150:151], s[8:9]
	v_ldexp_f64 v[150:151], v[144:145], 1
	v_add_f64 v[144:145], v[144:145], -v[148:149]
	v_mul_f64 v[146:147], v[160:161], v[146:147]
	v_cvt_f64_i32_e32 v[160:161], v214
	s_delay_alu instid0(VALU_DEP_3) | instskip(NEXT) | instid1(VALU_DEP_3)
	v_add_f64 v[133:134], v[133:134], -v[144:145]
	v_add_f64 v[148:149], v[150:151], v[146:147]
	s_delay_alu instid0(VALU_DEP_3) | instskip(NEXT) | instid1(VALU_DEP_3)
	v_mul_f64 v[162:163], v[160:161], s[4:5]
	v_ldexp_f64 v[133:134], v[133:134], 1
	s_delay_alu instid0(VALU_DEP_3) | instskip(NEXT) | instid1(VALU_DEP_3)
	v_add_f64 v[144:145], v[148:149], -v[150:151]
	v_fma_f64 v[150:151], v[160:161], s[4:5], -v[162:163]
	s_delay_alu instid0(VALU_DEP_2) | instskip(NEXT) | instid1(VALU_DEP_2)
	v_add_f64 v[144:145], v[146:147], -v[144:145]
	v_fma_f64 v[146:147], v[160:161], s[6:7], v[150:151]
	s_delay_alu instid0(VALU_DEP_2) | instskip(NEXT) | instid1(VALU_DEP_2)
	v_add_f64 v[133:134], v[133:134], v[144:145]
	v_add_f64 v[144:145], v[162:163], v[146:147]
	s_delay_alu instid0(VALU_DEP_2) | instskip(NEXT) | instid1(VALU_DEP_2)
	v_add_f64 v[150:151], v[148:149], v[133:134]
	v_add_f64 v[162:163], v[144:145], -v[162:163]
	s_delay_alu instid0(VALU_DEP_2) | instskip(SKIP_1) | instid1(VALU_DEP_3)
	v_add_f64 v[160:161], v[144:145], v[150:151]
	v_add_f64 v[148:149], v[150:151], -v[148:149]
	v_add_f64 v[146:147], v[146:147], -v[162:163]
	s_delay_alu instid0(VALU_DEP_3) | instskip(NEXT) | instid1(VALU_DEP_3)
	v_add_f64 v[164:165], v[160:161], -v[144:145]
	v_add_f64 v[133:134], v[133:134], -v[148:149]
	s_delay_alu instid0(VALU_DEP_2) | instskip(SKIP_1) | instid1(VALU_DEP_3)
	v_add_f64 v[166:167], v[160:161], -v[164:165]
	v_add_f64 v[148:149], v[150:151], -v[164:165]
	v_add_f64 v[150:151], v[146:147], v[133:134]
	s_delay_alu instid0(VALU_DEP_3) | instskip(NEXT) | instid1(VALU_DEP_1)
	v_add_f64 v[144:145], v[144:145], -v[166:167]
	v_add_f64 v[144:145], v[148:149], v[144:145]
	s_delay_alu instid0(VALU_DEP_3) | instskip(NEXT) | instid1(VALU_DEP_2)
	v_add_f64 v[148:149], v[150:151], -v[146:147]
	v_add_f64 v[144:145], v[150:151], v[144:145]
	s_delay_alu instid0(VALU_DEP_2) | instskip(SKIP_1) | instid1(VALU_DEP_3)
	v_add_f64 v[150:151], v[150:151], -v[148:149]
	v_add_f64 v[133:134], v[133:134], -v[148:149]
	v_add_f64 v[162:163], v[160:161], v[144:145]
	s_delay_alu instid0(VALU_DEP_3) | instskip(NEXT) | instid1(VALU_DEP_2)
	v_add_f64 v[146:147], v[146:147], -v[150:151]
	v_add_f64 v[148:149], v[162:163], -v[160:161]
	s_delay_alu instid0(VALU_DEP_2) | instskip(NEXT) | instid1(VALU_DEP_2)
	v_add_f64 v[133:134], v[133:134], v[146:147]
	v_add_f64 v[144:145], v[144:145], -v[148:149]
	s_delay_alu instid0(VALU_DEP_1) | instskip(NEXT) | instid1(VALU_DEP_1)
	v_add_f64 v[133:134], v[133:134], v[144:145]
	v_add_f64 v[133:134], v[162:163], v[133:134]
	s_delay_alu instid0(VALU_DEP_1) | instskip(SKIP_1) | instid1(VALU_DEP_2)
	v_dual_cndmask_b32 v133, v133, v28 :: v_dual_cndmask_b32 v134, v134, v29
	v_cmp_ngt_f64_e32 vcc_lo, -1.0, v[28:29]
	v_cndmask_b32_e32 v134, 0x7ff80000, v134, vcc_lo
	v_cmp_nge_f64_e32 vcc_lo, -1.0, v[28:29]
	s_delay_alu instid0(VALU_DEP_4) | instskip(SKIP_1) | instid1(VALU_DEP_4)
	v_cndmask_b32_e32 v133, 0, v133, vcc_lo
	v_cmp_neq_f64_e32 vcc_lo, -1.0, v[28:29]
	v_cndmask_b32_e32 v134, 0xfff00000, v134, vcc_lo
	s_delay_alu instid0(VALU_DEP_1)
	v_add_f64 v[28:29], v[30:31], v[133:134]
.LBB76_249:
	s_or_b32 exec_lo, exec_lo, s10
	s_delay_alu instid0(VALU_DEP_1) | instskip(SKIP_1) | instid1(VALU_DEP_2)
	v_max_f64 v[30:31], v[28:29], v[28:29]
	v_cmp_u_f64_e32 vcc_lo, v[28:29], v[28:29]
	v_min_f64 v[133:134], v[30:31], v[32:33]
	v_max_f64 v[30:31], v[30:31], v[32:33]
	s_delay_alu instid0(VALU_DEP_2) | instskip(NEXT) | instid1(VALU_DEP_2)
	v_dual_cndmask_b32 v32, v133, v28 :: v_dual_cndmask_b32 v33, v134, v29
	v_dual_cndmask_b32 v31, v31, v29 :: v_dual_cndmask_b32 v30, v30, v28
	s_delay_alu instid0(VALU_DEP_2) | instskip(NEXT) | instid1(VALU_DEP_3)
	v_cndmask_b32_e64 v133, v32, v70, s15
	v_cndmask_b32_e64 v134, v33, v71, s15
	s_delay_alu instid0(VALU_DEP_3) | instskip(NEXT) | instid1(VALU_DEP_4)
	v_cndmask_b32_e64 v33, v31, v71, s15
	v_cndmask_b32_e64 v32, v30, v70, s15
	v_dual_mov_b32 v31, v29 :: v_dual_mov_b32 v30, v28
	s_delay_alu instid0(VALU_DEP_4) | instskip(NEXT) | instid1(VALU_DEP_3)
	v_cmp_class_f64_e64 s3, v[133:134], 0x1f8
	v_cmp_neq_f64_e32 vcc_lo, v[133:134], v[32:33]
	s_delay_alu instid0(VALU_DEP_2) | instskip(NEXT) | instid1(SALU_CYCLE_1)
	s_or_b32 s3, vcc_lo, s3
	s_and_saveexec_b32 s10, s3
	s_cbranch_execz .LBB76_251
; %bb.250:
	v_add_f64 v[30:31], v[133:134], -v[32:33]
	s_mov_b32 s4, 0x652b82fe
	s_mov_b32 s5, 0x3ff71547
	s_mov_b32 s7, 0xbc7abc9e
	s_mov_b32 s6, 0x3b39803f
	s_mov_b32 s8, 0xfca7ab0c
	s_mov_b32 s12, 0x6a5dcb37
	s_mov_b32 s9, 0x3e928af3
	s_mov_b32 s13, 0x3e5ade15
	s_mov_b32 s14, 0xbf559e2b
	s_mov_b32 s15, 0x3fc3ab76
	s_delay_alu instid0(VALU_DEP_1) | instskip(SKIP_4) | instid1(VALU_DEP_3)
	v_mul_f64 v[133:134], v[30:31], s[4:5]
	s_mov_b32 s5, 0xbfe62e42
	s_mov_b32 s4, 0xfefa39ef
	v_cmp_nlt_f64_e32 vcc_lo, 0x40900000, v[30:31]
	v_cmp_ngt_f64_e64 s3, 0xc090cc00, v[30:31]
	v_rndne_f64_e32 v[133:134], v[133:134]
	s_delay_alu instid0(VALU_DEP_1) | instskip(SKIP_2) | instid1(VALU_DEP_2)
	v_fma_f64 v[144:145], v[133:134], s[4:5], v[30:31]
	v_cvt_i32_f64_e32 v148, v[133:134]
	s_mov_b32 s5, 0x3fe62e42
	v_fma_f64 v[144:145], v[133:134], s[6:7], v[144:145]
	s_mov_b32 s7, 0x3c7abc9e
	s_delay_alu instid0(VALU_DEP_1) | instskip(SKIP_4) | instid1(VALU_DEP_1)
	v_fma_f64 v[146:147], v[144:145], s[12:13], s[8:9]
	s_mov_b32 s8, 0x623fde64
	s_mov_b32 s9, 0x3ec71dee
	;; [unrolled: 1-line block ×4, first 2 shown]
	v_fma_f64 v[146:147], v[144:145], v[146:147], s[8:9]
	s_mov_b32 s8, 0x7c89e6b0
	s_mov_b32 s9, 0x3efa0199
	s_delay_alu instid0(VALU_DEP_1) | instid1(SALU_CYCLE_1)
	v_fma_f64 v[146:147], v[144:145], v[146:147], s[8:9]
	s_mov_b32 s8, 0x14761f6e
	s_mov_b32 s9, 0x3f2a01a0
	s_delay_alu instid0(VALU_DEP_1) | instid1(SALU_CYCLE_1)
	;; [unrolled: 4-line block ×7, first 2 shown]
	v_fma_f64 v[146:147], v[144:145], v[146:147], s[8:9]
	s_mov_b32 s9, 0x3fe55555
	s_mov_b32 s8, 0x55555555
	s_delay_alu instid0(VALU_DEP_1) | instskip(NEXT) | instid1(VALU_DEP_1)
	v_fma_f64 v[146:147], v[144:145], v[146:147], 1.0
	v_fma_f64 v[133:134], v[144:145], v[146:147], 1.0
	s_delay_alu instid0(VALU_DEP_1) | instskip(NEXT) | instid1(VALU_DEP_1)
	v_ldexp_f64 v[133:134], v[133:134], v148
	v_cndmask_b32_e32 v134, 0x7ff00000, v134, vcc_lo
	s_and_b32 vcc_lo, s3, vcc_lo
	s_delay_alu instid0(VALU_DEP_2) | instskip(NEXT) | instid1(VALU_DEP_2)
	v_cndmask_b32_e32 v30, 0, v133, vcc_lo
	v_cndmask_b32_e64 v31, 0, v134, s3
	s_delay_alu instid0(VALU_DEP_1) | instskip(NEXT) | instid1(VALU_DEP_1)
	v_add_f64 v[133:134], v[30:31], 1.0
	v_frexp_mant_f64_e32 v[144:145], v[133:134]
	v_frexp_exp_i32_f64_e32 v148, v[133:134]
	v_add_f64 v[146:147], v[133:134], -1.0
	s_delay_alu instid0(VALU_DEP_3) | instskip(SKIP_1) | instid1(VALU_DEP_2)
	v_cmp_gt_f64_e32 vcc_lo, s[8:9], v[144:145]
	s_mov_b32 s8, 0x55555780
	v_add_f64 v[144:145], v[146:147], -v[133:134]
	v_add_f64 v[146:147], v[30:31], -v[146:147]
	v_subrev_co_ci_u32_e32 v214, vcc_lo, 0, v148, vcc_lo
	s_delay_alu instid0(VALU_DEP_3) | instskip(SKIP_1) | instid1(VALU_DEP_3)
	v_add_f64 v[144:145], v[144:145], 1.0
	v_cmp_eq_f64_e32 vcc_lo, 0x7ff00000, v[30:31]
	v_sub_nc_u32_e32 v150, 0, v214
	s_delay_alu instid0(VALU_DEP_1) | instskip(NEXT) | instid1(VALU_DEP_4)
	v_ldexp_f64 v[133:134], v[133:134], v150
	v_add_f64 v[144:145], v[146:147], v[144:145]
	s_delay_alu instid0(VALU_DEP_2) | instskip(SKIP_1) | instid1(VALU_DEP_3)
	v_add_f64 v[148:149], v[133:134], 1.0
	v_add_f64 v[162:163], v[133:134], -1.0
	v_ldexp_f64 v[144:145], v[144:145], v150
	s_delay_alu instid0(VALU_DEP_3) | instskip(NEXT) | instid1(VALU_DEP_3)
	v_add_f64 v[146:147], v[148:149], -1.0
	v_add_f64 v[164:165], v[162:163], 1.0
	s_delay_alu instid0(VALU_DEP_2) | instskip(NEXT) | instid1(VALU_DEP_2)
	v_add_f64 v[146:147], v[133:134], -v[146:147]
	v_add_f64 v[133:134], v[133:134], -v[164:165]
	s_delay_alu instid0(VALU_DEP_2) | instskip(NEXT) | instid1(VALU_DEP_2)
	v_add_f64 v[146:147], v[144:145], v[146:147]
	v_add_f64 v[133:134], v[144:145], v[133:134]
	s_delay_alu instid0(VALU_DEP_2) | instskip(NEXT) | instid1(VALU_DEP_2)
	v_add_f64 v[150:151], v[148:149], v[146:147]
	v_add_f64 v[164:165], v[162:163], v[133:134]
	s_delay_alu instid0(VALU_DEP_2) | instskip(SKIP_1) | instid1(VALU_DEP_2)
	v_rcp_f64_e32 v[160:161], v[150:151]
	v_add_f64 v[148:149], v[150:151], -v[148:149]
	v_add_f64 v[162:163], v[164:165], -v[162:163]
	s_delay_alu instid0(VALU_DEP_2) | instskip(SKIP_3) | instid1(VALU_DEP_2)
	v_add_f64 v[146:147], v[146:147], -v[148:149]
	s_waitcnt_depctr 0xfff
	v_fma_f64 v[166:167], -v[150:151], v[160:161], 1.0
	v_add_f64 v[133:134], v[133:134], -v[162:163]
	v_fma_f64 v[160:161], v[166:167], v[160:161], v[160:161]
	s_delay_alu instid0(VALU_DEP_1) | instskip(NEXT) | instid1(VALU_DEP_1)
	v_fma_f64 v[144:145], -v[150:151], v[160:161], 1.0
	v_fma_f64 v[144:145], v[144:145], v[160:161], v[160:161]
	s_delay_alu instid0(VALU_DEP_1) | instskip(NEXT) | instid1(VALU_DEP_1)
	v_mul_f64 v[160:161], v[164:165], v[144:145]
	v_mul_f64 v[166:167], v[150:151], v[160:161]
	s_delay_alu instid0(VALU_DEP_1) | instskip(NEXT) | instid1(VALU_DEP_1)
	v_fma_f64 v[148:149], v[160:161], v[150:151], -v[166:167]
	v_fma_f64 v[148:149], v[160:161], v[146:147], v[148:149]
	s_delay_alu instid0(VALU_DEP_1) | instskip(NEXT) | instid1(VALU_DEP_1)
	v_add_f64 v[176:177], v[166:167], v[148:149]
	v_add_f64 v[212:213], v[164:165], -v[176:177]
	v_add_f64 v[162:163], v[176:177], -v[166:167]
	s_delay_alu instid0(VALU_DEP_2) | instskip(NEXT) | instid1(VALU_DEP_2)
	v_add_f64 v[164:165], v[164:165], -v[212:213]
	v_add_f64 v[148:149], v[162:163], -v[148:149]
	s_delay_alu instid0(VALU_DEP_2) | instskip(NEXT) | instid1(VALU_DEP_1)
	v_add_f64 v[164:165], v[164:165], -v[176:177]
	v_add_f64 v[133:134], v[133:134], v[164:165]
	s_delay_alu instid0(VALU_DEP_1) | instskip(NEXT) | instid1(VALU_DEP_1)
	v_add_f64 v[133:134], v[148:149], v[133:134]
	v_add_f64 v[148:149], v[212:213], v[133:134]
	s_delay_alu instid0(VALU_DEP_1) | instskip(SKIP_1) | instid1(VALU_DEP_2)
	v_mul_f64 v[162:163], v[144:145], v[148:149]
	v_add_f64 v[176:177], v[212:213], -v[148:149]
	v_mul_f64 v[164:165], v[150:151], v[162:163]
	s_delay_alu instid0(VALU_DEP_2) | instskip(NEXT) | instid1(VALU_DEP_2)
	v_add_f64 v[133:134], v[133:134], v[176:177]
	v_fma_f64 v[150:151], v[162:163], v[150:151], -v[164:165]
	s_delay_alu instid0(VALU_DEP_1) | instskip(NEXT) | instid1(VALU_DEP_1)
	v_fma_f64 v[146:147], v[162:163], v[146:147], v[150:151]
	v_add_f64 v[150:151], v[164:165], v[146:147]
	s_delay_alu instid0(VALU_DEP_1) | instskip(SKIP_1) | instid1(VALU_DEP_2)
	v_add_f64 v[166:167], v[148:149], -v[150:151]
	v_add_f64 v[164:165], v[150:151], -v[164:165]
	;; [unrolled: 1-line block ×3, first 2 shown]
	s_delay_alu instid0(VALU_DEP_2) | instskip(NEXT) | instid1(VALU_DEP_2)
	v_add_f64 v[146:147], v[164:165], -v[146:147]
	v_add_f64 v[148:149], v[148:149], -v[150:151]
	s_delay_alu instid0(VALU_DEP_1) | instskip(SKIP_1) | instid1(VALU_DEP_2)
	v_add_f64 v[133:134], v[133:134], v[148:149]
	v_add_f64 v[148:149], v[160:161], v[162:163]
	;; [unrolled: 1-line block ×3, first 2 shown]
	s_delay_alu instid0(VALU_DEP_2) | instskip(NEXT) | instid1(VALU_DEP_2)
	v_add_f64 v[146:147], v[148:149], -v[160:161]
	v_add_f64 v[133:134], v[166:167], v[133:134]
	s_delay_alu instid0(VALU_DEP_2) | instskip(NEXT) | instid1(VALU_DEP_2)
	v_add_f64 v[146:147], v[162:163], -v[146:147]
	v_mul_f64 v[133:134], v[144:145], v[133:134]
	s_delay_alu instid0(VALU_DEP_1) | instskip(NEXT) | instid1(VALU_DEP_1)
	v_add_f64 v[133:134], v[146:147], v[133:134]
	v_add_f64 v[144:145], v[148:149], v[133:134]
	s_delay_alu instid0(VALU_DEP_1) | instskip(NEXT) | instid1(VALU_DEP_1)
	v_mul_f64 v[146:147], v[144:145], v[144:145]
	v_fma_f64 v[150:151], v[146:147], s[14:15], s[12:13]
	s_mov_b32 s12, 0xd7f4df2e
	s_mov_b32 s13, 0x3fc7474d
	v_mul_f64 v[160:161], v[144:145], v[146:147]
	s_delay_alu instid0(VALU_DEP_2)
	v_fma_f64 v[150:151], v[146:147], v[150:151], s[12:13]
	s_mov_b32 s12, 0x16291751
	s_mov_b32 s13, 0x3fcc71c0
	s_delay_alu instid0(VALU_DEP_1) | instid1(SALU_CYCLE_1)
	v_fma_f64 v[150:151], v[146:147], v[150:151], s[12:13]
	s_mov_b32 s12, 0x9b27acf1
	s_mov_b32 s13, 0x3fd24924
	s_delay_alu instid0(VALU_DEP_1) | instid1(SALU_CYCLE_1)
	;; [unrolled: 4-line block ×3, first 2 shown]
	v_fma_f64 v[150:151], v[146:147], v[150:151], s[12:13]
	s_delay_alu instid0(VALU_DEP_1) | instskip(SKIP_2) | instid1(VALU_DEP_3)
	v_fma_f64 v[146:147], v[146:147], v[150:151], s[8:9]
	v_ldexp_f64 v[150:151], v[144:145], 1
	v_add_f64 v[144:145], v[144:145], -v[148:149]
	v_mul_f64 v[146:147], v[160:161], v[146:147]
	v_cvt_f64_i32_e32 v[160:161], v214
	s_delay_alu instid0(VALU_DEP_3) | instskip(NEXT) | instid1(VALU_DEP_3)
	v_add_f64 v[133:134], v[133:134], -v[144:145]
	v_add_f64 v[148:149], v[150:151], v[146:147]
	s_delay_alu instid0(VALU_DEP_3) | instskip(NEXT) | instid1(VALU_DEP_3)
	v_mul_f64 v[162:163], v[160:161], s[4:5]
	v_ldexp_f64 v[133:134], v[133:134], 1
	s_delay_alu instid0(VALU_DEP_3) | instskip(NEXT) | instid1(VALU_DEP_3)
	v_add_f64 v[144:145], v[148:149], -v[150:151]
	v_fma_f64 v[150:151], v[160:161], s[4:5], -v[162:163]
	s_delay_alu instid0(VALU_DEP_2) | instskip(NEXT) | instid1(VALU_DEP_2)
	v_add_f64 v[144:145], v[146:147], -v[144:145]
	v_fma_f64 v[146:147], v[160:161], s[6:7], v[150:151]
	s_delay_alu instid0(VALU_DEP_2) | instskip(NEXT) | instid1(VALU_DEP_2)
	v_add_f64 v[133:134], v[133:134], v[144:145]
	v_add_f64 v[144:145], v[162:163], v[146:147]
	s_delay_alu instid0(VALU_DEP_2) | instskip(NEXT) | instid1(VALU_DEP_2)
	v_add_f64 v[150:151], v[148:149], v[133:134]
	v_add_f64 v[162:163], v[144:145], -v[162:163]
	s_delay_alu instid0(VALU_DEP_2) | instskip(SKIP_1) | instid1(VALU_DEP_3)
	v_add_f64 v[160:161], v[144:145], v[150:151]
	v_add_f64 v[148:149], v[150:151], -v[148:149]
	v_add_f64 v[146:147], v[146:147], -v[162:163]
	s_delay_alu instid0(VALU_DEP_3) | instskip(NEXT) | instid1(VALU_DEP_3)
	v_add_f64 v[164:165], v[160:161], -v[144:145]
	v_add_f64 v[133:134], v[133:134], -v[148:149]
	s_delay_alu instid0(VALU_DEP_2) | instskip(SKIP_1) | instid1(VALU_DEP_3)
	v_add_f64 v[166:167], v[160:161], -v[164:165]
	v_add_f64 v[148:149], v[150:151], -v[164:165]
	v_add_f64 v[150:151], v[146:147], v[133:134]
	s_delay_alu instid0(VALU_DEP_3) | instskip(NEXT) | instid1(VALU_DEP_1)
	v_add_f64 v[144:145], v[144:145], -v[166:167]
	v_add_f64 v[144:145], v[148:149], v[144:145]
	s_delay_alu instid0(VALU_DEP_3) | instskip(NEXT) | instid1(VALU_DEP_2)
	v_add_f64 v[148:149], v[150:151], -v[146:147]
	v_add_f64 v[144:145], v[150:151], v[144:145]
	s_delay_alu instid0(VALU_DEP_2) | instskip(SKIP_1) | instid1(VALU_DEP_3)
	v_add_f64 v[150:151], v[150:151], -v[148:149]
	v_add_f64 v[133:134], v[133:134], -v[148:149]
	v_add_f64 v[162:163], v[160:161], v[144:145]
	s_delay_alu instid0(VALU_DEP_3) | instskip(NEXT) | instid1(VALU_DEP_2)
	v_add_f64 v[146:147], v[146:147], -v[150:151]
	v_add_f64 v[148:149], v[162:163], -v[160:161]
	s_delay_alu instid0(VALU_DEP_2) | instskip(NEXT) | instid1(VALU_DEP_2)
	v_add_f64 v[133:134], v[133:134], v[146:147]
	v_add_f64 v[144:145], v[144:145], -v[148:149]
	s_delay_alu instid0(VALU_DEP_1) | instskip(NEXT) | instid1(VALU_DEP_1)
	v_add_f64 v[133:134], v[133:134], v[144:145]
	v_add_f64 v[133:134], v[162:163], v[133:134]
	s_delay_alu instid0(VALU_DEP_1) | instskip(SKIP_1) | instid1(VALU_DEP_2)
	v_dual_cndmask_b32 v133, v133, v30 :: v_dual_cndmask_b32 v134, v134, v31
	v_cmp_ngt_f64_e32 vcc_lo, -1.0, v[30:31]
	v_cndmask_b32_e32 v134, 0x7ff80000, v134, vcc_lo
	v_cmp_nge_f64_e32 vcc_lo, -1.0, v[30:31]
	s_delay_alu instid0(VALU_DEP_4) | instskip(SKIP_1) | instid1(VALU_DEP_4)
	v_cndmask_b32_e32 v133, 0, v133, vcc_lo
	v_cmp_neq_f64_e32 vcc_lo, -1.0, v[30:31]
	v_cndmask_b32_e32 v134, 0xfff00000, v134, vcc_lo
	s_delay_alu instid0(VALU_DEP_1)
	v_add_f64 v[30:31], v[32:33], v[133:134]
.LBB76_251:
	s_or_b32 exec_lo, exec_lo, s10
	s_delay_alu instid0(VALU_DEP_1) | instskip(SKIP_1) | instid1(VALU_DEP_2)
	v_max_f64 v[32:33], v[30:31], v[30:31]
	v_cmp_u_f64_e32 vcc_lo, v[30:31], v[30:31]
	v_min_f64 v[133:134], v[32:33], v[34:35]
	v_max_f64 v[32:33], v[32:33], v[34:35]
	s_delay_alu instid0(VALU_DEP_2) | instskip(NEXT) | instid1(VALU_DEP_2)
	v_dual_cndmask_b32 v34, v133, v30 :: v_dual_cndmask_b32 v35, v134, v31
	v_dual_cndmask_b32 v33, v33, v31 :: v_dual_cndmask_b32 v32, v32, v30
	s_delay_alu instid0(VALU_DEP_2) | instskip(NEXT) | instid1(VALU_DEP_3)
	v_cndmask_b32_e64 v133, v34, v64, s16
	v_cndmask_b32_e64 v134, v35, v65, s16
	s_delay_alu instid0(VALU_DEP_3) | instskip(NEXT) | instid1(VALU_DEP_4)
	v_cndmask_b32_e64 v35, v33, v65, s16
	v_cndmask_b32_e64 v34, v32, v64, s16
	v_dual_mov_b32 v33, v31 :: v_dual_mov_b32 v32, v30
	s_delay_alu instid0(VALU_DEP_4) | instskip(NEXT) | instid1(VALU_DEP_3)
	v_cmp_class_f64_e64 s3, v[133:134], 0x1f8
	v_cmp_neq_f64_e32 vcc_lo, v[133:134], v[34:35]
	s_delay_alu instid0(VALU_DEP_2) | instskip(NEXT) | instid1(SALU_CYCLE_1)
	s_or_b32 s3, vcc_lo, s3
	s_and_saveexec_b32 s10, s3
	s_cbranch_execz .LBB76_253
; %bb.252:
	v_add_f64 v[32:33], v[133:134], -v[34:35]
	s_mov_b32 s4, 0x652b82fe
	s_mov_b32 s5, 0x3ff71547
	;; [unrolled: 1-line block ×10, first 2 shown]
	s_delay_alu instid0(VALU_DEP_1) | instskip(SKIP_4) | instid1(VALU_DEP_3)
	v_mul_f64 v[133:134], v[32:33], s[4:5]
	s_mov_b32 s5, 0xbfe62e42
	s_mov_b32 s4, 0xfefa39ef
	v_cmp_nlt_f64_e32 vcc_lo, 0x40900000, v[32:33]
	v_cmp_ngt_f64_e64 s3, 0xc090cc00, v[32:33]
	v_rndne_f64_e32 v[133:134], v[133:134]
	s_delay_alu instid0(VALU_DEP_1) | instskip(SKIP_2) | instid1(VALU_DEP_2)
	v_fma_f64 v[144:145], v[133:134], s[4:5], v[32:33]
	v_cvt_i32_f64_e32 v148, v[133:134]
	s_mov_b32 s5, 0x3fe62e42
	v_fma_f64 v[144:145], v[133:134], s[6:7], v[144:145]
	s_mov_b32 s7, 0x3c7abc9e
	s_delay_alu instid0(VALU_DEP_1) | instskip(SKIP_4) | instid1(VALU_DEP_1)
	v_fma_f64 v[146:147], v[144:145], s[12:13], s[8:9]
	s_mov_b32 s8, 0x623fde64
	s_mov_b32 s9, 0x3ec71dee
	;; [unrolled: 1-line block ×4, first 2 shown]
	v_fma_f64 v[146:147], v[144:145], v[146:147], s[8:9]
	s_mov_b32 s8, 0x7c89e6b0
	s_mov_b32 s9, 0x3efa0199
	s_delay_alu instid0(VALU_DEP_1) | instid1(SALU_CYCLE_1)
	v_fma_f64 v[146:147], v[144:145], v[146:147], s[8:9]
	s_mov_b32 s8, 0x14761f6e
	s_mov_b32 s9, 0x3f2a01a0
	s_delay_alu instid0(VALU_DEP_1) | instid1(SALU_CYCLE_1)
	;; [unrolled: 4-line block ×7, first 2 shown]
	v_fma_f64 v[146:147], v[144:145], v[146:147], s[8:9]
	s_mov_b32 s9, 0x3fe55555
	s_mov_b32 s8, 0x55555555
	s_delay_alu instid0(VALU_DEP_1) | instskip(NEXT) | instid1(VALU_DEP_1)
	v_fma_f64 v[146:147], v[144:145], v[146:147], 1.0
	v_fma_f64 v[133:134], v[144:145], v[146:147], 1.0
	s_delay_alu instid0(VALU_DEP_1) | instskip(NEXT) | instid1(VALU_DEP_1)
	v_ldexp_f64 v[133:134], v[133:134], v148
	v_cndmask_b32_e32 v134, 0x7ff00000, v134, vcc_lo
	s_and_b32 vcc_lo, s3, vcc_lo
	s_delay_alu instid0(VALU_DEP_2) | instskip(NEXT) | instid1(VALU_DEP_2)
	v_cndmask_b32_e32 v32, 0, v133, vcc_lo
	v_cndmask_b32_e64 v33, 0, v134, s3
	s_delay_alu instid0(VALU_DEP_1) | instskip(NEXT) | instid1(VALU_DEP_1)
	v_add_f64 v[133:134], v[32:33], 1.0
	v_frexp_mant_f64_e32 v[144:145], v[133:134]
	v_frexp_exp_i32_f64_e32 v148, v[133:134]
	v_add_f64 v[146:147], v[133:134], -1.0
	s_delay_alu instid0(VALU_DEP_3) | instskip(SKIP_1) | instid1(VALU_DEP_2)
	v_cmp_gt_f64_e32 vcc_lo, s[8:9], v[144:145]
	s_mov_b32 s8, 0x55555780
	v_add_f64 v[144:145], v[146:147], -v[133:134]
	v_add_f64 v[146:147], v[32:33], -v[146:147]
	v_subrev_co_ci_u32_e32 v214, vcc_lo, 0, v148, vcc_lo
	s_delay_alu instid0(VALU_DEP_3) | instskip(SKIP_1) | instid1(VALU_DEP_3)
	v_add_f64 v[144:145], v[144:145], 1.0
	v_cmp_eq_f64_e32 vcc_lo, 0x7ff00000, v[32:33]
	v_sub_nc_u32_e32 v150, 0, v214
	s_delay_alu instid0(VALU_DEP_1) | instskip(NEXT) | instid1(VALU_DEP_4)
	v_ldexp_f64 v[133:134], v[133:134], v150
	v_add_f64 v[144:145], v[146:147], v[144:145]
	s_delay_alu instid0(VALU_DEP_2) | instskip(SKIP_1) | instid1(VALU_DEP_3)
	v_add_f64 v[148:149], v[133:134], 1.0
	v_add_f64 v[162:163], v[133:134], -1.0
	v_ldexp_f64 v[144:145], v[144:145], v150
	s_delay_alu instid0(VALU_DEP_3) | instskip(NEXT) | instid1(VALU_DEP_3)
	v_add_f64 v[146:147], v[148:149], -1.0
	v_add_f64 v[164:165], v[162:163], 1.0
	s_delay_alu instid0(VALU_DEP_2) | instskip(NEXT) | instid1(VALU_DEP_2)
	v_add_f64 v[146:147], v[133:134], -v[146:147]
	v_add_f64 v[133:134], v[133:134], -v[164:165]
	s_delay_alu instid0(VALU_DEP_2) | instskip(NEXT) | instid1(VALU_DEP_2)
	v_add_f64 v[146:147], v[144:145], v[146:147]
	v_add_f64 v[133:134], v[144:145], v[133:134]
	s_delay_alu instid0(VALU_DEP_2) | instskip(NEXT) | instid1(VALU_DEP_2)
	v_add_f64 v[150:151], v[148:149], v[146:147]
	v_add_f64 v[164:165], v[162:163], v[133:134]
	s_delay_alu instid0(VALU_DEP_2) | instskip(SKIP_1) | instid1(VALU_DEP_2)
	v_rcp_f64_e32 v[160:161], v[150:151]
	v_add_f64 v[148:149], v[150:151], -v[148:149]
	v_add_f64 v[162:163], v[164:165], -v[162:163]
	s_delay_alu instid0(VALU_DEP_2) | instskip(SKIP_3) | instid1(VALU_DEP_2)
	v_add_f64 v[146:147], v[146:147], -v[148:149]
	s_waitcnt_depctr 0xfff
	v_fma_f64 v[166:167], -v[150:151], v[160:161], 1.0
	v_add_f64 v[133:134], v[133:134], -v[162:163]
	v_fma_f64 v[160:161], v[166:167], v[160:161], v[160:161]
	s_delay_alu instid0(VALU_DEP_1) | instskip(NEXT) | instid1(VALU_DEP_1)
	v_fma_f64 v[144:145], -v[150:151], v[160:161], 1.0
	v_fma_f64 v[144:145], v[144:145], v[160:161], v[160:161]
	s_delay_alu instid0(VALU_DEP_1) | instskip(NEXT) | instid1(VALU_DEP_1)
	v_mul_f64 v[160:161], v[164:165], v[144:145]
	v_mul_f64 v[166:167], v[150:151], v[160:161]
	s_delay_alu instid0(VALU_DEP_1) | instskip(NEXT) | instid1(VALU_DEP_1)
	v_fma_f64 v[148:149], v[160:161], v[150:151], -v[166:167]
	v_fma_f64 v[148:149], v[160:161], v[146:147], v[148:149]
	s_delay_alu instid0(VALU_DEP_1) | instskip(NEXT) | instid1(VALU_DEP_1)
	v_add_f64 v[176:177], v[166:167], v[148:149]
	v_add_f64 v[212:213], v[164:165], -v[176:177]
	v_add_f64 v[162:163], v[176:177], -v[166:167]
	s_delay_alu instid0(VALU_DEP_2) | instskip(NEXT) | instid1(VALU_DEP_2)
	v_add_f64 v[164:165], v[164:165], -v[212:213]
	v_add_f64 v[148:149], v[162:163], -v[148:149]
	s_delay_alu instid0(VALU_DEP_2) | instskip(NEXT) | instid1(VALU_DEP_1)
	v_add_f64 v[164:165], v[164:165], -v[176:177]
	v_add_f64 v[133:134], v[133:134], v[164:165]
	s_delay_alu instid0(VALU_DEP_1) | instskip(NEXT) | instid1(VALU_DEP_1)
	v_add_f64 v[133:134], v[148:149], v[133:134]
	v_add_f64 v[148:149], v[212:213], v[133:134]
	s_delay_alu instid0(VALU_DEP_1) | instskip(SKIP_1) | instid1(VALU_DEP_2)
	v_mul_f64 v[162:163], v[144:145], v[148:149]
	v_add_f64 v[176:177], v[212:213], -v[148:149]
	v_mul_f64 v[164:165], v[150:151], v[162:163]
	s_delay_alu instid0(VALU_DEP_2) | instskip(NEXT) | instid1(VALU_DEP_2)
	v_add_f64 v[133:134], v[133:134], v[176:177]
	v_fma_f64 v[150:151], v[162:163], v[150:151], -v[164:165]
	s_delay_alu instid0(VALU_DEP_1) | instskip(NEXT) | instid1(VALU_DEP_1)
	v_fma_f64 v[146:147], v[162:163], v[146:147], v[150:151]
	v_add_f64 v[150:151], v[164:165], v[146:147]
	s_delay_alu instid0(VALU_DEP_1) | instskip(SKIP_1) | instid1(VALU_DEP_2)
	v_add_f64 v[166:167], v[148:149], -v[150:151]
	v_add_f64 v[164:165], v[150:151], -v[164:165]
	;; [unrolled: 1-line block ×3, first 2 shown]
	s_delay_alu instid0(VALU_DEP_2) | instskip(NEXT) | instid1(VALU_DEP_2)
	v_add_f64 v[146:147], v[164:165], -v[146:147]
	v_add_f64 v[148:149], v[148:149], -v[150:151]
	s_delay_alu instid0(VALU_DEP_1) | instskip(SKIP_1) | instid1(VALU_DEP_2)
	v_add_f64 v[133:134], v[133:134], v[148:149]
	v_add_f64 v[148:149], v[160:161], v[162:163]
	v_add_f64 v[133:134], v[146:147], v[133:134]
	s_delay_alu instid0(VALU_DEP_2) | instskip(NEXT) | instid1(VALU_DEP_2)
	v_add_f64 v[146:147], v[148:149], -v[160:161]
	v_add_f64 v[133:134], v[166:167], v[133:134]
	s_delay_alu instid0(VALU_DEP_2) | instskip(NEXT) | instid1(VALU_DEP_2)
	v_add_f64 v[146:147], v[162:163], -v[146:147]
	v_mul_f64 v[133:134], v[144:145], v[133:134]
	s_delay_alu instid0(VALU_DEP_1) | instskip(NEXT) | instid1(VALU_DEP_1)
	v_add_f64 v[133:134], v[146:147], v[133:134]
	v_add_f64 v[144:145], v[148:149], v[133:134]
	s_delay_alu instid0(VALU_DEP_1) | instskip(NEXT) | instid1(VALU_DEP_1)
	v_mul_f64 v[146:147], v[144:145], v[144:145]
	v_fma_f64 v[150:151], v[146:147], s[14:15], s[12:13]
	s_mov_b32 s12, 0xd7f4df2e
	s_mov_b32 s13, 0x3fc7474d
	v_mul_f64 v[160:161], v[144:145], v[146:147]
	s_delay_alu instid0(VALU_DEP_2)
	v_fma_f64 v[150:151], v[146:147], v[150:151], s[12:13]
	s_mov_b32 s12, 0x16291751
	s_mov_b32 s13, 0x3fcc71c0
	s_delay_alu instid0(VALU_DEP_1) | instid1(SALU_CYCLE_1)
	v_fma_f64 v[150:151], v[146:147], v[150:151], s[12:13]
	s_mov_b32 s12, 0x9b27acf1
	s_mov_b32 s13, 0x3fd24924
	s_delay_alu instid0(VALU_DEP_1) | instid1(SALU_CYCLE_1)
	;; [unrolled: 4-line block ×3, first 2 shown]
	v_fma_f64 v[150:151], v[146:147], v[150:151], s[12:13]
	s_delay_alu instid0(VALU_DEP_1) | instskip(SKIP_2) | instid1(VALU_DEP_3)
	v_fma_f64 v[146:147], v[146:147], v[150:151], s[8:9]
	v_ldexp_f64 v[150:151], v[144:145], 1
	v_add_f64 v[144:145], v[144:145], -v[148:149]
	v_mul_f64 v[146:147], v[160:161], v[146:147]
	v_cvt_f64_i32_e32 v[160:161], v214
	s_delay_alu instid0(VALU_DEP_3) | instskip(NEXT) | instid1(VALU_DEP_3)
	v_add_f64 v[133:134], v[133:134], -v[144:145]
	v_add_f64 v[148:149], v[150:151], v[146:147]
	s_delay_alu instid0(VALU_DEP_3) | instskip(NEXT) | instid1(VALU_DEP_3)
	v_mul_f64 v[162:163], v[160:161], s[4:5]
	v_ldexp_f64 v[133:134], v[133:134], 1
	s_delay_alu instid0(VALU_DEP_3) | instskip(NEXT) | instid1(VALU_DEP_3)
	v_add_f64 v[144:145], v[148:149], -v[150:151]
	v_fma_f64 v[150:151], v[160:161], s[4:5], -v[162:163]
	s_delay_alu instid0(VALU_DEP_2) | instskip(NEXT) | instid1(VALU_DEP_2)
	v_add_f64 v[144:145], v[146:147], -v[144:145]
	v_fma_f64 v[146:147], v[160:161], s[6:7], v[150:151]
	s_delay_alu instid0(VALU_DEP_2) | instskip(NEXT) | instid1(VALU_DEP_2)
	v_add_f64 v[133:134], v[133:134], v[144:145]
	v_add_f64 v[144:145], v[162:163], v[146:147]
	s_delay_alu instid0(VALU_DEP_2) | instskip(NEXT) | instid1(VALU_DEP_2)
	v_add_f64 v[150:151], v[148:149], v[133:134]
	v_add_f64 v[162:163], v[144:145], -v[162:163]
	s_delay_alu instid0(VALU_DEP_2) | instskip(SKIP_1) | instid1(VALU_DEP_3)
	v_add_f64 v[160:161], v[144:145], v[150:151]
	v_add_f64 v[148:149], v[150:151], -v[148:149]
	v_add_f64 v[146:147], v[146:147], -v[162:163]
	s_delay_alu instid0(VALU_DEP_3) | instskip(NEXT) | instid1(VALU_DEP_3)
	v_add_f64 v[164:165], v[160:161], -v[144:145]
	v_add_f64 v[133:134], v[133:134], -v[148:149]
	s_delay_alu instid0(VALU_DEP_2) | instskip(SKIP_1) | instid1(VALU_DEP_3)
	v_add_f64 v[166:167], v[160:161], -v[164:165]
	v_add_f64 v[148:149], v[150:151], -v[164:165]
	v_add_f64 v[150:151], v[146:147], v[133:134]
	s_delay_alu instid0(VALU_DEP_3) | instskip(NEXT) | instid1(VALU_DEP_1)
	v_add_f64 v[144:145], v[144:145], -v[166:167]
	v_add_f64 v[144:145], v[148:149], v[144:145]
	s_delay_alu instid0(VALU_DEP_3) | instskip(NEXT) | instid1(VALU_DEP_2)
	v_add_f64 v[148:149], v[150:151], -v[146:147]
	v_add_f64 v[144:145], v[150:151], v[144:145]
	s_delay_alu instid0(VALU_DEP_2) | instskip(SKIP_1) | instid1(VALU_DEP_3)
	v_add_f64 v[150:151], v[150:151], -v[148:149]
	v_add_f64 v[133:134], v[133:134], -v[148:149]
	v_add_f64 v[162:163], v[160:161], v[144:145]
	s_delay_alu instid0(VALU_DEP_3) | instskip(NEXT) | instid1(VALU_DEP_2)
	v_add_f64 v[146:147], v[146:147], -v[150:151]
	v_add_f64 v[148:149], v[162:163], -v[160:161]
	s_delay_alu instid0(VALU_DEP_2) | instskip(NEXT) | instid1(VALU_DEP_2)
	v_add_f64 v[133:134], v[133:134], v[146:147]
	v_add_f64 v[144:145], v[144:145], -v[148:149]
	s_delay_alu instid0(VALU_DEP_1) | instskip(NEXT) | instid1(VALU_DEP_1)
	v_add_f64 v[133:134], v[133:134], v[144:145]
	v_add_f64 v[133:134], v[162:163], v[133:134]
	s_delay_alu instid0(VALU_DEP_1) | instskip(SKIP_1) | instid1(VALU_DEP_2)
	v_dual_cndmask_b32 v133, v133, v32 :: v_dual_cndmask_b32 v134, v134, v33
	v_cmp_ngt_f64_e32 vcc_lo, -1.0, v[32:33]
	v_cndmask_b32_e32 v134, 0x7ff80000, v134, vcc_lo
	v_cmp_nge_f64_e32 vcc_lo, -1.0, v[32:33]
	s_delay_alu instid0(VALU_DEP_4) | instskip(SKIP_1) | instid1(VALU_DEP_4)
	v_cndmask_b32_e32 v133, 0, v133, vcc_lo
	v_cmp_neq_f64_e32 vcc_lo, -1.0, v[32:33]
	v_cndmask_b32_e32 v134, 0xfff00000, v134, vcc_lo
	s_delay_alu instid0(VALU_DEP_1)
	v_add_f64 v[32:33], v[34:35], v[133:134]
.LBB76_253:
	s_or_b32 exec_lo, exec_lo, s10
	s_delay_alu instid0(VALU_DEP_1) | instskip(SKIP_1) | instid1(VALU_DEP_2)
	v_max_f64 v[34:35], v[32:33], v[32:33]
	v_cmp_u_f64_e32 vcc_lo, v[32:33], v[32:33]
	v_min_f64 v[133:134], v[34:35], v[131:132]
	v_max_f64 v[34:35], v[34:35], v[131:132]
	s_delay_alu instid0(VALU_DEP_2) | instskip(NEXT) | instid1(VALU_DEP_2)
	v_dual_cndmask_b32 v131, v133, v32 :: v_dual_cndmask_b32 v132, v134, v33
	v_dual_cndmask_b32 v35, v35, v33 :: v_dual_cndmask_b32 v34, v34, v32
	s_delay_alu instid0(VALU_DEP_2) | instskip(NEXT) | instid1(VALU_DEP_3)
	v_cndmask_b32_e64 v133, v131, v66, s17
	v_cndmask_b32_e64 v134, v132, v67, s17
	s_delay_alu instid0(VALU_DEP_3) | instskip(NEXT) | instid1(VALU_DEP_4)
	v_cndmask_b32_e64 v132, v35, v67, s17
	v_cndmask_b32_e64 v131, v34, v66, s17
	v_dual_mov_b32 v35, v33 :: v_dual_mov_b32 v34, v32
	s_delay_alu instid0(VALU_DEP_4) | instskip(NEXT) | instid1(VALU_DEP_3)
	v_cmp_class_f64_e64 s3, v[133:134], 0x1f8
	v_cmp_neq_f64_e32 vcc_lo, v[133:134], v[131:132]
	s_delay_alu instid0(VALU_DEP_2) | instskip(NEXT) | instid1(SALU_CYCLE_1)
	s_or_b32 s3, vcc_lo, s3
	s_and_saveexec_b32 s10, s3
	s_cbranch_execz .LBB76_255
; %bb.254:
	v_add_f64 v[34:35], v[133:134], -v[131:132]
	s_mov_b32 s4, 0x652b82fe
	s_mov_b32 s5, 0x3ff71547
	;; [unrolled: 1-line block ×10, first 2 shown]
	s_delay_alu instid0(VALU_DEP_1) | instskip(SKIP_4) | instid1(VALU_DEP_3)
	v_mul_f64 v[133:134], v[34:35], s[4:5]
	s_mov_b32 s5, 0xbfe62e42
	s_mov_b32 s4, 0xfefa39ef
	v_cmp_nlt_f64_e32 vcc_lo, 0x40900000, v[34:35]
	v_cmp_ngt_f64_e64 s3, 0xc090cc00, v[34:35]
	v_rndne_f64_e32 v[133:134], v[133:134]
	s_delay_alu instid0(VALU_DEP_1) | instskip(SKIP_2) | instid1(VALU_DEP_2)
	v_fma_f64 v[144:145], v[133:134], s[4:5], v[34:35]
	v_cvt_i32_f64_e32 v148, v[133:134]
	s_mov_b32 s5, 0x3fe62e42
	v_fma_f64 v[144:145], v[133:134], s[6:7], v[144:145]
	s_mov_b32 s7, 0x3c7abc9e
	s_delay_alu instid0(VALU_DEP_1) | instskip(SKIP_4) | instid1(VALU_DEP_1)
	v_fma_f64 v[146:147], v[144:145], s[12:13], s[8:9]
	s_mov_b32 s8, 0x623fde64
	s_mov_b32 s9, 0x3ec71dee
	s_mov_b32 s12, 0x6b47b09a
	s_mov_b32 s13, 0x3fc38538
	v_fma_f64 v[146:147], v[144:145], v[146:147], s[8:9]
	s_mov_b32 s8, 0x7c89e6b0
	s_mov_b32 s9, 0x3efa0199
	s_delay_alu instid0(VALU_DEP_1) | instid1(SALU_CYCLE_1)
	v_fma_f64 v[146:147], v[144:145], v[146:147], s[8:9]
	s_mov_b32 s8, 0x14761f6e
	s_mov_b32 s9, 0x3f2a01a0
	s_delay_alu instid0(VALU_DEP_1) | instid1(SALU_CYCLE_1)
	;; [unrolled: 4-line block ×7, first 2 shown]
	v_fma_f64 v[146:147], v[144:145], v[146:147], s[8:9]
	s_mov_b32 s9, 0x3fe55555
	s_mov_b32 s8, 0x55555555
	s_delay_alu instid0(VALU_DEP_1) | instskip(NEXT) | instid1(VALU_DEP_1)
	v_fma_f64 v[146:147], v[144:145], v[146:147], 1.0
	v_fma_f64 v[133:134], v[144:145], v[146:147], 1.0
	s_delay_alu instid0(VALU_DEP_1) | instskip(NEXT) | instid1(VALU_DEP_1)
	v_ldexp_f64 v[133:134], v[133:134], v148
	v_cndmask_b32_e32 v134, 0x7ff00000, v134, vcc_lo
	s_and_b32 vcc_lo, s3, vcc_lo
	s_delay_alu instid0(VALU_DEP_2) | instskip(NEXT) | instid1(VALU_DEP_2)
	v_cndmask_b32_e32 v34, 0, v133, vcc_lo
	v_cndmask_b32_e64 v35, 0, v134, s3
	s_delay_alu instid0(VALU_DEP_1) | instskip(NEXT) | instid1(VALU_DEP_1)
	v_add_f64 v[133:134], v[34:35], 1.0
	v_frexp_mant_f64_e32 v[144:145], v[133:134]
	v_frexp_exp_i32_f64_e32 v148, v[133:134]
	v_add_f64 v[146:147], v[133:134], -1.0
	s_delay_alu instid0(VALU_DEP_3) | instskip(SKIP_1) | instid1(VALU_DEP_2)
	v_cmp_gt_f64_e32 vcc_lo, s[8:9], v[144:145]
	s_mov_b32 s8, 0x55555780
	v_add_f64 v[144:145], v[146:147], -v[133:134]
	v_add_f64 v[146:147], v[34:35], -v[146:147]
	v_subrev_co_ci_u32_e32 v214, vcc_lo, 0, v148, vcc_lo
	s_delay_alu instid0(VALU_DEP_3) | instskip(SKIP_1) | instid1(VALU_DEP_3)
	v_add_f64 v[144:145], v[144:145], 1.0
	v_cmp_eq_f64_e32 vcc_lo, 0x7ff00000, v[34:35]
	v_sub_nc_u32_e32 v150, 0, v214
	s_delay_alu instid0(VALU_DEP_1) | instskip(NEXT) | instid1(VALU_DEP_4)
	v_ldexp_f64 v[133:134], v[133:134], v150
	v_add_f64 v[144:145], v[146:147], v[144:145]
	s_delay_alu instid0(VALU_DEP_2) | instskip(SKIP_1) | instid1(VALU_DEP_3)
	v_add_f64 v[148:149], v[133:134], 1.0
	v_add_f64 v[162:163], v[133:134], -1.0
	v_ldexp_f64 v[144:145], v[144:145], v150
	s_delay_alu instid0(VALU_DEP_3) | instskip(NEXT) | instid1(VALU_DEP_3)
	v_add_f64 v[146:147], v[148:149], -1.0
	v_add_f64 v[164:165], v[162:163], 1.0
	s_delay_alu instid0(VALU_DEP_2) | instskip(NEXT) | instid1(VALU_DEP_2)
	v_add_f64 v[146:147], v[133:134], -v[146:147]
	v_add_f64 v[133:134], v[133:134], -v[164:165]
	s_delay_alu instid0(VALU_DEP_2) | instskip(NEXT) | instid1(VALU_DEP_2)
	v_add_f64 v[146:147], v[144:145], v[146:147]
	v_add_f64 v[133:134], v[144:145], v[133:134]
	s_delay_alu instid0(VALU_DEP_2) | instskip(NEXT) | instid1(VALU_DEP_2)
	v_add_f64 v[150:151], v[148:149], v[146:147]
	v_add_f64 v[164:165], v[162:163], v[133:134]
	s_delay_alu instid0(VALU_DEP_2) | instskip(SKIP_1) | instid1(VALU_DEP_2)
	v_rcp_f64_e32 v[160:161], v[150:151]
	v_add_f64 v[148:149], v[150:151], -v[148:149]
	v_add_f64 v[162:163], v[164:165], -v[162:163]
	s_delay_alu instid0(VALU_DEP_2) | instskip(SKIP_3) | instid1(VALU_DEP_2)
	v_add_f64 v[146:147], v[146:147], -v[148:149]
	s_waitcnt_depctr 0xfff
	v_fma_f64 v[166:167], -v[150:151], v[160:161], 1.0
	v_add_f64 v[133:134], v[133:134], -v[162:163]
	v_fma_f64 v[160:161], v[166:167], v[160:161], v[160:161]
	s_delay_alu instid0(VALU_DEP_1) | instskip(NEXT) | instid1(VALU_DEP_1)
	v_fma_f64 v[144:145], -v[150:151], v[160:161], 1.0
	v_fma_f64 v[144:145], v[144:145], v[160:161], v[160:161]
	s_delay_alu instid0(VALU_DEP_1) | instskip(NEXT) | instid1(VALU_DEP_1)
	v_mul_f64 v[160:161], v[164:165], v[144:145]
	v_mul_f64 v[166:167], v[150:151], v[160:161]
	s_delay_alu instid0(VALU_DEP_1) | instskip(NEXT) | instid1(VALU_DEP_1)
	v_fma_f64 v[148:149], v[160:161], v[150:151], -v[166:167]
	v_fma_f64 v[148:149], v[160:161], v[146:147], v[148:149]
	s_delay_alu instid0(VALU_DEP_1) | instskip(NEXT) | instid1(VALU_DEP_1)
	v_add_f64 v[176:177], v[166:167], v[148:149]
	v_add_f64 v[212:213], v[164:165], -v[176:177]
	v_add_f64 v[162:163], v[176:177], -v[166:167]
	s_delay_alu instid0(VALU_DEP_2) | instskip(NEXT) | instid1(VALU_DEP_2)
	v_add_f64 v[164:165], v[164:165], -v[212:213]
	v_add_f64 v[148:149], v[162:163], -v[148:149]
	s_delay_alu instid0(VALU_DEP_2) | instskip(NEXT) | instid1(VALU_DEP_1)
	v_add_f64 v[164:165], v[164:165], -v[176:177]
	v_add_f64 v[133:134], v[133:134], v[164:165]
	s_delay_alu instid0(VALU_DEP_1) | instskip(NEXT) | instid1(VALU_DEP_1)
	v_add_f64 v[133:134], v[148:149], v[133:134]
	v_add_f64 v[148:149], v[212:213], v[133:134]
	s_delay_alu instid0(VALU_DEP_1) | instskip(SKIP_1) | instid1(VALU_DEP_2)
	v_mul_f64 v[162:163], v[144:145], v[148:149]
	v_add_f64 v[176:177], v[212:213], -v[148:149]
	v_mul_f64 v[164:165], v[150:151], v[162:163]
	s_delay_alu instid0(VALU_DEP_2) | instskip(NEXT) | instid1(VALU_DEP_2)
	v_add_f64 v[133:134], v[133:134], v[176:177]
	v_fma_f64 v[150:151], v[162:163], v[150:151], -v[164:165]
	s_delay_alu instid0(VALU_DEP_1) | instskip(NEXT) | instid1(VALU_DEP_1)
	v_fma_f64 v[146:147], v[162:163], v[146:147], v[150:151]
	v_add_f64 v[150:151], v[164:165], v[146:147]
	s_delay_alu instid0(VALU_DEP_1) | instskip(SKIP_1) | instid1(VALU_DEP_2)
	v_add_f64 v[166:167], v[148:149], -v[150:151]
	v_add_f64 v[164:165], v[150:151], -v[164:165]
	;; [unrolled: 1-line block ×3, first 2 shown]
	s_delay_alu instid0(VALU_DEP_2) | instskip(NEXT) | instid1(VALU_DEP_2)
	v_add_f64 v[146:147], v[164:165], -v[146:147]
	v_add_f64 v[148:149], v[148:149], -v[150:151]
	s_delay_alu instid0(VALU_DEP_1) | instskip(SKIP_1) | instid1(VALU_DEP_2)
	v_add_f64 v[133:134], v[133:134], v[148:149]
	v_add_f64 v[148:149], v[160:161], v[162:163]
	;; [unrolled: 1-line block ×3, first 2 shown]
	s_delay_alu instid0(VALU_DEP_2) | instskip(NEXT) | instid1(VALU_DEP_2)
	v_add_f64 v[146:147], v[148:149], -v[160:161]
	v_add_f64 v[133:134], v[166:167], v[133:134]
	s_delay_alu instid0(VALU_DEP_2) | instskip(NEXT) | instid1(VALU_DEP_2)
	v_add_f64 v[146:147], v[162:163], -v[146:147]
	v_mul_f64 v[133:134], v[144:145], v[133:134]
	s_delay_alu instid0(VALU_DEP_1) | instskip(NEXT) | instid1(VALU_DEP_1)
	v_add_f64 v[133:134], v[146:147], v[133:134]
	v_add_f64 v[144:145], v[148:149], v[133:134]
	s_delay_alu instid0(VALU_DEP_1) | instskip(NEXT) | instid1(VALU_DEP_1)
	v_mul_f64 v[146:147], v[144:145], v[144:145]
	v_fma_f64 v[150:151], v[146:147], s[14:15], s[12:13]
	s_mov_b32 s12, 0xd7f4df2e
	s_mov_b32 s13, 0x3fc7474d
	v_mul_f64 v[160:161], v[144:145], v[146:147]
	s_delay_alu instid0(VALU_DEP_2)
	v_fma_f64 v[150:151], v[146:147], v[150:151], s[12:13]
	s_mov_b32 s12, 0x16291751
	s_mov_b32 s13, 0x3fcc71c0
	s_delay_alu instid0(VALU_DEP_1) | instid1(SALU_CYCLE_1)
	v_fma_f64 v[150:151], v[146:147], v[150:151], s[12:13]
	s_mov_b32 s12, 0x9b27acf1
	s_mov_b32 s13, 0x3fd24924
	s_delay_alu instid0(VALU_DEP_1) | instid1(SALU_CYCLE_1)
	;; [unrolled: 4-line block ×3, first 2 shown]
	v_fma_f64 v[150:151], v[146:147], v[150:151], s[12:13]
	s_delay_alu instid0(VALU_DEP_1) | instskip(SKIP_2) | instid1(VALU_DEP_3)
	v_fma_f64 v[146:147], v[146:147], v[150:151], s[8:9]
	v_ldexp_f64 v[150:151], v[144:145], 1
	v_add_f64 v[144:145], v[144:145], -v[148:149]
	v_mul_f64 v[146:147], v[160:161], v[146:147]
	v_cvt_f64_i32_e32 v[160:161], v214
	s_delay_alu instid0(VALU_DEP_3) | instskip(NEXT) | instid1(VALU_DEP_3)
	v_add_f64 v[133:134], v[133:134], -v[144:145]
	v_add_f64 v[148:149], v[150:151], v[146:147]
	s_delay_alu instid0(VALU_DEP_3) | instskip(NEXT) | instid1(VALU_DEP_3)
	v_mul_f64 v[162:163], v[160:161], s[4:5]
	v_ldexp_f64 v[133:134], v[133:134], 1
	s_delay_alu instid0(VALU_DEP_3) | instskip(NEXT) | instid1(VALU_DEP_3)
	v_add_f64 v[144:145], v[148:149], -v[150:151]
	v_fma_f64 v[150:151], v[160:161], s[4:5], -v[162:163]
	s_delay_alu instid0(VALU_DEP_2) | instskip(NEXT) | instid1(VALU_DEP_2)
	v_add_f64 v[144:145], v[146:147], -v[144:145]
	v_fma_f64 v[146:147], v[160:161], s[6:7], v[150:151]
	s_delay_alu instid0(VALU_DEP_2) | instskip(NEXT) | instid1(VALU_DEP_2)
	v_add_f64 v[133:134], v[133:134], v[144:145]
	v_add_f64 v[144:145], v[162:163], v[146:147]
	s_delay_alu instid0(VALU_DEP_2) | instskip(NEXT) | instid1(VALU_DEP_2)
	v_add_f64 v[150:151], v[148:149], v[133:134]
	v_add_f64 v[162:163], v[144:145], -v[162:163]
	s_delay_alu instid0(VALU_DEP_2) | instskip(SKIP_1) | instid1(VALU_DEP_3)
	v_add_f64 v[160:161], v[144:145], v[150:151]
	v_add_f64 v[148:149], v[150:151], -v[148:149]
	v_add_f64 v[146:147], v[146:147], -v[162:163]
	s_delay_alu instid0(VALU_DEP_3) | instskip(NEXT) | instid1(VALU_DEP_3)
	v_add_f64 v[164:165], v[160:161], -v[144:145]
	v_add_f64 v[133:134], v[133:134], -v[148:149]
	s_delay_alu instid0(VALU_DEP_2) | instskip(SKIP_1) | instid1(VALU_DEP_3)
	v_add_f64 v[166:167], v[160:161], -v[164:165]
	v_add_f64 v[148:149], v[150:151], -v[164:165]
	v_add_f64 v[150:151], v[146:147], v[133:134]
	s_delay_alu instid0(VALU_DEP_3) | instskip(NEXT) | instid1(VALU_DEP_1)
	v_add_f64 v[144:145], v[144:145], -v[166:167]
	v_add_f64 v[144:145], v[148:149], v[144:145]
	s_delay_alu instid0(VALU_DEP_3) | instskip(NEXT) | instid1(VALU_DEP_2)
	v_add_f64 v[148:149], v[150:151], -v[146:147]
	v_add_f64 v[144:145], v[150:151], v[144:145]
	s_delay_alu instid0(VALU_DEP_2) | instskip(SKIP_1) | instid1(VALU_DEP_3)
	v_add_f64 v[150:151], v[150:151], -v[148:149]
	v_add_f64 v[133:134], v[133:134], -v[148:149]
	v_add_f64 v[162:163], v[160:161], v[144:145]
	s_delay_alu instid0(VALU_DEP_3) | instskip(NEXT) | instid1(VALU_DEP_2)
	v_add_f64 v[146:147], v[146:147], -v[150:151]
	v_add_f64 v[148:149], v[162:163], -v[160:161]
	s_delay_alu instid0(VALU_DEP_2) | instskip(NEXT) | instid1(VALU_DEP_2)
	v_add_f64 v[133:134], v[133:134], v[146:147]
	v_add_f64 v[144:145], v[144:145], -v[148:149]
	s_delay_alu instid0(VALU_DEP_1) | instskip(NEXT) | instid1(VALU_DEP_1)
	v_add_f64 v[133:134], v[133:134], v[144:145]
	v_add_f64 v[133:134], v[162:163], v[133:134]
	s_delay_alu instid0(VALU_DEP_1) | instskip(SKIP_1) | instid1(VALU_DEP_2)
	v_dual_cndmask_b32 v133, v133, v34 :: v_dual_cndmask_b32 v134, v134, v35
	v_cmp_ngt_f64_e32 vcc_lo, -1.0, v[34:35]
	v_cndmask_b32_e32 v134, 0x7ff80000, v134, vcc_lo
	v_cmp_nge_f64_e32 vcc_lo, -1.0, v[34:35]
	s_delay_alu instid0(VALU_DEP_4) | instskip(SKIP_1) | instid1(VALU_DEP_4)
	v_cndmask_b32_e32 v133, 0, v133, vcc_lo
	v_cmp_neq_f64_e32 vcc_lo, -1.0, v[34:35]
	v_cndmask_b32_e32 v134, 0xfff00000, v134, vcc_lo
	s_delay_alu instid0(VALU_DEP_1)
	v_add_f64 v[34:35], v[131:132], v[133:134]
.LBB76_255:
	s_or_b32 exec_lo, exec_lo, s10
	s_branch .LBB76_375
.LBB76_256:
	v_cmp_ne_u64_e32 vcc_lo, 0, v[48:49]
	s_and_b32 s2, s2, vcc_lo
	s_delay_alu instid0(SALU_CYCLE_1)
	s_and_saveexec_b32 s8, s2
	s_cbranch_execz .LBB76_260
; %bb.257:
	flat_load_b64 v[4:5], v[36:37]
	v_max_f64 v[6:7], v[0:1], v[0:1]
	v_cmp_u_f64_e64 s2, v[0:1], v[0:1]
	s_waitcnt vmcnt(0) lgkmcnt(0)
	v_max_f64 v[8:9], v[4:5], v[4:5]
	v_cmp_u_f64_e32 vcc_lo, v[4:5], v[4:5]
	s_delay_alu instid0(VALU_DEP_2) | instskip(SKIP_1) | instid1(VALU_DEP_2)
	v_min_f64 v[10:11], v[8:9], v[6:7]
	v_max_f64 v[6:7], v[8:9], v[6:7]
	v_dual_cndmask_b32 v8, v10, v4 :: v_dual_cndmask_b32 v9, v11, v5
	s_delay_alu instid0(VALU_DEP_2) | instskip(NEXT) | instid1(VALU_DEP_2)
	v_dual_cndmask_b32 v10, v7, v5 :: v_dual_cndmask_b32 v11, v6, v4
	v_cndmask_b32_e64 v6, v8, v0, s2
	s_delay_alu instid0(VALU_DEP_3) | instskip(NEXT) | instid1(VALU_DEP_3)
	v_cndmask_b32_e64 v7, v9, v1, s2
	v_cndmask_b32_e64 v1, v10, v1, s2
	s_delay_alu instid0(VALU_DEP_4) | instskip(NEXT) | instid1(VALU_DEP_3)
	v_cndmask_b32_e64 v0, v11, v0, s2
	v_cmp_class_f64_e64 s2, v[6:7], 0x1f8
	s_delay_alu instid0(VALU_DEP_2) | instskip(NEXT) | instid1(VALU_DEP_2)
	v_cmp_neq_f64_e32 vcc_lo, v[6:7], v[0:1]
	s_or_b32 s2, vcc_lo, s2
	s_delay_alu instid0(SALU_CYCLE_1)
	s_and_saveexec_b32 s9, s2
	s_cbranch_execz .LBB76_259
; %bb.258:
	v_add_f64 v[4:5], v[6:7], -v[0:1]
	s_mov_b32 s2, 0x652b82fe
	s_mov_b32 s3, 0x3ff71547
	s_mov_b32 s5, 0xbfe62e42
	s_mov_b32 s4, 0xfefa39ef
	s_mov_b32 s7, 0xbc7abc9e
	s_mov_b32 s6, 0x3b39803f
	s_mov_b32 s10, 0x6a5dcb37
	s_mov_b32 s11, 0x3e5ade15
	s_mov_b32 s12, 0xbf559e2b
	s_mov_b32 s13, 0x3fc3ab76
	s_delay_alu instid0(VALU_DEP_1) | instskip(SKIP_3) | instid1(VALU_DEP_2)
	v_mul_f64 v[6:7], v[4:5], s[2:3]
	s_mov_b32 s2, 0xfca7ab0c
	s_mov_b32 s3, 0x3e928af3
	v_cmp_nlt_f64_e32 vcc_lo, 0x40900000, v[4:5]
	v_rndne_f64_e32 v[6:7], v[6:7]
	s_delay_alu instid0(VALU_DEP_1) | instskip(SKIP_2) | instid1(VALU_DEP_2)
	v_fma_f64 v[8:9], v[6:7], s[4:5], v[4:5]
	v_cvt_i32_f64_e32 v12, v[6:7]
	s_mov_b32 s5, 0x3fe62e42
	v_fma_f64 v[8:9], v[6:7], s[6:7], v[8:9]
	s_mov_b32 s7, 0x3c7abc9e
	s_delay_alu instid0(VALU_DEP_1) | instskip(SKIP_4) | instid1(VALU_DEP_1)
	v_fma_f64 v[10:11], v[8:9], s[10:11], s[2:3]
	s_mov_b32 s2, 0x623fde64
	s_mov_b32 s3, 0x3ec71dee
	;; [unrolled: 1-line block ×4, first 2 shown]
	v_fma_f64 v[10:11], v[8:9], v[10:11], s[2:3]
	s_mov_b32 s2, 0x7c89e6b0
	s_mov_b32 s3, 0x3efa0199
	s_delay_alu instid0(VALU_DEP_1) | instid1(SALU_CYCLE_1)
	v_fma_f64 v[10:11], v[8:9], v[10:11], s[2:3]
	s_mov_b32 s2, 0x14761f6e
	s_mov_b32 s3, 0x3f2a01a0
	s_delay_alu instid0(VALU_DEP_1) | instid1(SALU_CYCLE_1)
	;; [unrolled: 4-line block ×7, first 2 shown]
	v_fma_f64 v[10:11], v[8:9], v[10:11], s[2:3]
	v_cmp_ngt_f64_e64 s2, 0xc090cc00, v[4:5]
	s_mov_b32 s3, 0x3fe55555
	s_delay_alu instid0(VALU_DEP_2) | instskip(NEXT) | instid1(VALU_DEP_1)
	v_fma_f64 v[10:11], v[8:9], v[10:11], 1.0
	v_fma_f64 v[6:7], v[8:9], v[10:11], 1.0
	s_delay_alu instid0(VALU_DEP_1) | instskip(NEXT) | instid1(VALU_DEP_1)
	v_ldexp_f64 v[6:7], v[6:7], v12
	v_cndmask_b32_e32 v7, 0x7ff00000, v7, vcc_lo
	s_and_b32 vcc_lo, s2, vcc_lo
	s_delay_alu instid0(VALU_DEP_1) | instskip(NEXT) | instid1(VALU_DEP_3)
	v_cndmask_b32_e64 v5, 0, v7, s2
	v_cndmask_b32_e32 v4, 0, v6, vcc_lo
	s_mov_b32 s2, 0x55555555
	s_delay_alu instid0(VALU_DEP_1) | instskip(NEXT) | instid1(VALU_DEP_1)
	v_add_f64 v[6:7], v[4:5], 1.0
	v_frexp_mant_f64_e32 v[8:9], v[6:7]
	v_frexp_exp_i32_f64_e32 v12, v[6:7]
	v_add_f64 v[10:11], v[6:7], -1.0
	s_delay_alu instid0(VALU_DEP_3) | instskip(SKIP_1) | instid1(VALU_DEP_2)
	v_cmp_gt_f64_e32 vcc_lo, s[2:3], v[8:9]
	s_mov_b32 s2, 0x55555780
	v_add_f64 v[8:9], v[10:11], -v[6:7]
	v_add_f64 v[10:11], v[4:5], -v[10:11]
	v_subrev_co_ci_u32_e32 v28, vcc_lo, 0, v12, vcc_lo
	s_delay_alu instid0(VALU_DEP_3) | instskip(SKIP_1) | instid1(VALU_DEP_3)
	v_add_f64 v[8:9], v[8:9], 1.0
	v_cmp_eq_f64_e32 vcc_lo, 0x7ff00000, v[4:5]
	v_sub_nc_u32_e32 v14, 0, v28
	s_delay_alu instid0(VALU_DEP_1) | instskip(NEXT) | instid1(VALU_DEP_4)
	v_ldexp_f64 v[6:7], v[6:7], v14
	v_add_f64 v[8:9], v[10:11], v[8:9]
	s_delay_alu instid0(VALU_DEP_2) | instskip(SKIP_1) | instid1(VALU_DEP_3)
	v_add_f64 v[12:13], v[6:7], 1.0
	v_add_f64 v[18:19], v[6:7], -1.0
	v_ldexp_f64 v[8:9], v[8:9], v14
	s_delay_alu instid0(VALU_DEP_3) | instskip(NEXT) | instid1(VALU_DEP_3)
	v_add_f64 v[10:11], v[12:13], -1.0
	v_add_f64 v[20:21], v[18:19], 1.0
	s_delay_alu instid0(VALU_DEP_2) | instskip(NEXT) | instid1(VALU_DEP_2)
	v_add_f64 v[10:11], v[6:7], -v[10:11]
	v_add_f64 v[6:7], v[6:7], -v[20:21]
	s_delay_alu instid0(VALU_DEP_2) | instskip(NEXT) | instid1(VALU_DEP_2)
	v_add_f64 v[10:11], v[8:9], v[10:11]
	v_add_f64 v[6:7], v[8:9], v[6:7]
	s_delay_alu instid0(VALU_DEP_2) | instskip(NEXT) | instid1(VALU_DEP_2)
	v_add_f64 v[14:15], v[12:13], v[10:11]
	v_add_f64 v[20:21], v[18:19], v[6:7]
	s_delay_alu instid0(VALU_DEP_2) | instskip(SKIP_1) | instid1(VALU_DEP_2)
	v_rcp_f64_e32 v[16:17], v[14:15]
	v_add_f64 v[12:13], v[14:15], -v[12:13]
	v_add_f64 v[18:19], v[20:21], -v[18:19]
	s_delay_alu instid0(VALU_DEP_2) | instskip(SKIP_3) | instid1(VALU_DEP_2)
	v_add_f64 v[10:11], v[10:11], -v[12:13]
	s_waitcnt_depctr 0xfff
	v_fma_f64 v[22:23], -v[14:15], v[16:17], 1.0
	v_add_f64 v[6:7], v[6:7], -v[18:19]
	v_fma_f64 v[16:17], v[22:23], v[16:17], v[16:17]
	s_delay_alu instid0(VALU_DEP_1) | instskip(NEXT) | instid1(VALU_DEP_1)
	v_fma_f64 v[8:9], -v[14:15], v[16:17], 1.0
	v_fma_f64 v[8:9], v[8:9], v[16:17], v[16:17]
	s_delay_alu instid0(VALU_DEP_1) | instskip(NEXT) | instid1(VALU_DEP_1)
	v_mul_f64 v[16:17], v[20:21], v[8:9]
	v_mul_f64 v[22:23], v[14:15], v[16:17]
	s_delay_alu instid0(VALU_DEP_1) | instskip(NEXT) | instid1(VALU_DEP_1)
	v_fma_f64 v[12:13], v[16:17], v[14:15], -v[22:23]
	v_fma_f64 v[12:13], v[16:17], v[10:11], v[12:13]
	s_delay_alu instid0(VALU_DEP_1) | instskip(NEXT) | instid1(VALU_DEP_1)
	v_add_f64 v[24:25], v[22:23], v[12:13]
	v_add_f64 v[26:27], v[20:21], -v[24:25]
	v_add_f64 v[18:19], v[24:25], -v[22:23]
	s_delay_alu instid0(VALU_DEP_2) | instskip(NEXT) | instid1(VALU_DEP_2)
	v_add_f64 v[20:21], v[20:21], -v[26:27]
	v_add_f64 v[12:13], v[18:19], -v[12:13]
	s_delay_alu instid0(VALU_DEP_2) | instskip(NEXT) | instid1(VALU_DEP_1)
	v_add_f64 v[20:21], v[20:21], -v[24:25]
	v_add_f64 v[6:7], v[6:7], v[20:21]
	s_delay_alu instid0(VALU_DEP_1) | instskip(NEXT) | instid1(VALU_DEP_1)
	v_add_f64 v[6:7], v[12:13], v[6:7]
	v_add_f64 v[12:13], v[26:27], v[6:7]
	s_delay_alu instid0(VALU_DEP_1) | instskip(SKIP_1) | instid1(VALU_DEP_2)
	v_mul_f64 v[18:19], v[8:9], v[12:13]
	v_add_f64 v[24:25], v[26:27], -v[12:13]
	v_mul_f64 v[20:21], v[14:15], v[18:19]
	s_delay_alu instid0(VALU_DEP_2) | instskip(NEXT) | instid1(VALU_DEP_2)
	v_add_f64 v[6:7], v[6:7], v[24:25]
	v_fma_f64 v[14:15], v[18:19], v[14:15], -v[20:21]
	s_delay_alu instid0(VALU_DEP_1) | instskip(NEXT) | instid1(VALU_DEP_1)
	v_fma_f64 v[10:11], v[18:19], v[10:11], v[14:15]
	v_add_f64 v[14:15], v[20:21], v[10:11]
	s_delay_alu instid0(VALU_DEP_1) | instskip(SKIP_1) | instid1(VALU_DEP_2)
	v_add_f64 v[22:23], v[12:13], -v[14:15]
	v_add_f64 v[20:21], v[14:15], -v[20:21]
	;; [unrolled: 1-line block ×3, first 2 shown]
	s_delay_alu instid0(VALU_DEP_2) | instskip(NEXT) | instid1(VALU_DEP_2)
	v_add_f64 v[10:11], v[20:21], -v[10:11]
	v_add_f64 v[12:13], v[12:13], -v[14:15]
	s_delay_alu instid0(VALU_DEP_1) | instskip(SKIP_1) | instid1(VALU_DEP_2)
	v_add_f64 v[6:7], v[6:7], v[12:13]
	v_add_f64 v[12:13], v[16:17], v[18:19]
	;; [unrolled: 1-line block ×3, first 2 shown]
	s_delay_alu instid0(VALU_DEP_2) | instskip(NEXT) | instid1(VALU_DEP_2)
	v_add_f64 v[10:11], v[12:13], -v[16:17]
	v_add_f64 v[6:7], v[22:23], v[6:7]
	s_delay_alu instid0(VALU_DEP_2) | instskip(NEXT) | instid1(VALU_DEP_2)
	v_add_f64 v[10:11], v[18:19], -v[10:11]
	v_mul_f64 v[6:7], v[8:9], v[6:7]
	s_delay_alu instid0(VALU_DEP_1) | instskip(NEXT) | instid1(VALU_DEP_1)
	v_add_f64 v[6:7], v[10:11], v[6:7]
	v_add_f64 v[8:9], v[12:13], v[6:7]
	s_delay_alu instid0(VALU_DEP_1) | instskip(NEXT) | instid1(VALU_DEP_1)
	v_mul_f64 v[10:11], v[8:9], v[8:9]
	v_fma_f64 v[14:15], v[10:11], s[12:13], s[10:11]
	s_mov_b32 s10, 0xd7f4df2e
	s_mov_b32 s11, 0x3fc7474d
	v_mul_f64 v[16:17], v[8:9], v[10:11]
	s_delay_alu instid0(VALU_DEP_2)
	v_fma_f64 v[14:15], v[10:11], v[14:15], s[10:11]
	s_mov_b32 s10, 0x16291751
	s_mov_b32 s11, 0x3fcc71c0
	s_delay_alu instid0(VALU_DEP_1) | instid1(SALU_CYCLE_1)
	v_fma_f64 v[14:15], v[10:11], v[14:15], s[10:11]
	s_mov_b32 s10, 0x9b27acf1
	s_mov_b32 s11, 0x3fd24924
	s_delay_alu instid0(VALU_DEP_1) | instid1(SALU_CYCLE_1)
	;; [unrolled: 4-line block ×3, first 2 shown]
	v_fma_f64 v[14:15], v[10:11], v[14:15], s[10:11]
	s_delay_alu instid0(VALU_DEP_1) | instskip(SKIP_2) | instid1(VALU_DEP_3)
	v_fma_f64 v[10:11], v[10:11], v[14:15], s[2:3]
	v_ldexp_f64 v[14:15], v[8:9], 1
	v_add_f64 v[8:9], v[8:9], -v[12:13]
	v_mul_f64 v[10:11], v[16:17], v[10:11]
	v_cvt_f64_i32_e32 v[16:17], v28
	s_delay_alu instid0(VALU_DEP_3) | instskip(NEXT) | instid1(VALU_DEP_3)
	v_add_f64 v[6:7], v[6:7], -v[8:9]
	v_add_f64 v[12:13], v[14:15], v[10:11]
	s_delay_alu instid0(VALU_DEP_3) | instskip(NEXT) | instid1(VALU_DEP_3)
	v_mul_f64 v[18:19], v[16:17], s[4:5]
	v_ldexp_f64 v[6:7], v[6:7], 1
	s_delay_alu instid0(VALU_DEP_3) | instskip(NEXT) | instid1(VALU_DEP_3)
	v_add_f64 v[8:9], v[12:13], -v[14:15]
	v_fma_f64 v[14:15], v[16:17], s[4:5], -v[18:19]
	s_delay_alu instid0(VALU_DEP_2) | instskip(NEXT) | instid1(VALU_DEP_2)
	v_add_f64 v[8:9], v[10:11], -v[8:9]
	v_fma_f64 v[10:11], v[16:17], s[6:7], v[14:15]
	s_delay_alu instid0(VALU_DEP_2) | instskip(NEXT) | instid1(VALU_DEP_2)
	v_add_f64 v[6:7], v[6:7], v[8:9]
	v_add_f64 v[8:9], v[18:19], v[10:11]
	s_delay_alu instid0(VALU_DEP_2) | instskip(NEXT) | instid1(VALU_DEP_2)
	v_add_f64 v[14:15], v[12:13], v[6:7]
	v_add_f64 v[18:19], v[8:9], -v[18:19]
	s_delay_alu instid0(VALU_DEP_2) | instskip(SKIP_1) | instid1(VALU_DEP_3)
	v_add_f64 v[16:17], v[8:9], v[14:15]
	v_add_f64 v[12:13], v[14:15], -v[12:13]
	v_add_f64 v[10:11], v[10:11], -v[18:19]
	s_delay_alu instid0(VALU_DEP_3) | instskip(NEXT) | instid1(VALU_DEP_3)
	v_add_f64 v[20:21], v[16:17], -v[8:9]
	v_add_f64 v[6:7], v[6:7], -v[12:13]
	s_delay_alu instid0(VALU_DEP_2) | instskip(SKIP_1) | instid1(VALU_DEP_3)
	v_add_f64 v[22:23], v[16:17], -v[20:21]
	v_add_f64 v[12:13], v[14:15], -v[20:21]
	v_add_f64 v[14:15], v[10:11], v[6:7]
	s_delay_alu instid0(VALU_DEP_3) | instskip(NEXT) | instid1(VALU_DEP_1)
	v_add_f64 v[8:9], v[8:9], -v[22:23]
	v_add_f64 v[8:9], v[12:13], v[8:9]
	s_delay_alu instid0(VALU_DEP_3) | instskip(NEXT) | instid1(VALU_DEP_2)
	v_add_f64 v[12:13], v[14:15], -v[10:11]
	v_add_f64 v[8:9], v[14:15], v[8:9]
	s_delay_alu instid0(VALU_DEP_2) | instskip(SKIP_1) | instid1(VALU_DEP_3)
	v_add_f64 v[14:15], v[14:15], -v[12:13]
	v_add_f64 v[6:7], v[6:7], -v[12:13]
	v_add_f64 v[18:19], v[16:17], v[8:9]
	s_delay_alu instid0(VALU_DEP_3) | instskip(NEXT) | instid1(VALU_DEP_2)
	v_add_f64 v[10:11], v[10:11], -v[14:15]
	v_add_f64 v[12:13], v[18:19], -v[16:17]
	s_delay_alu instid0(VALU_DEP_2) | instskip(NEXT) | instid1(VALU_DEP_2)
	v_add_f64 v[6:7], v[6:7], v[10:11]
	v_add_f64 v[8:9], v[8:9], -v[12:13]
	s_delay_alu instid0(VALU_DEP_1) | instskip(NEXT) | instid1(VALU_DEP_1)
	v_add_f64 v[6:7], v[6:7], v[8:9]
	v_add_f64 v[6:7], v[18:19], v[6:7]
	s_delay_alu instid0(VALU_DEP_1) | instskip(SKIP_1) | instid1(VALU_DEP_2)
	v_dual_cndmask_b32 v7, v7, v5 :: v_dual_cndmask_b32 v6, v6, v4
	v_cmp_ngt_f64_e32 vcc_lo, -1.0, v[4:5]
	v_cndmask_b32_e32 v7, 0x7ff80000, v7, vcc_lo
	v_cmp_nge_f64_e32 vcc_lo, -1.0, v[4:5]
	s_delay_alu instid0(VALU_DEP_4) | instskip(SKIP_1) | instid1(VALU_DEP_4)
	v_cndmask_b32_e32 v6, 0, v6, vcc_lo
	v_cmp_neq_f64_e32 vcc_lo, -1.0, v[4:5]
	v_cndmask_b32_e32 v7, 0xfff00000, v7, vcc_lo
	s_delay_alu instid0(VALU_DEP_1)
	v_add_f64 v[4:5], v[0:1], v[6:7]
.LBB76_259:
	s_or_b32 exec_lo, exec_lo, s9
	s_delay_alu instid0(VALU_DEP_1)
	v_dual_mov_b32 v0, v4 :: v_dual_mov_b32 v1, v5
.LBB76_260:
	s_or_b32 exec_lo, exec_lo, s8
	s_delay_alu instid0(VALU_DEP_1) | instskip(SKIP_3) | instid1(VALU_DEP_4)
	v_max_f64 v[32:33], v[0:1], v[0:1]
	v_cmp_u_f64_e64 s16, v[0:1], v[0:1]
	v_cmp_u_f64_e32 vcc_lo, v[2:3], v[2:3]
	v_dual_mov_b32 v49, v1 :: v_dual_mov_b32 v48, v0
	v_min_f64 v[34:35], v[32:33], v[54:55]
	v_max_f64 v[36:37], v[32:33], v[54:55]
	s_delay_alu instid0(VALU_DEP_2) | instskip(NEXT) | instid1(VALU_DEP_3)
	v_cndmask_b32_e64 v4, v34, v0, s16
	v_cndmask_b32_e64 v5, v35, v1, s16
	s_delay_alu instid0(VALU_DEP_3) | instskip(NEXT) | instid1(VALU_DEP_4)
	v_cndmask_b32_e64 v8, v37, v1, s16
	v_cndmask_b32_e64 v9, v36, v0, s16
	s_delay_alu instid0(VALU_DEP_3) | instskip(NEXT) | instid1(VALU_DEP_2)
	v_dual_cndmask_b32 v6, v4, v2 :: v_dual_cndmask_b32 v7, v5, v3
	v_dual_cndmask_b32 v5, v8, v3 :: v_dual_cndmask_b32 v4, v9, v2
	s_delay_alu instid0(VALU_DEP_2) | instskip(NEXT) | instid1(VALU_DEP_2)
	v_cmp_class_f64_e64 s3, v[6:7], 0x1f8
	v_cmp_neq_f64_e64 s2, v[6:7], v[4:5]
	s_delay_alu instid0(VALU_DEP_1) | instskip(NEXT) | instid1(SALU_CYCLE_1)
	s_or_b32 s2, s2, s3
	s_and_saveexec_b32 s8, s2
	s_cbranch_execz .LBB76_262
; %bb.261:
	v_add_f64 v[6:7], v[6:7], -v[4:5]
	s_mov_b32 s2, 0x652b82fe
	s_mov_b32 s3, 0x3ff71547
	s_mov_b32 s5, 0xbfe62e42
	s_mov_b32 s4, 0xfefa39ef
	s_mov_b32 s7, 0xbc7abc9e
	s_mov_b32 s6, 0x3b39803f
	s_mov_b32 s10, 0x6a5dcb37
	s_mov_b32 s11, 0x3e5ade15
	s_mov_b32 s12, 0xbf559e2b
	s_mov_b32 s13, 0x3fc3ab76
	s_delay_alu instid0(VALU_DEP_1) | instskip(SKIP_2) | instid1(VALU_DEP_1)
	v_mul_f64 v[8:9], v[6:7], s[2:3]
	s_mov_b32 s2, 0xfca7ab0c
	s_mov_b32 s3, 0x3e928af3
	v_rndne_f64_e32 v[8:9], v[8:9]
	s_delay_alu instid0(VALU_DEP_1) | instskip(SKIP_2) | instid1(VALU_DEP_2)
	v_fma_f64 v[10:11], v[8:9], s[4:5], v[6:7]
	v_cvt_i32_f64_e32 v14, v[8:9]
	s_mov_b32 s5, 0x3fe62e42
	v_fma_f64 v[10:11], v[8:9], s[6:7], v[10:11]
	s_mov_b32 s7, 0x3c7abc9e
	s_delay_alu instid0(VALU_DEP_1) | instskip(SKIP_4) | instid1(VALU_DEP_1)
	v_fma_f64 v[12:13], v[10:11], s[10:11], s[2:3]
	s_mov_b32 s2, 0x623fde64
	s_mov_b32 s3, 0x3ec71dee
	;; [unrolled: 1-line block ×4, first 2 shown]
	v_fma_f64 v[12:13], v[10:11], v[12:13], s[2:3]
	s_mov_b32 s2, 0x7c89e6b0
	s_mov_b32 s3, 0x3efa0199
	s_delay_alu instid0(VALU_DEP_1) | instid1(SALU_CYCLE_1)
	v_fma_f64 v[12:13], v[10:11], v[12:13], s[2:3]
	s_mov_b32 s2, 0x14761f6e
	s_mov_b32 s3, 0x3f2a01a0
	s_delay_alu instid0(VALU_DEP_1) | instid1(SALU_CYCLE_1)
	;; [unrolled: 4-line block ×7, first 2 shown]
	v_fma_f64 v[12:13], v[10:11], v[12:13], s[2:3]
	v_cmp_nlt_f64_e64 s2, 0x40900000, v[6:7]
	v_cmp_ngt_f64_e64 s3, 0xc090cc00, v[6:7]
	s_delay_alu instid0(VALU_DEP_3) | instskip(NEXT) | instid1(VALU_DEP_1)
	v_fma_f64 v[12:13], v[10:11], v[12:13], 1.0
	v_fma_f64 v[8:9], v[10:11], v[12:13], 1.0
	s_delay_alu instid0(VALU_DEP_1) | instskip(NEXT) | instid1(VALU_DEP_1)
	v_ldexp_f64 v[8:9], v[8:9], v14
	v_cndmask_b32_e64 v9, 0x7ff00000, v9, s2
	s_and_b32 s2, s3, s2
	s_delay_alu instid0(VALU_DEP_2) | instid1(SALU_CYCLE_1)
	v_cndmask_b32_e64 v6, 0, v8, s2
	s_mov_b32 s2, 0x55555555
	s_delay_alu instid0(VALU_DEP_2) | instskip(SKIP_1) | instid1(VALU_DEP_1)
	v_cndmask_b32_e64 v7, 0, v9, s3
	s_mov_b32 s3, 0x3fe55555
	v_add_f64 v[8:9], v[6:7], 1.0
	s_delay_alu instid0(VALU_DEP_1) | instskip(SKIP_2) | instid1(VALU_DEP_3)
	v_frexp_mant_f64_e32 v[10:11], v[8:9]
	v_frexp_exp_i32_f64_e32 v14, v[8:9]
	v_add_f64 v[12:13], v[8:9], -1.0
	v_cmp_gt_f64_e64 s2, s[2:3], v[10:11]
	s_delay_alu instid0(VALU_DEP_2) | instskip(SKIP_1) | instid1(VALU_DEP_3)
	v_add_f64 v[10:11], v[12:13], -v[8:9]
	v_add_f64 v[12:13], v[6:7], -v[12:13]
	v_subrev_co_ci_u32_e64 v30, s2, 0, v14, s2
	s_delay_alu instid0(VALU_DEP_3) | instskip(SKIP_1) | instid1(VALU_DEP_2)
	v_add_f64 v[10:11], v[10:11], 1.0
	s_mov_b32 s2, 0x55555780
	v_sub_nc_u32_e32 v16, 0, v30
	s_delay_alu instid0(VALU_DEP_1) | instskip(NEXT) | instid1(VALU_DEP_3)
	v_ldexp_f64 v[8:9], v[8:9], v16
	v_add_f64 v[10:11], v[12:13], v[10:11]
	s_delay_alu instid0(VALU_DEP_2) | instskip(SKIP_1) | instid1(VALU_DEP_3)
	v_add_f64 v[14:15], v[8:9], 1.0
	v_add_f64 v[20:21], v[8:9], -1.0
	v_ldexp_f64 v[10:11], v[10:11], v16
	s_delay_alu instid0(VALU_DEP_3) | instskip(NEXT) | instid1(VALU_DEP_3)
	v_add_f64 v[12:13], v[14:15], -1.0
	v_add_f64 v[22:23], v[20:21], 1.0
	s_delay_alu instid0(VALU_DEP_2) | instskip(NEXT) | instid1(VALU_DEP_2)
	v_add_f64 v[12:13], v[8:9], -v[12:13]
	v_add_f64 v[8:9], v[8:9], -v[22:23]
	s_delay_alu instid0(VALU_DEP_2) | instskip(NEXT) | instid1(VALU_DEP_2)
	v_add_f64 v[12:13], v[10:11], v[12:13]
	v_add_f64 v[8:9], v[10:11], v[8:9]
	s_delay_alu instid0(VALU_DEP_2) | instskip(NEXT) | instid1(VALU_DEP_2)
	v_add_f64 v[16:17], v[14:15], v[12:13]
	v_add_f64 v[22:23], v[20:21], v[8:9]
	s_delay_alu instid0(VALU_DEP_2) | instskip(SKIP_1) | instid1(VALU_DEP_2)
	v_rcp_f64_e32 v[18:19], v[16:17]
	v_add_f64 v[14:15], v[16:17], -v[14:15]
	v_add_f64 v[20:21], v[22:23], -v[20:21]
	s_delay_alu instid0(VALU_DEP_2) | instskip(SKIP_3) | instid1(VALU_DEP_2)
	v_add_f64 v[12:13], v[12:13], -v[14:15]
	s_waitcnt_depctr 0xfff
	v_fma_f64 v[24:25], -v[16:17], v[18:19], 1.0
	v_add_f64 v[8:9], v[8:9], -v[20:21]
	v_fma_f64 v[18:19], v[24:25], v[18:19], v[18:19]
	s_delay_alu instid0(VALU_DEP_1) | instskip(NEXT) | instid1(VALU_DEP_1)
	v_fma_f64 v[10:11], -v[16:17], v[18:19], 1.0
	v_fma_f64 v[10:11], v[10:11], v[18:19], v[18:19]
	s_delay_alu instid0(VALU_DEP_1) | instskip(NEXT) | instid1(VALU_DEP_1)
	v_mul_f64 v[18:19], v[22:23], v[10:11]
	v_mul_f64 v[24:25], v[16:17], v[18:19]
	s_delay_alu instid0(VALU_DEP_1) | instskip(NEXT) | instid1(VALU_DEP_1)
	v_fma_f64 v[14:15], v[18:19], v[16:17], -v[24:25]
	v_fma_f64 v[14:15], v[18:19], v[12:13], v[14:15]
	s_delay_alu instid0(VALU_DEP_1) | instskip(NEXT) | instid1(VALU_DEP_1)
	v_add_f64 v[26:27], v[24:25], v[14:15]
	v_add_f64 v[28:29], v[22:23], -v[26:27]
	v_add_f64 v[20:21], v[26:27], -v[24:25]
	s_delay_alu instid0(VALU_DEP_2) | instskip(NEXT) | instid1(VALU_DEP_2)
	v_add_f64 v[22:23], v[22:23], -v[28:29]
	v_add_f64 v[14:15], v[20:21], -v[14:15]
	s_delay_alu instid0(VALU_DEP_2) | instskip(NEXT) | instid1(VALU_DEP_1)
	v_add_f64 v[22:23], v[22:23], -v[26:27]
	v_add_f64 v[8:9], v[8:9], v[22:23]
	s_delay_alu instid0(VALU_DEP_1) | instskip(NEXT) | instid1(VALU_DEP_1)
	v_add_f64 v[8:9], v[14:15], v[8:9]
	v_add_f64 v[14:15], v[28:29], v[8:9]
	s_delay_alu instid0(VALU_DEP_1) | instskip(SKIP_1) | instid1(VALU_DEP_2)
	v_mul_f64 v[20:21], v[10:11], v[14:15]
	v_add_f64 v[26:27], v[28:29], -v[14:15]
	v_mul_f64 v[22:23], v[16:17], v[20:21]
	s_delay_alu instid0(VALU_DEP_2) | instskip(NEXT) | instid1(VALU_DEP_2)
	v_add_f64 v[8:9], v[8:9], v[26:27]
	v_fma_f64 v[16:17], v[20:21], v[16:17], -v[22:23]
	s_delay_alu instid0(VALU_DEP_1) | instskip(NEXT) | instid1(VALU_DEP_1)
	v_fma_f64 v[12:13], v[20:21], v[12:13], v[16:17]
	v_add_f64 v[16:17], v[22:23], v[12:13]
	s_delay_alu instid0(VALU_DEP_1) | instskip(SKIP_1) | instid1(VALU_DEP_2)
	v_add_f64 v[24:25], v[14:15], -v[16:17]
	v_add_f64 v[22:23], v[16:17], -v[22:23]
	;; [unrolled: 1-line block ×3, first 2 shown]
	s_delay_alu instid0(VALU_DEP_2) | instskip(NEXT) | instid1(VALU_DEP_2)
	v_add_f64 v[12:13], v[22:23], -v[12:13]
	v_add_f64 v[14:15], v[14:15], -v[16:17]
	s_delay_alu instid0(VALU_DEP_1) | instskip(SKIP_1) | instid1(VALU_DEP_2)
	v_add_f64 v[8:9], v[8:9], v[14:15]
	v_add_f64 v[14:15], v[18:19], v[20:21]
	;; [unrolled: 1-line block ×3, first 2 shown]
	s_delay_alu instid0(VALU_DEP_2) | instskip(NEXT) | instid1(VALU_DEP_2)
	v_add_f64 v[12:13], v[14:15], -v[18:19]
	v_add_f64 v[8:9], v[24:25], v[8:9]
	s_delay_alu instid0(VALU_DEP_2) | instskip(NEXT) | instid1(VALU_DEP_2)
	v_add_f64 v[12:13], v[20:21], -v[12:13]
	v_mul_f64 v[8:9], v[10:11], v[8:9]
	s_delay_alu instid0(VALU_DEP_1) | instskip(NEXT) | instid1(VALU_DEP_1)
	v_add_f64 v[8:9], v[12:13], v[8:9]
	v_add_f64 v[10:11], v[14:15], v[8:9]
	s_delay_alu instid0(VALU_DEP_1) | instskip(NEXT) | instid1(VALU_DEP_1)
	v_mul_f64 v[12:13], v[10:11], v[10:11]
	v_fma_f64 v[16:17], v[12:13], s[12:13], s[10:11]
	s_mov_b32 s10, 0xd7f4df2e
	s_mov_b32 s11, 0x3fc7474d
	v_mul_f64 v[18:19], v[10:11], v[12:13]
	s_delay_alu instid0(VALU_DEP_2)
	v_fma_f64 v[16:17], v[12:13], v[16:17], s[10:11]
	s_mov_b32 s10, 0x16291751
	s_mov_b32 s11, 0x3fcc71c0
	s_delay_alu instid0(VALU_DEP_1) | instid1(SALU_CYCLE_1)
	v_fma_f64 v[16:17], v[12:13], v[16:17], s[10:11]
	s_mov_b32 s10, 0x9b27acf1
	s_mov_b32 s11, 0x3fd24924
	s_delay_alu instid0(VALU_DEP_1) | instid1(SALU_CYCLE_1)
	v_fma_f64 v[16:17], v[12:13], v[16:17], s[10:11]
	s_mov_b32 s10, 0x998ef7b6
	s_mov_b32 s11, 0x3fd99999
	s_delay_alu instid0(VALU_DEP_1) | instid1(SALU_CYCLE_1)
	v_fma_f64 v[16:17], v[12:13], v[16:17], s[10:11]
	s_delay_alu instid0(VALU_DEP_1) | instskip(SKIP_3) | instid1(VALU_DEP_4)
	v_fma_f64 v[12:13], v[12:13], v[16:17], s[2:3]
	v_ldexp_f64 v[16:17], v[10:11], 1
	v_add_f64 v[10:11], v[10:11], -v[14:15]
	v_cmp_eq_f64_e64 s2, 0x7ff00000, v[6:7]
	v_mul_f64 v[12:13], v[18:19], v[12:13]
	v_cvt_f64_i32_e32 v[18:19], v30
	s_delay_alu instid0(VALU_DEP_4) | instskip(NEXT) | instid1(VALU_DEP_3)
	v_add_f64 v[8:9], v[8:9], -v[10:11]
	v_add_f64 v[14:15], v[16:17], v[12:13]
	s_delay_alu instid0(VALU_DEP_3) | instskip(NEXT) | instid1(VALU_DEP_3)
	v_mul_f64 v[20:21], v[18:19], s[4:5]
	v_ldexp_f64 v[8:9], v[8:9], 1
	s_delay_alu instid0(VALU_DEP_3) | instskip(NEXT) | instid1(VALU_DEP_3)
	v_add_f64 v[10:11], v[14:15], -v[16:17]
	v_fma_f64 v[16:17], v[18:19], s[4:5], -v[20:21]
	s_delay_alu instid0(VALU_DEP_2) | instskip(NEXT) | instid1(VALU_DEP_2)
	v_add_f64 v[10:11], v[12:13], -v[10:11]
	v_fma_f64 v[12:13], v[18:19], s[6:7], v[16:17]
	s_delay_alu instid0(VALU_DEP_2) | instskip(NEXT) | instid1(VALU_DEP_2)
	v_add_f64 v[8:9], v[8:9], v[10:11]
	v_add_f64 v[10:11], v[20:21], v[12:13]
	s_delay_alu instid0(VALU_DEP_2) | instskip(NEXT) | instid1(VALU_DEP_2)
	v_add_f64 v[16:17], v[14:15], v[8:9]
	v_add_f64 v[20:21], v[10:11], -v[20:21]
	s_delay_alu instid0(VALU_DEP_2) | instskip(SKIP_1) | instid1(VALU_DEP_3)
	v_add_f64 v[18:19], v[10:11], v[16:17]
	v_add_f64 v[14:15], v[16:17], -v[14:15]
	v_add_f64 v[12:13], v[12:13], -v[20:21]
	s_delay_alu instid0(VALU_DEP_3) | instskip(NEXT) | instid1(VALU_DEP_3)
	v_add_f64 v[22:23], v[18:19], -v[10:11]
	v_add_f64 v[8:9], v[8:9], -v[14:15]
	s_delay_alu instid0(VALU_DEP_2) | instskip(SKIP_1) | instid1(VALU_DEP_3)
	v_add_f64 v[24:25], v[18:19], -v[22:23]
	v_add_f64 v[14:15], v[16:17], -v[22:23]
	v_add_f64 v[16:17], v[12:13], v[8:9]
	s_delay_alu instid0(VALU_DEP_3) | instskip(NEXT) | instid1(VALU_DEP_1)
	v_add_f64 v[10:11], v[10:11], -v[24:25]
	v_add_f64 v[10:11], v[14:15], v[10:11]
	s_delay_alu instid0(VALU_DEP_3) | instskip(NEXT) | instid1(VALU_DEP_2)
	v_add_f64 v[14:15], v[16:17], -v[12:13]
	v_add_f64 v[10:11], v[16:17], v[10:11]
	s_delay_alu instid0(VALU_DEP_2) | instskip(SKIP_1) | instid1(VALU_DEP_3)
	v_add_f64 v[16:17], v[16:17], -v[14:15]
	v_add_f64 v[8:9], v[8:9], -v[14:15]
	v_add_f64 v[20:21], v[18:19], v[10:11]
	s_delay_alu instid0(VALU_DEP_3) | instskip(NEXT) | instid1(VALU_DEP_2)
	v_add_f64 v[12:13], v[12:13], -v[16:17]
	v_add_f64 v[14:15], v[20:21], -v[18:19]
	s_delay_alu instid0(VALU_DEP_2) | instskip(NEXT) | instid1(VALU_DEP_2)
	v_add_f64 v[8:9], v[8:9], v[12:13]
	v_add_f64 v[10:11], v[10:11], -v[14:15]
	s_delay_alu instid0(VALU_DEP_1) | instskip(NEXT) | instid1(VALU_DEP_1)
	v_add_f64 v[8:9], v[8:9], v[10:11]
	v_add_f64 v[8:9], v[20:21], v[8:9]
	s_delay_alu instid0(VALU_DEP_1) | instskip(NEXT) | instid1(VALU_DEP_2)
	v_cndmask_b32_e64 v8, v8, v6, s2
	v_cndmask_b32_e64 v9, v9, v7, s2
	v_cmp_ngt_f64_e64 s2, -1.0, v[6:7]
	s_delay_alu instid0(VALU_DEP_1) | instskip(SKIP_1) | instid1(VALU_DEP_1)
	v_cndmask_b32_e64 v9, 0x7ff80000, v9, s2
	v_cmp_nge_f64_e64 s2, -1.0, v[6:7]
	v_cndmask_b32_e64 v8, 0, v8, s2
	v_cmp_neq_f64_e64 s2, -1.0, v[6:7]
	s_delay_alu instid0(VALU_DEP_1) | instskip(NEXT) | instid1(VALU_DEP_1)
	v_cndmask_b32_e64 v9, 0xfff00000, v9, s2
	v_add_f64 v[48:49], v[4:5], v[8:9]
.LBB76_262:
	s_or_b32 exec_lo, exec_lo, s8
	v_max_f64 v[4:5], v[112:113], v[112:113]
	s_delay_alu instid0(VALU_DEP_2) | instskip(SKIP_2) | instid1(VALU_DEP_3)
	v_max_f64 v[6:7], v[48:49], v[48:49]
	v_cmp_u_f64_e64 s3, v[48:49], v[48:49]
	v_cmp_u_f64_e64 s2, v[112:113], v[112:113]
	v_min_f64 v[8:9], v[6:7], v[4:5]
	v_max_f64 v[6:7], v[6:7], v[4:5]
	s_delay_alu instid0(VALU_DEP_2) | instskip(NEXT) | instid1(VALU_DEP_3)
	v_cndmask_b32_e64 v8, v8, v48, s3
	v_cndmask_b32_e64 v9, v9, v49, s3
	s_delay_alu instid0(VALU_DEP_3) | instskip(NEXT) | instid1(VALU_DEP_4)
	v_cndmask_b32_e64 v7, v7, v49, s3
	v_cndmask_b32_e64 v6, v6, v48, s3
	s_delay_alu instid0(VALU_DEP_4) | instskip(NEXT) | instid1(VALU_DEP_4)
	v_cndmask_b32_e64 v8, v8, v112, s2
	v_cndmask_b32_e64 v9, v9, v113, s2
	s_delay_alu instid0(VALU_DEP_4) | instskip(NEXT) | instid1(VALU_DEP_4)
	v_cndmask_b32_e64 v7, v7, v113, s2
	v_cndmask_b32_e64 v6, v6, v112, s2
	s_delay_alu instid0(VALU_DEP_3) | instskip(NEXT) | instid1(VALU_DEP_2)
	v_cmp_class_f64_e64 s4, v[8:9], 0x1f8
	v_cmp_neq_f64_e64 s3, v[8:9], v[6:7]
	s_delay_alu instid0(VALU_DEP_1) | instskip(NEXT) | instid1(SALU_CYCLE_1)
	s_or_b32 s3, s3, s4
	s_and_saveexec_b32 s10, s3
	s_cbranch_execz .LBB76_264
; %bb.263:
	v_add_f64 v[8:9], v[8:9], -v[6:7]
	s_mov_b32 s4, 0x652b82fe
	s_mov_b32 s5, 0x3ff71547
	;; [unrolled: 1-line block ×10, first 2 shown]
	s_delay_alu instid0(VALU_DEP_1) | instskip(SKIP_3) | instid1(VALU_DEP_2)
	v_mul_f64 v[10:11], v[8:9], s[4:5]
	s_mov_b32 s4, 0xfca7ab0c
	s_mov_b32 s5, 0x3e928af3
	v_cmp_nlt_f64_e64 s3, 0x40900000, v[8:9]
	v_rndne_f64_e32 v[10:11], v[10:11]
	s_delay_alu instid0(VALU_DEP_1) | instskip(SKIP_2) | instid1(VALU_DEP_2)
	v_fma_f64 v[12:13], v[10:11], s[6:7], v[8:9]
	v_cvt_i32_f64_e32 v16, v[10:11]
	s_mov_b32 s7, 0x3fe62e42
	v_fma_f64 v[12:13], v[10:11], s[8:9], v[12:13]
	s_mov_b32 s9, 0x3c7abc9e
	s_delay_alu instid0(VALU_DEP_1) | instskip(SKIP_4) | instid1(VALU_DEP_1)
	v_fma_f64 v[14:15], v[12:13], s[12:13], s[4:5]
	s_mov_b32 s4, 0x623fde64
	s_mov_b32 s5, 0x3ec71dee
	;; [unrolled: 1-line block ×4, first 2 shown]
	v_fma_f64 v[14:15], v[12:13], v[14:15], s[4:5]
	s_mov_b32 s4, 0x7c89e6b0
	s_mov_b32 s5, 0x3efa0199
	s_delay_alu instid0(VALU_DEP_1) | instid1(SALU_CYCLE_1)
	v_fma_f64 v[14:15], v[12:13], v[14:15], s[4:5]
	s_mov_b32 s4, 0x14761f6e
	s_mov_b32 s5, 0x3f2a01a0
	s_delay_alu instid0(VALU_DEP_1) | instid1(SALU_CYCLE_1)
	;; [unrolled: 4-line block ×7, first 2 shown]
	v_fma_f64 v[14:15], v[12:13], v[14:15], s[4:5]
	v_cmp_ngt_f64_e64 s4, 0xc090cc00, v[8:9]
	s_mov_b32 s5, 0x3fe55555
	s_delay_alu instid0(VALU_DEP_2) | instskip(NEXT) | instid1(VALU_DEP_1)
	v_fma_f64 v[14:15], v[12:13], v[14:15], 1.0
	v_fma_f64 v[10:11], v[12:13], v[14:15], 1.0
	s_delay_alu instid0(VALU_DEP_1) | instskip(NEXT) | instid1(VALU_DEP_1)
	v_ldexp_f64 v[10:11], v[10:11], v16
	v_cndmask_b32_e64 v11, 0x7ff00000, v11, s3
	s_and_b32 s3, s4, s3
	s_delay_alu instid0(VALU_DEP_2) | instid1(SALU_CYCLE_1)
	v_cndmask_b32_e64 v8, 0, v10, s3
	s_delay_alu instid0(VALU_DEP_2) | instskip(SKIP_1) | instid1(VALU_DEP_1)
	v_cndmask_b32_e64 v9, 0, v11, s4
	s_mov_b32 s4, 0x55555555
	v_add_f64 v[10:11], v[8:9], 1.0
	s_delay_alu instid0(VALU_DEP_1) | instskip(SKIP_2) | instid1(VALU_DEP_3)
	v_frexp_mant_f64_e32 v[12:13], v[10:11]
	v_frexp_exp_i32_f64_e32 v16, v[10:11]
	v_add_f64 v[14:15], v[10:11], -1.0
	v_cmp_gt_f64_e64 s3, s[4:5], v[12:13]
	s_mov_b32 s4, 0x55555780
	s_delay_alu instid0(VALU_DEP_2) | instskip(SKIP_1) | instid1(VALU_DEP_3)
	v_add_f64 v[12:13], v[14:15], -v[10:11]
	v_add_f64 v[14:15], v[8:9], -v[14:15]
	v_subrev_co_ci_u32_e64 v48, s3, 0, v16, s3
	s_delay_alu instid0(VALU_DEP_3) | instskip(SKIP_1) | instid1(VALU_DEP_3)
	v_add_f64 v[12:13], v[12:13], 1.0
	v_cmp_eq_f64_e64 s3, 0x7ff00000, v[8:9]
	v_sub_nc_u32_e32 v18, 0, v48
	s_delay_alu instid0(VALU_DEP_1) | instskip(NEXT) | instid1(VALU_DEP_4)
	v_ldexp_f64 v[10:11], v[10:11], v18
	v_add_f64 v[12:13], v[14:15], v[12:13]
	s_delay_alu instid0(VALU_DEP_2) | instskip(SKIP_1) | instid1(VALU_DEP_3)
	v_add_f64 v[16:17], v[10:11], 1.0
	v_add_f64 v[22:23], v[10:11], -1.0
	v_ldexp_f64 v[12:13], v[12:13], v18
	s_delay_alu instid0(VALU_DEP_3) | instskip(NEXT) | instid1(VALU_DEP_3)
	v_add_f64 v[14:15], v[16:17], -1.0
	v_add_f64 v[24:25], v[22:23], 1.0
	s_delay_alu instid0(VALU_DEP_2) | instskip(NEXT) | instid1(VALU_DEP_2)
	v_add_f64 v[14:15], v[10:11], -v[14:15]
	v_add_f64 v[10:11], v[10:11], -v[24:25]
	s_delay_alu instid0(VALU_DEP_2) | instskip(NEXT) | instid1(VALU_DEP_2)
	v_add_f64 v[14:15], v[12:13], v[14:15]
	v_add_f64 v[10:11], v[12:13], v[10:11]
	s_delay_alu instid0(VALU_DEP_2) | instskip(NEXT) | instid1(VALU_DEP_2)
	v_add_f64 v[18:19], v[16:17], v[14:15]
	v_add_f64 v[24:25], v[22:23], v[10:11]
	s_delay_alu instid0(VALU_DEP_2) | instskip(SKIP_1) | instid1(VALU_DEP_2)
	v_rcp_f64_e32 v[20:21], v[18:19]
	v_add_f64 v[16:17], v[18:19], -v[16:17]
	v_add_f64 v[22:23], v[24:25], -v[22:23]
	s_delay_alu instid0(VALU_DEP_2) | instskip(SKIP_3) | instid1(VALU_DEP_2)
	v_add_f64 v[14:15], v[14:15], -v[16:17]
	s_waitcnt_depctr 0xfff
	v_fma_f64 v[26:27], -v[18:19], v[20:21], 1.0
	v_add_f64 v[10:11], v[10:11], -v[22:23]
	v_fma_f64 v[20:21], v[26:27], v[20:21], v[20:21]
	s_delay_alu instid0(VALU_DEP_1) | instskip(NEXT) | instid1(VALU_DEP_1)
	v_fma_f64 v[12:13], -v[18:19], v[20:21], 1.0
	v_fma_f64 v[12:13], v[12:13], v[20:21], v[20:21]
	s_delay_alu instid0(VALU_DEP_1) | instskip(NEXT) | instid1(VALU_DEP_1)
	v_mul_f64 v[20:21], v[24:25], v[12:13]
	v_mul_f64 v[26:27], v[18:19], v[20:21]
	s_delay_alu instid0(VALU_DEP_1) | instskip(NEXT) | instid1(VALU_DEP_1)
	v_fma_f64 v[16:17], v[20:21], v[18:19], -v[26:27]
	v_fma_f64 v[16:17], v[20:21], v[14:15], v[16:17]
	s_delay_alu instid0(VALU_DEP_1) | instskip(NEXT) | instid1(VALU_DEP_1)
	v_add_f64 v[28:29], v[26:27], v[16:17]
	v_add_f64 v[30:31], v[24:25], -v[28:29]
	v_add_f64 v[22:23], v[28:29], -v[26:27]
	s_delay_alu instid0(VALU_DEP_2) | instskip(NEXT) | instid1(VALU_DEP_2)
	v_add_f64 v[24:25], v[24:25], -v[30:31]
	v_add_f64 v[16:17], v[22:23], -v[16:17]
	s_delay_alu instid0(VALU_DEP_2) | instskip(NEXT) | instid1(VALU_DEP_1)
	v_add_f64 v[24:25], v[24:25], -v[28:29]
	v_add_f64 v[10:11], v[10:11], v[24:25]
	s_delay_alu instid0(VALU_DEP_1) | instskip(NEXT) | instid1(VALU_DEP_1)
	v_add_f64 v[10:11], v[16:17], v[10:11]
	v_add_f64 v[16:17], v[30:31], v[10:11]
	s_delay_alu instid0(VALU_DEP_1) | instskip(SKIP_1) | instid1(VALU_DEP_2)
	v_mul_f64 v[22:23], v[12:13], v[16:17]
	v_add_f64 v[28:29], v[30:31], -v[16:17]
	v_mul_f64 v[24:25], v[18:19], v[22:23]
	s_delay_alu instid0(VALU_DEP_2) | instskip(NEXT) | instid1(VALU_DEP_2)
	v_add_f64 v[10:11], v[10:11], v[28:29]
	v_fma_f64 v[18:19], v[22:23], v[18:19], -v[24:25]
	s_delay_alu instid0(VALU_DEP_1) | instskip(NEXT) | instid1(VALU_DEP_1)
	v_fma_f64 v[14:15], v[22:23], v[14:15], v[18:19]
	v_add_f64 v[18:19], v[24:25], v[14:15]
	s_delay_alu instid0(VALU_DEP_1) | instskip(SKIP_1) | instid1(VALU_DEP_2)
	v_add_f64 v[26:27], v[16:17], -v[18:19]
	v_add_f64 v[24:25], v[18:19], -v[24:25]
	;; [unrolled: 1-line block ×3, first 2 shown]
	s_delay_alu instid0(VALU_DEP_2) | instskip(NEXT) | instid1(VALU_DEP_2)
	v_add_f64 v[14:15], v[24:25], -v[14:15]
	v_add_f64 v[16:17], v[16:17], -v[18:19]
	s_delay_alu instid0(VALU_DEP_1) | instskip(SKIP_1) | instid1(VALU_DEP_2)
	v_add_f64 v[10:11], v[10:11], v[16:17]
	v_add_f64 v[16:17], v[20:21], v[22:23]
	;; [unrolled: 1-line block ×3, first 2 shown]
	s_delay_alu instid0(VALU_DEP_2) | instskip(NEXT) | instid1(VALU_DEP_2)
	v_add_f64 v[14:15], v[16:17], -v[20:21]
	v_add_f64 v[10:11], v[26:27], v[10:11]
	s_delay_alu instid0(VALU_DEP_2) | instskip(NEXT) | instid1(VALU_DEP_2)
	v_add_f64 v[14:15], v[22:23], -v[14:15]
	v_mul_f64 v[10:11], v[12:13], v[10:11]
	s_delay_alu instid0(VALU_DEP_1) | instskip(NEXT) | instid1(VALU_DEP_1)
	v_add_f64 v[10:11], v[14:15], v[10:11]
	v_add_f64 v[12:13], v[16:17], v[10:11]
	s_delay_alu instid0(VALU_DEP_1) | instskip(NEXT) | instid1(VALU_DEP_1)
	v_mul_f64 v[14:15], v[12:13], v[12:13]
	v_fma_f64 v[18:19], v[14:15], s[14:15], s[12:13]
	s_mov_b32 s12, 0xd7f4df2e
	s_mov_b32 s13, 0x3fc7474d
	v_mul_f64 v[20:21], v[12:13], v[14:15]
	s_delay_alu instid0(VALU_DEP_2)
	v_fma_f64 v[18:19], v[14:15], v[18:19], s[12:13]
	s_mov_b32 s12, 0x16291751
	s_mov_b32 s13, 0x3fcc71c0
	s_delay_alu instid0(VALU_DEP_1) | instid1(SALU_CYCLE_1)
	v_fma_f64 v[18:19], v[14:15], v[18:19], s[12:13]
	s_mov_b32 s12, 0x9b27acf1
	s_mov_b32 s13, 0x3fd24924
	s_delay_alu instid0(VALU_DEP_1) | instid1(SALU_CYCLE_1)
	;; [unrolled: 4-line block ×3, first 2 shown]
	v_fma_f64 v[18:19], v[14:15], v[18:19], s[12:13]
	s_delay_alu instid0(VALU_DEP_1) | instskip(SKIP_2) | instid1(VALU_DEP_3)
	v_fma_f64 v[14:15], v[14:15], v[18:19], s[4:5]
	v_ldexp_f64 v[18:19], v[12:13], 1
	v_add_f64 v[12:13], v[12:13], -v[16:17]
	v_mul_f64 v[14:15], v[20:21], v[14:15]
	v_cvt_f64_i32_e32 v[20:21], v48
	s_delay_alu instid0(VALU_DEP_3) | instskip(NEXT) | instid1(VALU_DEP_3)
	v_add_f64 v[10:11], v[10:11], -v[12:13]
	v_add_f64 v[16:17], v[18:19], v[14:15]
	s_delay_alu instid0(VALU_DEP_3) | instskip(NEXT) | instid1(VALU_DEP_3)
	v_mul_f64 v[22:23], v[20:21], s[6:7]
	v_ldexp_f64 v[10:11], v[10:11], 1
	s_delay_alu instid0(VALU_DEP_3) | instskip(NEXT) | instid1(VALU_DEP_3)
	v_add_f64 v[12:13], v[16:17], -v[18:19]
	v_fma_f64 v[18:19], v[20:21], s[6:7], -v[22:23]
	s_delay_alu instid0(VALU_DEP_2) | instskip(NEXT) | instid1(VALU_DEP_2)
	v_add_f64 v[12:13], v[14:15], -v[12:13]
	v_fma_f64 v[14:15], v[20:21], s[8:9], v[18:19]
	s_delay_alu instid0(VALU_DEP_2) | instskip(NEXT) | instid1(VALU_DEP_2)
	v_add_f64 v[10:11], v[10:11], v[12:13]
	v_add_f64 v[12:13], v[22:23], v[14:15]
	s_delay_alu instid0(VALU_DEP_2) | instskip(NEXT) | instid1(VALU_DEP_2)
	v_add_f64 v[18:19], v[16:17], v[10:11]
	v_add_f64 v[22:23], v[12:13], -v[22:23]
	s_delay_alu instid0(VALU_DEP_2) | instskip(SKIP_1) | instid1(VALU_DEP_3)
	v_add_f64 v[20:21], v[12:13], v[18:19]
	v_add_f64 v[16:17], v[18:19], -v[16:17]
	v_add_f64 v[14:15], v[14:15], -v[22:23]
	s_delay_alu instid0(VALU_DEP_3) | instskip(NEXT) | instid1(VALU_DEP_3)
	v_add_f64 v[24:25], v[20:21], -v[12:13]
	v_add_f64 v[10:11], v[10:11], -v[16:17]
	s_delay_alu instid0(VALU_DEP_2) | instskip(SKIP_1) | instid1(VALU_DEP_3)
	v_add_f64 v[26:27], v[20:21], -v[24:25]
	v_add_f64 v[16:17], v[18:19], -v[24:25]
	v_add_f64 v[18:19], v[14:15], v[10:11]
	s_delay_alu instid0(VALU_DEP_3) | instskip(NEXT) | instid1(VALU_DEP_1)
	v_add_f64 v[12:13], v[12:13], -v[26:27]
	v_add_f64 v[12:13], v[16:17], v[12:13]
	s_delay_alu instid0(VALU_DEP_3) | instskip(NEXT) | instid1(VALU_DEP_2)
	v_add_f64 v[16:17], v[18:19], -v[14:15]
	v_add_f64 v[12:13], v[18:19], v[12:13]
	s_delay_alu instid0(VALU_DEP_2) | instskip(SKIP_1) | instid1(VALU_DEP_3)
	v_add_f64 v[18:19], v[18:19], -v[16:17]
	v_add_f64 v[10:11], v[10:11], -v[16:17]
	v_add_f64 v[22:23], v[20:21], v[12:13]
	s_delay_alu instid0(VALU_DEP_3) | instskip(NEXT) | instid1(VALU_DEP_2)
	v_add_f64 v[14:15], v[14:15], -v[18:19]
	v_add_f64 v[16:17], v[22:23], -v[20:21]
	s_delay_alu instid0(VALU_DEP_2) | instskip(NEXT) | instid1(VALU_DEP_2)
	v_add_f64 v[10:11], v[10:11], v[14:15]
	v_add_f64 v[12:13], v[12:13], -v[16:17]
	s_delay_alu instid0(VALU_DEP_1) | instskip(NEXT) | instid1(VALU_DEP_1)
	v_add_f64 v[10:11], v[10:11], v[12:13]
	v_add_f64 v[10:11], v[22:23], v[10:11]
	s_delay_alu instid0(VALU_DEP_1) | instskip(NEXT) | instid1(VALU_DEP_2)
	v_cndmask_b32_e64 v10, v10, v8, s3
	v_cndmask_b32_e64 v11, v11, v9, s3
	v_cmp_ngt_f64_e64 s3, -1.0, v[8:9]
	s_delay_alu instid0(VALU_DEP_1) | instskip(SKIP_1) | instid1(VALU_DEP_1)
	v_cndmask_b32_e64 v11, 0x7ff80000, v11, s3
	v_cmp_nge_f64_e64 s3, -1.0, v[8:9]
	v_cndmask_b32_e64 v10, 0, v10, s3
	v_cmp_neq_f64_e64 s3, -1.0, v[8:9]
	s_delay_alu instid0(VALU_DEP_1) | instskip(NEXT) | instid1(VALU_DEP_1)
	v_cndmask_b32_e64 v11, 0xfff00000, v11, s3
	v_add_f64 v[48:49], v[6:7], v[10:11]
.LBB76_264:
	s_or_b32 exec_lo, exec_lo, s10
	v_max_f64 v[6:7], v[114:115], v[114:115]
	s_delay_alu instid0(VALU_DEP_2) | instskip(SKIP_2) | instid1(VALU_DEP_3)
	v_max_f64 v[8:9], v[48:49], v[48:49]
	v_cmp_u_f64_e64 s4, v[48:49], v[48:49]
	v_cmp_u_f64_e64 s3, v[114:115], v[114:115]
	v_min_f64 v[10:11], v[8:9], v[6:7]
	v_max_f64 v[8:9], v[8:9], v[6:7]
	s_delay_alu instid0(VALU_DEP_2) | instskip(NEXT) | instid1(VALU_DEP_3)
	v_cndmask_b32_e64 v10, v10, v48, s4
	v_cndmask_b32_e64 v11, v11, v49, s4
	s_delay_alu instid0(VALU_DEP_3) | instskip(NEXT) | instid1(VALU_DEP_4)
	v_cndmask_b32_e64 v9, v9, v49, s4
	v_cndmask_b32_e64 v8, v8, v48, s4
	s_delay_alu instid0(VALU_DEP_4) | instskip(NEXT) | instid1(VALU_DEP_4)
	v_cndmask_b32_e64 v10, v10, v114, s3
	v_cndmask_b32_e64 v11, v11, v115, s3
	s_delay_alu instid0(VALU_DEP_4) | instskip(NEXT) | instid1(VALU_DEP_4)
	v_cndmask_b32_e64 v9, v9, v115, s3
	v_cndmask_b32_e64 v8, v8, v114, s3
	s_delay_alu instid0(VALU_DEP_3) | instskip(NEXT) | instid1(VALU_DEP_2)
	v_cmp_class_f64_e64 s5, v[10:11], 0x1f8
	v_cmp_neq_f64_e64 s4, v[10:11], v[8:9]
	s_delay_alu instid0(VALU_DEP_1) | instskip(NEXT) | instid1(SALU_CYCLE_1)
	s_or_b32 s4, s4, s5
	s_and_saveexec_b32 s10, s4
	s_cbranch_execz .LBB76_266
; %bb.265:
	v_add_f64 v[10:11], v[10:11], -v[8:9]
	s_mov_b32 s4, 0x652b82fe
	s_mov_b32 s5, 0x3ff71547
	;; [unrolled: 1-line block ×10, first 2 shown]
	s_delay_alu instid0(VALU_DEP_1) | instskip(SKIP_2) | instid1(VALU_DEP_1)
	v_mul_f64 v[12:13], v[10:11], s[4:5]
	s_mov_b32 s4, 0xfca7ab0c
	s_mov_b32 s5, 0x3e928af3
	v_rndne_f64_e32 v[12:13], v[12:13]
	s_delay_alu instid0(VALU_DEP_1) | instskip(SKIP_2) | instid1(VALU_DEP_2)
	v_fma_f64 v[14:15], v[12:13], s[6:7], v[10:11]
	v_cvt_i32_f64_e32 v18, v[12:13]
	s_mov_b32 s7, 0x3fe62e42
	v_fma_f64 v[14:15], v[12:13], s[8:9], v[14:15]
	s_mov_b32 s9, 0x3c7abc9e
	s_delay_alu instid0(VALU_DEP_1) | instskip(SKIP_4) | instid1(VALU_DEP_1)
	v_fma_f64 v[16:17], v[14:15], s[12:13], s[4:5]
	s_mov_b32 s4, 0x623fde64
	s_mov_b32 s5, 0x3ec71dee
	;; [unrolled: 1-line block ×4, first 2 shown]
	v_fma_f64 v[16:17], v[14:15], v[16:17], s[4:5]
	s_mov_b32 s4, 0x7c89e6b0
	s_mov_b32 s5, 0x3efa0199
	s_delay_alu instid0(VALU_DEP_1) | instid1(SALU_CYCLE_1)
	v_fma_f64 v[16:17], v[14:15], v[16:17], s[4:5]
	s_mov_b32 s4, 0x14761f6e
	s_mov_b32 s5, 0x3f2a01a0
	s_delay_alu instid0(VALU_DEP_1) | instid1(SALU_CYCLE_1)
	;; [unrolled: 4-line block ×7, first 2 shown]
	v_fma_f64 v[16:17], v[14:15], v[16:17], s[4:5]
	v_cmp_nlt_f64_e64 s4, 0x40900000, v[10:11]
	v_cmp_ngt_f64_e64 s5, 0xc090cc00, v[10:11]
	s_delay_alu instid0(VALU_DEP_3) | instskip(NEXT) | instid1(VALU_DEP_1)
	v_fma_f64 v[16:17], v[14:15], v[16:17], 1.0
	v_fma_f64 v[12:13], v[14:15], v[16:17], 1.0
	s_delay_alu instid0(VALU_DEP_1) | instskip(NEXT) | instid1(VALU_DEP_1)
	v_ldexp_f64 v[12:13], v[12:13], v18
	v_cndmask_b32_e64 v13, 0x7ff00000, v13, s4
	s_and_b32 s4, s5, s4
	s_delay_alu instid0(VALU_DEP_2) | instid1(SALU_CYCLE_1)
	v_cndmask_b32_e64 v10, 0, v12, s4
	s_mov_b32 s4, 0x55555555
	s_delay_alu instid0(VALU_DEP_2) | instskip(SKIP_1) | instid1(VALU_DEP_1)
	v_cndmask_b32_e64 v11, 0, v13, s5
	s_mov_b32 s5, 0x3fe55555
	v_add_f64 v[12:13], v[10:11], 1.0
	s_delay_alu instid0(VALU_DEP_1) | instskip(SKIP_2) | instid1(VALU_DEP_3)
	v_frexp_mant_f64_e32 v[14:15], v[12:13]
	v_frexp_exp_i32_f64_e32 v18, v[12:13]
	v_add_f64 v[16:17], v[12:13], -1.0
	v_cmp_gt_f64_e64 s4, s[4:5], v[14:15]
	s_delay_alu instid0(VALU_DEP_2) | instskip(SKIP_1) | instid1(VALU_DEP_3)
	v_add_f64 v[14:15], v[16:17], -v[12:13]
	v_add_f64 v[16:17], v[10:11], -v[16:17]
	v_subrev_co_ci_u32_e64 v131, s4, 0, v18, s4
	s_delay_alu instid0(VALU_DEP_3) | instskip(SKIP_1) | instid1(VALU_DEP_2)
	v_add_f64 v[14:15], v[14:15], 1.0
	s_mov_b32 s4, 0x55555780
	v_sub_nc_u32_e32 v20, 0, v131
	s_delay_alu instid0(VALU_DEP_1) | instskip(NEXT) | instid1(VALU_DEP_3)
	v_ldexp_f64 v[12:13], v[12:13], v20
	v_add_f64 v[14:15], v[16:17], v[14:15]
	s_delay_alu instid0(VALU_DEP_2) | instskip(SKIP_1) | instid1(VALU_DEP_3)
	v_add_f64 v[18:19], v[12:13], 1.0
	v_add_f64 v[24:25], v[12:13], -1.0
	v_ldexp_f64 v[14:15], v[14:15], v20
	s_delay_alu instid0(VALU_DEP_3) | instskip(NEXT) | instid1(VALU_DEP_3)
	v_add_f64 v[16:17], v[18:19], -1.0
	v_add_f64 v[26:27], v[24:25], 1.0
	s_delay_alu instid0(VALU_DEP_2) | instskip(NEXT) | instid1(VALU_DEP_2)
	v_add_f64 v[16:17], v[12:13], -v[16:17]
	v_add_f64 v[12:13], v[12:13], -v[26:27]
	s_delay_alu instid0(VALU_DEP_2) | instskip(NEXT) | instid1(VALU_DEP_2)
	v_add_f64 v[16:17], v[14:15], v[16:17]
	v_add_f64 v[12:13], v[14:15], v[12:13]
	s_delay_alu instid0(VALU_DEP_2) | instskip(NEXT) | instid1(VALU_DEP_2)
	v_add_f64 v[20:21], v[18:19], v[16:17]
	v_add_f64 v[26:27], v[24:25], v[12:13]
	s_delay_alu instid0(VALU_DEP_2) | instskip(SKIP_1) | instid1(VALU_DEP_2)
	v_rcp_f64_e32 v[22:23], v[20:21]
	v_add_f64 v[18:19], v[20:21], -v[18:19]
	v_add_f64 v[24:25], v[26:27], -v[24:25]
	s_delay_alu instid0(VALU_DEP_2) | instskip(SKIP_3) | instid1(VALU_DEP_2)
	v_add_f64 v[16:17], v[16:17], -v[18:19]
	s_waitcnt_depctr 0xfff
	v_fma_f64 v[28:29], -v[20:21], v[22:23], 1.0
	v_add_f64 v[12:13], v[12:13], -v[24:25]
	v_fma_f64 v[22:23], v[28:29], v[22:23], v[22:23]
	s_delay_alu instid0(VALU_DEP_1) | instskip(NEXT) | instid1(VALU_DEP_1)
	v_fma_f64 v[14:15], -v[20:21], v[22:23], 1.0
	v_fma_f64 v[14:15], v[14:15], v[22:23], v[22:23]
	s_delay_alu instid0(VALU_DEP_1) | instskip(NEXT) | instid1(VALU_DEP_1)
	v_mul_f64 v[22:23], v[26:27], v[14:15]
	v_mul_f64 v[28:29], v[20:21], v[22:23]
	s_delay_alu instid0(VALU_DEP_1) | instskip(NEXT) | instid1(VALU_DEP_1)
	v_fma_f64 v[18:19], v[22:23], v[20:21], -v[28:29]
	v_fma_f64 v[18:19], v[22:23], v[16:17], v[18:19]
	s_delay_alu instid0(VALU_DEP_1) | instskip(NEXT) | instid1(VALU_DEP_1)
	v_add_f64 v[30:31], v[28:29], v[18:19]
	v_add_f64 v[48:49], v[26:27], -v[30:31]
	v_add_f64 v[24:25], v[30:31], -v[28:29]
	s_delay_alu instid0(VALU_DEP_2) | instskip(NEXT) | instid1(VALU_DEP_2)
	v_add_f64 v[26:27], v[26:27], -v[48:49]
	v_add_f64 v[18:19], v[24:25], -v[18:19]
	s_delay_alu instid0(VALU_DEP_2) | instskip(NEXT) | instid1(VALU_DEP_1)
	v_add_f64 v[26:27], v[26:27], -v[30:31]
	v_add_f64 v[12:13], v[12:13], v[26:27]
	s_delay_alu instid0(VALU_DEP_1) | instskip(NEXT) | instid1(VALU_DEP_1)
	v_add_f64 v[12:13], v[18:19], v[12:13]
	v_add_f64 v[18:19], v[48:49], v[12:13]
	s_delay_alu instid0(VALU_DEP_1) | instskip(SKIP_1) | instid1(VALU_DEP_2)
	v_mul_f64 v[24:25], v[14:15], v[18:19]
	v_add_f64 v[30:31], v[48:49], -v[18:19]
	v_mul_f64 v[26:27], v[20:21], v[24:25]
	s_delay_alu instid0(VALU_DEP_2) | instskip(NEXT) | instid1(VALU_DEP_2)
	v_add_f64 v[12:13], v[12:13], v[30:31]
	v_fma_f64 v[20:21], v[24:25], v[20:21], -v[26:27]
	s_delay_alu instid0(VALU_DEP_1) | instskip(NEXT) | instid1(VALU_DEP_1)
	v_fma_f64 v[16:17], v[24:25], v[16:17], v[20:21]
	v_add_f64 v[20:21], v[26:27], v[16:17]
	s_delay_alu instid0(VALU_DEP_1) | instskip(SKIP_1) | instid1(VALU_DEP_2)
	v_add_f64 v[28:29], v[18:19], -v[20:21]
	v_add_f64 v[26:27], v[20:21], -v[26:27]
	;; [unrolled: 1-line block ×3, first 2 shown]
	s_delay_alu instid0(VALU_DEP_2) | instskip(NEXT) | instid1(VALU_DEP_2)
	v_add_f64 v[16:17], v[26:27], -v[16:17]
	v_add_f64 v[18:19], v[18:19], -v[20:21]
	s_delay_alu instid0(VALU_DEP_1) | instskip(SKIP_1) | instid1(VALU_DEP_2)
	v_add_f64 v[12:13], v[12:13], v[18:19]
	v_add_f64 v[18:19], v[22:23], v[24:25]
	;; [unrolled: 1-line block ×3, first 2 shown]
	s_delay_alu instid0(VALU_DEP_2) | instskip(NEXT) | instid1(VALU_DEP_2)
	v_add_f64 v[16:17], v[18:19], -v[22:23]
	v_add_f64 v[12:13], v[28:29], v[12:13]
	s_delay_alu instid0(VALU_DEP_2) | instskip(NEXT) | instid1(VALU_DEP_2)
	v_add_f64 v[16:17], v[24:25], -v[16:17]
	v_mul_f64 v[12:13], v[14:15], v[12:13]
	s_delay_alu instid0(VALU_DEP_1) | instskip(NEXT) | instid1(VALU_DEP_1)
	v_add_f64 v[12:13], v[16:17], v[12:13]
	v_add_f64 v[14:15], v[18:19], v[12:13]
	s_delay_alu instid0(VALU_DEP_1) | instskip(NEXT) | instid1(VALU_DEP_1)
	v_mul_f64 v[16:17], v[14:15], v[14:15]
	v_fma_f64 v[20:21], v[16:17], s[14:15], s[12:13]
	s_mov_b32 s12, 0xd7f4df2e
	s_mov_b32 s13, 0x3fc7474d
	v_mul_f64 v[22:23], v[14:15], v[16:17]
	s_delay_alu instid0(VALU_DEP_2)
	v_fma_f64 v[20:21], v[16:17], v[20:21], s[12:13]
	s_mov_b32 s12, 0x16291751
	s_mov_b32 s13, 0x3fcc71c0
	s_delay_alu instid0(VALU_DEP_1) | instid1(SALU_CYCLE_1)
	v_fma_f64 v[20:21], v[16:17], v[20:21], s[12:13]
	s_mov_b32 s12, 0x9b27acf1
	s_mov_b32 s13, 0x3fd24924
	s_delay_alu instid0(VALU_DEP_1) | instid1(SALU_CYCLE_1)
	;; [unrolled: 4-line block ×3, first 2 shown]
	v_fma_f64 v[20:21], v[16:17], v[20:21], s[12:13]
	s_delay_alu instid0(VALU_DEP_1) | instskip(SKIP_3) | instid1(VALU_DEP_4)
	v_fma_f64 v[16:17], v[16:17], v[20:21], s[4:5]
	v_ldexp_f64 v[20:21], v[14:15], 1
	v_add_f64 v[14:15], v[14:15], -v[18:19]
	v_cmp_eq_f64_e64 s4, 0x7ff00000, v[10:11]
	v_mul_f64 v[16:17], v[22:23], v[16:17]
	v_cvt_f64_i32_e32 v[22:23], v131
	s_delay_alu instid0(VALU_DEP_4) | instskip(NEXT) | instid1(VALU_DEP_3)
	v_add_f64 v[12:13], v[12:13], -v[14:15]
	v_add_f64 v[18:19], v[20:21], v[16:17]
	s_delay_alu instid0(VALU_DEP_3) | instskip(NEXT) | instid1(VALU_DEP_3)
	v_mul_f64 v[24:25], v[22:23], s[6:7]
	v_ldexp_f64 v[12:13], v[12:13], 1
	s_delay_alu instid0(VALU_DEP_3) | instskip(NEXT) | instid1(VALU_DEP_3)
	v_add_f64 v[14:15], v[18:19], -v[20:21]
	v_fma_f64 v[20:21], v[22:23], s[6:7], -v[24:25]
	s_delay_alu instid0(VALU_DEP_2) | instskip(NEXT) | instid1(VALU_DEP_2)
	v_add_f64 v[14:15], v[16:17], -v[14:15]
	v_fma_f64 v[16:17], v[22:23], s[8:9], v[20:21]
	s_delay_alu instid0(VALU_DEP_2) | instskip(NEXT) | instid1(VALU_DEP_2)
	v_add_f64 v[12:13], v[12:13], v[14:15]
	v_add_f64 v[14:15], v[24:25], v[16:17]
	s_delay_alu instid0(VALU_DEP_2) | instskip(NEXT) | instid1(VALU_DEP_2)
	v_add_f64 v[20:21], v[18:19], v[12:13]
	v_add_f64 v[24:25], v[14:15], -v[24:25]
	s_delay_alu instid0(VALU_DEP_2) | instskip(SKIP_1) | instid1(VALU_DEP_3)
	v_add_f64 v[22:23], v[14:15], v[20:21]
	v_add_f64 v[18:19], v[20:21], -v[18:19]
	v_add_f64 v[16:17], v[16:17], -v[24:25]
	s_delay_alu instid0(VALU_DEP_3) | instskip(NEXT) | instid1(VALU_DEP_3)
	v_add_f64 v[26:27], v[22:23], -v[14:15]
	v_add_f64 v[12:13], v[12:13], -v[18:19]
	s_delay_alu instid0(VALU_DEP_2) | instskip(SKIP_1) | instid1(VALU_DEP_3)
	v_add_f64 v[28:29], v[22:23], -v[26:27]
	v_add_f64 v[18:19], v[20:21], -v[26:27]
	v_add_f64 v[20:21], v[16:17], v[12:13]
	s_delay_alu instid0(VALU_DEP_3) | instskip(NEXT) | instid1(VALU_DEP_1)
	v_add_f64 v[14:15], v[14:15], -v[28:29]
	v_add_f64 v[14:15], v[18:19], v[14:15]
	s_delay_alu instid0(VALU_DEP_3) | instskip(NEXT) | instid1(VALU_DEP_2)
	v_add_f64 v[18:19], v[20:21], -v[16:17]
	v_add_f64 v[14:15], v[20:21], v[14:15]
	s_delay_alu instid0(VALU_DEP_2) | instskip(SKIP_1) | instid1(VALU_DEP_3)
	v_add_f64 v[20:21], v[20:21], -v[18:19]
	v_add_f64 v[12:13], v[12:13], -v[18:19]
	v_add_f64 v[24:25], v[22:23], v[14:15]
	s_delay_alu instid0(VALU_DEP_3) | instskip(NEXT) | instid1(VALU_DEP_2)
	v_add_f64 v[16:17], v[16:17], -v[20:21]
	v_add_f64 v[18:19], v[24:25], -v[22:23]
	s_delay_alu instid0(VALU_DEP_2) | instskip(NEXT) | instid1(VALU_DEP_2)
	v_add_f64 v[12:13], v[12:13], v[16:17]
	v_add_f64 v[14:15], v[14:15], -v[18:19]
	s_delay_alu instid0(VALU_DEP_1) | instskip(NEXT) | instid1(VALU_DEP_1)
	v_add_f64 v[12:13], v[12:13], v[14:15]
	v_add_f64 v[12:13], v[24:25], v[12:13]
	s_delay_alu instid0(VALU_DEP_1) | instskip(NEXT) | instid1(VALU_DEP_2)
	v_cndmask_b32_e64 v12, v12, v10, s4
	v_cndmask_b32_e64 v13, v13, v11, s4
	v_cmp_ngt_f64_e64 s4, -1.0, v[10:11]
	s_delay_alu instid0(VALU_DEP_1) | instskip(SKIP_1) | instid1(VALU_DEP_1)
	v_cndmask_b32_e64 v13, 0x7ff80000, v13, s4
	v_cmp_nge_f64_e64 s4, -1.0, v[10:11]
	v_cndmask_b32_e64 v12, 0, v12, s4
	v_cmp_neq_f64_e64 s4, -1.0, v[10:11]
	s_delay_alu instid0(VALU_DEP_1) | instskip(NEXT) | instid1(VALU_DEP_1)
	v_cndmask_b32_e64 v13, 0xfff00000, v13, s4
	v_add_f64 v[48:49], v[8:9], v[12:13]
.LBB76_266:
	s_or_b32 exec_lo, exec_lo, s10
	v_max_f64 v[8:9], v[100:101], v[100:101]
	s_delay_alu instid0(VALU_DEP_2) | instskip(SKIP_2) | instid1(VALU_DEP_3)
	v_max_f64 v[10:11], v[48:49], v[48:49]
	v_cmp_u_f64_e64 s5, v[48:49], v[48:49]
	v_cmp_u_f64_e64 s4, v[100:101], v[100:101]
	v_min_f64 v[12:13], v[10:11], v[8:9]
	v_max_f64 v[10:11], v[10:11], v[8:9]
	s_delay_alu instid0(VALU_DEP_2) | instskip(NEXT) | instid1(VALU_DEP_3)
	v_cndmask_b32_e64 v12, v12, v48, s5
	v_cndmask_b32_e64 v13, v13, v49, s5
	s_delay_alu instid0(VALU_DEP_3) | instskip(NEXT) | instid1(VALU_DEP_4)
	v_cndmask_b32_e64 v11, v11, v49, s5
	v_cndmask_b32_e64 v10, v10, v48, s5
	s_delay_alu instid0(VALU_DEP_4) | instskip(NEXT) | instid1(VALU_DEP_4)
	v_cndmask_b32_e64 v12, v12, v100, s4
	v_cndmask_b32_e64 v13, v13, v101, s4
	s_delay_alu instid0(VALU_DEP_4) | instskip(NEXT) | instid1(VALU_DEP_4)
	v_cndmask_b32_e64 v11, v11, v101, s4
	v_cndmask_b32_e64 v10, v10, v100, s4
	s_delay_alu instid0(VALU_DEP_3) | instskip(NEXT) | instid1(VALU_DEP_2)
	v_cmp_class_f64_e64 s6, v[12:13], 0x1f8
	v_cmp_neq_f64_e64 s5, v[12:13], v[10:11]
	s_delay_alu instid0(VALU_DEP_1) | instskip(NEXT) | instid1(SALU_CYCLE_1)
	s_or_b32 s5, s5, s6
	s_and_saveexec_b32 s12, s5
	s_cbranch_execz .LBB76_268
; %bb.267:
	v_add_f64 v[12:13], v[12:13], -v[10:11]
	s_mov_b32 s6, 0x652b82fe
	s_mov_b32 s7, 0x3ff71547
	;; [unrolled: 1-line block ×10, first 2 shown]
	s_delay_alu instid0(VALU_DEP_1) | instskip(SKIP_3) | instid1(VALU_DEP_2)
	v_mul_f64 v[14:15], v[12:13], s[6:7]
	s_mov_b32 s6, 0xfca7ab0c
	s_mov_b32 s7, 0x3e928af3
	v_cmp_nlt_f64_e64 s5, 0x40900000, v[12:13]
	v_rndne_f64_e32 v[14:15], v[14:15]
	s_delay_alu instid0(VALU_DEP_1) | instskip(SKIP_2) | instid1(VALU_DEP_2)
	v_fma_f64 v[16:17], v[14:15], s[8:9], v[12:13]
	v_cvt_i32_f64_e32 v20, v[14:15]
	s_mov_b32 s9, 0x3fe62e42
	v_fma_f64 v[16:17], v[14:15], s[10:11], v[16:17]
	s_mov_b32 s11, 0x3c7abc9e
	s_delay_alu instid0(VALU_DEP_1) | instskip(SKIP_4) | instid1(VALU_DEP_1)
	v_fma_f64 v[18:19], v[16:17], s[14:15], s[6:7]
	s_mov_b32 s6, 0x623fde64
	s_mov_b32 s7, 0x3ec71dee
	;; [unrolled: 1-line block ×4, first 2 shown]
	v_fma_f64 v[18:19], v[16:17], v[18:19], s[6:7]
	s_mov_b32 s6, 0x7c89e6b0
	s_mov_b32 s7, 0x3efa0199
	s_delay_alu instid0(VALU_DEP_1) | instid1(SALU_CYCLE_1)
	v_fma_f64 v[18:19], v[16:17], v[18:19], s[6:7]
	s_mov_b32 s6, 0x14761f6e
	s_mov_b32 s7, 0x3f2a01a0
	s_delay_alu instid0(VALU_DEP_1) | instid1(SALU_CYCLE_1)
	;; [unrolled: 4-line block ×7, first 2 shown]
	v_fma_f64 v[18:19], v[16:17], v[18:19], s[6:7]
	v_cmp_ngt_f64_e64 s6, 0xc090cc00, v[12:13]
	s_mov_b32 s7, 0x3fe55555
	s_delay_alu instid0(VALU_DEP_2) | instskip(NEXT) | instid1(VALU_DEP_1)
	v_fma_f64 v[18:19], v[16:17], v[18:19], 1.0
	v_fma_f64 v[14:15], v[16:17], v[18:19], 1.0
	s_delay_alu instid0(VALU_DEP_1) | instskip(NEXT) | instid1(VALU_DEP_1)
	v_ldexp_f64 v[14:15], v[14:15], v20
	v_cndmask_b32_e64 v15, 0x7ff00000, v15, s5
	s_and_b32 s5, s6, s5
	s_delay_alu instid0(VALU_DEP_2) | instid1(SALU_CYCLE_1)
	v_cndmask_b32_e64 v12, 0, v14, s5
	s_delay_alu instid0(VALU_DEP_2) | instskip(SKIP_1) | instid1(VALU_DEP_1)
	v_cndmask_b32_e64 v13, 0, v15, s6
	s_mov_b32 s6, 0x55555555
	v_add_f64 v[14:15], v[12:13], 1.0
	s_delay_alu instid0(VALU_DEP_1) | instskip(SKIP_2) | instid1(VALU_DEP_3)
	v_frexp_mant_f64_e32 v[16:17], v[14:15]
	v_frexp_exp_i32_f64_e32 v20, v[14:15]
	v_add_f64 v[18:19], v[14:15], -1.0
	v_cmp_gt_f64_e64 s5, s[6:7], v[16:17]
	s_mov_b32 s6, 0x55555780
	s_delay_alu instid0(VALU_DEP_2) | instskip(SKIP_1) | instid1(VALU_DEP_3)
	v_add_f64 v[16:17], v[18:19], -v[14:15]
	v_add_f64 v[18:19], v[12:13], -v[18:19]
	v_subrev_co_ci_u32_e64 v133, s5, 0, v20, s5
	s_delay_alu instid0(VALU_DEP_3) | instskip(SKIP_1) | instid1(VALU_DEP_3)
	v_add_f64 v[16:17], v[16:17], 1.0
	v_cmp_eq_f64_e64 s5, 0x7ff00000, v[12:13]
	v_sub_nc_u32_e32 v22, 0, v133
	s_delay_alu instid0(VALU_DEP_1) | instskip(NEXT) | instid1(VALU_DEP_4)
	v_ldexp_f64 v[14:15], v[14:15], v22
	v_add_f64 v[16:17], v[18:19], v[16:17]
	s_delay_alu instid0(VALU_DEP_2) | instskip(SKIP_1) | instid1(VALU_DEP_3)
	v_add_f64 v[20:21], v[14:15], 1.0
	v_add_f64 v[26:27], v[14:15], -1.0
	v_ldexp_f64 v[16:17], v[16:17], v22
	s_delay_alu instid0(VALU_DEP_3) | instskip(NEXT) | instid1(VALU_DEP_3)
	v_add_f64 v[18:19], v[20:21], -1.0
	v_add_f64 v[28:29], v[26:27], 1.0
	s_delay_alu instid0(VALU_DEP_2) | instskip(NEXT) | instid1(VALU_DEP_2)
	v_add_f64 v[18:19], v[14:15], -v[18:19]
	v_add_f64 v[14:15], v[14:15], -v[28:29]
	s_delay_alu instid0(VALU_DEP_2) | instskip(NEXT) | instid1(VALU_DEP_2)
	v_add_f64 v[18:19], v[16:17], v[18:19]
	v_add_f64 v[14:15], v[16:17], v[14:15]
	s_delay_alu instid0(VALU_DEP_2) | instskip(NEXT) | instid1(VALU_DEP_2)
	v_add_f64 v[22:23], v[20:21], v[18:19]
	v_add_f64 v[28:29], v[26:27], v[14:15]
	s_delay_alu instid0(VALU_DEP_2) | instskip(SKIP_1) | instid1(VALU_DEP_2)
	v_rcp_f64_e32 v[24:25], v[22:23]
	v_add_f64 v[20:21], v[22:23], -v[20:21]
	v_add_f64 v[26:27], v[28:29], -v[26:27]
	s_delay_alu instid0(VALU_DEP_2) | instskip(SKIP_3) | instid1(VALU_DEP_2)
	v_add_f64 v[18:19], v[18:19], -v[20:21]
	s_waitcnt_depctr 0xfff
	v_fma_f64 v[30:31], -v[22:23], v[24:25], 1.0
	v_add_f64 v[14:15], v[14:15], -v[26:27]
	v_fma_f64 v[24:25], v[30:31], v[24:25], v[24:25]
	s_delay_alu instid0(VALU_DEP_1) | instskip(NEXT) | instid1(VALU_DEP_1)
	v_fma_f64 v[16:17], -v[22:23], v[24:25], 1.0
	v_fma_f64 v[16:17], v[16:17], v[24:25], v[24:25]
	s_delay_alu instid0(VALU_DEP_1) | instskip(NEXT) | instid1(VALU_DEP_1)
	v_mul_f64 v[24:25], v[28:29], v[16:17]
	v_mul_f64 v[30:31], v[22:23], v[24:25]
	s_delay_alu instid0(VALU_DEP_1) | instskip(NEXT) | instid1(VALU_DEP_1)
	v_fma_f64 v[20:21], v[24:25], v[22:23], -v[30:31]
	v_fma_f64 v[20:21], v[24:25], v[18:19], v[20:21]
	s_delay_alu instid0(VALU_DEP_1) | instskip(NEXT) | instid1(VALU_DEP_1)
	v_add_f64 v[48:49], v[30:31], v[20:21]
	v_add_f64 v[131:132], v[28:29], -v[48:49]
	v_add_f64 v[26:27], v[48:49], -v[30:31]
	s_delay_alu instid0(VALU_DEP_2) | instskip(NEXT) | instid1(VALU_DEP_2)
	v_add_f64 v[28:29], v[28:29], -v[131:132]
	v_add_f64 v[20:21], v[26:27], -v[20:21]
	s_delay_alu instid0(VALU_DEP_2) | instskip(NEXT) | instid1(VALU_DEP_1)
	v_add_f64 v[28:29], v[28:29], -v[48:49]
	v_add_f64 v[14:15], v[14:15], v[28:29]
	s_delay_alu instid0(VALU_DEP_1) | instskip(NEXT) | instid1(VALU_DEP_1)
	v_add_f64 v[14:15], v[20:21], v[14:15]
	v_add_f64 v[20:21], v[131:132], v[14:15]
	s_delay_alu instid0(VALU_DEP_1) | instskip(SKIP_1) | instid1(VALU_DEP_2)
	v_mul_f64 v[26:27], v[16:17], v[20:21]
	v_add_f64 v[48:49], v[131:132], -v[20:21]
	v_mul_f64 v[28:29], v[22:23], v[26:27]
	s_delay_alu instid0(VALU_DEP_2) | instskip(NEXT) | instid1(VALU_DEP_2)
	v_add_f64 v[14:15], v[14:15], v[48:49]
	v_fma_f64 v[22:23], v[26:27], v[22:23], -v[28:29]
	s_delay_alu instid0(VALU_DEP_1) | instskip(NEXT) | instid1(VALU_DEP_1)
	v_fma_f64 v[18:19], v[26:27], v[18:19], v[22:23]
	v_add_f64 v[22:23], v[28:29], v[18:19]
	s_delay_alu instid0(VALU_DEP_1) | instskip(SKIP_1) | instid1(VALU_DEP_2)
	v_add_f64 v[30:31], v[20:21], -v[22:23]
	v_add_f64 v[28:29], v[22:23], -v[28:29]
	v_add_f64 v[20:21], v[20:21], -v[30:31]
	s_delay_alu instid0(VALU_DEP_2) | instskip(NEXT) | instid1(VALU_DEP_2)
	v_add_f64 v[18:19], v[28:29], -v[18:19]
	v_add_f64 v[20:21], v[20:21], -v[22:23]
	s_delay_alu instid0(VALU_DEP_1) | instskip(SKIP_1) | instid1(VALU_DEP_2)
	v_add_f64 v[14:15], v[14:15], v[20:21]
	v_add_f64 v[20:21], v[24:25], v[26:27]
	;; [unrolled: 1-line block ×3, first 2 shown]
	s_delay_alu instid0(VALU_DEP_2) | instskip(NEXT) | instid1(VALU_DEP_2)
	v_add_f64 v[18:19], v[20:21], -v[24:25]
	v_add_f64 v[14:15], v[30:31], v[14:15]
	s_delay_alu instid0(VALU_DEP_2) | instskip(NEXT) | instid1(VALU_DEP_2)
	v_add_f64 v[18:19], v[26:27], -v[18:19]
	v_mul_f64 v[14:15], v[16:17], v[14:15]
	s_delay_alu instid0(VALU_DEP_1) | instskip(NEXT) | instid1(VALU_DEP_1)
	v_add_f64 v[14:15], v[18:19], v[14:15]
	v_add_f64 v[16:17], v[20:21], v[14:15]
	s_delay_alu instid0(VALU_DEP_1) | instskip(NEXT) | instid1(VALU_DEP_1)
	v_mul_f64 v[18:19], v[16:17], v[16:17]
	v_fma_f64 v[22:23], v[18:19], s[18:19], s[14:15]
	s_mov_b32 s14, 0xd7f4df2e
	s_mov_b32 s15, 0x3fc7474d
	v_mul_f64 v[24:25], v[16:17], v[18:19]
	s_delay_alu instid0(VALU_DEP_2)
	v_fma_f64 v[22:23], v[18:19], v[22:23], s[14:15]
	s_mov_b32 s14, 0x16291751
	s_mov_b32 s15, 0x3fcc71c0
	s_delay_alu instid0(VALU_DEP_1) | instid1(SALU_CYCLE_1)
	v_fma_f64 v[22:23], v[18:19], v[22:23], s[14:15]
	s_mov_b32 s14, 0x9b27acf1
	s_mov_b32 s15, 0x3fd24924
	s_delay_alu instid0(VALU_DEP_1) | instid1(SALU_CYCLE_1)
	;; [unrolled: 4-line block ×3, first 2 shown]
	v_fma_f64 v[22:23], v[18:19], v[22:23], s[14:15]
	s_delay_alu instid0(VALU_DEP_1) | instskip(SKIP_2) | instid1(VALU_DEP_3)
	v_fma_f64 v[18:19], v[18:19], v[22:23], s[6:7]
	v_ldexp_f64 v[22:23], v[16:17], 1
	v_add_f64 v[16:17], v[16:17], -v[20:21]
	v_mul_f64 v[18:19], v[24:25], v[18:19]
	v_cvt_f64_i32_e32 v[24:25], v133
	s_delay_alu instid0(VALU_DEP_3) | instskip(NEXT) | instid1(VALU_DEP_3)
	v_add_f64 v[14:15], v[14:15], -v[16:17]
	v_add_f64 v[20:21], v[22:23], v[18:19]
	s_delay_alu instid0(VALU_DEP_3) | instskip(NEXT) | instid1(VALU_DEP_3)
	v_mul_f64 v[26:27], v[24:25], s[8:9]
	v_ldexp_f64 v[14:15], v[14:15], 1
	s_delay_alu instid0(VALU_DEP_3) | instskip(NEXT) | instid1(VALU_DEP_3)
	v_add_f64 v[16:17], v[20:21], -v[22:23]
	v_fma_f64 v[22:23], v[24:25], s[8:9], -v[26:27]
	s_delay_alu instid0(VALU_DEP_2) | instskip(NEXT) | instid1(VALU_DEP_2)
	v_add_f64 v[16:17], v[18:19], -v[16:17]
	v_fma_f64 v[18:19], v[24:25], s[10:11], v[22:23]
	s_delay_alu instid0(VALU_DEP_2) | instskip(NEXT) | instid1(VALU_DEP_2)
	v_add_f64 v[14:15], v[14:15], v[16:17]
	v_add_f64 v[16:17], v[26:27], v[18:19]
	s_delay_alu instid0(VALU_DEP_2) | instskip(NEXT) | instid1(VALU_DEP_2)
	v_add_f64 v[22:23], v[20:21], v[14:15]
	v_add_f64 v[26:27], v[16:17], -v[26:27]
	s_delay_alu instid0(VALU_DEP_2) | instskip(SKIP_1) | instid1(VALU_DEP_3)
	v_add_f64 v[24:25], v[16:17], v[22:23]
	v_add_f64 v[20:21], v[22:23], -v[20:21]
	v_add_f64 v[18:19], v[18:19], -v[26:27]
	s_delay_alu instid0(VALU_DEP_3) | instskip(NEXT) | instid1(VALU_DEP_3)
	v_add_f64 v[28:29], v[24:25], -v[16:17]
	v_add_f64 v[14:15], v[14:15], -v[20:21]
	s_delay_alu instid0(VALU_DEP_2) | instskip(SKIP_1) | instid1(VALU_DEP_3)
	v_add_f64 v[30:31], v[24:25], -v[28:29]
	v_add_f64 v[20:21], v[22:23], -v[28:29]
	v_add_f64 v[22:23], v[18:19], v[14:15]
	s_delay_alu instid0(VALU_DEP_3) | instskip(NEXT) | instid1(VALU_DEP_1)
	v_add_f64 v[16:17], v[16:17], -v[30:31]
	v_add_f64 v[16:17], v[20:21], v[16:17]
	s_delay_alu instid0(VALU_DEP_3) | instskip(NEXT) | instid1(VALU_DEP_2)
	v_add_f64 v[20:21], v[22:23], -v[18:19]
	v_add_f64 v[16:17], v[22:23], v[16:17]
	s_delay_alu instid0(VALU_DEP_2) | instskip(SKIP_1) | instid1(VALU_DEP_3)
	v_add_f64 v[22:23], v[22:23], -v[20:21]
	v_add_f64 v[14:15], v[14:15], -v[20:21]
	v_add_f64 v[26:27], v[24:25], v[16:17]
	s_delay_alu instid0(VALU_DEP_3) | instskip(NEXT) | instid1(VALU_DEP_2)
	v_add_f64 v[18:19], v[18:19], -v[22:23]
	v_add_f64 v[20:21], v[26:27], -v[24:25]
	s_delay_alu instid0(VALU_DEP_2) | instskip(NEXT) | instid1(VALU_DEP_2)
	v_add_f64 v[14:15], v[14:15], v[18:19]
	v_add_f64 v[16:17], v[16:17], -v[20:21]
	s_delay_alu instid0(VALU_DEP_1) | instskip(NEXT) | instid1(VALU_DEP_1)
	v_add_f64 v[14:15], v[14:15], v[16:17]
	v_add_f64 v[14:15], v[26:27], v[14:15]
	s_delay_alu instid0(VALU_DEP_1) | instskip(NEXT) | instid1(VALU_DEP_2)
	v_cndmask_b32_e64 v14, v14, v12, s5
	v_cndmask_b32_e64 v15, v15, v13, s5
	v_cmp_ngt_f64_e64 s5, -1.0, v[12:13]
	s_delay_alu instid0(VALU_DEP_1) | instskip(SKIP_1) | instid1(VALU_DEP_1)
	v_cndmask_b32_e64 v15, 0x7ff80000, v15, s5
	v_cmp_nge_f64_e64 s5, -1.0, v[12:13]
	v_cndmask_b32_e64 v14, 0, v14, s5
	v_cmp_neq_f64_e64 s5, -1.0, v[12:13]
	s_delay_alu instid0(VALU_DEP_1) | instskip(NEXT) | instid1(VALU_DEP_1)
	v_cndmask_b32_e64 v15, 0xfff00000, v15, s5
	v_add_f64 v[48:49], v[10:11], v[14:15]
.LBB76_268:
	s_or_b32 exec_lo, exec_lo, s12
	v_max_f64 v[10:11], v[102:103], v[102:103]
	s_delay_alu instid0(VALU_DEP_2) | instskip(SKIP_2) | instid1(VALU_DEP_3)
	v_max_f64 v[12:13], v[48:49], v[48:49]
	v_cmp_u_f64_e64 s6, v[48:49], v[48:49]
	v_cmp_u_f64_e64 s5, v[102:103], v[102:103]
	v_min_f64 v[14:15], v[12:13], v[10:11]
	v_max_f64 v[12:13], v[12:13], v[10:11]
	s_delay_alu instid0(VALU_DEP_2) | instskip(NEXT) | instid1(VALU_DEP_3)
	v_cndmask_b32_e64 v14, v14, v48, s6
	v_cndmask_b32_e64 v15, v15, v49, s6
	s_delay_alu instid0(VALU_DEP_3) | instskip(NEXT) | instid1(VALU_DEP_4)
	v_cndmask_b32_e64 v13, v13, v49, s6
	v_cndmask_b32_e64 v12, v12, v48, s6
	s_delay_alu instid0(VALU_DEP_4) | instskip(NEXT) | instid1(VALU_DEP_4)
	v_cndmask_b32_e64 v14, v14, v102, s5
	v_cndmask_b32_e64 v15, v15, v103, s5
	s_delay_alu instid0(VALU_DEP_4) | instskip(NEXT) | instid1(VALU_DEP_4)
	v_cndmask_b32_e64 v13, v13, v103, s5
	v_cndmask_b32_e64 v12, v12, v102, s5
	s_delay_alu instid0(VALU_DEP_3) | instskip(NEXT) | instid1(VALU_DEP_2)
	v_cmp_class_f64_e64 s7, v[14:15], 0x1f8
	v_cmp_neq_f64_e64 s6, v[14:15], v[12:13]
	s_delay_alu instid0(VALU_DEP_1) | instskip(NEXT) | instid1(SALU_CYCLE_1)
	s_or_b32 s6, s6, s7
	s_and_saveexec_b32 s12, s6
	s_cbranch_execz .LBB76_270
; %bb.269:
	v_add_f64 v[14:15], v[14:15], -v[12:13]
	s_mov_b32 s6, 0x652b82fe
	s_mov_b32 s7, 0x3ff71547
	;; [unrolled: 1-line block ×10, first 2 shown]
	s_delay_alu instid0(VALU_DEP_1) | instskip(SKIP_2) | instid1(VALU_DEP_1)
	v_mul_f64 v[16:17], v[14:15], s[6:7]
	s_mov_b32 s6, 0xfca7ab0c
	s_mov_b32 s7, 0x3e928af3
	v_rndne_f64_e32 v[16:17], v[16:17]
	s_delay_alu instid0(VALU_DEP_1) | instskip(SKIP_2) | instid1(VALU_DEP_2)
	v_fma_f64 v[18:19], v[16:17], s[8:9], v[14:15]
	v_cvt_i32_f64_e32 v22, v[16:17]
	s_mov_b32 s9, 0x3fe62e42
	v_fma_f64 v[18:19], v[16:17], s[10:11], v[18:19]
	s_mov_b32 s11, 0x3c7abc9e
	s_delay_alu instid0(VALU_DEP_1) | instskip(SKIP_4) | instid1(VALU_DEP_1)
	v_fma_f64 v[20:21], v[18:19], s[14:15], s[6:7]
	s_mov_b32 s6, 0x623fde64
	s_mov_b32 s7, 0x3ec71dee
	;; [unrolled: 1-line block ×4, first 2 shown]
	v_fma_f64 v[20:21], v[18:19], v[20:21], s[6:7]
	s_mov_b32 s6, 0x7c89e6b0
	s_mov_b32 s7, 0x3efa0199
	s_delay_alu instid0(VALU_DEP_1) | instid1(SALU_CYCLE_1)
	v_fma_f64 v[20:21], v[18:19], v[20:21], s[6:7]
	s_mov_b32 s6, 0x14761f6e
	s_mov_b32 s7, 0x3f2a01a0
	s_delay_alu instid0(VALU_DEP_1) | instid1(SALU_CYCLE_1)
	;; [unrolled: 4-line block ×7, first 2 shown]
	v_fma_f64 v[20:21], v[18:19], v[20:21], s[6:7]
	v_cmp_nlt_f64_e64 s6, 0x40900000, v[14:15]
	v_cmp_ngt_f64_e64 s7, 0xc090cc00, v[14:15]
	s_delay_alu instid0(VALU_DEP_3) | instskip(NEXT) | instid1(VALU_DEP_1)
	v_fma_f64 v[20:21], v[18:19], v[20:21], 1.0
	v_fma_f64 v[16:17], v[18:19], v[20:21], 1.0
	s_delay_alu instid0(VALU_DEP_1) | instskip(NEXT) | instid1(VALU_DEP_1)
	v_ldexp_f64 v[16:17], v[16:17], v22
	v_cndmask_b32_e64 v17, 0x7ff00000, v17, s6
	s_and_b32 s6, s7, s6
	s_delay_alu instid0(VALU_DEP_2) | instid1(SALU_CYCLE_1)
	v_cndmask_b32_e64 v14, 0, v16, s6
	s_mov_b32 s6, 0x55555555
	s_delay_alu instid0(VALU_DEP_2) | instskip(SKIP_1) | instid1(VALU_DEP_1)
	v_cndmask_b32_e64 v15, 0, v17, s7
	s_mov_b32 s7, 0x3fe55555
	v_add_f64 v[16:17], v[14:15], 1.0
	s_delay_alu instid0(VALU_DEP_1) | instskip(SKIP_2) | instid1(VALU_DEP_3)
	v_frexp_mant_f64_e32 v[18:19], v[16:17]
	v_frexp_exp_i32_f64_e32 v22, v[16:17]
	v_add_f64 v[20:21], v[16:17], -1.0
	v_cmp_gt_f64_e64 s6, s[6:7], v[18:19]
	s_delay_alu instid0(VALU_DEP_2) | instskip(SKIP_1) | instid1(VALU_DEP_3)
	v_add_f64 v[18:19], v[20:21], -v[16:17]
	v_add_f64 v[20:21], v[14:15], -v[20:21]
	v_subrev_co_ci_u32_e64 v144, s6, 0, v22, s6
	s_delay_alu instid0(VALU_DEP_3) | instskip(SKIP_1) | instid1(VALU_DEP_2)
	v_add_f64 v[18:19], v[18:19], 1.0
	s_mov_b32 s6, 0x55555780
	v_sub_nc_u32_e32 v24, 0, v144
	s_delay_alu instid0(VALU_DEP_1) | instskip(NEXT) | instid1(VALU_DEP_3)
	v_ldexp_f64 v[16:17], v[16:17], v24
	v_add_f64 v[18:19], v[20:21], v[18:19]
	s_delay_alu instid0(VALU_DEP_2) | instskip(SKIP_1) | instid1(VALU_DEP_3)
	v_add_f64 v[22:23], v[16:17], 1.0
	v_add_f64 v[28:29], v[16:17], -1.0
	v_ldexp_f64 v[18:19], v[18:19], v24
	s_delay_alu instid0(VALU_DEP_3) | instskip(NEXT) | instid1(VALU_DEP_3)
	v_add_f64 v[20:21], v[22:23], -1.0
	v_add_f64 v[30:31], v[28:29], 1.0
	s_delay_alu instid0(VALU_DEP_2) | instskip(NEXT) | instid1(VALU_DEP_2)
	v_add_f64 v[20:21], v[16:17], -v[20:21]
	v_add_f64 v[16:17], v[16:17], -v[30:31]
	s_delay_alu instid0(VALU_DEP_2) | instskip(NEXT) | instid1(VALU_DEP_2)
	v_add_f64 v[20:21], v[18:19], v[20:21]
	v_add_f64 v[16:17], v[18:19], v[16:17]
	s_delay_alu instid0(VALU_DEP_2) | instskip(NEXT) | instid1(VALU_DEP_2)
	v_add_f64 v[24:25], v[22:23], v[20:21]
	v_add_f64 v[30:31], v[28:29], v[16:17]
	s_delay_alu instid0(VALU_DEP_2) | instskip(SKIP_1) | instid1(VALU_DEP_2)
	v_rcp_f64_e32 v[26:27], v[24:25]
	v_add_f64 v[22:23], v[24:25], -v[22:23]
	v_add_f64 v[28:29], v[30:31], -v[28:29]
	s_delay_alu instid0(VALU_DEP_2) | instskip(SKIP_3) | instid1(VALU_DEP_2)
	v_add_f64 v[20:21], v[20:21], -v[22:23]
	s_waitcnt_depctr 0xfff
	v_fma_f64 v[48:49], -v[24:25], v[26:27], 1.0
	v_add_f64 v[16:17], v[16:17], -v[28:29]
	v_fma_f64 v[26:27], v[48:49], v[26:27], v[26:27]
	s_delay_alu instid0(VALU_DEP_1) | instskip(NEXT) | instid1(VALU_DEP_1)
	v_fma_f64 v[18:19], -v[24:25], v[26:27], 1.0
	v_fma_f64 v[18:19], v[18:19], v[26:27], v[26:27]
	s_delay_alu instid0(VALU_DEP_1) | instskip(NEXT) | instid1(VALU_DEP_1)
	v_mul_f64 v[26:27], v[30:31], v[18:19]
	v_mul_f64 v[48:49], v[24:25], v[26:27]
	s_delay_alu instid0(VALU_DEP_1) | instskip(NEXT) | instid1(VALU_DEP_1)
	v_fma_f64 v[22:23], v[26:27], v[24:25], -v[48:49]
	v_fma_f64 v[22:23], v[26:27], v[20:21], v[22:23]
	s_delay_alu instid0(VALU_DEP_1) | instskip(NEXT) | instid1(VALU_DEP_1)
	v_add_f64 v[131:132], v[48:49], v[22:23]
	v_add_f64 v[133:134], v[30:31], -v[131:132]
	v_add_f64 v[28:29], v[131:132], -v[48:49]
	s_delay_alu instid0(VALU_DEP_2) | instskip(NEXT) | instid1(VALU_DEP_2)
	v_add_f64 v[30:31], v[30:31], -v[133:134]
	v_add_f64 v[22:23], v[28:29], -v[22:23]
	s_delay_alu instid0(VALU_DEP_2) | instskip(NEXT) | instid1(VALU_DEP_1)
	v_add_f64 v[30:31], v[30:31], -v[131:132]
	v_add_f64 v[16:17], v[16:17], v[30:31]
	s_delay_alu instid0(VALU_DEP_1) | instskip(NEXT) | instid1(VALU_DEP_1)
	v_add_f64 v[16:17], v[22:23], v[16:17]
	v_add_f64 v[22:23], v[133:134], v[16:17]
	s_delay_alu instid0(VALU_DEP_1) | instskip(SKIP_1) | instid1(VALU_DEP_2)
	v_mul_f64 v[28:29], v[18:19], v[22:23]
	v_add_f64 v[131:132], v[133:134], -v[22:23]
	v_mul_f64 v[30:31], v[24:25], v[28:29]
	s_delay_alu instid0(VALU_DEP_2) | instskip(NEXT) | instid1(VALU_DEP_2)
	v_add_f64 v[16:17], v[16:17], v[131:132]
	v_fma_f64 v[24:25], v[28:29], v[24:25], -v[30:31]
	s_delay_alu instid0(VALU_DEP_1) | instskip(NEXT) | instid1(VALU_DEP_1)
	v_fma_f64 v[20:21], v[28:29], v[20:21], v[24:25]
	v_add_f64 v[24:25], v[30:31], v[20:21]
	s_delay_alu instid0(VALU_DEP_1) | instskip(SKIP_1) | instid1(VALU_DEP_2)
	v_add_f64 v[48:49], v[22:23], -v[24:25]
	v_add_f64 v[30:31], v[24:25], -v[30:31]
	;; [unrolled: 1-line block ×3, first 2 shown]
	s_delay_alu instid0(VALU_DEP_2) | instskip(NEXT) | instid1(VALU_DEP_2)
	v_add_f64 v[20:21], v[30:31], -v[20:21]
	v_add_f64 v[22:23], v[22:23], -v[24:25]
	s_delay_alu instid0(VALU_DEP_1) | instskip(SKIP_1) | instid1(VALU_DEP_2)
	v_add_f64 v[16:17], v[16:17], v[22:23]
	v_add_f64 v[22:23], v[26:27], v[28:29]
	;; [unrolled: 1-line block ×3, first 2 shown]
	s_delay_alu instid0(VALU_DEP_2) | instskip(NEXT) | instid1(VALU_DEP_2)
	v_add_f64 v[20:21], v[22:23], -v[26:27]
	v_add_f64 v[16:17], v[48:49], v[16:17]
	s_delay_alu instid0(VALU_DEP_2) | instskip(NEXT) | instid1(VALU_DEP_2)
	v_add_f64 v[20:21], v[28:29], -v[20:21]
	v_mul_f64 v[16:17], v[18:19], v[16:17]
	s_delay_alu instid0(VALU_DEP_1) | instskip(NEXT) | instid1(VALU_DEP_1)
	v_add_f64 v[16:17], v[20:21], v[16:17]
	v_add_f64 v[18:19], v[22:23], v[16:17]
	s_delay_alu instid0(VALU_DEP_1) | instskip(NEXT) | instid1(VALU_DEP_1)
	v_mul_f64 v[20:21], v[18:19], v[18:19]
	v_fma_f64 v[24:25], v[20:21], s[18:19], s[14:15]
	s_mov_b32 s14, 0xd7f4df2e
	s_mov_b32 s15, 0x3fc7474d
	v_mul_f64 v[26:27], v[18:19], v[20:21]
	s_delay_alu instid0(VALU_DEP_2)
	v_fma_f64 v[24:25], v[20:21], v[24:25], s[14:15]
	s_mov_b32 s14, 0x16291751
	s_mov_b32 s15, 0x3fcc71c0
	s_delay_alu instid0(VALU_DEP_1) | instid1(SALU_CYCLE_1)
	v_fma_f64 v[24:25], v[20:21], v[24:25], s[14:15]
	s_mov_b32 s14, 0x9b27acf1
	s_mov_b32 s15, 0x3fd24924
	s_delay_alu instid0(VALU_DEP_1) | instid1(SALU_CYCLE_1)
	;; [unrolled: 4-line block ×3, first 2 shown]
	v_fma_f64 v[24:25], v[20:21], v[24:25], s[14:15]
	s_delay_alu instid0(VALU_DEP_1) | instskip(SKIP_3) | instid1(VALU_DEP_4)
	v_fma_f64 v[20:21], v[20:21], v[24:25], s[6:7]
	v_ldexp_f64 v[24:25], v[18:19], 1
	v_add_f64 v[18:19], v[18:19], -v[22:23]
	v_cmp_eq_f64_e64 s6, 0x7ff00000, v[14:15]
	v_mul_f64 v[20:21], v[26:27], v[20:21]
	v_cvt_f64_i32_e32 v[26:27], v144
	s_delay_alu instid0(VALU_DEP_4) | instskip(NEXT) | instid1(VALU_DEP_3)
	v_add_f64 v[16:17], v[16:17], -v[18:19]
	v_add_f64 v[22:23], v[24:25], v[20:21]
	s_delay_alu instid0(VALU_DEP_3) | instskip(NEXT) | instid1(VALU_DEP_3)
	v_mul_f64 v[28:29], v[26:27], s[8:9]
	v_ldexp_f64 v[16:17], v[16:17], 1
	s_delay_alu instid0(VALU_DEP_3) | instskip(NEXT) | instid1(VALU_DEP_3)
	v_add_f64 v[18:19], v[22:23], -v[24:25]
	v_fma_f64 v[24:25], v[26:27], s[8:9], -v[28:29]
	s_delay_alu instid0(VALU_DEP_2) | instskip(NEXT) | instid1(VALU_DEP_2)
	v_add_f64 v[18:19], v[20:21], -v[18:19]
	v_fma_f64 v[20:21], v[26:27], s[10:11], v[24:25]
	s_delay_alu instid0(VALU_DEP_2) | instskip(NEXT) | instid1(VALU_DEP_2)
	v_add_f64 v[16:17], v[16:17], v[18:19]
	v_add_f64 v[18:19], v[28:29], v[20:21]
	s_delay_alu instid0(VALU_DEP_2) | instskip(NEXT) | instid1(VALU_DEP_2)
	v_add_f64 v[24:25], v[22:23], v[16:17]
	v_add_f64 v[28:29], v[18:19], -v[28:29]
	s_delay_alu instid0(VALU_DEP_2) | instskip(SKIP_1) | instid1(VALU_DEP_3)
	v_add_f64 v[26:27], v[18:19], v[24:25]
	v_add_f64 v[22:23], v[24:25], -v[22:23]
	v_add_f64 v[20:21], v[20:21], -v[28:29]
	s_delay_alu instid0(VALU_DEP_3) | instskip(NEXT) | instid1(VALU_DEP_3)
	v_add_f64 v[30:31], v[26:27], -v[18:19]
	v_add_f64 v[16:17], v[16:17], -v[22:23]
	s_delay_alu instid0(VALU_DEP_2) | instskip(SKIP_1) | instid1(VALU_DEP_3)
	v_add_f64 v[48:49], v[26:27], -v[30:31]
	v_add_f64 v[22:23], v[24:25], -v[30:31]
	v_add_f64 v[24:25], v[20:21], v[16:17]
	s_delay_alu instid0(VALU_DEP_3) | instskip(NEXT) | instid1(VALU_DEP_1)
	v_add_f64 v[18:19], v[18:19], -v[48:49]
	v_add_f64 v[18:19], v[22:23], v[18:19]
	s_delay_alu instid0(VALU_DEP_3) | instskip(NEXT) | instid1(VALU_DEP_2)
	v_add_f64 v[22:23], v[24:25], -v[20:21]
	v_add_f64 v[18:19], v[24:25], v[18:19]
	s_delay_alu instid0(VALU_DEP_2) | instskip(SKIP_1) | instid1(VALU_DEP_3)
	v_add_f64 v[24:25], v[24:25], -v[22:23]
	v_add_f64 v[16:17], v[16:17], -v[22:23]
	v_add_f64 v[28:29], v[26:27], v[18:19]
	s_delay_alu instid0(VALU_DEP_3) | instskip(NEXT) | instid1(VALU_DEP_2)
	v_add_f64 v[20:21], v[20:21], -v[24:25]
	v_add_f64 v[22:23], v[28:29], -v[26:27]
	s_delay_alu instid0(VALU_DEP_2) | instskip(NEXT) | instid1(VALU_DEP_2)
	v_add_f64 v[16:17], v[16:17], v[20:21]
	v_add_f64 v[18:19], v[18:19], -v[22:23]
	s_delay_alu instid0(VALU_DEP_1) | instskip(NEXT) | instid1(VALU_DEP_1)
	v_add_f64 v[16:17], v[16:17], v[18:19]
	v_add_f64 v[16:17], v[28:29], v[16:17]
	s_delay_alu instid0(VALU_DEP_1) | instskip(NEXT) | instid1(VALU_DEP_2)
	v_cndmask_b32_e64 v16, v16, v14, s6
	v_cndmask_b32_e64 v17, v17, v15, s6
	v_cmp_ngt_f64_e64 s6, -1.0, v[14:15]
	s_delay_alu instid0(VALU_DEP_1) | instskip(SKIP_1) | instid1(VALU_DEP_1)
	v_cndmask_b32_e64 v17, 0x7ff80000, v17, s6
	v_cmp_nge_f64_e64 s6, -1.0, v[14:15]
	v_cndmask_b32_e64 v16, 0, v16, s6
	v_cmp_neq_f64_e64 s6, -1.0, v[14:15]
	s_delay_alu instid0(VALU_DEP_1) | instskip(NEXT) | instid1(VALU_DEP_1)
	v_cndmask_b32_e64 v17, 0xfff00000, v17, s6
	v_add_f64 v[48:49], v[12:13], v[16:17]
.LBB76_270:
	s_or_b32 exec_lo, exec_lo, s12
	v_max_f64 v[12:13], v[96:97], v[96:97]
	s_delay_alu instid0(VALU_DEP_2) | instskip(SKIP_2) | instid1(VALU_DEP_3)
	v_max_f64 v[14:15], v[48:49], v[48:49]
	v_cmp_u_f64_e64 s7, v[48:49], v[48:49]
	v_cmp_u_f64_e64 s6, v[96:97], v[96:97]
	v_min_f64 v[16:17], v[14:15], v[12:13]
	v_max_f64 v[14:15], v[14:15], v[12:13]
	s_delay_alu instid0(VALU_DEP_2) | instskip(NEXT) | instid1(VALU_DEP_3)
	v_cndmask_b32_e64 v16, v16, v48, s7
	v_cndmask_b32_e64 v17, v17, v49, s7
	s_delay_alu instid0(VALU_DEP_3) | instskip(NEXT) | instid1(VALU_DEP_4)
	v_cndmask_b32_e64 v15, v15, v49, s7
	v_cndmask_b32_e64 v14, v14, v48, s7
	s_delay_alu instid0(VALU_DEP_4) | instskip(NEXT) | instid1(VALU_DEP_4)
	v_cndmask_b32_e64 v16, v16, v96, s6
	v_cndmask_b32_e64 v17, v17, v97, s6
	s_delay_alu instid0(VALU_DEP_4) | instskip(NEXT) | instid1(VALU_DEP_4)
	v_cndmask_b32_e64 v15, v15, v97, s6
	v_cndmask_b32_e64 v14, v14, v96, s6
	s_delay_alu instid0(VALU_DEP_3) | instskip(NEXT) | instid1(VALU_DEP_2)
	v_cmp_class_f64_e64 s8, v[16:17], 0x1f8
	v_cmp_neq_f64_e64 s7, v[16:17], v[14:15]
	s_delay_alu instid0(VALU_DEP_1) | instskip(NEXT) | instid1(SALU_CYCLE_1)
	s_or_b32 s7, s7, s8
	s_and_saveexec_b32 s14, s7
	s_cbranch_execz .LBB76_272
; %bb.271:
	v_add_f64 v[16:17], v[16:17], -v[14:15]
	s_mov_b32 s8, 0x652b82fe
	s_mov_b32 s9, 0x3ff71547
	;; [unrolled: 1-line block ×10, first 2 shown]
	s_delay_alu instid0(VALU_DEP_1) | instskip(SKIP_3) | instid1(VALU_DEP_2)
	v_mul_f64 v[18:19], v[16:17], s[8:9]
	s_mov_b32 s8, 0xfca7ab0c
	s_mov_b32 s9, 0x3e928af3
	v_cmp_nlt_f64_e64 s7, 0x40900000, v[16:17]
	v_rndne_f64_e32 v[18:19], v[18:19]
	s_delay_alu instid0(VALU_DEP_1) | instskip(SKIP_2) | instid1(VALU_DEP_2)
	v_fma_f64 v[20:21], v[18:19], s[10:11], v[16:17]
	v_cvt_i32_f64_e32 v24, v[18:19]
	s_mov_b32 s11, 0x3fe62e42
	v_fma_f64 v[20:21], v[18:19], s[12:13], v[20:21]
	s_mov_b32 s13, 0x3c7abc9e
	s_delay_alu instid0(VALU_DEP_1) | instskip(SKIP_4) | instid1(VALU_DEP_1)
	v_fma_f64 v[22:23], v[20:21], s[18:19], s[8:9]
	s_mov_b32 s8, 0x623fde64
	s_mov_b32 s9, 0x3ec71dee
	;; [unrolled: 1-line block ×4, first 2 shown]
	v_fma_f64 v[22:23], v[20:21], v[22:23], s[8:9]
	s_mov_b32 s8, 0x7c89e6b0
	s_mov_b32 s9, 0x3efa0199
	s_delay_alu instid0(VALU_DEP_1) | instid1(SALU_CYCLE_1)
	v_fma_f64 v[22:23], v[20:21], v[22:23], s[8:9]
	s_mov_b32 s8, 0x14761f6e
	s_mov_b32 s9, 0x3f2a01a0
	s_delay_alu instid0(VALU_DEP_1) | instid1(SALU_CYCLE_1)
	;; [unrolled: 4-line block ×7, first 2 shown]
	v_fma_f64 v[22:23], v[20:21], v[22:23], s[8:9]
	v_cmp_ngt_f64_e64 s8, 0xc090cc00, v[16:17]
	s_mov_b32 s9, 0x3fe55555
	s_delay_alu instid0(VALU_DEP_2) | instskip(NEXT) | instid1(VALU_DEP_1)
	v_fma_f64 v[22:23], v[20:21], v[22:23], 1.0
	v_fma_f64 v[18:19], v[20:21], v[22:23], 1.0
	s_delay_alu instid0(VALU_DEP_1) | instskip(NEXT) | instid1(VALU_DEP_1)
	v_ldexp_f64 v[18:19], v[18:19], v24
	v_cndmask_b32_e64 v19, 0x7ff00000, v19, s7
	s_and_b32 s7, s8, s7
	s_delay_alu instid0(VALU_DEP_2) | instid1(SALU_CYCLE_1)
	v_cndmask_b32_e64 v16, 0, v18, s7
	s_delay_alu instid0(VALU_DEP_2) | instskip(SKIP_1) | instid1(VALU_DEP_1)
	v_cndmask_b32_e64 v17, 0, v19, s8
	s_mov_b32 s8, 0x55555555
	v_add_f64 v[18:19], v[16:17], 1.0
	s_delay_alu instid0(VALU_DEP_1) | instskip(SKIP_2) | instid1(VALU_DEP_3)
	v_frexp_mant_f64_e32 v[20:21], v[18:19]
	v_frexp_exp_i32_f64_e32 v24, v[18:19]
	v_add_f64 v[22:23], v[18:19], -1.0
	v_cmp_gt_f64_e64 s7, s[8:9], v[20:21]
	s_mov_b32 s8, 0x55555780
	s_delay_alu instid0(VALU_DEP_2) | instskip(SKIP_1) | instid1(VALU_DEP_3)
	v_add_f64 v[20:21], v[22:23], -v[18:19]
	v_add_f64 v[22:23], v[16:17], -v[22:23]
	v_subrev_co_ci_u32_e64 v146, s7, 0, v24, s7
	s_delay_alu instid0(VALU_DEP_3) | instskip(SKIP_1) | instid1(VALU_DEP_3)
	v_add_f64 v[20:21], v[20:21], 1.0
	v_cmp_eq_f64_e64 s7, 0x7ff00000, v[16:17]
	v_sub_nc_u32_e32 v26, 0, v146
	s_delay_alu instid0(VALU_DEP_1) | instskip(NEXT) | instid1(VALU_DEP_4)
	v_ldexp_f64 v[18:19], v[18:19], v26
	v_add_f64 v[20:21], v[22:23], v[20:21]
	s_delay_alu instid0(VALU_DEP_2) | instskip(SKIP_1) | instid1(VALU_DEP_3)
	v_add_f64 v[24:25], v[18:19], 1.0
	v_add_f64 v[30:31], v[18:19], -1.0
	v_ldexp_f64 v[20:21], v[20:21], v26
	s_delay_alu instid0(VALU_DEP_3) | instskip(NEXT) | instid1(VALU_DEP_3)
	v_add_f64 v[22:23], v[24:25], -1.0
	v_add_f64 v[48:49], v[30:31], 1.0
	s_delay_alu instid0(VALU_DEP_2) | instskip(NEXT) | instid1(VALU_DEP_2)
	v_add_f64 v[22:23], v[18:19], -v[22:23]
	v_add_f64 v[18:19], v[18:19], -v[48:49]
	s_delay_alu instid0(VALU_DEP_2) | instskip(NEXT) | instid1(VALU_DEP_2)
	v_add_f64 v[22:23], v[20:21], v[22:23]
	v_add_f64 v[18:19], v[20:21], v[18:19]
	s_delay_alu instid0(VALU_DEP_2) | instskip(NEXT) | instid1(VALU_DEP_2)
	v_add_f64 v[26:27], v[24:25], v[22:23]
	v_add_f64 v[48:49], v[30:31], v[18:19]
	s_delay_alu instid0(VALU_DEP_2) | instskip(SKIP_1) | instid1(VALU_DEP_2)
	v_rcp_f64_e32 v[28:29], v[26:27]
	v_add_f64 v[24:25], v[26:27], -v[24:25]
	v_add_f64 v[30:31], v[48:49], -v[30:31]
	s_delay_alu instid0(VALU_DEP_2) | instskip(SKIP_3) | instid1(VALU_DEP_2)
	v_add_f64 v[22:23], v[22:23], -v[24:25]
	s_waitcnt_depctr 0xfff
	v_fma_f64 v[131:132], -v[26:27], v[28:29], 1.0
	v_add_f64 v[18:19], v[18:19], -v[30:31]
	v_fma_f64 v[28:29], v[131:132], v[28:29], v[28:29]
	s_delay_alu instid0(VALU_DEP_1) | instskip(NEXT) | instid1(VALU_DEP_1)
	v_fma_f64 v[20:21], -v[26:27], v[28:29], 1.0
	v_fma_f64 v[20:21], v[20:21], v[28:29], v[28:29]
	s_delay_alu instid0(VALU_DEP_1) | instskip(NEXT) | instid1(VALU_DEP_1)
	v_mul_f64 v[28:29], v[48:49], v[20:21]
	v_mul_f64 v[131:132], v[26:27], v[28:29]
	s_delay_alu instid0(VALU_DEP_1) | instskip(NEXT) | instid1(VALU_DEP_1)
	v_fma_f64 v[24:25], v[28:29], v[26:27], -v[131:132]
	v_fma_f64 v[24:25], v[28:29], v[22:23], v[24:25]
	s_delay_alu instid0(VALU_DEP_1) | instskip(NEXT) | instid1(VALU_DEP_1)
	v_add_f64 v[133:134], v[131:132], v[24:25]
	v_add_f64 v[144:145], v[48:49], -v[133:134]
	v_add_f64 v[30:31], v[133:134], -v[131:132]
	s_delay_alu instid0(VALU_DEP_2) | instskip(NEXT) | instid1(VALU_DEP_2)
	v_add_f64 v[48:49], v[48:49], -v[144:145]
	v_add_f64 v[24:25], v[30:31], -v[24:25]
	s_delay_alu instid0(VALU_DEP_2) | instskip(NEXT) | instid1(VALU_DEP_1)
	v_add_f64 v[48:49], v[48:49], -v[133:134]
	v_add_f64 v[18:19], v[18:19], v[48:49]
	s_delay_alu instid0(VALU_DEP_1) | instskip(NEXT) | instid1(VALU_DEP_1)
	v_add_f64 v[18:19], v[24:25], v[18:19]
	v_add_f64 v[24:25], v[144:145], v[18:19]
	s_delay_alu instid0(VALU_DEP_1) | instskip(SKIP_1) | instid1(VALU_DEP_2)
	v_mul_f64 v[30:31], v[20:21], v[24:25]
	v_add_f64 v[133:134], v[144:145], -v[24:25]
	v_mul_f64 v[48:49], v[26:27], v[30:31]
	s_delay_alu instid0(VALU_DEP_2) | instskip(NEXT) | instid1(VALU_DEP_2)
	v_add_f64 v[18:19], v[18:19], v[133:134]
	v_fma_f64 v[26:27], v[30:31], v[26:27], -v[48:49]
	s_delay_alu instid0(VALU_DEP_1) | instskip(NEXT) | instid1(VALU_DEP_1)
	v_fma_f64 v[22:23], v[30:31], v[22:23], v[26:27]
	v_add_f64 v[26:27], v[48:49], v[22:23]
	s_delay_alu instid0(VALU_DEP_1) | instskip(SKIP_1) | instid1(VALU_DEP_2)
	v_add_f64 v[131:132], v[24:25], -v[26:27]
	v_add_f64 v[48:49], v[26:27], -v[48:49]
	;; [unrolled: 1-line block ×3, first 2 shown]
	s_delay_alu instid0(VALU_DEP_2) | instskip(NEXT) | instid1(VALU_DEP_2)
	v_add_f64 v[22:23], v[48:49], -v[22:23]
	v_add_f64 v[24:25], v[24:25], -v[26:27]
	s_delay_alu instid0(VALU_DEP_1) | instskip(SKIP_1) | instid1(VALU_DEP_2)
	v_add_f64 v[18:19], v[18:19], v[24:25]
	v_add_f64 v[24:25], v[28:29], v[30:31]
	;; [unrolled: 1-line block ×3, first 2 shown]
	s_delay_alu instid0(VALU_DEP_2) | instskip(NEXT) | instid1(VALU_DEP_2)
	v_add_f64 v[22:23], v[24:25], -v[28:29]
	v_add_f64 v[18:19], v[131:132], v[18:19]
	s_delay_alu instid0(VALU_DEP_2) | instskip(NEXT) | instid1(VALU_DEP_2)
	v_add_f64 v[22:23], v[30:31], -v[22:23]
	v_mul_f64 v[18:19], v[20:21], v[18:19]
	s_delay_alu instid0(VALU_DEP_1) | instskip(NEXT) | instid1(VALU_DEP_1)
	v_add_f64 v[18:19], v[22:23], v[18:19]
	v_add_f64 v[20:21], v[24:25], v[18:19]
	s_delay_alu instid0(VALU_DEP_1) | instskip(NEXT) | instid1(VALU_DEP_1)
	v_mul_f64 v[22:23], v[20:21], v[20:21]
	v_fma_f64 v[26:27], v[22:23], s[20:21], s[18:19]
	s_mov_b32 s18, 0xd7f4df2e
	s_mov_b32 s19, 0x3fc7474d
	v_mul_f64 v[28:29], v[20:21], v[22:23]
	s_delay_alu instid0(VALU_DEP_2)
	v_fma_f64 v[26:27], v[22:23], v[26:27], s[18:19]
	s_mov_b32 s18, 0x16291751
	s_mov_b32 s19, 0x3fcc71c0
	s_delay_alu instid0(VALU_DEP_1) | instid1(SALU_CYCLE_1)
	v_fma_f64 v[26:27], v[22:23], v[26:27], s[18:19]
	s_mov_b32 s18, 0x9b27acf1
	s_mov_b32 s19, 0x3fd24924
	s_delay_alu instid0(VALU_DEP_1) | instid1(SALU_CYCLE_1)
	;; [unrolled: 4-line block ×3, first 2 shown]
	v_fma_f64 v[26:27], v[22:23], v[26:27], s[18:19]
	s_delay_alu instid0(VALU_DEP_1) | instskip(SKIP_2) | instid1(VALU_DEP_3)
	v_fma_f64 v[22:23], v[22:23], v[26:27], s[8:9]
	v_ldexp_f64 v[26:27], v[20:21], 1
	v_add_f64 v[20:21], v[20:21], -v[24:25]
	v_mul_f64 v[22:23], v[28:29], v[22:23]
	v_cvt_f64_i32_e32 v[28:29], v146
	s_delay_alu instid0(VALU_DEP_3) | instskip(NEXT) | instid1(VALU_DEP_3)
	v_add_f64 v[18:19], v[18:19], -v[20:21]
	v_add_f64 v[24:25], v[26:27], v[22:23]
	s_delay_alu instid0(VALU_DEP_3) | instskip(NEXT) | instid1(VALU_DEP_3)
	v_mul_f64 v[30:31], v[28:29], s[10:11]
	v_ldexp_f64 v[18:19], v[18:19], 1
	s_delay_alu instid0(VALU_DEP_3) | instskip(NEXT) | instid1(VALU_DEP_3)
	v_add_f64 v[20:21], v[24:25], -v[26:27]
	v_fma_f64 v[26:27], v[28:29], s[10:11], -v[30:31]
	s_delay_alu instid0(VALU_DEP_2) | instskip(NEXT) | instid1(VALU_DEP_2)
	v_add_f64 v[20:21], v[22:23], -v[20:21]
	v_fma_f64 v[22:23], v[28:29], s[12:13], v[26:27]
	s_delay_alu instid0(VALU_DEP_2) | instskip(NEXT) | instid1(VALU_DEP_2)
	v_add_f64 v[18:19], v[18:19], v[20:21]
	v_add_f64 v[20:21], v[30:31], v[22:23]
	s_delay_alu instid0(VALU_DEP_2) | instskip(NEXT) | instid1(VALU_DEP_2)
	v_add_f64 v[26:27], v[24:25], v[18:19]
	v_add_f64 v[30:31], v[20:21], -v[30:31]
	s_delay_alu instid0(VALU_DEP_2) | instskip(SKIP_1) | instid1(VALU_DEP_3)
	v_add_f64 v[28:29], v[20:21], v[26:27]
	v_add_f64 v[24:25], v[26:27], -v[24:25]
	v_add_f64 v[22:23], v[22:23], -v[30:31]
	s_delay_alu instid0(VALU_DEP_3) | instskip(NEXT) | instid1(VALU_DEP_3)
	v_add_f64 v[48:49], v[28:29], -v[20:21]
	v_add_f64 v[18:19], v[18:19], -v[24:25]
	s_delay_alu instid0(VALU_DEP_2) | instskip(SKIP_1) | instid1(VALU_DEP_3)
	v_add_f64 v[131:132], v[28:29], -v[48:49]
	v_add_f64 v[24:25], v[26:27], -v[48:49]
	v_add_f64 v[26:27], v[22:23], v[18:19]
	s_delay_alu instid0(VALU_DEP_3) | instskip(NEXT) | instid1(VALU_DEP_1)
	v_add_f64 v[20:21], v[20:21], -v[131:132]
	v_add_f64 v[20:21], v[24:25], v[20:21]
	s_delay_alu instid0(VALU_DEP_3) | instskip(NEXT) | instid1(VALU_DEP_2)
	v_add_f64 v[24:25], v[26:27], -v[22:23]
	v_add_f64 v[20:21], v[26:27], v[20:21]
	s_delay_alu instid0(VALU_DEP_2) | instskip(SKIP_1) | instid1(VALU_DEP_3)
	v_add_f64 v[26:27], v[26:27], -v[24:25]
	v_add_f64 v[18:19], v[18:19], -v[24:25]
	v_add_f64 v[30:31], v[28:29], v[20:21]
	s_delay_alu instid0(VALU_DEP_3) | instskip(NEXT) | instid1(VALU_DEP_2)
	v_add_f64 v[22:23], v[22:23], -v[26:27]
	v_add_f64 v[24:25], v[30:31], -v[28:29]
	s_delay_alu instid0(VALU_DEP_2) | instskip(NEXT) | instid1(VALU_DEP_2)
	v_add_f64 v[18:19], v[18:19], v[22:23]
	v_add_f64 v[20:21], v[20:21], -v[24:25]
	s_delay_alu instid0(VALU_DEP_1) | instskip(NEXT) | instid1(VALU_DEP_1)
	v_add_f64 v[18:19], v[18:19], v[20:21]
	v_add_f64 v[18:19], v[30:31], v[18:19]
	s_delay_alu instid0(VALU_DEP_1) | instskip(NEXT) | instid1(VALU_DEP_2)
	v_cndmask_b32_e64 v18, v18, v16, s7
	v_cndmask_b32_e64 v19, v19, v17, s7
	v_cmp_ngt_f64_e64 s7, -1.0, v[16:17]
	s_delay_alu instid0(VALU_DEP_1) | instskip(SKIP_1) | instid1(VALU_DEP_1)
	v_cndmask_b32_e64 v19, 0x7ff80000, v19, s7
	v_cmp_nge_f64_e64 s7, -1.0, v[16:17]
	v_cndmask_b32_e64 v18, 0, v18, s7
	v_cmp_neq_f64_e64 s7, -1.0, v[16:17]
	s_delay_alu instid0(VALU_DEP_1) | instskip(NEXT) | instid1(VALU_DEP_1)
	v_cndmask_b32_e64 v19, 0xfff00000, v19, s7
	v_add_f64 v[48:49], v[14:15], v[18:19]
.LBB76_272:
	s_or_b32 exec_lo, exec_lo, s14
	v_max_f64 v[14:15], v[98:99], v[98:99]
	s_delay_alu instid0(VALU_DEP_2) | instskip(SKIP_2) | instid1(VALU_DEP_3)
	v_max_f64 v[16:17], v[48:49], v[48:49]
	v_cmp_u_f64_e64 s8, v[48:49], v[48:49]
	v_cmp_u_f64_e64 s7, v[98:99], v[98:99]
	v_min_f64 v[18:19], v[16:17], v[14:15]
	v_max_f64 v[16:17], v[16:17], v[14:15]
	s_delay_alu instid0(VALU_DEP_2) | instskip(NEXT) | instid1(VALU_DEP_3)
	v_cndmask_b32_e64 v18, v18, v48, s8
	v_cndmask_b32_e64 v19, v19, v49, s8
	s_delay_alu instid0(VALU_DEP_3) | instskip(NEXT) | instid1(VALU_DEP_4)
	v_cndmask_b32_e64 v17, v17, v49, s8
	v_cndmask_b32_e64 v16, v16, v48, s8
	s_delay_alu instid0(VALU_DEP_4) | instskip(NEXT) | instid1(VALU_DEP_4)
	v_cndmask_b32_e64 v18, v18, v98, s7
	v_cndmask_b32_e64 v19, v19, v99, s7
	s_delay_alu instid0(VALU_DEP_4) | instskip(NEXT) | instid1(VALU_DEP_4)
	v_cndmask_b32_e64 v17, v17, v99, s7
	v_cndmask_b32_e64 v16, v16, v98, s7
	s_delay_alu instid0(VALU_DEP_3) | instskip(NEXT) | instid1(VALU_DEP_2)
	v_cmp_class_f64_e64 s9, v[18:19], 0x1f8
	v_cmp_neq_f64_e64 s8, v[18:19], v[16:17]
	s_delay_alu instid0(VALU_DEP_1) | instskip(NEXT) | instid1(SALU_CYCLE_1)
	s_or_b32 s8, s8, s9
	s_and_saveexec_b32 s14, s8
	s_cbranch_execz .LBB76_274
; %bb.273:
	v_add_f64 v[18:19], v[18:19], -v[16:17]
	s_mov_b32 s8, 0x652b82fe
	s_mov_b32 s9, 0x3ff71547
	;; [unrolled: 1-line block ×10, first 2 shown]
	s_delay_alu instid0(VALU_DEP_1) | instskip(SKIP_2) | instid1(VALU_DEP_1)
	v_mul_f64 v[20:21], v[18:19], s[8:9]
	s_mov_b32 s8, 0xfca7ab0c
	s_mov_b32 s9, 0x3e928af3
	v_rndne_f64_e32 v[20:21], v[20:21]
	s_delay_alu instid0(VALU_DEP_1) | instskip(SKIP_2) | instid1(VALU_DEP_2)
	v_fma_f64 v[22:23], v[20:21], s[10:11], v[18:19]
	v_cvt_i32_f64_e32 v26, v[20:21]
	s_mov_b32 s11, 0x3fe62e42
	v_fma_f64 v[22:23], v[20:21], s[12:13], v[22:23]
	s_mov_b32 s13, 0x3c7abc9e
	s_delay_alu instid0(VALU_DEP_1) | instskip(SKIP_4) | instid1(VALU_DEP_1)
	v_fma_f64 v[24:25], v[22:23], s[18:19], s[8:9]
	s_mov_b32 s8, 0x623fde64
	s_mov_b32 s9, 0x3ec71dee
	;; [unrolled: 1-line block ×4, first 2 shown]
	v_fma_f64 v[24:25], v[22:23], v[24:25], s[8:9]
	s_mov_b32 s8, 0x7c89e6b0
	s_mov_b32 s9, 0x3efa0199
	s_delay_alu instid0(VALU_DEP_1) | instid1(SALU_CYCLE_1)
	v_fma_f64 v[24:25], v[22:23], v[24:25], s[8:9]
	s_mov_b32 s8, 0x14761f6e
	s_mov_b32 s9, 0x3f2a01a0
	s_delay_alu instid0(VALU_DEP_1) | instid1(SALU_CYCLE_1)
	;; [unrolled: 4-line block ×7, first 2 shown]
	v_fma_f64 v[24:25], v[22:23], v[24:25], s[8:9]
	v_cmp_nlt_f64_e64 s8, 0x40900000, v[18:19]
	v_cmp_ngt_f64_e64 s9, 0xc090cc00, v[18:19]
	s_delay_alu instid0(VALU_DEP_3) | instskip(NEXT) | instid1(VALU_DEP_1)
	v_fma_f64 v[24:25], v[22:23], v[24:25], 1.0
	v_fma_f64 v[20:21], v[22:23], v[24:25], 1.0
	s_delay_alu instid0(VALU_DEP_1) | instskip(NEXT) | instid1(VALU_DEP_1)
	v_ldexp_f64 v[20:21], v[20:21], v26
	v_cndmask_b32_e64 v21, 0x7ff00000, v21, s8
	s_and_b32 s8, s9, s8
	s_delay_alu instid0(VALU_DEP_2) | instid1(SALU_CYCLE_1)
	v_cndmask_b32_e64 v18, 0, v20, s8
	s_mov_b32 s8, 0x55555555
	s_delay_alu instid0(VALU_DEP_2) | instskip(SKIP_1) | instid1(VALU_DEP_1)
	v_cndmask_b32_e64 v19, 0, v21, s9
	s_mov_b32 s9, 0x3fe55555
	v_add_f64 v[20:21], v[18:19], 1.0
	s_delay_alu instid0(VALU_DEP_1) | instskip(SKIP_2) | instid1(VALU_DEP_3)
	v_frexp_mant_f64_e32 v[22:23], v[20:21]
	v_frexp_exp_i32_f64_e32 v26, v[20:21]
	v_add_f64 v[24:25], v[20:21], -1.0
	v_cmp_gt_f64_e64 s8, s[8:9], v[22:23]
	s_delay_alu instid0(VALU_DEP_2) | instskip(SKIP_1) | instid1(VALU_DEP_3)
	v_add_f64 v[22:23], v[24:25], -v[20:21]
	v_add_f64 v[24:25], v[18:19], -v[24:25]
	v_subrev_co_ci_u32_e64 v148, s8, 0, v26, s8
	s_delay_alu instid0(VALU_DEP_3) | instskip(SKIP_1) | instid1(VALU_DEP_2)
	v_add_f64 v[22:23], v[22:23], 1.0
	s_mov_b32 s8, 0x55555780
	v_sub_nc_u32_e32 v28, 0, v148
	s_delay_alu instid0(VALU_DEP_1) | instskip(NEXT) | instid1(VALU_DEP_3)
	v_ldexp_f64 v[20:21], v[20:21], v28
	v_add_f64 v[22:23], v[24:25], v[22:23]
	s_delay_alu instid0(VALU_DEP_2) | instskip(SKIP_1) | instid1(VALU_DEP_3)
	v_add_f64 v[26:27], v[20:21], 1.0
	v_add_f64 v[48:49], v[20:21], -1.0
	v_ldexp_f64 v[22:23], v[22:23], v28
	s_delay_alu instid0(VALU_DEP_3) | instskip(NEXT) | instid1(VALU_DEP_3)
	v_add_f64 v[24:25], v[26:27], -1.0
	v_add_f64 v[131:132], v[48:49], 1.0
	s_delay_alu instid0(VALU_DEP_2) | instskip(NEXT) | instid1(VALU_DEP_2)
	v_add_f64 v[24:25], v[20:21], -v[24:25]
	v_add_f64 v[20:21], v[20:21], -v[131:132]
	s_delay_alu instid0(VALU_DEP_2) | instskip(NEXT) | instid1(VALU_DEP_2)
	v_add_f64 v[24:25], v[22:23], v[24:25]
	v_add_f64 v[20:21], v[22:23], v[20:21]
	s_delay_alu instid0(VALU_DEP_2) | instskip(NEXT) | instid1(VALU_DEP_2)
	v_add_f64 v[28:29], v[26:27], v[24:25]
	v_add_f64 v[131:132], v[48:49], v[20:21]
	s_delay_alu instid0(VALU_DEP_2) | instskip(SKIP_1) | instid1(VALU_DEP_2)
	v_rcp_f64_e32 v[30:31], v[28:29]
	v_add_f64 v[26:27], v[28:29], -v[26:27]
	v_add_f64 v[48:49], v[131:132], -v[48:49]
	s_delay_alu instid0(VALU_DEP_2) | instskip(SKIP_3) | instid1(VALU_DEP_2)
	v_add_f64 v[24:25], v[24:25], -v[26:27]
	s_waitcnt_depctr 0xfff
	v_fma_f64 v[133:134], -v[28:29], v[30:31], 1.0
	v_add_f64 v[20:21], v[20:21], -v[48:49]
	v_fma_f64 v[30:31], v[133:134], v[30:31], v[30:31]
	s_delay_alu instid0(VALU_DEP_1) | instskip(NEXT) | instid1(VALU_DEP_1)
	v_fma_f64 v[22:23], -v[28:29], v[30:31], 1.0
	v_fma_f64 v[22:23], v[22:23], v[30:31], v[30:31]
	s_delay_alu instid0(VALU_DEP_1) | instskip(NEXT) | instid1(VALU_DEP_1)
	v_mul_f64 v[30:31], v[131:132], v[22:23]
	v_mul_f64 v[133:134], v[28:29], v[30:31]
	s_delay_alu instid0(VALU_DEP_1) | instskip(NEXT) | instid1(VALU_DEP_1)
	v_fma_f64 v[26:27], v[30:31], v[28:29], -v[133:134]
	v_fma_f64 v[26:27], v[30:31], v[24:25], v[26:27]
	s_delay_alu instid0(VALU_DEP_1) | instskip(NEXT) | instid1(VALU_DEP_1)
	v_add_f64 v[144:145], v[133:134], v[26:27]
	v_add_f64 v[146:147], v[131:132], -v[144:145]
	v_add_f64 v[48:49], v[144:145], -v[133:134]
	s_delay_alu instid0(VALU_DEP_2) | instskip(NEXT) | instid1(VALU_DEP_2)
	v_add_f64 v[131:132], v[131:132], -v[146:147]
	v_add_f64 v[26:27], v[48:49], -v[26:27]
	s_delay_alu instid0(VALU_DEP_2) | instskip(NEXT) | instid1(VALU_DEP_1)
	v_add_f64 v[131:132], v[131:132], -v[144:145]
	v_add_f64 v[20:21], v[20:21], v[131:132]
	s_delay_alu instid0(VALU_DEP_1) | instskip(NEXT) | instid1(VALU_DEP_1)
	v_add_f64 v[20:21], v[26:27], v[20:21]
	v_add_f64 v[26:27], v[146:147], v[20:21]
	s_delay_alu instid0(VALU_DEP_1) | instskip(SKIP_1) | instid1(VALU_DEP_2)
	v_mul_f64 v[48:49], v[22:23], v[26:27]
	v_add_f64 v[144:145], v[146:147], -v[26:27]
	v_mul_f64 v[131:132], v[28:29], v[48:49]
	s_delay_alu instid0(VALU_DEP_2) | instskip(NEXT) | instid1(VALU_DEP_2)
	v_add_f64 v[20:21], v[20:21], v[144:145]
	v_fma_f64 v[28:29], v[48:49], v[28:29], -v[131:132]
	s_delay_alu instid0(VALU_DEP_1) | instskip(NEXT) | instid1(VALU_DEP_1)
	v_fma_f64 v[24:25], v[48:49], v[24:25], v[28:29]
	v_add_f64 v[28:29], v[131:132], v[24:25]
	s_delay_alu instid0(VALU_DEP_1) | instskip(SKIP_1) | instid1(VALU_DEP_2)
	v_add_f64 v[133:134], v[26:27], -v[28:29]
	v_add_f64 v[131:132], v[28:29], -v[131:132]
	;; [unrolled: 1-line block ×3, first 2 shown]
	s_delay_alu instid0(VALU_DEP_2) | instskip(NEXT) | instid1(VALU_DEP_2)
	v_add_f64 v[24:25], v[131:132], -v[24:25]
	v_add_f64 v[26:27], v[26:27], -v[28:29]
	s_delay_alu instid0(VALU_DEP_1) | instskip(SKIP_1) | instid1(VALU_DEP_2)
	v_add_f64 v[20:21], v[20:21], v[26:27]
	v_add_f64 v[26:27], v[30:31], v[48:49]
	;; [unrolled: 1-line block ×3, first 2 shown]
	s_delay_alu instid0(VALU_DEP_2) | instskip(NEXT) | instid1(VALU_DEP_2)
	v_add_f64 v[24:25], v[26:27], -v[30:31]
	v_add_f64 v[20:21], v[133:134], v[20:21]
	s_delay_alu instid0(VALU_DEP_2) | instskip(NEXT) | instid1(VALU_DEP_2)
	v_add_f64 v[24:25], v[48:49], -v[24:25]
	v_mul_f64 v[20:21], v[22:23], v[20:21]
	s_delay_alu instid0(VALU_DEP_1) | instskip(NEXT) | instid1(VALU_DEP_1)
	v_add_f64 v[20:21], v[24:25], v[20:21]
	v_add_f64 v[22:23], v[26:27], v[20:21]
	s_delay_alu instid0(VALU_DEP_1) | instskip(NEXT) | instid1(VALU_DEP_1)
	v_mul_f64 v[24:25], v[22:23], v[22:23]
	v_fma_f64 v[28:29], v[24:25], s[20:21], s[18:19]
	s_mov_b32 s18, 0xd7f4df2e
	s_mov_b32 s19, 0x3fc7474d
	v_mul_f64 v[30:31], v[22:23], v[24:25]
	s_delay_alu instid0(VALU_DEP_2)
	v_fma_f64 v[28:29], v[24:25], v[28:29], s[18:19]
	s_mov_b32 s18, 0x16291751
	s_mov_b32 s19, 0x3fcc71c0
	s_delay_alu instid0(VALU_DEP_1) | instid1(SALU_CYCLE_1)
	v_fma_f64 v[28:29], v[24:25], v[28:29], s[18:19]
	s_mov_b32 s18, 0x9b27acf1
	s_mov_b32 s19, 0x3fd24924
	s_delay_alu instid0(VALU_DEP_1) | instid1(SALU_CYCLE_1)
	;; [unrolled: 4-line block ×3, first 2 shown]
	v_fma_f64 v[28:29], v[24:25], v[28:29], s[18:19]
	s_delay_alu instid0(VALU_DEP_1) | instskip(SKIP_3) | instid1(VALU_DEP_4)
	v_fma_f64 v[24:25], v[24:25], v[28:29], s[8:9]
	v_ldexp_f64 v[28:29], v[22:23], 1
	v_add_f64 v[22:23], v[22:23], -v[26:27]
	v_cmp_eq_f64_e64 s8, 0x7ff00000, v[18:19]
	v_mul_f64 v[24:25], v[30:31], v[24:25]
	v_cvt_f64_i32_e32 v[30:31], v148
	s_delay_alu instid0(VALU_DEP_4) | instskip(NEXT) | instid1(VALU_DEP_3)
	v_add_f64 v[20:21], v[20:21], -v[22:23]
	v_add_f64 v[26:27], v[28:29], v[24:25]
	s_delay_alu instid0(VALU_DEP_3) | instskip(NEXT) | instid1(VALU_DEP_3)
	v_mul_f64 v[48:49], v[30:31], s[10:11]
	v_ldexp_f64 v[20:21], v[20:21], 1
	s_delay_alu instid0(VALU_DEP_3) | instskip(NEXT) | instid1(VALU_DEP_3)
	v_add_f64 v[22:23], v[26:27], -v[28:29]
	v_fma_f64 v[28:29], v[30:31], s[10:11], -v[48:49]
	s_delay_alu instid0(VALU_DEP_2) | instskip(NEXT) | instid1(VALU_DEP_2)
	v_add_f64 v[22:23], v[24:25], -v[22:23]
	v_fma_f64 v[24:25], v[30:31], s[12:13], v[28:29]
	s_delay_alu instid0(VALU_DEP_2) | instskip(NEXT) | instid1(VALU_DEP_2)
	v_add_f64 v[20:21], v[20:21], v[22:23]
	v_add_f64 v[22:23], v[48:49], v[24:25]
	s_delay_alu instid0(VALU_DEP_2) | instskip(NEXT) | instid1(VALU_DEP_2)
	v_add_f64 v[28:29], v[26:27], v[20:21]
	v_add_f64 v[48:49], v[22:23], -v[48:49]
	s_delay_alu instid0(VALU_DEP_2) | instskip(SKIP_1) | instid1(VALU_DEP_3)
	v_add_f64 v[30:31], v[22:23], v[28:29]
	v_add_f64 v[26:27], v[28:29], -v[26:27]
	v_add_f64 v[24:25], v[24:25], -v[48:49]
	s_delay_alu instid0(VALU_DEP_3) | instskip(NEXT) | instid1(VALU_DEP_3)
	v_add_f64 v[131:132], v[30:31], -v[22:23]
	v_add_f64 v[20:21], v[20:21], -v[26:27]
	s_delay_alu instid0(VALU_DEP_2) | instskip(SKIP_1) | instid1(VALU_DEP_3)
	v_add_f64 v[133:134], v[30:31], -v[131:132]
	v_add_f64 v[26:27], v[28:29], -v[131:132]
	v_add_f64 v[28:29], v[24:25], v[20:21]
	s_delay_alu instid0(VALU_DEP_3) | instskip(NEXT) | instid1(VALU_DEP_1)
	v_add_f64 v[22:23], v[22:23], -v[133:134]
	v_add_f64 v[22:23], v[26:27], v[22:23]
	s_delay_alu instid0(VALU_DEP_3) | instskip(NEXT) | instid1(VALU_DEP_2)
	v_add_f64 v[26:27], v[28:29], -v[24:25]
	v_add_f64 v[22:23], v[28:29], v[22:23]
	s_delay_alu instid0(VALU_DEP_2) | instskip(SKIP_1) | instid1(VALU_DEP_3)
	v_add_f64 v[28:29], v[28:29], -v[26:27]
	v_add_f64 v[20:21], v[20:21], -v[26:27]
	v_add_f64 v[48:49], v[30:31], v[22:23]
	s_delay_alu instid0(VALU_DEP_3) | instskip(NEXT) | instid1(VALU_DEP_2)
	v_add_f64 v[24:25], v[24:25], -v[28:29]
	v_add_f64 v[26:27], v[48:49], -v[30:31]
	s_delay_alu instid0(VALU_DEP_2) | instskip(NEXT) | instid1(VALU_DEP_2)
	v_add_f64 v[20:21], v[20:21], v[24:25]
	v_add_f64 v[22:23], v[22:23], -v[26:27]
	s_delay_alu instid0(VALU_DEP_1) | instskip(NEXT) | instid1(VALU_DEP_1)
	v_add_f64 v[20:21], v[20:21], v[22:23]
	v_add_f64 v[20:21], v[48:49], v[20:21]
	s_delay_alu instid0(VALU_DEP_1) | instskip(NEXT) | instid1(VALU_DEP_2)
	v_cndmask_b32_e64 v20, v20, v18, s8
	v_cndmask_b32_e64 v21, v21, v19, s8
	v_cmp_ngt_f64_e64 s8, -1.0, v[18:19]
	s_delay_alu instid0(VALU_DEP_1) | instskip(SKIP_1) | instid1(VALU_DEP_1)
	v_cndmask_b32_e64 v21, 0x7ff80000, v21, s8
	v_cmp_nge_f64_e64 s8, -1.0, v[18:19]
	v_cndmask_b32_e64 v20, 0, v20, s8
	v_cmp_neq_f64_e64 s8, -1.0, v[18:19]
	s_delay_alu instid0(VALU_DEP_1) | instskip(NEXT) | instid1(VALU_DEP_1)
	v_cndmask_b32_e64 v21, 0xfff00000, v21, s8
	v_add_f64 v[48:49], v[16:17], v[20:21]
.LBB76_274:
	s_or_b32 exec_lo, exec_lo, s14
	v_max_f64 v[16:17], v[84:85], v[84:85]
	s_delay_alu instid0(VALU_DEP_2) | instskip(SKIP_2) | instid1(VALU_DEP_3)
	v_max_f64 v[18:19], v[48:49], v[48:49]
	v_cmp_u_f64_e64 s9, v[48:49], v[48:49]
	v_cmp_u_f64_e64 s8, v[84:85], v[84:85]
	v_min_f64 v[20:21], v[18:19], v[16:17]
	v_max_f64 v[18:19], v[18:19], v[16:17]
	s_delay_alu instid0(VALU_DEP_2) | instskip(NEXT) | instid1(VALU_DEP_3)
	v_cndmask_b32_e64 v20, v20, v48, s9
	v_cndmask_b32_e64 v21, v21, v49, s9
	s_delay_alu instid0(VALU_DEP_3) | instskip(NEXT) | instid1(VALU_DEP_4)
	v_cndmask_b32_e64 v19, v19, v49, s9
	v_cndmask_b32_e64 v18, v18, v48, s9
	s_delay_alu instid0(VALU_DEP_4) | instskip(NEXT) | instid1(VALU_DEP_4)
	v_cndmask_b32_e64 v20, v20, v84, s8
	v_cndmask_b32_e64 v21, v21, v85, s8
	s_delay_alu instid0(VALU_DEP_4) | instskip(NEXT) | instid1(VALU_DEP_4)
	v_cndmask_b32_e64 v19, v19, v85, s8
	v_cndmask_b32_e64 v18, v18, v84, s8
	s_delay_alu instid0(VALU_DEP_3) | instskip(NEXT) | instid1(VALU_DEP_2)
	v_cmp_class_f64_e64 s10, v[20:21], 0x1f8
	v_cmp_neq_f64_e64 s9, v[20:21], v[18:19]
	s_delay_alu instid0(VALU_DEP_1) | instskip(NEXT) | instid1(SALU_CYCLE_1)
	s_or_b32 s9, s9, s10
	s_and_saveexec_b32 s17, s9
	s_cbranch_execz .LBB76_276
; %bb.275:
	v_add_f64 v[20:21], v[20:21], -v[18:19]
	s_mov_b32 s10, 0x652b82fe
	s_mov_b32 s11, 0x3ff71547
	;; [unrolled: 1-line block ×10, first 2 shown]
	s_delay_alu instid0(VALU_DEP_1) | instskip(SKIP_3) | instid1(VALU_DEP_2)
	v_mul_f64 v[22:23], v[20:21], s[10:11]
	s_mov_b32 s10, 0xfca7ab0c
	s_mov_b32 s11, 0x3e928af3
	v_cmp_nlt_f64_e64 s9, 0x40900000, v[20:21]
	v_rndne_f64_e32 v[22:23], v[22:23]
	s_delay_alu instid0(VALU_DEP_1) | instskip(SKIP_2) | instid1(VALU_DEP_2)
	v_fma_f64 v[24:25], v[22:23], s[12:13], v[20:21]
	v_cvt_i32_f64_e32 v28, v[22:23]
	s_mov_b32 s13, 0x3fe62e42
	v_fma_f64 v[24:25], v[22:23], s[14:15], v[24:25]
	s_mov_b32 s15, 0x3c7abc9e
	s_delay_alu instid0(VALU_DEP_1) | instskip(SKIP_4) | instid1(VALU_DEP_1)
	v_fma_f64 v[26:27], v[24:25], s[18:19], s[10:11]
	s_mov_b32 s10, 0x623fde64
	s_mov_b32 s11, 0x3ec71dee
	;; [unrolled: 1-line block ×4, first 2 shown]
	v_fma_f64 v[26:27], v[24:25], v[26:27], s[10:11]
	s_mov_b32 s10, 0x7c89e6b0
	s_mov_b32 s11, 0x3efa0199
	s_delay_alu instid0(VALU_DEP_1) | instid1(SALU_CYCLE_1)
	v_fma_f64 v[26:27], v[24:25], v[26:27], s[10:11]
	s_mov_b32 s10, 0x14761f6e
	s_mov_b32 s11, 0x3f2a01a0
	s_delay_alu instid0(VALU_DEP_1) | instid1(SALU_CYCLE_1)
	;; [unrolled: 4-line block ×7, first 2 shown]
	v_fma_f64 v[26:27], v[24:25], v[26:27], s[10:11]
	v_cmp_ngt_f64_e64 s10, 0xc090cc00, v[20:21]
	s_mov_b32 s11, 0x3fe55555
	s_delay_alu instid0(VALU_DEP_2) | instskip(NEXT) | instid1(VALU_DEP_1)
	v_fma_f64 v[26:27], v[24:25], v[26:27], 1.0
	v_fma_f64 v[22:23], v[24:25], v[26:27], 1.0
	s_delay_alu instid0(VALU_DEP_1) | instskip(NEXT) | instid1(VALU_DEP_1)
	v_ldexp_f64 v[22:23], v[22:23], v28
	v_cndmask_b32_e64 v23, 0x7ff00000, v23, s9
	s_and_b32 s9, s10, s9
	s_delay_alu instid0(VALU_DEP_2) | instid1(SALU_CYCLE_1)
	v_cndmask_b32_e64 v20, 0, v22, s9
	s_delay_alu instid0(VALU_DEP_2) | instskip(SKIP_1) | instid1(VALU_DEP_1)
	v_cndmask_b32_e64 v21, 0, v23, s10
	s_mov_b32 s10, 0x55555555
	v_add_f64 v[22:23], v[20:21], 1.0
	s_delay_alu instid0(VALU_DEP_1) | instskip(SKIP_2) | instid1(VALU_DEP_3)
	v_frexp_mant_f64_e32 v[24:25], v[22:23]
	v_frexp_exp_i32_f64_e32 v28, v[22:23]
	v_add_f64 v[26:27], v[22:23], -1.0
	v_cmp_gt_f64_e64 s9, s[10:11], v[24:25]
	s_mov_b32 s10, 0x55555780
	s_delay_alu instid0(VALU_DEP_2) | instskip(SKIP_1) | instid1(VALU_DEP_3)
	v_add_f64 v[24:25], v[26:27], -v[22:23]
	v_add_f64 v[26:27], v[20:21], -v[26:27]
	v_subrev_co_ci_u32_e64 v150, s9, 0, v28, s9
	s_delay_alu instid0(VALU_DEP_3) | instskip(SKIP_1) | instid1(VALU_DEP_3)
	v_add_f64 v[24:25], v[24:25], 1.0
	v_cmp_eq_f64_e64 s9, 0x7ff00000, v[20:21]
	v_sub_nc_u32_e32 v30, 0, v150
	s_delay_alu instid0(VALU_DEP_1) | instskip(NEXT) | instid1(VALU_DEP_4)
	v_ldexp_f64 v[22:23], v[22:23], v30
	v_add_f64 v[24:25], v[26:27], v[24:25]
	s_delay_alu instid0(VALU_DEP_2) | instskip(SKIP_1) | instid1(VALU_DEP_3)
	v_add_f64 v[28:29], v[22:23], 1.0
	v_add_f64 v[131:132], v[22:23], -1.0
	v_ldexp_f64 v[24:25], v[24:25], v30
	s_delay_alu instid0(VALU_DEP_3) | instskip(NEXT) | instid1(VALU_DEP_3)
	v_add_f64 v[26:27], v[28:29], -1.0
	v_add_f64 v[133:134], v[131:132], 1.0
	s_delay_alu instid0(VALU_DEP_2) | instskip(NEXT) | instid1(VALU_DEP_2)
	v_add_f64 v[26:27], v[22:23], -v[26:27]
	v_add_f64 v[22:23], v[22:23], -v[133:134]
	s_delay_alu instid0(VALU_DEP_2) | instskip(NEXT) | instid1(VALU_DEP_2)
	v_add_f64 v[26:27], v[24:25], v[26:27]
	v_add_f64 v[22:23], v[24:25], v[22:23]
	s_delay_alu instid0(VALU_DEP_2) | instskip(NEXT) | instid1(VALU_DEP_2)
	v_add_f64 v[30:31], v[28:29], v[26:27]
	v_add_f64 v[133:134], v[131:132], v[22:23]
	s_delay_alu instid0(VALU_DEP_2) | instskip(SKIP_1) | instid1(VALU_DEP_2)
	v_rcp_f64_e32 v[48:49], v[30:31]
	v_add_f64 v[28:29], v[30:31], -v[28:29]
	v_add_f64 v[131:132], v[133:134], -v[131:132]
	s_delay_alu instid0(VALU_DEP_2) | instskip(SKIP_3) | instid1(VALU_DEP_2)
	v_add_f64 v[26:27], v[26:27], -v[28:29]
	s_waitcnt_depctr 0xfff
	v_fma_f64 v[144:145], -v[30:31], v[48:49], 1.0
	v_add_f64 v[22:23], v[22:23], -v[131:132]
	v_fma_f64 v[48:49], v[144:145], v[48:49], v[48:49]
	s_delay_alu instid0(VALU_DEP_1) | instskip(NEXT) | instid1(VALU_DEP_1)
	v_fma_f64 v[24:25], -v[30:31], v[48:49], 1.0
	v_fma_f64 v[24:25], v[24:25], v[48:49], v[48:49]
	s_delay_alu instid0(VALU_DEP_1) | instskip(NEXT) | instid1(VALU_DEP_1)
	v_mul_f64 v[48:49], v[133:134], v[24:25]
	v_mul_f64 v[144:145], v[30:31], v[48:49]
	s_delay_alu instid0(VALU_DEP_1) | instskip(NEXT) | instid1(VALU_DEP_1)
	v_fma_f64 v[28:29], v[48:49], v[30:31], -v[144:145]
	v_fma_f64 v[28:29], v[48:49], v[26:27], v[28:29]
	s_delay_alu instid0(VALU_DEP_1) | instskip(NEXT) | instid1(VALU_DEP_1)
	v_add_f64 v[146:147], v[144:145], v[28:29]
	v_add_f64 v[148:149], v[133:134], -v[146:147]
	v_add_f64 v[131:132], v[146:147], -v[144:145]
	s_delay_alu instid0(VALU_DEP_2) | instskip(NEXT) | instid1(VALU_DEP_2)
	v_add_f64 v[133:134], v[133:134], -v[148:149]
	v_add_f64 v[28:29], v[131:132], -v[28:29]
	s_delay_alu instid0(VALU_DEP_2) | instskip(NEXT) | instid1(VALU_DEP_1)
	v_add_f64 v[133:134], v[133:134], -v[146:147]
	v_add_f64 v[22:23], v[22:23], v[133:134]
	s_delay_alu instid0(VALU_DEP_1) | instskip(NEXT) | instid1(VALU_DEP_1)
	v_add_f64 v[22:23], v[28:29], v[22:23]
	v_add_f64 v[28:29], v[148:149], v[22:23]
	s_delay_alu instid0(VALU_DEP_1) | instskip(SKIP_1) | instid1(VALU_DEP_2)
	v_mul_f64 v[131:132], v[24:25], v[28:29]
	v_add_f64 v[146:147], v[148:149], -v[28:29]
	v_mul_f64 v[133:134], v[30:31], v[131:132]
	s_delay_alu instid0(VALU_DEP_2) | instskip(NEXT) | instid1(VALU_DEP_2)
	v_add_f64 v[22:23], v[22:23], v[146:147]
	v_fma_f64 v[30:31], v[131:132], v[30:31], -v[133:134]
	s_delay_alu instid0(VALU_DEP_1) | instskip(NEXT) | instid1(VALU_DEP_1)
	v_fma_f64 v[26:27], v[131:132], v[26:27], v[30:31]
	v_add_f64 v[30:31], v[133:134], v[26:27]
	s_delay_alu instid0(VALU_DEP_1) | instskip(SKIP_1) | instid1(VALU_DEP_2)
	v_add_f64 v[144:145], v[28:29], -v[30:31]
	v_add_f64 v[133:134], v[30:31], -v[133:134]
	;; [unrolled: 1-line block ×3, first 2 shown]
	s_delay_alu instid0(VALU_DEP_2) | instskip(NEXT) | instid1(VALU_DEP_2)
	v_add_f64 v[26:27], v[133:134], -v[26:27]
	v_add_f64 v[28:29], v[28:29], -v[30:31]
	s_delay_alu instid0(VALU_DEP_1) | instskip(SKIP_1) | instid1(VALU_DEP_2)
	v_add_f64 v[22:23], v[22:23], v[28:29]
	v_add_f64 v[28:29], v[48:49], v[131:132]
	;; [unrolled: 1-line block ×3, first 2 shown]
	s_delay_alu instid0(VALU_DEP_2) | instskip(NEXT) | instid1(VALU_DEP_2)
	v_add_f64 v[26:27], v[28:29], -v[48:49]
	v_add_f64 v[22:23], v[144:145], v[22:23]
	s_delay_alu instid0(VALU_DEP_2) | instskip(NEXT) | instid1(VALU_DEP_2)
	v_add_f64 v[26:27], v[131:132], -v[26:27]
	v_mul_f64 v[22:23], v[24:25], v[22:23]
	s_delay_alu instid0(VALU_DEP_1) | instskip(NEXT) | instid1(VALU_DEP_1)
	v_add_f64 v[22:23], v[26:27], v[22:23]
	v_add_f64 v[24:25], v[28:29], v[22:23]
	s_delay_alu instid0(VALU_DEP_1) | instskip(NEXT) | instid1(VALU_DEP_1)
	v_mul_f64 v[26:27], v[24:25], v[24:25]
	v_fma_f64 v[30:31], v[26:27], s[20:21], s[18:19]
	s_mov_b32 s18, 0xd7f4df2e
	s_mov_b32 s19, 0x3fc7474d
	v_mul_f64 v[48:49], v[24:25], v[26:27]
	s_delay_alu instid0(VALU_DEP_2)
	v_fma_f64 v[30:31], v[26:27], v[30:31], s[18:19]
	s_mov_b32 s18, 0x16291751
	s_mov_b32 s19, 0x3fcc71c0
	s_delay_alu instid0(VALU_DEP_1) | instid1(SALU_CYCLE_1)
	v_fma_f64 v[30:31], v[26:27], v[30:31], s[18:19]
	s_mov_b32 s18, 0x9b27acf1
	s_mov_b32 s19, 0x3fd24924
	s_delay_alu instid0(VALU_DEP_1) | instid1(SALU_CYCLE_1)
	;; [unrolled: 4-line block ×3, first 2 shown]
	v_fma_f64 v[30:31], v[26:27], v[30:31], s[18:19]
	s_delay_alu instid0(VALU_DEP_1) | instskip(SKIP_2) | instid1(VALU_DEP_3)
	v_fma_f64 v[26:27], v[26:27], v[30:31], s[10:11]
	v_ldexp_f64 v[30:31], v[24:25], 1
	v_add_f64 v[24:25], v[24:25], -v[28:29]
	v_mul_f64 v[26:27], v[48:49], v[26:27]
	v_cvt_f64_i32_e32 v[48:49], v150
	s_delay_alu instid0(VALU_DEP_3) | instskip(NEXT) | instid1(VALU_DEP_3)
	v_add_f64 v[22:23], v[22:23], -v[24:25]
	v_add_f64 v[28:29], v[30:31], v[26:27]
	s_delay_alu instid0(VALU_DEP_3) | instskip(NEXT) | instid1(VALU_DEP_3)
	v_mul_f64 v[131:132], v[48:49], s[12:13]
	v_ldexp_f64 v[22:23], v[22:23], 1
	s_delay_alu instid0(VALU_DEP_3) | instskip(NEXT) | instid1(VALU_DEP_3)
	v_add_f64 v[24:25], v[28:29], -v[30:31]
	v_fma_f64 v[30:31], v[48:49], s[12:13], -v[131:132]
	s_delay_alu instid0(VALU_DEP_2) | instskip(NEXT) | instid1(VALU_DEP_2)
	v_add_f64 v[24:25], v[26:27], -v[24:25]
	v_fma_f64 v[26:27], v[48:49], s[14:15], v[30:31]
	s_delay_alu instid0(VALU_DEP_2) | instskip(NEXT) | instid1(VALU_DEP_2)
	v_add_f64 v[22:23], v[22:23], v[24:25]
	v_add_f64 v[24:25], v[131:132], v[26:27]
	s_delay_alu instid0(VALU_DEP_2) | instskip(NEXT) | instid1(VALU_DEP_2)
	v_add_f64 v[30:31], v[28:29], v[22:23]
	v_add_f64 v[131:132], v[24:25], -v[131:132]
	s_delay_alu instid0(VALU_DEP_2) | instskip(SKIP_1) | instid1(VALU_DEP_3)
	v_add_f64 v[48:49], v[24:25], v[30:31]
	v_add_f64 v[28:29], v[30:31], -v[28:29]
	v_add_f64 v[26:27], v[26:27], -v[131:132]
	s_delay_alu instid0(VALU_DEP_3) | instskip(NEXT) | instid1(VALU_DEP_3)
	v_add_f64 v[133:134], v[48:49], -v[24:25]
	v_add_f64 v[22:23], v[22:23], -v[28:29]
	s_delay_alu instid0(VALU_DEP_2) | instskip(SKIP_1) | instid1(VALU_DEP_3)
	v_add_f64 v[144:145], v[48:49], -v[133:134]
	v_add_f64 v[28:29], v[30:31], -v[133:134]
	v_add_f64 v[30:31], v[26:27], v[22:23]
	s_delay_alu instid0(VALU_DEP_3) | instskip(NEXT) | instid1(VALU_DEP_1)
	v_add_f64 v[24:25], v[24:25], -v[144:145]
	v_add_f64 v[24:25], v[28:29], v[24:25]
	s_delay_alu instid0(VALU_DEP_3) | instskip(NEXT) | instid1(VALU_DEP_2)
	v_add_f64 v[28:29], v[30:31], -v[26:27]
	v_add_f64 v[24:25], v[30:31], v[24:25]
	s_delay_alu instid0(VALU_DEP_2) | instskip(SKIP_1) | instid1(VALU_DEP_3)
	v_add_f64 v[30:31], v[30:31], -v[28:29]
	v_add_f64 v[22:23], v[22:23], -v[28:29]
	v_add_f64 v[131:132], v[48:49], v[24:25]
	s_delay_alu instid0(VALU_DEP_3) | instskip(NEXT) | instid1(VALU_DEP_2)
	v_add_f64 v[26:27], v[26:27], -v[30:31]
	v_add_f64 v[28:29], v[131:132], -v[48:49]
	s_delay_alu instid0(VALU_DEP_2) | instskip(NEXT) | instid1(VALU_DEP_2)
	v_add_f64 v[22:23], v[22:23], v[26:27]
	v_add_f64 v[24:25], v[24:25], -v[28:29]
	s_delay_alu instid0(VALU_DEP_1) | instskip(NEXT) | instid1(VALU_DEP_1)
	v_add_f64 v[22:23], v[22:23], v[24:25]
	v_add_f64 v[22:23], v[131:132], v[22:23]
	s_delay_alu instid0(VALU_DEP_1) | instskip(NEXT) | instid1(VALU_DEP_2)
	v_cndmask_b32_e64 v22, v22, v20, s9
	v_cndmask_b32_e64 v23, v23, v21, s9
	v_cmp_ngt_f64_e64 s9, -1.0, v[20:21]
	s_delay_alu instid0(VALU_DEP_1) | instskip(SKIP_1) | instid1(VALU_DEP_1)
	v_cndmask_b32_e64 v23, 0x7ff80000, v23, s9
	v_cmp_nge_f64_e64 s9, -1.0, v[20:21]
	v_cndmask_b32_e64 v22, 0, v22, s9
	v_cmp_neq_f64_e64 s9, -1.0, v[20:21]
	s_delay_alu instid0(VALU_DEP_1) | instskip(NEXT) | instid1(VALU_DEP_1)
	v_cndmask_b32_e64 v23, 0xfff00000, v23, s9
	v_add_f64 v[48:49], v[18:19], v[22:23]
.LBB76_276:
	s_or_b32 exec_lo, exec_lo, s17
	v_max_f64 v[18:19], v[86:87], v[86:87]
	s_delay_alu instid0(VALU_DEP_2) | instskip(SKIP_2) | instid1(VALU_DEP_3)
	v_max_f64 v[20:21], v[48:49], v[48:49]
	v_cmp_u_f64_e64 s10, v[48:49], v[48:49]
	v_cmp_u_f64_e64 s9, v[86:87], v[86:87]
	v_min_f64 v[22:23], v[20:21], v[18:19]
	v_max_f64 v[20:21], v[20:21], v[18:19]
	s_delay_alu instid0(VALU_DEP_2) | instskip(NEXT) | instid1(VALU_DEP_3)
	v_cndmask_b32_e64 v22, v22, v48, s10
	v_cndmask_b32_e64 v23, v23, v49, s10
	s_delay_alu instid0(VALU_DEP_3) | instskip(NEXT) | instid1(VALU_DEP_4)
	v_cndmask_b32_e64 v21, v21, v49, s10
	v_cndmask_b32_e64 v20, v20, v48, s10
	s_delay_alu instid0(VALU_DEP_4) | instskip(NEXT) | instid1(VALU_DEP_4)
	v_cndmask_b32_e64 v22, v22, v86, s9
	v_cndmask_b32_e64 v23, v23, v87, s9
	s_delay_alu instid0(VALU_DEP_4) | instskip(NEXT) | instid1(VALU_DEP_4)
	v_cndmask_b32_e64 v21, v21, v87, s9
	v_cndmask_b32_e64 v20, v20, v86, s9
	s_delay_alu instid0(VALU_DEP_3) | instskip(NEXT) | instid1(VALU_DEP_2)
	v_cmp_class_f64_e64 s11, v[22:23], 0x1f8
	v_cmp_neq_f64_e64 s10, v[22:23], v[20:21]
	s_delay_alu instid0(VALU_DEP_1) | instskip(NEXT) | instid1(SALU_CYCLE_1)
	s_or_b32 s10, s10, s11
	s_and_saveexec_b32 s17, s10
	s_cbranch_execz .LBB76_278
; %bb.277:
	v_add_f64 v[22:23], v[22:23], -v[20:21]
	s_mov_b32 s10, 0x652b82fe
	s_mov_b32 s11, 0x3ff71547
	s_mov_b32 s13, 0xbfe62e42
	s_mov_b32 s12, 0xfefa39ef
	s_mov_b32 s15, 0xbc7abc9e
	s_mov_b32 s14, 0x3b39803f
	s_mov_b32 s18, 0x6a5dcb37
	s_mov_b32 s19, 0x3e5ade15
	s_mov_b32 s20, 0xbf559e2b
	s_mov_b32 s21, 0x3fc3ab76
	s_delay_alu instid0(VALU_DEP_1) | instskip(SKIP_2) | instid1(VALU_DEP_1)
	v_mul_f64 v[24:25], v[22:23], s[10:11]
	s_mov_b32 s10, 0xfca7ab0c
	s_mov_b32 s11, 0x3e928af3
	v_rndne_f64_e32 v[24:25], v[24:25]
	s_delay_alu instid0(VALU_DEP_1) | instskip(SKIP_2) | instid1(VALU_DEP_2)
	v_fma_f64 v[26:27], v[24:25], s[12:13], v[22:23]
	v_cvt_i32_f64_e32 v30, v[24:25]
	s_mov_b32 s13, 0x3fe62e42
	v_fma_f64 v[26:27], v[24:25], s[14:15], v[26:27]
	s_mov_b32 s15, 0x3c7abc9e
	s_delay_alu instid0(VALU_DEP_1) | instskip(SKIP_4) | instid1(VALU_DEP_1)
	v_fma_f64 v[28:29], v[26:27], s[18:19], s[10:11]
	s_mov_b32 s10, 0x623fde64
	s_mov_b32 s11, 0x3ec71dee
	;; [unrolled: 1-line block ×4, first 2 shown]
	v_fma_f64 v[28:29], v[26:27], v[28:29], s[10:11]
	s_mov_b32 s10, 0x7c89e6b0
	s_mov_b32 s11, 0x3efa0199
	s_delay_alu instid0(VALU_DEP_1) | instid1(SALU_CYCLE_1)
	v_fma_f64 v[28:29], v[26:27], v[28:29], s[10:11]
	s_mov_b32 s10, 0x14761f6e
	s_mov_b32 s11, 0x3f2a01a0
	s_delay_alu instid0(VALU_DEP_1) | instid1(SALU_CYCLE_1)
	v_fma_f64 v[28:29], v[26:27], v[28:29], s[10:11]
	s_mov_b32 s10, 0x1852b7b0
	s_mov_b32 s11, 0x3f56c16c
	s_delay_alu instid0(VALU_DEP_1) | instid1(SALU_CYCLE_1)
	v_fma_f64 v[28:29], v[26:27], v[28:29], s[10:11]
	s_mov_b32 s10, 0x11122322
	s_mov_b32 s11, 0x3f811111
	s_delay_alu instid0(VALU_DEP_1) | instid1(SALU_CYCLE_1)
	v_fma_f64 v[28:29], v[26:27], v[28:29], s[10:11]
	s_mov_b32 s10, 0x555502a1
	s_mov_b32 s11, 0x3fa55555
	s_delay_alu instid0(VALU_DEP_1) | instid1(SALU_CYCLE_1)
	v_fma_f64 v[28:29], v[26:27], v[28:29], s[10:11]
	s_mov_b32 s10, 0x55555511
	s_mov_b32 s11, 0x3fc55555
	s_delay_alu instid0(VALU_DEP_1) | instid1(SALU_CYCLE_1)
	v_fma_f64 v[28:29], v[26:27], v[28:29], s[10:11]
	s_mov_b32 s10, 11
	s_mov_b32 s11, 0x3fe00000
	s_delay_alu instid0(VALU_DEP_1) | instid1(SALU_CYCLE_1)
	v_fma_f64 v[28:29], v[26:27], v[28:29], s[10:11]
	v_cmp_nlt_f64_e64 s10, 0x40900000, v[22:23]
	v_cmp_ngt_f64_e64 s11, 0xc090cc00, v[22:23]
	s_delay_alu instid0(VALU_DEP_3) | instskip(NEXT) | instid1(VALU_DEP_1)
	v_fma_f64 v[28:29], v[26:27], v[28:29], 1.0
	v_fma_f64 v[24:25], v[26:27], v[28:29], 1.0
	s_delay_alu instid0(VALU_DEP_1) | instskip(NEXT) | instid1(VALU_DEP_1)
	v_ldexp_f64 v[24:25], v[24:25], v30
	v_cndmask_b32_e64 v25, 0x7ff00000, v25, s10
	s_and_b32 s10, s11, s10
	s_delay_alu instid0(VALU_DEP_2) | instid1(SALU_CYCLE_1)
	v_cndmask_b32_e64 v22, 0, v24, s10
	s_mov_b32 s10, 0x55555555
	s_delay_alu instid0(VALU_DEP_2) | instskip(SKIP_1) | instid1(VALU_DEP_1)
	v_cndmask_b32_e64 v23, 0, v25, s11
	s_mov_b32 s11, 0x3fe55555
	v_add_f64 v[24:25], v[22:23], 1.0
	s_delay_alu instid0(VALU_DEP_1) | instskip(SKIP_2) | instid1(VALU_DEP_3)
	v_frexp_mant_f64_e32 v[26:27], v[24:25]
	v_frexp_exp_i32_f64_e32 v30, v[24:25]
	v_add_f64 v[28:29], v[24:25], -1.0
	v_cmp_gt_f64_e64 s10, s[10:11], v[26:27]
	s_delay_alu instid0(VALU_DEP_2) | instskip(SKIP_1) | instid1(VALU_DEP_3)
	v_add_f64 v[26:27], v[28:29], -v[24:25]
	v_add_f64 v[28:29], v[22:23], -v[28:29]
	v_subrev_co_ci_u32_e64 v160, s10, 0, v30, s10
	s_delay_alu instid0(VALU_DEP_3) | instskip(SKIP_1) | instid1(VALU_DEP_2)
	v_add_f64 v[26:27], v[26:27], 1.0
	s_mov_b32 s10, 0x55555780
	v_sub_nc_u32_e32 v48, 0, v160
	s_delay_alu instid0(VALU_DEP_1) | instskip(NEXT) | instid1(VALU_DEP_3)
	v_ldexp_f64 v[24:25], v[24:25], v48
	v_add_f64 v[26:27], v[28:29], v[26:27]
	s_delay_alu instid0(VALU_DEP_2) | instskip(SKIP_1) | instid1(VALU_DEP_3)
	v_add_f64 v[30:31], v[24:25], 1.0
	v_add_f64 v[133:134], v[24:25], -1.0
	v_ldexp_f64 v[26:27], v[26:27], v48
	s_delay_alu instid0(VALU_DEP_3) | instskip(NEXT) | instid1(VALU_DEP_3)
	v_add_f64 v[28:29], v[30:31], -1.0
	v_add_f64 v[144:145], v[133:134], 1.0
	s_delay_alu instid0(VALU_DEP_2) | instskip(NEXT) | instid1(VALU_DEP_2)
	v_add_f64 v[28:29], v[24:25], -v[28:29]
	v_add_f64 v[24:25], v[24:25], -v[144:145]
	s_delay_alu instid0(VALU_DEP_2) | instskip(NEXT) | instid1(VALU_DEP_2)
	v_add_f64 v[28:29], v[26:27], v[28:29]
	v_add_f64 v[24:25], v[26:27], v[24:25]
	s_delay_alu instid0(VALU_DEP_2) | instskip(NEXT) | instid1(VALU_DEP_2)
	v_add_f64 v[48:49], v[30:31], v[28:29]
	v_add_f64 v[144:145], v[133:134], v[24:25]
	s_delay_alu instid0(VALU_DEP_2) | instskip(SKIP_1) | instid1(VALU_DEP_2)
	v_rcp_f64_e32 v[131:132], v[48:49]
	v_add_f64 v[30:31], v[48:49], -v[30:31]
	v_add_f64 v[133:134], v[144:145], -v[133:134]
	s_delay_alu instid0(VALU_DEP_2) | instskip(SKIP_3) | instid1(VALU_DEP_2)
	v_add_f64 v[28:29], v[28:29], -v[30:31]
	s_waitcnt_depctr 0xfff
	v_fma_f64 v[146:147], -v[48:49], v[131:132], 1.0
	v_add_f64 v[24:25], v[24:25], -v[133:134]
	v_fma_f64 v[131:132], v[146:147], v[131:132], v[131:132]
	s_delay_alu instid0(VALU_DEP_1) | instskip(NEXT) | instid1(VALU_DEP_1)
	v_fma_f64 v[26:27], -v[48:49], v[131:132], 1.0
	v_fma_f64 v[26:27], v[26:27], v[131:132], v[131:132]
	s_delay_alu instid0(VALU_DEP_1) | instskip(NEXT) | instid1(VALU_DEP_1)
	v_mul_f64 v[131:132], v[144:145], v[26:27]
	v_mul_f64 v[146:147], v[48:49], v[131:132]
	s_delay_alu instid0(VALU_DEP_1) | instskip(NEXT) | instid1(VALU_DEP_1)
	v_fma_f64 v[30:31], v[131:132], v[48:49], -v[146:147]
	v_fma_f64 v[30:31], v[131:132], v[28:29], v[30:31]
	s_delay_alu instid0(VALU_DEP_1) | instskip(NEXT) | instid1(VALU_DEP_1)
	v_add_f64 v[148:149], v[146:147], v[30:31]
	v_add_f64 v[150:151], v[144:145], -v[148:149]
	v_add_f64 v[133:134], v[148:149], -v[146:147]
	s_delay_alu instid0(VALU_DEP_2) | instskip(NEXT) | instid1(VALU_DEP_2)
	v_add_f64 v[144:145], v[144:145], -v[150:151]
	v_add_f64 v[30:31], v[133:134], -v[30:31]
	s_delay_alu instid0(VALU_DEP_2) | instskip(NEXT) | instid1(VALU_DEP_1)
	v_add_f64 v[144:145], v[144:145], -v[148:149]
	v_add_f64 v[24:25], v[24:25], v[144:145]
	s_delay_alu instid0(VALU_DEP_1) | instskip(NEXT) | instid1(VALU_DEP_1)
	v_add_f64 v[24:25], v[30:31], v[24:25]
	v_add_f64 v[30:31], v[150:151], v[24:25]
	s_delay_alu instid0(VALU_DEP_1) | instskip(SKIP_1) | instid1(VALU_DEP_2)
	v_mul_f64 v[133:134], v[26:27], v[30:31]
	v_add_f64 v[148:149], v[150:151], -v[30:31]
	v_mul_f64 v[144:145], v[48:49], v[133:134]
	s_delay_alu instid0(VALU_DEP_2) | instskip(NEXT) | instid1(VALU_DEP_2)
	v_add_f64 v[24:25], v[24:25], v[148:149]
	v_fma_f64 v[48:49], v[133:134], v[48:49], -v[144:145]
	s_delay_alu instid0(VALU_DEP_1) | instskip(NEXT) | instid1(VALU_DEP_1)
	v_fma_f64 v[28:29], v[133:134], v[28:29], v[48:49]
	v_add_f64 v[48:49], v[144:145], v[28:29]
	s_delay_alu instid0(VALU_DEP_1) | instskip(SKIP_1) | instid1(VALU_DEP_2)
	v_add_f64 v[146:147], v[30:31], -v[48:49]
	v_add_f64 v[144:145], v[48:49], -v[144:145]
	v_add_f64 v[30:31], v[30:31], -v[146:147]
	s_delay_alu instid0(VALU_DEP_2) | instskip(NEXT) | instid1(VALU_DEP_2)
	v_add_f64 v[28:29], v[144:145], -v[28:29]
	v_add_f64 v[30:31], v[30:31], -v[48:49]
	s_delay_alu instid0(VALU_DEP_1) | instskip(SKIP_1) | instid1(VALU_DEP_2)
	v_add_f64 v[24:25], v[24:25], v[30:31]
	v_add_f64 v[30:31], v[131:132], v[133:134]
	;; [unrolled: 1-line block ×3, first 2 shown]
	s_delay_alu instid0(VALU_DEP_2) | instskip(NEXT) | instid1(VALU_DEP_2)
	v_add_f64 v[28:29], v[30:31], -v[131:132]
	v_add_f64 v[24:25], v[146:147], v[24:25]
	s_delay_alu instid0(VALU_DEP_2) | instskip(NEXT) | instid1(VALU_DEP_2)
	v_add_f64 v[28:29], v[133:134], -v[28:29]
	v_mul_f64 v[24:25], v[26:27], v[24:25]
	s_delay_alu instid0(VALU_DEP_1) | instskip(NEXT) | instid1(VALU_DEP_1)
	v_add_f64 v[24:25], v[28:29], v[24:25]
	v_add_f64 v[26:27], v[30:31], v[24:25]
	s_delay_alu instid0(VALU_DEP_1) | instskip(NEXT) | instid1(VALU_DEP_1)
	v_mul_f64 v[28:29], v[26:27], v[26:27]
	v_fma_f64 v[48:49], v[28:29], s[20:21], s[18:19]
	s_mov_b32 s18, 0xd7f4df2e
	s_mov_b32 s19, 0x3fc7474d
	v_mul_f64 v[131:132], v[26:27], v[28:29]
	s_delay_alu instid0(VALU_DEP_2)
	v_fma_f64 v[48:49], v[28:29], v[48:49], s[18:19]
	s_mov_b32 s18, 0x16291751
	s_mov_b32 s19, 0x3fcc71c0
	s_delay_alu instid0(VALU_DEP_1) | instid1(SALU_CYCLE_1)
	v_fma_f64 v[48:49], v[28:29], v[48:49], s[18:19]
	s_mov_b32 s18, 0x9b27acf1
	s_mov_b32 s19, 0x3fd24924
	s_delay_alu instid0(VALU_DEP_1) | instid1(SALU_CYCLE_1)
	;; [unrolled: 4-line block ×3, first 2 shown]
	v_fma_f64 v[48:49], v[28:29], v[48:49], s[18:19]
	s_delay_alu instid0(VALU_DEP_1) | instskip(SKIP_3) | instid1(VALU_DEP_4)
	v_fma_f64 v[28:29], v[28:29], v[48:49], s[10:11]
	v_ldexp_f64 v[48:49], v[26:27], 1
	v_add_f64 v[26:27], v[26:27], -v[30:31]
	v_cmp_eq_f64_e64 s10, 0x7ff00000, v[22:23]
	v_mul_f64 v[28:29], v[131:132], v[28:29]
	v_cvt_f64_i32_e32 v[131:132], v160
	s_delay_alu instid0(VALU_DEP_4) | instskip(NEXT) | instid1(VALU_DEP_3)
	v_add_f64 v[24:25], v[24:25], -v[26:27]
	v_add_f64 v[30:31], v[48:49], v[28:29]
	s_delay_alu instid0(VALU_DEP_3) | instskip(NEXT) | instid1(VALU_DEP_3)
	v_mul_f64 v[133:134], v[131:132], s[12:13]
	v_ldexp_f64 v[24:25], v[24:25], 1
	s_delay_alu instid0(VALU_DEP_3) | instskip(NEXT) | instid1(VALU_DEP_3)
	v_add_f64 v[26:27], v[30:31], -v[48:49]
	v_fma_f64 v[48:49], v[131:132], s[12:13], -v[133:134]
	s_delay_alu instid0(VALU_DEP_2) | instskip(NEXT) | instid1(VALU_DEP_2)
	v_add_f64 v[26:27], v[28:29], -v[26:27]
	v_fma_f64 v[28:29], v[131:132], s[14:15], v[48:49]
	s_delay_alu instid0(VALU_DEP_2) | instskip(NEXT) | instid1(VALU_DEP_2)
	v_add_f64 v[24:25], v[24:25], v[26:27]
	v_add_f64 v[26:27], v[133:134], v[28:29]
	s_delay_alu instid0(VALU_DEP_2) | instskip(NEXT) | instid1(VALU_DEP_2)
	v_add_f64 v[48:49], v[30:31], v[24:25]
	v_add_f64 v[133:134], v[26:27], -v[133:134]
	s_delay_alu instid0(VALU_DEP_2) | instskip(SKIP_1) | instid1(VALU_DEP_3)
	v_add_f64 v[131:132], v[26:27], v[48:49]
	v_add_f64 v[30:31], v[48:49], -v[30:31]
	v_add_f64 v[28:29], v[28:29], -v[133:134]
	s_delay_alu instid0(VALU_DEP_3) | instskip(NEXT) | instid1(VALU_DEP_3)
	v_add_f64 v[144:145], v[131:132], -v[26:27]
	v_add_f64 v[24:25], v[24:25], -v[30:31]
	s_delay_alu instid0(VALU_DEP_2) | instskip(SKIP_1) | instid1(VALU_DEP_3)
	v_add_f64 v[146:147], v[131:132], -v[144:145]
	v_add_f64 v[30:31], v[48:49], -v[144:145]
	v_add_f64 v[48:49], v[28:29], v[24:25]
	s_delay_alu instid0(VALU_DEP_3) | instskip(NEXT) | instid1(VALU_DEP_1)
	v_add_f64 v[26:27], v[26:27], -v[146:147]
	v_add_f64 v[26:27], v[30:31], v[26:27]
	s_delay_alu instid0(VALU_DEP_3) | instskip(NEXT) | instid1(VALU_DEP_2)
	v_add_f64 v[30:31], v[48:49], -v[28:29]
	v_add_f64 v[26:27], v[48:49], v[26:27]
	s_delay_alu instid0(VALU_DEP_2) | instskip(SKIP_1) | instid1(VALU_DEP_3)
	v_add_f64 v[48:49], v[48:49], -v[30:31]
	v_add_f64 v[24:25], v[24:25], -v[30:31]
	v_add_f64 v[133:134], v[131:132], v[26:27]
	s_delay_alu instid0(VALU_DEP_3) | instskip(NEXT) | instid1(VALU_DEP_2)
	v_add_f64 v[28:29], v[28:29], -v[48:49]
	v_add_f64 v[30:31], v[133:134], -v[131:132]
	s_delay_alu instid0(VALU_DEP_2) | instskip(NEXT) | instid1(VALU_DEP_2)
	v_add_f64 v[24:25], v[24:25], v[28:29]
	v_add_f64 v[26:27], v[26:27], -v[30:31]
	s_delay_alu instid0(VALU_DEP_1) | instskip(NEXT) | instid1(VALU_DEP_1)
	v_add_f64 v[24:25], v[24:25], v[26:27]
	v_add_f64 v[24:25], v[133:134], v[24:25]
	s_delay_alu instid0(VALU_DEP_1) | instskip(NEXT) | instid1(VALU_DEP_2)
	v_cndmask_b32_e64 v24, v24, v22, s10
	v_cndmask_b32_e64 v25, v25, v23, s10
	v_cmp_ngt_f64_e64 s10, -1.0, v[22:23]
	s_delay_alu instid0(VALU_DEP_1) | instskip(SKIP_1) | instid1(VALU_DEP_1)
	v_cndmask_b32_e64 v25, 0x7ff80000, v25, s10
	v_cmp_nge_f64_e64 s10, -1.0, v[22:23]
	v_cndmask_b32_e64 v24, 0, v24, s10
	v_cmp_neq_f64_e64 s10, -1.0, v[22:23]
	s_delay_alu instid0(VALU_DEP_1) | instskip(NEXT) | instid1(VALU_DEP_1)
	v_cndmask_b32_e64 v25, 0xfff00000, v25, s10
	v_add_f64 v[48:49], v[20:21], v[24:25]
.LBB76_278:
	s_or_b32 exec_lo, exec_lo, s17
	v_max_f64 v[20:21], v[80:81], v[80:81]
	s_delay_alu instid0(VALU_DEP_2) | instskip(SKIP_2) | instid1(VALU_DEP_3)
	v_max_f64 v[22:23], v[48:49], v[48:49]
	v_cmp_u_f64_e64 s11, v[48:49], v[48:49]
	v_cmp_u_f64_e64 s10, v[80:81], v[80:81]
	v_min_f64 v[24:25], v[22:23], v[20:21]
	v_max_f64 v[22:23], v[22:23], v[20:21]
	s_delay_alu instid0(VALU_DEP_2) | instskip(NEXT) | instid1(VALU_DEP_3)
	v_cndmask_b32_e64 v24, v24, v48, s11
	v_cndmask_b32_e64 v25, v25, v49, s11
	s_delay_alu instid0(VALU_DEP_3) | instskip(NEXT) | instid1(VALU_DEP_4)
	v_cndmask_b32_e64 v23, v23, v49, s11
	v_cndmask_b32_e64 v22, v22, v48, s11
	s_delay_alu instid0(VALU_DEP_4) | instskip(NEXT) | instid1(VALU_DEP_4)
	v_cndmask_b32_e64 v24, v24, v80, s10
	v_cndmask_b32_e64 v25, v25, v81, s10
	s_delay_alu instid0(VALU_DEP_4) | instskip(NEXT) | instid1(VALU_DEP_4)
	v_cndmask_b32_e64 v23, v23, v81, s10
	v_cndmask_b32_e64 v22, v22, v80, s10
	s_delay_alu instid0(VALU_DEP_3) | instskip(NEXT) | instid1(VALU_DEP_2)
	v_cmp_class_f64_e64 s12, v[24:25], 0x1f8
	v_cmp_neq_f64_e64 s11, v[24:25], v[22:23]
	s_delay_alu instid0(VALU_DEP_1) | instskip(NEXT) | instid1(SALU_CYCLE_1)
	s_or_b32 s11, s11, s12
	s_and_saveexec_b32 s17, s11
	s_cbranch_execz .LBB76_280
; %bb.279:
	v_add_f64 v[24:25], v[24:25], -v[22:23]
	s_mov_b32 s12, 0x652b82fe
	s_mov_b32 s13, 0x3ff71547
	;; [unrolled: 1-line block ×10, first 2 shown]
	s_delay_alu instid0(VALU_DEP_1) | instskip(SKIP_3) | instid1(VALU_DEP_2)
	v_mul_f64 v[26:27], v[24:25], s[12:13]
	s_mov_b32 s12, 0xfca7ab0c
	s_mov_b32 s13, 0x3e928af3
	v_cmp_nlt_f64_e64 s11, 0x40900000, v[24:25]
	v_rndne_f64_e32 v[26:27], v[26:27]
	s_delay_alu instid0(VALU_DEP_1) | instskip(SKIP_2) | instid1(VALU_DEP_2)
	v_fma_f64 v[28:29], v[26:27], s[14:15], v[24:25]
	v_cvt_i32_f64_e32 v48, v[26:27]
	s_mov_b32 s15, 0x3fe62e42
	v_fma_f64 v[28:29], v[26:27], s[18:19], v[28:29]
	s_mov_b32 s19, 0x3c7abc9e
	s_delay_alu instid0(VALU_DEP_1) | instskip(SKIP_4) | instid1(VALU_DEP_1)
	v_fma_f64 v[30:31], v[28:29], s[20:21], s[12:13]
	s_mov_b32 s12, 0x623fde64
	s_mov_b32 s13, 0x3ec71dee
	;; [unrolled: 1-line block ×4, first 2 shown]
	v_fma_f64 v[30:31], v[28:29], v[30:31], s[12:13]
	s_mov_b32 s12, 0x7c89e6b0
	s_mov_b32 s13, 0x3efa0199
	s_delay_alu instid0(VALU_DEP_1) | instid1(SALU_CYCLE_1)
	v_fma_f64 v[30:31], v[28:29], v[30:31], s[12:13]
	s_mov_b32 s12, 0x14761f6e
	s_mov_b32 s13, 0x3f2a01a0
	s_delay_alu instid0(VALU_DEP_1) | instid1(SALU_CYCLE_1)
	;; [unrolled: 4-line block ×7, first 2 shown]
	v_fma_f64 v[30:31], v[28:29], v[30:31], s[12:13]
	v_cmp_ngt_f64_e64 s12, 0xc090cc00, v[24:25]
	s_mov_b32 s13, 0x3fe55555
	s_delay_alu instid0(VALU_DEP_2) | instskip(NEXT) | instid1(VALU_DEP_1)
	v_fma_f64 v[30:31], v[28:29], v[30:31], 1.0
	v_fma_f64 v[26:27], v[28:29], v[30:31], 1.0
	s_delay_alu instid0(VALU_DEP_1) | instskip(NEXT) | instid1(VALU_DEP_1)
	v_ldexp_f64 v[26:27], v[26:27], v48
	v_cndmask_b32_e64 v27, 0x7ff00000, v27, s11
	s_and_b32 s11, s12, s11
	s_delay_alu instid0(VALU_DEP_2) | instid1(SALU_CYCLE_1)
	v_cndmask_b32_e64 v24, 0, v26, s11
	s_delay_alu instid0(VALU_DEP_2) | instskip(SKIP_1) | instid1(VALU_DEP_1)
	v_cndmask_b32_e64 v25, 0, v27, s12
	s_mov_b32 s12, 0x55555555
	v_add_f64 v[26:27], v[24:25], 1.0
	s_delay_alu instid0(VALU_DEP_1) | instskip(SKIP_2) | instid1(VALU_DEP_3)
	v_frexp_mant_f64_e32 v[28:29], v[26:27]
	v_frexp_exp_i32_f64_e32 v48, v[26:27]
	v_add_f64 v[30:31], v[26:27], -1.0
	v_cmp_gt_f64_e64 s11, s[12:13], v[28:29]
	s_mov_b32 s12, 0x55555780
	s_delay_alu instid0(VALU_DEP_2) | instskip(SKIP_1) | instid1(VALU_DEP_3)
	v_add_f64 v[28:29], v[30:31], -v[26:27]
	v_add_f64 v[30:31], v[24:25], -v[30:31]
	v_subrev_co_ci_u32_e64 v162, s11, 0, v48, s11
	s_delay_alu instid0(VALU_DEP_3) | instskip(SKIP_1) | instid1(VALU_DEP_3)
	v_add_f64 v[28:29], v[28:29], 1.0
	v_cmp_eq_f64_e64 s11, 0x7ff00000, v[24:25]
	v_sub_nc_u32_e32 v131, 0, v162
	s_delay_alu instid0(VALU_DEP_1) | instskip(NEXT) | instid1(VALU_DEP_4)
	v_ldexp_f64 v[26:27], v[26:27], v131
	v_add_f64 v[28:29], v[30:31], v[28:29]
	s_delay_alu instid0(VALU_DEP_2) | instskip(SKIP_1) | instid1(VALU_DEP_3)
	v_add_f64 v[48:49], v[26:27], 1.0
	v_add_f64 v[144:145], v[26:27], -1.0
	v_ldexp_f64 v[28:29], v[28:29], v131
	s_delay_alu instid0(VALU_DEP_3) | instskip(NEXT) | instid1(VALU_DEP_3)
	v_add_f64 v[30:31], v[48:49], -1.0
	v_add_f64 v[146:147], v[144:145], 1.0
	s_delay_alu instid0(VALU_DEP_2) | instskip(NEXT) | instid1(VALU_DEP_2)
	v_add_f64 v[30:31], v[26:27], -v[30:31]
	v_add_f64 v[26:27], v[26:27], -v[146:147]
	s_delay_alu instid0(VALU_DEP_2) | instskip(NEXT) | instid1(VALU_DEP_2)
	v_add_f64 v[30:31], v[28:29], v[30:31]
	v_add_f64 v[26:27], v[28:29], v[26:27]
	s_delay_alu instid0(VALU_DEP_2) | instskip(NEXT) | instid1(VALU_DEP_2)
	v_add_f64 v[131:132], v[48:49], v[30:31]
	v_add_f64 v[146:147], v[144:145], v[26:27]
	s_delay_alu instid0(VALU_DEP_2) | instskip(SKIP_1) | instid1(VALU_DEP_2)
	v_rcp_f64_e32 v[133:134], v[131:132]
	v_add_f64 v[48:49], v[131:132], -v[48:49]
	v_add_f64 v[144:145], v[146:147], -v[144:145]
	s_delay_alu instid0(VALU_DEP_2) | instskip(SKIP_3) | instid1(VALU_DEP_2)
	v_add_f64 v[30:31], v[30:31], -v[48:49]
	s_waitcnt_depctr 0xfff
	v_fma_f64 v[148:149], -v[131:132], v[133:134], 1.0
	v_add_f64 v[26:27], v[26:27], -v[144:145]
	v_fma_f64 v[133:134], v[148:149], v[133:134], v[133:134]
	s_delay_alu instid0(VALU_DEP_1) | instskip(NEXT) | instid1(VALU_DEP_1)
	v_fma_f64 v[28:29], -v[131:132], v[133:134], 1.0
	v_fma_f64 v[28:29], v[28:29], v[133:134], v[133:134]
	s_delay_alu instid0(VALU_DEP_1) | instskip(NEXT) | instid1(VALU_DEP_1)
	v_mul_f64 v[133:134], v[146:147], v[28:29]
	v_mul_f64 v[148:149], v[131:132], v[133:134]
	s_delay_alu instid0(VALU_DEP_1) | instskip(NEXT) | instid1(VALU_DEP_1)
	v_fma_f64 v[48:49], v[133:134], v[131:132], -v[148:149]
	v_fma_f64 v[48:49], v[133:134], v[30:31], v[48:49]
	s_delay_alu instid0(VALU_DEP_1) | instskip(NEXT) | instid1(VALU_DEP_1)
	v_add_f64 v[150:151], v[148:149], v[48:49]
	v_add_f64 v[160:161], v[146:147], -v[150:151]
	v_add_f64 v[144:145], v[150:151], -v[148:149]
	s_delay_alu instid0(VALU_DEP_2) | instskip(NEXT) | instid1(VALU_DEP_2)
	v_add_f64 v[146:147], v[146:147], -v[160:161]
	v_add_f64 v[48:49], v[144:145], -v[48:49]
	s_delay_alu instid0(VALU_DEP_2) | instskip(NEXT) | instid1(VALU_DEP_1)
	v_add_f64 v[146:147], v[146:147], -v[150:151]
	v_add_f64 v[26:27], v[26:27], v[146:147]
	s_delay_alu instid0(VALU_DEP_1) | instskip(NEXT) | instid1(VALU_DEP_1)
	v_add_f64 v[26:27], v[48:49], v[26:27]
	v_add_f64 v[48:49], v[160:161], v[26:27]
	s_delay_alu instid0(VALU_DEP_1) | instskip(SKIP_1) | instid1(VALU_DEP_2)
	v_mul_f64 v[144:145], v[28:29], v[48:49]
	v_add_f64 v[150:151], v[160:161], -v[48:49]
	v_mul_f64 v[146:147], v[131:132], v[144:145]
	s_delay_alu instid0(VALU_DEP_2) | instskip(NEXT) | instid1(VALU_DEP_2)
	v_add_f64 v[26:27], v[26:27], v[150:151]
	v_fma_f64 v[131:132], v[144:145], v[131:132], -v[146:147]
	s_delay_alu instid0(VALU_DEP_1) | instskip(NEXT) | instid1(VALU_DEP_1)
	v_fma_f64 v[30:31], v[144:145], v[30:31], v[131:132]
	v_add_f64 v[131:132], v[146:147], v[30:31]
	s_delay_alu instid0(VALU_DEP_1) | instskip(SKIP_1) | instid1(VALU_DEP_2)
	v_add_f64 v[148:149], v[48:49], -v[131:132]
	v_add_f64 v[146:147], v[131:132], -v[146:147]
	;; [unrolled: 1-line block ×3, first 2 shown]
	s_delay_alu instid0(VALU_DEP_2) | instskip(NEXT) | instid1(VALU_DEP_2)
	v_add_f64 v[30:31], v[146:147], -v[30:31]
	v_add_f64 v[48:49], v[48:49], -v[131:132]
	s_delay_alu instid0(VALU_DEP_1) | instskip(SKIP_1) | instid1(VALU_DEP_2)
	v_add_f64 v[26:27], v[26:27], v[48:49]
	v_add_f64 v[48:49], v[133:134], v[144:145]
	;; [unrolled: 1-line block ×3, first 2 shown]
	s_delay_alu instid0(VALU_DEP_2) | instskip(NEXT) | instid1(VALU_DEP_2)
	v_add_f64 v[30:31], v[48:49], -v[133:134]
	v_add_f64 v[26:27], v[148:149], v[26:27]
	s_delay_alu instid0(VALU_DEP_2) | instskip(NEXT) | instid1(VALU_DEP_2)
	v_add_f64 v[30:31], v[144:145], -v[30:31]
	v_mul_f64 v[26:27], v[28:29], v[26:27]
	s_delay_alu instid0(VALU_DEP_1) | instskip(NEXT) | instid1(VALU_DEP_1)
	v_add_f64 v[26:27], v[30:31], v[26:27]
	v_add_f64 v[28:29], v[48:49], v[26:27]
	s_delay_alu instid0(VALU_DEP_1) | instskip(NEXT) | instid1(VALU_DEP_1)
	v_mul_f64 v[30:31], v[28:29], v[28:29]
	v_fma_f64 v[131:132], v[30:31], s[22:23], s[20:21]
	s_mov_b32 s20, 0xd7f4df2e
	s_mov_b32 s21, 0x3fc7474d
	v_mul_f64 v[133:134], v[28:29], v[30:31]
	s_delay_alu instid0(VALU_DEP_2)
	v_fma_f64 v[131:132], v[30:31], v[131:132], s[20:21]
	s_mov_b32 s20, 0x16291751
	s_mov_b32 s21, 0x3fcc71c0
	s_delay_alu instid0(VALU_DEP_1) | instid1(SALU_CYCLE_1)
	v_fma_f64 v[131:132], v[30:31], v[131:132], s[20:21]
	s_mov_b32 s20, 0x9b27acf1
	s_mov_b32 s21, 0x3fd24924
	s_delay_alu instid0(VALU_DEP_1) | instid1(SALU_CYCLE_1)
	v_fma_f64 v[131:132], v[30:31], v[131:132], s[20:21]
	s_mov_b32 s20, 0x998ef7b6
	s_mov_b32 s21, 0x3fd99999
	s_delay_alu instid0(VALU_DEP_1) | instid1(SALU_CYCLE_1)
	v_fma_f64 v[131:132], v[30:31], v[131:132], s[20:21]
	s_delay_alu instid0(VALU_DEP_1) | instskip(SKIP_2) | instid1(VALU_DEP_3)
	v_fma_f64 v[30:31], v[30:31], v[131:132], s[12:13]
	v_ldexp_f64 v[131:132], v[28:29], 1
	v_add_f64 v[28:29], v[28:29], -v[48:49]
	v_mul_f64 v[30:31], v[133:134], v[30:31]
	v_cvt_f64_i32_e32 v[133:134], v162
	s_delay_alu instid0(VALU_DEP_3) | instskip(NEXT) | instid1(VALU_DEP_3)
	v_add_f64 v[26:27], v[26:27], -v[28:29]
	v_add_f64 v[48:49], v[131:132], v[30:31]
	s_delay_alu instid0(VALU_DEP_3) | instskip(NEXT) | instid1(VALU_DEP_3)
	v_mul_f64 v[144:145], v[133:134], s[14:15]
	v_ldexp_f64 v[26:27], v[26:27], 1
	s_delay_alu instid0(VALU_DEP_3) | instskip(NEXT) | instid1(VALU_DEP_3)
	v_add_f64 v[28:29], v[48:49], -v[131:132]
	v_fma_f64 v[131:132], v[133:134], s[14:15], -v[144:145]
	s_delay_alu instid0(VALU_DEP_2) | instskip(NEXT) | instid1(VALU_DEP_2)
	v_add_f64 v[28:29], v[30:31], -v[28:29]
	v_fma_f64 v[30:31], v[133:134], s[18:19], v[131:132]
	s_delay_alu instid0(VALU_DEP_2) | instskip(NEXT) | instid1(VALU_DEP_2)
	v_add_f64 v[26:27], v[26:27], v[28:29]
	v_add_f64 v[28:29], v[144:145], v[30:31]
	s_delay_alu instid0(VALU_DEP_2) | instskip(NEXT) | instid1(VALU_DEP_2)
	v_add_f64 v[131:132], v[48:49], v[26:27]
	v_add_f64 v[144:145], v[28:29], -v[144:145]
	s_delay_alu instid0(VALU_DEP_2) | instskip(SKIP_1) | instid1(VALU_DEP_3)
	v_add_f64 v[133:134], v[28:29], v[131:132]
	v_add_f64 v[48:49], v[131:132], -v[48:49]
	v_add_f64 v[30:31], v[30:31], -v[144:145]
	s_delay_alu instid0(VALU_DEP_3) | instskip(NEXT) | instid1(VALU_DEP_3)
	v_add_f64 v[146:147], v[133:134], -v[28:29]
	v_add_f64 v[26:27], v[26:27], -v[48:49]
	s_delay_alu instid0(VALU_DEP_2) | instskip(SKIP_1) | instid1(VALU_DEP_3)
	v_add_f64 v[148:149], v[133:134], -v[146:147]
	v_add_f64 v[48:49], v[131:132], -v[146:147]
	v_add_f64 v[131:132], v[30:31], v[26:27]
	s_delay_alu instid0(VALU_DEP_3) | instskip(NEXT) | instid1(VALU_DEP_1)
	v_add_f64 v[28:29], v[28:29], -v[148:149]
	v_add_f64 v[28:29], v[48:49], v[28:29]
	s_delay_alu instid0(VALU_DEP_3) | instskip(NEXT) | instid1(VALU_DEP_2)
	v_add_f64 v[48:49], v[131:132], -v[30:31]
	v_add_f64 v[28:29], v[131:132], v[28:29]
	s_delay_alu instid0(VALU_DEP_2) | instskip(SKIP_1) | instid1(VALU_DEP_3)
	v_add_f64 v[131:132], v[131:132], -v[48:49]
	v_add_f64 v[26:27], v[26:27], -v[48:49]
	v_add_f64 v[144:145], v[133:134], v[28:29]
	s_delay_alu instid0(VALU_DEP_3) | instskip(NEXT) | instid1(VALU_DEP_2)
	v_add_f64 v[30:31], v[30:31], -v[131:132]
	v_add_f64 v[48:49], v[144:145], -v[133:134]
	s_delay_alu instid0(VALU_DEP_2) | instskip(NEXT) | instid1(VALU_DEP_2)
	v_add_f64 v[26:27], v[26:27], v[30:31]
	v_add_f64 v[28:29], v[28:29], -v[48:49]
	s_delay_alu instid0(VALU_DEP_1) | instskip(NEXT) | instid1(VALU_DEP_1)
	v_add_f64 v[26:27], v[26:27], v[28:29]
	v_add_f64 v[26:27], v[144:145], v[26:27]
	s_delay_alu instid0(VALU_DEP_1) | instskip(NEXT) | instid1(VALU_DEP_2)
	v_cndmask_b32_e64 v26, v26, v24, s11
	v_cndmask_b32_e64 v27, v27, v25, s11
	v_cmp_ngt_f64_e64 s11, -1.0, v[24:25]
	s_delay_alu instid0(VALU_DEP_1) | instskip(SKIP_1) | instid1(VALU_DEP_1)
	v_cndmask_b32_e64 v27, 0x7ff80000, v27, s11
	v_cmp_nge_f64_e64 s11, -1.0, v[24:25]
	v_cndmask_b32_e64 v26, 0, v26, s11
	v_cmp_neq_f64_e64 s11, -1.0, v[24:25]
	s_delay_alu instid0(VALU_DEP_1) | instskip(NEXT) | instid1(VALU_DEP_1)
	v_cndmask_b32_e64 v27, 0xfff00000, v27, s11
	v_add_f64 v[48:49], v[22:23], v[26:27]
.LBB76_280:
	s_or_b32 exec_lo, exec_lo, s17
	v_max_f64 v[22:23], v[82:83], v[82:83]
	s_delay_alu instid0(VALU_DEP_2) | instskip(SKIP_2) | instid1(VALU_DEP_3)
	v_max_f64 v[24:25], v[48:49], v[48:49]
	v_cmp_u_f64_e64 s12, v[48:49], v[48:49]
	v_cmp_u_f64_e64 s11, v[82:83], v[82:83]
	v_min_f64 v[26:27], v[24:25], v[22:23]
	v_max_f64 v[24:25], v[24:25], v[22:23]
	s_delay_alu instid0(VALU_DEP_2) | instskip(NEXT) | instid1(VALU_DEP_3)
	v_cndmask_b32_e64 v26, v26, v48, s12
	v_cndmask_b32_e64 v27, v27, v49, s12
	s_delay_alu instid0(VALU_DEP_3) | instskip(NEXT) | instid1(VALU_DEP_4)
	v_cndmask_b32_e64 v25, v25, v49, s12
	v_cndmask_b32_e64 v24, v24, v48, s12
	s_delay_alu instid0(VALU_DEP_4) | instskip(NEXT) | instid1(VALU_DEP_4)
	v_cndmask_b32_e64 v26, v26, v82, s11
	v_cndmask_b32_e64 v27, v27, v83, s11
	s_delay_alu instid0(VALU_DEP_4) | instskip(NEXT) | instid1(VALU_DEP_4)
	v_cndmask_b32_e64 v25, v25, v83, s11
	v_cndmask_b32_e64 v24, v24, v82, s11
	s_delay_alu instid0(VALU_DEP_3) | instskip(NEXT) | instid1(VALU_DEP_2)
	v_cmp_class_f64_e64 s13, v[26:27], 0x1f8
	v_cmp_neq_f64_e64 s12, v[26:27], v[24:25]
	s_delay_alu instid0(VALU_DEP_1) | instskip(NEXT) | instid1(SALU_CYCLE_1)
	s_or_b32 s12, s12, s13
	s_and_saveexec_b32 s17, s12
	s_cbranch_execz .LBB76_282
; %bb.281:
	v_add_f64 v[26:27], v[26:27], -v[24:25]
	s_mov_b32 s12, 0x652b82fe
	s_mov_b32 s13, 0x3ff71547
	;; [unrolled: 1-line block ×10, first 2 shown]
	s_delay_alu instid0(VALU_DEP_1) | instskip(SKIP_2) | instid1(VALU_DEP_1)
	v_mul_f64 v[28:29], v[26:27], s[12:13]
	s_mov_b32 s12, 0xfca7ab0c
	s_mov_b32 s13, 0x3e928af3
	v_rndne_f64_e32 v[28:29], v[28:29]
	s_delay_alu instid0(VALU_DEP_1) | instskip(SKIP_1) | instid1(VALU_DEP_1)
	v_fma_f64 v[30:31], v[28:29], s[14:15], v[26:27]
	s_mov_b32 s15, 0x3fe62e42
	v_fma_f64 v[30:31], v[28:29], s[18:19], v[30:31]
	v_cvt_i32_f64_e32 v28, v[28:29]
	s_mov_b32 s19, 0x3c7abc9e
	s_delay_alu instid0(VALU_DEP_2) | instskip(SKIP_4) | instid1(VALU_DEP_1)
	v_fma_f64 v[48:49], v[30:31], s[20:21], s[12:13]
	s_mov_b32 s12, 0x623fde64
	s_mov_b32 s13, 0x3ec71dee
	;; [unrolled: 1-line block ×4, first 2 shown]
	v_fma_f64 v[48:49], v[30:31], v[48:49], s[12:13]
	s_mov_b32 s12, 0x7c89e6b0
	s_mov_b32 s13, 0x3efa0199
	s_delay_alu instid0(VALU_DEP_1) | instid1(SALU_CYCLE_1)
	v_fma_f64 v[48:49], v[30:31], v[48:49], s[12:13]
	s_mov_b32 s12, 0x14761f6e
	s_mov_b32 s13, 0x3f2a01a0
	s_delay_alu instid0(VALU_DEP_1) | instid1(SALU_CYCLE_1)
	;; [unrolled: 4-line block ×7, first 2 shown]
	v_fma_f64 v[48:49], v[30:31], v[48:49], s[12:13]
	v_cmp_nlt_f64_e64 s12, 0x40900000, v[26:27]
	v_cmp_ngt_f64_e64 s13, 0xc090cc00, v[26:27]
	s_delay_alu instid0(VALU_DEP_3) | instskip(NEXT) | instid1(VALU_DEP_1)
	v_fma_f64 v[48:49], v[30:31], v[48:49], 1.0
	v_fma_f64 v[30:31], v[30:31], v[48:49], 1.0
	s_delay_alu instid0(VALU_DEP_1) | instskip(NEXT) | instid1(VALU_DEP_1)
	v_ldexp_f64 v[28:29], v[30:31], v28
	v_cndmask_b32_e64 v29, 0x7ff00000, v29, s12
	s_and_b32 s12, s13, s12
	s_delay_alu instid0(VALU_DEP_2) | instid1(SALU_CYCLE_1)
	v_cndmask_b32_e64 v26, 0, v28, s12
	s_mov_b32 s12, 0x55555555
	s_delay_alu instid0(VALU_DEP_2) | instskip(SKIP_1) | instid1(VALU_DEP_1)
	v_cndmask_b32_e64 v27, 0, v29, s13
	s_mov_b32 s13, 0x3fe55555
	v_add_f64 v[28:29], v[26:27], 1.0
	s_delay_alu instid0(VALU_DEP_1) | instskip(SKIP_1) | instid1(VALU_DEP_2)
	v_add_f64 v[30:31], v[28:29], -1.0
	v_frexp_exp_i32_f64_e32 v131, v[28:29]
	v_add_f64 v[48:49], v[30:31], -v[28:29]
	v_add_f64 v[30:31], v[26:27], -v[30:31]
	s_delay_alu instid0(VALU_DEP_2) | instskip(NEXT) | instid1(VALU_DEP_1)
	v_add_f64 v[48:49], v[48:49], 1.0
	v_add_f64 v[30:31], v[30:31], v[48:49]
	v_frexp_mant_f64_e32 v[48:49], v[28:29]
	s_delay_alu instid0(VALU_DEP_1) | instskip(NEXT) | instid1(VALU_DEP_1)
	v_cmp_gt_f64_e64 s12, s[12:13], v[48:49]
	v_subrev_co_ci_u32_e64 v162, s12, 0, v131, s12
	s_mov_b32 s12, 0x55555780
	s_delay_alu instid0(VALU_DEP_1) | instskip(NEXT) | instid1(VALU_DEP_1)
	v_sub_nc_u32_e32 v48, 0, v162
	v_ldexp_f64 v[28:29], v[28:29], v48
	v_ldexp_f64 v[30:31], v[30:31], v48
	s_delay_alu instid0(VALU_DEP_2) | instskip(NEXT) | instid1(VALU_DEP_1)
	v_add_f64 v[48:49], v[28:29], -1.0
	v_add_f64 v[131:132], v[48:49], 1.0
	s_delay_alu instid0(VALU_DEP_1) | instskip(NEXT) | instid1(VALU_DEP_1)
	v_add_f64 v[131:132], v[28:29], -v[131:132]
	v_add_f64 v[131:132], v[30:31], v[131:132]
	s_delay_alu instid0(VALU_DEP_1) | instskip(NEXT) | instid1(VALU_DEP_1)
	v_add_f64 v[133:134], v[48:49], v[131:132]
	v_add_f64 v[48:49], v[133:134], -v[48:49]
	s_delay_alu instid0(VALU_DEP_1) | instskip(SKIP_1) | instid1(VALU_DEP_1)
	v_add_f64 v[48:49], v[131:132], -v[48:49]
	v_add_f64 v[131:132], v[28:29], 1.0
	v_add_f64 v[144:145], v[131:132], -1.0
	s_delay_alu instid0(VALU_DEP_1) | instskip(NEXT) | instid1(VALU_DEP_1)
	v_add_f64 v[28:29], v[28:29], -v[144:145]
	v_add_f64 v[28:29], v[30:31], v[28:29]
	s_delay_alu instid0(VALU_DEP_1) | instskip(NEXT) | instid1(VALU_DEP_1)
	v_add_f64 v[30:31], v[131:132], v[28:29]
	v_add_f64 v[131:132], v[30:31], -v[131:132]
	s_delay_alu instid0(VALU_DEP_1) | instskip(SKIP_3) | instid1(VALU_DEP_1)
	v_add_f64 v[28:29], v[28:29], -v[131:132]
	v_rcp_f64_e32 v[131:132], v[30:31]
	s_waitcnt_depctr 0xfff
	v_fma_f64 v[144:145], -v[30:31], v[131:132], 1.0
	v_fma_f64 v[131:132], v[144:145], v[131:132], v[131:132]
	s_delay_alu instid0(VALU_DEP_1) | instskip(NEXT) | instid1(VALU_DEP_1)
	v_fma_f64 v[144:145], -v[30:31], v[131:132], 1.0
	v_fma_f64 v[131:132], v[144:145], v[131:132], v[131:132]
	s_delay_alu instid0(VALU_DEP_1) | instskip(NEXT) | instid1(VALU_DEP_1)
	v_mul_f64 v[144:145], v[133:134], v[131:132]
	v_mul_f64 v[146:147], v[30:31], v[144:145]
	s_delay_alu instid0(VALU_DEP_1) | instskip(NEXT) | instid1(VALU_DEP_1)
	v_fma_f64 v[148:149], v[144:145], v[30:31], -v[146:147]
	v_fma_f64 v[148:149], v[144:145], v[28:29], v[148:149]
	s_delay_alu instid0(VALU_DEP_1) | instskip(NEXT) | instid1(VALU_DEP_1)
	v_add_f64 v[150:151], v[146:147], v[148:149]
	v_add_f64 v[160:161], v[133:134], -v[150:151]
	v_add_f64 v[146:147], v[150:151], -v[146:147]
	s_delay_alu instid0(VALU_DEP_2) | instskip(NEXT) | instid1(VALU_DEP_1)
	v_add_f64 v[133:134], v[133:134], -v[160:161]
	v_add_f64 v[133:134], v[133:134], -v[150:151]
	s_delay_alu instid0(VALU_DEP_1) | instskip(NEXT) | instid1(VALU_DEP_4)
	v_add_f64 v[48:49], v[48:49], v[133:134]
	v_add_f64 v[133:134], v[146:147], -v[148:149]
	s_delay_alu instid0(VALU_DEP_1) | instskip(NEXT) | instid1(VALU_DEP_1)
	v_add_f64 v[48:49], v[133:134], v[48:49]
	v_add_f64 v[133:134], v[160:161], v[48:49]
	s_delay_alu instid0(VALU_DEP_1) | instskip(NEXT) | instid1(VALU_DEP_1)
	v_add_f64 v[146:147], v[160:161], -v[133:134]
	v_add_f64 v[48:49], v[48:49], v[146:147]
	v_mul_f64 v[146:147], v[131:132], v[133:134]
	s_delay_alu instid0(VALU_DEP_1) | instskip(NEXT) | instid1(VALU_DEP_1)
	v_mul_f64 v[148:149], v[30:31], v[146:147]
	v_fma_f64 v[30:31], v[146:147], v[30:31], -v[148:149]
	s_delay_alu instid0(VALU_DEP_1) | instskip(NEXT) | instid1(VALU_DEP_1)
	v_fma_f64 v[28:29], v[146:147], v[28:29], v[30:31]
	v_add_f64 v[30:31], v[148:149], v[28:29]
	s_delay_alu instid0(VALU_DEP_1) | instskip(SKIP_1) | instid1(VALU_DEP_2)
	v_add_f64 v[150:151], v[133:134], -v[30:31]
	v_add_f64 v[148:149], v[30:31], -v[148:149]
	;; [unrolled: 1-line block ×3, first 2 shown]
	s_delay_alu instid0(VALU_DEP_2) | instskip(NEXT) | instid1(VALU_DEP_2)
	v_add_f64 v[28:29], v[148:149], -v[28:29]
	v_add_f64 v[30:31], v[133:134], -v[30:31]
	v_cvt_f64_i32_e32 v[133:134], v162
	s_delay_alu instid0(VALU_DEP_2) | instskip(NEXT) | instid1(VALU_DEP_1)
	v_add_f64 v[30:31], v[48:49], v[30:31]
	v_add_f64 v[28:29], v[28:29], v[30:31]
	;; [unrolled: 1-line block ×3, first 2 shown]
	s_delay_alu instid0(VALU_DEP_2) | instskip(NEXT) | instid1(VALU_DEP_2)
	v_add_f64 v[28:29], v[150:151], v[28:29]
	v_add_f64 v[48:49], v[30:31], -v[144:145]
	v_mul_f64 v[144:145], v[133:134], s[14:15]
	s_delay_alu instid0(VALU_DEP_3) | instskip(NEXT) | instid1(VALU_DEP_3)
	v_mul_f64 v[28:29], v[131:132], v[28:29]
	v_add_f64 v[48:49], v[146:147], -v[48:49]
	s_delay_alu instid0(VALU_DEP_3) | instskip(NEXT) | instid1(VALU_DEP_2)
	v_fma_f64 v[146:147], v[133:134], s[14:15], -v[144:145]
	v_add_f64 v[28:29], v[48:49], v[28:29]
	s_delay_alu instid0(VALU_DEP_2) | instskip(NEXT) | instid1(VALU_DEP_2)
	v_fma_f64 v[133:134], v[133:134], s[18:19], v[146:147]
	v_add_f64 v[48:49], v[30:31], v[28:29]
	s_delay_alu instid0(VALU_DEP_2) | instskip(NEXT) | instid1(VALU_DEP_2)
	v_add_f64 v[146:147], v[144:145], v[133:134]
	v_add_f64 v[30:31], v[48:49], -v[30:31]
	s_delay_alu instid0(VALU_DEP_2) | instskip(NEXT) | instid1(VALU_DEP_2)
	v_add_f64 v[144:145], v[146:147], -v[144:145]
	v_add_f64 v[28:29], v[28:29], -v[30:31]
	v_mul_f64 v[30:31], v[48:49], v[48:49]
	s_delay_alu instid0(VALU_DEP_3) | instskip(SKIP_1) | instid1(VALU_DEP_4)
	v_add_f64 v[133:134], v[133:134], -v[144:145]
	v_ldexp_f64 v[144:145], v[48:49], 1
	v_ldexp_f64 v[28:29], v[28:29], 1
	s_delay_alu instid0(VALU_DEP_4)
	v_fma_f64 v[131:132], v[30:31], s[22:23], s[20:21]
	s_mov_b32 s20, 0xd7f4df2e
	s_mov_b32 s21, 0x3fc7474d
	s_delay_alu instid0(VALU_DEP_1) | instid1(SALU_CYCLE_1)
	v_fma_f64 v[131:132], v[30:31], v[131:132], s[20:21]
	s_mov_b32 s20, 0x16291751
	s_mov_b32 s21, 0x3fcc71c0
	s_delay_alu instid0(VALU_DEP_1) | instid1(SALU_CYCLE_1)
	;; [unrolled: 4-line block ×4, first 2 shown]
	v_fma_f64 v[131:132], v[30:31], v[131:132], s[20:21]
	s_delay_alu instid0(VALU_DEP_1) | instskip(SKIP_2) | instid1(VALU_DEP_2)
	v_fma_f64 v[131:132], v[30:31], v[131:132], s[12:13]
	v_mul_f64 v[30:31], v[48:49], v[30:31]
	v_cmp_eq_f64_e64 s12, 0x7ff00000, v[26:27]
	v_mul_f64 v[30:31], v[30:31], v[131:132]
	s_delay_alu instid0(VALU_DEP_1) | instskip(NEXT) | instid1(VALU_DEP_1)
	v_add_f64 v[48:49], v[144:145], v[30:31]
	v_add_f64 v[131:132], v[48:49], -v[144:145]
	s_delay_alu instid0(VALU_DEP_1) | instskip(NEXT) | instid1(VALU_DEP_1)
	v_add_f64 v[30:31], v[30:31], -v[131:132]
	v_add_f64 v[28:29], v[28:29], v[30:31]
	s_delay_alu instid0(VALU_DEP_1) | instskip(NEXT) | instid1(VALU_DEP_1)
	v_add_f64 v[30:31], v[48:49], v[28:29]
	v_add_f64 v[48:49], v[30:31], -v[48:49]
	s_delay_alu instid0(VALU_DEP_1) | instskip(SKIP_1) | instid1(VALU_DEP_1)
	v_add_f64 v[28:29], v[28:29], -v[48:49]
	v_add_f64 v[48:49], v[146:147], v[30:31]
	v_add_f64 v[131:132], v[48:49], -v[146:147]
	s_delay_alu instid0(VALU_DEP_1) | instskip(SKIP_2) | instid1(VALU_DEP_3)
	v_add_f64 v[144:145], v[48:49], -v[131:132]
	v_add_f64 v[30:31], v[30:31], -v[131:132]
	v_add_f64 v[131:132], v[133:134], v[28:29]
	v_add_f64 v[144:145], v[146:147], -v[144:145]
	s_delay_alu instid0(VALU_DEP_1) | instskip(NEXT) | instid1(VALU_DEP_3)
	v_add_f64 v[30:31], v[30:31], v[144:145]
	v_add_f64 v[144:145], v[131:132], -v[133:134]
	s_delay_alu instid0(VALU_DEP_2) | instskip(NEXT) | instid1(VALU_DEP_2)
	v_add_f64 v[30:31], v[131:132], v[30:31]
	v_add_f64 v[146:147], v[131:132], -v[144:145]
	v_add_f64 v[28:29], v[28:29], -v[144:145]
	s_delay_alu instid0(VALU_DEP_3) | instskip(NEXT) | instid1(VALU_DEP_3)
	v_add_f64 v[131:132], v[48:49], v[30:31]
	v_add_f64 v[133:134], v[133:134], -v[146:147]
	s_delay_alu instid0(VALU_DEP_2) | instskip(NEXT) | instid1(VALU_DEP_2)
	v_add_f64 v[48:49], v[131:132], -v[48:49]
	v_add_f64 v[28:29], v[28:29], v[133:134]
	s_delay_alu instid0(VALU_DEP_2) | instskip(NEXT) | instid1(VALU_DEP_1)
	v_add_f64 v[30:31], v[30:31], -v[48:49]
	v_add_f64 v[28:29], v[28:29], v[30:31]
	s_delay_alu instid0(VALU_DEP_1) | instskip(NEXT) | instid1(VALU_DEP_1)
	v_add_f64 v[28:29], v[131:132], v[28:29]
	v_cndmask_b32_e64 v28, v28, v26, s12
	s_delay_alu instid0(VALU_DEP_2) | instskip(SKIP_1) | instid1(VALU_DEP_1)
	v_cndmask_b32_e64 v29, v29, v27, s12
	v_cmp_ngt_f64_e64 s12, -1.0, v[26:27]
	v_cndmask_b32_e64 v29, 0x7ff80000, v29, s12
	v_cmp_nge_f64_e64 s12, -1.0, v[26:27]
	s_delay_alu instid0(VALU_DEP_1) | instskip(SKIP_1) | instid1(VALU_DEP_1)
	v_cndmask_b32_e64 v28, 0, v28, s12
	v_cmp_neq_f64_e64 s12, -1.0, v[26:27]
	v_cndmask_b32_e64 v29, 0xfff00000, v29, s12
	s_delay_alu instid0(VALU_DEP_1)
	v_add_f64 v[48:49], v[24:25], v[28:29]
.LBB76_282:
	s_or_b32 exec_lo, exec_lo, s17
	v_max_f64 v[24:25], v[68:69], v[68:69]
	s_delay_alu instid0(VALU_DEP_2) | instskip(SKIP_2) | instid1(VALU_DEP_3)
	v_max_f64 v[26:27], v[48:49], v[48:49]
	v_cmp_u_f64_e64 s13, v[48:49], v[48:49]
	v_cmp_u_f64_e64 s12, v[68:69], v[68:69]
	v_min_f64 v[28:29], v[26:27], v[24:25]
	v_max_f64 v[26:27], v[26:27], v[24:25]
	s_delay_alu instid0(VALU_DEP_2) | instskip(NEXT) | instid1(VALU_DEP_3)
	v_cndmask_b32_e64 v28, v28, v48, s13
	v_cndmask_b32_e64 v29, v29, v49, s13
	s_delay_alu instid0(VALU_DEP_3) | instskip(NEXT) | instid1(VALU_DEP_4)
	v_cndmask_b32_e64 v27, v27, v49, s13
	v_cndmask_b32_e64 v26, v26, v48, s13
	s_delay_alu instid0(VALU_DEP_4) | instskip(NEXT) | instid1(VALU_DEP_4)
	v_cndmask_b32_e64 v28, v28, v68, s12
	v_cndmask_b32_e64 v29, v29, v69, s12
	s_delay_alu instid0(VALU_DEP_4) | instskip(NEXT) | instid1(VALU_DEP_4)
	v_cndmask_b32_e64 v27, v27, v69, s12
	v_cndmask_b32_e64 v26, v26, v68, s12
	s_delay_alu instid0(VALU_DEP_3) | instskip(NEXT) | instid1(VALU_DEP_2)
	v_cmp_class_f64_e64 s14, v[28:29], 0x1f8
	v_cmp_neq_f64_e64 s13, v[28:29], v[26:27]
	s_delay_alu instid0(VALU_DEP_1) | instskip(NEXT) | instid1(SALU_CYCLE_1)
	s_or_b32 s13, s13, s14
	s_and_saveexec_b32 s17, s13
	s_cbranch_execz .LBB76_284
; %bb.283:
	v_add_f64 v[28:29], v[28:29], -v[26:27]
	s_mov_b32 s14, 0x652b82fe
	s_mov_b32 s15, 0x3ff71547
	;; [unrolled: 1-line block ×10, first 2 shown]
	s_delay_alu instid0(VALU_DEP_1) | instskip(SKIP_3) | instid1(VALU_DEP_2)
	v_mul_f64 v[30:31], v[28:29], s[14:15]
	s_mov_b32 s14, 0xfca7ab0c
	s_mov_b32 s15, 0x3e928af3
	v_cmp_nlt_f64_e64 s13, 0x40900000, v[28:29]
	v_rndne_f64_e32 v[30:31], v[30:31]
	s_delay_alu instid0(VALU_DEP_1) | instskip(SKIP_2) | instid1(VALU_DEP_2)
	v_fma_f64 v[48:49], v[30:31], s[18:19], v[28:29]
	v_cvt_i32_f64_e32 v133, v[30:31]
	s_mov_b32 s19, 0x3fe62e42
	v_fma_f64 v[48:49], v[30:31], s[20:21], v[48:49]
	s_mov_b32 s21, 0x3c7abc9e
	s_delay_alu instid0(VALU_DEP_1) | instskip(SKIP_4) | instid1(VALU_DEP_1)
	v_fma_f64 v[131:132], v[48:49], s[22:23], s[14:15]
	s_mov_b32 s14, 0x623fde64
	s_mov_b32 s15, 0x3ec71dee
	;; [unrolled: 1-line block ×4, first 2 shown]
	v_fma_f64 v[131:132], v[48:49], v[131:132], s[14:15]
	s_mov_b32 s14, 0x7c89e6b0
	s_mov_b32 s15, 0x3efa0199
	s_delay_alu instid0(VALU_DEP_1) | instid1(SALU_CYCLE_1)
	v_fma_f64 v[131:132], v[48:49], v[131:132], s[14:15]
	s_mov_b32 s14, 0x14761f6e
	s_mov_b32 s15, 0x3f2a01a0
	s_delay_alu instid0(VALU_DEP_1) | instid1(SALU_CYCLE_1)
	;; [unrolled: 4-line block ×7, first 2 shown]
	v_fma_f64 v[131:132], v[48:49], v[131:132], s[14:15]
	v_cmp_ngt_f64_e64 s14, 0xc090cc00, v[28:29]
	s_mov_b32 s15, 0x3fe55555
	s_delay_alu instid0(VALU_DEP_2) | instskip(NEXT) | instid1(VALU_DEP_1)
	v_fma_f64 v[131:132], v[48:49], v[131:132], 1.0
	v_fma_f64 v[30:31], v[48:49], v[131:132], 1.0
	s_delay_alu instid0(VALU_DEP_1) | instskip(NEXT) | instid1(VALU_DEP_1)
	v_ldexp_f64 v[30:31], v[30:31], v133
	v_cndmask_b32_e64 v31, 0x7ff00000, v31, s13
	s_and_b32 s13, s14, s13
	s_delay_alu instid0(VALU_DEP_2) | instid1(SALU_CYCLE_1)
	v_cndmask_b32_e64 v28, 0, v30, s13
	s_delay_alu instid0(VALU_DEP_2) | instskip(SKIP_1) | instid1(VALU_DEP_1)
	v_cndmask_b32_e64 v29, 0, v31, s14
	s_mov_b32 s14, 0x55555555
	v_add_f64 v[30:31], v[28:29], 1.0
	s_delay_alu instid0(VALU_DEP_1) | instskip(SKIP_2) | instid1(VALU_DEP_3)
	v_frexp_mant_f64_e32 v[48:49], v[30:31]
	v_frexp_exp_i32_f64_e32 v133, v[30:31]
	v_add_f64 v[131:132], v[30:31], -1.0
	v_cmp_gt_f64_e64 s13, s[14:15], v[48:49]
	s_mov_b32 s14, 0x55555780
	s_delay_alu instid0(VALU_DEP_2) | instskip(SKIP_1) | instid1(VALU_DEP_3)
	v_add_f64 v[48:49], v[131:132], -v[30:31]
	v_add_f64 v[131:132], v[28:29], -v[131:132]
	v_subrev_co_ci_u32_e64 v166, s13, 0, v133, s13
	s_delay_alu instid0(VALU_DEP_3) | instskip(SKIP_1) | instid1(VALU_DEP_3)
	v_add_f64 v[48:49], v[48:49], 1.0
	v_cmp_eq_f64_e64 s13, 0x7ff00000, v[28:29]
	v_sub_nc_u32_e32 v144, 0, v166
	s_delay_alu instid0(VALU_DEP_1) | instskip(NEXT) | instid1(VALU_DEP_4)
	v_ldexp_f64 v[30:31], v[30:31], v144
	v_add_f64 v[48:49], v[131:132], v[48:49]
	s_delay_alu instid0(VALU_DEP_2) | instskip(SKIP_1) | instid1(VALU_DEP_3)
	v_add_f64 v[133:134], v[30:31], 1.0
	v_add_f64 v[148:149], v[30:31], -1.0
	v_ldexp_f64 v[48:49], v[48:49], v144
	s_delay_alu instid0(VALU_DEP_3) | instskip(NEXT) | instid1(VALU_DEP_3)
	v_add_f64 v[131:132], v[133:134], -1.0
	v_add_f64 v[150:151], v[148:149], 1.0
	s_delay_alu instid0(VALU_DEP_2) | instskip(NEXT) | instid1(VALU_DEP_2)
	v_add_f64 v[131:132], v[30:31], -v[131:132]
	v_add_f64 v[30:31], v[30:31], -v[150:151]
	s_delay_alu instid0(VALU_DEP_2) | instskip(NEXT) | instid1(VALU_DEP_2)
	v_add_f64 v[131:132], v[48:49], v[131:132]
	v_add_f64 v[30:31], v[48:49], v[30:31]
	s_delay_alu instid0(VALU_DEP_2) | instskip(NEXT) | instid1(VALU_DEP_2)
	v_add_f64 v[144:145], v[133:134], v[131:132]
	v_add_f64 v[150:151], v[148:149], v[30:31]
	s_delay_alu instid0(VALU_DEP_2) | instskip(SKIP_1) | instid1(VALU_DEP_2)
	v_rcp_f64_e32 v[146:147], v[144:145]
	v_add_f64 v[133:134], v[144:145], -v[133:134]
	v_add_f64 v[148:149], v[150:151], -v[148:149]
	s_delay_alu instid0(VALU_DEP_2) | instskip(SKIP_3) | instid1(VALU_DEP_2)
	v_add_f64 v[131:132], v[131:132], -v[133:134]
	s_waitcnt_depctr 0xfff
	v_fma_f64 v[160:161], -v[144:145], v[146:147], 1.0
	v_add_f64 v[30:31], v[30:31], -v[148:149]
	v_fma_f64 v[146:147], v[160:161], v[146:147], v[146:147]
	s_delay_alu instid0(VALU_DEP_1) | instskip(NEXT) | instid1(VALU_DEP_1)
	v_fma_f64 v[48:49], -v[144:145], v[146:147], 1.0
	v_fma_f64 v[48:49], v[48:49], v[146:147], v[146:147]
	s_delay_alu instid0(VALU_DEP_1) | instskip(NEXT) | instid1(VALU_DEP_1)
	v_mul_f64 v[146:147], v[150:151], v[48:49]
	v_mul_f64 v[160:161], v[144:145], v[146:147]
	s_delay_alu instid0(VALU_DEP_1) | instskip(NEXT) | instid1(VALU_DEP_1)
	v_fma_f64 v[133:134], v[146:147], v[144:145], -v[160:161]
	v_fma_f64 v[133:134], v[146:147], v[131:132], v[133:134]
	s_delay_alu instid0(VALU_DEP_1) | instskip(NEXT) | instid1(VALU_DEP_1)
	v_add_f64 v[162:163], v[160:161], v[133:134]
	v_add_f64 v[164:165], v[150:151], -v[162:163]
	v_add_f64 v[148:149], v[162:163], -v[160:161]
	s_delay_alu instid0(VALU_DEP_2) | instskip(NEXT) | instid1(VALU_DEP_2)
	v_add_f64 v[150:151], v[150:151], -v[164:165]
	v_add_f64 v[133:134], v[148:149], -v[133:134]
	s_delay_alu instid0(VALU_DEP_2) | instskip(NEXT) | instid1(VALU_DEP_1)
	v_add_f64 v[150:151], v[150:151], -v[162:163]
	v_add_f64 v[30:31], v[30:31], v[150:151]
	s_delay_alu instid0(VALU_DEP_1) | instskip(NEXT) | instid1(VALU_DEP_1)
	v_add_f64 v[30:31], v[133:134], v[30:31]
	v_add_f64 v[133:134], v[164:165], v[30:31]
	s_delay_alu instid0(VALU_DEP_1) | instskip(SKIP_1) | instid1(VALU_DEP_2)
	v_mul_f64 v[148:149], v[48:49], v[133:134]
	v_add_f64 v[162:163], v[164:165], -v[133:134]
	v_mul_f64 v[150:151], v[144:145], v[148:149]
	s_delay_alu instid0(VALU_DEP_2) | instskip(NEXT) | instid1(VALU_DEP_2)
	v_add_f64 v[30:31], v[30:31], v[162:163]
	v_fma_f64 v[144:145], v[148:149], v[144:145], -v[150:151]
	s_delay_alu instid0(VALU_DEP_1) | instskip(NEXT) | instid1(VALU_DEP_1)
	v_fma_f64 v[131:132], v[148:149], v[131:132], v[144:145]
	v_add_f64 v[144:145], v[150:151], v[131:132]
	s_delay_alu instid0(VALU_DEP_1) | instskip(SKIP_1) | instid1(VALU_DEP_2)
	v_add_f64 v[160:161], v[133:134], -v[144:145]
	v_add_f64 v[150:151], v[144:145], -v[150:151]
	;; [unrolled: 1-line block ×3, first 2 shown]
	s_delay_alu instid0(VALU_DEP_2) | instskip(NEXT) | instid1(VALU_DEP_2)
	v_add_f64 v[131:132], v[150:151], -v[131:132]
	v_add_f64 v[133:134], v[133:134], -v[144:145]
	s_delay_alu instid0(VALU_DEP_1) | instskip(SKIP_1) | instid1(VALU_DEP_2)
	v_add_f64 v[30:31], v[30:31], v[133:134]
	v_add_f64 v[133:134], v[146:147], v[148:149]
	v_add_f64 v[30:31], v[131:132], v[30:31]
	s_delay_alu instid0(VALU_DEP_2) | instskip(NEXT) | instid1(VALU_DEP_2)
	v_add_f64 v[131:132], v[133:134], -v[146:147]
	v_add_f64 v[30:31], v[160:161], v[30:31]
	s_delay_alu instid0(VALU_DEP_2) | instskip(NEXT) | instid1(VALU_DEP_2)
	v_add_f64 v[131:132], v[148:149], -v[131:132]
	v_mul_f64 v[30:31], v[48:49], v[30:31]
	s_delay_alu instid0(VALU_DEP_1) | instskip(NEXT) | instid1(VALU_DEP_1)
	v_add_f64 v[30:31], v[131:132], v[30:31]
	v_add_f64 v[48:49], v[133:134], v[30:31]
	s_delay_alu instid0(VALU_DEP_1) | instskip(NEXT) | instid1(VALU_DEP_1)
	v_mul_f64 v[131:132], v[48:49], v[48:49]
	v_fma_f64 v[144:145], v[131:132], s[24:25], s[22:23]
	s_mov_b32 s22, 0xd7f4df2e
	s_mov_b32 s23, 0x3fc7474d
	v_mul_f64 v[146:147], v[48:49], v[131:132]
	s_delay_alu instid0(VALU_DEP_2)
	v_fma_f64 v[144:145], v[131:132], v[144:145], s[22:23]
	s_mov_b32 s22, 0x16291751
	s_mov_b32 s23, 0x3fcc71c0
	s_delay_alu instid0(VALU_DEP_1) | instid1(SALU_CYCLE_1)
	v_fma_f64 v[144:145], v[131:132], v[144:145], s[22:23]
	s_mov_b32 s22, 0x9b27acf1
	s_mov_b32 s23, 0x3fd24924
	s_delay_alu instid0(VALU_DEP_1) | instid1(SALU_CYCLE_1)
	;; [unrolled: 4-line block ×3, first 2 shown]
	v_fma_f64 v[144:145], v[131:132], v[144:145], s[22:23]
	s_delay_alu instid0(VALU_DEP_1) | instskip(SKIP_2) | instid1(VALU_DEP_3)
	v_fma_f64 v[131:132], v[131:132], v[144:145], s[14:15]
	v_ldexp_f64 v[144:145], v[48:49], 1
	v_add_f64 v[48:49], v[48:49], -v[133:134]
	v_mul_f64 v[131:132], v[146:147], v[131:132]
	v_cvt_f64_i32_e32 v[146:147], v166
	s_delay_alu instid0(VALU_DEP_3) | instskip(NEXT) | instid1(VALU_DEP_3)
	v_add_f64 v[30:31], v[30:31], -v[48:49]
	v_add_f64 v[133:134], v[144:145], v[131:132]
	s_delay_alu instid0(VALU_DEP_3) | instskip(NEXT) | instid1(VALU_DEP_3)
	v_mul_f64 v[148:149], v[146:147], s[18:19]
	v_ldexp_f64 v[30:31], v[30:31], 1
	s_delay_alu instid0(VALU_DEP_3) | instskip(NEXT) | instid1(VALU_DEP_3)
	v_add_f64 v[48:49], v[133:134], -v[144:145]
	v_fma_f64 v[144:145], v[146:147], s[18:19], -v[148:149]
	s_delay_alu instid0(VALU_DEP_2) | instskip(NEXT) | instid1(VALU_DEP_2)
	v_add_f64 v[48:49], v[131:132], -v[48:49]
	v_fma_f64 v[131:132], v[146:147], s[20:21], v[144:145]
	s_delay_alu instid0(VALU_DEP_2) | instskip(NEXT) | instid1(VALU_DEP_2)
	v_add_f64 v[30:31], v[30:31], v[48:49]
	v_add_f64 v[48:49], v[148:149], v[131:132]
	s_delay_alu instid0(VALU_DEP_2) | instskip(NEXT) | instid1(VALU_DEP_2)
	v_add_f64 v[144:145], v[133:134], v[30:31]
	v_add_f64 v[148:149], v[48:49], -v[148:149]
	s_delay_alu instid0(VALU_DEP_2) | instskip(SKIP_1) | instid1(VALU_DEP_3)
	v_add_f64 v[146:147], v[48:49], v[144:145]
	v_add_f64 v[133:134], v[144:145], -v[133:134]
	v_add_f64 v[131:132], v[131:132], -v[148:149]
	s_delay_alu instid0(VALU_DEP_3) | instskip(NEXT) | instid1(VALU_DEP_3)
	v_add_f64 v[150:151], v[146:147], -v[48:49]
	v_add_f64 v[30:31], v[30:31], -v[133:134]
	s_delay_alu instid0(VALU_DEP_2) | instskip(SKIP_1) | instid1(VALU_DEP_3)
	v_add_f64 v[160:161], v[146:147], -v[150:151]
	v_add_f64 v[133:134], v[144:145], -v[150:151]
	v_add_f64 v[144:145], v[131:132], v[30:31]
	s_delay_alu instid0(VALU_DEP_3) | instskip(NEXT) | instid1(VALU_DEP_1)
	v_add_f64 v[48:49], v[48:49], -v[160:161]
	v_add_f64 v[48:49], v[133:134], v[48:49]
	s_delay_alu instid0(VALU_DEP_3) | instskip(NEXT) | instid1(VALU_DEP_2)
	v_add_f64 v[133:134], v[144:145], -v[131:132]
	v_add_f64 v[48:49], v[144:145], v[48:49]
	s_delay_alu instid0(VALU_DEP_2) | instskip(SKIP_1) | instid1(VALU_DEP_3)
	v_add_f64 v[144:145], v[144:145], -v[133:134]
	v_add_f64 v[30:31], v[30:31], -v[133:134]
	v_add_f64 v[148:149], v[146:147], v[48:49]
	s_delay_alu instid0(VALU_DEP_3) | instskip(NEXT) | instid1(VALU_DEP_2)
	v_add_f64 v[131:132], v[131:132], -v[144:145]
	v_add_f64 v[133:134], v[148:149], -v[146:147]
	s_delay_alu instid0(VALU_DEP_2) | instskip(NEXT) | instid1(VALU_DEP_2)
	v_add_f64 v[30:31], v[30:31], v[131:132]
	v_add_f64 v[48:49], v[48:49], -v[133:134]
	s_delay_alu instid0(VALU_DEP_1) | instskip(NEXT) | instid1(VALU_DEP_1)
	v_add_f64 v[30:31], v[30:31], v[48:49]
	v_add_f64 v[30:31], v[148:149], v[30:31]
	s_delay_alu instid0(VALU_DEP_1) | instskip(NEXT) | instid1(VALU_DEP_2)
	v_cndmask_b32_e64 v30, v30, v28, s13
	v_cndmask_b32_e64 v31, v31, v29, s13
	v_cmp_ngt_f64_e64 s13, -1.0, v[28:29]
	s_delay_alu instid0(VALU_DEP_1) | instskip(SKIP_1) | instid1(VALU_DEP_1)
	v_cndmask_b32_e64 v31, 0x7ff80000, v31, s13
	v_cmp_nge_f64_e64 s13, -1.0, v[28:29]
	v_cndmask_b32_e64 v30, 0, v30, s13
	v_cmp_neq_f64_e64 s13, -1.0, v[28:29]
	s_delay_alu instid0(VALU_DEP_1) | instskip(NEXT) | instid1(VALU_DEP_1)
	v_cndmask_b32_e64 v31, 0xfff00000, v31, s13
	v_add_f64 v[48:49], v[26:27], v[30:31]
.LBB76_284:
	s_or_b32 exec_lo, exec_lo, s17
	v_max_f64 v[26:27], v[70:71], v[70:71]
	s_delay_alu instid0(VALU_DEP_2) | instskip(SKIP_2) | instid1(VALU_DEP_3)
	v_max_f64 v[28:29], v[48:49], v[48:49]
	v_cmp_u_f64_e64 s14, v[48:49], v[48:49]
	v_cmp_u_f64_e64 s13, v[70:71], v[70:71]
	v_min_f64 v[30:31], v[28:29], v[26:27]
	v_max_f64 v[28:29], v[28:29], v[26:27]
	s_delay_alu instid0(VALU_DEP_2) | instskip(NEXT) | instid1(VALU_DEP_3)
	v_cndmask_b32_e64 v30, v30, v48, s14
	v_cndmask_b32_e64 v31, v31, v49, s14
	s_delay_alu instid0(VALU_DEP_3) | instskip(NEXT) | instid1(VALU_DEP_4)
	v_cndmask_b32_e64 v29, v29, v49, s14
	v_cndmask_b32_e64 v28, v28, v48, s14
	s_delay_alu instid0(VALU_DEP_4) | instskip(NEXT) | instid1(VALU_DEP_4)
	v_cndmask_b32_e64 v30, v30, v70, s13
	v_cndmask_b32_e64 v31, v31, v71, s13
	s_delay_alu instid0(VALU_DEP_4) | instskip(NEXT) | instid1(VALU_DEP_4)
	v_cndmask_b32_e64 v29, v29, v71, s13
	v_cndmask_b32_e64 v28, v28, v70, s13
	s_delay_alu instid0(VALU_DEP_3) | instskip(NEXT) | instid1(VALU_DEP_2)
	v_cmp_class_f64_e64 s15, v[30:31], 0x1f8
	v_cmp_neq_f64_e64 s14, v[30:31], v[28:29]
	s_delay_alu instid0(VALU_DEP_1) | instskip(NEXT) | instid1(SALU_CYCLE_1)
	s_or_b32 s14, s14, s15
	s_and_saveexec_b32 s17, s14
	s_cbranch_execz .LBB76_286
; %bb.285:
	v_add_f64 v[30:31], v[30:31], -v[28:29]
	s_mov_b32 s14, 0x652b82fe
	s_mov_b32 s15, 0x3ff71547
	s_mov_b32 s19, 0xbfe62e42
	s_mov_b32 s18, 0xfefa39ef
	s_mov_b32 s21, 0xbc7abc9e
	s_mov_b32 s20, 0x3b39803f
	s_mov_b32 s22, 0x6a5dcb37
	s_mov_b32 s23, 0x3e5ade15
	s_mov_b32 s24, 0xbf559e2b
	s_mov_b32 s25, 0x3fc3ab76
	s_delay_alu instid0(VALU_DEP_1) | instskip(SKIP_2) | instid1(VALU_DEP_1)
	v_mul_f64 v[48:49], v[30:31], s[14:15]
	s_mov_b32 s14, 0xfca7ab0c
	s_mov_b32 s15, 0x3e928af3
	v_rndne_f64_e32 v[48:49], v[48:49]
	s_delay_alu instid0(VALU_DEP_1) | instskip(SKIP_2) | instid1(VALU_DEP_2)
	v_fma_f64 v[131:132], v[48:49], s[18:19], v[30:31]
	v_cvt_i32_f64_e32 v144, v[48:49]
	s_mov_b32 s19, 0x3fe62e42
	v_fma_f64 v[131:132], v[48:49], s[20:21], v[131:132]
	s_mov_b32 s21, 0x3c7abc9e
	s_delay_alu instid0(VALU_DEP_1) | instskip(SKIP_4) | instid1(VALU_DEP_1)
	v_fma_f64 v[133:134], v[131:132], s[22:23], s[14:15]
	s_mov_b32 s14, 0x623fde64
	s_mov_b32 s15, 0x3ec71dee
	;; [unrolled: 1-line block ×4, first 2 shown]
	v_fma_f64 v[133:134], v[131:132], v[133:134], s[14:15]
	s_mov_b32 s14, 0x7c89e6b0
	s_mov_b32 s15, 0x3efa0199
	s_delay_alu instid0(VALU_DEP_1) | instid1(SALU_CYCLE_1)
	v_fma_f64 v[133:134], v[131:132], v[133:134], s[14:15]
	s_mov_b32 s14, 0x14761f6e
	s_mov_b32 s15, 0x3f2a01a0
	s_delay_alu instid0(VALU_DEP_1) | instid1(SALU_CYCLE_1)
	;; [unrolled: 4-line block ×7, first 2 shown]
	v_fma_f64 v[133:134], v[131:132], v[133:134], s[14:15]
	v_cmp_nlt_f64_e64 s14, 0x40900000, v[30:31]
	v_cmp_ngt_f64_e64 s15, 0xc090cc00, v[30:31]
	s_delay_alu instid0(VALU_DEP_3) | instskip(NEXT) | instid1(VALU_DEP_1)
	v_fma_f64 v[133:134], v[131:132], v[133:134], 1.0
	v_fma_f64 v[48:49], v[131:132], v[133:134], 1.0
	s_delay_alu instid0(VALU_DEP_1) | instskip(NEXT) | instid1(VALU_DEP_1)
	v_ldexp_f64 v[48:49], v[48:49], v144
	v_cndmask_b32_e64 v49, 0x7ff00000, v49, s14
	s_and_b32 s14, s15, s14
	s_delay_alu instid0(VALU_DEP_2) | instid1(SALU_CYCLE_1)
	v_cndmask_b32_e64 v30, 0, v48, s14
	s_mov_b32 s14, 0x55555555
	s_delay_alu instid0(VALU_DEP_2) | instskip(SKIP_1) | instid1(VALU_DEP_1)
	v_cndmask_b32_e64 v31, 0, v49, s15
	s_mov_b32 s15, 0x3fe55555
	v_add_f64 v[48:49], v[30:31], 1.0
	s_delay_alu instid0(VALU_DEP_1) | instskip(SKIP_2) | instid1(VALU_DEP_3)
	v_frexp_mant_f64_e32 v[131:132], v[48:49]
	v_frexp_exp_i32_f64_e32 v144, v[48:49]
	v_add_f64 v[133:134], v[48:49], -1.0
	v_cmp_gt_f64_e64 s14, s[14:15], v[131:132]
	s_delay_alu instid0(VALU_DEP_2) | instskip(SKIP_1) | instid1(VALU_DEP_3)
	v_add_f64 v[131:132], v[133:134], -v[48:49]
	v_add_f64 v[133:134], v[30:31], -v[133:134]
	v_subrev_co_ci_u32_e64 v176, s14, 0, v144, s14
	s_delay_alu instid0(VALU_DEP_3) | instskip(SKIP_1) | instid1(VALU_DEP_2)
	v_add_f64 v[131:132], v[131:132], 1.0
	s_mov_b32 s14, 0x55555780
	v_sub_nc_u32_e32 v146, 0, v176
	s_delay_alu instid0(VALU_DEP_1) | instskip(NEXT) | instid1(VALU_DEP_3)
	v_ldexp_f64 v[48:49], v[48:49], v146
	v_add_f64 v[131:132], v[133:134], v[131:132]
	s_delay_alu instid0(VALU_DEP_2) | instskip(SKIP_1) | instid1(VALU_DEP_3)
	v_add_f64 v[144:145], v[48:49], 1.0
	v_add_f64 v[150:151], v[48:49], -1.0
	v_ldexp_f64 v[131:132], v[131:132], v146
	s_delay_alu instid0(VALU_DEP_3) | instskip(NEXT) | instid1(VALU_DEP_3)
	v_add_f64 v[133:134], v[144:145], -1.0
	v_add_f64 v[160:161], v[150:151], 1.0
	s_delay_alu instid0(VALU_DEP_2) | instskip(NEXT) | instid1(VALU_DEP_2)
	v_add_f64 v[133:134], v[48:49], -v[133:134]
	v_add_f64 v[48:49], v[48:49], -v[160:161]
	s_delay_alu instid0(VALU_DEP_2) | instskip(NEXT) | instid1(VALU_DEP_2)
	v_add_f64 v[133:134], v[131:132], v[133:134]
	v_add_f64 v[48:49], v[131:132], v[48:49]
	s_delay_alu instid0(VALU_DEP_2) | instskip(NEXT) | instid1(VALU_DEP_2)
	v_add_f64 v[146:147], v[144:145], v[133:134]
	v_add_f64 v[160:161], v[150:151], v[48:49]
	s_delay_alu instid0(VALU_DEP_2) | instskip(SKIP_1) | instid1(VALU_DEP_2)
	v_rcp_f64_e32 v[148:149], v[146:147]
	v_add_f64 v[144:145], v[146:147], -v[144:145]
	v_add_f64 v[150:151], v[160:161], -v[150:151]
	s_delay_alu instid0(VALU_DEP_2) | instskip(SKIP_3) | instid1(VALU_DEP_2)
	v_add_f64 v[133:134], v[133:134], -v[144:145]
	s_waitcnt_depctr 0xfff
	v_fma_f64 v[162:163], -v[146:147], v[148:149], 1.0
	v_add_f64 v[48:49], v[48:49], -v[150:151]
	v_fma_f64 v[148:149], v[162:163], v[148:149], v[148:149]
	s_delay_alu instid0(VALU_DEP_1) | instskip(NEXT) | instid1(VALU_DEP_1)
	v_fma_f64 v[131:132], -v[146:147], v[148:149], 1.0
	v_fma_f64 v[131:132], v[131:132], v[148:149], v[148:149]
	s_delay_alu instid0(VALU_DEP_1) | instskip(NEXT) | instid1(VALU_DEP_1)
	v_mul_f64 v[148:149], v[160:161], v[131:132]
	v_mul_f64 v[162:163], v[146:147], v[148:149]
	s_delay_alu instid0(VALU_DEP_1) | instskip(NEXT) | instid1(VALU_DEP_1)
	v_fma_f64 v[144:145], v[148:149], v[146:147], -v[162:163]
	v_fma_f64 v[144:145], v[148:149], v[133:134], v[144:145]
	s_delay_alu instid0(VALU_DEP_1) | instskip(NEXT) | instid1(VALU_DEP_1)
	v_add_f64 v[164:165], v[162:163], v[144:145]
	v_add_f64 v[166:167], v[160:161], -v[164:165]
	v_add_f64 v[150:151], v[164:165], -v[162:163]
	s_delay_alu instid0(VALU_DEP_2) | instskip(NEXT) | instid1(VALU_DEP_2)
	v_add_f64 v[160:161], v[160:161], -v[166:167]
	v_add_f64 v[144:145], v[150:151], -v[144:145]
	s_delay_alu instid0(VALU_DEP_2) | instskip(NEXT) | instid1(VALU_DEP_1)
	v_add_f64 v[160:161], v[160:161], -v[164:165]
	v_add_f64 v[48:49], v[48:49], v[160:161]
	s_delay_alu instid0(VALU_DEP_1) | instskip(NEXT) | instid1(VALU_DEP_1)
	v_add_f64 v[48:49], v[144:145], v[48:49]
	v_add_f64 v[144:145], v[166:167], v[48:49]
	s_delay_alu instid0(VALU_DEP_1) | instskip(SKIP_1) | instid1(VALU_DEP_2)
	v_mul_f64 v[150:151], v[131:132], v[144:145]
	v_add_f64 v[164:165], v[166:167], -v[144:145]
	v_mul_f64 v[160:161], v[146:147], v[150:151]
	s_delay_alu instid0(VALU_DEP_2) | instskip(NEXT) | instid1(VALU_DEP_2)
	v_add_f64 v[48:49], v[48:49], v[164:165]
	v_fma_f64 v[146:147], v[150:151], v[146:147], -v[160:161]
	s_delay_alu instid0(VALU_DEP_1) | instskip(NEXT) | instid1(VALU_DEP_1)
	v_fma_f64 v[133:134], v[150:151], v[133:134], v[146:147]
	v_add_f64 v[146:147], v[160:161], v[133:134]
	s_delay_alu instid0(VALU_DEP_1) | instskip(SKIP_1) | instid1(VALU_DEP_2)
	v_add_f64 v[162:163], v[144:145], -v[146:147]
	v_add_f64 v[160:161], v[146:147], -v[160:161]
	;; [unrolled: 1-line block ×3, first 2 shown]
	s_delay_alu instid0(VALU_DEP_2) | instskip(NEXT) | instid1(VALU_DEP_2)
	v_add_f64 v[133:134], v[160:161], -v[133:134]
	v_add_f64 v[144:145], v[144:145], -v[146:147]
	s_delay_alu instid0(VALU_DEP_1) | instskip(SKIP_1) | instid1(VALU_DEP_2)
	v_add_f64 v[48:49], v[48:49], v[144:145]
	v_add_f64 v[144:145], v[148:149], v[150:151]
	;; [unrolled: 1-line block ×3, first 2 shown]
	s_delay_alu instid0(VALU_DEP_2) | instskip(NEXT) | instid1(VALU_DEP_2)
	v_add_f64 v[133:134], v[144:145], -v[148:149]
	v_add_f64 v[48:49], v[162:163], v[48:49]
	s_delay_alu instid0(VALU_DEP_2) | instskip(NEXT) | instid1(VALU_DEP_2)
	v_add_f64 v[133:134], v[150:151], -v[133:134]
	v_mul_f64 v[48:49], v[131:132], v[48:49]
	s_delay_alu instid0(VALU_DEP_1) | instskip(NEXT) | instid1(VALU_DEP_1)
	v_add_f64 v[48:49], v[133:134], v[48:49]
	v_add_f64 v[131:132], v[144:145], v[48:49]
	s_delay_alu instid0(VALU_DEP_1) | instskip(NEXT) | instid1(VALU_DEP_1)
	v_mul_f64 v[133:134], v[131:132], v[131:132]
	v_fma_f64 v[146:147], v[133:134], s[24:25], s[22:23]
	s_mov_b32 s22, 0xd7f4df2e
	s_mov_b32 s23, 0x3fc7474d
	v_mul_f64 v[148:149], v[131:132], v[133:134]
	s_delay_alu instid0(VALU_DEP_2)
	v_fma_f64 v[146:147], v[133:134], v[146:147], s[22:23]
	s_mov_b32 s22, 0x16291751
	s_mov_b32 s23, 0x3fcc71c0
	s_delay_alu instid0(VALU_DEP_1) | instid1(SALU_CYCLE_1)
	v_fma_f64 v[146:147], v[133:134], v[146:147], s[22:23]
	s_mov_b32 s22, 0x9b27acf1
	s_mov_b32 s23, 0x3fd24924
	s_delay_alu instid0(VALU_DEP_1) | instid1(SALU_CYCLE_1)
	;; [unrolled: 4-line block ×3, first 2 shown]
	v_fma_f64 v[146:147], v[133:134], v[146:147], s[22:23]
	s_delay_alu instid0(VALU_DEP_1) | instskip(SKIP_3) | instid1(VALU_DEP_4)
	v_fma_f64 v[133:134], v[133:134], v[146:147], s[14:15]
	v_ldexp_f64 v[146:147], v[131:132], 1
	v_add_f64 v[131:132], v[131:132], -v[144:145]
	v_cmp_eq_f64_e64 s14, 0x7ff00000, v[30:31]
	v_mul_f64 v[133:134], v[148:149], v[133:134]
	v_cvt_f64_i32_e32 v[148:149], v176
	s_delay_alu instid0(VALU_DEP_4) | instskip(NEXT) | instid1(VALU_DEP_3)
	v_add_f64 v[48:49], v[48:49], -v[131:132]
	v_add_f64 v[144:145], v[146:147], v[133:134]
	s_delay_alu instid0(VALU_DEP_3) | instskip(NEXT) | instid1(VALU_DEP_3)
	v_mul_f64 v[150:151], v[148:149], s[18:19]
	v_ldexp_f64 v[48:49], v[48:49], 1
	s_delay_alu instid0(VALU_DEP_3) | instskip(NEXT) | instid1(VALU_DEP_3)
	v_add_f64 v[131:132], v[144:145], -v[146:147]
	v_fma_f64 v[146:147], v[148:149], s[18:19], -v[150:151]
	s_delay_alu instid0(VALU_DEP_2) | instskip(NEXT) | instid1(VALU_DEP_2)
	v_add_f64 v[131:132], v[133:134], -v[131:132]
	v_fma_f64 v[133:134], v[148:149], s[20:21], v[146:147]
	s_delay_alu instid0(VALU_DEP_2) | instskip(NEXT) | instid1(VALU_DEP_2)
	v_add_f64 v[48:49], v[48:49], v[131:132]
	v_add_f64 v[131:132], v[150:151], v[133:134]
	s_delay_alu instid0(VALU_DEP_2) | instskip(NEXT) | instid1(VALU_DEP_2)
	v_add_f64 v[146:147], v[144:145], v[48:49]
	v_add_f64 v[150:151], v[131:132], -v[150:151]
	s_delay_alu instid0(VALU_DEP_2) | instskip(SKIP_1) | instid1(VALU_DEP_3)
	v_add_f64 v[148:149], v[131:132], v[146:147]
	v_add_f64 v[144:145], v[146:147], -v[144:145]
	v_add_f64 v[133:134], v[133:134], -v[150:151]
	s_delay_alu instid0(VALU_DEP_3) | instskip(NEXT) | instid1(VALU_DEP_3)
	v_add_f64 v[160:161], v[148:149], -v[131:132]
	v_add_f64 v[48:49], v[48:49], -v[144:145]
	s_delay_alu instid0(VALU_DEP_2) | instskip(SKIP_1) | instid1(VALU_DEP_3)
	v_add_f64 v[162:163], v[148:149], -v[160:161]
	v_add_f64 v[144:145], v[146:147], -v[160:161]
	v_add_f64 v[146:147], v[133:134], v[48:49]
	s_delay_alu instid0(VALU_DEP_3) | instskip(NEXT) | instid1(VALU_DEP_1)
	v_add_f64 v[131:132], v[131:132], -v[162:163]
	v_add_f64 v[131:132], v[144:145], v[131:132]
	s_delay_alu instid0(VALU_DEP_3) | instskip(NEXT) | instid1(VALU_DEP_2)
	v_add_f64 v[144:145], v[146:147], -v[133:134]
	v_add_f64 v[131:132], v[146:147], v[131:132]
	s_delay_alu instid0(VALU_DEP_2) | instskip(SKIP_1) | instid1(VALU_DEP_3)
	v_add_f64 v[146:147], v[146:147], -v[144:145]
	v_add_f64 v[48:49], v[48:49], -v[144:145]
	v_add_f64 v[150:151], v[148:149], v[131:132]
	s_delay_alu instid0(VALU_DEP_3) | instskip(NEXT) | instid1(VALU_DEP_2)
	v_add_f64 v[133:134], v[133:134], -v[146:147]
	v_add_f64 v[144:145], v[150:151], -v[148:149]
	s_delay_alu instid0(VALU_DEP_2) | instskip(NEXT) | instid1(VALU_DEP_2)
	v_add_f64 v[48:49], v[48:49], v[133:134]
	v_add_f64 v[131:132], v[131:132], -v[144:145]
	s_delay_alu instid0(VALU_DEP_1) | instskip(NEXT) | instid1(VALU_DEP_1)
	v_add_f64 v[48:49], v[48:49], v[131:132]
	v_add_f64 v[48:49], v[150:151], v[48:49]
	s_delay_alu instid0(VALU_DEP_1) | instskip(NEXT) | instid1(VALU_DEP_2)
	v_cndmask_b32_e64 v48, v48, v30, s14
	v_cndmask_b32_e64 v49, v49, v31, s14
	v_cmp_ngt_f64_e64 s14, -1.0, v[30:31]
	s_delay_alu instid0(VALU_DEP_1) | instskip(SKIP_1) | instid1(VALU_DEP_1)
	v_cndmask_b32_e64 v49, 0x7ff80000, v49, s14
	v_cmp_nge_f64_e64 s14, -1.0, v[30:31]
	v_cndmask_b32_e64 v48, 0, v48, s14
	v_cmp_neq_f64_e64 s14, -1.0, v[30:31]
	s_delay_alu instid0(VALU_DEP_1) | instskip(NEXT) | instid1(VALU_DEP_1)
	v_cndmask_b32_e64 v49, 0xfff00000, v49, s14
	v_add_f64 v[48:49], v[28:29], v[48:49]
.LBB76_286:
	s_or_b32 exec_lo, exec_lo, s17
	v_max_f64 v[28:29], v[64:65], v[64:65]
	s_delay_alu instid0(VALU_DEP_2) | instskip(SKIP_2) | instid1(VALU_DEP_3)
	v_max_f64 v[30:31], v[48:49], v[48:49]
	v_cmp_u_f64_e64 s15, v[48:49], v[48:49]
	v_cmp_u_f64_e64 s14, v[64:65], v[64:65]
	v_min_f64 v[131:132], v[30:31], v[28:29]
	v_max_f64 v[30:31], v[30:31], v[28:29]
	s_delay_alu instid0(VALU_DEP_2) | instskip(NEXT) | instid1(VALU_DEP_3)
	v_cndmask_b32_e64 v131, v131, v48, s15
	v_cndmask_b32_e64 v132, v132, v49, s15
	s_delay_alu instid0(VALU_DEP_3) | instskip(NEXT) | instid1(VALU_DEP_4)
	v_cndmask_b32_e64 v31, v31, v49, s15
	v_cndmask_b32_e64 v30, v30, v48, s15
	s_delay_alu instid0(VALU_DEP_4) | instskip(NEXT) | instid1(VALU_DEP_4)
	v_cndmask_b32_e64 v131, v131, v64, s14
	v_cndmask_b32_e64 v132, v132, v65, s14
	s_delay_alu instid0(VALU_DEP_4) | instskip(NEXT) | instid1(VALU_DEP_4)
	v_cndmask_b32_e64 v31, v31, v65, s14
	v_cndmask_b32_e64 v30, v30, v64, s14
	s_delay_alu instid0(VALU_DEP_3) | instskip(NEXT) | instid1(VALU_DEP_2)
	v_cmp_class_f64_e64 s17, v[131:132], 0x1f8
	v_cmp_neq_f64_e64 s15, v[131:132], v[30:31]
	s_delay_alu instid0(VALU_DEP_1) | instskip(NEXT) | instid1(SALU_CYCLE_1)
	s_or_b32 s15, s15, s17
	s_and_saveexec_b32 s24, s15
	s_cbranch_execz .LBB76_288
; %bb.287:
	v_add_f64 v[48:49], v[131:132], -v[30:31]
	s_mov_b32 s18, 0x652b82fe
	s_mov_b32 s19, 0x3ff71547
	;; [unrolled: 1-line block ×10, first 2 shown]
	s_delay_alu instid0(VALU_DEP_1) | instskip(SKIP_4) | instid1(VALU_DEP_3)
	v_mul_f64 v[131:132], v[48:49], s[18:19]
	s_mov_b32 s19, 0xbfe62e42
	s_mov_b32 s18, 0xfefa39ef
	v_cmp_nlt_f64_e64 s15, 0x40900000, v[48:49]
	v_cmp_ngt_f64_e64 s17, 0xc090cc00, v[48:49]
	v_rndne_f64_e32 v[131:132], v[131:132]
	s_delay_alu instid0(VALU_DEP_1) | instskip(SKIP_2) | instid1(VALU_DEP_2)
	v_fma_f64 v[133:134], v[131:132], s[18:19], v[48:49]
	v_cvt_i32_f64_e32 v146, v[131:132]
	s_mov_b32 s19, 0x3fe62e42
	v_fma_f64 v[133:134], v[131:132], s[20:21], v[133:134]
	s_mov_b32 s21, 0x3c7abc9e
	s_delay_alu instid0(VALU_DEP_1) | instskip(SKIP_4) | instid1(VALU_DEP_1)
	v_fma_f64 v[144:145], v[133:134], s[26:27], s[22:23]
	s_mov_b32 s22, 0x623fde64
	s_mov_b32 s23, 0x3ec71dee
	;; [unrolled: 1-line block ×4, first 2 shown]
	v_fma_f64 v[144:145], v[133:134], v[144:145], s[22:23]
	s_mov_b32 s22, 0x7c89e6b0
	s_mov_b32 s23, 0x3efa0199
	s_delay_alu instid0(VALU_DEP_1) | instid1(SALU_CYCLE_1)
	v_fma_f64 v[144:145], v[133:134], v[144:145], s[22:23]
	s_mov_b32 s22, 0x14761f6e
	s_mov_b32 s23, 0x3f2a01a0
	s_delay_alu instid0(VALU_DEP_1) | instid1(SALU_CYCLE_1)
	;; [unrolled: 4-line block ×7, first 2 shown]
	v_fma_f64 v[144:145], v[133:134], v[144:145], s[22:23]
	s_mov_b32 s23, 0x3fe55555
	s_mov_b32 s22, 0x55555555
	s_delay_alu instid0(VALU_DEP_1) | instskip(NEXT) | instid1(VALU_DEP_1)
	v_fma_f64 v[144:145], v[133:134], v[144:145], 1.0
	v_fma_f64 v[131:132], v[133:134], v[144:145], 1.0
	s_delay_alu instid0(VALU_DEP_1) | instskip(NEXT) | instid1(VALU_DEP_1)
	v_ldexp_f64 v[131:132], v[131:132], v146
	v_cndmask_b32_e64 v132, 0x7ff00000, v132, s15
	s_and_b32 s15, s17, s15
	s_delay_alu instid0(VALU_DEP_2) | instid1(SALU_CYCLE_1)
	v_cndmask_b32_e64 v48, 0, v131, s15
	s_delay_alu instid0(VALU_DEP_2) | instskip(NEXT) | instid1(VALU_DEP_1)
	v_cndmask_b32_e64 v49, 0, v132, s17
	v_add_f64 v[131:132], v[48:49], 1.0
	s_delay_alu instid0(VALU_DEP_1) | instskip(SKIP_2) | instid1(VALU_DEP_3)
	v_frexp_mant_f64_e32 v[133:134], v[131:132]
	v_frexp_exp_i32_f64_e32 v146, v[131:132]
	v_add_f64 v[144:145], v[131:132], -1.0
	v_cmp_gt_f64_e64 s15, s[22:23], v[133:134]
	s_mov_b32 s22, 0x55555780
	s_delay_alu instid0(VALU_DEP_2) | instskip(SKIP_1) | instid1(VALU_DEP_3)
	v_add_f64 v[133:134], v[144:145], -v[131:132]
	v_add_f64 v[144:145], v[48:49], -v[144:145]
	v_subrev_co_ci_u32_e64 v212, s15, 0, v146, s15
	s_delay_alu instid0(VALU_DEP_3) | instskip(SKIP_1) | instid1(VALU_DEP_3)
	v_add_f64 v[133:134], v[133:134], 1.0
	v_cmp_eq_f64_e64 s15, 0x7ff00000, v[48:49]
	v_sub_nc_u32_e32 v148, 0, v212
	s_delay_alu instid0(VALU_DEP_1) | instskip(NEXT) | instid1(VALU_DEP_4)
	v_ldexp_f64 v[131:132], v[131:132], v148
	v_add_f64 v[133:134], v[144:145], v[133:134]
	s_delay_alu instid0(VALU_DEP_2) | instskip(SKIP_1) | instid1(VALU_DEP_3)
	v_add_f64 v[146:147], v[131:132], 1.0
	v_add_f64 v[160:161], v[131:132], -1.0
	v_ldexp_f64 v[133:134], v[133:134], v148
	s_delay_alu instid0(VALU_DEP_3) | instskip(NEXT) | instid1(VALU_DEP_3)
	v_add_f64 v[144:145], v[146:147], -1.0
	v_add_f64 v[162:163], v[160:161], 1.0
	s_delay_alu instid0(VALU_DEP_2) | instskip(NEXT) | instid1(VALU_DEP_2)
	v_add_f64 v[144:145], v[131:132], -v[144:145]
	v_add_f64 v[131:132], v[131:132], -v[162:163]
	s_delay_alu instid0(VALU_DEP_2) | instskip(NEXT) | instid1(VALU_DEP_2)
	v_add_f64 v[144:145], v[133:134], v[144:145]
	v_add_f64 v[131:132], v[133:134], v[131:132]
	s_delay_alu instid0(VALU_DEP_2) | instskip(NEXT) | instid1(VALU_DEP_2)
	v_add_f64 v[148:149], v[146:147], v[144:145]
	v_add_f64 v[162:163], v[160:161], v[131:132]
	s_delay_alu instid0(VALU_DEP_2) | instskip(SKIP_1) | instid1(VALU_DEP_2)
	v_rcp_f64_e32 v[150:151], v[148:149]
	v_add_f64 v[146:147], v[148:149], -v[146:147]
	v_add_f64 v[160:161], v[162:163], -v[160:161]
	s_delay_alu instid0(VALU_DEP_2) | instskip(SKIP_3) | instid1(VALU_DEP_2)
	v_add_f64 v[144:145], v[144:145], -v[146:147]
	s_waitcnt_depctr 0xfff
	v_fma_f64 v[164:165], -v[148:149], v[150:151], 1.0
	v_add_f64 v[131:132], v[131:132], -v[160:161]
	v_fma_f64 v[150:151], v[164:165], v[150:151], v[150:151]
	s_delay_alu instid0(VALU_DEP_1) | instskip(NEXT) | instid1(VALU_DEP_1)
	v_fma_f64 v[133:134], -v[148:149], v[150:151], 1.0
	v_fma_f64 v[133:134], v[133:134], v[150:151], v[150:151]
	s_delay_alu instid0(VALU_DEP_1) | instskip(NEXT) | instid1(VALU_DEP_1)
	v_mul_f64 v[150:151], v[162:163], v[133:134]
	v_mul_f64 v[164:165], v[148:149], v[150:151]
	s_delay_alu instid0(VALU_DEP_1) | instskip(NEXT) | instid1(VALU_DEP_1)
	v_fma_f64 v[146:147], v[150:151], v[148:149], -v[164:165]
	v_fma_f64 v[146:147], v[150:151], v[144:145], v[146:147]
	s_delay_alu instid0(VALU_DEP_1) | instskip(NEXT) | instid1(VALU_DEP_1)
	v_add_f64 v[166:167], v[164:165], v[146:147]
	v_add_f64 v[176:177], v[162:163], -v[166:167]
	v_add_f64 v[160:161], v[166:167], -v[164:165]
	s_delay_alu instid0(VALU_DEP_2) | instskip(NEXT) | instid1(VALU_DEP_2)
	v_add_f64 v[162:163], v[162:163], -v[176:177]
	v_add_f64 v[146:147], v[160:161], -v[146:147]
	s_delay_alu instid0(VALU_DEP_2) | instskip(NEXT) | instid1(VALU_DEP_1)
	v_add_f64 v[162:163], v[162:163], -v[166:167]
	v_add_f64 v[131:132], v[131:132], v[162:163]
	s_delay_alu instid0(VALU_DEP_1) | instskip(NEXT) | instid1(VALU_DEP_1)
	v_add_f64 v[131:132], v[146:147], v[131:132]
	v_add_f64 v[146:147], v[176:177], v[131:132]
	s_delay_alu instid0(VALU_DEP_1) | instskip(SKIP_1) | instid1(VALU_DEP_2)
	v_mul_f64 v[160:161], v[133:134], v[146:147]
	v_add_f64 v[166:167], v[176:177], -v[146:147]
	v_mul_f64 v[162:163], v[148:149], v[160:161]
	s_delay_alu instid0(VALU_DEP_2) | instskip(NEXT) | instid1(VALU_DEP_2)
	v_add_f64 v[131:132], v[131:132], v[166:167]
	v_fma_f64 v[148:149], v[160:161], v[148:149], -v[162:163]
	s_delay_alu instid0(VALU_DEP_1) | instskip(NEXT) | instid1(VALU_DEP_1)
	v_fma_f64 v[144:145], v[160:161], v[144:145], v[148:149]
	v_add_f64 v[148:149], v[162:163], v[144:145]
	s_delay_alu instid0(VALU_DEP_1) | instskip(SKIP_1) | instid1(VALU_DEP_2)
	v_add_f64 v[164:165], v[146:147], -v[148:149]
	v_add_f64 v[162:163], v[148:149], -v[162:163]
	;; [unrolled: 1-line block ×3, first 2 shown]
	s_delay_alu instid0(VALU_DEP_2) | instskip(NEXT) | instid1(VALU_DEP_2)
	v_add_f64 v[144:145], v[162:163], -v[144:145]
	v_add_f64 v[146:147], v[146:147], -v[148:149]
	s_delay_alu instid0(VALU_DEP_1) | instskip(SKIP_1) | instid1(VALU_DEP_2)
	v_add_f64 v[131:132], v[131:132], v[146:147]
	v_add_f64 v[146:147], v[150:151], v[160:161]
	;; [unrolled: 1-line block ×3, first 2 shown]
	s_delay_alu instid0(VALU_DEP_2) | instskip(NEXT) | instid1(VALU_DEP_2)
	v_add_f64 v[144:145], v[146:147], -v[150:151]
	v_add_f64 v[131:132], v[164:165], v[131:132]
	s_delay_alu instid0(VALU_DEP_2) | instskip(NEXT) | instid1(VALU_DEP_2)
	v_add_f64 v[144:145], v[160:161], -v[144:145]
	v_mul_f64 v[131:132], v[133:134], v[131:132]
	s_delay_alu instid0(VALU_DEP_1) | instskip(NEXT) | instid1(VALU_DEP_1)
	v_add_f64 v[131:132], v[144:145], v[131:132]
	v_add_f64 v[133:134], v[146:147], v[131:132]
	s_delay_alu instid0(VALU_DEP_1) | instskip(NEXT) | instid1(VALU_DEP_1)
	v_mul_f64 v[144:145], v[133:134], v[133:134]
	v_fma_f64 v[148:149], v[144:145], s[28:29], s[26:27]
	s_mov_b32 s26, 0xd7f4df2e
	s_mov_b32 s27, 0x3fc7474d
	v_mul_f64 v[150:151], v[133:134], v[144:145]
	s_delay_alu instid0(VALU_DEP_2)
	v_fma_f64 v[148:149], v[144:145], v[148:149], s[26:27]
	s_mov_b32 s26, 0x16291751
	s_mov_b32 s27, 0x3fcc71c0
	s_delay_alu instid0(VALU_DEP_1) | instid1(SALU_CYCLE_1)
	v_fma_f64 v[148:149], v[144:145], v[148:149], s[26:27]
	s_mov_b32 s26, 0x9b27acf1
	s_mov_b32 s27, 0x3fd24924
	s_delay_alu instid0(VALU_DEP_1) | instid1(SALU_CYCLE_1)
	;; [unrolled: 4-line block ×3, first 2 shown]
	v_fma_f64 v[148:149], v[144:145], v[148:149], s[26:27]
	s_delay_alu instid0(VALU_DEP_1) | instskip(SKIP_2) | instid1(VALU_DEP_3)
	v_fma_f64 v[144:145], v[144:145], v[148:149], s[22:23]
	v_ldexp_f64 v[148:149], v[133:134], 1
	v_add_f64 v[133:134], v[133:134], -v[146:147]
	v_mul_f64 v[144:145], v[150:151], v[144:145]
	v_cvt_f64_i32_e32 v[150:151], v212
	s_delay_alu instid0(VALU_DEP_3) | instskip(NEXT) | instid1(VALU_DEP_3)
	v_add_f64 v[131:132], v[131:132], -v[133:134]
	v_add_f64 v[146:147], v[148:149], v[144:145]
	s_delay_alu instid0(VALU_DEP_3) | instskip(NEXT) | instid1(VALU_DEP_3)
	v_mul_f64 v[160:161], v[150:151], s[18:19]
	v_ldexp_f64 v[131:132], v[131:132], 1
	s_delay_alu instid0(VALU_DEP_3) | instskip(NEXT) | instid1(VALU_DEP_3)
	v_add_f64 v[133:134], v[146:147], -v[148:149]
	v_fma_f64 v[148:149], v[150:151], s[18:19], -v[160:161]
	s_delay_alu instid0(VALU_DEP_2) | instskip(NEXT) | instid1(VALU_DEP_2)
	v_add_f64 v[133:134], v[144:145], -v[133:134]
	v_fma_f64 v[144:145], v[150:151], s[20:21], v[148:149]
	s_delay_alu instid0(VALU_DEP_2) | instskip(NEXT) | instid1(VALU_DEP_2)
	v_add_f64 v[131:132], v[131:132], v[133:134]
	v_add_f64 v[133:134], v[160:161], v[144:145]
	s_delay_alu instid0(VALU_DEP_2) | instskip(NEXT) | instid1(VALU_DEP_2)
	v_add_f64 v[148:149], v[146:147], v[131:132]
	v_add_f64 v[160:161], v[133:134], -v[160:161]
	s_delay_alu instid0(VALU_DEP_2) | instskip(SKIP_1) | instid1(VALU_DEP_3)
	v_add_f64 v[150:151], v[133:134], v[148:149]
	v_add_f64 v[146:147], v[148:149], -v[146:147]
	v_add_f64 v[144:145], v[144:145], -v[160:161]
	s_delay_alu instid0(VALU_DEP_3) | instskip(NEXT) | instid1(VALU_DEP_3)
	v_add_f64 v[162:163], v[150:151], -v[133:134]
	v_add_f64 v[131:132], v[131:132], -v[146:147]
	s_delay_alu instid0(VALU_DEP_2) | instskip(SKIP_1) | instid1(VALU_DEP_3)
	v_add_f64 v[164:165], v[150:151], -v[162:163]
	v_add_f64 v[146:147], v[148:149], -v[162:163]
	v_add_f64 v[148:149], v[144:145], v[131:132]
	s_delay_alu instid0(VALU_DEP_3) | instskip(NEXT) | instid1(VALU_DEP_1)
	v_add_f64 v[133:134], v[133:134], -v[164:165]
	v_add_f64 v[133:134], v[146:147], v[133:134]
	s_delay_alu instid0(VALU_DEP_3) | instskip(NEXT) | instid1(VALU_DEP_2)
	v_add_f64 v[146:147], v[148:149], -v[144:145]
	v_add_f64 v[133:134], v[148:149], v[133:134]
	s_delay_alu instid0(VALU_DEP_2) | instskip(SKIP_1) | instid1(VALU_DEP_3)
	v_add_f64 v[148:149], v[148:149], -v[146:147]
	v_add_f64 v[131:132], v[131:132], -v[146:147]
	v_add_f64 v[160:161], v[150:151], v[133:134]
	s_delay_alu instid0(VALU_DEP_3) | instskip(NEXT) | instid1(VALU_DEP_2)
	v_add_f64 v[144:145], v[144:145], -v[148:149]
	v_add_f64 v[146:147], v[160:161], -v[150:151]
	s_delay_alu instid0(VALU_DEP_2) | instskip(NEXT) | instid1(VALU_DEP_2)
	v_add_f64 v[131:132], v[131:132], v[144:145]
	v_add_f64 v[133:134], v[133:134], -v[146:147]
	s_delay_alu instid0(VALU_DEP_1) | instskip(NEXT) | instid1(VALU_DEP_1)
	v_add_f64 v[131:132], v[131:132], v[133:134]
	v_add_f64 v[131:132], v[160:161], v[131:132]
	s_delay_alu instid0(VALU_DEP_1) | instskip(NEXT) | instid1(VALU_DEP_2)
	v_cndmask_b32_e64 v131, v131, v48, s15
	v_cndmask_b32_e64 v132, v132, v49, s15
	v_cmp_ngt_f64_e64 s15, -1.0, v[48:49]
	s_delay_alu instid0(VALU_DEP_1) | instskip(SKIP_1) | instid1(VALU_DEP_1)
	v_cndmask_b32_e64 v132, 0x7ff80000, v132, s15
	v_cmp_nge_f64_e64 s15, -1.0, v[48:49]
	v_cndmask_b32_e64 v131, 0, v131, s15
	v_cmp_neq_f64_e64 s15, -1.0, v[48:49]
	s_delay_alu instid0(VALU_DEP_1) | instskip(NEXT) | instid1(VALU_DEP_1)
	v_cndmask_b32_e64 v132, 0xfff00000, v132, s15
	v_add_f64 v[48:49], v[30:31], v[131:132]
.LBB76_288:
	s_or_b32 exec_lo, exec_lo, s24
	v_max_f64 v[30:31], v[66:67], v[66:67]
	s_delay_alu instid0(VALU_DEP_2) | instskip(SKIP_2) | instid1(VALU_DEP_3)
	v_max_f64 v[131:132], v[48:49], v[48:49]
	v_cmp_u_f64_e64 s17, v[48:49], v[48:49]
	v_cmp_u_f64_e64 s15, v[66:67], v[66:67]
	v_min_f64 v[133:134], v[131:132], v[30:31]
	v_max_f64 v[131:132], v[131:132], v[30:31]
	s_delay_alu instid0(VALU_DEP_2) | instskip(NEXT) | instid1(VALU_DEP_3)
	v_cndmask_b32_e64 v133, v133, v48, s17
	v_cndmask_b32_e64 v134, v134, v49, s17
	s_delay_alu instid0(VALU_DEP_3) | instskip(NEXT) | instid1(VALU_DEP_4)
	v_cndmask_b32_e64 v132, v132, v49, s17
	v_cndmask_b32_e64 v131, v131, v48, s17
	s_delay_alu instid0(VALU_DEP_4) | instskip(NEXT) | instid1(VALU_DEP_4)
	v_cndmask_b32_e64 v133, v133, v66, s15
	v_cndmask_b32_e64 v134, v134, v67, s15
	s_delay_alu instid0(VALU_DEP_4) | instskip(NEXT) | instid1(VALU_DEP_4)
	v_cndmask_b32_e64 v132, v132, v67, s15
	v_cndmask_b32_e64 v131, v131, v66, s15
	s_delay_alu instid0(VALU_DEP_3) | instskip(NEXT) | instid1(VALU_DEP_2)
	v_cmp_class_f64_e64 s18, v[133:134], 0x1f8
	v_cmp_neq_f64_e64 s17, v[133:134], v[131:132]
	s_delay_alu instid0(VALU_DEP_1) | instskip(NEXT) | instid1(SALU_CYCLE_1)
	s_or_b32 s17, s17, s18
	s_and_saveexec_b32 s24, s17
	s_cbranch_execz .LBB76_290
; %bb.289:
	v_add_f64 v[48:49], v[133:134], -v[131:132]
	s_mov_b32 s18, 0x652b82fe
	s_mov_b32 s19, 0x3ff71547
	;; [unrolled: 1-line block ×10, first 2 shown]
	s_delay_alu instid0(VALU_DEP_1) | instskip(SKIP_3) | instid1(VALU_DEP_2)
	v_mul_f64 v[133:134], v[48:49], s[18:19]
	s_mov_b32 s18, 0xfca7ab0c
	s_mov_b32 s19, 0x3e928af3
	v_cmp_nlt_f64_e64 s17, 0x40900000, v[48:49]
	v_rndne_f64_e32 v[133:134], v[133:134]
	s_delay_alu instid0(VALU_DEP_1) | instskip(SKIP_2) | instid1(VALU_DEP_2)
	v_fma_f64 v[144:145], v[133:134], s[20:21], v[48:49]
	v_cvt_i32_f64_e32 v148, v[133:134]
	s_mov_b32 s21, 0x3fe62e42
	v_fma_f64 v[144:145], v[133:134], s[22:23], v[144:145]
	s_mov_b32 s23, 0x3c7abc9e
	s_delay_alu instid0(VALU_DEP_1) | instskip(SKIP_4) | instid1(VALU_DEP_1)
	v_fma_f64 v[146:147], v[144:145], s[26:27], s[18:19]
	s_mov_b32 s18, 0x623fde64
	s_mov_b32 s19, 0x3ec71dee
	;; [unrolled: 1-line block ×4, first 2 shown]
	v_fma_f64 v[146:147], v[144:145], v[146:147], s[18:19]
	s_mov_b32 s18, 0x7c89e6b0
	s_mov_b32 s19, 0x3efa0199
	s_delay_alu instid0(VALU_DEP_1) | instid1(SALU_CYCLE_1)
	v_fma_f64 v[146:147], v[144:145], v[146:147], s[18:19]
	s_mov_b32 s18, 0x14761f6e
	s_mov_b32 s19, 0x3f2a01a0
	s_delay_alu instid0(VALU_DEP_1) | instid1(SALU_CYCLE_1)
	;; [unrolled: 4-line block ×7, first 2 shown]
	v_fma_f64 v[146:147], v[144:145], v[146:147], s[18:19]
	v_cmp_ngt_f64_e64 s18, 0xc090cc00, v[48:49]
	s_mov_b32 s19, 0x3fe55555
	s_delay_alu instid0(VALU_DEP_2) | instskip(NEXT) | instid1(VALU_DEP_1)
	v_fma_f64 v[146:147], v[144:145], v[146:147], 1.0
	v_fma_f64 v[133:134], v[144:145], v[146:147], 1.0
	s_delay_alu instid0(VALU_DEP_1) | instskip(NEXT) | instid1(VALU_DEP_1)
	v_ldexp_f64 v[133:134], v[133:134], v148
	v_cndmask_b32_e64 v134, 0x7ff00000, v134, s17
	s_and_b32 s17, s18, s17
	s_delay_alu instid0(VALU_DEP_2) | instid1(SALU_CYCLE_1)
	v_cndmask_b32_e64 v48, 0, v133, s17
	s_delay_alu instid0(VALU_DEP_2) | instskip(SKIP_1) | instid1(VALU_DEP_1)
	v_cndmask_b32_e64 v49, 0, v134, s18
	s_mov_b32 s18, 0x55555555
	v_add_f64 v[133:134], v[48:49], 1.0
	s_delay_alu instid0(VALU_DEP_1) | instskip(SKIP_2) | instid1(VALU_DEP_3)
	v_frexp_mant_f64_e32 v[144:145], v[133:134]
	v_frexp_exp_i32_f64_e32 v148, v[133:134]
	v_add_f64 v[146:147], v[133:134], -1.0
	v_cmp_gt_f64_e64 s17, s[18:19], v[144:145]
	s_mov_b32 s18, 0x55555780
	s_delay_alu instid0(VALU_DEP_2) | instskip(SKIP_1) | instid1(VALU_DEP_3)
	v_add_f64 v[144:145], v[146:147], -v[133:134]
	v_add_f64 v[146:147], v[48:49], -v[146:147]
	v_subrev_co_ci_u32_e64 v214, s17, 0, v148, s17
	s_delay_alu instid0(VALU_DEP_3) | instskip(SKIP_1) | instid1(VALU_DEP_3)
	v_add_f64 v[144:145], v[144:145], 1.0
	v_cmp_eq_f64_e64 s17, 0x7ff00000, v[48:49]
	v_sub_nc_u32_e32 v150, 0, v214
	s_delay_alu instid0(VALU_DEP_1) | instskip(NEXT) | instid1(VALU_DEP_4)
	v_ldexp_f64 v[133:134], v[133:134], v150
	v_add_f64 v[144:145], v[146:147], v[144:145]
	s_delay_alu instid0(VALU_DEP_2) | instskip(SKIP_1) | instid1(VALU_DEP_3)
	v_add_f64 v[148:149], v[133:134], 1.0
	v_add_f64 v[162:163], v[133:134], -1.0
	v_ldexp_f64 v[144:145], v[144:145], v150
	s_delay_alu instid0(VALU_DEP_3) | instskip(NEXT) | instid1(VALU_DEP_3)
	v_add_f64 v[146:147], v[148:149], -1.0
	v_add_f64 v[164:165], v[162:163], 1.0
	s_delay_alu instid0(VALU_DEP_2) | instskip(NEXT) | instid1(VALU_DEP_2)
	v_add_f64 v[146:147], v[133:134], -v[146:147]
	v_add_f64 v[133:134], v[133:134], -v[164:165]
	s_delay_alu instid0(VALU_DEP_2) | instskip(NEXT) | instid1(VALU_DEP_2)
	v_add_f64 v[146:147], v[144:145], v[146:147]
	v_add_f64 v[133:134], v[144:145], v[133:134]
	s_delay_alu instid0(VALU_DEP_2) | instskip(NEXT) | instid1(VALU_DEP_2)
	v_add_f64 v[150:151], v[148:149], v[146:147]
	v_add_f64 v[164:165], v[162:163], v[133:134]
	s_delay_alu instid0(VALU_DEP_2) | instskip(SKIP_1) | instid1(VALU_DEP_2)
	v_rcp_f64_e32 v[160:161], v[150:151]
	v_add_f64 v[148:149], v[150:151], -v[148:149]
	v_add_f64 v[162:163], v[164:165], -v[162:163]
	s_delay_alu instid0(VALU_DEP_2) | instskip(SKIP_3) | instid1(VALU_DEP_2)
	v_add_f64 v[146:147], v[146:147], -v[148:149]
	s_waitcnt_depctr 0xfff
	v_fma_f64 v[166:167], -v[150:151], v[160:161], 1.0
	v_add_f64 v[133:134], v[133:134], -v[162:163]
	v_fma_f64 v[160:161], v[166:167], v[160:161], v[160:161]
	s_delay_alu instid0(VALU_DEP_1) | instskip(NEXT) | instid1(VALU_DEP_1)
	v_fma_f64 v[144:145], -v[150:151], v[160:161], 1.0
	v_fma_f64 v[144:145], v[144:145], v[160:161], v[160:161]
	s_delay_alu instid0(VALU_DEP_1) | instskip(NEXT) | instid1(VALU_DEP_1)
	v_mul_f64 v[160:161], v[164:165], v[144:145]
	v_mul_f64 v[166:167], v[150:151], v[160:161]
	s_delay_alu instid0(VALU_DEP_1) | instskip(NEXT) | instid1(VALU_DEP_1)
	v_fma_f64 v[148:149], v[160:161], v[150:151], -v[166:167]
	v_fma_f64 v[148:149], v[160:161], v[146:147], v[148:149]
	s_delay_alu instid0(VALU_DEP_1) | instskip(NEXT) | instid1(VALU_DEP_1)
	v_add_f64 v[176:177], v[166:167], v[148:149]
	v_add_f64 v[212:213], v[164:165], -v[176:177]
	v_add_f64 v[162:163], v[176:177], -v[166:167]
	s_delay_alu instid0(VALU_DEP_2) | instskip(NEXT) | instid1(VALU_DEP_2)
	v_add_f64 v[164:165], v[164:165], -v[212:213]
	v_add_f64 v[148:149], v[162:163], -v[148:149]
	s_delay_alu instid0(VALU_DEP_2) | instskip(NEXT) | instid1(VALU_DEP_1)
	v_add_f64 v[164:165], v[164:165], -v[176:177]
	v_add_f64 v[133:134], v[133:134], v[164:165]
	s_delay_alu instid0(VALU_DEP_1) | instskip(NEXT) | instid1(VALU_DEP_1)
	v_add_f64 v[133:134], v[148:149], v[133:134]
	v_add_f64 v[148:149], v[212:213], v[133:134]
	s_delay_alu instid0(VALU_DEP_1) | instskip(SKIP_1) | instid1(VALU_DEP_2)
	v_mul_f64 v[162:163], v[144:145], v[148:149]
	v_add_f64 v[176:177], v[212:213], -v[148:149]
	v_mul_f64 v[164:165], v[150:151], v[162:163]
	s_delay_alu instid0(VALU_DEP_2) | instskip(NEXT) | instid1(VALU_DEP_2)
	v_add_f64 v[133:134], v[133:134], v[176:177]
	v_fma_f64 v[150:151], v[162:163], v[150:151], -v[164:165]
	s_delay_alu instid0(VALU_DEP_1) | instskip(NEXT) | instid1(VALU_DEP_1)
	v_fma_f64 v[146:147], v[162:163], v[146:147], v[150:151]
	v_add_f64 v[150:151], v[164:165], v[146:147]
	s_delay_alu instid0(VALU_DEP_1) | instskip(SKIP_1) | instid1(VALU_DEP_2)
	v_add_f64 v[166:167], v[148:149], -v[150:151]
	v_add_f64 v[164:165], v[150:151], -v[164:165]
	;; [unrolled: 1-line block ×3, first 2 shown]
	s_delay_alu instid0(VALU_DEP_2) | instskip(NEXT) | instid1(VALU_DEP_2)
	v_add_f64 v[146:147], v[164:165], -v[146:147]
	v_add_f64 v[148:149], v[148:149], -v[150:151]
	s_delay_alu instid0(VALU_DEP_1) | instskip(SKIP_1) | instid1(VALU_DEP_2)
	v_add_f64 v[133:134], v[133:134], v[148:149]
	v_add_f64 v[148:149], v[160:161], v[162:163]
	;; [unrolled: 1-line block ×3, first 2 shown]
	s_delay_alu instid0(VALU_DEP_2) | instskip(NEXT) | instid1(VALU_DEP_2)
	v_add_f64 v[146:147], v[148:149], -v[160:161]
	v_add_f64 v[133:134], v[166:167], v[133:134]
	s_delay_alu instid0(VALU_DEP_2) | instskip(NEXT) | instid1(VALU_DEP_2)
	v_add_f64 v[146:147], v[162:163], -v[146:147]
	v_mul_f64 v[133:134], v[144:145], v[133:134]
	s_delay_alu instid0(VALU_DEP_1) | instskip(NEXT) | instid1(VALU_DEP_1)
	v_add_f64 v[133:134], v[146:147], v[133:134]
	v_add_f64 v[144:145], v[148:149], v[133:134]
	s_delay_alu instid0(VALU_DEP_1) | instskip(NEXT) | instid1(VALU_DEP_1)
	v_mul_f64 v[146:147], v[144:145], v[144:145]
	v_fma_f64 v[150:151], v[146:147], s[28:29], s[26:27]
	s_mov_b32 s26, 0xd7f4df2e
	s_mov_b32 s27, 0x3fc7474d
	v_mul_f64 v[160:161], v[144:145], v[146:147]
	s_delay_alu instid0(VALU_DEP_2)
	v_fma_f64 v[150:151], v[146:147], v[150:151], s[26:27]
	s_mov_b32 s26, 0x16291751
	s_mov_b32 s27, 0x3fcc71c0
	s_delay_alu instid0(VALU_DEP_1) | instid1(SALU_CYCLE_1)
	v_fma_f64 v[150:151], v[146:147], v[150:151], s[26:27]
	s_mov_b32 s26, 0x9b27acf1
	s_mov_b32 s27, 0x3fd24924
	s_delay_alu instid0(VALU_DEP_1) | instid1(SALU_CYCLE_1)
	;; [unrolled: 4-line block ×3, first 2 shown]
	v_fma_f64 v[150:151], v[146:147], v[150:151], s[26:27]
	s_delay_alu instid0(VALU_DEP_1) | instskip(SKIP_2) | instid1(VALU_DEP_3)
	v_fma_f64 v[146:147], v[146:147], v[150:151], s[18:19]
	v_ldexp_f64 v[150:151], v[144:145], 1
	v_add_f64 v[144:145], v[144:145], -v[148:149]
	v_mul_f64 v[146:147], v[160:161], v[146:147]
	v_cvt_f64_i32_e32 v[160:161], v214
	s_delay_alu instid0(VALU_DEP_3) | instskip(NEXT) | instid1(VALU_DEP_3)
	v_add_f64 v[133:134], v[133:134], -v[144:145]
	v_add_f64 v[148:149], v[150:151], v[146:147]
	s_delay_alu instid0(VALU_DEP_3) | instskip(NEXT) | instid1(VALU_DEP_3)
	v_mul_f64 v[162:163], v[160:161], s[20:21]
	v_ldexp_f64 v[133:134], v[133:134], 1
	s_delay_alu instid0(VALU_DEP_3) | instskip(NEXT) | instid1(VALU_DEP_3)
	v_add_f64 v[144:145], v[148:149], -v[150:151]
	v_fma_f64 v[150:151], v[160:161], s[20:21], -v[162:163]
	s_delay_alu instid0(VALU_DEP_2) | instskip(NEXT) | instid1(VALU_DEP_2)
	v_add_f64 v[144:145], v[146:147], -v[144:145]
	v_fma_f64 v[146:147], v[160:161], s[22:23], v[150:151]
	s_delay_alu instid0(VALU_DEP_2) | instskip(NEXT) | instid1(VALU_DEP_2)
	v_add_f64 v[133:134], v[133:134], v[144:145]
	v_add_f64 v[144:145], v[162:163], v[146:147]
	s_delay_alu instid0(VALU_DEP_2) | instskip(NEXT) | instid1(VALU_DEP_2)
	v_add_f64 v[150:151], v[148:149], v[133:134]
	v_add_f64 v[162:163], v[144:145], -v[162:163]
	s_delay_alu instid0(VALU_DEP_2) | instskip(SKIP_1) | instid1(VALU_DEP_3)
	v_add_f64 v[160:161], v[144:145], v[150:151]
	v_add_f64 v[148:149], v[150:151], -v[148:149]
	v_add_f64 v[146:147], v[146:147], -v[162:163]
	s_delay_alu instid0(VALU_DEP_3) | instskip(NEXT) | instid1(VALU_DEP_3)
	v_add_f64 v[164:165], v[160:161], -v[144:145]
	v_add_f64 v[133:134], v[133:134], -v[148:149]
	s_delay_alu instid0(VALU_DEP_2) | instskip(SKIP_1) | instid1(VALU_DEP_3)
	v_add_f64 v[166:167], v[160:161], -v[164:165]
	v_add_f64 v[148:149], v[150:151], -v[164:165]
	v_add_f64 v[150:151], v[146:147], v[133:134]
	s_delay_alu instid0(VALU_DEP_3) | instskip(NEXT) | instid1(VALU_DEP_1)
	v_add_f64 v[144:145], v[144:145], -v[166:167]
	v_add_f64 v[144:145], v[148:149], v[144:145]
	s_delay_alu instid0(VALU_DEP_3) | instskip(NEXT) | instid1(VALU_DEP_2)
	v_add_f64 v[148:149], v[150:151], -v[146:147]
	v_add_f64 v[144:145], v[150:151], v[144:145]
	s_delay_alu instid0(VALU_DEP_2) | instskip(SKIP_1) | instid1(VALU_DEP_3)
	v_add_f64 v[150:151], v[150:151], -v[148:149]
	v_add_f64 v[133:134], v[133:134], -v[148:149]
	v_add_f64 v[162:163], v[160:161], v[144:145]
	s_delay_alu instid0(VALU_DEP_3) | instskip(NEXT) | instid1(VALU_DEP_2)
	v_add_f64 v[146:147], v[146:147], -v[150:151]
	v_add_f64 v[148:149], v[162:163], -v[160:161]
	s_delay_alu instid0(VALU_DEP_2) | instskip(NEXT) | instid1(VALU_DEP_2)
	v_add_f64 v[133:134], v[133:134], v[146:147]
	v_add_f64 v[144:145], v[144:145], -v[148:149]
	s_delay_alu instid0(VALU_DEP_1) | instskip(NEXT) | instid1(VALU_DEP_1)
	v_add_f64 v[133:134], v[133:134], v[144:145]
	v_add_f64 v[133:134], v[162:163], v[133:134]
	s_delay_alu instid0(VALU_DEP_1) | instskip(NEXT) | instid1(VALU_DEP_2)
	v_cndmask_b32_e64 v133, v133, v48, s17
	v_cndmask_b32_e64 v134, v134, v49, s17
	v_cmp_ngt_f64_e64 s17, -1.0, v[48:49]
	s_delay_alu instid0(VALU_DEP_1) | instskip(SKIP_1) | instid1(VALU_DEP_1)
	v_cndmask_b32_e64 v134, 0x7ff80000, v134, s17
	v_cmp_nge_f64_e64 s17, -1.0, v[48:49]
	v_cndmask_b32_e64 v133, 0, v133, s17
	v_cmp_neq_f64_e64 s17, -1.0, v[48:49]
	s_delay_alu instid0(VALU_DEP_1) | instskip(NEXT) | instid1(VALU_DEP_1)
	v_cndmask_b32_e64 v134, 0xfff00000, v134, s17
	v_add_f64 v[48:49], v[131:132], v[133:134]
.LBB76_290:
	s_or_b32 exec_lo, exec_lo, s24
	v_mbcnt_lo_u32_b32 v146, -1, 0
	s_delay_alu instid0(VALU_DEP_2) | instskip(NEXT) | instid1(VALU_DEP_3)
	v_mov_b32_dpp v131, v48 row_shr:1 row_mask:0xf bank_mask:0xf
	v_mov_b32_dpp v132, v49 row_shr:1 row_mask:0xf bank_mask:0xf
	v_mov_b32_e32 v134, v49
	s_mov_b32 s24, exec_lo
	v_dual_mov_b32 v133, v48 :: v_dual_and_b32 v144, 15, v146
	s_delay_alu instid0(VALU_DEP_1)
	v_cmpx_ne_u32_e32 0, v144
	s_cbranch_execz .LBB76_294
; %bb.291:
	v_max_f64 v[133:134], v[131:132], v[131:132]
	v_max_f64 v[147:148], v[48:49], v[48:49]
	v_cmp_u_f64_e64 s17, v[131:132], v[131:132]
	v_cmp_u_f64_e64 s18, v[48:49], v[48:49]
	s_delay_alu instid0(VALU_DEP_3) | instskip(SKIP_1) | instid1(VALU_DEP_2)
	v_min_f64 v[149:150], v[133:134], v[147:148]
	v_max_f64 v[133:134], v[133:134], v[147:148]
	v_cndmask_b32_e64 v145, v149, v131, s17
	s_delay_alu instid0(VALU_DEP_3) | instskip(NEXT) | instid1(VALU_DEP_3)
	v_cndmask_b32_e64 v147, v150, v132, s17
	v_cndmask_b32_e64 v148, v134, v132, s17
	s_delay_alu instid0(VALU_DEP_4) | instskip(NEXT) | instid1(VALU_DEP_4)
	v_cndmask_b32_e64 v149, v133, v131, s17
	v_cndmask_b32_e64 v133, v145, v48, s18
	s_delay_alu instid0(VALU_DEP_4) | instskip(NEXT) | instid1(VALU_DEP_4)
	v_cndmask_b32_e64 v134, v147, v49, s18
	v_cndmask_b32_e64 v49, v148, v49, s18
	s_delay_alu instid0(VALU_DEP_4) | instskip(NEXT) | instid1(VALU_DEP_3)
	v_cndmask_b32_e64 v48, v149, v48, s18
	v_cmp_class_f64_e64 s18, v[133:134], 0x1f8
	s_delay_alu instid0(VALU_DEP_2) | instskip(NEXT) | instid1(VALU_DEP_1)
	v_cmp_neq_f64_e64 s17, v[133:134], v[48:49]
	s_or_b32 s17, s17, s18
	s_delay_alu instid0(SALU_CYCLE_1)
	s_and_saveexec_b32 s25, s17
	s_cbranch_execz .LBB76_293
; %bb.292:
	v_add_f64 v[131:132], v[133:134], -v[48:49]
	s_mov_b32 s18, 0x652b82fe
	s_mov_b32 s19, 0x3ff71547
	;; [unrolled: 1-line block ×10, first 2 shown]
	s_delay_alu instid0(VALU_DEP_1) | instskip(SKIP_3) | instid1(VALU_DEP_2)
	v_mul_f64 v[133:134], v[131:132], s[18:19]
	s_mov_b32 s18, 0xfca7ab0c
	s_mov_b32 s19, 0x3e928af3
	v_cmp_nlt_f64_e64 s17, 0x40900000, v[131:132]
	v_rndne_f64_e32 v[133:134], v[133:134]
	s_delay_alu instid0(VALU_DEP_1) | instskip(SKIP_2) | instid1(VALU_DEP_2)
	v_fma_f64 v[147:148], v[133:134], s[20:21], v[131:132]
	v_cvt_i32_f64_e32 v145, v[133:134]
	s_mov_b32 s21, 0x3fe62e42
	v_fma_f64 v[147:148], v[133:134], s[22:23], v[147:148]
	s_mov_b32 s23, 0x3c7abc9e
	s_delay_alu instid0(VALU_DEP_1) | instskip(SKIP_4) | instid1(VALU_DEP_1)
	v_fma_f64 v[149:150], v[147:148], s[26:27], s[18:19]
	s_mov_b32 s18, 0x623fde64
	s_mov_b32 s19, 0x3ec71dee
	;; [unrolled: 1-line block ×4, first 2 shown]
	v_fma_f64 v[149:150], v[147:148], v[149:150], s[18:19]
	s_mov_b32 s18, 0x7c89e6b0
	s_mov_b32 s19, 0x3efa0199
	s_delay_alu instid0(VALU_DEP_1) | instid1(SALU_CYCLE_1)
	v_fma_f64 v[149:150], v[147:148], v[149:150], s[18:19]
	s_mov_b32 s18, 0x14761f6e
	s_mov_b32 s19, 0x3f2a01a0
	s_delay_alu instid0(VALU_DEP_1) | instid1(SALU_CYCLE_1)
	;; [unrolled: 4-line block ×7, first 2 shown]
	v_fma_f64 v[149:150], v[147:148], v[149:150], s[18:19]
	v_cmp_ngt_f64_e64 s18, 0xc090cc00, v[131:132]
	s_mov_b32 s19, 0x3fe55555
	s_delay_alu instid0(VALU_DEP_2) | instskip(NEXT) | instid1(VALU_DEP_1)
	v_fma_f64 v[149:150], v[147:148], v[149:150], 1.0
	v_fma_f64 v[133:134], v[147:148], v[149:150], 1.0
	s_delay_alu instid0(VALU_DEP_1) | instskip(NEXT) | instid1(VALU_DEP_1)
	v_ldexp_f64 v[133:134], v[133:134], v145
	v_cndmask_b32_e64 v134, 0x7ff00000, v134, s17
	s_and_b32 s17, s18, s17
	s_delay_alu instid0(VALU_DEP_2) | instid1(SALU_CYCLE_1)
	v_cndmask_b32_e64 v131, 0, v133, s17
	s_delay_alu instid0(VALU_DEP_2) | instskip(SKIP_1) | instid1(VALU_DEP_1)
	v_cndmask_b32_e64 v132, 0, v134, s18
	s_mov_b32 s18, 0x55555555
	v_add_f64 v[133:134], v[131:132], 1.0
	s_delay_alu instid0(VALU_DEP_1) | instskip(SKIP_2) | instid1(VALU_DEP_3)
	v_frexp_mant_f64_e32 v[147:148], v[133:134]
	v_frexp_exp_i32_f64_e32 v145, v[133:134]
	v_add_f64 v[149:150], v[133:134], -1.0
	v_cmp_gt_f64_e64 s17, s[18:19], v[147:148]
	s_mov_b32 s18, 0x55555780
	s_delay_alu instid0(VALU_DEP_2) | instskip(SKIP_1) | instid1(VALU_DEP_3)
	v_add_f64 v[147:148], v[149:150], -v[133:134]
	v_add_f64 v[149:150], v[131:132], -v[149:150]
	v_subrev_co_ci_u32_e64 v145, s17, 0, v145, s17
	s_delay_alu instid0(VALU_DEP_3) | instskip(SKIP_1) | instid1(VALU_DEP_3)
	v_add_f64 v[147:148], v[147:148], 1.0
	v_cmp_eq_f64_e64 s17, 0x7ff00000, v[131:132]
	v_sub_nc_u32_e32 v151, 0, v145
	s_delay_alu instid0(VALU_DEP_1) | instskip(NEXT) | instid1(VALU_DEP_4)
	v_ldexp_f64 v[133:134], v[133:134], v151
	v_add_f64 v[147:148], v[149:150], v[147:148]
	s_delay_alu instid0(VALU_DEP_2) | instskip(SKIP_1) | instid1(VALU_DEP_3)
	v_add_f64 v[160:161], v[133:134], 1.0
	v_add_f64 v[166:167], v[133:134], -1.0
	v_ldexp_f64 v[147:148], v[147:148], v151
	s_delay_alu instid0(VALU_DEP_3) | instskip(NEXT) | instid1(VALU_DEP_3)
	v_add_f64 v[149:150], v[160:161], -1.0
	v_add_f64 v[176:177], v[166:167], 1.0
	s_delay_alu instid0(VALU_DEP_2) | instskip(NEXT) | instid1(VALU_DEP_2)
	v_add_f64 v[149:150], v[133:134], -v[149:150]
	v_add_f64 v[133:134], v[133:134], -v[176:177]
	s_delay_alu instid0(VALU_DEP_2) | instskip(NEXT) | instid1(VALU_DEP_2)
	v_add_f64 v[149:150], v[147:148], v[149:150]
	v_add_f64 v[133:134], v[147:148], v[133:134]
	s_delay_alu instid0(VALU_DEP_2) | instskip(NEXT) | instid1(VALU_DEP_2)
	v_add_f64 v[162:163], v[160:161], v[149:150]
	v_add_f64 v[176:177], v[166:167], v[133:134]
	s_delay_alu instid0(VALU_DEP_2) | instskip(SKIP_1) | instid1(VALU_DEP_2)
	v_rcp_f64_e32 v[164:165], v[162:163]
	v_add_f64 v[160:161], v[162:163], -v[160:161]
	v_add_f64 v[166:167], v[176:177], -v[166:167]
	s_delay_alu instid0(VALU_DEP_2) | instskip(SKIP_3) | instid1(VALU_DEP_2)
	v_add_f64 v[149:150], v[149:150], -v[160:161]
	s_waitcnt_depctr 0xfff
	v_fma_f64 v[212:213], -v[162:163], v[164:165], 1.0
	v_add_f64 v[133:134], v[133:134], -v[166:167]
	v_fma_f64 v[164:165], v[212:213], v[164:165], v[164:165]
	s_delay_alu instid0(VALU_DEP_1) | instskip(NEXT) | instid1(VALU_DEP_1)
	v_fma_f64 v[147:148], -v[162:163], v[164:165], 1.0
	v_fma_f64 v[147:148], v[147:148], v[164:165], v[164:165]
	s_delay_alu instid0(VALU_DEP_1) | instskip(NEXT) | instid1(VALU_DEP_1)
	v_mul_f64 v[164:165], v[176:177], v[147:148]
	v_mul_f64 v[212:213], v[162:163], v[164:165]
	s_delay_alu instid0(VALU_DEP_1) | instskip(NEXT) | instid1(VALU_DEP_1)
	v_fma_f64 v[160:161], v[164:165], v[162:163], -v[212:213]
	v_fma_f64 v[160:161], v[164:165], v[149:150], v[160:161]
	s_delay_alu instid0(VALU_DEP_1) | instskip(NEXT) | instid1(VALU_DEP_1)
	v_add_f64 v[214:215], v[212:213], v[160:161]
	v_add_f64 v[224:225], v[176:177], -v[214:215]
	v_add_f64 v[166:167], v[214:215], -v[212:213]
	s_delay_alu instid0(VALU_DEP_2) | instskip(NEXT) | instid1(VALU_DEP_2)
	v_add_f64 v[176:177], v[176:177], -v[224:225]
	v_add_f64 v[160:161], v[166:167], -v[160:161]
	s_delay_alu instid0(VALU_DEP_2) | instskip(NEXT) | instid1(VALU_DEP_1)
	v_add_f64 v[176:177], v[176:177], -v[214:215]
	v_add_f64 v[133:134], v[133:134], v[176:177]
	s_delay_alu instid0(VALU_DEP_1) | instskip(NEXT) | instid1(VALU_DEP_1)
	v_add_f64 v[133:134], v[160:161], v[133:134]
	v_add_f64 v[160:161], v[224:225], v[133:134]
	s_delay_alu instid0(VALU_DEP_1) | instskip(SKIP_1) | instid1(VALU_DEP_2)
	v_mul_f64 v[166:167], v[147:148], v[160:161]
	v_add_f64 v[214:215], v[224:225], -v[160:161]
	v_mul_f64 v[176:177], v[162:163], v[166:167]
	s_delay_alu instid0(VALU_DEP_2) | instskip(NEXT) | instid1(VALU_DEP_2)
	v_add_f64 v[133:134], v[133:134], v[214:215]
	v_fma_f64 v[162:163], v[166:167], v[162:163], -v[176:177]
	s_delay_alu instid0(VALU_DEP_1) | instskip(NEXT) | instid1(VALU_DEP_1)
	v_fma_f64 v[149:150], v[166:167], v[149:150], v[162:163]
	v_add_f64 v[162:163], v[176:177], v[149:150]
	s_delay_alu instid0(VALU_DEP_1) | instskip(SKIP_1) | instid1(VALU_DEP_2)
	v_add_f64 v[212:213], v[160:161], -v[162:163]
	v_add_f64 v[176:177], v[162:163], -v[176:177]
	;; [unrolled: 1-line block ×3, first 2 shown]
	s_delay_alu instid0(VALU_DEP_2) | instskip(NEXT) | instid1(VALU_DEP_2)
	v_add_f64 v[149:150], v[176:177], -v[149:150]
	v_add_f64 v[160:161], v[160:161], -v[162:163]
	s_delay_alu instid0(VALU_DEP_1) | instskip(SKIP_1) | instid1(VALU_DEP_2)
	v_add_f64 v[133:134], v[133:134], v[160:161]
	v_add_f64 v[160:161], v[164:165], v[166:167]
	;; [unrolled: 1-line block ×3, first 2 shown]
	s_delay_alu instid0(VALU_DEP_2) | instskip(NEXT) | instid1(VALU_DEP_2)
	v_add_f64 v[149:150], v[160:161], -v[164:165]
	v_add_f64 v[133:134], v[212:213], v[133:134]
	s_delay_alu instid0(VALU_DEP_2) | instskip(NEXT) | instid1(VALU_DEP_2)
	v_add_f64 v[149:150], v[166:167], -v[149:150]
	v_mul_f64 v[133:134], v[147:148], v[133:134]
	s_delay_alu instid0(VALU_DEP_1) | instskip(NEXT) | instid1(VALU_DEP_1)
	v_add_f64 v[133:134], v[149:150], v[133:134]
	v_add_f64 v[147:148], v[160:161], v[133:134]
	s_delay_alu instid0(VALU_DEP_1) | instskip(NEXT) | instid1(VALU_DEP_1)
	v_mul_f64 v[149:150], v[147:148], v[147:148]
	v_fma_f64 v[162:163], v[149:150], s[28:29], s[26:27]
	s_mov_b32 s26, 0xd7f4df2e
	s_mov_b32 s27, 0x3fc7474d
	v_mul_f64 v[164:165], v[147:148], v[149:150]
	s_delay_alu instid0(VALU_DEP_2)
	v_fma_f64 v[162:163], v[149:150], v[162:163], s[26:27]
	s_mov_b32 s26, 0x16291751
	s_mov_b32 s27, 0x3fcc71c0
	s_delay_alu instid0(VALU_DEP_1) | instid1(SALU_CYCLE_1)
	v_fma_f64 v[162:163], v[149:150], v[162:163], s[26:27]
	s_mov_b32 s26, 0x9b27acf1
	s_mov_b32 s27, 0x3fd24924
	s_delay_alu instid0(VALU_DEP_1) | instid1(SALU_CYCLE_1)
	;; [unrolled: 4-line block ×3, first 2 shown]
	v_fma_f64 v[162:163], v[149:150], v[162:163], s[26:27]
	s_delay_alu instid0(VALU_DEP_1) | instskip(SKIP_2) | instid1(VALU_DEP_3)
	v_fma_f64 v[149:150], v[149:150], v[162:163], s[18:19]
	v_ldexp_f64 v[162:163], v[147:148], 1
	v_add_f64 v[147:148], v[147:148], -v[160:161]
	v_mul_f64 v[149:150], v[164:165], v[149:150]
	v_cvt_f64_i32_e32 v[164:165], v145
	s_delay_alu instid0(VALU_DEP_3) | instskip(NEXT) | instid1(VALU_DEP_3)
	v_add_f64 v[133:134], v[133:134], -v[147:148]
	v_add_f64 v[160:161], v[162:163], v[149:150]
	s_delay_alu instid0(VALU_DEP_3) | instskip(NEXT) | instid1(VALU_DEP_3)
	v_mul_f64 v[166:167], v[164:165], s[20:21]
	v_ldexp_f64 v[133:134], v[133:134], 1
	s_delay_alu instid0(VALU_DEP_3) | instskip(NEXT) | instid1(VALU_DEP_3)
	v_add_f64 v[147:148], v[160:161], -v[162:163]
	v_fma_f64 v[162:163], v[164:165], s[20:21], -v[166:167]
	s_delay_alu instid0(VALU_DEP_2) | instskip(NEXT) | instid1(VALU_DEP_2)
	v_add_f64 v[147:148], v[149:150], -v[147:148]
	v_fma_f64 v[149:150], v[164:165], s[22:23], v[162:163]
	s_delay_alu instid0(VALU_DEP_2) | instskip(NEXT) | instid1(VALU_DEP_2)
	v_add_f64 v[133:134], v[133:134], v[147:148]
	v_add_f64 v[147:148], v[166:167], v[149:150]
	s_delay_alu instid0(VALU_DEP_2) | instskip(NEXT) | instid1(VALU_DEP_2)
	v_add_f64 v[162:163], v[160:161], v[133:134]
	v_add_f64 v[166:167], v[147:148], -v[166:167]
	s_delay_alu instid0(VALU_DEP_2) | instskip(SKIP_1) | instid1(VALU_DEP_3)
	v_add_f64 v[164:165], v[147:148], v[162:163]
	v_add_f64 v[160:161], v[162:163], -v[160:161]
	v_add_f64 v[149:150], v[149:150], -v[166:167]
	s_delay_alu instid0(VALU_DEP_3) | instskip(NEXT) | instid1(VALU_DEP_3)
	v_add_f64 v[176:177], v[164:165], -v[147:148]
	v_add_f64 v[133:134], v[133:134], -v[160:161]
	s_delay_alu instid0(VALU_DEP_2) | instskip(SKIP_1) | instid1(VALU_DEP_3)
	v_add_f64 v[212:213], v[164:165], -v[176:177]
	v_add_f64 v[160:161], v[162:163], -v[176:177]
	v_add_f64 v[162:163], v[149:150], v[133:134]
	s_delay_alu instid0(VALU_DEP_3) | instskip(NEXT) | instid1(VALU_DEP_1)
	v_add_f64 v[147:148], v[147:148], -v[212:213]
	v_add_f64 v[147:148], v[160:161], v[147:148]
	s_delay_alu instid0(VALU_DEP_3) | instskip(NEXT) | instid1(VALU_DEP_2)
	v_add_f64 v[160:161], v[162:163], -v[149:150]
	v_add_f64 v[147:148], v[162:163], v[147:148]
	s_delay_alu instid0(VALU_DEP_2) | instskip(SKIP_1) | instid1(VALU_DEP_3)
	v_add_f64 v[162:163], v[162:163], -v[160:161]
	v_add_f64 v[133:134], v[133:134], -v[160:161]
	v_add_f64 v[166:167], v[164:165], v[147:148]
	s_delay_alu instid0(VALU_DEP_3) | instskip(NEXT) | instid1(VALU_DEP_2)
	v_add_f64 v[149:150], v[149:150], -v[162:163]
	v_add_f64 v[160:161], v[166:167], -v[164:165]
	s_delay_alu instid0(VALU_DEP_2) | instskip(NEXT) | instid1(VALU_DEP_2)
	v_add_f64 v[133:134], v[133:134], v[149:150]
	v_add_f64 v[147:148], v[147:148], -v[160:161]
	s_delay_alu instid0(VALU_DEP_1) | instskip(NEXT) | instid1(VALU_DEP_1)
	v_add_f64 v[133:134], v[133:134], v[147:148]
	v_add_f64 v[133:134], v[166:167], v[133:134]
	s_delay_alu instid0(VALU_DEP_1) | instskip(NEXT) | instid1(VALU_DEP_2)
	v_cndmask_b32_e64 v133, v133, v131, s17
	v_cndmask_b32_e64 v134, v134, v132, s17
	v_cmp_ngt_f64_e64 s17, -1.0, v[131:132]
	s_delay_alu instid0(VALU_DEP_1) | instskip(SKIP_1) | instid1(VALU_DEP_1)
	v_cndmask_b32_e64 v134, 0x7ff80000, v134, s17
	v_cmp_nge_f64_e64 s17, -1.0, v[131:132]
	v_cndmask_b32_e64 v133, 0, v133, s17
	v_cmp_neq_f64_e64 s17, -1.0, v[131:132]
	s_delay_alu instid0(VALU_DEP_1) | instskip(NEXT) | instid1(VALU_DEP_1)
	v_cndmask_b32_e64 v134, 0xfff00000, v134, s17
	v_add_f64 v[131:132], v[48:49], v[133:134]
.LBB76_293:
	s_or_b32 exec_lo, exec_lo, s25
	s_delay_alu instid0(VALU_DEP_1)
	v_dual_mov_b32 v133, v131 :: v_dual_mov_b32 v134, v132
	v_dual_mov_b32 v48, v131 :: v_dual_mov_b32 v49, v132
.LBB76_294:
	s_or_b32 exec_lo, exec_lo, s24
	s_delay_alu instid0(VALU_DEP_2) | instskip(NEXT) | instid1(VALU_DEP_3)
	v_mov_b32_dpp v131, v133 row_shr:2 row_mask:0xf bank_mask:0xf
	v_mov_b32_dpp v132, v134 row_shr:2 row_mask:0xf bank_mask:0xf
	s_mov_b32 s24, exec_lo
	v_cmpx_lt_u32_e32 1, v144
	s_cbranch_execz .LBB76_298
; %bb.295:
	s_delay_alu instid0(VALU_DEP_2) | instskip(SKIP_3) | instid1(VALU_DEP_3)
	v_max_f64 v[133:134], v[131:132], v[131:132]
	v_max_f64 v[147:148], v[48:49], v[48:49]
	v_cmp_u_f64_e64 s17, v[131:132], v[131:132]
	v_cmp_u_f64_e64 s18, v[48:49], v[48:49]
	v_min_f64 v[149:150], v[133:134], v[147:148]
	v_max_f64 v[133:134], v[133:134], v[147:148]
	s_delay_alu instid0(VALU_DEP_2) | instskip(NEXT) | instid1(VALU_DEP_3)
	v_cndmask_b32_e64 v145, v149, v131, s17
	v_cndmask_b32_e64 v147, v150, v132, s17
	s_delay_alu instid0(VALU_DEP_3) | instskip(NEXT) | instid1(VALU_DEP_4)
	v_cndmask_b32_e64 v148, v134, v132, s17
	v_cndmask_b32_e64 v149, v133, v131, s17
	s_delay_alu instid0(VALU_DEP_4) | instskip(NEXT) | instid1(VALU_DEP_4)
	v_cndmask_b32_e64 v133, v145, v48, s18
	v_cndmask_b32_e64 v134, v147, v49, s18
	s_delay_alu instid0(VALU_DEP_4) | instskip(NEXT) | instid1(VALU_DEP_4)
	v_cndmask_b32_e64 v49, v148, v49, s18
	v_cndmask_b32_e64 v48, v149, v48, s18
	s_delay_alu instid0(VALU_DEP_3) | instskip(NEXT) | instid1(VALU_DEP_2)
	v_cmp_class_f64_e64 s18, v[133:134], 0x1f8
	v_cmp_neq_f64_e64 s17, v[133:134], v[48:49]
	s_delay_alu instid0(VALU_DEP_1) | instskip(NEXT) | instid1(SALU_CYCLE_1)
	s_or_b32 s17, s17, s18
	s_and_saveexec_b32 s25, s17
	s_cbranch_execz .LBB76_297
; %bb.296:
	v_add_f64 v[131:132], v[133:134], -v[48:49]
	s_mov_b32 s18, 0x652b82fe
	s_mov_b32 s19, 0x3ff71547
	;; [unrolled: 1-line block ×10, first 2 shown]
	s_delay_alu instid0(VALU_DEP_1) | instskip(SKIP_3) | instid1(VALU_DEP_2)
	v_mul_f64 v[133:134], v[131:132], s[18:19]
	s_mov_b32 s18, 0xfca7ab0c
	s_mov_b32 s19, 0x3e928af3
	v_cmp_nlt_f64_e64 s17, 0x40900000, v[131:132]
	v_rndne_f64_e32 v[133:134], v[133:134]
	s_delay_alu instid0(VALU_DEP_1) | instskip(SKIP_2) | instid1(VALU_DEP_2)
	v_fma_f64 v[147:148], v[133:134], s[20:21], v[131:132]
	v_cvt_i32_f64_e32 v145, v[133:134]
	s_mov_b32 s21, 0x3fe62e42
	v_fma_f64 v[147:148], v[133:134], s[22:23], v[147:148]
	s_mov_b32 s23, 0x3c7abc9e
	s_delay_alu instid0(VALU_DEP_1) | instskip(SKIP_4) | instid1(VALU_DEP_1)
	v_fma_f64 v[149:150], v[147:148], s[26:27], s[18:19]
	s_mov_b32 s18, 0x623fde64
	s_mov_b32 s19, 0x3ec71dee
	s_mov_b32 s26, 0x6b47b09a
	s_mov_b32 s27, 0x3fc38538
	v_fma_f64 v[149:150], v[147:148], v[149:150], s[18:19]
	s_mov_b32 s18, 0x7c89e6b0
	s_mov_b32 s19, 0x3efa0199
	s_delay_alu instid0(VALU_DEP_1) | instid1(SALU_CYCLE_1)
	v_fma_f64 v[149:150], v[147:148], v[149:150], s[18:19]
	s_mov_b32 s18, 0x14761f6e
	s_mov_b32 s19, 0x3f2a01a0
	s_delay_alu instid0(VALU_DEP_1) | instid1(SALU_CYCLE_1)
	;; [unrolled: 4-line block ×7, first 2 shown]
	v_fma_f64 v[149:150], v[147:148], v[149:150], s[18:19]
	v_cmp_ngt_f64_e64 s18, 0xc090cc00, v[131:132]
	s_mov_b32 s19, 0x3fe55555
	s_delay_alu instid0(VALU_DEP_2) | instskip(NEXT) | instid1(VALU_DEP_1)
	v_fma_f64 v[149:150], v[147:148], v[149:150], 1.0
	v_fma_f64 v[133:134], v[147:148], v[149:150], 1.0
	s_delay_alu instid0(VALU_DEP_1) | instskip(NEXT) | instid1(VALU_DEP_1)
	v_ldexp_f64 v[133:134], v[133:134], v145
	v_cndmask_b32_e64 v134, 0x7ff00000, v134, s17
	s_and_b32 s17, s18, s17
	s_delay_alu instid0(VALU_DEP_2) | instid1(SALU_CYCLE_1)
	v_cndmask_b32_e64 v131, 0, v133, s17
	s_delay_alu instid0(VALU_DEP_2) | instskip(SKIP_1) | instid1(VALU_DEP_1)
	v_cndmask_b32_e64 v132, 0, v134, s18
	s_mov_b32 s18, 0x55555555
	v_add_f64 v[133:134], v[131:132], 1.0
	s_delay_alu instid0(VALU_DEP_1) | instskip(SKIP_2) | instid1(VALU_DEP_3)
	v_frexp_mant_f64_e32 v[147:148], v[133:134]
	v_frexp_exp_i32_f64_e32 v145, v[133:134]
	v_add_f64 v[149:150], v[133:134], -1.0
	v_cmp_gt_f64_e64 s17, s[18:19], v[147:148]
	s_mov_b32 s18, 0x55555780
	s_delay_alu instid0(VALU_DEP_2) | instskip(SKIP_1) | instid1(VALU_DEP_3)
	v_add_f64 v[147:148], v[149:150], -v[133:134]
	v_add_f64 v[149:150], v[131:132], -v[149:150]
	v_subrev_co_ci_u32_e64 v145, s17, 0, v145, s17
	s_delay_alu instid0(VALU_DEP_3) | instskip(SKIP_1) | instid1(VALU_DEP_3)
	v_add_f64 v[147:148], v[147:148], 1.0
	v_cmp_eq_f64_e64 s17, 0x7ff00000, v[131:132]
	v_sub_nc_u32_e32 v151, 0, v145
	s_delay_alu instid0(VALU_DEP_1) | instskip(NEXT) | instid1(VALU_DEP_4)
	v_ldexp_f64 v[133:134], v[133:134], v151
	v_add_f64 v[147:148], v[149:150], v[147:148]
	s_delay_alu instid0(VALU_DEP_2) | instskip(SKIP_1) | instid1(VALU_DEP_3)
	v_add_f64 v[160:161], v[133:134], 1.0
	v_add_f64 v[166:167], v[133:134], -1.0
	v_ldexp_f64 v[147:148], v[147:148], v151
	s_delay_alu instid0(VALU_DEP_3) | instskip(NEXT) | instid1(VALU_DEP_3)
	v_add_f64 v[149:150], v[160:161], -1.0
	v_add_f64 v[176:177], v[166:167], 1.0
	s_delay_alu instid0(VALU_DEP_2) | instskip(NEXT) | instid1(VALU_DEP_2)
	v_add_f64 v[149:150], v[133:134], -v[149:150]
	v_add_f64 v[133:134], v[133:134], -v[176:177]
	s_delay_alu instid0(VALU_DEP_2) | instskip(NEXT) | instid1(VALU_DEP_2)
	v_add_f64 v[149:150], v[147:148], v[149:150]
	v_add_f64 v[133:134], v[147:148], v[133:134]
	s_delay_alu instid0(VALU_DEP_2) | instskip(NEXT) | instid1(VALU_DEP_2)
	v_add_f64 v[162:163], v[160:161], v[149:150]
	v_add_f64 v[176:177], v[166:167], v[133:134]
	s_delay_alu instid0(VALU_DEP_2) | instskip(SKIP_1) | instid1(VALU_DEP_2)
	v_rcp_f64_e32 v[164:165], v[162:163]
	v_add_f64 v[160:161], v[162:163], -v[160:161]
	v_add_f64 v[166:167], v[176:177], -v[166:167]
	s_delay_alu instid0(VALU_DEP_2) | instskip(SKIP_3) | instid1(VALU_DEP_2)
	v_add_f64 v[149:150], v[149:150], -v[160:161]
	s_waitcnt_depctr 0xfff
	v_fma_f64 v[212:213], -v[162:163], v[164:165], 1.0
	v_add_f64 v[133:134], v[133:134], -v[166:167]
	v_fma_f64 v[164:165], v[212:213], v[164:165], v[164:165]
	s_delay_alu instid0(VALU_DEP_1) | instskip(NEXT) | instid1(VALU_DEP_1)
	v_fma_f64 v[147:148], -v[162:163], v[164:165], 1.0
	v_fma_f64 v[147:148], v[147:148], v[164:165], v[164:165]
	s_delay_alu instid0(VALU_DEP_1) | instskip(NEXT) | instid1(VALU_DEP_1)
	v_mul_f64 v[164:165], v[176:177], v[147:148]
	v_mul_f64 v[212:213], v[162:163], v[164:165]
	s_delay_alu instid0(VALU_DEP_1) | instskip(NEXT) | instid1(VALU_DEP_1)
	v_fma_f64 v[160:161], v[164:165], v[162:163], -v[212:213]
	v_fma_f64 v[160:161], v[164:165], v[149:150], v[160:161]
	s_delay_alu instid0(VALU_DEP_1) | instskip(NEXT) | instid1(VALU_DEP_1)
	v_add_f64 v[214:215], v[212:213], v[160:161]
	v_add_f64 v[224:225], v[176:177], -v[214:215]
	v_add_f64 v[166:167], v[214:215], -v[212:213]
	s_delay_alu instid0(VALU_DEP_2) | instskip(NEXT) | instid1(VALU_DEP_2)
	v_add_f64 v[176:177], v[176:177], -v[224:225]
	v_add_f64 v[160:161], v[166:167], -v[160:161]
	s_delay_alu instid0(VALU_DEP_2) | instskip(NEXT) | instid1(VALU_DEP_1)
	v_add_f64 v[176:177], v[176:177], -v[214:215]
	v_add_f64 v[133:134], v[133:134], v[176:177]
	s_delay_alu instid0(VALU_DEP_1) | instskip(NEXT) | instid1(VALU_DEP_1)
	v_add_f64 v[133:134], v[160:161], v[133:134]
	v_add_f64 v[160:161], v[224:225], v[133:134]
	s_delay_alu instid0(VALU_DEP_1) | instskip(SKIP_1) | instid1(VALU_DEP_2)
	v_mul_f64 v[166:167], v[147:148], v[160:161]
	v_add_f64 v[214:215], v[224:225], -v[160:161]
	v_mul_f64 v[176:177], v[162:163], v[166:167]
	s_delay_alu instid0(VALU_DEP_2) | instskip(NEXT) | instid1(VALU_DEP_2)
	v_add_f64 v[133:134], v[133:134], v[214:215]
	v_fma_f64 v[162:163], v[166:167], v[162:163], -v[176:177]
	s_delay_alu instid0(VALU_DEP_1) | instskip(NEXT) | instid1(VALU_DEP_1)
	v_fma_f64 v[149:150], v[166:167], v[149:150], v[162:163]
	v_add_f64 v[162:163], v[176:177], v[149:150]
	s_delay_alu instid0(VALU_DEP_1) | instskip(SKIP_1) | instid1(VALU_DEP_2)
	v_add_f64 v[212:213], v[160:161], -v[162:163]
	v_add_f64 v[176:177], v[162:163], -v[176:177]
	;; [unrolled: 1-line block ×3, first 2 shown]
	s_delay_alu instid0(VALU_DEP_2) | instskip(NEXT) | instid1(VALU_DEP_2)
	v_add_f64 v[149:150], v[176:177], -v[149:150]
	v_add_f64 v[160:161], v[160:161], -v[162:163]
	s_delay_alu instid0(VALU_DEP_1) | instskip(SKIP_1) | instid1(VALU_DEP_2)
	v_add_f64 v[133:134], v[133:134], v[160:161]
	v_add_f64 v[160:161], v[164:165], v[166:167]
	v_add_f64 v[133:134], v[149:150], v[133:134]
	s_delay_alu instid0(VALU_DEP_2) | instskip(NEXT) | instid1(VALU_DEP_2)
	v_add_f64 v[149:150], v[160:161], -v[164:165]
	v_add_f64 v[133:134], v[212:213], v[133:134]
	s_delay_alu instid0(VALU_DEP_2) | instskip(NEXT) | instid1(VALU_DEP_2)
	v_add_f64 v[149:150], v[166:167], -v[149:150]
	v_mul_f64 v[133:134], v[147:148], v[133:134]
	s_delay_alu instid0(VALU_DEP_1) | instskip(NEXT) | instid1(VALU_DEP_1)
	v_add_f64 v[133:134], v[149:150], v[133:134]
	v_add_f64 v[147:148], v[160:161], v[133:134]
	s_delay_alu instid0(VALU_DEP_1) | instskip(NEXT) | instid1(VALU_DEP_1)
	v_mul_f64 v[149:150], v[147:148], v[147:148]
	v_fma_f64 v[162:163], v[149:150], s[28:29], s[26:27]
	s_mov_b32 s26, 0xd7f4df2e
	s_mov_b32 s27, 0x3fc7474d
	v_mul_f64 v[164:165], v[147:148], v[149:150]
	s_delay_alu instid0(VALU_DEP_2)
	v_fma_f64 v[162:163], v[149:150], v[162:163], s[26:27]
	s_mov_b32 s26, 0x16291751
	s_mov_b32 s27, 0x3fcc71c0
	s_delay_alu instid0(VALU_DEP_1) | instid1(SALU_CYCLE_1)
	v_fma_f64 v[162:163], v[149:150], v[162:163], s[26:27]
	s_mov_b32 s26, 0x9b27acf1
	s_mov_b32 s27, 0x3fd24924
	s_delay_alu instid0(VALU_DEP_1) | instid1(SALU_CYCLE_1)
	v_fma_f64 v[162:163], v[149:150], v[162:163], s[26:27]
	s_mov_b32 s26, 0x998ef7b6
	s_mov_b32 s27, 0x3fd99999
	s_delay_alu instid0(VALU_DEP_1) | instid1(SALU_CYCLE_1)
	v_fma_f64 v[162:163], v[149:150], v[162:163], s[26:27]
	s_delay_alu instid0(VALU_DEP_1) | instskip(SKIP_2) | instid1(VALU_DEP_3)
	v_fma_f64 v[149:150], v[149:150], v[162:163], s[18:19]
	v_ldexp_f64 v[162:163], v[147:148], 1
	v_add_f64 v[147:148], v[147:148], -v[160:161]
	v_mul_f64 v[149:150], v[164:165], v[149:150]
	v_cvt_f64_i32_e32 v[164:165], v145
	s_delay_alu instid0(VALU_DEP_3) | instskip(NEXT) | instid1(VALU_DEP_3)
	v_add_f64 v[133:134], v[133:134], -v[147:148]
	v_add_f64 v[160:161], v[162:163], v[149:150]
	s_delay_alu instid0(VALU_DEP_3) | instskip(NEXT) | instid1(VALU_DEP_3)
	v_mul_f64 v[166:167], v[164:165], s[20:21]
	v_ldexp_f64 v[133:134], v[133:134], 1
	s_delay_alu instid0(VALU_DEP_3) | instskip(NEXT) | instid1(VALU_DEP_3)
	v_add_f64 v[147:148], v[160:161], -v[162:163]
	v_fma_f64 v[162:163], v[164:165], s[20:21], -v[166:167]
	s_delay_alu instid0(VALU_DEP_2) | instskip(NEXT) | instid1(VALU_DEP_2)
	v_add_f64 v[147:148], v[149:150], -v[147:148]
	v_fma_f64 v[149:150], v[164:165], s[22:23], v[162:163]
	s_delay_alu instid0(VALU_DEP_2) | instskip(NEXT) | instid1(VALU_DEP_2)
	v_add_f64 v[133:134], v[133:134], v[147:148]
	v_add_f64 v[147:148], v[166:167], v[149:150]
	s_delay_alu instid0(VALU_DEP_2) | instskip(NEXT) | instid1(VALU_DEP_2)
	v_add_f64 v[162:163], v[160:161], v[133:134]
	v_add_f64 v[166:167], v[147:148], -v[166:167]
	s_delay_alu instid0(VALU_DEP_2) | instskip(SKIP_1) | instid1(VALU_DEP_3)
	v_add_f64 v[164:165], v[147:148], v[162:163]
	v_add_f64 v[160:161], v[162:163], -v[160:161]
	v_add_f64 v[149:150], v[149:150], -v[166:167]
	s_delay_alu instid0(VALU_DEP_3) | instskip(NEXT) | instid1(VALU_DEP_3)
	v_add_f64 v[176:177], v[164:165], -v[147:148]
	v_add_f64 v[133:134], v[133:134], -v[160:161]
	s_delay_alu instid0(VALU_DEP_2) | instskip(SKIP_1) | instid1(VALU_DEP_3)
	v_add_f64 v[212:213], v[164:165], -v[176:177]
	v_add_f64 v[160:161], v[162:163], -v[176:177]
	v_add_f64 v[162:163], v[149:150], v[133:134]
	s_delay_alu instid0(VALU_DEP_3) | instskip(NEXT) | instid1(VALU_DEP_1)
	v_add_f64 v[147:148], v[147:148], -v[212:213]
	v_add_f64 v[147:148], v[160:161], v[147:148]
	s_delay_alu instid0(VALU_DEP_3) | instskip(NEXT) | instid1(VALU_DEP_2)
	v_add_f64 v[160:161], v[162:163], -v[149:150]
	v_add_f64 v[147:148], v[162:163], v[147:148]
	s_delay_alu instid0(VALU_DEP_2) | instskip(SKIP_1) | instid1(VALU_DEP_3)
	v_add_f64 v[162:163], v[162:163], -v[160:161]
	v_add_f64 v[133:134], v[133:134], -v[160:161]
	v_add_f64 v[166:167], v[164:165], v[147:148]
	s_delay_alu instid0(VALU_DEP_3) | instskip(NEXT) | instid1(VALU_DEP_2)
	v_add_f64 v[149:150], v[149:150], -v[162:163]
	v_add_f64 v[160:161], v[166:167], -v[164:165]
	s_delay_alu instid0(VALU_DEP_2) | instskip(NEXT) | instid1(VALU_DEP_2)
	v_add_f64 v[133:134], v[133:134], v[149:150]
	v_add_f64 v[147:148], v[147:148], -v[160:161]
	s_delay_alu instid0(VALU_DEP_1) | instskip(NEXT) | instid1(VALU_DEP_1)
	v_add_f64 v[133:134], v[133:134], v[147:148]
	v_add_f64 v[133:134], v[166:167], v[133:134]
	s_delay_alu instid0(VALU_DEP_1) | instskip(NEXT) | instid1(VALU_DEP_2)
	v_cndmask_b32_e64 v133, v133, v131, s17
	v_cndmask_b32_e64 v134, v134, v132, s17
	v_cmp_ngt_f64_e64 s17, -1.0, v[131:132]
	s_delay_alu instid0(VALU_DEP_1) | instskip(SKIP_1) | instid1(VALU_DEP_1)
	v_cndmask_b32_e64 v134, 0x7ff80000, v134, s17
	v_cmp_nge_f64_e64 s17, -1.0, v[131:132]
	v_cndmask_b32_e64 v133, 0, v133, s17
	v_cmp_neq_f64_e64 s17, -1.0, v[131:132]
	s_delay_alu instid0(VALU_DEP_1) | instskip(NEXT) | instid1(VALU_DEP_1)
	v_cndmask_b32_e64 v134, 0xfff00000, v134, s17
	v_add_f64 v[131:132], v[48:49], v[133:134]
.LBB76_297:
	s_or_b32 exec_lo, exec_lo, s25
	s_delay_alu instid0(VALU_DEP_1)
	v_dual_mov_b32 v48, v131 :: v_dual_mov_b32 v49, v132
	v_dual_mov_b32 v133, v131 :: v_dual_mov_b32 v134, v132
.LBB76_298:
	s_or_b32 exec_lo, exec_lo, s24
	s_delay_alu instid0(VALU_DEP_1) | instskip(NEXT) | instid1(VALU_DEP_2)
	v_mov_b32_dpp v131, v133 row_shr:4 row_mask:0xf bank_mask:0xf
	v_mov_b32_dpp v132, v134 row_shr:4 row_mask:0xf bank_mask:0xf
	s_mov_b32 s24, exec_lo
	v_cmpx_lt_u32_e32 3, v144
	s_cbranch_execz .LBB76_302
; %bb.299:
	s_delay_alu instid0(VALU_DEP_2) | instskip(SKIP_3) | instid1(VALU_DEP_3)
	v_max_f64 v[133:134], v[131:132], v[131:132]
	v_max_f64 v[147:148], v[48:49], v[48:49]
	v_cmp_u_f64_e64 s17, v[131:132], v[131:132]
	v_cmp_u_f64_e64 s18, v[48:49], v[48:49]
	v_min_f64 v[149:150], v[133:134], v[147:148]
	v_max_f64 v[133:134], v[133:134], v[147:148]
	s_delay_alu instid0(VALU_DEP_2) | instskip(NEXT) | instid1(VALU_DEP_3)
	v_cndmask_b32_e64 v145, v149, v131, s17
	v_cndmask_b32_e64 v147, v150, v132, s17
	s_delay_alu instid0(VALU_DEP_3) | instskip(NEXT) | instid1(VALU_DEP_4)
	v_cndmask_b32_e64 v148, v134, v132, s17
	v_cndmask_b32_e64 v149, v133, v131, s17
	s_delay_alu instid0(VALU_DEP_4) | instskip(NEXT) | instid1(VALU_DEP_4)
	v_cndmask_b32_e64 v133, v145, v48, s18
	v_cndmask_b32_e64 v134, v147, v49, s18
	s_delay_alu instid0(VALU_DEP_4) | instskip(NEXT) | instid1(VALU_DEP_4)
	v_cndmask_b32_e64 v49, v148, v49, s18
	v_cndmask_b32_e64 v48, v149, v48, s18
	s_delay_alu instid0(VALU_DEP_3) | instskip(NEXT) | instid1(VALU_DEP_2)
	v_cmp_class_f64_e64 s18, v[133:134], 0x1f8
	v_cmp_neq_f64_e64 s17, v[133:134], v[48:49]
	s_delay_alu instid0(VALU_DEP_1) | instskip(NEXT) | instid1(SALU_CYCLE_1)
	s_or_b32 s17, s17, s18
	s_and_saveexec_b32 s25, s17
	s_cbranch_execz .LBB76_301
; %bb.300:
	v_add_f64 v[131:132], v[133:134], -v[48:49]
	s_mov_b32 s18, 0x652b82fe
	s_mov_b32 s19, 0x3ff71547
	;; [unrolled: 1-line block ×10, first 2 shown]
	s_delay_alu instid0(VALU_DEP_1) | instskip(SKIP_3) | instid1(VALU_DEP_2)
	v_mul_f64 v[133:134], v[131:132], s[18:19]
	s_mov_b32 s18, 0xfca7ab0c
	s_mov_b32 s19, 0x3e928af3
	v_cmp_nlt_f64_e64 s17, 0x40900000, v[131:132]
	v_rndne_f64_e32 v[133:134], v[133:134]
	s_delay_alu instid0(VALU_DEP_1) | instskip(SKIP_2) | instid1(VALU_DEP_2)
	v_fma_f64 v[147:148], v[133:134], s[20:21], v[131:132]
	v_cvt_i32_f64_e32 v145, v[133:134]
	s_mov_b32 s21, 0x3fe62e42
	v_fma_f64 v[147:148], v[133:134], s[22:23], v[147:148]
	s_mov_b32 s23, 0x3c7abc9e
	s_delay_alu instid0(VALU_DEP_1) | instskip(SKIP_4) | instid1(VALU_DEP_1)
	v_fma_f64 v[149:150], v[147:148], s[26:27], s[18:19]
	s_mov_b32 s18, 0x623fde64
	s_mov_b32 s19, 0x3ec71dee
	;; [unrolled: 1-line block ×4, first 2 shown]
	v_fma_f64 v[149:150], v[147:148], v[149:150], s[18:19]
	s_mov_b32 s18, 0x7c89e6b0
	s_mov_b32 s19, 0x3efa0199
	s_delay_alu instid0(VALU_DEP_1) | instid1(SALU_CYCLE_1)
	v_fma_f64 v[149:150], v[147:148], v[149:150], s[18:19]
	s_mov_b32 s18, 0x14761f6e
	s_mov_b32 s19, 0x3f2a01a0
	s_delay_alu instid0(VALU_DEP_1) | instid1(SALU_CYCLE_1)
	;; [unrolled: 4-line block ×7, first 2 shown]
	v_fma_f64 v[149:150], v[147:148], v[149:150], s[18:19]
	v_cmp_ngt_f64_e64 s18, 0xc090cc00, v[131:132]
	s_mov_b32 s19, 0x3fe55555
	s_delay_alu instid0(VALU_DEP_2) | instskip(NEXT) | instid1(VALU_DEP_1)
	v_fma_f64 v[149:150], v[147:148], v[149:150], 1.0
	v_fma_f64 v[133:134], v[147:148], v[149:150], 1.0
	s_delay_alu instid0(VALU_DEP_1) | instskip(NEXT) | instid1(VALU_DEP_1)
	v_ldexp_f64 v[133:134], v[133:134], v145
	v_cndmask_b32_e64 v134, 0x7ff00000, v134, s17
	s_and_b32 s17, s18, s17
	s_delay_alu instid0(VALU_DEP_2) | instid1(SALU_CYCLE_1)
	v_cndmask_b32_e64 v131, 0, v133, s17
	s_delay_alu instid0(VALU_DEP_2) | instskip(SKIP_1) | instid1(VALU_DEP_1)
	v_cndmask_b32_e64 v132, 0, v134, s18
	s_mov_b32 s18, 0x55555555
	v_add_f64 v[133:134], v[131:132], 1.0
	s_delay_alu instid0(VALU_DEP_1) | instskip(SKIP_2) | instid1(VALU_DEP_3)
	v_frexp_mant_f64_e32 v[147:148], v[133:134]
	v_frexp_exp_i32_f64_e32 v145, v[133:134]
	v_add_f64 v[149:150], v[133:134], -1.0
	v_cmp_gt_f64_e64 s17, s[18:19], v[147:148]
	s_mov_b32 s18, 0x55555780
	s_delay_alu instid0(VALU_DEP_2) | instskip(SKIP_1) | instid1(VALU_DEP_3)
	v_add_f64 v[147:148], v[149:150], -v[133:134]
	v_add_f64 v[149:150], v[131:132], -v[149:150]
	v_subrev_co_ci_u32_e64 v145, s17, 0, v145, s17
	s_delay_alu instid0(VALU_DEP_3) | instskip(SKIP_1) | instid1(VALU_DEP_3)
	v_add_f64 v[147:148], v[147:148], 1.0
	v_cmp_eq_f64_e64 s17, 0x7ff00000, v[131:132]
	v_sub_nc_u32_e32 v151, 0, v145
	s_delay_alu instid0(VALU_DEP_1) | instskip(NEXT) | instid1(VALU_DEP_4)
	v_ldexp_f64 v[133:134], v[133:134], v151
	v_add_f64 v[147:148], v[149:150], v[147:148]
	s_delay_alu instid0(VALU_DEP_2) | instskip(SKIP_1) | instid1(VALU_DEP_3)
	v_add_f64 v[160:161], v[133:134], 1.0
	v_add_f64 v[166:167], v[133:134], -1.0
	v_ldexp_f64 v[147:148], v[147:148], v151
	s_delay_alu instid0(VALU_DEP_3) | instskip(NEXT) | instid1(VALU_DEP_3)
	v_add_f64 v[149:150], v[160:161], -1.0
	v_add_f64 v[176:177], v[166:167], 1.0
	s_delay_alu instid0(VALU_DEP_2) | instskip(NEXT) | instid1(VALU_DEP_2)
	v_add_f64 v[149:150], v[133:134], -v[149:150]
	v_add_f64 v[133:134], v[133:134], -v[176:177]
	s_delay_alu instid0(VALU_DEP_2) | instskip(NEXT) | instid1(VALU_DEP_2)
	v_add_f64 v[149:150], v[147:148], v[149:150]
	v_add_f64 v[133:134], v[147:148], v[133:134]
	s_delay_alu instid0(VALU_DEP_2) | instskip(NEXT) | instid1(VALU_DEP_2)
	v_add_f64 v[162:163], v[160:161], v[149:150]
	v_add_f64 v[176:177], v[166:167], v[133:134]
	s_delay_alu instid0(VALU_DEP_2) | instskip(SKIP_1) | instid1(VALU_DEP_2)
	v_rcp_f64_e32 v[164:165], v[162:163]
	v_add_f64 v[160:161], v[162:163], -v[160:161]
	v_add_f64 v[166:167], v[176:177], -v[166:167]
	s_delay_alu instid0(VALU_DEP_2) | instskip(SKIP_3) | instid1(VALU_DEP_2)
	v_add_f64 v[149:150], v[149:150], -v[160:161]
	s_waitcnt_depctr 0xfff
	v_fma_f64 v[212:213], -v[162:163], v[164:165], 1.0
	v_add_f64 v[133:134], v[133:134], -v[166:167]
	v_fma_f64 v[164:165], v[212:213], v[164:165], v[164:165]
	s_delay_alu instid0(VALU_DEP_1) | instskip(NEXT) | instid1(VALU_DEP_1)
	v_fma_f64 v[147:148], -v[162:163], v[164:165], 1.0
	v_fma_f64 v[147:148], v[147:148], v[164:165], v[164:165]
	s_delay_alu instid0(VALU_DEP_1) | instskip(NEXT) | instid1(VALU_DEP_1)
	v_mul_f64 v[164:165], v[176:177], v[147:148]
	v_mul_f64 v[212:213], v[162:163], v[164:165]
	s_delay_alu instid0(VALU_DEP_1) | instskip(NEXT) | instid1(VALU_DEP_1)
	v_fma_f64 v[160:161], v[164:165], v[162:163], -v[212:213]
	v_fma_f64 v[160:161], v[164:165], v[149:150], v[160:161]
	s_delay_alu instid0(VALU_DEP_1) | instskip(NEXT) | instid1(VALU_DEP_1)
	v_add_f64 v[214:215], v[212:213], v[160:161]
	v_add_f64 v[224:225], v[176:177], -v[214:215]
	v_add_f64 v[166:167], v[214:215], -v[212:213]
	s_delay_alu instid0(VALU_DEP_2) | instskip(NEXT) | instid1(VALU_DEP_2)
	v_add_f64 v[176:177], v[176:177], -v[224:225]
	v_add_f64 v[160:161], v[166:167], -v[160:161]
	s_delay_alu instid0(VALU_DEP_2) | instskip(NEXT) | instid1(VALU_DEP_1)
	v_add_f64 v[176:177], v[176:177], -v[214:215]
	v_add_f64 v[133:134], v[133:134], v[176:177]
	s_delay_alu instid0(VALU_DEP_1) | instskip(NEXT) | instid1(VALU_DEP_1)
	v_add_f64 v[133:134], v[160:161], v[133:134]
	v_add_f64 v[160:161], v[224:225], v[133:134]
	s_delay_alu instid0(VALU_DEP_1) | instskip(SKIP_1) | instid1(VALU_DEP_2)
	v_mul_f64 v[166:167], v[147:148], v[160:161]
	v_add_f64 v[214:215], v[224:225], -v[160:161]
	v_mul_f64 v[176:177], v[162:163], v[166:167]
	s_delay_alu instid0(VALU_DEP_2) | instskip(NEXT) | instid1(VALU_DEP_2)
	v_add_f64 v[133:134], v[133:134], v[214:215]
	v_fma_f64 v[162:163], v[166:167], v[162:163], -v[176:177]
	s_delay_alu instid0(VALU_DEP_1) | instskip(NEXT) | instid1(VALU_DEP_1)
	v_fma_f64 v[149:150], v[166:167], v[149:150], v[162:163]
	v_add_f64 v[162:163], v[176:177], v[149:150]
	s_delay_alu instid0(VALU_DEP_1) | instskip(SKIP_1) | instid1(VALU_DEP_2)
	v_add_f64 v[212:213], v[160:161], -v[162:163]
	v_add_f64 v[176:177], v[162:163], -v[176:177]
	v_add_f64 v[160:161], v[160:161], -v[212:213]
	s_delay_alu instid0(VALU_DEP_2) | instskip(NEXT) | instid1(VALU_DEP_2)
	v_add_f64 v[149:150], v[176:177], -v[149:150]
	v_add_f64 v[160:161], v[160:161], -v[162:163]
	s_delay_alu instid0(VALU_DEP_1) | instskip(SKIP_1) | instid1(VALU_DEP_2)
	v_add_f64 v[133:134], v[133:134], v[160:161]
	v_add_f64 v[160:161], v[164:165], v[166:167]
	;; [unrolled: 1-line block ×3, first 2 shown]
	s_delay_alu instid0(VALU_DEP_2) | instskip(NEXT) | instid1(VALU_DEP_2)
	v_add_f64 v[149:150], v[160:161], -v[164:165]
	v_add_f64 v[133:134], v[212:213], v[133:134]
	s_delay_alu instid0(VALU_DEP_2) | instskip(NEXT) | instid1(VALU_DEP_2)
	v_add_f64 v[149:150], v[166:167], -v[149:150]
	v_mul_f64 v[133:134], v[147:148], v[133:134]
	s_delay_alu instid0(VALU_DEP_1) | instskip(NEXT) | instid1(VALU_DEP_1)
	v_add_f64 v[133:134], v[149:150], v[133:134]
	v_add_f64 v[147:148], v[160:161], v[133:134]
	s_delay_alu instid0(VALU_DEP_1) | instskip(NEXT) | instid1(VALU_DEP_1)
	v_mul_f64 v[149:150], v[147:148], v[147:148]
	v_fma_f64 v[162:163], v[149:150], s[28:29], s[26:27]
	s_mov_b32 s26, 0xd7f4df2e
	s_mov_b32 s27, 0x3fc7474d
	v_mul_f64 v[164:165], v[147:148], v[149:150]
	s_delay_alu instid0(VALU_DEP_2)
	v_fma_f64 v[162:163], v[149:150], v[162:163], s[26:27]
	s_mov_b32 s26, 0x16291751
	s_mov_b32 s27, 0x3fcc71c0
	s_delay_alu instid0(VALU_DEP_1) | instid1(SALU_CYCLE_1)
	v_fma_f64 v[162:163], v[149:150], v[162:163], s[26:27]
	s_mov_b32 s26, 0x9b27acf1
	s_mov_b32 s27, 0x3fd24924
	s_delay_alu instid0(VALU_DEP_1) | instid1(SALU_CYCLE_1)
	;; [unrolled: 4-line block ×3, first 2 shown]
	v_fma_f64 v[162:163], v[149:150], v[162:163], s[26:27]
	s_delay_alu instid0(VALU_DEP_1) | instskip(SKIP_2) | instid1(VALU_DEP_3)
	v_fma_f64 v[149:150], v[149:150], v[162:163], s[18:19]
	v_ldexp_f64 v[162:163], v[147:148], 1
	v_add_f64 v[147:148], v[147:148], -v[160:161]
	v_mul_f64 v[149:150], v[164:165], v[149:150]
	v_cvt_f64_i32_e32 v[164:165], v145
	s_delay_alu instid0(VALU_DEP_3) | instskip(NEXT) | instid1(VALU_DEP_3)
	v_add_f64 v[133:134], v[133:134], -v[147:148]
	v_add_f64 v[160:161], v[162:163], v[149:150]
	s_delay_alu instid0(VALU_DEP_3) | instskip(NEXT) | instid1(VALU_DEP_3)
	v_mul_f64 v[166:167], v[164:165], s[20:21]
	v_ldexp_f64 v[133:134], v[133:134], 1
	s_delay_alu instid0(VALU_DEP_3) | instskip(NEXT) | instid1(VALU_DEP_3)
	v_add_f64 v[147:148], v[160:161], -v[162:163]
	v_fma_f64 v[162:163], v[164:165], s[20:21], -v[166:167]
	s_delay_alu instid0(VALU_DEP_2) | instskip(NEXT) | instid1(VALU_DEP_2)
	v_add_f64 v[147:148], v[149:150], -v[147:148]
	v_fma_f64 v[149:150], v[164:165], s[22:23], v[162:163]
	s_delay_alu instid0(VALU_DEP_2) | instskip(NEXT) | instid1(VALU_DEP_2)
	v_add_f64 v[133:134], v[133:134], v[147:148]
	v_add_f64 v[147:148], v[166:167], v[149:150]
	s_delay_alu instid0(VALU_DEP_2) | instskip(NEXT) | instid1(VALU_DEP_2)
	v_add_f64 v[162:163], v[160:161], v[133:134]
	v_add_f64 v[166:167], v[147:148], -v[166:167]
	s_delay_alu instid0(VALU_DEP_2) | instskip(SKIP_1) | instid1(VALU_DEP_3)
	v_add_f64 v[164:165], v[147:148], v[162:163]
	v_add_f64 v[160:161], v[162:163], -v[160:161]
	v_add_f64 v[149:150], v[149:150], -v[166:167]
	s_delay_alu instid0(VALU_DEP_3) | instskip(NEXT) | instid1(VALU_DEP_3)
	v_add_f64 v[176:177], v[164:165], -v[147:148]
	v_add_f64 v[133:134], v[133:134], -v[160:161]
	s_delay_alu instid0(VALU_DEP_2) | instskip(SKIP_1) | instid1(VALU_DEP_3)
	v_add_f64 v[212:213], v[164:165], -v[176:177]
	v_add_f64 v[160:161], v[162:163], -v[176:177]
	v_add_f64 v[162:163], v[149:150], v[133:134]
	s_delay_alu instid0(VALU_DEP_3) | instskip(NEXT) | instid1(VALU_DEP_1)
	v_add_f64 v[147:148], v[147:148], -v[212:213]
	v_add_f64 v[147:148], v[160:161], v[147:148]
	s_delay_alu instid0(VALU_DEP_3) | instskip(NEXT) | instid1(VALU_DEP_2)
	v_add_f64 v[160:161], v[162:163], -v[149:150]
	v_add_f64 v[147:148], v[162:163], v[147:148]
	s_delay_alu instid0(VALU_DEP_2) | instskip(SKIP_1) | instid1(VALU_DEP_3)
	v_add_f64 v[162:163], v[162:163], -v[160:161]
	v_add_f64 v[133:134], v[133:134], -v[160:161]
	v_add_f64 v[166:167], v[164:165], v[147:148]
	s_delay_alu instid0(VALU_DEP_3) | instskip(NEXT) | instid1(VALU_DEP_2)
	v_add_f64 v[149:150], v[149:150], -v[162:163]
	v_add_f64 v[160:161], v[166:167], -v[164:165]
	s_delay_alu instid0(VALU_DEP_2) | instskip(NEXT) | instid1(VALU_DEP_2)
	v_add_f64 v[133:134], v[133:134], v[149:150]
	v_add_f64 v[147:148], v[147:148], -v[160:161]
	s_delay_alu instid0(VALU_DEP_1) | instskip(NEXT) | instid1(VALU_DEP_1)
	v_add_f64 v[133:134], v[133:134], v[147:148]
	v_add_f64 v[133:134], v[166:167], v[133:134]
	s_delay_alu instid0(VALU_DEP_1) | instskip(NEXT) | instid1(VALU_DEP_2)
	v_cndmask_b32_e64 v133, v133, v131, s17
	v_cndmask_b32_e64 v134, v134, v132, s17
	v_cmp_ngt_f64_e64 s17, -1.0, v[131:132]
	s_delay_alu instid0(VALU_DEP_1) | instskip(SKIP_1) | instid1(VALU_DEP_1)
	v_cndmask_b32_e64 v134, 0x7ff80000, v134, s17
	v_cmp_nge_f64_e64 s17, -1.0, v[131:132]
	v_cndmask_b32_e64 v133, 0, v133, s17
	v_cmp_neq_f64_e64 s17, -1.0, v[131:132]
	s_delay_alu instid0(VALU_DEP_1) | instskip(NEXT) | instid1(VALU_DEP_1)
	v_cndmask_b32_e64 v134, 0xfff00000, v134, s17
	v_add_f64 v[131:132], v[48:49], v[133:134]
.LBB76_301:
	s_or_b32 exec_lo, exec_lo, s25
	s_delay_alu instid0(VALU_DEP_1)
	v_dual_mov_b32 v48, v131 :: v_dual_mov_b32 v49, v132
	v_dual_mov_b32 v133, v131 :: v_dual_mov_b32 v134, v132
.LBB76_302:
	s_or_b32 exec_lo, exec_lo, s24
	s_delay_alu instid0(VALU_DEP_1) | instskip(NEXT) | instid1(VALU_DEP_2)
	v_mov_b32_dpp v131, v133 row_shr:8 row_mask:0xf bank_mask:0xf
	v_mov_b32_dpp v132, v134 row_shr:8 row_mask:0xf bank_mask:0xf
	s_mov_b32 s24, exec_lo
	v_cmpx_lt_u32_e32 7, v144
	s_cbranch_execz .LBB76_306
; %bb.303:
	s_delay_alu instid0(VALU_DEP_2) | instskip(SKIP_3) | instid1(VALU_DEP_3)
	v_max_f64 v[133:134], v[131:132], v[131:132]
	v_max_f64 v[144:145], v[48:49], v[48:49]
	v_cmp_u_f64_e64 s17, v[131:132], v[131:132]
	v_cmp_u_f64_e64 s18, v[48:49], v[48:49]
	v_min_f64 v[147:148], v[133:134], v[144:145]
	v_max_f64 v[133:134], v[133:134], v[144:145]
	s_delay_alu instid0(VALU_DEP_2) | instskip(NEXT) | instid1(VALU_DEP_3)
	v_cndmask_b32_e64 v144, v147, v131, s17
	v_cndmask_b32_e64 v145, v148, v132, s17
	s_delay_alu instid0(VALU_DEP_3) | instskip(NEXT) | instid1(VALU_DEP_4)
	v_cndmask_b32_e64 v147, v134, v132, s17
	v_cndmask_b32_e64 v148, v133, v131, s17
	s_delay_alu instid0(VALU_DEP_4) | instskip(NEXT) | instid1(VALU_DEP_4)
	v_cndmask_b32_e64 v133, v144, v48, s18
	v_cndmask_b32_e64 v134, v145, v49, s18
	s_delay_alu instid0(VALU_DEP_4) | instskip(NEXT) | instid1(VALU_DEP_4)
	v_cndmask_b32_e64 v49, v147, v49, s18
	v_cndmask_b32_e64 v48, v148, v48, s18
	s_delay_alu instid0(VALU_DEP_3) | instskip(NEXT) | instid1(VALU_DEP_2)
	v_cmp_class_f64_e64 s18, v[133:134], 0x1f8
	v_cmp_neq_f64_e64 s17, v[133:134], v[48:49]
	s_delay_alu instid0(VALU_DEP_1) | instskip(NEXT) | instid1(SALU_CYCLE_1)
	s_or_b32 s17, s17, s18
	s_and_saveexec_b32 s25, s17
	s_cbranch_execz .LBB76_305
; %bb.304:
	v_add_f64 v[131:132], v[133:134], -v[48:49]
	s_mov_b32 s18, 0x652b82fe
	s_mov_b32 s19, 0x3ff71547
	;; [unrolled: 1-line block ×10, first 2 shown]
	s_delay_alu instid0(VALU_DEP_1) | instskip(SKIP_3) | instid1(VALU_DEP_2)
	v_mul_f64 v[133:134], v[131:132], s[18:19]
	s_mov_b32 s18, 0xfca7ab0c
	s_mov_b32 s19, 0x3e928af3
	v_cmp_nlt_f64_e64 s17, 0x40900000, v[131:132]
	v_rndne_f64_e32 v[133:134], v[133:134]
	s_delay_alu instid0(VALU_DEP_1) | instskip(SKIP_2) | instid1(VALU_DEP_2)
	v_fma_f64 v[144:145], v[133:134], s[20:21], v[131:132]
	v_cvt_i32_f64_e32 v149, v[133:134]
	s_mov_b32 s21, 0x3fe62e42
	v_fma_f64 v[144:145], v[133:134], s[22:23], v[144:145]
	s_mov_b32 s23, 0x3c7abc9e
	s_delay_alu instid0(VALU_DEP_1) | instskip(SKIP_4) | instid1(VALU_DEP_1)
	v_fma_f64 v[147:148], v[144:145], s[26:27], s[18:19]
	s_mov_b32 s18, 0x623fde64
	s_mov_b32 s19, 0x3ec71dee
	s_mov_b32 s26, 0x6b47b09a
	s_mov_b32 s27, 0x3fc38538
	v_fma_f64 v[147:148], v[144:145], v[147:148], s[18:19]
	s_mov_b32 s18, 0x7c89e6b0
	s_mov_b32 s19, 0x3efa0199
	s_delay_alu instid0(VALU_DEP_1) | instid1(SALU_CYCLE_1)
	v_fma_f64 v[147:148], v[144:145], v[147:148], s[18:19]
	s_mov_b32 s18, 0x14761f6e
	s_mov_b32 s19, 0x3f2a01a0
	s_delay_alu instid0(VALU_DEP_1) | instid1(SALU_CYCLE_1)
	;; [unrolled: 4-line block ×7, first 2 shown]
	v_fma_f64 v[147:148], v[144:145], v[147:148], s[18:19]
	v_cmp_ngt_f64_e64 s18, 0xc090cc00, v[131:132]
	s_mov_b32 s19, 0x3fe55555
	s_delay_alu instid0(VALU_DEP_2) | instskip(NEXT) | instid1(VALU_DEP_1)
	v_fma_f64 v[147:148], v[144:145], v[147:148], 1.0
	v_fma_f64 v[133:134], v[144:145], v[147:148], 1.0
	s_delay_alu instid0(VALU_DEP_1) | instskip(NEXT) | instid1(VALU_DEP_1)
	v_ldexp_f64 v[133:134], v[133:134], v149
	v_cndmask_b32_e64 v134, 0x7ff00000, v134, s17
	s_and_b32 s17, s18, s17
	s_delay_alu instid0(VALU_DEP_2) | instid1(SALU_CYCLE_1)
	v_cndmask_b32_e64 v131, 0, v133, s17
	s_delay_alu instid0(VALU_DEP_2) | instskip(SKIP_1) | instid1(VALU_DEP_1)
	v_cndmask_b32_e64 v132, 0, v134, s18
	s_mov_b32 s18, 0x55555555
	v_add_f64 v[133:134], v[131:132], 1.0
	s_delay_alu instid0(VALU_DEP_1) | instskip(SKIP_2) | instid1(VALU_DEP_3)
	v_frexp_mant_f64_e32 v[144:145], v[133:134]
	v_frexp_exp_i32_f64_e32 v149, v[133:134]
	v_add_f64 v[147:148], v[133:134], -1.0
	v_cmp_gt_f64_e64 s17, s[18:19], v[144:145]
	s_mov_b32 s18, 0x55555780
	s_delay_alu instid0(VALU_DEP_2) | instskip(SKIP_1) | instid1(VALU_DEP_3)
	v_add_f64 v[144:145], v[147:148], -v[133:134]
	v_add_f64 v[147:148], v[131:132], -v[147:148]
	v_subrev_co_ci_u32_e64 v151, s17, 0, v149, s17
	s_delay_alu instid0(VALU_DEP_3) | instskip(SKIP_1) | instid1(VALU_DEP_3)
	v_add_f64 v[144:145], v[144:145], 1.0
	v_cmp_eq_f64_e64 s17, 0x7ff00000, v[131:132]
	v_sub_nc_u32_e32 v160, 0, v151
	s_delay_alu instid0(VALU_DEP_1) | instskip(NEXT) | instid1(VALU_DEP_4)
	v_ldexp_f64 v[133:134], v[133:134], v160
	v_add_f64 v[144:145], v[147:148], v[144:145]
	s_delay_alu instid0(VALU_DEP_2) | instskip(SKIP_1) | instid1(VALU_DEP_3)
	v_add_f64 v[149:150], v[133:134], 1.0
	v_add_f64 v[164:165], v[133:134], -1.0
	v_ldexp_f64 v[144:145], v[144:145], v160
	s_delay_alu instid0(VALU_DEP_3) | instskip(NEXT) | instid1(VALU_DEP_3)
	v_add_f64 v[147:148], v[149:150], -1.0
	v_add_f64 v[166:167], v[164:165], 1.0
	s_delay_alu instid0(VALU_DEP_2) | instskip(NEXT) | instid1(VALU_DEP_2)
	v_add_f64 v[147:148], v[133:134], -v[147:148]
	v_add_f64 v[133:134], v[133:134], -v[166:167]
	s_delay_alu instid0(VALU_DEP_2) | instskip(NEXT) | instid1(VALU_DEP_2)
	v_add_f64 v[147:148], v[144:145], v[147:148]
	v_add_f64 v[133:134], v[144:145], v[133:134]
	s_delay_alu instid0(VALU_DEP_2) | instskip(NEXT) | instid1(VALU_DEP_2)
	v_add_f64 v[160:161], v[149:150], v[147:148]
	v_add_f64 v[166:167], v[164:165], v[133:134]
	s_delay_alu instid0(VALU_DEP_2) | instskip(SKIP_1) | instid1(VALU_DEP_2)
	v_rcp_f64_e32 v[162:163], v[160:161]
	v_add_f64 v[149:150], v[160:161], -v[149:150]
	v_add_f64 v[164:165], v[166:167], -v[164:165]
	s_delay_alu instid0(VALU_DEP_2) | instskip(SKIP_3) | instid1(VALU_DEP_2)
	v_add_f64 v[147:148], v[147:148], -v[149:150]
	s_waitcnt_depctr 0xfff
	v_fma_f64 v[176:177], -v[160:161], v[162:163], 1.0
	v_add_f64 v[133:134], v[133:134], -v[164:165]
	v_fma_f64 v[162:163], v[176:177], v[162:163], v[162:163]
	s_delay_alu instid0(VALU_DEP_1) | instskip(NEXT) | instid1(VALU_DEP_1)
	v_fma_f64 v[144:145], -v[160:161], v[162:163], 1.0
	v_fma_f64 v[144:145], v[144:145], v[162:163], v[162:163]
	s_delay_alu instid0(VALU_DEP_1) | instskip(NEXT) | instid1(VALU_DEP_1)
	v_mul_f64 v[162:163], v[166:167], v[144:145]
	v_mul_f64 v[176:177], v[160:161], v[162:163]
	s_delay_alu instid0(VALU_DEP_1) | instskip(NEXT) | instid1(VALU_DEP_1)
	v_fma_f64 v[149:150], v[162:163], v[160:161], -v[176:177]
	v_fma_f64 v[149:150], v[162:163], v[147:148], v[149:150]
	s_delay_alu instid0(VALU_DEP_1) | instskip(NEXT) | instid1(VALU_DEP_1)
	v_add_f64 v[212:213], v[176:177], v[149:150]
	v_add_f64 v[214:215], v[166:167], -v[212:213]
	v_add_f64 v[164:165], v[212:213], -v[176:177]
	s_delay_alu instid0(VALU_DEP_2) | instskip(NEXT) | instid1(VALU_DEP_2)
	v_add_f64 v[166:167], v[166:167], -v[214:215]
	v_add_f64 v[149:150], v[164:165], -v[149:150]
	s_delay_alu instid0(VALU_DEP_2) | instskip(NEXT) | instid1(VALU_DEP_1)
	v_add_f64 v[166:167], v[166:167], -v[212:213]
	v_add_f64 v[133:134], v[133:134], v[166:167]
	s_delay_alu instid0(VALU_DEP_1) | instskip(NEXT) | instid1(VALU_DEP_1)
	v_add_f64 v[133:134], v[149:150], v[133:134]
	v_add_f64 v[149:150], v[214:215], v[133:134]
	s_delay_alu instid0(VALU_DEP_1) | instskip(SKIP_1) | instid1(VALU_DEP_2)
	v_mul_f64 v[164:165], v[144:145], v[149:150]
	v_add_f64 v[212:213], v[214:215], -v[149:150]
	v_mul_f64 v[166:167], v[160:161], v[164:165]
	s_delay_alu instid0(VALU_DEP_2) | instskip(NEXT) | instid1(VALU_DEP_2)
	v_add_f64 v[133:134], v[133:134], v[212:213]
	v_fma_f64 v[160:161], v[164:165], v[160:161], -v[166:167]
	s_delay_alu instid0(VALU_DEP_1) | instskip(NEXT) | instid1(VALU_DEP_1)
	v_fma_f64 v[147:148], v[164:165], v[147:148], v[160:161]
	v_add_f64 v[160:161], v[166:167], v[147:148]
	s_delay_alu instid0(VALU_DEP_1) | instskip(SKIP_1) | instid1(VALU_DEP_2)
	v_add_f64 v[176:177], v[149:150], -v[160:161]
	v_add_f64 v[166:167], v[160:161], -v[166:167]
	;; [unrolled: 1-line block ×3, first 2 shown]
	s_delay_alu instid0(VALU_DEP_2) | instskip(NEXT) | instid1(VALU_DEP_2)
	v_add_f64 v[147:148], v[166:167], -v[147:148]
	v_add_f64 v[149:150], v[149:150], -v[160:161]
	s_delay_alu instid0(VALU_DEP_1) | instskip(SKIP_1) | instid1(VALU_DEP_2)
	v_add_f64 v[133:134], v[133:134], v[149:150]
	v_add_f64 v[149:150], v[162:163], v[164:165]
	;; [unrolled: 1-line block ×3, first 2 shown]
	s_delay_alu instid0(VALU_DEP_2) | instskip(NEXT) | instid1(VALU_DEP_2)
	v_add_f64 v[147:148], v[149:150], -v[162:163]
	v_add_f64 v[133:134], v[176:177], v[133:134]
	s_delay_alu instid0(VALU_DEP_2) | instskip(NEXT) | instid1(VALU_DEP_2)
	v_add_f64 v[147:148], v[164:165], -v[147:148]
	v_mul_f64 v[133:134], v[144:145], v[133:134]
	s_delay_alu instid0(VALU_DEP_1) | instskip(NEXT) | instid1(VALU_DEP_1)
	v_add_f64 v[133:134], v[147:148], v[133:134]
	v_add_f64 v[144:145], v[149:150], v[133:134]
	s_delay_alu instid0(VALU_DEP_1) | instskip(NEXT) | instid1(VALU_DEP_1)
	v_mul_f64 v[147:148], v[144:145], v[144:145]
	v_fma_f64 v[160:161], v[147:148], s[28:29], s[26:27]
	s_mov_b32 s26, 0xd7f4df2e
	s_mov_b32 s27, 0x3fc7474d
	v_mul_f64 v[162:163], v[144:145], v[147:148]
	s_delay_alu instid0(VALU_DEP_2)
	v_fma_f64 v[160:161], v[147:148], v[160:161], s[26:27]
	s_mov_b32 s26, 0x16291751
	s_mov_b32 s27, 0x3fcc71c0
	s_delay_alu instid0(VALU_DEP_1) | instid1(SALU_CYCLE_1)
	v_fma_f64 v[160:161], v[147:148], v[160:161], s[26:27]
	s_mov_b32 s26, 0x9b27acf1
	s_mov_b32 s27, 0x3fd24924
	s_delay_alu instid0(VALU_DEP_1) | instid1(SALU_CYCLE_1)
	;; [unrolled: 4-line block ×3, first 2 shown]
	v_fma_f64 v[160:161], v[147:148], v[160:161], s[26:27]
	s_delay_alu instid0(VALU_DEP_1) | instskip(SKIP_2) | instid1(VALU_DEP_3)
	v_fma_f64 v[147:148], v[147:148], v[160:161], s[18:19]
	v_ldexp_f64 v[160:161], v[144:145], 1
	v_add_f64 v[144:145], v[144:145], -v[149:150]
	v_mul_f64 v[147:148], v[162:163], v[147:148]
	v_cvt_f64_i32_e32 v[162:163], v151
	s_delay_alu instid0(VALU_DEP_3) | instskip(NEXT) | instid1(VALU_DEP_3)
	v_add_f64 v[133:134], v[133:134], -v[144:145]
	v_add_f64 v[149:150], v[160:161], v[147:148]
	s_delay_alu instid0(VALU_DEP_3) | instskip(NEXT) | instid1(VALU_DEP_3)
	v_mul_f64 v[164:165], v[162:163], s[20:21]
	v_ldexp_f64 v[133:134], v[133:134], 1
	s_delay_alu instid0(VALU_DEP_3) | instskip(NEXT) | instid1(VALU_DEP_3)
	v_add_f64 v[144:145], v[149:150], -v[160:161]
	v_fma_f64 v[160:161], v[162:163], s[20:21], -v[164:165]
	s_delay_alu instid0(VALU_DEP_2) | instskip(NEXT) | instid1(VALU_DEP_2)
	v_add_f64 v[144:145], v[147:148], -v[144:145]
	v_fma_f64 v[147:148], v[162:163], s[22:23], v[160:161]
	s_delay_alu instid0(VALU_DEP_2) | instskip(NEXT) | instid1(VALU_DEP_2)
	v_add_f64 v[133:134], v[133:134], v[144:145]
	v_add_f64 v[144:145], v[164:165], v[147:148]
	s_delay_alu instid0(VALU_DEP_2) | instskip(NEXT) | instid1(VALU_DEP_2)
	v_add_f64 v[160:161], v[149:150], v[133:134]
	v_add_f64 v[164:165], v[144:145], -v[164:165]
	s_delay_alu instid0(VALU_DEP_2) | instskip(SKIP_1) | instid1(VALU_DEP_3)
	v_add_f64 v[162:163], v[144:145], v[160:161]
	v_add_f64 v[149:150], v[160:161], -v[149:150]
	v_add_f64 v[147:148], v[147:148], -v[164:165]
	s_delay_alu instid0(VALU_DEP_3) | instskip(NEXT) | instid1(VALU_DEP_3)
	v_add_f64 v[166:167], v[162:163], -v[144:145]
	v_add_f64 v[133:134], v[133:134], -v[149:150]
	s_delay_alu instid0(VALU_DEP_2) | instskip(SKIP_1) | instid1(VALU_DEP_3)
	v_add_f64 v[176:177], v[162:163], -v[166:167]
	v_add_f64 v[149:150], v[160:161], -v[166:167]
	v_add_f64 v[160:161], v[147:148], v[133:134]
	s_delay_alu instid0(VALU_DEP_3) | instskip(NEXT) | instid1(VALU_DEP_1)
	v_add_f64 v[144:145], v[144:145], -v[176:177]
	v_add_f64 v[144:145], v[149:150], v[144:145]
	s_delay_alu instid0(VALU_DEP_3) | instskip(NEXT) | instid1(VALU_DEP_2)
	v_add_f64 v[149:150], v[160:161], -v[147:148]
	v_add_f64 v[144:145], v[160:161], v[144:145]
	s_delay_alu instid0(VALU_DEP_2) | instskip(SKIP_1) | instid1(VALU_DEP_3)
	v_add_f64 v[160:161], v[160:161], -v[149:150]
	v_add_f64 v[133:134], v[133:134], -v[149:150]
	v_add_f64 v[164:165], v[162:163], v[144:145]
	s_delay_alu instid0(VALU_DEP_3) | instskip(NEXT) | instid1(VALU_DEP_2)
	v_add_f64 v[147:148], v[147:148], -v[160:161]
	v_add_f64 v[149:150], v[164:165], -v[162:163]
	s_delay_alu instid0(VALU_DEP_2) | instskip(NEXT) | instid1(VALU_DEP_2)
	v_add_f64 v[133:134], v[133:134], v[147:148]
	v_add_f64 v[144:145], v[144:145], -v[149:150]
	s_delay_alu instid0(VALU_DEP_1) | instskip(NEXT) | instid1(VALU_DEP_1)
	v_add_f64 v[133:134], v[133:134], v[144:145]
	v_add_f64 v[133:134], v[164:165], v[133:134]
	s_delay_alu instid0(VALU_DEP_1) | instskip(NEXT) | instid1(VALU_DEP_2)
	v_cndmask_b32_e64 v133, v133, v131, s17
	v_cndmask_b32_e64 v134, v134, v132, s17
	v_cmp_ngt_f64_e64 s17, -1.0, v[131:132]
	s_delay_alu instid0(VALU_DEP_1) | instskip(SKIP_1) | instid1(VALU_DEP_1)
	v_cndmask_b32_e64 v134, 0x7ff80000, v134, s17
	v_cmp_nge_f64_e64 s17, -1.0, v[131:132]
	v_cndmask_b32_e64 v133, 0, v133, s17
	v_cmp_neq_f64_e64 s17, -1.0, v[131:132]
	s_delay_alu instid0(VALU_DEP_1) | instskip(NEXT) | instid1(VALU_DEP_1)
	v_cndmask_b32_e64 v134, 0xfff00000, v134, s17
	v_add_f64 v[131:132], v[48:49], v[133:134]
.LBB76_305:
	s_or_b32 exec_lo, exec_lo, s25
	s_delay_alu instid0(VALU_DEP_1)
	v_dual_mov_b32 v133, v131 :: v_dual_mov_b32 v134, v132
	v_dual_mov_b32 v48, v131 :: v_dual_mov_b32 v49, v132
.LBB76_306:
	s_or_b32 exec_lo, exec_lo, s24
	ds_swizzle_b32 v131, v133 offset:swizzle(BROADCAST,32,15)
	ds_swizzle_b32 v132, v134 offset:swizzle(BROADCAST,32,15)
	v_and_b32_e32 v133, 16, v146
	s_mov_b32 s24, exec_lo
	s_delay_alu instid0(VALU_DEP_1)
	v_cmpx_ne_u32_e32 0, v133
	s_cbranch_execz .LBB76_310
; %bb.307:
	s_waitcnt lgkmcnt(0)
	v_max_f64 v[133:134], v[131:132], v[131:132]
	v_max_f64 v[144:145], v[48:49], v[48:49]
	v_cmp_u_f64_e64 s17, v[131:132], v[131:132]
	v_cmp_u_f64_e64 s18, v[48:49], v[48:49]
	s_delay_alu instid0(VALU_DEP_3) | instskip(SKIP_1) | instid1(VALU_DEP_2)
	v_min_f64 v[147:148], v[133:134], v[144:145]
	v_max_f64 v[133:134], v[133:134], v[144:145]
	v_cndmask_b32_e64 v144, v147, v131, s17
	s_delay_alu instid0(VALU_DEP_3) | instskip(NEXT) | instid1(VALU_DEP_3)
	v_cndmask_b32_e64 v145, v148, v132, s17
	v_cndmask_b32_e64 v147, v134, v132, s17
	s_delay_alu instid0(VALU_DEP_4) | instskip(NEXT) | instid1(VALU_DEP_4)
	v_cndmask_b32_e64 v148, v133, v131, s17
	v_cndmask_b32_e64 v133, v144, v48, s18
	s_delay_alu instid0(VALU_DEP_4) | instskip(NEXT) | instid1(VALU_DEP_4)
	v_cndmask_b32_e64 v134, v145, v49, s18
	v_cndmask_b32_e64 v49, v147, v49, s18
	s_delay_alu instid0(VALU_DEP_4) | instskip(NEXT) | instid1(VALU_DEP_3)
	v_cndmask_b32_e64 v48, v148, v48, s18
	v_cmp_class_f64_e64 s18, v[133:134], 0x1f8
	s_delay_alu instid0(VALU_DEP_2) | instskip(NEXT) | instid1(VALU_DEP_1)
	v_cmp_neq_f64_e64 s17, v[133:134], v[48:49]
	s_or_b32 s17, s17, s18
	s_delay_alu instid0(SALU_CYCLE_1)
	s_and_saveexec_b32 s25, s17
	s_cbranch_execz .LBB76_309
; %bb.308:
	v_add_f64 v[131:132], v[133:134], -v[48:49]
	s_mov_b32 s18, 0x652b82fe
	s_mov_b32 s19, 0x3ff71547
	;; [unrolled: 1-line block ×10, first 2 shown]
	s_delay_alu instid0(VALU_DEP_1) | instskip(SKIP_3) | instid1(VALU_DEP_2)
	v_mul_f64 v[133:134], v[131:132], s[18:19]
	s_mov_b32 s18, 0xfca7ab0c
	s_mov_b32 s19, 0x3e928af3
	v_cmp_nlt_f64_e64 s17, 0x40900000, v[131:132]
	v_rndne_f64_e32 v[133:134], v[133:134]
	s_delay_alu instid0(VALU_DEP_1) | instskip(SKIP_2) | instid1(VALU_DEP_2)
	v_fma_f64 v[144:145], v[133:134], s[20:21], v[131:132]
	v_cvt_i32_f64_e32 v149, v[133:134]
	s_mov_b32 s21, 0x3fe62e42
	v_fma_f64 v[144:145], v[133:134], s[22:23], v[144:145]
	s_mov_b32 s23, 0x3c7abc9e
	s_delay_alu instid0(VALU_DEP_1) | instskip(SKIP_4) | instid1(VALU_DEP_1)
	v_fma_f64 v[147:148], v[144:145], s[26:27], s[18:19]
	s_mov_b32 s18, 0x623fde64
	s_mov_b32 s19, 0x3ec71dee
	;; [unrolled: 1-line block ×4, first 2 shown]
	v_fma_f64 v[147:148], v[144:145], v[147:148], s[18:19]
	s_mov_b32 s18, 0x7c89e6b0
	s_mov_b32 s19, 0x3efa0199
	s_delay_alu instid0(VALU_DEP_1) | instid1(SALU_CYCLE_1)
	v_fma_f64 v[147:148], v[144:145], v[147:148], s[18:19]
	s_mov_b32 s18, 0x14761f6e
	s_mov_b32 s19, 0x3f2a01a0
	s_delay_alu instid0(VALU_DEP_1) | instid1(SALU_CYCLE_1)
	v_fma_f64 v[147:148], v[144:145], v[147:148], s[18:19]
	s_mov_b32 s18, 0x1852b7b0
	s_mov_b32 s19, 0x3f56c16c
	s_delay_alu instid0(VALU_DEP_1) | instid1(SALU_CYCLE_1)
	v_fma_f64 v[147:148], v[144:145], v[147:148], s[18:19]
	s_mov_b32 s18, 0x11122322
	s_mov_b32 s19, 0x3f811111
	s_delay_alu instid0(VALU_DEP_1) | instid1(SALU_CYCLE_1)
	v_fma_f64 v[147:148], v[144:145], v[147:148], s[18:19]
	s_mov_b32 s18, 0x555502a1
	s_mov_b32 s19, 0x3fa55555
	s_delay_alu instid0(VALU_DEP_1) | instid1(SALU_CYCLE_1)
	v_fma_f64 v[147:148], v[144:145], v[147:148], s[18:19]
	s_mov_b32 s18, 0x55555511
	s_mov_b32 s19, 0x3fc55555
	s_delay_alu instid0(VALU_DEP_1) | instid1(SALU_CYCLE_1)
	v_fma_f64 v[147:148], v[144:145], v[147:148], s[18:19]
	s_mov_b32 s18, 11
	s_mov_b32 s19, 0x3fe00000
	s_delay_alu instid0(VALU_DEP_1) | instid1(SALU_CYCLE_1)
	v_fma_f64 v[147:148], v[144:145], v[147:148], s[18:19]
	v_cmp_ngt_f64_e64 s18, 0xc090cc00, v[131:132]
	s_mov_b32 s19, 0x3fe55555
	s_delay_alu instid0(VALU_DEP_2) | instskip(NEXT) | instid1(VALU_DEP_1)
	v_fma_f64 v[147:148], v[144:145], v[147:148], 1.0
	v_fma_f64 v[133:134], v[144:145], v[147:148], 1.0
	s_delay_alu instid0(VALU_DEP_1) | instskip(NEXT) | instid1(VALU_DEP_1)
	v_ldexp_f64 v[133:134], v[133:134], v149
	v_cndmask_b32_e64 v134, 0x7ff00000, v134, s17
	s_and_b32 s17, s18, s17
	s_delay_alu instid0(VALU_DEP_2) | instid1(SALU_CYCLE_1)
	v_cndmask_b32_e64 v131, 0, v133, s17
	s_delay_alu instid0(VALU_DEP_2) | instskip(SKIP_1) | instid1(VALU_DEP_1)
	v_cndmask_b32_e64 v132, 0, v134, s18
	s_mov_b32 s18, 0x55555555
	v_add_f64 v[133:134], v[131:132], 1.0
	s_delay_alu instid0(VALU_DEP_1) | instskip(SKIP_2) | instid1(VALU_DEP_3)
	v_frexp_mant_f64_e32 v[144:145], v[133:134]
	v_frexp_exp_i32_f64_e32 v149, v[133:134]
	v_add_f64 v[147:148], v[133:134], -1.0
	v_cmp_gt_f64_e64 s17, s[18:19], v[144:145]
	s_mov_b32 s18, 0x55555780
	s_delay_alu instid0(VALU_DEP_2) | instskip(SKIP_1) | instid1(VALU_DEP_3)
	v_add_f64 v[144:145], v[147:148], -v[133:134]
	v_add_f64 v[147:148], v[131:132], -v[147:148]
	v_subrev_co_ci_u32_e64 v151, s17, 0, v149, s17
	s_delay_alu instid0(VALU_DEP_3) | instskip(SKIP_1) | instid1(VALU_DEP_3)
	v_add_f64 v[144:145], v[144:145], 1.0
	v_cmp_eq_f64_e64 s17, 0x7ff00000, v[131:132]
	v_sub_nc_u32_e32 v160, 0, v151
	s_delay_alu instid0(VALU_DEP_1) | instskip(NEXT) | instid1(VALU_DEP_4)
	v_ldexp_f64 v[133:134], v[133:134], v160
	v_add_f64 v[144:145], v[147:148], v[144:145]
	s_delay_alu instid0(VALU_DEP_2) | instskip(SKIP_1) | instid1(VALU_DEP_3)
	v_add_f64 v[149:150], v[133:134], 1.0
	v_add_f64 v[164:165], v[133:134], -1.0
	v_ldexp_f64 v[144:145], v[144:145], v160
	s_delay_alu instid0(VALU_DEP_3) | instskip(NEXT) | instid1(VALU_DEP_3)
	v_add_f64 v[147:148], v[149:150], -1.0
	v_add_f64 v[166:167], v[164:165], 1.0
	s_delay_alu instid0(VALU_DEP_2) | instskip(NEXT) | instid1(VALU_DEP_2)
	v_add_f64 v[147:148], v[133:134], -v[147:148]
	v_add_f64 v[133:134], v[133:134], -v[166:167]
	s_delay_alu instid0(VALU_DEP_2) | instskip(NEXT) | instid1(VALU_DEP_2)
	v_add_f64 v[147:148], v[144:145], v[147:148]
	v_add_f64 v[133:134], v[144:145], v[133:134]
	s_delay_alu instid0(VALU_DEP_2) | instskip(NEXT) | instid1(VALU_DEP_2)
	v_add_f64 v[160:161], v[149:150], v[147:148]
	v_add_f64 v[166:167], v[164:165], v[133:134]
	s_delay_alu instid0(VALU_DEP_2) | instskip(SKIP_1) | instid1(VALU_DEP_2)
	v_rcp_f64_e32 v[162:163], v[160:161]
	v_add_f64 v[149:150], v[160:161], -v[149:150]
	v_add_f64 v[164:165], v[166:167], -v[164:165]
	s_delay_alu instid0(VALU_DEP_2) | instskip(SKIP_3) | instid1(VALU_DEP_2)
	v_add_f64 v[147:148], v[147:148], -v[149:150]
	s_waitcnt_depctr 0xfff
	v_fma_f64 v[176:177], -v[160:161], v[162:163], 1.0
	v_add_f64 v[133:134], v[133:134], -v[164:165]
	v_fma_f64 v[162:163], v[176:177], v[162:163], v[162:163]
	s_delay_alu instid0(VALU_DEP_1) | instskip(NEXT) | instid1(VALU_DEP_1)
	v_fma_f64 v[144:145], -v[160:161], v[162:163], 1.0
	v_fma_f64 v[144:145], v[144:145], v[162:163], v[162:163]
	s_delay_alu instid0(VALU_DEP_1) | instskip(NEXT) | instid1(VALU_DEP_1)
	v_mul_f64 v[162:163], v[166:167], v[144:145]
	v_mul_f64 v[176:177], v[160:161], v[162:163]
	s_delay_alu instid0(VALU_DEP_1) | instskip(NEXT) | instid1(VALU_DEP_1)
	v_fma_f64 v[149:150], v[162:163], v[160:161], -v[176:177]
	v_fma_f64 v[149:150], v[162:163], v[147:148], v[149:150]
	s_delay_alu instid0(VALU_DEP_1) | instskip(NEXT) | instid1(VALU_DEP_1)
	v_add_f64 v[212:213], v[176:177], v[149:150]
	v_add_f64 v[214:215], v[166:167], -v[212:213]
	v_add_f64 v[164:165], v[212:213], -v[176:177]
	s_delay_alu instid0(VALU_DEP_2) | instskip(NEXT) | instid1(VALU_DEP_2)
	v_add_f64 v[166:167], v[166:167], -v[214:215]
	v_add_f64 v[149:150], v[164:165], -v[149:150]
	s_delay_alu instid0(VALU_DEP_2) | instskip(NEXT) | instid1(VALU_DEP_1)
	v_add_f64 v[166:167], v[166:167], -v[212:213]
	v_add_f64 v[133:134], v[133:134], v[166:167]
	s_delay_alu instid0(VALU_DEP_1) | instskip(NEXT) | instid1(VALU_DEP_1)
	v_add_f64 v[133:134], v[149:150], v[133:134]
	v_add_f64 v[149:150], v[214:215], v[133:134]
	s_delay_alu instid0(VALU_DEP_1) | instskip(SKIP_1) | instid1(VALU_DEP_2)
	v_mul_f64 v[164:165], v[144:145], v[149:150]
	v_add_f64 v[212:213], v[214:215], -v[149:150]
	v_mul_f64 v[166:167], v[160:161], v[164:165]
	s_delay_alu instid0(VALU_DEP_2) | instskip(NEXT) | instid1(VALU_DEP_2)
	v_add_f64 v[133:134], v[133:134], v[212:213]
	v_fma_f64 v[160:161], v[164:165], v[160:161], -v[166:167]
	s_delay_alu instid0(VALU_DEP_1) | instskip(NEXT) | instid1(VALU_DEP_1)
	v_fma_f64 v[147:148], v[164:165], v[147:148], v[160:161]
	v_add_f64 v[160:161], v[166:167], v[147:148]
	s_delay_alu instid0(VALU_DEP_1) | instskip(SKIP_1) | instid1(VALU_DEP_2)
	v_add_f64 v[176:177], v[149:150], -v[160:161]
	v_add_f64 v[166:167], v[160:161], -v[166:167]
	;; [unrolled: 1-line block ×3, first 2 shown]
	s_delay_alu instid0(VALU_DEP_2) | instskip(NEXT) | instid1(VALU_DEP_2)
	v_add_f64 v[147:148], v[166:167], -v[147:148]
	v_add_f64 v[149:150], v[149:150], -v[160:161]
	s_delay_alu instid0(VALU_DEP_1) | instskip(SKIP_1) | instid1(VALU_DEP_2)
	v_add_f64 v[133:134], v[133:134], v[149:150]
	v_add_f64 v[149:150], v[162:163], v[164:165]
	;; [unrolled: 1-line block ×3, first 2 shown]
	s_delay_alu instid0(VALU_DEP_2) | instskip(NEXT) | instid1(VALU_DEP_2)
	v_add_f64 v[147:148], v[149:150], -v[162:163]
	v_add_f64 v[133:134], v[176:177], v[133:134]
	s_delay_alu instid0(VALU_DEP_2) | instskip(NEXT) | instid1(VALU_DEP_2)
	v_add_f64 v[147:148], v[164:165], -v[147:148]
	v_mul_f64 v[133:134], v[144:145], v[133:134]
	s_delay_alu instid0(VALU_DEP_1) | instskip(NEXT) | instid1(VALU_DEP_1)
	v_add_f64 v[133:134], v[147:148], v[133:134]
	v_add_f64 v[144:145], v[149:150], v[133:134]
	s_delay_alu instid0(VALU_DEP_1) | instskip(NEXT) | instid1(VALU_DEP_1)
	v_mul_f64 v[147:148], v[144:145], v[144:145]
	v_fma_f64 v[160:161], v[147:148], s[28:29], s[26:27]
	s_mov_b32 s26, 0xd7f4df2e
	s_mov_b32 s27, 0x3fc7474d
	v_mul_f64 v[162:163], v[144:145], v[147:148]
	s_delay_alu instid0(VALU_DEP_2)
	v_fma_f64 v[160:161], v[147:148], v[160:161], s[26:27]
	s_mov_b32 s26, 0x16291751
	s_mov_b32 s27, 0x3fcc71c0
	s_delay_alu instid0(VALU_DEP_1) | instid1(SALU_CYCLE_1)
	v_fma_f64 v[160:161], v[147:148], v[160:161], s[26:27]
	s_mov_b32 s26, 0x9b27acf1
	s_mov_b32 s27, 0x3fd24924
	s_delay_alu instid0(VALU_DEP_1) | instid1(SALU_CYCLE_1)
	;; [unrolled: 4-line block ×3, first 2 shown]
	v_fma_f64 v[160:161], v[147:148], v[160:161], s[26:27]
	s_delay_alu instid0(VALU_DEP_1) | instskip(SKIP_2) | instid1(VALU_DEP_3)
	v_fma_f64 v[147:148], v[147:148], v[160:161], s[18:19]
	v_ldexp_f64 v[160:161], v[144:145], 1
	v_add_f64 v[144:145], v[144:145], -v[149:150]
	v_mul_f64 v[147:148], v[162:163], v[147:148]
	v_cvt_f64_i32_e32 v[162:163], v151
	s_delay_alu instid0(VALU_DEP_3) | instskip(NEXT) | instid1(VALU_DEP_3)
	v_add_f64 v[133:134], v[133:134], -v[144:145]
	v_add_f64 v[149:150], v[160:161], v[147:148]
	s_delay_alu instid0(VALU_DEP_3) | instskip(NEXT) | instid1(VALU_DEP_3)
	v_mul_f64 v[164:165], v[162:163], s[20:21]
	v_ldexp_f64 v[133:134], v[133:134], 1
	s_delay_alu instid0(VALU_DEP_3) | instskip(NEXT) | instid1(VALU_DEP_3)
	v_add_f64 v[144:145], v[149:150], -v[160:161]
	v_fma_f64 v[160:161], v[162:163], s[20:21], -v[164:165]
	s_delay_alu instid0(VALU_DEP_2) | instskip(NEXT) | instid1(VALU_DEP_2)
	v_add_f64 v[144:145], v[147:148], -v[144:145]
	v_fma_f64 v[147:148], v[162:163], s[22:23], v[160:161]
	s_delay_alu instid0(VALU_DEP_2) | instskip(NEXT) | instid1(VALU_DEP_2)
	v_add_f64 v[133:134], v[133:134], v[144:145]
	v_add_f64 v[144:145], v[164:165], v[147:148]
	s_delay_alu instid0(VALU_DEP_2) | instskip(NEXT) | instid1(VALU_DEP_2)
	v_add_f64 v[160:161], v[149:150], v[133:134]
	v_add_f64 v[164:165], v[144:145], -v[164:165]
	s_delay_alu instid0(VALU_DEP_2) | instskip(SKIP_1) | instid1(VALU_DEP_3)
	v_add_f64 v[162:163], v[144:145], v[160:161]
	v_add_f64 v[149:150], v[160:161], -v[149:150]
	v_add_f64 v[147:148], v[147:148], -v[164:165]
	s_delay_alu instid0(VALU_DEP_3) | instskip(NEXT) | instid1(VALU_DEP_3)
	v_add_f64 v[166:167], v[162:163], -v[144:145]
	v_add_f64 v[133:134], v[133:134], -v[149:150]
	s_delay_alu instid0(VALU_DEP_2) | instskip(SKIP_1) | instid1(VALU_DEP_3)
	v_add_f64 v[176:177], v[162:163], -v[166:167]
	v_add_f64 v[149:150], v[160:161], -v[166:167]
	v_add_f64 v[160:161], v[147:148], v[133:134]
	s_delay_alu instid0(VALU_DEP_3) | instskip(NEXT) | instid1(VALU_DEP_1)
	v_add_f64 v[144:145], v[144:145], -v[176:177]
	v_add_f64 v[144:145], v[149:150], v[144:145]
	s_delay_alu instid0(VALU_DEP_3) | instskip(NEXT) | instid1(VALU_DEP_2)
	v_add_f64 v[149:150], v[160:161], -v[147:148]
	v_add_f64 v[144:145], v[160:161], v[144:145]
	s_delay_alu instid0(VALU_DEP_2) | instskip(SKIP_1) | instid1(VALU_DEP_3)
	v_add_f64 v[160:161], v[160:161], -v[149:150]
	v_add_f64 v[133:134], v[133:134], -v[149:150]
	v_add_f64 v[164:165], v[162:163], v[144:145]
	s_delay_alu instid0(VALU_DEP_3) | instskip(NEXT) | instid1(VALU_DEP_2)
	v_add_f64 v[147:148], v[147:148], -v[160:161]
	v_add_f64 v[149:150], v[164:165], -v[162:163]
	s_delay_alu instid0(VALU_DEP_2) | instskip(NEXT) | instid1(VALU_DEP_2)
	v_add_f64 v[133:134], v[133:134], v[147:148]
	v_add_f64 v[144:145], v[144:145], -v[149:150]
	s_delay_alu instid0(VALU_DEP_1) | instskip(NEXT) | instid1(VALU_DEP_1)
	v_add_f64 v[133:134], v[133:134], v[144:145]
	v_add_f64 v[133:134], v[164:165], v[133:134]
	s_delay_alu instid0(VALU_DEP_1) | instskip(NEXT) | instid1(VALU_DEP_2)
	v_cndmask_b32_e64 v133, v133, v131, s17
	v_cndmask_b32_e64 v134, v134, v132, s17
	v_cmp_ngt_f64_e64 s17, -1.0, v[131:132]
	s_delay_alu instid0(VALU_DEP_1) | instskip(SKIP_1) | instid1(VALU_DEP_1)
	v_cndmask_b32_e64 v134, 0x7ff80000, v134, s17
	v_cmp_nge_f64_e64 s17, -1.0, v[131:132]
	v_cndmask_b32_e64 v133, 0, v133, s17
	v_cmp_neq_f64_e64 s17, -1.0, v[131:132]
	s_delay_alu instid0(VALU_DEP_1) | instskip(NEXT) | instid1(VALU_DEP_1)
	v_cndmask_b32_e64 v134, 0xfff00000, v134, s17
	v_add_f64 v[131:132], v[48:49], v[133:134]
.LBB76_309:
	s_or_b32 exec_lo, exec_lo, s25
	s_delay_alu instid0(VALU_DEP_1)
	v_dual_mov_b32 v48, v131 :: v_dual_mov_b32 v49, v132
.LBB76_310:
	s_or_b32 exec_lo, exec_lo, s24
	s_waitcnt lgkmcnt(1)
	v_and_b32_e32 v131, 0x3e0, v128
	v_lshrrev_b32_e32 v147, 5, v128
	s_mov_b32 s18, exec_lo
	s_delay_alu instid0(VALU_DEP_2) | instskip(NEXT) | instid1(VALU_DEP_1)
	v_min_u32_e32 v131, 0xe0, v131
	v_or_b32_e32 v131, 31, v131
	s_delay_alu instid0(VALU_DEP_1)
	v_cmpx_eq_u32_e64 v131, v128
	s_cbranch_execz .LBB76_312
; %bb.311:
	v_lshlrev_b32_e32 v131, 3, v147
	ds_store_b64 v131, v[48:49]
.LBB76_312:
	s_or_b32 exec_lo, exec_lo, s18
	s_delay_alu instid0(SALU_CYCLE_1)
	s_mov_b32 s24, exec_lo
	s_waitcnt lgkmcnt(0)
	s_barrier
	buffer_gl0_inv
	v_cmpx_gt_u32_e32 8, v128
	s_cbranch_execz .LBB76_326
; %bb.313:
	ds_load_b64 v[131:132], v198
	v_and_b32_e32 v148, 7, v146
	s_mov_b32 s25, exec_lo
	s_waitcnt lgkmcnt(0)
	v_mov_b32_e32 v145, v132
	v_mov_b32_dpp v133, v131 row_shr:1 row_mask:0xf bank_mask:0xf
	v_mov_b32_dpp v134, v132 row_shr:1 row_mask:0xf bank_mask:0xf
	v_mov_b32_e32 v144, v131
	v_cmpx_ne_u32_e32 0, v148
	s_cbranch_execz .LBB76_317
; %bb.314:
	s_delay_alu instid0(VALU_DEP_3) | instskip(SKIP_3) | instid1(VALU_DEP_3)
	v_max_f64 v[144:145], v[133:134], v[133:134]
	v_max_f64 v[149:150], v[131:132], v[131:132]
	v_cmp_u_f64_e64 s17, v[133:134], v[133:134]
	v_cmp_u_f64_e64 s18, v[131:132], v[131:132]
	v_min_f64 v[160:161], v[144:145], v[149:150]
	v_max_f64 v[144:145], v[144:145], v[149:150]
	s_delay_alu instid0(VALU_DEP_2) | instskip(NEXT) | instid1(VALU_DEP_3)
	v_cndmask_b32_e64 v149, v160, v133, s17
	v_cndmask_b32_e64 v150, v161, v134, s17
	s_delay_alu instid0(VALU_DEP_3) | instskip(NEXT) | instid1(VALU_DEP_4)
	v_cndmask_b32_e64 v151, v145, v134, s17
	v_cndmask_b32_e64 v160, v144, v133, s17
	s_delay_alu instid0(VALU_DEP_4) | instskip(NEXT) | instid1(VALU_DEP_4)
	v_cndmask_b32_e64 v144, v149, v131, s18
	v_cndmask_b32_e64 v145, v150, v132, s18
	s_delay_alu instid0(VALU_DEP_4) | instskip(NEXT) | instid1(VALU_DEP_4)
	v_cndmask_b32_e64 v132, v151, v132, s18
	v_cndmask_b32_e64 v131, v160, v131, s18
	s_delay_alu instid0(VALU_DEP_3) | instskip(NEXT) | instid1(VALU_DEP_2)
	v_cmp_class_f64_e64 s18, v[144:145], 0x1f8
	v_cmp_neq_f64_e64 s17, v[144:145], v[131:132]
	s_delay_alu instid0(VALU_DEP_1) | instskip(NEXT) | instid1(SALU_CYCLE_1)
	s_or_b32 s17, s17, s18
	s_and_saveexec_b32 s26, s17
	s_cbranch_execz .LBB76_316
; %bb.315:
	v_add_f64 v[133:134], v[144:145], -v[131:132]
	s_mov_b32 s18, 0x652b82fe
	s_mov_b32 s19, 0x3ff71547
	;; [unrolled: 1-line block ×10, first 2 shown]
	s_delay_alu instid0(VALU_DEP_1) | instskip(SKIP_3) | instid1(VALU_DEP_2)
	v_mul_f64 v[144:145], v[133:134], s[18:19]
	s_mov_b32 s18, 0xfca7ab0c
	s_mov_b32 s19, 0x3e928af3
	v_cmp_nlt_f64_e64 s17, 0x40900000, v[133:134]
	v_rndne_f64_e32 v[144:145], v[144:145]
	s_delay_alu instid0(VALU_DEP_1) | instskip(SKIP_2) | instid1(VALU_DEP_2)
	v_fma_f64 v[149:150], v[144:145], s[20:21], v[133:134]
	v_cvt_i32_f64_e32 v151, v[144:145]
	s_mov_b32 s21, 0x3fe62e42
	v_fma_f64 v[149:150], v[144:145], s[22:23], v[149:150]
	s_mov_b32 s23, 0x3c7abc9e
	s_delay_alu instid0(VALU_DEP_1) | instskip(SKIP_4) | instid1(VALU_DEP_1)
	v_fma_f64 v[160:161], v[149:150], s[28:29], s[18:19]
	s_mov_b32 s18, 0x623fde64
	s_mov_b32 s19, 0x3ec71dee
	;; [unrolled: 1-line block ×4, first 2 shown]
	v_fma_f64 v[160:161], v[149:150], v[160:161], s[18:19]
	s_mov_b32 s18, 0x7c89e6b0
	s_mov_b32 s19, 0x3efa0199
	s_delay_alu instid0(VALU_DEP_1) | instid1(SALU_CYCLE_1)
	v_fma_f64 v[160:161], v[149:150], v[160:161], s[18:19]
	s_mov_b32 s18, 0x14761f6e
	s_mov_b32 s19, 0x3f2a01a0
	s_delay_alu instid0(VALU_DEP_1) | instid1(SALU_CYCLE_1)
	;; [unrolled: 4-line block ×7, first 2 shown]
	v_fma_f64 v[160:161], v[149:150], v[160:161], s[18:19]
	v_cmp_ngt_f64_e64 s18, 0xc090cc00, v[133:134]
	s_mov_b32 s19, 0x3fe55555
	s_delay_alu instid0(VALU_DEP_2) | instskip(NEXT) | instid1(VALU_DEP_1)
	v_fma_f64 v[160:161], v[149:150], v[160:161], 1.0
	v_fma_f64 v[144:145], v[149:150], v[160:161], 1.0
	s_delay_alu instid0(VALU_DEP_1) | instskip(NEXT) | instid1(VALU_DEP_1)
	v_ldexp_f64 v[144:145], v[144:145], v151
	v_cndmask_b32_e64 v145, 0x7ff00000, v145, s17
	s_and_b32 s17, s18, s17
	s_delay_alu instid0(VALU_DEP_2) | instid1(SALU_CYCLE_1)
	v_cndmask_b32_e64 v133, 0, v144, s17
	s_delay_alu instid0(VALU_DEP_2) | instskip(SKIP_1) | instid1(VALU_DEP_1)
	v_cndmask_b32_e64 v134, 0, v145, s18
	s_mov_b32 s18, 0x55555555
	v_add_f64 v[144:145], v[133:134], 1.0
	s_delay_alu instid0(VALU_DEP_1) | instskip(SKIP_2) | instid1(VALU_DEP_3)
	v_frexp_mant_f64_e32 v[149:150], v[144:145]
	v_frexp_exp_i32_f64_e32 v151, v[144:145]
	v_add_f64 v[160:161], v[144:145], -1.0
	v_cmp_gt_f64_e64 s17, s[18:19], v[149:150]
	s_mov_b32 s18, 0x55555780
	s_delay_alu instid0(VALU_DEP_2) | instskip(SKIP_1) | instid1(VALU_DEP_3)
	v_add_f64 v[149:150], v[160:161], -v[144:145]
	v_add_f64 v[160:161], v[133:134], -v[160:161]
	v_subrev_co_ci_u32_e64 v151, s17, 0, v151, s17
	s_delay_alu instid0(VALU_DEP_3) | instskip(SKIP_1) | instid1(VALU_DEP_3)
	v_add_f64 v[149:150], v[149:150], 1.0
	v_cmp_eq_f64_e64 s17, 0x7ff00000, v[133:134]
	v_sub_nc_u32_e32 v164, 0, v151
	s_delay_alu instid0(VALU_DEP_1) | instskip(NEXT) | instid1(VALU_DEP_4)
	v_ldexp_f64 v[144:145], v[144:145], v164
	v_add_f64 v[149:150], v[160:161], v[149:150]
	s_delay_alu instid0(VALU_DEP_2) | instskip(SKIP_1) | instid1(VALU_DEP_3)
	v_add_f64 v[162:163], v[144:145], 1.0
	v_add_f64 v[176:177], v[144:145], -1.0
	v_ldexp_f64 v[149:150], v[149:150], v164
	s_delay_alu instid0(VALU_DEP_3) | instskip(NEXT) | instid1(VALU_DEP_3)
	v_add_f64 v[160:161], v[162:163], -1.0
	v_add_f64 v[212:213], v[176:177], 1.0
	s_delay_alu instid0(VALU_DEP_2) | instskip(NEXT) | instid1(VALU_DEP_2)
	v_add_f64 v[160:161], v[144:145], -v[160:161]
	v_add_f64 v[144:145], v[144:145], -v[212:213]
	s_delay_alu instid0(VALU_DEP_2) | instskip(NEXT) | instid1(VALU_DEP_2)
	v_add_f64 v[160:161], v[149:150], v[160:161]
	v_add_f64 v[144:145], v[149:150], v[144:145]
	s_delay_alu instid0(VALU_DEP_2) | instskip(NEXT) | instid1(VALU_DEP_2)
	v_add_f64 v[164:165], v[162:163], v[160:161]
	v_add_f64 v[212:213], v[176:177], v[144:145]
	s_delay_alu instid0(VALU_DEP_2) | instskip(SKIP_1) | instid1(VALU_DEP_2)
	v_rcp_f64_e32 v[166:167], v[164:165]
	v_add_f64 v[162:163], v[164:165], -v[162:163]
	v_add_f64 v[176:177], v[212:213], -v[176:177]
	s_delay_alu instid0(VALU_DEP_2) | instskip(SKIP_3) | instid1(VALU_DEP_2)
	v_add_f64 v[160:161], v[160:161], -v[162:163]
	s_waitcnt_depctr 0xfff
	v_fma_f64 v[214:215], -v[164:165], v[166:167], 1.0
	v_add_f64 v[144:145], v[144:145], -v[176:177]
	v_fma_f64 v[166:167], v[214:215], v[166:167], v[166:167]
	s_delay_alu instid0(VALU_DEP_1) | instskip(NEXT) | instid1(VALU_DEP_1)
	v_fma_f64 v[149:150], -v[164:165], v[166:167], 1.0
	v_fma_f64 v[149:150], v[149:150], v[166:167], v[166:167]
	s_delay_alu instid0(VALU_DEP_1) | instskip(NEXT) | instid1(VALU_DEP_1)
	v_mul_f64 v[166:167], v[212:213], v[149:150]
	v_mul_f64 v[214:215], v[164:165], v[166:167]
	s_delay_alu instid0(VALU_DEP_1) | instskip(NEXT) | instid1(VALU_DEP_1)
	v_fma_f64 v[162:163], v[166:167], v[164:165], -v[214:215]
	v_fma_f64 v[162:163], v[166:167], v[160:161], v[162:163]
	s_delay_alu instid0(VALU_DEP_1) | instskip(NEXT) | instid1(VALU_DEP_1)
	v_add_f64 v[224:225], v[214:215], v[162:163]
	v_add_f64 v[226:227], v[212:213], -v[224:225]
	v_add_f64 v[176:177], v[224:225], -v[214:215]
	s_delay_alu instid0(VALU_DEP_2) | instskip(NEXT) | instid1(VALU_DEP_2)
	v_add_f64 v[212:213], v[212:213], -v[226:227]
	v_add_f64 v[162:163], v[176:177], -v[162:163]
	s_delay_alu instid0(VALU_DEP_2) | instskip(NEXT) | instid1(VALU_DEP_1)
	v_add_f64 v[212:213], v[212:213], -v[224:225]
	v_add_f64 v[144:145], v[144:145], v[212:213]
	s_delay_alu instid0(VALU_DEP_1) | instskip(NEXT) | instid1(VALU_DEP_1)
	v_add_f64 v[144:145], v[162:163], v[144:145]
	v_add_f64 v[162:163], v[226:227], v[144:145]
	s_delay_alu instid0(VALU_DEP_1) | instskip(SKIP_1) | instid1(VALU_DEP_2)
	v_mul_f64 v[176:177], v[149:150], v[162:163]
	v_add_f64 v[224:225], v[226:227], -v[162:163]
	v_mul_f64 v[212:213], v[164:165], v[176:177]
	s_delay_alu instid0(VALU_DEP_2) | instskip(NEXT) | instid1(VALU_DEP_2)
	v_add_f64 v[144:145], v[144:145], v[224:225]
	v_fma_f64 v[164:165], v[176:177], v[164:165], -v[212:213]
	s_delay_alu instid0(VALU_DEP_1) | instskip(NEXT) | instid1(VALU_DEP_1)
	v_fma_f64 v[160:161], v[176:177], v[160:161], v[164:165]
	v_add_f64 v[164:165], v[212:213], v[160:161]
	s_delay_alu instid0(VALU_DEP_1) | instskip(SKIP_1) | instid1(VALU_DEP_2)
	v_add_f64 v[214:215], v[162:163], -v[164:165]
	v_add_f64 v[212:213], v[164:165], -v[212:213]
	;; [unrolled: 1-line block ×3, first 2 shown]
	s_delay_alu instid0(VALU_DEP_2) | instskip(NEXT) | instid1(VALU_DEP_2)
	v_add_f64 v[160:161], v[212:213], -v[160:161]
	v_add_f64 v[162:163], v[162:163], -v[164:165]
	s_delay_alu instid0(VALU_DEP_1) | instskip(SKIP_1) | instid1(VALU_DEP_2)
	v_add_f64 v[144:145], v[144:145], v[162:163]
	v_add_f64 v[162:163], v[166:167], v[176:177]
	;; [unrolled: 1-line block ×3, first 2 shown]
	s_delay_alu instid0(VALU_DEP_2) | instskip(NEXT) | instid1(VALU_DEP_2)
	v_add_f64 v[160:161], v[162:163], -v[166:167]
	v_add_f64 v[144:145], v[214:215], v[144:145]
	s_delay_alu instid0(VALU_DEP_2) | instskip(NEXT) | instid1(VALU_DEP_2)
	v_add_f64 v[160:161], v[176:177], -v[160:161]
	v_mul_f64 v[144:145], v[149:150], v[144:145]
	s_delay_alu instid0(VALU_DEP_1) | instskip(NEXT) | instid1(VALU_DEP_1)
	v_add_f64 v[144:145], v[160:161], v[144:145]
	v_add_f64 v[149:150], v[162:163], v[144:145]
	s_delay_alu instid0(VALU_DEP_1) | instskip(NEXT) | instid1(VALU_DEP_1)
	v_mul_f64 v[160:161], v[149:150], v[149:150]
	v_fma_f64 v[164:165], v[160:161], s[30:31], s[28:29]
	s_mov_b32 s28, 0xd7f4df2e
	s_mov_b32 s29, 0x3fc7474d
	v_mul_f64 v[166:167], v[149:150], v[160:161]
	s_delay_alu instid0(VALU_DEP_2)
	v_fma_f64 v[164:165], v[160:161], v[164:165], s[28:29]
	s_mov_b32 s28, 0x16291751
	s_mov_b32 s29, 0x3fcc71c0
	s_delay_alu instid0(VALU_DEP_1) | instid1(SALU_CYCLE_1)
	v_fma_f64 v[164:165], v[160:161], v[164:165], s[28:29]
	s_mov_b32 s28, 0x9b27acf1
	s_mov_b32 s29, 0x3fd24924
	s_delay_alu instid0(VALU_DEP_1) | instid1(SALU_CYCLE_1)
	;; [unrolled: 4-line block ×3, first 2 shown]
	v_fma_f64 v[164:165], v[160:161], v[164:165], s[28:29]
	s_delay_alu instid0(VALU_DEP_1) | instskip(SKIP_2) | instid1(VALU_DEP_3)
	v_fma_f64 v[160:161], v[160:161], v[164:165], s[18:19]
	v_ldexp_f64 v[164:165], v[149:150], 1
	v_add_f64 v[149:150], v[149:150], -v[162:163]
	v_mul_f64 v[160:161], v[166:167], v[160:161]
	v_cvt_f64_i32_e32 v[166:167], v151
	s_delay_alu instid0(VALU_DEP_3) | instskip(NEXT) | instid1(VALU_DEP_3)
	v_add_f64 v[144:145], v[144:145], -v[149:150]
	v_add_f64 v[162:163], v[164:165], v[160:161]
	s_delay_alu instid0(VALU_DEP_3) | instskip(NEXT) | instid1(VALU_DEP_3)
	v_mul_f64 v[176:177], v[166:167], s[20:21]
	v_ldexp_f64 v[144:145], v[144:145], 1
	s_delay_alu instid0(VALU_DEP_3) | instskip(NEXT) | instid1(VALU_DEP_3)
	v_add_f64 v[149:150], v[162:163], -v[164:165]
	v_fma_f64 v[164:165], v[166:167], s[20:21], -v[176:177]
	s_delay_alu instid0(VALU_DEP_2) | instskip(NEXT) | instid1(VALU_DEP_2)
	v_add_f64 v[149:150], v[160:161], -v[149:150]
	v_fma_f64 v[160:161], v[166:167], s[22:23], v[164:165]
	s_delay_alu instid0(VALU_DEP_2) | instskip(NEXT) | instid1(VALU_DEP_2)
	v_add_f64 v[144:145], v[144:145], v[149:150]
	v_add_f64 v[149:150], v[176:177], v[160:161]
	s_delay_alu instid0(VALU_DEP_2) | instskip(NEXT) | instid1(VALU_DEP_2)
	v_add_f64 v[164:165], v[162:163], v[144:145]
	v_add_f64 v[176:177], v[149:150], -v[176:177]
	s_delay_alu instid0(VALU_DEP_2) | instskip(SKIP_1) | instid1(VALU_DEP_3)
	v_add_f64 v[166:167], v[149:150], v[164:165]
	v_add_f64 v[162:163], v[164:165], -v[162:163]
	v_add_f64 v[160:161], v[160:161], -v[176:177]
	s_delay_alu instid0(VALU_DEP_3) | instskip(NEXT) | instid1(VALU_DEP_3)
	v_add_f64 v[212:213], v[166:167], -v[149:150]
	v_add_f64 v[144:145], v[144:145], -v[162:163]
	s_delay_alu instid0(VALU_DEP_2) | instskip(SKIP_1) | instid1(VALU_DEP_3)
	v_add_f64 v[214:215], v[166:167], -v[212:213]
	v_add_f64 v[162:163], v[164:165], -v[212:213]
	v_add_f64 v[164:165], v[160:161], v[144:145]
	s_delay_alu instid0(VALU_DEP_3) | instskip(NEXT) | instid1(VALU_DEP_1)
	v_add_f64 v[149:150], v[149:150], -v[214:215]
	v_add_f64 v[149:150], v[162:163], v[149:150]
	s_delay_alu instid0(VALU_DEP_3) | instskip(NEXT) | instid1(VALU_DEP_2)
	v_add_f64 v[162:163], v[164:165], -v[160:161]
	v_add_f64 v[149:150], v[164:165], v[149:150]
	s_delay_alu instid0(VALU_DEP_2) | instskip(SKIP_1) | instid1(VALU_DEP_3)
	v_add_f64 v[164:165], v[164:165], -v[162:163]
	v_add_f64 v[144:145], v[144:145], -v[162:163]
	v_add_f64 v[176:177], v[166:167], v[149:150]
	s_delay_alu instid0(VALU_DEP_3) | instskip(NEXT) | instid1(VALU_DEP_2)
	v_add_f64 v[160:161], v[160:161], -v[164:165]
	v_add_f64 v[162:163], v[176:177], -v[166:167]
	s_delay_alu instid0(VALU_DEP_2) | instskip(NEXT) | instid1(VALU_DEP_2)
	v_add_f64 v[144:145], v[144:145], v[160:161]
	v_add_f64 v[149:150], v[149:150], -v[162:163]
	s_delay_alu instid0(VALU_DEP_1) | instskip(NEXT) | instid1(VALU_DEP_1)
	v_add_f64 v[144:145], v[144:145], v[149:150]
	v_add_f64 v[144:145], v[176:177], v[144:145]
	s_delay_alu instid0(VALU_DEP_1) | instskip(NEXT) | instid1(VALU_DEP_2)
	v_cndmask_b32_e64 v144, v144, v133, s17
	v_cndmask_b32_e64 v145, v145, v134, s17
	v_cmp_ngt_f64_e64 s17, -1.0, v[133:134]
	s_delay_alu instid0(VALU_DEP_1) | instskip(SKIP_1) | instid1(VALU_DEP_1)
	v_cndmask_b32_e64 v145, 0x7ff80000, v145, s17
	v_cmp_nge_f64_e64 s17, -1.0, v[133:134]
	v_cndmask_b32_e64 v144, 0, v144, s17
	v_cmp_neq_f64_e64 s17, -1.0, v[133:134]
	s_delay_alu instid0(VALU_DEP_1) | instskip(NEXT) | instid1(VALU_DEP_1)
	v_cndmask_b32_e64 v145, 0xfff00000, v145, s17
	v_add_f64 v[133:134], v[131:132], v[144:145]
.LBB76_316:
	s_or_b32 exec_lo, exec_lo, s26
	s_delay_alu instid0(VALU_DEP_1)
	v_dual_mov_b32 v144, v133 :: v_dual_mov_b32 v145, v134
	v_dual_mov_b32 v131, v133 :: v_dual_mov_b32 v132, v134
.LBB76_317:
	s_or_b32 exec_lo, exec_lo, s25
	s_delay_alu instid0(VALU_DEP_2) | instskip(NEXT) | instid1(VALU_DEP_3)
	v_mov_b32_dpp v133, v144 row_shr:2 row_mask:0xf bank_mask:0xf
	v_mov_b32_dpp v134, v145 row_shr:2 row_mask:0xf bank_mask:0xf
	s_mov_b32 s25, exec_lo
	v_cmpx_lt_u32_e32 1, v148
	s_cbranch_execz .LBB76_321
; %bb.318:
	s_delay_alu instid0(VALU_DEP_2) | instskip(SKIP_3) | instid1(VALU_DEP_3)
	v_max_f64 v[144:145], v[133:134], v[133:134]
	v_max_f64 v[149:150], v[131:132], v[131:132]
	v_cmp_u_f64_e64 s17, v[133:134], v[133:134]
	v_cmp_u_f64_e64 s18, v[131:132], v[131:132]
	v_min_f64 v[160:161], v[144:145], v[149:150]
	v_max_f64 v[144:145], v[144:145], v[149:150]
	s_delay_alu instid0(VALU_DEP_2) | instskip(NEXT) | instid1(VALU_DEP_3)
	v_cndmask_b32_e64 v149, v160, v133, s17
	v_cndmask_b32_e64 v150, v161, v134, s17
	s_delay_alu instid0(VALU_DEP_3) | instskip(NEXT) | instid1(VALU_DEP_4)
	v_cndmask_b32_e64 v151, v145, v134, s17
	v_cndmask_b32_e64 v160, v144, v133, s17
	s_delay_alu instid0(VALU_DEP_4) | instskip(NEXT) | instid1(VALU_DEP_4)
	v_cndmask_b32_e64 v144, v149, v131, s18
	v_cndmask_b32_e64 v145, v150, v132, s18
	s_delay_alu instid0(VALU_DEP_4) | instskip(NEXT) | instid1(VALU_DEP_4)
	v_cndmask_b32_e64 v132, v151, v132, s18
	v_cndmask_b32_e64 v131, v160, v131, s18
	s_delay_alu instid0(VALU_DEP_3) | instskip(NEXT) | instid1(VALU_DEP_2)
	v_cmp_class_f64_e64 s18, v[144:145], 0x1f8
	v_cmp_neq_f64_e64 s17, v[144:145], v[131:132]
	s_delay_alu instid0(VALU_DEP_1) | instskip(NEXT) | instid1(SALU_CYCLE_1)
	s_or_b32 s17, s17, s18
	s_and_saveexec_b32 s26, s17
	s_cbranch_execz .LBB76_320
; %bb.319:
	v_add_f64 v[133:134], v[144:145], -v[131:132]
	s_mov_b32 s18, 0x652b82fe
	s_mov_b32 s19, 0x3ff71547
	;; [unrolled: 1-line block ×10, first 2 shown]
	s_delay_alu instid0(VALU_DEP_1) | instskip(SKIP_3) | instid1(VALU_DEP_2)
	v_mul_f64 v[144:145], v[133:134], s[18:19]
	s_mov_b32 s18, 0xfca7ab0c
	s_mov_b32 s19, 0x3e928af3
	v_cmp_nlt_f64_e64 s17, 0x40900000, v[133:134]
	v_rndne_f64_e32 v[144:145], v[144:145]
	s_delay_alu instid0(VALU_DEP_1) | instskip(SKIP_2) | instid1(VALU_DEP_2)
	v_fma_f64 v[149:150], v[144:145], s[20:21], v[133:134]
	v_cvt_i32_f64_e32 v151, v[144:145]
	s_mov_b32 s21, 0x3fe62e42
	v_fma_f64 v[149:150], v[144:145], s[22:23], v[149:150]
	s_mov_b32 s23, 0x3c7abc9e
	s_delay_alu instid0(VALU_DEP_1) | instskip(SKIP_4) | instid1(VALU_DEP_1)
	v_fma_f64 v[160:161], v[149:150], s[28:29], s[18:19]
	s_mov_b32 s18, 0x623fde64
	s_mov_b32 s19, 0x3ec71dee
	;; [unrolled: 1-line block ×4, first 2 shown]
	v_fma_f64 v[160:161], v[149:150], v[160:161], s[18:19]
	s_mov_b32 s18, 0x7c89e6b0
	s_mov_b32 s19, 0x3efa0199
	s_delay_alu instid0(VALU_DEP_1) | instid1(SALU_CYCLE_1)
	v_fma_f64 v[160:161], v[149:150], v[160:161], s[18:19]
	s_mov_b32 s18, 0x14761f6e
	s_mov_b32 s19, 0x3f2a01a0
	s_delay_alu instid0(VALU_DEP_1) | instid1(SALU_CYCLE_1)
	;; [unrolled: 4-line block ×7, first 2 shown]
	v_fma_f64 v[160:161], v[149:150], v[160:161], s[18:19]
	v_cmp_ngt_f64_e64 s18, 0xc090cc00, v[133:134]
	s_mov_b32 s19, 0x3fe55555
	s_delay_alu instid0(VALU_DEP_2) | instskip(NEXT) | instid1(VALU_DEP_1)
	v_fma_f64 v[160:161], v[149:150], v[160:161], 1.0
	v_fma_f64 v[144:145], v[149:150], v[160:161], 1.0
	s_delay_alu instid0(VALU_DEP_1) | instskip(NEXT) | instid1(VALU_DEP_1)
	v_ldexp_f64 v[144:145], v[144:145], v151
	v_cndmask_b32_e64 v145, 0x7ff00000, v145, s17
	s_and_b32 s17, s18, s17
	s_delay_alu instid0(VALU_DEP_2) | instid1(SALU_CYCLE_1)
	v_cndmask_b32_e64 v133, 0, v144, s17
	s_delay_alu instid0(VALU_DEP_2) | instskip(SKIP_1) | instid1(VALU_DEP_1)
	v_cndmask_b32_e64 v134, 0, v145, s18
	s_mov_b32 s18, 0x55555555
	v_add_f64 v[144:145], v[133:134], 1.0
	s_delay_alu instid0(VALU_DEP_1) | instskip(SKIP_2) | instid1(VALU_DEP_3)
	v_frexp_mant_f64_e32 v[149:150], v[144:145]
	v_frexp_exp_i32_f64_e32 v151, v[144:145]
	v_add_f64 v[160:161], v[144:145], -1.0
	v_cmp_gt_f64_e64 s17, s[18:19], v[149:150]
	s_mov_b32 s18, 0x55555780
	s_delay_alu instid0(VALU_DEP_2) | instskip(SKIP_1) | instid1(VALU_DEP_3)
	v_add_f64 v[149:150], v[160:161], -v[144:145]
	v_add_f64 v[160:161], v[133:134], -v[160:161]
	v_subrev_co_ci_u32_e64 v151, s17, 0, v151, s17
	s_delay_alu instid0(VALU_DEP_3) | instskip(SKIP_1) | instid1(VALU_DEP_3)
	v_add_f64 v[149:150], v[149:150], 1.0
	v_cmp_eq_f64_e64 s17, 0x7ff00000, v[133:134]
	v_sub_nc_u32_e32 v164, 0, v151
	s_delay_alu instid0(VALU_DEP_1) | instskip(NEXT) | instid1(VALU_DEP_4)
	v_ldexp_f64 v[144:145], v[144:145], v164
	v_add_f64 v[149:150], v[160:161], v[149:150]
	s_delay_alu instid0(VALU_DEP_2) | instskip(SKIP_1) | instid1(VALU_DEP_3)
	v_add_f64 v[162:163], v[144:145], 1.0
	v_add_f64 v[176:177], v[144:145], -1.0
	v_ldexp_f64 v[149:150], v[149:150], v164
	s_delay_alu instid0(VALU_DEP_3) | instskip(NEXT) | instid1(VALU_DEP_3)
	v_add_f64 v[160:161], v[162:163], -1.0
	v_add_f64 v[212:213], v[176:177], 1.0
	s_delay_alu instid0(VALU_DEP_2) | instskip(NEXT) | instid1(VALU_DEP_2)
	v_add_f64 v[160:161], v[144:145], -v[160:161]
	v_add_f64 v[144:145], v[144:145], -v[212:213]
	s_delay_alu instid0(VALU_DEP_2) | instskip(NEXT) | instid1(VALU_DEP_2)
	v_add_f64 v[160:161], v[149:150], v[160:161]
	v_add_f64 v[144:145], v[149:150], v[144:145]
	s_delay_alu instid0(VALU_DEP_2) | instskip(NEXT) | instid1(VALU_DEP_2)
	v_add_f64 v[164:165], v[162:163], v[160:161]
	v_add_f64 v[212:213], v[176:177], v[144:145]
	s_delay_alu instid0(VALU_DEP_2) | instskip(SKIP_1) | instid1(VALU_DEP_2)
	v_rcp_f64_e32 v[166:167], v[164:165]
	v_add_f64 v[162:163], v[164:165], -v[162:163]
	v_add_f64 v[176:177], v[212:213], -v[176:177]
	s_delay_alu instid0(VALU_DEP_2) | instskip(SKIP_3) | instid1(VALU_DEP_2)
	v_add_f64 v[160:161], v[160:161], -v[162:163]
	s_waitcnt_depctr 0xfff
	v_fma_f64 v[214:215], -v[164:165], v[166:167], 1.0
	v_add_f64 v[144:145], v[144:145], -v[176:177]
	v_fma_f64 v[166:167], v[214:215], v[166:167], v[166:167]
	s_delay_alu instid0(VALU_DEP_1) | instskip(NEXT) | instid1(VALU_DEP_1)
	v_fma_f64 v[149:150], -v[164:165], v[166:167], 1.0
	v_fma_f64 v[149:150], v[149:150], v[166:167], v[166:167]
	s_delay_alu instid0(VALU_DEP_1) | instskip(NEXT) | instid1(VALU_DEP_1)
	v_mul_f64 v[166:167], v[212:213], v[149:150]
	v_mul_f64 v[214:215], v[164:165], v[166:167]
	s_delay_alu instid0(VALU_DEP_1) | instskip(NEXT) | instid1(VALU_DEP_1)
	v_fma_f64 v[162:163], v[166:167], v[164:165], -v[214:215]
	v_fma_f64 v[162:163], v[166:167], v[160:161], v[162:163]
	s_delay_alu instid0(VALU_DEP_1) | instskip(NEXT) | instid1(VALU_DEP_1)
	v_add_f64 v[224:225], v[214:215], v[162:163]
	v_add_f64 v[226:227], v[212:213], -v[224:225]
	v_add_f64 v[176:177], v[224:225], -v[214:215]
	s_delay_alu instid0(VALU_DEP_2) | instskip(NEXT) | instid1(VALU_DEP_2)
	v_add_f64 v[212:213], v[212:213], -v[226:227]
	v_add_f64 v[162:163], v[176:177], -v[162:163]
	s_delay_alu instid0(VALU_DEP_2) | instskip(NEXT) | instid1(VALU_DEP_1)
	v_add_f64 v[212:213], v[212:213], -v[224:225]
	v_add_f64 v[144:145], v[144:145], v[212:213]
	s_delay_alu instid0(VALU_DEP_1) | instskip(NEXT) | instid1(VALU_DEP_1)
	v_add_f64 v[144:145], v[162:163], v[144:145]
	v_add_f64 v[162:163], v[226:227], v[144:145]
	s_delay_alu instid0(VALU_DEP_1) | instskip(SKIP_1) | instid1(VALU_DEP_2)
	v_mul_f64 v[176:177], v[149:150], v[162:163]
	v_add_f64 v[224:225], v[226:227], -v[162:163]
	v_mul_f64 v[212:213], v[164:165], v[176:177]
	s_delay_alu instid0(VALU_DEP_2) | instskip(NEXT) | instid1(VALU_DEP_2)
	v_add_f64 v[144:145], v[144:145], v[224:225]
	v_fma_f64 v[164:165], v[176:177], v[164:165], -v[212:213]
	s_delay_alu instid0(VALU_DEP_1) | instskip(NEXT) | instid1(VALU_DEP_1)
	v_fma_f64 v[160:161], v[176:177], v[160:161], v[164:165]
	v_add_f64 v[164:165], v[212:213], v[160:161]
	s_delay_alu instid0(VALU_DEP_1) | instskip(SKIP_1) | instid1(VALU_DEP_2)
	v_add_f64 v[214:215], v[162:163], -v[164:165]
	v_add_f64 v[212:213], v[164:165], -v[212:213]
	;; [unrolled: 1-line block ×3, first 2 shown]
	s_delay_alu instid0(VALU_DEP_2) | instskip(NEXT) | instid1(VALU_DEP_2)
	v_add_f64 v[160:161], v[212:213], -v[160:161]
	v_add_f64 v[162:163], v[162:163], -v[164:165]
	s_delay_alu instid0(VALU_DEP_1) | instskip(SKIP_1) | instid1(VALU_DEP_2)
	v_add_f64 v[144:145], v[144:145], v[162:163]
	v_add_f64 v[162:163], v[166:167], v[176:177]
	;; [unrolled: 1-line block ×3, first 2 shown]
	s_delay_alu instid0(VALU_DEP_2) | instskip(NEXT) | instid1(VALU_DEP_2)
	v_add_f64 v[160:161], v[162:163], -v[166:167]
	v_add_f64 v[144:145], v[214:215], v[144:145]
	s_delay_alu instid0(VALU_DEP_2) | instskip(NEXT) | instid1(VALU_DEP_2)
	v_add_f64 v[160:161], v[176:177], -v[160:161]
	v_mul_f64 v[144:145], v[149:150], v[144:145]
	s_delay_alu instid0(VALU_DEP_1) | instskip(NEXT) | instid1(VALU_DEP_1)
	v_add_f64 v[144:145], v[160:161], v[144:145]
	v_add_f64 v[149:150], v[162:163], v[144:145]
	s_delay_alu instid0(VALU_DEP_1) | instskip(NEXT) | instid1(VALU_DEP_1)
	v_mul_f64 v[160:161], v[149:150], v[149:150]
	v_fma_f64 v[164:165], v[160:161], s[30:31], s[28:29]
	s_mov_b32 s28, 0xd7f4df2e
	s_mov_b32 s29, 0x3fc7474d
	v_mul_f64 v[166:167], v[149:150], v[160:161]
	s_delay_alu instid0(VALU_DEP_2)
	v_fma_f64 v[164:165], v[160:161], v[164:165], s[28:29]
	s_mov_b32 s28, 0x16291751
	s_mov_b32 s29, 0x3fcc71c0
	s_delay_alu instid0(VALU_DEP_1) | instid1(SALU_CYCLE_1)
	v_fma_f64 v[164:165], v[160:161], v[164:165], s[28:29]
	s_mov_b32 s28, 0x9b27acf1
	s_mov_b32 s29, 0x3fd24924
	s_delay_alu instid0(VALU_DEP_1) | instid1(SALU_CYCLE_1)
	;; [unrolled: 4-line block ×3, first 2 shown]
	v_fma_f64 v[164:165], v[160:161], v[164:165], s[28:29]
	s_delay_alu instid0(VALU_DEP_1) | instskip(SKIP_2) | instid1(VALU_DEP_3)
	v_fma_f64 v[160:161], v[160:161], v[164:165], s[18:19]
	v_ldexp_f64 v[164:165], v[149:150], 1
	v_add_f64 v[149:150], v[149:150], -v[162:163]
	v_mul_f64 v[160:161], v[166:167], v[160:161]
	v_cvt_f64_i32_e32 v[166:167], v151
	s_delay_alu instid0(VALU_DEP_3) | instskip(NEXT) | instid1(VALU_DEP_3)
	v_add_f64 v[144:145], v[144:145], -v[149:150]
	v_add_f64 v[162:163], v[164:165], v[160:161]
	s_delay_alu instid0(VALU_DEP_3) | instskip(NEXT) | instid1(VALU_DEP_3)
	v_mul_f64 v[176:177], v[166:167], s[20:21]
	v_ldexp_f64 v[144:145], v[144:145], 1
	s_delay_alu instid0(VALU_DEP_3) | instskip(NEXT) | instid1(VALU_DEP_3)
	v_add_f64 v[149:150], v[162:163], -v[164:165]
	v_fma_f64 v[164:165], v[166:167], s[20:21], -v[176:177]
	s_delay_alu instid0(VALU_DEP_2) | instskip(NEXT) | instid1(VALU_DEP_2)
	v_add_f64 v[149:150], v[160:161], -v[149:150]
	v_fma_f64 v[160:161], v[166:167], s[22:23], v[164:165]
	s_delay_alu instid0(VALU_DEP_2) | instskip(NEXT) | instid1(VALU_DEP_2)
	v_add_f64 v[144:145], v[144:145], v[149:150]
	v_add_f64 v[149:150], v[176:177], v[160:161]
	s_delay_alu instid0(VALU_DEP_2) | instskip(NEXT) | instid1(VALU_DEP_2)
	v_add_f64 v[164:165], v[162:163], v[144:145]
	v_add_f64 v[176:177], v[149:150], -v[176:177]
	s_delay_alu instid0(VALU_DEP_2) | instskip(SKIP_1) | instid1(VALU_DEP_3)
	v_add_f64 v[166:167], v[149:150], v[164:165]
	v_add_f64 v[162:163], v[164:165], -v[162:163]
	v_add_f64 v[160:161], v[160:161], -v[176:177]
	s_delay_alu instid0(VALU_DEP_3) | instskip(NEXT) | instid1(VALU_DEP_3)
	v_add_f64 v[212:213], v[166:167], -v[149:150]
	v_add_f64 v[144:145], v[144:145], -v[162:163]
	s_delay_alu instid0(VALU_DEP_2) | instskip(SKIP_1) | instid1(VALU_DEP_3)
	v_add_f64 v[214:215], v[166:167], -v[212:213]
	v_add_f64 v[162:163], v[164:165], -v[212:213]
	v_add_f64 v[164:165], v[160:161], v[144:145]
	s_delay_alu instid0(VALU_DEP_3) | instskip(NEXT) | instid1(VALU_DEP_1)
	v_add_f64 v[149:150], v[149:150], -v[214:215]
	v_add_f64 v[149:150], v[162:163], v[149:150]
	s_delay_alu instid0(VALU_DEP_3) | instskip(NEXT) | instid1(VALU_DEP_2)
	v_add_f64 v[162:163], v[164:165], -v[160:161]
	v_add_f64 v[149:150], v[164:165], v[149:150]
	s_delay_alu instid0(VALU_DEP_2) | instskip(SKIP_1) | instid1(VALU_DEP_3)
	v_add_f64 v[164:165], v[164:165], -v[162:163]
	v_add_f64 v[144:145], v[144:145], -v[162:163]
	v_add_f64 v[176:177], v[166:167], v[149:150]
	s_delay_alu instid0(VALU_DEP_3) | instskip(NEXT) | instid1(VALU_DEP_2)
	v_add_f64 v[160:161], v[160:161], -v[164:165]
	v_add_f64 v[162:163], v[176:177], -v[166:167]
	s_delay_alu instid0(VALU_DEP_2) | instskip(NEXT) | instid1(VALU_DEP_2)
	v_add_f64 v[144:145], v[144:145], v[160:161]
	v_add_f64 v[149:150], v[149:150], -v[162:163]
	s_delay_alu instid0(VALU_DEP_1) | instskip(NEXT) | instid1(VALU_DEP_1)
	v_add_f64 v[144:145], v[144:145], v[149:150]
	v_add_f64 v[144:145], v[176:177], v[144:145]
	s_delay_alu instid0(VALU_DEP_1) | instskip(NEXT) | instid1(VALU_DEP_2)
	v_cndmask_b32_e64 v144, v144, v133, s17
	v_cndmask_b32_e64 v145, v145, v134, s17
	v_cmp_ngt_f64_e64 s17, -1.0, v[133:134]
	s_delay_alu instid0(VALU_DEP_1) | instskip(SKIP_1) | instid1(VALU_DEP_1)
	v_cndmask_b32_e64 v145, 0x7ff80000, v145, s17
	v_cmp_nge_f64_e64 s17, -1.0, v[133:134]
	v_cndmask_b32_e64 v144, 0, v144, s17
	v_cmp_neq_f64_e64 s17, -1.0, v[133:134]
	s_delay_alu instid0(VALU_DEP_1) | instskip(NEXT) | instid1(VALU_DEP_1)
	v_cndmask_b32_e64 v145, 0xfff00000, v145, s17
	v_add_f64 v[133:134], v[131:132], v[144:145]
.LBB76_320:
	s_or_b32 exec_lo, exec_lo, s26
	s_delay_alu instid0(VALU_DEP_1)
	v_dual_mov_b32 v144, v133 :: v_dual_mov_b32 v145, v134
	v_dual_mov_b32 v131, v133 :: v_dual_mov_b32 v132, v134
.LBB76_321:
	s_or_b32 exec_lo, exec_lo, s25
	s_delay_alu instid0(VALU_DEP_2) | instskip(NEXT) | instid1(VALU_DEP_3)
	v_mov_b32_dpp v133, v144 row_shr:4 row_mask:0xf bank_mask:0xf
	v_mov_b32_dpp v134, v145 row_shr:4 row_mask:0xf bank_mask:0xf
	s_mov_b32 s25, exec_lo
	v_cmpx_lt_u32_e32 3, v148
	s_cbranch_execz .LBB76_325
; %bb.322:
	s_delay_alu instid0(VALU_DEP_2) | instskip(SKIP_3) | instid1(VALU_DEP_3)
	v_max_f64 v[144:145], v[133:134], v[133:134]
	v_max_f64 v[148:149], v[131:132], v[131:132]
	v_cmp_u_f64_e64 s17, v[133:134], v[133:134]
	v_cmp_u_f64_e64 s18, v[131:132], v[131:132]
	v_min_f64 v[150:151], v[144:145], v[148:149]
	v_max_f64 v[144:145], v[144:145], v[148:149]
	s_delay_alu instid0(VALU_DEP_2) | instskip(NEXT) | instid1(VALU_DEP_3)
	v_cndmask_b32_e64 v148, v150, v133, s17
	v_cndmask_b32_e64 v149, v151, v134, s17
	s_delay_alu instid0(VALU_DEP_3) | instskip(NEXT) | instid1(VALU_DEP_4)
	v_cndmask_b32_e64 v150, v145, v134, s17
	v_cndmask_b32_e64 v151, v144, v133, s17
	s_delay_alu instid0(VALU_DEP_4) | instskip(NEXT) | instid1(VALU_DEP_4)
	v_cndmask_b32_e64 v144, v148, v131, s18
	v_cndmask_b32_e64 v145, v149, v132, s18
	s_delay_alu instid0(VALU_DEP_4) | instskip(NEXT) | instid1(VALU_DEP_4)
	v_cndmask_b32_e64 v132, v150, v132, s18
	v_cndmask_b32_e64 v131, v151, v131, s18
	s_delay_alu instid0(VALU_DEP_3) | instskip(NEXT) | instid1(VALU_DEP_2)
	v_cmp_class_f64_e64 s18, v[144:145], 0x1f8
	v_cmp_neq_f64_e64 s17, v[144:145], v[131:132]
	s_delay_alu instid0(VALU_DEP_1) | instskip(NEXT) | instid1(SALU_CYCLE_1)
	s_or_b32 s17, s17, s18
	s_and_saveexec_b32 s26, s17
	s_cbranch_execz .LBB76_324
; %bb.323:
	v_add_f64 v[133:134], v[144:145], -v[131:132]
	s_mov_b32 s18, 0x652b82fe
	s_mov_b32 s19, 0x3ff71547
	s_mov_b32 s21, 0xbfe62e42
	s_mov_b32 s20, 0xfefa39ef
	s_mov_b32 s23, 0xbc7abc9e
	s_mov_b32 s22, 0x3b39803f
	s_mov_b32 s28, 0x6a5dcb37
	s_mov_b32 s29, 0x3e5ade15
	s_mov_b32 s30, 0xbf559e2b
	s_mov_b32 s31, 0x3fc3ab76
	s_delay_alu instid0(VALU_DEP_1) | instskip(SKIP_3) | instid1(VALU_DEP_2)
	v_mul_f64 v[144:145], v[133:134], s[18:19]
	s_mov_b32 s18, 0xfca7ab0c
	s_mov_b32 s19, 0x3e928af3
	v_cmp_nlt_f64_e64 s17, 0x40900000, v[133:134]
	v_rndne_f64_e32 v[144:145], v[144:145]
	s_delay_alu instid0(VALU_DEP_1) | instskip(SKIP_2) | instid1(VALU_DEP_2)
	v_fma_f64 v[148:149], v[144:145], s[20:21], v[133:134]
	v_cvt_i32_f64_e32 v160, v[144:145]
	s_mov_b32 s21, 0x3fe62e42
	v_fma_f64 v[148:149], v[144:145], s[22:23], v[148:149]
	s_mov_b32 s23, 0x3c7abc9e
	s_delay_alu instid0(VALU_DEP_1) | instskip(SKIP_4) | instid1(VALU_DEP_1)
	v_fma_f64 v[150:151], v[148:149], s[28:29], s[18:19]
	s_mov_b32 s18, 0x623fde64
	s_mov_b32 s19, 0x3ec71dee
	s_mov_b32 s28, 0x6b47b09a
	s_mov_b32 s29, 0x3fc38538
	v_fma_f64 v[150:151], v[148:149], v[150:151], s[18:19]
	s_mov_b32 s18, 0x7c89e6b0
	s_mov_b32 s19, 0x3efa0199
	s_delay_alu instid0(VALU_DEP_1) | instid1(SALU_CYCLE_1)
	v_fma_f64 v[150:151], v[148:149], v[150:151], s[18:19]
	s_mov_b32 s18, 0x14761f6e
	s_mov_b32 s19, 0x3f2a01a0
	s_delay_alu instid0(VALU_DEP_1) | instid1(SALU_CYCLE_1)
	;; [unrolled: 4-line block ×7, first 2 shown]
	v_fma_f64 v[150:151], v[148:149], v[150:151], s[18:19]
	v_cmp_ngt_f64_e64 s18, 0xc090cc00, v[133:134]
	s_mov_b32 s19, 0x3fe55555
	s_delay_alu instid0(VALU_DEP_2) | instskip(NEXT) | instid1(VALU_DEP_1)
	v_fma_f64 v[150:151], v[148:149], v[150:151], 1.0
	v_fma_f64 v[144:145], v[148:149], v[150:151], 1.0
	s_delay_alu instid0(VALU_DEP_1) | instskip(NEXT) | instid1(VALU_DEP_1)
	v_ldexp_f64 v[144:145], v[144:145], v160
	v_cndmask_b32_e64 v145, 0x7ff00000, v145, s17
	s_and_b32 s17, s18, s17
	s_delay_alu instid0(VALU_DEP_2) | instid1(SALU_CYCLE_1)
	v_cndmask_b32_e64 v133, 0, v144, s17
	s_delay_alu instid0(VALU_DEP_2) | instskip(SKIP_1) | instid1(VALU_DEP_1)
	v_cndmask_b32_e64 v134, 0, v145, s18
	s_mov_b32 s18, 0x55555555
	v_add_f64 v[144:145], v[133:134], 1.0
	s_delay_alu instid0(VALU_DEP_1) | instskip(SKIP_2) | instid1(VALU_DEP_3)
	v_frexp_mant_f64_e32 v[148:149], v[144:145]
	v_frexp_exp_i32_f64_e32 v160, v[144:145]
	v_add_f64 v[150:151], v[144:145], -1.0
	v_cmp_gt_f64_e64 s17, s[18:19], v[148:149]
	s_mov_b32 s18, 0x55555780
	s_delay_alu instid0(VALU_DEP_2) | instskip(SKIP_1) | instid1(VALU_DEP_3)
	v_add_f64 v[148:149], v[150:151], -v[144:145]
	v_add_f64 v[150:151], v[133:134], -v[150:151]
	v_subrev_co_ci_u32_e64 v226, s17, 0, v160, s17
	s_delay_alu instid0(VALU_DEP_3) | instskip(SKIP_1) | instid1(VALU_DEP_3)
	v_add_f64 v[148:149], v[148:149], 1.0
	v_cmp_eq_f64_e64 s17, 0x7ff00000, v[133:134]
	v_sub_nc_u32_e32 v162, 0, v226
	s_delay_alu instid0(VALU_DEP_1) | instskip(NEXT) | instid1(VALU_DEP_4)
	v_ldexp_f64 v[144:145], v[144:145], v162
	v_add_f64 v[148:149], v[150:151], v[148:149]
	s_delay_alu instid0(VALU_DEP_2) | instskip(SKIP_1) | instid1(VALU_DEP_3)
	v_add_f64 v[160:161], v[144:145], 1.0
	v_add_f64 v[166:167], v[144:145], -1.0
	v_ldexp_f64 v[148:149], v[148:149], v162
	s_delay_alu instid0(VALU_DEP_3) | instskip(NEXT) | instid1(VALU_DEP_3)
	v_add_f64 v[150:151], v[160:161], -1.0
	v_add_f64 v[176:177], v[166:167], 1.0
	s_delay_alu instid0(VALU_DEP_2) | instskip(NEXT) | instid1(VALU_DEP_2)
	v_add_f64 v[150:151], v[144:145], -v[150:151]
	v_add_f64 v[144:145], v[144:145], -v[176:177]
	s_delay_alu instid0(VALU_DEP_2) | instskip(NEXT) | instid1(VALU_DEP_2)
	v_add_f64 v[150:151], v[148:149], v[150:151]
	v_add_f64 v[144:145], v[148:149], v[144:145]
	s_delay_alu instid0(VALU_DEP_2) | instskip(NEXT) | instid1(VALU_DEP_2)
	v_add_f64 v[162:163], v[160:161], v[150:151]
	v_add_f64 v[176:177], v[166:167], v[144:145]
	s_delay_alu instid0(VALU_DEP_2) | instskip(SKIP_1) | instid1(VALU_DEP_2)
	v_rcp_f64_e32 v[164:165], v[162:163]
	v_add_f64 v[160:161], v[162:163], -v[160:161]
	v_add_f64 v[166:167], v[176:177], -v[166:167]
	s_delay_alu instid0(VALU_DEP_2) | instskip(SKIP_3) | instid1(VALU_DEP_2)
	v_add_f64 v[150:151], v[150:151], -v[160:161]
	s_waitcnt_depctr 0xfff
	v_fma_f64 v[212:213], -v[162:163], v[164:165], 1.0
	v_add_f64 v[144:145], v[144:145], -v[166:167]
	v_fma_f64 v[164:165], v[212:213], v[164:165], v[164:165]
	s_delay_alu instid0(VALU_DEP_1) | instskip(NEXT) | instid1(VALU_DEP_1)
	v_fma_f64 v[148:149], -v[162:163], v[164:165], 1.0
	v_fma_f64 v[148:149], v[148:149], v[164:165], v[164:165]
	s_delay_alu instid0(VALU_DEP_1) | instskip(NEXT) | instid1(VALU_DEP_1)
	v_mul_f64 v[164:165], v[176:177], v[148:149]
	v_mul_f64 v[212:213], v[162:163], v[164:165]
	s_delay_alu instid0(VALU_DEP_1) | instskip(NEXT) | instid1(VALU_DEP_1)
	v_fma_f64 v[160:161], v[164:165], v[162:163], -v[212:213]
	v_fma_f64 v[160:161], v[164:165], v[150:151], v[160:161]
	s_delay_alu instid0(VALU_DEP_1) | instskip(NEXT) | instid1(VALU_DEP_1)
	v_add_f64 v[214:215], v[212:213], v[160:161]
	v_add_f64 v[224:225], v[176:177], -v[214:215]
	v_add_f64 v[166:167], v[214:215], -v[212:213]
	s_delay_alu instid0(VALU_DEP_2) | instskip(NEXT) | instid1(VALU_DEP_2)
	v_add_f64 v[176:177], v[176:177], -v[224:225]
	v_add_f64 v[160:161], v[166:167], -v[160:161]
	s_delay_alu instid0(VALU_DEP_2) | instskip(NEXT) | instid1(VALU_DEP_1)
	v_add_f64 v[176:177], v[176:177], -v[214:215]
	v_add_f64 v[144:145], v[144:145], v[176:177]
	s_delay_alu instid0(VALU_DEP_1) | instskip(NEXT) | instid1(VALU_DEP_1)
	v_add_f64 v[144:145], v[160:161], v[144:145]
	v_add_f64 v[160:161], v[224:225], v[144:145]
	s_delay_alu instid0(VALU_DEP_1) | instskip(SKIP_1) | instid1(VALU_DEP_2)
	v_mul_f64 v[166:167], v[148:149], v[160:161]
	v_add_f64 v[214:215], v[224:225], -v[160:161]
	v_mul_f64 v[176:177], v[162:163], v[166:167]
	s_delay_alu instid0(VALU_DEP_2) | instskip(NEXT) | instid1(VALU_DEP_2)
	v_add_f64 v[144:145], v[144:145], v[214:215]
	v_fma_f64 v[162:163], v[166:167], v[162:163], -v[176:177]
	s_delay_alu instid0(VALU_DEP_1) | instskip(NEXT) | instid1(VALU_DEP_1)
	v_fma_f64 v[150:151], v[166:167], v[150:151], v[162:163]
	v_add_f64 v[162:163], v[176:177], v[150:151]
	s_delay_alu instid0(VALU_DEP_1) | instskip(SKIP_1) | instid1(VALU_DEP_2)
	v_add_f64 v[212:213], v[160:161], -v[162:163]
	v_add_f64 v[176:177], v[162:163], -v[176:177]
	;; [unrolled: 1-line block ×3, first 2 shown]
	s_delay_alu instid0(VALU_DEP_2) | instskip(NEXT) | instid1(VALU_DEP_2)
	v_add_f64 v[150:151], v[176:177], -v[150:151]
	v_add_f64 v[160:161], v[160:161], -v[162:163]
	s_delay_alu instid0(VALU_DEP_1) | instskip(SKIP_1) | instid1(VALU_DEP_2)
	v_add_f64 v[144:145], v[144:145], v[160:161]
	v_add_f64 v[160:161], v[164:165], v[166:167]
	;; [unrolled: 1-line block ×3, first 2 shown]
	s_delay_alu instid0(VALU_DEP_2) | instskip(NEXT) | instid1(VALU_DEP_2)
	v_add_f64 v[150:151], v[160:161], -v[164:165]
	v_add_f64 v[144:145], v[212:213], v[144:145]
	s_delay_alu instid0(VALU_DEP_2) | instskip(NEXT) | instid1(VALU_DEP_2)
	v_add_f64 v[150:151], v[166:167], -v[150:151]
	v_mul_f64 v[144:145], v[148:149], v[144:145]
	s_delay_alu instid0(VALU_DEP_1) | instskip(NEXT) | instid1(VALU_DEP_1)
	v_add_f64 v[144:145], v[150:151], v[144:145]
	v_add_f64 v[148:149], v[160:161], v[144:145]
	s_delay_alu instid0(VALU_DEP_1) | instskip(NEXT) | instid1(VALU_DEP_1)
	v_mul_f64 v[150:151], v[148:149], v[148:149]
	v_fma_f64 v[162:163], v[150:151], s[30:31], s[28:29]
	s_mov_b32 s28, 0xd7f4df2e
	s_mov_b32 s29, 0x3fc7474d
	v_mul_f64 v[164:165], v[148:149], v[150:151]
	s_delay_alu instid0(VALU_DEP_2)
	v_fma_f64 v[162:163], v[150:151], v[162:163], s[28:29]
	s_mov_b32 s28, 0x16291751
	s_mov_b32 s29, 0x3fcc71c0
	s_delay_alu instid0(VALU_DEP_1) | instid1(SALU_CYCLE_1)
	v_fma_f64 v[162:163], v[150:151], v[162:163], s[28:29]
	s_mov_b32 s28, 0x9b27acf1
	s_mov_b32 s29, 0x3fd24924
	s_delay_alu instid0(VALU_DEP_1) | instid1(SALU_CYCLE_1)
	;; [unrolled: 4-line block ×3, first 2 shown]
	v_fma_f64 v[162:163], v[150:151], v[162:163], s[28:29]
	s_delay_alu instid0(VALU_DEP_1) | instskip(SKIP_2) | instid1(VALU_DEP_3)
	v_fma_f64 v[150:151], v[150:151], v[162:163], s[18:19]
	v_ldexp_f64 v[162:163], v[148:149], 1
	v_add_f64 v[148:149], v[148:149], -v[160:161]
	v_mul_f64 v[150:151], v[164:165], v[150:151]
	v_cvt_f64_i32_e32 v[164:165], v226
	s_delay_alu instid0(VALU_DEP_3) | instskip(NEXT) | instid1(VALU_DEP_3)
	v_add_f64 v[144:145], v[144:145], -v[148:149]
	v_add_f64 v[160:161], v[162:163], v[150:151]
	s_delay_alu instid0(VALU_DEP_3) | instskip(NEXT) | instid1(VALU_DEP_3)
	v_mul_f64 v[166:167], v[164:165], s[20:21]
	v_ldexp_f64 v[144:145], v[144:145], 1
	s_delay_alu instid0(VALU_DEP_3) | instskip(NEXT) | instid1(VALU_DEP_3)
	v_add_f64 v[148:149], v[160:161], -v[162:163]
	v_fma_f64 v[162:163], v[164:165], s[20:21], -v[166:167]
	s_delay_alu instid0(VALU_DEP_2) | instskip(NEXT) | instid1(VALU_DEP_2)
	v_add_f64 v[148:149], v[150:151], -v[148:149]
	v_fma_f64 v[150:151], v[164:165], s[22:23], v[162:163]
	s_delay_alu instid0(VALU_DEP_2) | instskip(NEXT) | instid1(VALU_DEP_2)
	v_add_f64 v[144:145], v[144:145], v[148:149]
	v_add_f64 v[148:149], v[166:167], v[150:151]
	s_delay_alu instid0(VALU_DEP_2) | instskip(NEXT) | instid1(VALU_DEP_2)
	v_add_f64 v[162:163], v[160:161], v[144:145]
	v_add_f64 v[166:167], v[148:149], -v[166:167]
	s_delay_alu instid0(VALU_DEP_2) | instskip(SKIP_1) | instid1(VALU_DEP_3)
	v_add_f64 v[164:165], v[148:149], v[162:163]
	v_add_f64 v[160:161], v[162:163], -v[160:161]
	v_add_f64 v[150:151], v[150:151], -v[166:167]
	s_delay_alu instid0(VALU_DEP_3) | instskip(NEXT) | instid1(VALU_DEP_3)
	v_add_f64 v[176:177], v[164:165], -v[148:149]
	v_add_f64 v[144:145], v[144:145], -v[160:161]
	s_delay_alu instid0(VALU_DEP_2) | instskip(SKIP_1) | instid1(VALU_DEP_3)
	v_add_f64 v[212:213], v[164:165], -v[176:177]
	v_add_f64 v[160:161], v[162:163], -v[176:177]
	v_add_f64 v[162:163], v[150:151], v[144:145]
	s_delay_alu instid0(VALU_DEP_3) | instskip(NEXT) | instid1(VALU_DEP_1)
	v_add_f64 v[148:149], v[148:149], -v[212:213]
	v_add_f64 v[148:149], v[160:161], v[148:149]
	s_delay_alu instid0(VALU_DEP_3) | instskip(NEXT) | instid1(VALU_DEP_2)
	v_add_f64 v[160:161], v[162:163], -v[150:151]
	v_add_f64 v[148:149], v[162:163], v[148:149]
	s_delay_alu instid0(VALU_DEP_2) | instskip(SKIP_1) | instid1(VALU_DEP_3)
	v_add_f64 v[162:163], v[162:163], -v[160:161]
	v_add_f64 v[144:145], v[144:145], -v[160:161]
	v_add_f64 v[166:167], v[164:165], v[148:149]
	s_delay_alu instid0(VALU_DEP_3) | instskip(NEXT) | instid1(VALU_DEP_2)
	v_add_f64 v[150:151], v[150:151], -v[162:163]
	v_add_f64 v[160:161], v[166:167], -v[164:165]
	s_delay_alu instid0(VALU_DEP_2) | instskip(NEXT) | instid1(VALU_DEP_2)
	v_add_f64 v[144:145], v[144:145], v[150:151]
	v_add_f64 v[148:149], v[148:149], -v[160:161]
	s_delay_alu instid0(VALU_DEP_1) | instskip(NEXT) | instid1(VALU_DEP_1)
	v_add_f64 v[144:145], v[144:145], v[148:149]
	v_add_f64 v[144:145], v[166:167], v[144:145]
	s_delay_alu instid0(VALU_DEP_1) | instskip(NEXT) | instid1(VALU_DEP_2)
	v_cndmask_b32_e64 v144, v144, v133, s17
	v_cndmask_b32_e64 v145, v145, v134, s17
	v_cmp_ngt_f64_e64 s17, -1.0, v[133:134]
	s_delay_alu instid0(VALU_DEP_1) | instskip(SKIP_1) | instid1(VALU_DEP_1)
	v_cndmask_b32_e64 v145, 0x7ff80000, v145, s17
	v_cmp_nge_f64_e64 s17, -1.0, v[133:134]
	v_cndmask_b32_e64 v144, 0, v144, s17
	v_cmp_neq_f64_e64 s17, -1.0, v[133:134]
	s_delay_alu instid0(VALU_DEP_1) | instskip(NEXT) | instid1(VALU_DEP_1)
	v_cndmask_b32_e64 v145, 0xfff00000, v145, s17
	v_add_f64 v[133:134], v[131:132], v[144:145]
.LBB76_324:
	s_or_b32 exec_lo, exec_lo, s26
	s_delay_alu instid0(VALU_DEP_1)
	v_dual_mov_b32 v131, v133 :: v_dual_mov_b32 v132, v134
.LBB76_325:
	s_or_b32 exec_lo, exec_lo, s25
	ds_store_b64 v198, v[131:132]
.LBB76_326:
	s_or_b32 exec_lo, exec_lo, s24
	s_delay_alu instid0(SALU_CYCLE_1)
	s_mov_b32 s24, exec_lo
	s_waitcnt lgkmcnt(0)
	s_barrier
	buffer_gl0_inv
                                        ; implicit-def: $vgpr131_vgpr132
	v_cmpx_lt_u32_e32 31, v128
	s_cbranch_execz .LBB76_330
; %bb.327:
	v_lshl_add_u32 v131, v147, 3, -8
	v_max_f64 v[133:134], v[48:49], v[48:49]
	v_cmp_u_f64_e64 s18, v[48:49], v[48:49]
	ds_load_b64 v[131:132], v131
	s_waitcnt lgkmcnt(0)
	v_max_f64 v[144:145], v[131:132], v[131:132]
	v_cmp_u_f64_e64 s17, v[131:132], v[131:132]
	s_delay_alu instid0(VALU_DEP_2) | instskip(SKIP_1) | instid1(VALU_DEP_2)
	v_min_f64 v[147:148], v[144:145], v[133:134]
	v_max_f64 v[133:134], v[144:145], v[133:134]
	v_cndmask_b32_e64 v144, v147, v131, s17
	s_delay_alu instid0(VALU_DEP_3) | instskip(NEXT) | instid1(VALU_DEP_3)
	v_cndmask_b32_e64 v145, v148, v132, s17
	v_cndmask_b32_e64 v134, v134, v132, s17
	s_delay_alu instid0(VALU_DEP_4) | instskip(NEXT) | instid1(VALU_DEP_4)
	v_cndmask_b32_e64 v133, v133, v131, s17
	v_cndmask_b32_e64 v144, v144, v48, s18
	s_delay_alu instid0(VALU_DEP_4) | instskip(NEXT) | instid1(VALU_DEP_4)
	v_cndmask_b32_e64 v145, v145, v49, s18
	v_cndmask_b32_e64 v134, v134, v49, s18
	s_delay_alu instid0(VALU_DEP_4) | instskip(SKIP_1) | instid1(VALU_DEP_4)
	v_cndmask_b32_e64 v133, v133, v48, s18
	v_dual_mov_b32 v48, v131 :: v_dual_mov_b32 v49, v132
	v_cmp_class_f64_e64 s18, v[144:145], 0x1f8
	s_delay_alu instid0(VALU_DEP_3) | instskip(NEXT) | instid1(VALU_DEP_1)
	v_cmp_neq_f64_e64 s17, v[144:145], v[133:134]
	s_or_b32 s17, s17, s18
	s_delay_alu instid0(SALU_CYCLE_1)
	s_and_saveexec_b32 s25, s17
	s_cbranch_execz .LBB76_329
; %bb.328:
	v_add_f64 v[48:49], v[144:145], -v[133:134]
	s_mov_b32 s18, 0x652b82fe
	s_mov_b32 s19, 0x3ff71547
	;; [unrolled: 1-line block ×10, first 2 shown]
	s_delay_alu instid0(VALU_DEP_1) | instskip(SKIP_3) | instid1(VALU_DEP_2)
	v_mul_f64 v[144:145], v[48:49], s[18:19]
	s_mov_b32 s18, 0xfca7ab0c
	s_mov_b32 s19, 0x3e928af3
	v_cmp_nlt_f64_e64 s17, 0x40900000, v[48:49]
	v_rndne_f64_e32 v[144:145], v[144:145]
	s_delay_alu instid0(VALU_DEP_1) | instskip(SKIP_2) | instid1(VALU_DEP_2)
	v_fma_f64 v[147:148], v[144:145], s[20:21], v[48:49]
	v_cvt_i32_f64_e32 v151, v[144:145]
	s_mov_b32 s21, 0x3fe62e42
	v_fma_f64 v[147:148], v[144:145], s[22:23], v[147:148]
	s_mov_b32 s23, 0x3c7abc9e
	s_delay_alu instid0(VALU_DEP_1) | instskip(SKIP_4) | instid1(VALU_DEP_1)
	v_fma_f64 v[149:150], v[147:148], s[26:27], s[18:19]
	s_mov_b32 s18, 0x623fde64
	s_mov_b32 s19, 0x3ec71dee
	;; [unrolled: 1-line block ×4, first 2 shown]
	v_fma_f64 v[149:150], v[147:148], v[149:150], s[18:19]
	s_mov_b32 s18, 0x7c89e6b0
	s_mov_b32 s19, 0x3efa0199
	s_delay_alu instid0(VALU_DEP_1) | instid1(SALU_CYCLE_1)
	v_fma_f64 v[149:150], v[147:148], v[149:150], s[18:19]
	s_mov_b32 s18, 0x14761f6e
	s_mov_b32 s19, 0x3f2a01a0
	s_delay_alu instid0(VALU_DEP_1) | instid1(SALU_CYCLE_1)
	;; [unrolled: 4-line block ×7, first 2 shown]
	v_fma_f64 v[149:150], v[147:148], v[149:150], s[18:19]
	v_cmp_ngt_f64_e64 s18, 0xc090cc00, v[48:49]
	s_mov_b32 s19, 0x3fe55555
	s_delay_alu instid0(VALU_DEP_2) | instskip(NEXT) | instid1(VALU_DEP_1)
	v_fma_f64 v[149:150], v[147:148], v[149:150], 1.0
	v_fma_f64 v[144:145], v[147:148], v[149:150], 1.0
	s_delay_alu instid0(VALU_DEP_1) | instskip(NEXT) | instid1(VALU_DEP_1)
	v_ldexp_f64 v[144:145], v[144:145], v151
	v_cndmask_b32_e64 v145, 0x7ff00000, v145, s17
	s_and_b32 s17, s18, s17
	s_delay_alu instid0(VALU_DEP_2) | instid1(SALU_CYCLE_1)
	v_cndmask_b32_e64 v48, 0, v144, s17
	s_delay_alu instid0(VALU_DEP_2) | instskip(SKIP_1) | instid1(VALU_DEP_1)
	v_cndmask_b32_e64 v49, 0, v145, s18
	s_mov_b32 s18, 0x55555555
	v_add_f64 v[144:145], v[48:49], 1.0
	s_delay_alu instid0(VALU_DEP_1) | instskip(SKIP_2) | instid1(VALU_DEP_3)
	v_frexp_mant_f64_e32 v[147:148], v[144:145]
	v_frexp_exp_i32_f64_e32 v151, v[144:145]
	v_add_f64 v[149:150], v[144:145], -1.0
	v_cmp_gt_f64_e64 s17, s[18:19], v[147:148]
	s_mov_b32 s18, 0x55555780
	s_delay_alu instid0(VALU_DEP_2) | instskip(SKIP_1) | instid1(VALU_DEP_3)
	v_add_f64 v[147:148], v[149:150], -v[144:145]
	v_add_f64 v[149:150], v[48:49], -v[149:150]
	v_subrev_co_ci_u32_e64 v151, s17, 0, v151, s17
	s_delay_alu instid0(VALU_DEP_3) | instskip(SKIP_1) | instid1(VALU_DEP_3)
	v_add_f64 v[147:148], v[147:148], 1.0
	v_cmp_eq_f64_e64 s17, 0x7ff00000, v[48:49]
	v_sub_nc_u32_e32 v162, 0, v151
	s_delay_alu instid0(VALU_DEP_1) | instskip(NEXT) | instid1(VALU_DEP_4)
	v_ldexp_f64 v[144:145], v[144:145], v162
	v_add_f64 v[147:148], v[149:150], v[147:148]
	s_delay_alu instid0(VALU_DEP_2) | instskip(SKIP_1) | instid1(VALU_DEP_3)
	v_add_f64 v[160:161], v[144:145], 1.0
	v_add_f64 v[166:167], v[144:145], -1.0
	v_ldexp_f64 v[147:148], v[147:148], v162
	s_delay_alu instid0(VALU_DEP_3) | instskip(NEXT) | instid1(VALU_DEP_3)
	v_add_f64 v[149:150], v[160:161], -1.0
	v_add_f64 v[176:177], v[166:167], 1.0
	s_delay_alu instid0(VALU_DEP_2) | instskip(NEXT) | instid1(VALU_DEP_2)
	v_add_f64 v[149:150], v[144:145], -v[149:150]
	v_add_f64 v[144:145], v[144:145], -v[176:177]
	s_delay_alu instid0(VALU_DEP_2) | instskip(NEXT) | instid1(VALU_DEP_2)
	v_add_f64 v[149:150], v[147:148], v[149:150]
	v_add_f64 v[144:145], v[147:148], v[144:145]
	s_delay_alu instid0(VALU_DEP_2) | instskip(NEXT) | instid1(VALU_DEP_2)
	v_add_f64 v[162:163], v[160:161], v[149:150]
	v_add_f64 v[176:177], v[166:167], v[144:145]
	s_delay_alu instid0(VALU_DEP_2) | instskip(SKIP_1) | instid1(VALU_DEP_2)
	v_rcp_f64_e32 v[164:165], v[162:163]
	v_add_f64 v[160:161], v[162:163], -v[160:161]
	v_add_f64 v[166:167], v[176:177], -v[166:167]
	s_delay_alu instid0(VALU_DEP_2) | instskip(SKIP_3) | instid1(VALU_DEP_2)
	v_add_f64 v[149:150], v[149:150], -v[160:161]
	s_waitcnt_depctr 0xfff
	v_fma_f64 v[212:213], -v[162:163], v[164:165], 1.0
	v_add_f64 v[144:145], v[144:145], -v[166:167]
	v_fma_f64 v[164:165], v[212:213], v[164:165], v[164:165]
	s_delay_alu instid0(VALU_DEP_1) | instskip(NEXT) | instid1(VALU_DEP_1)
	v_fma_f64 v[147:148], -v[162:163], v[164:165], 1.0
	v_fma_f64 v[147:148], v[147:148], v[164:165], v[164:165]
	s_delay_alu instid0(VALU_DEP_1) | instskip(NEXT) | instid1(VALU_DEP_1)
	v_mul_f64 v[164:165], v[176:177], v[147:148]
	v_mul_f64 v[212:213], v[162:163], v[164:165]
	s_delay_alu instid0(VALU_DEP_1) | instskip(NEXT) | instid1(VALU_DEP_1)
	v_fma_f64 v[160:161], v[164:165], v[162:163], -v[212:213]
	v_fma_f64 v[160:161], v[164:165], v[149:150], v[160:161]
	s_delay_alu instid0(VALU_DEP_1) | instskip(NEXT) | instid1(VALU_DEP_1)
	v_add_f64 v[214:215], v[212:213], v[160:161]
	v_add_f64 v[224:225], v[176:177], -v[214:215]
	v_add_f64 v[166:167], v[214:215], -v[212:213]
	s_delay_alu instid0(VALU_DEP_2) | instskip(NEXT) | instid1(VALU_DEP_2)
	v_add_f64 v[176:177], v[176:177], -v[224:225]
	v_add_f64 v[160:161], v[166:167], -v[160:161]
	s_delay_alu instid0(VALU_DEP_2) | instskip(NEXT) | instid1(VALU_DEP_1)
	v_add_f64 v[176:177], v[176:177], -v[214:215]
	v_add_f64 v[144:145], v[144:145], v[176:177]
	s_delay_alu instid0(VALU_DEP_1) | instskip(NEXT) | instid1(VALU_DEP_1)
	v_add_f64 v[144:145], v[160:161], v[144:145]
	v_add_f64 v[160:161], v[224:225], v[144:145]
	s_delay_alu instid0(VALU_DEP_1) | instskip(SKIP_1) | instid1(VALU_DEP_2)
	v_mul_f64 v[166:167], v[147:148], v[160:161]
	v_add_f64 v[214:215], v[224:225], -v[160:161]
	v_mul_f64 v[176:177], v[162:163], v[166:167]
	s_delay_alu instid0(VALU_DEP_2) | instskip(NEXT) | instid1(VALU_DEP_2)
	v_add_f64 v[144:145], v[144:145], v[214:215]
	v_fma_f64 v[162:163], v[166:167], v[162:163], -v[176:177]
	s_delay_alu instid0(VALU_DEP_1) | instskip(NEXT) | instid1(VALU_DEP_1)
	v_fma_f64 v[149:150], v[166:167], v[149:150], v[162:163]
	v_add_f64 v[162:163], v[176:177], v[149:150]
	s_delay_alu instid0(VALU_DEP_1) | instskip(SKIP_1) | instid1(VALU_DEP_2)
	v_add_f64 v[212:213], v[160:161], -v[162:163]
	v_add_f64 v[176:177], v[162:163], -v[176:177]
	;; [unrolled: 1-line block ×3, first 2 shown]
	s_delay_alu instid0(VALU_DEP_2) | instskip(NEXT) | instid1(VALU_DEP_2)
	v_add_f64 v[149:150], v[176:177], -v[149:150]
	v_add_f64 v[160:161], v[160:161], -v[162:163]
	s_delay_alu instid0(VALU_DEP_1) | instskip(SKIP_1) | instid1(VALU_DEP_2)
	v_add_f64 v[144:145], v[144:145], v[160:161]
	v_add_f64 v[160:161], v[164:165], v[166:167]
	;; [unrolled: 1-line block ×3, first 2 shown]
	s_delay_alu instid0(VALU_DEP_2) | instskip(NEXT) | instid1(VALU_DEP_2)
	v_add_f64 v[149:150], v[160:161], -v[164:165]
	v_add_f64 v[144:145], v[212:213], v[144:145]
	s_delay_alu instid0(VALU_DEP_2) | instskip(NEXT) | instid1(VALU_DEP_2)
	v_add_f64 v[149:150], v[166:167], -v[149:150]
	v_mul_f64 v[144:145], v[147:148], v[144:145]
	s_delay_alu instid0(VALU_DEP_1) | instskip(NEXT) | instid1(VALU_DEP_1)
	v_add_f64 v[144:145], v[149:150], v[144:145]
	v_add_f64 v[147:148], v[160:161], v[144:145]
	s_delay_alu instid0(VALU_DEP_1) | instskip(NEXT) | instid1(VALU_DEP_1)
	v_mul_f64 v[149:150], v[147:148], v[147:148]
	v_fma_f64 v[162:163], v[149:150], s[28:29], s[26:27]
	s_mov_b32 s26, 0xd7f4df2e
	s_mov_b32 s27, 0x3fc7474d
	v_mul_f64 v[164:165], v[147:148], v[149:150]
	s_delay_alu instid0(VALU_DEP_2)
	v_fma_f64 v[162:163], v[149:150], v[162:163], s[26:27]
	s_mov_b32 s26, 0x16291751
	s_mov_b32 s27, 0x3fcc71c0
	s_delay_alu instid0(VALU_DEP_1) | instid1(SALU_CYCLE_1)
	v_fma_f64 v[162:163], v[149:150], v[162:163], s[26:27]
	s_mov_b32 s26, 0x9b27acf1
	s_mov_b32 s27, 0x3fd24924
	s_delay_alu instid0(VALU_DEP_1) | instid1(SALU_CYCLE_1)
	;; [unrolled: 4-line block ×3, first 2 shown]
	v_fma_f64 v[162:163], v[149:150], v[162:163], s[26:27]
	s_delay_alu instid0(VALU_DEP_1) | instskip(SKIP_2) | instid1(VALU_DEP_3)
	v_fma_f64 v[149:150], v[149:150], v[162:163], s[18:19]
	v_ldexp_f64 v[162:163], v[147:148], 1
	v_add_f64 v[147:148], v[147:148], -v[160:161]
	v_mul_f64 v[149:150], v[164:165], v[149:150]
	v_cvt_f64_i32_e32 v[164:165], v151
	s_delay_alu instid0(VALU_DEP_3) | instskip(NEXT) | instid1(VALU_DEP_3)
	v_add_f64 v[144:145], v[144:145], -v[147:148]
	v_add_f64 v[160:161], v[162:163], v[149:150]
	s_delay_alu instid0(VALU_DEP_3) | instskip(NEXT) | instid1(VALU_DEP_3)
	v_mul_f64 v[166:167], v[164:165], s[20:21]
	v_ldexp_f64 v[144:145], v[144:145], 1
	s_delay_alu instid0(VALU_DEP_3) | instskip(NEXT) | instid1(VALU_DEP_3)
	v_add_f64 v[147:148], v[160:161], -v[162:163]
	v_fma_f64 v[162:163], v[164:165], s[20:21], -v[166:167]
	s_delay_alu instid0(VALU_DEP_2) | instskip(NEXT) | instid1(VALU_DEP_2)
	v_add_f64 v[147:148], v[149:150], -v[147:148]
	v_fma_f64 v[149:150], v[164:165], s[22:23], v[162:163]
	s_delay_alu instid0(VALU_DEP_2) | instskip(NEXT) | instid1(VALU_DEP_2)
	v_add_f64 v[144:145], v[144:145], v[147:148]
	v_add_f64 v[147:148], v[166:167], v[149:150]
	s_delay_alu instid0(VALU_DEP_2) | instskip(NEXT) | instid1(VALU_DEP_2)
	v_add_f64 v[162:163], v[160:161], v[144:145]
	v_add_f64 v[166:167], v[147:148], -v[166:167]
	s_delay_alu instid0(VALU_DEP_2) | instskip(SKIP_1) | instid1(VALU_DEP_3)
	v_add_f64 v[164:165], v[147:148], v[162:163]
	v_add_f64 v[160:161], v[162:163], -v[160:161]
	v_add_f64 v[149:150], v[149:150], -v[166:167]
	s_delay_alu instid0(VALU_DEP_3) | instskip(NEXT) | instid1(VALU_DEP_3)
	v_add_f64 v[176:177], v[164:165], -v[147:148]
	v_add_f64 v[144:145], v[144:145], -v[160:161]
	s_delay_alu instid0(VALU_DEP_2) | instskip(SKIP_1) | instid1(VALU_DEP_3)
	v_add_f64 v[212:213], v[164:165], -v[176:177]
	v_add_f64 v[160:161], v[162:163], -v[176:177]
	v_add_f64 v[162:163], v[149:150], v[144:145]
	s_delay_alu instid0(VALU_DEP_3) | instskip(NEXT) | instid1(VALU_DEP_1)
	v_add_f64 v[147:148], v[147:148], -v[212:213]
	v_add_f64 v[147:148], v[160:161], v[147:148]
	s_delay_alu instid0(VALU_DEP_3) | instskip(NEXT) | instid1(VALU_DEP_2)
	v_add_f64 v[160:161], v[162:163], -v[149:150]
	v_add_f64 v[147:148], v[162:163], v[147:148]
	s_delay_alu instid0(VALU_DEP_2) | instskip(SKIP_1) | instid1(VALU_DEP_3)
	v_add_f64 v[162:163], v[162:163], -v[160:161]
	v_add_f64 v[144:145], v[144:145], -v[160:161]
	v_add_f64 v[166:167], v[164:165], v[147:148]
	s_delay_alu instid0(VALU_DEP_3) | instskip(NEXT) | instid1(VALU_DEP_2)
	v_add_f64 v[149:150], v[149:150], -v[162:163]
	v_add_f64 v[160:161], v[166:167], -v[164:165]
	s_delay_alu instid0(VALU_DEP_2) | instskip(NEXT) | instid1(VALU_DEP_2)
	v_add_f64 v[144:145], v[144:145], v[149:150]
	v_add_f64 v[147:148], v[147:148], -v[160:161]
	s_delay_alu instid0(VALU_DEP_1) | instskip(NEXT) | instid1(VALU_DEP_1)
	v_add_f64 v[144:145], v[144:145], v[147:148]
	v_add_f64 v[144:145], v[166:167], v[144:145]
	s_delay_alu instid0(VALU_DEP_1) | instskip(NEXT) | instid1(VALU_DEP_2)
	v_cndmask_b32_e64 v144, v144, v48, s17
	v_cndmask_b32_e64 v145, v145, v49, s17
	v_cmp_ngt_f64_e64 s17, -1.0, v[48:49]
	s_delay_alu instid0(VALU_DEP_1) | instskip(SKIP_1) | instid1(VALU_DEP_1)
	v_cndmask_b32_e64 v145, 0x7ff80000, v145, s17
	v_cmp_nge_f64_e64 s17, -1.0, v[48:49]
	v_cndmask_b32_e64 v144, 0, v144, s17
	v_cmp_neq_f64_e64 s17, -1.0, v[48:49]
	s_delay_alu instid0(VALU_DEP_1) | instskip(NEXT) | instid1(VALU_DEP_1)
	v_cndmask_b32_e64 v145, 0xfff00000, v145, s17
	v_add_f64 v[48:49], v[133:134], v[144:145]
.LBB76_329:
	s_or_b32 exec_lo, exec_lo, s25
.LBB76_330:
	s_delay_alu instid0(SALU_CYCLE_1) | instskip(SKIP_1) | instid1(VALU_DEP_1)
	s_or_b32 exec_lo, exec_lo, s24
	v_add_nc_u32_e32 v133, -1, v146
	v_cmp_gt_i32_e64 s17, 0, v133
	s_delay_alu instid0(VALU_DEP_1) | instskip(NEXT) | instid1(VALU_DEP_1)
	v_cndmask_b32_e64 v133, v133, v146, s17
	v_lshlrev_b32_e32 v133, 2, v133
	ds_bpermute_b32 v48, v133, v48
	ds_bpermute_b32 v49, v133, v49
	s_and_saveexec_b32 s22, s1
	s_cbranch_execz .LBB76_334
; %bb.331:
	v_cmp_eq_u32_e64 s1, 0, v146
	s_waitcnt lgkmcnt(0)
	s_delay_alu instid0(VALU_DEP_1) | instskip(SKIP_1) | instid1(VALU_DEP_1)
	v_cndmask_b32_e64 v49, v49, v132, s1
	v_cndmask_b32_e64 v48, v48, v131, s1
	v_max_f64 v[34:35], v[48:49], v[48:49]
	v_cmp_u_f64_e64 s1, v[48:49], v[48:49]
	s_delay_alu instid0(VALU_DEP_2) | instskip(SKIP_1) | instid1(VALU_DEP_2)
	v_min_f64 v[36:37], v[34:35], v[32:33]
	v_max_f64 v[32:33], v[34:35], v[32:33]
	v_cndmask_b32_e64 v34, v36, v48, s1
	s_delay_alu instid0(VALU_DEP_3) | instskip(NEXT) | instid1(VALU_DEP_3)
	v_cndmask_b32_e64 v35, v37, v49, s1
	v_cndmask_b32_e64 v36, v33, v49, s1
	s_delay_alu instid0(VALU_DEP_4) | instskip(NEXT) | instid1(VALU_DEP_4)
	v_cndmask_b32_e64 v37, v32, v48, s1
	v_cndmask_b32_e64 v32, v34, v0, s16
	s_delay_alu instid0(VALU_DEP_4) | instskip(NEXT) | instid1(VALU_DEP_4)
	v_cndmask_b32_e64 v33, v35, v1, s16
	v_cndmask_b32_e64 v1, v36, v1, s16
	s_delay_alu instid0(VALU_DEP_4) | instskip(NEXT) | instid1(VALU_DEP_3)
	v_cndmask_b32_e64 v0, v37, v0, s16
	v_cmp_class_f64_e64 s16, v[32:33], 0x1f8
	s_delay_alu instid0(VALU_DEP_2) | instskip(NEXT) | instid1(VALU_DEP_1)
	v_cmp_neq_f64_e64 s1, v[32:33], v[0:1]
	s_or_b32 s1, s1, s16
	s_delay_alu instid0(SALU_CYCLE_1)
	s_and_saveexec_b32 s23, s1
	s_cbranch_execz .LBB76_333
; %bb.332:
	v_add_f64 v[32:33], v[32:33], -v[0:1]
	s_mov_b32 s16, 0x652b82fe
	s_mov_b32 s17, 0x3ff71547
	;; [unrolled: 1-line block ×10, first 2 shown]
	s_delay_alu instid0(VALU_DEP_1) | instskip(SKIP_3) | instid1(VALU_DEP_2)
	v_mul_f64 v[34:35], v[32:33], s[16:17]
	s_mov_b32 s16, 0xfca7ab0c
	s_mov_b32 s17, 0x3e928af3
	v_cmp_nlt_f64_e64 s1, 0x40900000, v[32:33]
	v_rndne_f64_e32 v[34:35], v[34:35]
	s_delay_alu instid0(VALU_DEP_1) | instskip(SKIP_2) | instid1(VALU_DEP_2)
	v_fma_f64 v[36:37], v[34:35], s[18:19], v[32:33]
	v_cvt_i32_f64_e32 v131, v[34:35]
	s_mov_b32 s19, 0x3fe62e42
	v_fma_f64 v[36:37], v[34:35], s[20:21], v[36:37]
	s_mov_b32 s21, 0x3c7abc9e
	s_delay_alu instid0(VALU_DEP_1) | instskip(SKIP_4) | instid1(VALU_DEP_1)
	v_fma_f64 v[48:49], v[36:37], s[24:25], s[16:17]
	s_mov_b32 s16, 0x623fde64
	s_mov_b32 s17, 0x3ec71dee
	;; [unrolled: 1-line block ×4, first 2 shown]
	v_fma_f64 v[48:49], v[36:37], v[48:49], s[16:17]
	s_mov_b32 s16, 0x7c89e6b0
	s_mov_b32 s17, 0x3efa0199
	s_delay_alu instid0(VALU_DEP_1) | instid1(SALU_CYCLE_1)
	v_fma_f64 v[48:49], v[36:37], v[48:49], s[16:17]
	s_mov_b32 s16, 0x14761f6e
	s_mov_b32 s17, 0x3f2a01a0
	s_delay_alu instid0(VALU_DEP_1) | instid1(SALU_CYCLE_1)
	;; [unrolled: 4-line block ×7, first 2 shown]
	v_fma_f64 v[48:49], v[36:37], v[48:49], s[16:17]
	v_cmp_ngt_f64_e64 s16, 0xc090cc00, v[32:33]
	s_mov_b32 s17, 0x3fe55555
	s_delay_alu instid0(VALU_DEP_2) | instskip(NEXT) | instid1(VALU_DEP_1)
	v_fma_f64 v[48:49], v[36:37], v[48:49], 1.0
	v_fma_f64 v[34:35], v[36:37], v[48:49], 1.0
	s_delay_alu instid0(VALU_DEP_1) | instskip(NEXT) | instid1(VALU_DEP_1)
	v_ldexp_f64 v[34:35], v[34:35], v131
	v_cndmask_b32_e64 v35, 0x7ff00000, v35, s1
	s_and_b32 s1, s16, s1
	s_delay_alu instid0(VALU_DEP_2) | instid1(SALU_CYCLE_1)
	v_cndmask_b32_e64 v32, 0, v34, s1
	s_delay_alu instid0(VALU_DEP_2) | instskip(SKIP_1) | instid1(VALU_DEP_1)
	v_cndmask_b32_e64 v33, 0, v35, s16
	s_mov_b32 s16, 0x55555555
	v_add_f64 v[34:35], v[32:33], 1.0
	s_delay_alu instid0(VALU_DEP_1) | instskip(SKIP_2) | instid1(VALU_DEP_3)
	v_frexp_mant_f64_e32 v[36:37], v[34:35]
	v_frexp_exp_i32_f64_e32 v131, v[34:35]
	v_add_f64 v[48:49], v[34:35], -1.0
	v_cmp_gt_f64_e64 s1, s[16:17], v[36:37]
	s_mov_b32 s16, 0x55555780
	s_delay_alu instid0(VALU_DEP_2) | instskip(SKIP_1) | instid1(VALU_DEP_3)
	v_add_f64 v[36:37], v[48:49], -v[34:35]
	v_add_f64 v[48:49], v[32:33], -v[48:49]
	v_subrev_co_ci_u32_e64 v164, s1, 0, v131, s1
	s_delay_alu instid0(VALU_DEP_3) | instskip(SKIP_1) | instid1(VALU_DEP_3)
	v_add_f64 v[36:37], v[36:37], 1.0
	v_cmp_eq_f64_e64 s1, 0x7ff00000, v[32:33]
	v_sub_nc_u32_e32 v133, 0, v164
	s_delay_alu instid0(VALU_DEP_1) | instskip(NEXT) | instid1(VALU_DEP_4)
	v_ldexp_f64 v[34:35], v[34:35], v133
	v_add_f64 v[36:37], v[48:49], v[36:37]
	s_delay_alu instid0(VALU_DEP_2) | instskip(SKIP_1) | instid1(VALU_DEP_3)
	v_add_f64 v[131:132], v[34:35], 1.0
	v_add_f64 v[146:147], v[34:35], -1.0
	v_ldexp_f64 v[36:37], v[36:37], v133
	s_delay_alu instid0(VALU_DEP_3) | instskip(NEXT) | instid1(VALU_DEP_3)
	v_add_f64 v[48:49], v[131:132], -1.0
	v_add_f64 v[148:149], v[146:147], 1.0
	s_delay_alu instid0(VALU_DEP_2) | instskip(NEXT) | instid1(VALU_DEP_2)
	v_add_f64 v[48:49], v[34:35], -v[48:49]
	v_add_f64 v[34:35], v[34:35], -v[148:149]
	s_delay_alu instid0(VALU_DEP_2) | instskip(NEXT) | instid1(VALU_DEP_2)
	v_add_f64 v[48:49], v[36:37], v[48:49]
	v_add_f64 v[34:35], v[36:37], v[34:35]
	s_delay_alu instid0(VALU_DEP_2) | instskip(NEXT) | instid1(VALU_DEP_2)
	v_add_f64 v[133:134], v[131:132], v[48:49]
	v_add_f64 v[148:149], v[146:147], v[34:35]
	s_delay_alu instid0(VALU_DEP_2) | instskip(SKIP_1) | instid1(VALU_DEP_2)
	v_rcp_f64_e32 v[144:145], v[133:134]
	v_add_f64 v[131:132], v[133:134], -v[131:132]
	v_add_f64 v[146:147], v[148:149], -v[146:147]
	s_delay_alu instid0(VALU_DEP_2) | instskip(SKIP_3) | instid1(VALU_DEP_2)
	v_add_f64 v[48:49], v[48:49], -v[131:132]
	s_waitcnt_depctr 0xfff
	v_fma_f64 v[150:151], -v[133:134], v[144:145], 1.0
	v_add_f64 v[34:35], v[34:35], -v[146:147]
	v_fma_f64 v[144:145], v[150:151], v[144:145], v[144:145]
	s_delay_alu instid0(VALU_DEP_1) | instskip(NEXT) | instid1(VALU_DEP_1)
	v_fma_f64 v[36:37], -v[133:134], v[144:145], 1.0
	v_fma_f64 v[36:37], v[36:37], v[144:145], v[144:145]
	s_delay_alu instid0(VALU_DEP_1) | instskip(NEXT) | instid1(VALU_DEP_1)
	v_mul_f64 v[144:145], v[148:149], v[36:37]
	v_mul_f64 v[150:151], v[133:134], v[144:145]
	s_delay_alu instid0(VALU_DEP_1) | instskip(NEXT) | instid1(VALU_DEP_1)
	v_fma_f64 v[131:132], v[144:145], v[133:134], -v[150:151]
	v_fma_f64 v[131:132], v[144:145], v[48:49], v[131:132]
	s_delay_alu instid0(VALU_DEP_1) | instskip(NEXT) | instid1(VALU_DEP_1)
	v_add_f64 v[160:161], v[150:151], v[131:132]
	v_add_f64 v[162:163], v[148:149], -v[160:161]
	v_add_f64 v[146:147], v[160:161], -v[150:151]
	s_delay_alu instid0(VALU_DEP_2) | instskip(NEXT) | instid1(VALU_DEP_2)
	v_add_f64 v[148:149], v[148:149], -v[162:163]
	v_add_f64 v[131:132], v[146:147], -v[131:132]
	s_delay_alu instid0(VALU_DEP_2) | instskip(NEXT) | instid1(VALU_DEP_1)
	v_add_f64 v[148:149], v[148:149], -v[160:161]
	v_add_f64 v[34:35], v[34:35], v[148:149]
	s_delay_alu instid0(VALU_DEP_1) | instskip(NEXT) | instid1(VALU_DEP_1)
	v_add_f64 v[34:35], v[131:132], v[34:35]
	v_add_f64 v[131:132], v[162:163], v[34:35]
	s_delay_alu instid0(VALU_DEP_1) | instskip(SKIP_1) | instid1(VALU_DEP_2)
	v_mul_f64 v[146:147], v[36:37], v[131:132]
	v_add_f64 v[160:161], v[162:163], -v[131:132]
	v_mul_f64 v[148:149], v[133:134], v[146:147]
	s_delay_alu instid0(VALU_DEP_2) | instskip(NEXT) | instid1(VALU_DEP_2)
	v_add_f64 v[34:35], v[34:35], v[160:161]
	v_fma_f64 v[133:134], v[146:147], v[133:134], -v[148:149]
	s_delay_alu instid0(VALU_DEP_1) | instskip(NEXT) | instid1(VALU_DEP_1)
	v_fma_f64 v[48:49], v[146:147], v[48:49], v[133:134]
	v_add_f64 v[133:134], v[148:149], v[48:49]
	s_delay_alu instid0(VALU_DEP_1) | instskip(SKIP_1) | instid1(VALU_DEP_2)
	v_add_f64 v[150:151], v[131:132], -v[133:134]
	v_add_f64 v[148:149], v[133:134], -v[148:149]
	;; [unrolled: 1-line block ×3, first 2 shown]
	s_delay_alu instid0(VALU_DEP_2) | instskip(NEXT) | instid1(VALU_DEP_2)
	v_add_f64 v[48:49], v[148:149], -v[48:49]
	v_add_f64 v[131:132], v[131:132], -v[133:134]
	s_delay_alu instid0(VALU_DEP_1) | instskip(SKIP_1) | instid1(VALU_DEP_2)
	v_add_f64 v[34:35], v[34:35], v[131:132]
	v_add_f64 v[131:132], v[144:145], v[146:147]
	;; [unrolled: 1-line block ×3, first 2 shown]
	s_delay_alu instid0(VALU_DEP_2) | instskip(NEXT) | instid1(VALU_DEP_2)
	v_add_f64 v[48:49], v[131:132], -v[144:145]
	v_add_f64 v[34:35], v[150:151], v[34:35]
	s_delay_alu instid0(VALU_DEP_2) | instskip(NEXT) | instid1(VALU_DEP_2)
	v_add_f64 v[48:49], v[146:147], -v[48:49]
	v_mul_f64 v[34:35], v[36:37], v[34:35]
	s_delay_alu instid0(VALU_DEP_1) | instskip(NEXT) | instid1(VALU_DEP_1)
	v_add_f64 v[34:35], v[48:49], v[34:35]
	v_add_f64 v[36:37], v[131:132], v[34:35]
	s_delay_alu instid0(VALU_DEP_1) | instskip(NEXT) | instid1(VALU_DEP_1)
	v_mul_f64 v[48:49], v[36:37], v[36:37]
	v_fma_f64 v[133:134], v[48:49], s[26:27], s[24:25]
	s_mov_b32 s24, 0xd7f4df2e
	s_mov_b32 s25, 0x3fc7474d
	v_mul_f64 v[144:145], v[36:37], v[48:49]
	s_delay_alu instid0(VALU_DEP_2)
	v_fma_f64 v[133:134], v[48:49], v[133:134], s[24:25]
	s_mov_b32 s24, 0x16291751
	s_mov_b32 s25, 0x3fcc71c0
	s_delay_alu instid0(VALU_DEP_1) | instid1(SALU_CYCLE_1)
	v_fma_f64 v[133:134], v[48:49], v[133:134], s[24:25]
	s_mov_b32 s24, 0x9b27acf1
	s_mov_b32 s25, 0x3fd24924
	s_delay_alu instid0(VALU_DEP_1) | instid1(SALU_CYCLE_1)
	;; [unrolled: 4-line block ×3, first 2 shown]
	v_fma_f64 v[133:134], v[48:49], v[133:134], s[24:25]
	s_delay_alu instid0(VALU_DEP_1) | instskip(SKIP_2) | instid1(VALU_DEP_3)
	v_fma_f64 v[48:49], v[48:49], v[133:134], s[16:17]
	v_ldexp_f64 v[133:134], v[36:37], 1
	v_add_f64 v[36:37], v[36:37], -v[131:132]
	v_mul_f64 v[48:49], v[144:145], v[48:49]
	v_cvt_f64_i32_e32 v[144:145], v164
	s_delay_alu instid0(VALU_DEP_3) | instskip(NEXT) | instid1(VALU_DEP_3)
	v_add_f64 v[34:35], v[34:35], -v[36:37]
	v_add_f64 v[131:132], v[133:134], v[48:49]
	s_delay_alu instid0(VALU_DEP_3) | instskip(NEXT) | instid1(VALU_DEP_3)
	v_mul_f64 v[146:147], v[144:145], s[18:19]
	v_ldexp_f64 v[34:35], v[34:35], 1
	s_delay_alu instid0(VALU_DEP_3) | instskip(NEXT) | instid1(VALU_DEP_3)
	v_add_f64 v[36:37], v[131:132], -v[133:134]
	v_fma_f64 v[133:134], v[144:145], s[18:19], -v[146:147]
	s_delay_alu instid0(VALU_DEP_2) | instskip(NEXT) | instid1(VALU_DEP_2)
	v_add_f64 v[36:37], v[48:49], -v[36:37]
	v_fma_f64 v[48:49], v[144:145], s[20:21], v[133:134]
	s_delay_alu instid0(VALU_DEP_2) | instskip(NEXT) | instid1(VALU_DEP_2)
	v_add_f64 v[34:35], v[34:35], v[36:37]
	v_add_f64 v[36:37], v[146:147], v[48:49]
	s_delay_alu instid0(VALU_DEP_2) | instskip(NEXT) | instid1(VALU_DEP_2)
	v_add_f64 v[133:134], v[131:132], v[34:35]
	v_add_f64 v[146:147], v[36:37], -v[146:147]
	s_delay_alu instid0(VALU_DEP_2) | instskip(SKIP_1) | instid1(VALU_DEP_3)
	v_add_f64 v[144:145], v[36:37], v[133:134]
	v_add_f64 v[131:132], v[133:134], -v[131:132]
	v_add_f64 v[48:49], v[48:49], -v[146:147]
	s_delay_alu instid0(VALU_DEP_3) | instskip(NEXT) | instid1(VALU_DEP_3)
	v_add_f64 v[148:149], v[144:145], -v[36:37]
	v_add_f64 v[34:35], v[34:35], -v[131:132]
	s_delay_alu instid0(VALU_DEP_2) | instskip(SKIP_1) | instid1(VALU_DEP_3)
	v_add_f64 v[150:151], v[144:145], -v[148:149]
	v_add_f64 v[131:132], v[133:134], -v[148:149]
	v_add_f64 v[133:134], v[48:49], v[34:35]
	s_delay_alu instid0(VALU_DEP_3) | instskip(NEXT) | instid1(VALU_DEP_1)
	v_add_f64 v[36:37], v[36:37], -v[150:151]
	v_add_f64 v[36:37], v[131:132], v[36:37]
	s_delay_alu instid0(VALU_DEP_3) | instskip(NEXT) | instid1(VALU_DEP_2)
	v_add_f64 v[131:132], v[133:134], -v[48:49]
	v_add_f64 v[36:37], v[133:134], v[36:37]
	s_delay_alu instid0(VALU_DEP_2) | instskip(SKIP_1) | instid1(VALU_DEP_3)
	v_add_f64 v[133:134], v[133:134], -v[131:132]
	v_add_f64 v[34:35], v[34:35], -v[131:132]
	v_add_f64 v[146:147], v[144:145], v[36:37]
	s_delay_alu instid0(VALU_DEP_3) | instskip(NEXT) | instid1(VALU_DEP_2)
	v_add_f64 v[48:49], v[48:49], -v[133:134]
	v_add_f64 v[131:132], v[146:147], -v[144:145]
	s_delay_alu instid0(VALU_DEP_2) | instskip(NEXT) | instid1(VALU_DEP_2)
	v_add_f64 v[34:35], v[34:35], v[48:49]
	v_add_f64 v[36:37], v[36:37], -v[131:132]
	s_delay_alu instid0(VALU_DEP_1) | instskip(NEXT) | instid1(VALU_DEP_1)
	v_add_f64 v[34:35], v[34:35], v[36:37]
	v_add_f64 v[34:35], v[146:147], v[34:35]
	s_delay_alu instid0(VALU_DEP_1) | instskip(NEXT) | instid1(VALU_DEP_2)
	v_cndmask_b32_e64 v34, v34, v32, s1
	v_cndmask_b32_e64 v35, v35, v33, s1
	v_cmp_ngt_f64_e64 s1, -1.0, v[32:33]
	s_delay_alu instid0(VALU_DEP_1) | instskip(SKIP_1) | instid1(VALU_DEP_1)
	v_cndmask_b32_e64 v35, 0x7ff80000, v35, s1
	v_cmp_nge_f64_e64 s1, -1.0, v[32:33]
	v_cndmask_b32_e64 v34, 0, v34, s1
	v_cmp_neq_f64_e64 s1, -1.0, v[32:33]
	s_delay_alu instid0(VALU_DEP_1) | instskip(NEXT) | instid1(VALU_DEP_1)
	v_cndmask_b32_e64 v35, 0xfff00000, v35, s1
	v_add_f64 v[48:49], v[0:1], v[34:35]
.LBB76_333:
	s_or_b32 exec_lo, exec_lo, s23
	s_delay_alu instid0(VALU_DEP_1) | instskip(SKIP_1) | instid1(VALU_DEP_1)
	v_max_f64 v[0:1], v[48:49], v[48:49]
	;;#ASMSTART
	;;#ASMEND
	v_min_f64 v[34:35], v[0:1], v[54:55]
	v_max_f64 v[36:37], v[0:1], v[54:55]
	v_dual_mov_b32 v0, v48 :: v_dual_mov_b32 v1, v49
.LBB76_334:
	s_or_b32 exec_lo, exec_lo, s22
	s_delay_alu instid0(VALU_DEP_1) | instskip(NEXT) | instid1(VALU_DEP_1)
	v_cmp_u_f64_e64 s1, v[0:1], v[0:1]
	v_cndmask_b32_e64 v32, v34, v0, s1
	v_cndmask_b32_e64 v33, v35, v1, s1
	;; [unrolled: 1-line block ×4, first 2 shown]
	s_delay_alu instid0(VALU_DEP_3) | instskip(NEXT) | instid1(VALU_DEP_2)
	v_dual_cndmask_b32 v34, v32, v2 :: v_dual_cndmask_b32 v35, v33, v3
	v_dual_cndmask_b32 v33, v37, v3 :: v_dual_cndmask_b32 v32, v36, v2
	v_dual_mov_b32 v3, v1 :: v_dual_mov_b32 v2, v0
	s_delay_alu instid0(VALU_DEP_3) | instskip(NEXT) | instid1(VALU_DEP_3)
	v_cmp_class_f64_e64 s1, v[34:35], 0x1f8
	v_cmp_neq_f64_e32 vcc_lo, v[34:35], v[32:33]
	s_delay_alu instid0(VALU_DEP_2) | instskip(NEXT) | instid1(SALU_CYCLE_1)
	s_or_b32 s1, vcc_lo, s1
	s_and_saveexec_b32 s22, s1
	s_cbranch_execz .LBB76_336
; %bb.335:
	v_add_f64 v[2:3], v[34:35], -v[32:33]
	s_mov_b32 s16, 0x652b82fe
	s_mov_b32 s17, 0x3ff71547
	s_mov_b32 s19, 0xbc7abc9e
	s_mov_b32 s18, 0x3b39803f
	s_mov_b32 s20, 0xfca7ab0c
	s_mov_b32 s24, 0x6a5dcb37
	s_mov_b32 s21, 0x3e928af3
	s_mov_b32 s25, 0x3e5ade15
	s_mov_b32 s26, 0xbf559e2b
	s_mov_b32 s27, 0x3fc3ab76
	s_delay_alu instid0(VALU_DEP_1) | instskip(SKIP_4) | instid1(VALU_DEP_3)
	v_mul_f64 v[34:35], v[2:3], s[16:17]
	s_mov_b32 s17, 0xbfe62e42
	s_mov_b32 s16, 0xfefa39ef
	v_cmp_nlt_f64_e32 vcc_lo, 0x40900000, v[2:3]
	v_cmp_ngt_f64_e64 s1, 0xc090cc00, v[2:3]
	v_rndne_f64_e32 v[34:35], v[34:35]
	s_delay_alu instid0(VALU_DEP_1) | instskip(SKIP_2) | instid1(VALU_DEP_2)
	v_fma_f64 v[36:37], v[34:35], s[16:17], v[2:3]
	v_cvt_i32_f64_e32 v54, v[34:35]
	s_mov_b32 s17, 0x3fe62e42
	v_fma_f64 v[36:37], v[34:35], s[18:19], v[36:37]
	s_mov_b32 s19, 0x3c7abc9e
	s_waitcnt lgkmcnt(0)
	s_delay_alu instid0(VALU_DEP_1) | instskip(SKIP_4) | instid1(VALU_DEP_1)
	v_fma_f64 v[48:49], v[36:37], s[24:25], s[20:21]
	s_mov_b32 s20, 0x623fde64
	s_mov_b32 s21, 0x3ec71dee
	;; [unrolled: 1-line block ×4, first 2 shown]
	v_fma_f64 v[48:49], v[36:37], v[48:49], s[20:21]
	s_mov_b32 s20, 0x7c89e6b0
	s_mov_b32 s21, 0x3efa0199
	s_delay_alu instid0(VALU_DEP_1) | instid1(SALU_CYCLE_1)
	v_fma_f64 v[48:49], v[36:37], v[48:49], s[20:21]
	s_mov_b32 s20, 0x14761f6e
	s_mov_b32 s21, 0x3f2a01a0
	s_delay_alu instid0(VALU_DEP_1) | instid1(SALU_CYCLE_1)
	;; [unrolled: 4-line block ×7, first 2 shown]
	v_fma_f64 v[48:49], v[36:37], v[48:49], s[20:21]
	s_mov_b32 s21, 0x3fe55555
	s_mov_b32 s20, 0x55555555
	s_delay_alu instid0(VALU_DEP_1) | instskip(NEXT) | instid1(VALU_DEP_1)
	v_fma_f64 v[48:49], v[36:37], v[48:49], 1.0
	v_fma_f64 v[34:35], v[36:37], v[48:49], 1.0
	s_delay_alu instid0(VALU_DEP_1) | instskip(NEXT) | instid1(VALU_DEP_1)
	v_ldexp_f64 v[34:35], v[34:35], v54
	v_cndmask_b32_e32 v35, 0x7ff00000, v35, vcc_lo
	s_and_b32 vcc_lo, s1, vcc_lo
	s_delay_alu instid0(VALU_DEP_1) | instskip(NEXT) | instid1(VALU_DEP_3)
	v_cndmask_b32_e64 v3, 0, v35, s1
	v_cndmask_b32_e32 v2, 0, v34, vcc_lo
	s_delay_alu instid0(VALU_DEP_1) | instskip(NEXT) | instid1(VALU_DEP_1)
	v_add_f64 v[34:35], v[2:3], 1.0
	v_frexp_mant_f64_e32 v[36:37], v[34:35]
	v_frexp_exp_i32_f64_e32 v54, v[34:35]
	v_add_f64 v[48:49], v[34:35], -1.0
	s_delay_alu instid0(VALU_DEP_3) | instskip(SKIP_1) | instid1(VALU_DEP_2)
	v_cmp_gt_f64_e32 vcc_lo, s[20:21], v[36:37]
	s_mov_b32 s20, 0x55555780
	v_add_f64 v[36:37], v[48:49], -v[34:35]
	v_add_f64 v[48:49], v[2:3], -v[48:49]
	v_subrev_co_ci_u32_e32 v162, vcc_lo, 0, v54, vcc_lo
	s_delay_alu instid0(VALU_DEP_3) | instskip(SKIP_1) | instid1(VALU_DEP_3)
	v_add_f64 v[36:37], v[36:37], 1.0
	v_cmp_eq_f64_e32 vcc_lo, 0x7ff00000, v[2:3]
	v_sub_nc_u32_e32 v131, 0, v162
	s_delay_alu instid0(VALU_DEP_1) | instskip(NEXT) | instid1(VALU_DEP_4)
	v_ldexp_f64 v[34:35], v[34:35], v131
	v_add_f64 v[36:37], v[48:49], v[36:37]
	s_delay_alu instid0(VALU_DEP_2) | instskip(SKIP_1) | instid1(VALU_DEP_3)
	v_add_f64 v[54:55], v[34:35], 1.0
	v_add_f64 v[144:145], v[34:35], -1.0
	v_ldexp_f64 v[36:37], v[36:37], v131
	s_delay_alu instid0(VALU_DEP_3) | instskip(NEXT) | instid1(VALU_DEP_3)
	v_add_f64 v[48:49], v[54:55], -1.0
	v_add_f64 v[146:147], v[144:145], 1.0
	s_delay_alu instid0(VALU_DEP_2) | instskip(NEXT) | instid1(VALU_DEP_2)
	v_add_f64 v[48:49], v[34:35], -v[48:49]
	v_add_f64 v[34:35], v[34:35], -v[146:147]
	s_delay_alu instid0(VALU_DEP_2) | instskip(NEXT) | instid1(VALU_DEP_2)
	v_add_f64 v[48:49], v[36:37], v[48:49]
	v_add_f64 v[34:35], v[36:37], v[34:35]
	s_delay_alu instid0(VALU_DEP_2) | instskip(NEXT) | instid1(VALU_DEP_2)
	v_add_f64 v[131:132], v[54:55], v[48:49]
	v_add_f64 v[146:147], v[144:145], v[34:35]
	s_delay_alu instid0(VALU_DEP_2) | instskip(SKIP_1) | instid1(VALU_DEP_2)
	v_rcp_f64_e32 v[133:134], v[131:132]
	v_add_f64 v[54:55], v[131:132], -v[54:55]
	v_add_f64 v[144:145], v[146:147], -v[144:145]
	s_delay_alu instid0(VALU_DEP_2) | instskip(SKIP_3) | instid1(VALU_DEP_2)
	v_add_f64 v[48:49], v[48:49], -v[54:55]
	s_waitcnt_depctr 0xfff
	v_fma_f64 v[148:149], -v[131:132], v[133:134], 1.0
	v_add_f64 v[34:35], v[34:35], -v[144:145]
	v_fma_f64 v[133:134], v[148:149], v[133:134], v[133:134]
	s_delay_alu instid0(VALU_DEP_1) | instskip(NEXT) | instid1(VALU_DEP_1)
	v_fma_f64 v[36:37], -v[131:132], v[133:134], 1.0
	v_fma_f64 v[36:37], v[36:37], v[133:134], v[133:134]
	s_delay_alu instid0(VALU_DEP_1) | instskip(NEXT) | instid1(VALU_DEP_1)
	v_mul_f64 v[133:134], v[146:147], v[36:37]
	v_mul_f64 v[148:149], v[131:132], v[133:134]
	s_delay_alu instid0(VALU_DEP_1) | instskip(NEXT) | instid1(VALU_DEP_1)
	v_fma_f64 v[54:55], v[133:134], v[131:132], -v[148:149]
	v_fma_f64 v[54:55], v[133:134], v[48:49], v[54:55]
	s_delay_alu instid0(VALU_DEP_1) | instskip(NEXT) | instid1(VALU_DEP_1)
	v_add_f64 v[150:151], v[148:149], v[54:55]
	v_add_f64 v[160:161], v[146:147], -v[150:151]
	v_add_f64 v[144:145], v[150:151], -v[148:149]
	s_delay_alu instid0(VALU_DEP_2) | instskip(NEXT) | instid1(VALU_DEP_2)
	v_add_f64 v[146:147], v[146:147], -v[160:161]
	v_add_f64 v[54:55], v[144:145], -v[54:55]
	s_delay_alu instid0(VALU_DEP_2) | instskip(NEXT) | instid1(VALU_DEP_1)
	v_add_f64 v[146:147], v[146:147], -v[150:151]
	v_add_f64 v[34:35], v[34:35], v[146:147]
	s_delay_alu instid0(VALU_DEP_1) | instskip(NEXT) | instid1(VALU_DEP_1)
	v_add_f64 v[34:35], v[54:55], v[34:35]
	v_add_f64 v[54:55], v[160:161], v[34:35]
	s_delay_alu instid0(VALU_DEP_1) | instskip(SKIP_1) | instid1(VALU_DEP_2)
	v_mul_f64 v[144:145], v[36:37], v[54:55]
	v_add_f64 v[150:151], v[160:161], -v[54:55]
	v_mul_f64 v[146:147], v[131:132], v[144:145]
	s_delay_alu instid0(VALU_DEP_2) | instskip(NEXT) | instid1(VALU_DEP_2)
	v_add_f64 v[34:35], v[34:35], v[150:151]
	v_fma_f64 v[131:132], v[144:145], v[131:132], -v[146:147]
	s_delay_alu instid0(VALU_DEP_1) | instskip(NEXT) | instid1(VALU_DEP_1)
	v_fma_f64 v[48:49], v[144:145], v[48:49], v[131:132]
	v_add_f64 v[131:132], v[146:147], v[48:49]
	s_delay_alu instid0(VALU_DEP_1) | instskip(SKIP_1) | instid1(VALU_DEP_2)
	v_add_f64 v[148:149], v[54:55], -v[131:132]
	v_add_f64 v[146:147], v[131:132], -v[146:147]
	;; [unrolled: 1-line block ×3, first 2 shown]
	s_delay_alu instid0(VALU_DEP_2) | instskip(NEXT) | instid1(VALU_DEP_2)
	v_add_f64 v[48:49], v[146:147], -v[48:49]
	v_add_f64 v[54:55], v[54:55], -v[131:132]
	s_delay_alu instid0(VALU_DEP_1) | instskip(SKIP_1) | instid1(VALU_DEP_2)
	v_add_f64 v[34:35], v[34:35], v[54:55]
	v_add_f64 v[54:55], v[133:134], v[144:145]
	;; [unrolled: 1-line block ×3, first 2 shown]
	s_delay_alu instid0(VALU_DEP_2) | instskip(NEXT) | instid1(VALU_DEP_2)
	v_add_f64 v[48:49], v[54:55], -v[133:134]
	v_add_f64 v[34:35], v[148:149], v[34:35]
	s_delay_alu instid0(VALU_DEP_2) | instskip(NEXT) | instid1(VALU_DEP_2)
	v_add_f64 v[48:49], v[144:145], -v[48:49]
	v_mul_f64 v[34:35], v[36:37], v[34:35]
	s_delay_alu instid0(VALU_DEP_1) | instskip(NEXT) | instid1(VALU_DEP_1)
	v_add_f64 v[34:35], v[48:49], v[34:35]
	v_add_f64 v[36:37], v[54:55], v[34:35]
	s_delay_alu instid0(VALU_DEP_1) | instskip(NEXT) | instid1(VALU_DEP_1)
	v_mul_f64 v[48:49], v[36:37], v[36:37]
	v_fma_f64 v[131:132], v[48:49], s[26:27], s[24:25]
	s_mov_b32 s24, 0xd7f4df2e
	s_mov_b32 s25, 0x3fc7474d
	v_mul_f64 v[133:134], v[36:37], v[48:49]
	s_delay_alu instid0(VALU_DEP_2)
	v_fma_f64 v[131:132], v[48:49], v[131:132], s[24:25]
	s_mov_b32 s24, 0x16291751
	s_mov_b32 s25, 0x3fcc71c0
	s_delay_alu instid0(VALU_DEP_1) | instid1(SALU_CYCLE_1)
	v_fma_f64 v[131:132], v[48:49], v[131:132], s[24:25]
	s_mov_b32 s24, 0x9b27acf1
	s_mov_b32 s25, 0x3fd24924
	s_delay_alu instid0(VALU_DEP_1) | instid1(SALU_CYCLE_1)
	;; [unrolled: 4-line block ×3, first 2 shown]
	v_fma_f64 v[131:132], v[48:49], v[131:132], s[24:25]
	s_delay_alu instid0(VALU_DEP_1) | instskip(SKIP_2) | instid1(VALU_DEP_3)
	v_fma_f64 v[48:49], v[48:49], v[131:132], s[20:21]
	v_ldexp_f64 v[131:132], v[36:37], 1
	v_add_f64 v[36:37], v[36:37], -v[54:55]
	v_mul_f64 v[48:49], v[133:134], v[48:49]
	v_cvt_f64_i32_e32 v[133:134], v162
	s_delay_alu instid0(VALU_DEP_3) | instskip(NEXT) | instid1(VALU_DEP_3)
	v_add_f64 v[34:35], v[34:35], -v[36:37]
	v_add_f64 v[54:55], v[131:132], v[48:49]
	s_delay_alu instid0(VALU_DEP_3) | instskip(NEXT) | instid1(VALU_DEP_3)
	v_mul_f64 v[144:145], v[133:134], s[16:17]
	v_ldexp_f64 v[34:35], v[34:35], 1
	s_delay_alu instid0(VALU_DEP_3) | instskip(NEXT) | instid1(VALU_DEP_3)
	v_add_f64 v[36:37], v[54:55], -v[131:132]
	v_fma_f64 v[131:132], v[133:134], s[16:17], -v[144:145]
	s_delay_alu instid0(VALU_DEP_2) | instskip(NEXT) | instid1(VALU_DEP_2)
	v_add_f64 v[36:37], v[48:49], -v[36:37]
	v_fma_f64 v[48:49], v[133:134], s[18:19], v[131:132]
	s_delay_alu instid0(VALU_DEP_2) | instskip(NEXT) | instid1(VALU_DEP_2)
	v_add_f64 v[34:35], v[34:35], v[36:37]
	v_add_f64 v[36:37], v[144:145], v[48:49]
	s_delay_alu instid0(VALU_DEP_2) | instskip(NEXT) | instid1(VALU_DEP_2)
	v_add_f64 v[131:132], v[54:55], v[34:35]
	v_add_f64 v[144:145], v[36:37], -v[144:145]
	s_delay_alu instid0(VALU_DEP_2) | instskip(SKIP_1) | instid1(VALU_DEP_3)
	v_add_f64 v[133:134], v[36:37], v[131:132]
	v_add_f64 v[54:55], v[131:132], -v[54:55]
	v_add_f64 v[48:49], v[48:49], -v[144:145]
	s_delay_alu instid0(VALU_DEP_3) | instskip(NEXT) | instid1(VALU_DEP_3)
	v_add_f64 v[146:147], v[133:134], -v[36:37]
	v_add_f64 v[34:35], v[34:35], -v[54:55]
	s_delay_alu instid0(VALU_DEP_2) | instskip(SKIP_1) | instid1(VALU_DEP_3)
	v_add_f64 v[148:149], v[133:134], -v[146:147]
	v_add_f64 v[54:55], v[131:132], -v[146:147]
	v_add_f64 v[131:132], v[48:49], v[34:35]
	s_delay_alu instid0(VALU_DEP_3) | instskip(NEXT) | instid1(VALU_DEP_1)
	v_add_f64 v[36:37], v[36:37], -v[148:149]
	v_add_f64 v[36:37], v[54:55], v[36:37]
	s_delay_alu instid0(VALU_DEP_3) | instskip(NEXT) | instid1(VALU_DEP_2)
	v_add_f64 v[54:55], v[131:132], -v[48:49]
	v_add_f64 v[36:37], v[131:132], v[36:37]
	s_delay_alu instid0(VALU_DEP_2) | instskip(SKIP_1) | instid1(VALU_DEP_3)
	v_add_f64 v[131:132], v[131:132], -v[54:55]
	v_add_f64 v[34:35], v[34:35], -v[54:55]
	v_add_f64 v[144:145], v[133:134], v[36:37]
	s_delay_alu instid0(VALU_DEP_3) | instskip(NEXT) | instid1(VALU_DEP_2)
	v_add_f64 v[48:49], v[48:49], -v[131:132]
	v_add_f64 v[54:55], v[144:145], -v[133:134]
	s_delay_alu instid0(VALU_DEP_2) | instskip(NEXT) | instid1(VALU_DEP_2)
	v_add_f64 v[34:35], v[34:35], v[48:49]
	v_add_f64 v[36:37], v[36:37], -v[54:55]
	s_delay_alu instid0(VALU_DEP_1) | instskip(NEXT) | instid1(VALU_DEP_1)
	v_add_f64 v[34:35], v[34:35], v[36:37]
	v_add_f64 v[34:35], v[144:145], v[34:35]
	s_delay_alu instid0(VALU_DEP_1) | instskip(SKIP_1) | instid1(VALU_DEP_2)
	v_dual_cndmask_b32 v35, v35, v3 :: v_dual_cndmask_b32 v34, v34, v2
	v_cmp_ngt_f64_e32 vcc_lo, -1.0, v[2:3]
	v_cndmask_b32_e32 v35, 0x7ff80000, v35, vcc_lo
	v_cmp_nge_f64_e32 vcc_lo, -1.0, v[2:3]
	s_delay_alu instid0(VALU_DEP_4) | instskip(SKIP_1) | instid1(VALU_DEP_4)
	v_cndmask_b32_e32 v34, 0, v34, vcc_lo
	v_cmp_neq_f64_e32 vcc_lo, -1.0, v[2:3]
	v_cndmask_b32_e32 v35, 0xfff00000, v35, vcc_lo
	s_delay_alu instid0(VALU_DEP_1)
	v_add_f64 v[2:3], v[32:33], v[34:35]
.LBB76_336:
	s_or_b32 exec_lo, exec_lo, s22
	s_delay_alu instid0(VALU_DEP_1) | instskip(SKIP_1) | instid1(VALU_DEP_2)
	v_max_f64 v[32:33], v[2:3], v[2:3]
	v_cmp_u_f64_e32 vcc_lo, v[2:3], v[2:3]
	v_min_f64 v[34:35], v[32:33], v[4:5]
	v_max_f64 v[4:5], v[32:33], v[4:5]
	s_delay_alu instid0(VALU_DEP_2) | instskip(NEXT) | instid1(VALU_DEP_2)
	v_dual_cndmask_b32 v32, v34, v2 :: v_dual_cndmask_b32 v33, v35, v3
	v_dual_cndmask_b32 v5, v5, v3 :: v_dual_cndmask_b32 v4, v4, v2
	s_delay_alu instid0(VALU_DEP_2) | instskip(NEXT) | instid1(VALU_DEP_3)
	v_cndmask_b32_e64 v34, v32, v112, s2
	v_cndmask_b32_e64 v35, v33, v113, s2
	s_delay_alu instid0(VALU_DEP_3) | instskip(NEXT) | instid1(VALU_DEP_4)
	v_cndmask_b32_e64 v33, v5, v113, s2
	v_cndmask_b32_e64 v32, v4, v112, s2
	v_dual_mov_b32 v5, v3 :: v_dual_mov_b32 v4, v2
	s_delay_alu instid0(VALU_DEP_4) | instskip(NEXT) | instid1(VALU_DEP_3)
	v_cmp_class_f64_e64 s1, v[34:35], 0x1f8
	v_cmp_neq_f64_e32 vcc_lo, v[34:35], v[32:33]
	s_delay_alu instid0(VALU_DEP_2) | instskip(NEXT) | instid1(SALU_CYCLE_1)
	s_or_b32 s1, vcc_lo, s1
	s_and_saveexec_b32 s2, s1
	s_cbranch_execz .LBB76_338
; %bb.337:
	v_add_f64 v[4:5], v[34:35], -v[32:33]
	s_mov_b32 s16, 0x652b82fe
	s_mov_b32 s17, 0x3ff71547
	;; [unrolled: 1-line block ×10, first 2 shown]
	s_delay_alu instid0(VALU_DEP_1) | instskip(SKIP_4) | instid1(VALU_DEP_3)
	v_mul_f64 v[34:35], v[4:5], s[16:17]
	s_mov_b32 s17, 0xbfe62e42
	s_mov_b32 s16, 0xfefa39ef
	v_cmp_nlt_f64_e32 vcc_lo, 0x40900000, v[4:5]
	v_cmp_ngt_f64_e64 s1, 0xc090cc00, v[4:5]
	v_rndne_f64_e32 v[34:35], v[34:35]
	s_delay_alu instid0(VALU_DEP_1) | instskip(SKIP_2) | instid1(VALU_DEP_2)
	v_fma_f64 v[36:37], v[34:35], s[16:17], v[4:5]
	v_cvt_i32_f64_e32 v54, v[34:35]
	s_mov_b32 s17, 0x3fe62e42
	v_fma_f64 v[36:37], v[34:35], s[18:19], v[36:37]
	s_mov_b32 s19, 0x3c7abc9e
	s_waitcnt lgkmcnt(0)
	s_delay_alu instid0(VALU_DEP_1) | instskip(SKIP_4) | instid1(VALU_DEP_1)
	v_fma_f64 v[48:49], v[36:37], s[22:23], s[20:21]
	s_mov_b32 s20, 0x623fde64
	s_mov_b32 s21, 0x3ec71dee
	;; [unrolled: 1-line block ×4, first 2 shown]
	v_fma_f64 v[48:49], v[36:37], v[48:49], s[20:21]
	s_mov_b32 s20, 0x7c89e6b0
	s_mov_b32 s21, 0x3efa0199
	s_delay_alu instid0(VALU_DEP_1) | instid1(SALU_CYCLE_1)
	v_fma_f64 v[48:49], v[36:37], v[48:49], s[20:21]
	s_mov_b32 s20, 0x14761f6e
	s_mov_b32 s21, 0x3f2a01a0
	s_delay_alu instid0(VALU_DEP_1) | instid1(SALU_CYCLE_1)
	;; [unrolled: 4-line block ×7, first 2 shown]
	v_fma_f64 v[48:49], v[36:37], v[48:49], s[20:21]
	s_mov_b32 s21, 0x3fe55555
	s_mov_b32 s20, 0x55555555
	s_delay_alu instid0(VALU_DEP_1) | instskip(NEXT) | instid1(VALU_DEP_1)
	v_fma_f64 v[48:49], v[36:37], v[48:49], 1.0
	v_fma_f64 v[34:35], v[36:37], v[48:49], 1.0
	s_delay_alu instid0(VALU_DEP_1) | instskip(NEXT) | instid1(VALU_DEP_1)
	v_ldexp_f64 v[34:35], v[34:35], v54
	v_cndmask_b32_e32 v35, 0x7ff00000, v35, vcc_lo
	s_and_b32 vcc_lo, s1, vcc_lo
	s_delay_alu instid0(VALU_DEP_1) | instskip(NEXT) | instid1(VALU_DEP_3)
	v_cndmask_b32_e64 v5, 0, v35, s1
	v_cndmask_b32_e32 v4, 0, v34, vcc_lo
	s_delay_alu instid0(VALU_DEP_1) | instskip(NEXT) | instid1(VALU_DEP_1)
	v_add_f64 v[34:35], v[4:5], 1.0
	v_frexp_mant_f64_e32 v[36:37], v[34:35]
	v_frexp_exp_i32_f64_e32 v54, v[34:35]
	v_add_f64 v[48:49], v[34:35], -1.0
	s_delay_alu instid0(VALU_DEP_3) | instskip(SKIP_1) | instid1(VALU_DEP_2)
	v_cmp_gt_f64_e32 vcc_lo, s[20:21], v[36:37]
	s_mov_b32 s20, 0x55555780
	v_add_f64 v[36:37], v[48:49], -v[34:35]
	v_add_f64 v[48:49], v[4:5], -v[48:49]
	v_subrev_co_ci_u32_e32 v160, vcc_lo, 0, v54, vcc_lo
	s_delay_alu instid0(VALU_DEP_3) | instskip(SKIP_1) | instid1(VALU_DEP_3)
	v_add_f64 v[36:37], v[36:37], 1.0
	v_cmp_eq_f64_e32 vcc_lo, 0x7ff00000, v[4:5]
	v_sub_nc_u32_e32 v112, 0, v160
	s_delay_alu instid0(VALU_DEP_1) | instskip(NEXT) | instid1(VALU_DEP_4)
	v_ldexp_f64 v[34:35], v[34:35], v112
	v_add_f64 v[36:37], v[48:49], v[36:37]
	s_delay_alu instid0(VALU_DEP_2) | instskip(SKIP_1) | instid1(VALU_DEP_3)
	v_add_f64 v[54:55], v[34:35], 1.0
	v_add_f64 v[133:134], v[34:35], -1.0
	v_ldexp_f64 v[36:37], v[36:37], v112
	s_delay_alu instid0(VALU_DEP_3) | instskip(NEXT) | instid1(VALU_DEP_3)
	v_add_f64 v[48:49], v[54:55], -1.0
	v_add_f64 v[144:145], v[133:134], 1.0
	s_delay_alu instid0(VALU_DEP_2) | instskip(NEXT) | instid1(VALU_DEP_2)
	v_add_f64 v[48:49], v[34:35], -v[48:49]
	v_add_f64 v[34:35], v[34:35], -v[144:145]
	s_delay_alu instid0(VALU_DEP_2) | instskip(NEXT) | instid1(VALU_DEP_2)
	v_add_f64 v[48:49], v[36:37], v[48:49]
	v_add_f64 v[34:35], v[36:37], v[34:35]
	s_delay_alu instid0(VALU_DEP_2) | instskip(NEXT) | instid1(VALU_DEP_2)
	v_add_f64 v[112:113], v[54:55], v[48:49]
	v_add_f64 v[144:145], v[133:134], v[34:35]
	s_delay_alu instid0(VALU_DEP_2) | instskip(SKIP_1) | instid1(VALU_DEP_2)
	v_rcp_f64_e32 v[131:132], v[112:113]
	v_add_f64 v[54:55], v[112:113], -v[54:55]
	v_add_f64 v[133:134], v[144:145], -v[133:134]
	s_delay_alu instid0(VALU_DEP_2) | instskip(SKIP_3) | instid1(VALU_DEP_2)
	v_add_f64 v[48:49], v[48:49], -v[54:55]
	s_waitcnt_depctr 0xfff
	v_fma_f64 v[146:147], -v[112:113], v[131:132], 1.0
	v_add_f64 v[34:35], v[34:35], -v[133:134]
	v_fma_f64 v[131:132], v[146:147], v[131:132], v[131:132]
	s_delay_alu instid0(VALU_DEP_1) | instskip(NEXT) | instid1(VALU_DEP_1)
	v_fma_f64 v[36:37], -v[112:113], v[131:132], 1.0
	v_fma_f64 v[36:37], v[36:37], v[131:132], v[131:132]
	s_delay_alu instid0(VALU_DEP_1) | instskip(NEXT) | instid1(VALU_DEP_1)
	v_mul_f64 v[131:132], v[144:145], v[36:37]
	v_mul_f64 v[146:147], v[112:113], v[131:132]
	s_delay_alu instid0(VALU_DEP_1) | instskip(NEXT) | instid1(VALU_DEP_1)
	v_fma_f64 v[54:55], v[131:132], v[112:113], -v[146:147]
	v_fma_f64 v[54:55], v[131:132], v[48:49], v[54:55]
	s_delay_alu instid0(VALU_DEP_1) | instskip(NEXT) | instid1(VALU_DEP_1)
	v_add_f64 v[148:149], v[146:147], v[54:55]
	v_add_f64 v[150:151], v[144:145], -v[148:149]
	v_add_f64 v[133:134], v[148:149], -v[146:147]
	s_delay_alu instid0(VALU_DEP_2) | instskip(NEXT) | instid1(VALU_DEP_2)
	v_add_f64 v[144:145], v[144:145], -v[150:151]
	v_add_f64 v[54:55], v[133:134], -v[54:55]
	s_delay_alu instid0(VALU_DEP_2) | instskip(NEXT) | instid1(VALU_DEP_1)
	v_add_f64 v[144:145], v[144:145], -v[148:149]
	v_add_f64 v[34:35], v[34:35], v[144:145]
	s_delay_alu instid0(VALU_DEP_1) | instskip(NEXT) | instid1(VALU_DEP_1)
	v_add_f64 v[34:35], v[54:55], v[34:35]
	v_add_f64 v[54:55], v[150:151], v[34:35]
	s_delay_alu instid0(VALU_DEP_1) | instskip(SKIP_1) | instid1(VALU_DEP_2)
	v_mul_f64 v[133:134], v[36:37], v[54:55]
	v_add_f64 v[148:149], v[150:151], -v[54:55]
	v_mul_f64 v[144:145], v[112:113], v[133:134]
	s_delay_alu instid0(VALU_DEP_2) | instskip(NEXT) | instid1(VALU_DEP_2)
	v_add_f64 v[34:35], v[34:35], v[148:149]
	v_fma_f64 v[112:113], v[133:134], v[112:113], -v[144:145]
	s_delay_alu instid0(VALU_DEP_1) | instskip(NEXT) | instid1(VALU_DEP_1)
	v_fma_f64 v[48:49], v[133:134], v[48:49], v[112:113]
	v_add_f64 v[112:113], v[144:145], v[48:49]
	s_delay_alu instid0(VALU_DEP_1) | instskip(SKIP_1) | instid1(VALU_DEP_2)
	v_add_f64 v[146:147], v[54:55], -v[112:113]
	v_add_f64 v[144:145], v[112:113], -v[144:145]
	;; [unrolled: 1-line block ×3, first 2 shown]
	s_delay_alu instid0(VALU_DEP_2) | instskip(NEXT) | instid1(VALU_DEP_2)
	v_add_f64 v[48:49], v[144:145], -v[48:49]
	v_add_f64 v[54:55], v[54:55], -v[112:113]
	s_delay_alu instid0(VALU_DEP_1) | instskip(SKIP_1) | instid1(VALU_DEP_2)
	v_add_f64 v[34:35], v[34:35], v[54:55]
	v_add_f64 v[54:55], v[131:132], v[133:134]
	;; [unrolled: 1-line block ×3, first 2 shown]
	s_delay_alu instid0(VALU_DEP_2) | instskip(NEXT) | instid1(VALU_DEP_2)
	v_add_f64 v[48:49], v[54:55], -v[131:132]
	v_add_f64 v[34:35], v[146:147], v[34:35]
	s_delay_alu instid0(VALU_DEP_2) | instskip(NEXT) | instid1(VALU_DEP_2)
	v_add_f64 v[48:49], v[133:134], -v[48:49]
	v_mul_f64 v[34:35], v[36:37], v[34:35]
	s_delay_alu instid0(VALU_DEP_1) | instskip(NEXT) | instid1(VALU_DEP_1)
	v_add_f64 v[34:35], v[48:49], v[34:35]
	v_add_f64 v[36:37], v[54:55], v[34:35]
	s_delay_alu instid0(VALU_DEP_1) | instskip(NEXT) | instid1(VALU_DEP_1)
	v_mul_f64 v[48:49], v[36:37], v[36:37]
	v_fma_f64 v[112:113], v[48:49], s[24:25], s[22:23]
	s_mov_b32 s22, 0xd7f4df2e
	s_mov_b32 s23, 0x3fc7474d
	v_mul_f64 v[131:132], v[36:37], v[48:49]
	s_delay_alu instid0(VALU_DEP_2)
	v_fma_f64 v[112:113], v[48:49], v[112:113], s[22:23]
	s_mov_b32 s22, 0x16291751
	s_mov_b32 s23, 0x3fcc71c0
	s_delay_alu instid0(VALU_DEP_1) | instid1(SALU_CYCLE_1)
	v_fma_f64 v[112:113], v[48:49], v[112:113], s[22:23]
	s_mov_b32 s22, 0x9b27acf1
	s_mov_b32 s23, 0x3fd24924
	s_delay_alu instid0(VALU_DEP_1) | instid1(SALU_CYCLE_1)
	;; [unrolled: 4-line block ×3, first 2 shown]
	v_fma_f64 v[112:113], v[48:49], v[112:113], s[22:23]
	s_delay_alu instid0(VALU_DEP_1) | instskip(SKIP_2) | instid1(VALU_DEP_3)
	v_fma_f64 v[48:49], v[48:49], v[112:113], s[20:21]
	v_ldexp_f64 v[112:113], v[36:37], 1
	v_add_f64 v[36:37], v[36:37], -v[54:55]
	v_mul_f64 v[48:49], v[131:132], v[48:49]
	v_cvt_f64_i32_e32 v[131:132], v160
	s_delay_alu instid0(VALU_DEP_3) | instskip(NEXT) | instid1(VALU_DEP_3)
	v_add_f64 v[34:35], v[34:35], -v[36:37]
	v_add_f64 v[54:55], v[112:113], v[48:49]
	s_delay_alu instid0(VALU_DEP_3) | instskip(NEXT) | instid1(VALU_DEP_3)
	v_mul_f64 v[133:134], v[131:132], s[16:17]
	v_ldexp_f64 v[34:35], v[34:35], 1
	s_delay_alu instid0(VALU_DEP_3) | instskip(NEXT) | instid1(VALU_DEP_3)
	v_add_f64 v[36:37], v[54:55], -v[112:113]
	v_fma_f64 v[112:113], v[131:132], s[16:17], -v[133:134]
	s_delay_alu instid0(VALU_DEP_2) | instskip(NEXT) | instid1(VALU_DEP_2)
	v_add_f64 v[36:37], v[48:49], -v[36:37]
	v_fma_f64 v[48:49], v[131:132], s[18:19], v[112:113]
	s_delay_alu instid0(VALU_DEP_2) | instskip(NEXT) | instid1(VALU_DEP_2)
	v_add_f64 v[34:35], v[34:35], v[36:37]
	v_add_f64 v[36:37], v[133:134], v[48:49]
	s_delay_alu instid0(VALU_DEP_2) | instskip(NEXT) | instid1(VALU_DEP_2)
	v_add_f64 v[112:113], v[54:55], v[34:35]
	v_add_f64 v[133:134], v[36:37], -v[133:134]
	s_delay_alu instid0(VALU_DEP_2) | instskip(SKIP_1) | instid1(VALU_DEP_3)
	v_add_f64 v[131:132], v[36:37], v[112:113]
	v_add_f64 v[54:55], v[112:113], -v[54:55]
	v_add_f64 v[48:49], v[48:49], -v[133:134]
	s_delay_alu instid0(VALU_DEP_3) | instskip(NEXT) | instid1(VALU_DEP_3)
	v_add_f64 v[144:145], v[131:132], -v[36:37]
	v_add_f64 v[34:35], v[34:35], -v[54:55]
	s_delay_alu instid0(VALU_DEP_2) | instskip(SKIP_1) | instid1(VALU_DEP_3)
	v_add_f64 v[146:147], v[131:132], -v[144:145]
	v_add_f64 v[54:55], v[112:113], -v[144:145]
	v_add_f64 v[112:113], v[48:49], v[34:35]
	s_delay_alu instid0(VALU_DEP_3) | instskip(NEXT) | instid1(VALU_DEP_1)
	v_add_f64 v[36:37], v[36:37], -v[146:147]
	v_add_f64 v[36:37], v[54:55], v[36:37]
	s_delay_alu instid0(VALU_DEP_3) | instskip(NEXT) | instid1(VALU_DEP_2)
	v_add_f64 v[54:55], v[112:113], -v[48:49]
	v_add_f64 v[36:37], v[112:113], v[36:37]
	s_delay_alu instid0(VALU_DEP_2) | instskip(SKIP_1) | instid1(VALU_DEP_3)
	v_add_f64 v[112:113], v[112:113], -v[54:55]
	v_add_f64 v[34:35], v[34:35], -v[54:55]
	v_add_f64 v[133:134], v[131:132], v[36:37]
	s_delay_alu instid0(VALU_DEP_3) | instskip(NEXT) | instid1(VALU_DEP_2)
	v_add_f64 v[48:49], v[48:49], -v[112:113]
	v_add_f64 v[54:55], v[133:134], -v[131:132]
	s_delay_alu instid0(VALU_DEP_2) | instskip(NEXT) | instid1(VALU_DEP_2)
	v_add_f64 v[34:35], v[34:35], v[48:49]
	v_add_f64 v[36:37], v[36:37], -v[54:55]
	s_delay_alu instid0(VALU_DEP_1) | instskip(NEXT) | instid1(VALU_DEP_1)
	v_add_f64 v[34:35], v[34:35], v[36:37]
	v_add_f64 v[34:35], v[133:134], v[34:35]
	s_delay_alu instid0(VALU_DEP_1) | instskip(SKIP_1) | instid1(VALU_DEP_2)
	v_dual_cndmask_b32 v35, v35, v5 :: v_dual_cndmask_b32 v34, v34, v4
	v_cmp_ngt_f64_e32 vcc_lo, -1.0, v[4:5]
	v_cndmask_b32_e32 v35, 0x7ff80000, v35, vcc_lo
	v_cmp_nge_f64_e32 vcc_lo, -1.0, v[4:5]
	s_delay_alu instid0(VALU_DEP_4) | instskip(SKIP_1) | instid1(VALU_DEP_4)
	v_cndmask_b32_e32 v34, 0, v34, vcc_lo
	v_cmp_neq_f64_e32 vcc_lo, -1.0, v[4:5]
	v_cndmask_b32_e32 v35, 0xfff00000, v35, vcc_lo
	s_delay_alu instid0(VALU_DEP_1)
	v_add_f64 v[4:5], v[32:33], v[34:35]
.LBB76_338:
	s_or_b32 exec_lo, exec_lo, s2
	s_delay_alu instid0(VALU_DEP_1) | instskip(SKIP_1) | instid1(VALU_DEP_2)
	v_max_f64 v[32:33], v[4:5], v[4:5]
	v_cmp_u_f64_e32 vcc_lo, v[4:5], v[4:5]
	v_min_f64 v[34:35], v[32:33], v[6:7]
	v_max_f64 v[6:7], v[32:33], v[6:7]
	s_delay_alu instid0(VALU_DEP_2) | instskip(NEXT) | instid1(VALU_DEP_2)
	v_dual_cndmask_b32 v32, v34, v4 :: v_dual_cndmask_b32 v33, v35, v5
	v_dual_cndmask_b32 v7, v7, v5 :: v_dual_cndmask_b32 v6, v6, v4
	s_delay_alu instid0(VALU_DEP_2) | instskip(NEXT) | instid1(VALU_DEP_3)
	v_cndmask_b32_e64 v34, v32, v114, s3
	v_cndmask_b32_e64 v35, v33, v115, s3
	s_delay_alu instid0(VALU_DEP_3) | instskip(NEXT) | instid1(VALU_DEP_4)
	v_cndmask_b32_e64 v33, v7, v115, s3
	v_cndmask_b32_e64 v32, v6, v114, s3
	v_dual_mov_b32 v7, v5 :: v_dual_mov_b32 v6, v4
	s_delay_alu instid0(VALU_DEP_4) | instskip(NEXT) | instid1(VALU_DEP_3)
	v_cmp_class_f64_e64 s1, v[34:35], 0x1f8
	v_cmp_neq_f64_e32 vcc_lo, v[34:35], v[32:33]
	s_delay_alu instid0(VALU_DEP_2) | instskip(NEXT) | instid1(SALU_CYCLE_1)
	s_or_b32 s1, vcc_lo, s1
	s_and_saveexec_b32 s20, s1
	s_cbranch_execz .LBB76_340
; %bb.339:
	v_add_f64 v[6:7], v[34:35], -v[32:33]
	s_mov_b32 s2, 0x652b82fe
	s_mov_b32 s3, 0x3ff71547
	;; [unrolled: 1-line block ×10, first 2 shown]
	s_delay_alu instid0(VALU_DEP_1) | instskip(SKIP_4) | instid1(VALU_DEP_3)
	v_mul_f64 v[34:35], v[6:7], s[2:3]
	s_mov_b32 s3, 0xbfe62e42
	s_mov_b32 s2, 0xfefa39ef
	v_cmp_nlt_f64_e32 vcc_lo, 0x40900000, v[6:7]
	v_cmp_ngt_f64_e64 s1, 0xc090cc00, v[6:7]
	v_rndne_f64_e32 v[34:35], v[34:35]
	s_delay_alu instid0(VALU_DEP_1) | instskip(SKIP_2) | instid1(VALU_DEP_2)
	v_fma_f64 v[36:37], v[34:35], s[2:3], v[6:7]
	v_cvt_i32_f64_e32 v54, v[34:35]
	s_mov_b32 s3, 0x3fe62e42
	v_fma_f64 v[36:37], v[34:35], s[16:17], v[36:37]
	s_mov_b32 s17, 0x3c7abc9e
	s_waitcnt lgkmcnt(0)
	s_delay_alu instid0(VALU_DEP_1) | instskip(SKIP_4) | instid1(VALU_DEP_1)
	v_fma_f64 v[48:49], v[36:37], s[22:23], s[18:19]
	s_mov_b32 s18, 0x623fde64
	s_mov_b32 s19, 0x3ec71dee
	;; [unrolled: 1-line block ×4, first 2 shown]
	v_fma_f64 v[48:49], v[36:37], v[48:49], s[18:19]
	s_mov_b32 s18, 0x7c89e6b0
	s_mov_b32 s19, 0x3efa0199
	s_delay_alu instid0(VALU_DEP_1) | instid1(SALU_CYCLE_1)
	v_fma_f64 v[48:49], v[36:37], v[48:49], s[18:19]
	s_mov_b32 s18, 0x14761f6e
	s_mov_b32 s19, 0x3f2a01a0
	s_delay_alu instid0(VALU_DEP_1) | instid1(SALU_CYCLE_1)
	;; [unrolled: 4-line block ×7, first 2 shown]
	v_fma_f64 v[48:49], v[36:37], v[48:49], s[18:19]
	s_mov_b32 s19, 0x3fe55555
	s_mov_b32 s18, 0x55555555
	s_delay_alu instid0(VALU_DEP_1) | instskip(NEXT) | instid1(VALU_DEP_1)
	v_fma_f64 v[48:49], v[36:37], v[48:49], 1.0
	v_fma_f64 v[34:35], v[36:37], v[48:49], 1.0
	s_delay_alu instid0(VALU_DEP_1) | instskip(NEXT) | instid1(VALU_DEP_1)
	v_ldexp_f64 v[34:35], v[34:35], v54
	v_cndmask_b32_e32 v35, 0x7ff00000, v35, vcc_lo
	s_and_b32 vcc_lo, s1, vcc_lo
	s_delay_alu instid0(VALU_DEP_1) | instskip(NEXT) | instid1(VALU_DEP_3)
	v_cndmask_b32_e64 v7, 0, v35, s1
	v_cndmask_b32_e32 v6, 0, v34, vcc_lo
	s_delay_alu instid0(VALU_DEP_1) | instskip(NEXT) | instid1(VALU_DEP_1)
	v_add_f64 v[34:35], v[6:7], 1.0
	v_frexp_mant_f64_e32 v[36:37], v[34:35]
	v_frexp_exp_i32_f64_e32 v54, v[34:35]
	v_add_f64 v[48:49], v[34:35], -1.0
	s_delay_alu instid0(VALU_DEP_3) | instskip(SKIP_1) | instid1(VALU_DEP_2)
	v_cmp_gt_f64_e32 vcc_lo, s[18:19], v[36:37]
	s_mov_b32 s18, 0x55555780
	v_add_f64 v[36:37], v[48:49], -v[34:35]
	v_add_f64 v[48:49], v[6:7], -v[48:49]
	v_subrev_co_ci_u32_e32 v150, vcc_lo, 0, v54, vcc_lo
	s_delay_alu instid0(VALU_DEP_3) | instskip(SKIP_1) | instid1(VALU_DEP_3)
	v_add_f64 v[36:37], v[36:37], 1.0
	v_cmp_eq_f64_e32 vcc_lo, 0x7ff00000, v[6:7]
	v_sub_nc_u32_e32 v112, 0, v150
	s_delay_alu instid0(VALU_DEP_1) | instskip(NEXT) | instid1(VALU_DEP_4)
	v_ldexp_f64 v[34:35], v[34:35], v112
	v_add_f64 v[36:37], v[48:49], v[36:37]
	s_delay_alu instid0(VALU_DEP_2) | instskip(SKIP_1) | instid1(VALU_DEP_3)
	v_add_f64 v[54:55], v[34:35], 1.0
	v_add_f64 v[131:132], v[34:35], -1.0
	v_ldexp_f64 v[36:37], v[36:37], v112
	s_delay_alu instid0(VALU_DEP_3) | instskip(NEXT) | instid1(VALU_DEP_3)
	v_add_f64 v[48:49], v[54:55], -1.0
	v_add_f64 v[133:134], v[131:132], 1.0
	s_delay_alu instid0(VALU_DEP_2) | instskip(NEXT) | instid1(VALU_DEP_2)
	v_add_f64 v[48:49], v[34:35], -v[48:49]
	v_add_f64 v[34:35], v[34:35], -v[133:134]
	s_delay_alu instid0(VALU_DEP_2) | instskip(NEXT) | instid1(VALU_DEP_2)
	v_add_f64 v[48:49], v[36:37], v[48:49]
	v_add_f64 v[34:35], v[36:37], v[34:35]
	s_delay_alu instid0(VALU_DEP_2) | instskip(NEXT) | instid1(VALU_DEP_2)
	v_add_f64 v[112:113], v[54:55], v[48:49]
	v_add_f64 v[133:134], v[131:132], v[34:35]
	s_delay_alu instid0(VALU_DEP_2) | instskip(SKIP_1) | instid1(VALU_DEP_2)
	v_rcp_f64_e32 v[114:115], v[112:113]
	v_add_f64 v[54:55], v[112:113], -v[54:55]
	v_add_f64 v[131:132], v[133:134], -v[131:132]
	s_delay_alu instid0(VALU_DEP_2) | instskip(SKIP_3) | instid1(VALU_DEP_2)
	v_add_f64 v[48:49], v[48:49], -v[54:55]
	s_waitcnt_depctr 0xfff
	v_fma_f64 v[144:145], -v[112:113], v[114:115], 1.0
	v_add_f64 v[34:35], v[34:35], -v[131:132]
	v_fma_f64 v[114:115], v[144:145], v[114:115], v[114:115]
	s_delay_alu instid0(VALU_DEP_1) | instskip(NEXT) | instid1(VALU_DEP_1)
	v_fma_f64 v[36:37], -v[112:113], v[114:115], 1.0
	v_fma_f64 v[36:37], v[36:37], v[114:115], v[114:115]
	s_delay_alu instid0(VALU_DEP_1) | instskip(NEXT) | instid1(VALU_DEP_1)
	v_mul_f64 v[114:115], v[133:134], v[36:37]
	v_mul_f64 v[144:145], v[112:113], v[114:115]
	s_delay_alu instid0(VALU_DEP_1) | instskip(NEXT) | instid1(VALU_DEP_1)
	v_fma_f64 v[54:55], v[114:115], v[112:113], -v[144:145]
	v_fma_f64 v[54:55], v[114:115], v[48:49], v[54:55]
	s_delay_alu instid0(VALU_DEP_1) | instskip(NEXT) | instid1(VALU_DEP_1)
	v_add_f64 v[146:147], v[144:145], v[54:55]
	v_add_f64 v[148:149], v[133:134], -v[146:147]
	v_add_f64 v[131:132], v[146:147], -v[144:145]
	s_delay_alu instid0(VALU_DEP_2) | instskip(NEXT) | instid1(VALU_DEP_2)
	v_add_f64 v[133:134], v[133:134], -v[148:149]
	v_add_f64 v[54:55], v[131:132], -v[54:55]
	s_delay_alu instid0(VALU_DEP_2) | instskip(NEXT) | instid1(VALU_DEP_1)
	v_add_f64 v[133:134], v[133:134], -v[146:147]
	v_add_f64 v[34:35], v[34:35], v[133:134]
	s_delay_alu instid0(VALU_DEP_1) | instskip(NEXT) | instid1(VALU_DEP_1)
	v_add_f64 v[34:35], v[54:55], v[34:35]
	v_add_f64 v[54:55], v[148:149], v[34:35]
	s_delay_alu instid0(VALU_DEP_1) | instskip(SKIP_1) | instid1(VALU_DEP_2)
	v_mul_f64 v[131:132], v[36:37], v[54:55]
	v_add_f64 v[146:147], v[148:149], -v[54:55]
	v_mul_f64 v[133:134], v[112:113], v[131:132]
	s_delay_alu instid0(VALU_DEP_2) | instskip(NEXT) | instid1(VALU_DEP_2)
	v_add_f64 v[34:35], v[34:35], v[146:147]
	v_fma_f64 v[112:113], v[131:132], v[112:113], -v[133:134]
	s_delay_alu instid0(VALU_DEP_1) | instskip(NEXT) | instid1(VALU_DEP_1)
	v_fma_f64 v[48:49], v[131:132], v[48:49], v[112:113]
	v_add_f64 v[112:113], v[133:134], v[48:49]
	s_delay_alu instid0(VALU_DEP_1) | instskip(SKIP_1) | instid1(VALU_DEP_2)
	v_add_f64 v[144:145], v[54:55], -v[112:113]
	v_add_f64 v[133:134], v[112:113], -v[133:134]
	;; [unrolled: 1-line block ×3, first 2 shown]
	s_delay_alu instid0(VALU_DEP_2) | instskip(NEXT) | instid1(VALU_DEP_2)
	v_add_f64 v[48:49], v[133:134], -v[48:49]
	v_add_f64 v[54:55], v[54:55], -v[112:113]
	s_delay_alu instid0(VALU_DEP_1) | instskip(SKIP_1) | instid1(VALU_DEP_2)
	v_add_f64 v[34:35], v[34:35], v[54:55]
	v_add_f64 v[54:55], v[114:115], v[131:132]
	;; [unrolled: 1-line block ×3, first 2 shown]
	s_delay_alu instid0(VALU_DEP_2) | instskip(NEXT) | instid1(VALU_DEP_2)
	v_add_f64 v[48:49], v[54:55], -v[114:115]
	v_add_f64 v[34:35], v[144:145], v[34:35]
	s_delay_alu instid0(VALU_DEP_2) | instskip(NEXT) | instid1(VALU_DEP_2)
	v_add_f64 v[48:49], v[131:132], -v[48:49]
	v_mul_f64 v[34:35], v[36:37], v[34:35]
	s_delay_alu instid0(VALU_DEP_1) | instskip(NEXT) | instid1(VALU_DEP_1)
	v_add_f64 v[34:35], v[48:49], v[34:35]
	v_add_f64 v[36:37], v[54:55], v[34:35]
	s_delay_alu instid0(VALU_DEP_1) | instskip(NEXT) | instid1(VALU_DEP_1)
	v_mul_f64 v[48:49], v[36:37], v[36:37]
	v_fma_f64 v[112:113], v[48:49], s[24:25], s[22:23]
	s_mov_b32 s22, 0xd7f4df2e
	s_mov_b32 s23, 0x3fc7474d
	v_mul_f64 v[114:115], v[36:37], v[48:49]
	s_delay_alu instid0(VALU_DEP_2)
	v_fma_f64 v[112:113], v[48:49], v[112:113], s[22:23]
	s_mov_b32 s22, 0x16291751
	s_mov_b32 s23, 0x3fcc71c0
	s_delay_alu instid0(VALU_DEP_1) | instid1(SALU_CYCLE_1)
	v_fma_f64 v[112:113], v[48:49], v[112:113], s[22:23]
	s_mov_b32 s22, 0x9b27acf1
	s_mov_b32 s23, 0x3fd24924
	s_delay_alu instid0(VALU_DEP_1) | instid1(SALU_CYCLE_1)
	;; [unrolled: 4-line block ×3, first 2 shown]
	v_fma_f64 v[112:113], v[48:49], v[112:113], s[22:23]
	s_delay_alu instid0(VALU_DEP_1) | instskip(SKIP_2) | instid1(VALU_DEP_3)
	v_fma_f64 v[48:49], v[48:49], v[112:113], s[18:19]
	v_ldexp_f64 v[112:113], v[36:37], 1
	v_add_f64 v[36:37], v[36:37], -v[54:55]
	v_mul_f64 v[48:49], v[114:115], v[48:49]
	v_cvt_f64_i32_e32 v[114:115], v150
	s_delay_alu instid0(VALU_DEP_3) | instskip(NEXT) | instid1(VALU_DEP_3)
	v_add_f64 v[34:35], v[34:35], -v[36:37]
	v_add_f64 v[54:55], v[112:113], v[48:49]
	s_delay_alu instid0(VALU_DEP_3) | instskip(NEXT) | instid1(VALU_DEP_3)
	v_mul_f64 v[131:132], v[114:115], s[2:3]
	v_ldexp_f64 v[34:35], v[34:35], 1
	s_delay_alu instid0(VALU_DEP_3) | instskip(NEXT) | instid1(VALU_DEP_3)
	v_add_f64 v[36:37], v[54:55], -v[112:113]
	v_fma_f64 v[112:113], v[114:115], s[2:3], -v[131:132]
	s_delay_alu instid0(VALU_DEP_2) | instskip(NEXT) | instid1(VALU_DEP_2)
	v_add_f64 v[36:37], v[48:49], -v[36:37]
	v_fma_f64 v[48:49], v[114:115], s[16:17], v[112:113]
	s_delay_alu instid0(VALU_DEP_2) | instskip(NEXT) | instid1(VALU_DEP_2)
	v_add_f64 v[34:35], v[34:35], v[36:37]
	v_add_f64 v[36:37], v[131:132], v[48:49]
	s_delay_alu instid0(VALU_DEP_2) | instskip(NEXT) | instid1(VALU_DEP_2)
	v_add_f64 v[112:113], v[54:55], v[34:35]
	v_add_f64 v[131:132], v[36:37], -v[131:132]
	s_delay_alu instid0(VALU_DEP_2) | instskip(SKIP_1) | instid1(VALU_DEP_3)
	v_add_f64 v[114:115], v[36:37], v[112:113]
	v_add_f64 v[54:55], v[112:113], -v[54:55]
	v_add_f64 v[48:49], v[48:49], -v[131:132]
	s_delay_alu instid0(VALU_DEP_3) | instskip(NEXT) | instid1(VALU_DEP_3)
	v_add_f64 v[133:134], v[114:115], -v[36:37]
	v_add_f64 v[34:35], v[34:35], -v[54:55]
	s_delay_alu instid0(VALU_DEP_2) | instskip(SKIP_1) | instid1(VALU_DEP_3)
	v_add_f64 v[144:145], v[114:115], -v[133:134]
	v_add_f64 v[54:55], v[112:113], -v[133:134]
	v_add_f64 v[112:113], v[48:49], v[34:35]
	s_delay_alu instid0(VALU_DEP_3) | instskip(NEXT) | instid1(VALU_DEP_1)
	v_add_f64 v[36:37], v[36:37], -v[144:145]
	v_add_f64 v[36:37], v[54:55], v[36:37]
	s_delay_alu instid0(VALU_DEP_3) | instskip(NEXT) | instid1(VALU_DEP_2)
	v_add_f64 v[54:55], v[112:113], -v[48:49]
	v_add_f64 v[36:37], v[112:113], v[36:37]
	s_delay_alu instid0(VALU_DEP_2) | instskip(SKIP_1) | instid1(VALU_DEP_3)
	v_add_f64 v[112:113], v[112:113], -v[54:55]
	v_add_f64 v[34:35], v[34:35], -v[54:55]
	v_add_f64 v[131:132], v[114:115], v[36:37]
	s_delay_alu instid0(VALU_DEP_3) | instskip(NEXT) | instid1(VALU_DEP_2)
	v_add_f64 v[48:49], v[48:49], -v[112:113]
	v_add_f64 v[54:55], v[131:132], -v[114:115]
	s_delay_alu instid0(VALU_DEP_2) | instskip(NEXT) | instid1(VALU_DEP_2)
	v_add_f64 v[34:35], v[34:35], v[48:49]
	v_add_f64 v[36:37], v[36:37], -v[54:55]
	s_delay_alu instid0(VALU_DEP_1) | instskip(NEXT) | instid1(VALU_DEP_1)
	v_add_f64 v[34:35], v[34:35], v[36:37]
	v_add_f64 v[34:35], v[131:132], v[34:35]
	s_delay_alu instid0(VALU_DEP_1) | instskip(SKIP_1) | instid1(VALU_DEP_2)
	v_dual_cndmask_b32 v35, v35, v7 :: v_dual_cndmask_b32 v34, v34, v6
	v_cmp_ngt_f64_e32 vcc_lo, -1.0, v[6:7]
	v_cndmask_b32_e32 v35, 0x7ff80000, v35, vcc_lo
	v_cmp_nge_f64_e32 vcc_lo, -1.0, v[6:7]
	s_delay_alu instid0(VALU_DEP_4) | instskip(SKIP_1) | instid1(VALU_DEP_4)
	v_cndmask_b32_e32 v34, 0, v34, vcc_lo
	v_cmp_neq_f64_e32 vcc_lo, -1.0, v[6:7]
	v_cndmask_b32_e32 v35, 0xfff00000, v35, vcc_lo
	s_delay_alu instid0(VALU_DEP_1)
	v_add_f64 v[6:7], v[32:33], v[34:35]
.LBB76_340:
	s_or_b32 exec_lo, exec_lo, s20
	s_delay_alu instid0(VALU_DEP_1) | instskip(SKIP_1) | instid1(VALU_DEP_2)
	v_max_f64 v[32:33], v[6:7], v[6:7]
	v_cmp_u_f64_e32 vcc_lo, v[6:7], v[6:7]
	v_min_f64 v[34:35], v[32:33], v[8:9]
	v_max_f64 v[8:9], v[32:33], v[8:9]
	s_delay_alu instid0(VALU_DEP_2) | instskip(NEXT) | instid1(VALU_DEP_2)
	v_dual_cndmask_b32 v32, v34, v6 :: v_dual_cndmask_b32 v33, v35, v7
	v_dual_cndmask_b32 v9, v9, v7 :: v_dual_cndmask_b32 v8, v8, v6
	s_delay_alu instid0(VALU_DEP_2) | instskip(NEXT) | instid1(VALU_DEP_3)
	v_cndmask_b32_e64 v34, v32, v100, s4
	v_cndmask_b32_e64 v35, v33, v101, s4
	s_delay_alu instid0(VALU_DEP_3) | instskip(NEXT) | instid1(VALU_DEP_4)
	v_cndmask_b32_e64 v33, v9, v101, s4
	v_cndmask_b32_e64 v32, v8, v100, s4
	v_dual_mov_b32 v9, v7 :: v_dual_mov_b32 v8, v6
	s_delay_alu instid0(VALU_DEP_4) | instskip(NEXT) | instid1(VALU_DEP_3)
	v_cmp_class_f64_e64 s1, v[34:35], 0x1f8
	v_cmp_neq_f64_e32 vcc_lo, v[34:35], v[32:33]
	s_delay_alu instid0(VALU_DEP_2) | instskip(NEXT) | instid1(SALU_CYCLE_1)
	s_or_b32 s1, vcc_lo, s1
	s_and_saveexec_b32 s4, s1
	s_cbranch_execz .LBB76_342
; %bb.341:
	v_add_f64 v[8:9], v[34:35], -v[32:33]
	s_mov_b32 s2, 0x652b82fe
	s_mov_b32 s3, 0x3ff71547
	;; [unrolled: 1-line block ×10, first 2 shown]
	s_delay_alu instid0(VALU_DEP_1) | instskip(SKIP_4) | instid1(VALU_DEP_3)
	v_mul_f64 v[34:35], v[8:9], s[2:3]
	s_mov_b32 s3, 0xbfe62e42
	s_mov_b32 s2, 0xfefa39ef
	v_cmp_nlt_f64_e32 vcc_lo, 0x40900000, v[8:9]
	v_cmp_ngt_f64_e64 s1, 0xc090cc00, v[8:9]
	v_rndne_f64_e32 v[34:35], v[34:35]
	s_delay_alu instid0(VALU_DEP_1) | instskip(SKIP_2) | instid1(VALU_DEP_2)
	v_fma_f64 v[36:37], v[34:35], s[2:3], v[8:9]
	v_cvt_i32_f64_e32 v54, v[34:35]
	s_mov_b32 s3, 0x3fe62e42
	v_fma_f64 v[36:37], v[34:35], s[16:17], v[36:37]
	s_mov_b32 s17, 0x3c7abc9e
	s_waitcnt lgkmcnt(0)
	s_delay_alu instid0(VALU_DEP_1) | instskip(SKIP_4) | instid1(VALU_DEP_1)
	v_fma_f64 v[48:49], v[36:37], s[20:21], s[18:19]
	s_mov_b32 s18, 0x623fde64
	s_mov_b32 s19, 0x3ec71dee
	;; [unrolled: 1-line block ×4, first 2 shown]
	v_fma_f64 v[48:49], v[36:37], v[48:49], s[18:19]
	s_mov_b32 s18, 0x7c89e6b0
	s_mov_b32 s19, 0x3efa0199
	s_delay_alu instid0(VALU_DEP_1) | instid1(SALU_CYCLE_1)
	v_fma_f64 v[48:49], v[36:37], v[48:49], s[18:19]
	s_mov_b32 s18, 0x14761f6e
	s_mov_b32 s19, 0x3f2a01a0
	s_delay_alu instid0(VALU_DEP_1) | instid1(SALU_CYCLE_1)
	;; [unrolled: 4-line block ×7, first 2 shown]
	v_fma_f64 v[48:49], v[36:37], v[48:49], s[18:19]
	s_mov_b32 s19, 0x3fe55555
	s_mov_b32 s18, 0x55555555
	s_delay_alu instid0(VALU_DEP_1) | instskip(NEXT) | instid1(VALU_DEP_1)
	v_fma_f64 v[48:49], v[36:37], v[48:49], 1.0
	v_fma_f64 v[34:35], v[36:37], v[48:49], 1.0
	s_delay_alu instid0(VALU_DEP_1) | instskip(NEXT) | instid1(VALU_DEP_1)
	v_ldexp_f64 v[34:35], v[34:35], v54
	v_cndmask_b32_e32 v35, 0x7ff00000, v35, vcc_lo
	s_and_b32 vcc_lo, s1, vcc_lo
	s_delay_alu instid0(VALU_DEP_1) | instskip(NEXT) | instid1(VALU_DEP_3)
	v_cndmask_b32_e64 v9, 0, v35, s1
	v_cndmask_b32_e32 v8, 0, v34, vcc_lo
	s_delay_alu instid0(VALU_DEP_1) | instskip(NEXT) | instid1(VALU_DEP_1)
	v_add_f64 v[34:35], v[8:9], 1.0
	v_frexp_mant_f64_e32 v[36:37], v[34:35]
	v_frexp_exp_i32_f64_e32 v54, v[34:35]
	v_add_f64 v[48:49], v[34:35], -1.0
	s_delay_alu instid0(VALU_DEP_3) | instskip(SKIP_1) | instid1(VALU_DEP_2)
	v_cmp_gt_f64_e32 vcc_lo, s[18:19], v[36:37]
	s_mov_b32 s18, 0x55555780
	v_add_f64 v[36:37], v[48:49], -v[34:35]
	v_add_f64 v[48:49], v[8:9], -v[48:49]
	v_subrev_co_ci_u32_e32 v148, vcc_lo, 0, v54, vcc_lo
	s_delay_alu instid0(VALU_DEP_3) | instskip(SKIP_1) | instid1(VALU_DEP_3)
	v_add_f64 v[36:37], v[36:37], 1.0
	v_cmp_eq_f64_e32 vcc_lo, 0x7ff00000, v[8:9]
	v_sub_nc_u32_e32 v100, 0, v148
	s_delay_alu instid0(VALU_DEP_1) | instskip(NEXT) | instid1(VALU_DEP_4)
	v_ldexp_f64 v[34:35], v[34:35], v100
	v_add_f64 v[36:37], v[48:49], v[36:37]
	s_delay_alu instid0(VALU_DEP_2) | instskip(SKIP_1) | instid1(VALU_DEP_3)
	v_add_f64 v[54:55], v[34:35], 1.0
	v_add_f64 v[114:115], v[34:35], -1.0
	v_ldexp_f64 v[36:37], v[36:37], v100
	s_delay_alu instid0(VALU_DEP_3) | instskip(NEXT) | instid1(VALU_DEP_3)
	v_add_f64 v[48:49], v[54:55], -1.0
	v_add_f64 v[131:132], v[114:115], 1.0
	s_delay_alu instid0(VALU_DEP_2) | instskip(NEXT) | instid1(VALU_DEP_2)
	v_add_f64 v[48:49], v[34:35], -v[48:49]
	v_add_f64 v[34:35], v[34:35], -v[131:132]
	s_delay_alu instid0(VALU_DEP_2) | instskip(NEXT) | instid1(VALU_DEP_2)
	v_add_f64 v[48:49], v[36:37], v[48:49]
	v_add_f64 v[34:35], v[36:37], v[34:35]
	s_delay_alu instid0(VALU_DEP_2) | instskip(NEXT) | instid1(VALU_DEP_2)
	v_add_f64 v[100:101], v[54:55], v[48:49]
	v_add_f64 v[131:132], v[114:115], v[34:35]
	s_delay_alu instid0(VALU_DEP_2) | instskip(SKIP_1) | instid1(VALU_DEP_2)
	v_rcp_f64_e32 v[112:113], v[100:101]
	v_add_f64 v[54:55], v[100:101], -v[54:55]
	v_add_f64 v[114:115], v[131:132], -v[114:115]
	s_delay_alu instid0(VALU_DEP_2) | instskip(SKIP_3) | instid1(VALU_DEP_2)
	v_add_f64 v[48:49], v[48:49], -v[54:55]
	s_waitcnt_depctr 0xfff
	v_fma_f64 v[133:134], -v[100:101], v[112:113], 1.0
	v_add_f64 v[34:35], v[34:35], -v[114:115]
	v_fma_f64 v[112:113], v[133:134], v[112:113], v[112:113]
	s_delay_alu instid0(VALU_DEP_1) | instskip(NEXT) | instid1(VALU_DEP_1)
	v_fma_f64 v[36:37], -v[100:101], v[112:113], 1.0
	v_fma_f64 v[36:37], v[36:37], v[112:113], v[112:113]
	s_delay_alu instid0(VALU_DEP_1) | instskip(NEXT) | instid1(VALU_DEP_1)
	v_mul_f64 v[112:113], v[131:132], v[36:37]
	v_mul_f64 v[133:134], v[100:101], v[112:113]
	s_delay_alu instid0(VALU_DEP_1) | instskip(NEXT) | instid1(VALU_DEP_1)
	v_fma_f64 v[54:55], v[112:113], v[100:101], -v[133:134]
	v_fma_f64 v[54:55], v[112:113], v[48:49], v[54:55]
	s_delay_alu instid0(VALU_DEP_1) | instskip(NEXT) | instid1(VALU_DEP_1)
	v_add_f64 v[144:145], v[133:134], v[54:55]
	v_add_f64 v[146:147], v[131:132], -v[144:145]
	v_add_f64 v[114:115], v[144:145], -v[133:134]
	s_delay_alu instid0(VALU_DEP_2) | instskip(NEXT) | instid1(VALU_DEP_2)
	v_add_f64 v[131:132], v[131:132], -v[146:147]
	v_add_f64 v[54:55], v[114:115], -v[54:55]
	s_delay_alu instid0(VALU_DEP_2) | instskip(NEXT) | instid1(VALU_DEP_1)
	v_add_f64 v[131:132], v[131:132], -v[144:145]
	v_add_f64 v[34:35], v[34:35], v[131:132]
	s_delay_alu instid0(VALU_DEP_1) | instskip(NEXT) | instid1(VALU_DEP_1)
	v_add_f64 v[34:35], v[54:55], v[34:35]
	v_add_f64 v[54:55], v[146:147], v[34:35]
	s_delay_alu instid0(VALU_DEP_1) | instskip(SKIP_1) | instid1(VALU_DEP_2)
	v_mul_f64 v[114:115], v[36:37], v[54:55]
	v_add_f64 v[144:145], v[146:147], -v[54:55]
	v_mul_f64 v[131:132], v[100:101], v[114:115]
	s_delay_alu instid0(VALU_DEP_2) | instskip(NEXT) | instid1(VALU_DEP_2)
	v_add_f64 v[34:35], v[34:35], v[144:145]
	v_fma_f64 v[100:101], v[114:115], v[100:101], -v[131:132]
	s_delay_alu instid0(VALU_DEP_1) | instskip(NEXT) | instid1(VALU_DEP_1)
	v_fma_f64 v[48:49], v[114:115], v[48:49], v[100:101]
	v_add_f64 v[100:101], v[131:132], v[48:49]
	s_delay_alu instid0(VALU_DEP_1) | instskip(SKIP_1) | instid1(VALU_DEP_2)
	v_add_f64 v[133:134], v[54:55], -v[100:101]
	v_add_f64 v[131:132], v[100:101], -v[131:132]
	;; [unrolled: 1-line block ×3, first 2 shown]
	s_delay_alu instid0(VALU_DEP_2) | instskip(NEXT) | instid1(VALU_DEP_2)
	v_add_f64 v[48:49], v[131:132], -v[48:49]
	v_add_f64 v[54:55], v[54:55], -v[100:101]
	s_delay_alu instid0(VALU_DEP_1) | instskip(SKIP_1) | instid1(VALU_DEP_2)
	v_add_f64 v[34:35], v[34:35], v[54:55]
	v_add_f64 v[54:55], v[112:113], v[114:115]
	;; [unrolled: 1-line block ×3, first 2 shown]
	s_delay_alu instid0(VALU_DEP_2) | instskip(NEXT) | instid1(VALU_DEP_2)
	v_add_f64 v[48:49], v[54:55], -v[112:113]
	v_add_f64 v[34:35], v[133:134], v[34:35]
	s_delay_alu instid0(VALU_DEP_2) | instskip(NEXT) | instid1(VALU_DEP_2)
	v_add_f64 v[48:49], v[114:115], -v[48:49]
	v_mul_f64 v[34:35], v[36:37], v[34:35]
	s_delay_alu instid0(VALU_DEP_1) | instskip(NEXT) | instid1(VALU_DEP_1)
	v_add_f64 v[34:35], v[48:49], v[34:35]
	v_add_f64 v[36:37], v[54:55], v[34:35]
	s_delay_alu instid0(VALU_DEP_1) | instskip(NEXT) | instid1(VALU_DEP_1)
	v_mul_f64 v[48:49], v[36:37], v[36:37]
	v_fma_f64 v[100:101], v[48:49], s[22:23], s[20:21]
	s_mov_b32 s20, 0xd7f4df2e
	s_mov_b32 s21, 0x3fc7474d
	v_mul_f64 v[112:113], v[36:37], v[48:49]
	s_delay_alu instid0(VALU_DEP_2)
	v_fma_f64 v[100:101], v[48:49], v[100:101], s[20:21]
	s_mov_b32 s20, 0x16291751
	s_mov_b32 s21, 0x3fcc71c0
	s_delay_alu instid0(VALU_DEP_1) | instid1(SALU_CYCLE_1)
	v_fma_f64 v[100:101], v[48:49], v[100:101], s[20:21]
	s_mov_b32 s20, 0x9b27acf1
	s_mov_b32 s21, 0x3fd24924
	s_delay_alu instid0(VALU_DEP_1) | instid1(SALU_CYCLE_1)
	;; [unrolled: 4-line block ×3, first 2 shown]
	v_fma_f64 v[100:101], v[48:49], v[100:101], s[20:21]
	s_delay_alu instid0(VALU_DEP_1) | instskip(SKIP_2) | instid1(VALU_DEP_3)
	v_fma_f64 v[48:49], v[48:49], v[100:101], s[18:19]
	v_ldexp_f64 v[100:101], v[36:37], 1
	v_add_f64 v[36:37], v[36:37], -v[54:55]
	v_mul_f64 v[48:49], v[112:113], v[48:49]
	v_cvt_f64_i32_e32 v[112:113], v148
	s_delay_alu instid0(VALU_DEP_3) | instskip(NEXT) | instid1(VALU_DEP_3)
	v_add_f64 v[34:35], v[34:35], -v[36:37]
	v_add_f64 v[54:55], v[100:101], v[48:49]
	s_delay_alu instid0(VALU_DEP_3) | instskip(NEXT) | instid1(VALU_DEP_3)
	v_mul_f64 v[114:115], v[112:113], s[2:3]
	v_ldexp_f64 v[34:35], v[34:35], 1
	s_delay_alu instid0(VALU_DEP_3) | instskip(NEXT) | instid1(VALU_DEP_3)
	v_add_f64 v[36:37], v[54:55], -v[100:101]
	v_fma_f64 v[100:101], v[112:113], s[2:3], -v[114:115]
	s_delay_alu instid0(VALU_DEP_2) | instskip(NEXT) | instid1(VALU_DEP_2)
	v_add_f64 v[36:37], v[48:49], -v[36:37]
	v_fma_f64 v[48:49], v[112:113], s[16:17], v[100:101]
	s_delay_alu instid0(VALU_DEP_2) | instskip(NEXT) | instid1(VALU_DEP_2)
	v_add_f64 v[34:35], v[34:35], v[36:37]
	v_add_f64 v[36:37], v[114:115], v[48:49]
	s_delay_alu instid0(VALU_DEP_2) | instskip(NEXT) | instid1(VALU_DEP_2)
	v_add_f64 v[100:101], v[54:55], v[34:35]
	v_add_f64 v[114:115], v[36:37], -v[114:115]
	s_delay_alu instid0(VALU_DEP_2) | instskip(SKIP_1) | instid1(VALU_DEP_3)
	v_add_f64 v[112:113], v[36:37], v[100:101]
	v_add_f64 v[54:55], v[100:101], -v[54:55]
	v_add_f64 v[48:49], v[48:49], -v[114:115]
	s_delay_alu instid0(VALU_DEP_3) | instskip(NEXT) | instid1(VALU_DEP_3)
	v_add_f64 v[131:132], v[112:113], -v[36:37]
	v_add_f64 v[34:35], v[34:35], -v[54:55]
	s_delay_alu instid0(VALU_DEP_2) | instskip(SKIP_1) | instid1(VALU_DEP_3)
	v_add_f64 v[133:134], v[112:113], -v[131:132]
	v_add_f64 v[54:55], v[100:101], -v[131:132]
	v_add_f64 v[100:101], v[48:49], v[34:35]
	s_delay_alu instid0(VALU_DEP_3) | instskip(NEXT) | instid1(VALU_DEP_1)
	v_add_f64 v[36:37], v[36:37], -v[133:134]
	v_add_f64 v[36:37], v[54:55], v[36:37]
	s_delay_alu instid0(VALU_DEP_3) | instskip(NEXT) | instid1(VALU_DEP_2)
	v_add_f64 v[54:55], v[100:101], -v[48:49]
	v_add_f64 v[36:37], v[100:101], v[36:37]
	s_delay_alu instid0(VALU_DEP_2) | instskip(SKIP_1) | instid1(VALU_DEP_3)
	v_add_f64 v[100:101], v[100:101], -v[54:55]
	v_add_f64 v[34:35], v[34:35], -v[54:55]
	v_add_f64 v[114:115], v[112:113], v[36:37]
	s_delay_alu instid0(VALU_DEP_3) | instskip(NEXT) | instid1(VALU_DEP_2)
	v_add_f64 v[48:49], v[48:49], -v[100:101]
	v_add_f64 v[54:55], v[114:115], -v[112:113]
	s_delay_alu instid0(VALU_DEP_2) | instskip(NEXT) | instid1(VALU_DEP_2)
	v_add_f64 v[34:35], v[34:35], v[48:49]
	v_add_f64 v[36:37], v[36:37], -v[54:55]
	s_delay_alu instid0(VALU_DEP_1) | instskip(NEXT) | instid1(VALU_DEP_1)
	v_add_f64 v[34:35], v[34:35], v[36:37]
	v_add_f64 v[34:35], v[114:115], v[34:35]
	s_delay_alu instid0(VALU_DEP_1) | instskip(SKIP_1) | instid1(VALU_DEP_2)
	v_dual_cndmask_b32 v35, v35, v9 :: v_dual_cndmask_b32 v34, v34, v8
	v_cmp_ngt_f64_e32 vcc_lo, -1.0, v[8:9]
	v_cndmask_b32_e32 v35, 0x7ff80000, v35, vcc_lo
	v_cmp_nge_f64_e32 vcc_lo, -1.0, v[8:9]
	s_delay_alu instid0(VALU_DEP_4) | instskip(SKIP_1) | instid1(VALU_DEP_4)
	v_cndmask_b32_e32 v34, 0, v34, vcc_lo
	v_cmp_neq_f64_e32 vcc_lo, -1.0, v[8:9]
	v_cndmask_b32_e32 v35, 0xfff00000, v35, vcc_lo
	s_delay_alu instid0(VALU_DEP_1)
	v_add_f64 v[8:9], v[32:33], v[34:35]
.LBB76_342:
	s_or_b32 exec_lo, exec_lo, s4
	s_delay_alu instid0(VALU_DEP_1) | instskip(SKIP_1) | instid1(VALU_DEP_2)
	v_max_f64 v[32:33], v[8:9], v[8:9]
	v_cmp_u_f64_e32 vcc_lo, v[8:9], v[8:9]
	v_min_f64 v[34:35], v[32:33], v[10:11]
	v_max_f64 v[10:11], v[32:33], v[10:11]
	s_delay_alu instid0(VALU_DEP_2) | instskip(NEXT) | instid1(VALU_DEP_2)
	v_dual_cndmask_b32 v32, v34, v8 :: v_dual_cndmask_b32 v33, v35, v9
	v_dual_cndmask_b32 v11, v11, v9 :: v_dual_cndmask_b32 v10, v10, v8
	s_delay_alu instid0(VALU_DEP_2) | instskip(NEXT) | instid1(VALU_DEP_3)
	v_cndmask_b32_e64 v34, v32, v102, s5
	v_cndmask_b32_e64 v35, v33, v103, s5
	s_delay_alu instid0(VALU_DEP_3) | instskip(NEXT) | instid1(VALU_DEP_4)
	v_cndmask_b32_e64 v33, v11, v103, s5
	v_cndmask_b32_e64 v32, v10, v102, s5
	v_dual_mov_b32 v11, v9 :: v_dual_mov_b32 v10, v8
	s_delay_alu instid0(VALU_DEP_4) | instskip(NEXT) | instid1(VALU_DEP_3)
	v_cmp_class_f64_e64 s1, v[34:35], 0x1f8
	v_cmp_neq_f64_e32 vcc_lo, v[34:35], v[32:33]
	s_delay_alu instid0(VALU_DEP_2) | instskip(NEXT) | instid1(SALU_CYCLE_1)
	s_or_b32 s1, vcc_lo, s1
	s_and_saveexec_b32 s18, s1
	s_cbranch_execz .LBB76_344
; %bb.343:
	v_add_f64 v[10:11], v[34:35], -v[32:33]
	s_mov_b32 s2, 0x652b82fe
	s_mov_b32 s3, 0x3ff71547
	;; [unrolled: 1-line block ×10, first 2 shown]
	s_delay_alu instid0(VALU_DEP_1) | instskip(SKIP_4) | instid1(VALU_DEP_3)
	v_mul_f64 v[34:35], v[10:11], s[2:3]
	s_mov_b32 s3, 0xbfe62e42
	s_mov_b32 s2, 0xfefa39ef
	v_cmp_nlt_f64_e32 vcc_lo, 0x40900000, v[10:11]
	v_cmp_ngt_f64_e64 s1, 0xc090cc00, v[10:11]
	v_rndne_f64_e32 v[34:35], v[34:35]
	s_delay_alu instid0(VALU_DEP_1) | instskip(SKIP_2) | instid1(VALU_DEP_2)
	v_fma_f64 v[36:37], v[34:35], s[2:3], v[10:11]
	v_cvt_i32_f64_e32 v54, v[34:35]
	s_mov_b32 s3, 0x3fe62e42
	v_fma_f64 v[36:37], v[34:35], s[4:5], v[36:37]
	s_mov_b32 s5, 0x3c7abc9e
	s_waitcnt lgkmcnt(0)
	s_delay_alu instid0(VALU_DEP_1) | instskip(SKIP_4) | instid1(VALU_DEP_1)
	v_fma_f64 v[48:49], v[36:37], s[20:21], s[16:17]
	s_mov_b32 s16, 0x623fde64
	s_mov_b32 s17, 0x3ec71dee
	s_mov_b32 s20, 0x6b47b09a
	s_mov_b32 s21, 0x3fc38538
	v_fma_f64 v[48:49], v[36:37], v[48:49], s[16:17]
	s_mov_b32 s16, 0x7c89e6b0
	s_mov_b32 s17, 0x3efa0199
	s_delay_alu instid0(VALU_DEP_1) | instid1(SALU_CYCLE_1)
	v_fma_f64 v[48:49], v[36:37], v[48:49], s[16:17]
	s_mov_b32 s16, 0x14761f6e
	s_mov_b32 s17, 0x3f2a01a0
	s_delay_alu instid0(VALU_DEP_1) | instid1(SALU_CYCLE_1)
	;; [unrolled: 4-line block ×7, first 2 shown]
	v_fma_f64 v[48:49], v[36:37], v[48:49], s[16:17]
	s_mov_b32 s17, 0x3fe55555
	s_mov_b32 s16, 0x55555555
	s_delay_alu instid0(VALU_DEP_1) | instskip(NEXT) | instid1(VALU_DEP_1)
	v_fma_f64 v[48:49], v[36:37], v[48:49], 1.0
	v_fma_f64 v[34:35], v[36:37], v[48:49], 1.0
	s_delay_alu instid0(VALU_DEP_1) | instskip(NEXT) | instid1(VALU_DEP_1)
	v_ldexp_f64 v[34:35], v[34:35], v54
	v_cndmask_b32_e32 v35, 0x7ff00000, v35, vcc_lo
	s_and_b32 vcc_lo, s1, vcc_lo
	s_delay_alu instid0(VALU_DEP_1) | instskip(NEXT) | instid1(VALU_DEP_3)
	v_cndmask_b32_e64 v11, 0, v35, s1
	v_cndmask_b32_e32 v10, 0, v34, vcc_lo
	s_delay_alu instid0(VALU_DEP_1) | instskip(NEXT) | instid1(VALU_DEP_1)
	v_add_f64 v[34:35], v[10:11], 1.0
	v_frexp_mant_f64_e32 v[36:37], v[34:35]
	v_frexp_exp_i32_f64_e32 v54, v[34:35]
	v_add_f64 v[48:49], v[34:35], -1.0
	s_delay_alu instid0(VALU_DEP_3) | instskip(SKIP_1) | instid1(VALU_DEP_2)
	v_cmp_gt_f64_e32 vcc_lo, s[16:17], v[36:37]
	s_mov_b32 s16, 0x55555780
	v_add_f64 v[36:37], v[48:49], -v[34:35]
	v_add_f64 v[48:49], v[10:11], -v[48:49]
	v_subrev_co_ci_u32_e32 v146, vcc_lo, 0, v54, vcc_lo
	s_delay_alu instid0(VALU_DEP_3) | instskip(SKIP_1) | instid1(VALU_DEP_3)
	v_add_f64 v[36:37], v[36:37], 1.0
	v_cmp_eq_f64_e32 vcc_lo, 0x7ff00000, v[10:11]
	v_sub_nc_u32_e32 v100, 0, v146
	s_delay_alu instid0(VALU_DEP_1) | instskip(NEXT) | instid1(VALU_DEP_4)
	v_ldexp_f64 v[34:35], v[34:35], v100
	v_add_f64 v[36:37], v[48:49], v[36:37]
	s_delay_alu instid0(VALU_DEP_2) | instskip(SKIP_1) | instid1(VALU_DEP_3)
	v_add_f64 v[54:55], v[34:35], 1.0
	v_add_f64 v[112:113], v[34:35], -1.0
	v_ldexp_f64 v[36:37], v[36:37], v100
	s_delay_alu instid0(VALU_DEP_3) | instskip(NEXT) | instid1(VALU_DEP_3)
	v_add_f64 v[48:49], v[54:55], -1.0
	v_add_f64 v[114:115], v[112:113], 1.0
	s_delay_alu instid0(VALU_DEP_2) | instskip(NEXT) | instid1(VALU_DEP_2)
	v_add_f64 v[48:49], v[34:35], -v[48:49]
	v_add_f64 v[34:35], v[34:35], -v[114:115]
	s_delay_alu instid0(VALU_DEP_2) | instskip(NEXT) | instid1(VALU_DEP_2)
	v_add_f64 v[48:49], v[36:37], v[48:49]
	v_add_f64 v[34:35], v[36:37], v[34:35]
	s_delay_alu instid0(VALU_DEP_2) | instskip(NEXT) | instid1(VALU_DEP_2)
	v_add_f64 v[100:101], v[54:55], v[48:49]
	v_add_f64 v[114:115], v[112:113], v[34:35]
	s_delay_alu instid0(VALU_DEP_2) | instskip(SKIP_1) | instid1(VALU_DEP_2)
	v_rcp_f64_e32 v[102:103], v[100:101]
	v_add_f64 v[54:55], v[100:101], -v[54:55]
	v_add_f64 v[112:113], v[114:115], -v[112:113]
	s_delay_alu instid0(VALU_DEP_2) | instskip(SKIP_3) | instid1(VALU_DEP_2)
	v_add_f64 v[48:49], v[48:49], -v[54:55]
	s_waitcnt_depctr 0xfff
	v_fma_f64 v[131:132], -v[100:101], v[102:103], 1.0
	v_add_f64 v[34:35], v[34:35], -v[112:113]
	v_fma_f64 v[102:103], v[131:132], v[102:103], v[102:103]
	s_delay_alu instid0(VALU_DEP_1) | instskip(NEXT) | instid1(VALU_DEP_1)
	v_fma_f64 v[36:37], -v[100:101], v[102:103], 1.0
	v_fma_f64 v[36:37], v[36:37], v[102:103], v[102:103]
	s_delay_alu instid0(VALU_DEP_1) | instskip(NEXT) | instid1(VALU_DEP_1)
	v_mul_f64 v[102:103], v[114:115], v[36:37]
	v_mul_f64 v[131:132], v[100:101], v[102:103]
	s_delay_alu instid0(VALU_DEP_1) | instskip(NEXT) | instid1(VALU_DEP_1)
	v_fma_f64 v[54:55], v[102:103], v[100:101], -v[131:132]
	v_fma_f64 v[54:55], v[102:103], v[48:49], v[54:55]
	s_delay_alu instid0(VALU_DEP_1) | instskip(NEXT) | instid1(VALU_DEP_1)
	v_add_f64 v[133:134], v[131:132], v[54:55]
	v_add_f64 v[144:145], v[114:115], -v[133:134]
	v_add_f64 v[112:113], v[133:134], -v[131:132]
	s_delay_alu instid0(VALU_DEP_2) | instskip(NEXT) | instid1(VALU_DEP_2)
	v_add_f64 v[114:115], v[114:115], -v[144:145]
	v_add_f64 v[54:55], v[112:113], -v[54:55]
	s_delay_alu instid0(VALU_DEP_2) | instskip(NEXT) | instid1(VALU_DEP_1)
	v_add_f64 v[114:115], v[114:115], -v[133:134]
	v_add_f64 v[34:35], v[34:35], v[114:115]
	s_delay_alu instid0(VALU_DEP_1) | instskip(NEXT) | instid1(VALU_DEP_1)
	v_add_f64 v[34:35], v[54:55], v[34:35]
	v_add_f64 v[54:55], v[144:145], v[34:35]
	s_delay_alu instid0(VALU_DEP_1) | instskip(SKIP_1) | instid1(VALU_DEP_2)
	v_mul_f64 v[112:113], v[36:37], v[54:55]
	v_add_f64 v[133:134], v[144:145], -v[54:55]
	v_mul_f64 v[114:115], v[100:101], v[112:113]
	s_delay_alu instid0(VALU_DEP_2) | instskip(NEXT) | instid1(VALU_DEP_2)
	v_add_f64 v[34:35], v[34:35], v[133:134]
	v_fma_f64 v[100:101], v[112:113], v[100:101], -v[114:115]
	s_delay_alu instid0(VALU_DEP_1) | instskip(NEXT) | instid1(VALU_DEP_1)
	v_fma_f64 v[48:49], v[112:113], v[48:49], v[100:101]
	v_add_f64 v[100:101], v[114:115], v[48:49]
	s_delay_alu instid0(VALU_DEP_1) | instskip(SKIP_1) | instid1(VALU_DEP_2)
	v_add_f64 v[131:132], v[54:55], -v[100:101]
	v_add_f64 v[114:115], v[100:101], -v[114:115]
	;; [unrolled: 1-line block ×3, first 2 shown]
	s_delay_alu instid0(VALU_DEP_2) | instskip(NEXT) | instid1(VALU_DEP_2)
	v_add_f64 v[48:49], v[114:115], -v[48:49]
	v_add_f64 v[54:55], v[54:55], -v[100:101]
	s_delay_alu instid0(VALU_DEP_1) | instskip(SKIP_1) | instid1(VALU_DEP_2)
	v_add_f64 v[34:35], v[34:35], v[54:55]
	v_add_f64 v[54:55], v[102:103], v[112:113]
	;; [unrolled: 1-line block ×3, first 2 shown]
	s_delay_alu instid0(VALU_DEP_2) | instskip(NEXT) | instid1(VALU_DEP_2)
	v_add_f64 v[48:49], v[54:55], -v[102:103]
	v_add_f64 v[34:35], v[131:132], v[34:35]
	s_delay_alu instid0(VALU_DEP_2) | instskip(NEXT) | instid1(VALU_DEP_2)
	v_add_f64 v[48:49], v[112:113], -v[48:49]
	v_mul_f64 v[34:35], v[36:37], v[34:35]
	s_delay_alu instid0(VALU_DEP_1) | instskip(NEXT) | instid1(VALU_DEP_1)
	v_add_f64 v[34:35], v[48:49], v[34:35]
	v_add_f64 v[36:37], v[54:55], v[34:35]
	s_delay_alu instid0(VALU_DEP_1) | instskip(NEXT) | instid1(VALU_DEP_1)
	v_mul_f64 v[48:49], v[36:37], v[36:37]
	v_fma_f64 v[100:101], v[48:49], s[22:23], s[20:21]
	s_mov_b32 s20, 0xd7f4df2e
	s_mov_b32 s21, 0x3fc7474d
	v_mul_f64 v[102:103], v[36:37], v[48:49]
	s_delay_alu instid0(VALU_DEP_2)
	v_fma_f64 v[100:101], v[48:49], v[100:101], s[20:21]
	s_mov_b32 s20, 0x16291751
	s_mov_b32 s21, 0x3fcc71c0
	s_delay_alu instid0(VALU_DEP_1) | instid1(SALU_CYCLE_1)
	v_fma_f64 v[100:101], v[48:49], v[100:101], s[20:21]
	s_mov_b32 s20, 0x9b27acf1
	s_mov_b32 s21, 0x3fd24924
	s_delay_alu instid0(VALU_DEP_1) | instid1(SALU_CYCLE_1)
	;; [unrolled: 4-line block ×3, first 2 shown]
	v_fma_f64 v[100:101], v[48:49], v[100:101], s[20:21]
	s_delay_alu instid0(VALU_DEP_1) | instskip(SKIP_2) | instid1(VALU_DEP_3)
	v_fma_f64 v[48:49], v[48:49], v[100:101], s[16:17]
	v_ldexp_f64 v[100:101], v[36:37], 1
	v_add_f64 v[36:37], v[36:37], -v[54:55]
	v_mul_f64 v[48:49], v[102:103], v[48:49]
	v_cvt_f64_i32_e32 v[102:103], v146
	s_delay_alu instid0(VALU_DEP_3) | instskip(NEXT) | instid1(VALU_DEP_3)
	v_add_f64 v[34:35], v[34:35], -v[36:37]
	v_add_f64 v[54:55], v[100:101], v[48:49]
	s_delay_alu instid0(VALU_DEP_3) | instskip(NEXT) | instid1(VALU_DEP_3)
	v_mul_f64 v[112:113], v[102:103], s[2:3]
	v_ldexp_f64 v[34:35], v[34:35], 1
	s_delay_alu instid0(VALU_DEP_3) | instskip(NEXT) | instid1(VALU_DEP_3)
	v_add_f64 v[36:37], v[54:55], -v[100:101]
	v_fma_f64 v[100:101], v[102:103], s[2:3], -v[112:113]
	s_delay_alu instid0(VALU_DEP_2) | instskip(NEXT) | instid1(VALU_DEP_2)
	v_add_f64 v[36:37], v[48:49], -v[36:37]
	v_fma_f64 v[48:49], v[102:103], s[4:5], v[100:101]
	s_delay_alu instid0(VALU_DEP_2) | instskip(NEXT) | instid1(VALU_DEP_2)
	v_add_f64 v[34:35], v[34:35], v[36:37]
	v_add_f64 v[36:37], v[112:113], v[48:49]
	s_delay_alu instid0(VALU_DEP_2) | instskip(NEXT) | instid1(VALU_DEP_2)
	v_add_f64 v[100:101], v[54:55], v[34:35]
	v_add_f64 v[112:113], v[36:37], -v[112:113]
	s_delay_alu instid0(VALU_DEP_2) | instskip(SKIP_1) | instid1(VALU_DEP_3)
	v_add_f64 v[102:103], v[36:37], v[100:101]
	v_add_f64 v[54:55], v[100:101], -v[54:55]
	v_add_f64 v[48:49], v[48:49], -v[112:113]
	s_delay_alu instid0(VALU_DEP_3) | instskip(NEXT) | instid1(VALU_DEP_3)
	v_add_f64 v[114:115], v[102:103], -v[36:37]
	v_add_f64 v[34:35], v[34:35], -v[54:55]
	s_delay_alu instid0(VALU_DEP_2) | instskip(SKIP_1) | instid1(VALU_DEP_3)
	v_add_f64 v[131:132], v[102:103], -v[114:115]
	v_add_f64 v[54:55], v[100:101], -v[114:115]
	v_add_f64 v[100:101], v[48:49], v[34:35]
	s_delay_alu instid0(VALU_DEP_3) | instskip(NEXT) | instid1(VALU_DEP_1)
	v_add_f64 v[36:37], v[36:37], -v[131:132]
	v_add_f64 v[36:37], v[54:55], v[36:37]
	s_delay_alu instid0(VALU_DEP_3) | instskip(NEXT) | instid1(VALU_DEP_2)
	v_add_f64 v[54:55], v[100:101], -v[48:49]
	v_add_f64 v[36:37], v[100:101], v[36:37]
	s_delay_alu instid0(VALU_DEP_2) | instskip(SKIP_1) | instid1(VALU_DEP_3)
	v_add_f64 v[100:101], v[100:101], -v[54:55]
	v_add_f64 v[34:35], v[34:35], -v[54:55]
	v_add_f64 v[112:113], v[102:103], v[36:37]
	s_delay_alu instid0(VALU_DEP_3) | instskip(NEXT) | instid1(VALU_DEP_2)
	v_add_f64 v[48:49], v[48:49], -v[100:101]
	v_add_f64 v[54:55], v[112:113], -v[102:103]
	s_delay_alu instid0(VALU_DEP_2) | instskip(NEXT) | instid1(VALU_DEP_2)
	v_add_f64 v[34:35], v[34:35], v[48:49]
	v_add_f64 v[36:37], v[36:37], -v[54:55]
	s_delay_alu instid0(VALU_DEP_1) | instskip(NEXT) | instid1(VALU_DEP_1)
	v_add_f64 v[34:35], v[34:35], v[36:37]
	v_add_f64 v[34:35], v[112:113], v[34:35]
	s_delay_alu instid0(VALU_DEP_1) | instskip(SKIP_1) | instid1(VALU_DEP_2)
	v_dual_cndmask_b32 v35, v35, v11 :: v_dual_cndmask_b32 v34, v34, v10
	v_cmp_ngt_f64_e32 vcc_lo, -1.0, v[10:11]
	v_cndmask_b32_e32 v35, 0x7ff80000, v35, vcc_lo
	v_cmp_nge_f64_e32 vcc_lo, -1.0, v[10:11]
	s_delay_alu instid0(VALU_DEP_4) | instskip(SKIP_1) | instid1(VALU_DEP_4)
	v_cndmask_b32_e32 v34, 0, v34, vcc_lo
	v_cmp_neq_f64_e32 vcc_lo, -1.0, v[10:11]
	v_cndmask_b32_e32 v35, 0xfff00000, v35, vcc_lo
	s_delay_alu instid0(VALU_DEP_1)
	v_add_f64 v[10:11], v[32:33], v[34:35]
.LBB76_344:
	s_or_b32 exec_lo, exec_lo, s18
	s_delay_alu instid0(VALU_DEP_1) | instskip(SKIP_1) | instid1(VALU_DEP_2)
	v_max_f64 v[32:33], v[10:11], v[10:11]
	v_cmp_u_f64_e32 vcc_lo, v[10:11], v[10:11]
	v_min_f64 v[34:35], v[32:33], v[12:13]
	v_max_f64 v[12:13], v[32:33], v[12:13]
	s_delay_alu instid0(VALU_DEP_2) | instskip(NEXT) | instid1(VALU_DEP_2)
	v_dual_cndmask_b32 v32, v34, v10 :: v_dual_cndmask_b32 v33, v35, v11
	v_dual_cndmask_b32 v13, v13, v11 :: v_dual_cndmask_b32 v12, v12, v10
	s_delay_alu instid0(VALU_DEP_2) | instskip(NEXT) | instid1(VALU_DEP_3)
	v_cndmask_b32_e64 v34, v32, v96, s6
	v_cndmask_b32_e64 v35, v33, v97, s6
	s_delay_alu instid0(VALU_DEP_3) | instskip(NEXT) | instid1(VALU_DEP_4)
	v_cndmask_b32_e64 v33, v13, v97, s6
	v_cndmask_b32_e64 v32, v12, v96, s6
	v_dual_mov_b32 v13, v11 :: v_dual_mov_b32 v12, v10
	s_delay_alu instid0(VALU_DEP_4) | instskip(NEXT) | instid1(VALU_DEP_3)
	v_cmp_class_f64_e64 s1, v[34:35], 0x1f8
	v_cmp_neq_f64_e32 vcc_lo, v[34:35], v[32:33]
	s_delay_alu instid0(VALU_DEP_2) | instskip(NEXT) | instid1(SALU_CYCLE_1)
	s_or_b32 s1, vcc_lo, s1
	s_and_saveexec_b32 s6, s1
	s_cbranch_execz .LBB76_346
; %bb.345:
	v_add_f64 v[12:13], v[34:35], -v[32:33]
	s_mov_b32 s2, 0x652b82fe
	s_mov_b32 s3, 0x3ff71547
	;; [unrolled: 1-line block ×10, first 2 shown]
	s_delay_alu instid0(VALU_DEP_1) | instskip(SKIP_4) | instid1(VALU_DEP_3)
	v_mul_f64 v[34:35], v[12:13], s[2:3]
	s_mov_b32 s3, 0xbfe62e42
	s_mov_b32 s2, 0xfefa39ef
	v_cmp_nlt_f64_e32 vcc_lo, 0x40900000, v[12:13]
	v_cmp_ngt_f64_e64 s1, 0xc090cc00, v[12:13]
	v_rndne_f64_e32 v[34:35], v[34:35]
	s_delay_alu instid0(VALU_DEP_1) | instskip(SKIP_2) | instid1(VALU_DEP_2)
	v_fma_f64 v[36:37], v[34:35], s[2:3], v[12:13]
	v_cvt_i32_f64_e32 v54, v[34:35]
	s_mov_b32 s3, 0x3fe62e42
	v_fma_f64 v[36:37], v[34:35], s[4:5], v[36:37]
	s_mov_b32 s5, 0x3c7abc9e
	s_waitcnt lgkmcnt(0)
	s_delay_alu instid0(VALU_DEP_1) | instskip(SKIP_4) | instid1(VALU_DEP_1)
	v_fma_f64 v[48:49], v[36:37], s[18:19], s[16:17]
	s_mov_b32 s16, 0x623fde64
	s_mov_b32 s17, 0x3ec71dee
	;; [unrolled: 1-line block ×4, first 2 shown]
	v_fma_f64 v[48:49], v[36:37], v[48:49], s[16:17]
	s_mov_b32 s16, 0x7c89e6b0
	s_mov_b32 s17, 0x3efa0199
	s_delay_alu instid0(VALU_DEP_1) | instid1(SALU_CYCLE_1)
	v_fma_f64 v[48:49], v[36:37], v[48:49], s[16:17]
	s_mov_b32 s16, 0x14761f6e
	s_mov_b32 s17, 0x3f2a01a0
	s_delay_alu instid0(VALU_DEP_1) | instid1(SALU_CYCLE_1)
	;; [unrolled: 4-line block ×7, first 2 shown]
	v_fma_f64 v[48:49], v[36:37], v[48:49], s[16:17]
	s_mov_b32 s17, 0x3fe55555
	s_mov_b32 s16, 0x55555555
	s_delay_alu instid0(VALU_DEP_1) | instskip(NEXT) | instid1(VALU_DEP_1)
	v_fma_f64 v[48:49], v[36:37], v[48:49], 1.0
	v_fma_f64 v[34:35], v[36:37], v[48:49], 1.0
	s_delay_alu instid0(VALU_DEP_1) | instskip(NEXT) | instid1(VALU_DEP_1)
	v_ldexp_f64 v[34:35], v[34:35], v54
	v_cndmask_b32_e32 v35, 0x7ff00000, v35, vcc_lo
	s_and_b32 vcc_lo, s1, vcc_lo
	s_delay_alu instid0(VALU_DEP_1) | instskip(NEXT) | instid1(VALU_DEP_3)
	v_cndmask_b32_e64 v13, 0, v35, s1
	v_cndmask_b32_e32 v12, 0, v34, vcc_lo
	s_delay_alu instid0(VALU_DEP_1) | instskip(NEXT) | instid1(VALU_DEP_1)
	v_add_f64 v[34:35], v[12:13], 1.0
	v_frexp_mant_f64_e32 v[36:37], v[34:35]
	v_frexp_exp_i32_f64_e32 v54, v[34:35]
	v_add_f64 v[48:49], v[34:35], -1.0
	s_delay_alu instid0(VALU_DEP_3) | instskip(SKIP_1) | instid1(VALU_DEP_2)
	v_cmp_gt_f64_e32 vcc_lo, s[16:17], v[36:37]
	s_mov_b32 s16, 0x55555780
	v_add_f64 v[36:37], v[48:49], -v[34:35]
	v_add_f64 v[48:49], v[12:13], -v[48:49]
	v_subrev_co_ci_u32_e32 v144, vcc_lo, 0, v54, vcc_lo
	s_delay_alu instid0(VALU_DEP_3) | instskip(SKIP_1) | instid1(VALU_DEP_3)
	v_add_f64 v[36:37], v[36:37], 1.0
	v_cmp_eq_f64_e32 vcc_lo, 0x7ff00000, v[12:13]
	v_sub_nc_u32_e32 v96, 0, v144
	s_delay_alu instid0(VALU_DEP_1) | instskip(NEXT) | instid1(VALU_DEP_4)
	v_ldexp_f64 v[34:35], v[34:35], v96
	v_add_f64 v[36:37], v[48:49], v[36:37]
	s_delay_alu instid0(VALU_DEP_2) | instskip(SKIP_1) | instid1(VALU_DEP_3)
	v_add_f64 v[54:55], v[34:35], 1.0
	v_add_f64 v[102:103], v[34:35], -1.0
	v_ldexp_f64 v[36:37], v[36:37], v96
	s_delay_alu instid0(VALU_DEP_3) | instskip(NEXT) | instid1(VALU_DEP_3)
	v_add_f64 v[48:49], v[54:55], -1.0
	v_add_f64 v[112:113], v[102:103], 1.0
	s_delay_alu instid0(VALU_DEP_2) | instskip(NEXT) | instid1(VALU_DEP_2)
	v_add_f64 v[48:49], v[34:35], -v[48:49]
	v_add_f64 v[34:35], v[34:35], -v[112:113]
	s_delay_alu instid0(VALU_DEP_2) | instskip(NEXT) | instid1(VALU_DEP_2)
	v_add_f64 v[48:49], v[36:37], v[48:49]
	v_add_f64 v[34:35], v[36:37], v[34:35]
	s_delay_alu instid0(VALU_DEP_2) | instskip(NEXT) | instid1(VALU_DEP_2)
	v_add_f64 v[96:97], v[54:55], v[48:49]
	v_add_f64 v[112:113], v[102:103], v[34:35]
	s_delay_alu instid0(VALU_DEP_2) | instskip(SKIP_1) | instid1(VALU_DEP_2)
	v_rcp_f64_e32 v[100:101], v[96:97]
	v_add_f64 v[54:55], v[96:97], -v[54:55]
	v_add_f64 v[102:103], v[112:113], -v[102:103]
	s_delay_alu instid0(VALU_DEP_2) | instskip(SKIP_3) | instid1(VALU_DEP_2)
	v_add_f64 v[48:49], v[48:49], -v[54:55]
	s_waitcnt_depctr 0xfff
	v_fma_f64 v[114:115], -v[96:97], v[100:101], 1.0
	v_add_f64 v[34:35], v[34:35], -v[102:103]
	v_fma_f64 v[100:101], v[114:115], v[100:101], v[100:101]
	s_delay_alu instid0(VALU_DEP_1) | instskip(NEXT) | instid1(VALU_DEP_1)
	v_fma_f64 v[36:37], -v[96:97], v[100:101], 1.0
	v_fma_f64 v[36:37], v[36:37], v[100:101], v[100:101]
	s_delay_alu instid0(VALU_DEP_1) | instskip(NEXT) | instid1(VALU_DEP_1)
	v_mul_f64 v[100:101], v[112:113], v[36:37]
	v_mul_f64 v[114:115], v[96:97], v[100:101]
	s_delay_alu instid0(VALU_DEP_1) | instskip(NEXT) | instid1(VALU_DEP_1)
	v_fma_f64 v[54:55], v[100:101], v[96:97], -v[114:115]
	v_fma_f64 v[54:55], v[100:101], v[48:49], v[54:55]
	s_delay_alu instid0(VALU_DEP_1) | instskip(NEXT) | instid1(VALU_DEP_1)
	v_add_f64 v[131:132], v[114:115], v[54:55]
	v_add_f64 v[133:134], v[112:113], -v[131:132]
	v_add_f64 v[102:103], v[131:132], -v[114:115]
	s_delay_alu instid0(VALU_DEP_2) | instskip(NEXT) | instid1(VALU_DEP_2)
	v_add_f64 v[112:113], v[112:113], -v[133:134]
	v_add_f64 v[54:55], v[102:103], -v[54:55]
	s_delay_alu instid0(VALU_DEP_2) | instskip(NEXT) | instid1(VALU_DEP_1)
	v_add_f64 v[112:113], v[112:113], -v[131:132]
	v_add_f64 v[34:35], v[34:35], v[112:113]
	s_delay_alu instid0(VALU_DEP_1) | instskip(NEXT) | instid1(VALU_DEP_1)
	v_add_f64 v[34:35], v[54:55], v[34:35]
	v_add_f64 v[54:55], v[133:134], v[34:35]
	s_delay_alu instid0(VALU_DEP_1) | instskip(SKIP_1) | instid1(VALU_DEP_2)
	v_mul_f64 v[102:103], v[36:37], v[54:55]
	v_add_f64 v[131:132], v[133:134], -v[54:55]
	v_mul_f64 v[112:113], v[96:97], v[102:103]
	s_delay_alu instid0(VALU_DEP_2) | instskip(NEXT) | instid1(VALU_DEP_2)
	v_add_f64 v[34:35], v[34:35], v[131:132]
	v_fma_f64 v[96:97], v[102:103], v[96:97], -v[112:113]
	s_delay_alu instid0(VALU_DEP_1) | instskip(NEXT) | instid1(VALU_DEP_1)
	v_fma_f64 v[48:49], v[102:103], v[48:49], v[96:97]
	v_add_f64 v[96:97], v[112:113], v[48:49]
	s_delay_alu instid0(VALU_DEP_1) | instskip(SKIP_1) | instid1(VALU_DEP_2)
	v_add_f64 v[114:115], v[54:55], -v[96:97]
	v_add_f64 v[112:113], v[96:97], -v[112:113]
	;; [unrolled: 1-line block ×3, first 2 shown]
	s_delay_alu instid0(VALU_DEP_2) | instskip(NEXT) | instid1(VALU_DEP_2)
	v_add_f64 v[48:49], v[112:113], -v[48:49]
	v_add_f64 v[54:55], v[54:55], -v[96:97]
	s_delay_alu instid0(VALU_DEP_1) | instskip(SKIP_1) | instid1(VALU_DEP_2)
	v_add_f64 v[34:35], v[34:35], v[54:55]
	v_add_f64 v[54:55], v[100:101], v[102:103]
	v_add_f64 v[34:35], v[48:49], v[34:35]
	s_delay_alu instid0(VALU_DEP_2) | instskip(NEXT) | instid1(VALU_DEP_2)
	v_add_f64 v[48:49], v[54:55], -v[100:101]
	v_add_f64 v[34:35], v[114:115], v[34:35]
	s_delay_alu instid0(VALU_DEP_2) | instskip(NEXT) | instid1(VALU_DEP_2)
	v_add_f64 v[48:49], v[102:103], -v[48:49]
	v_mul_f64 v[34:35], v[36:37], v[34:35]
	s_delay_alu instid0(VALU_DEP_1) | instskip(NEXT) | instid1(VALU_DEP_1)
	v_add_f64 v[34:35], v[48:49], v[34:35]
	v_add_f64 v[36:37], v[54:55], v[34:35]
	s_delay_alu instid0(VALU_DEP_1) | instskip(NEXT) | instid1(VALU_DEP_1)
	v_mul_f64 v[48:49], v[36:37], v[36:37]
	v_fma_f64 v[96:97], v[48:49], s[20:21], s[18:19]
	s_mov_b32 s18, 0xd7f4df2e
	s_mov_b32 s19, 0x3fc7474d
	v_mul_f64 v[100:101], v[36:37], v[48:49]
	s_delay_alu instid0(VALU_DEP_2)
	v_fma_f64 v[96:97], v[48:49], v[96:97], s[18:19]
	s_mov_b32 s18, 0x16291751
	s_mov_b32 s19, 0x3fcc71c0
	s_delay_alu instid0(VALU_DEP_1) | instid1(SALU_CYCLE_1)
	v_fma_f64 v[96:97], v[48:49], v[96:97], s[18:19]
	s_mov_b32 s18, 0x9b27acf1
	s_mov_b32 s19, 0x3fd24924
	s_delay_alu instid0(VALU_DEP_1) | instid1(SALU_CYCLE_1)
	;; [unrolled: 4-line block ×3, first 2 shown]
	v_fma_f64 v[96:97], v[48:49], v[96:97], s[18:19]
	s_delay_alu instid0(VALU_DEP_1) | instskip(SKIP_2) | instid1(VALU_DEP_3)
	v_fma_f64 v[48:49], v[48:49], v[96:97], s[16:17]
	v_ldexp_f64 v[96:97], v[36:37], 1
	v_add_f64 v[36:37], v[36:37], -v[54:55]
	v_mul_f64 v[48:49], v[100:101], v[48:49]
	v_cvt_f64_i32_e32 v[100:101], v144
	s_delay_alu instid0(VALU_DEP_3) | instskip(NEXT) | instid1(VALU_DEP_3)
	v_add_f64 v[34:35], v[34:35], -v[36:37]
	v_add_f64 v[54:55], v[96:97], v[48:49]
	s_delay_alu instid0(VALU_DEP_3) | instskip(NEXT) | instid1(VALU_DEP_3)
	v_mul_f64 v[102:103], v[100:101], s[2:3]
	v_ldexp_f64 v[34:35], v[34:35], 1
	s_delay_alu instid0(VALU_DEP_3) | instskip(NEXT) | instid1(VALU_DEP_3)
	v_add_f64 v[36:37], v[54:55], -v[96:97]
	v_fma_f64 v[96:97], v[100:101], s[2:3], -v[102:103]
	s_delay_alu instid0(VALU_DEP_2) | instskip(NEXT) | instid1(VALU_DEP_2)
	v_add_f64 v[36:37], v[48:49], -v[36:37]
	v_fma_f64 v[48:49], v[100:101], s[4:5], v[96:97]
	s_delay_alu instid0(VALU_DEP_2) | instskip(NEXT) | instid1(VALU_DEP_2)
	v_add_f64 v[34:35], v[34:35], v[36:37]
	v_add_f64 v[36:37], v[102:103], v[48:49]
	s_delay_alu instid0(VALU_DEP_2) | instskip(NEXT) | instid1(VALU_DEP_2)
	v_add_f64 v[96:97], v[54:55], v[34:35]
	v_add_f64 v[102:103], v[36:37], -v[102:103]
	s_delay_alu instid0(VALU_DEP_2) | instskip(SKIP_1) | instid1(VALU_DEP_3)
	v_add_f64 v[100:101], v[36:37], v[96:97]
	v_add_f64 v[54:55], v[96:97], -v[54:55]
	v_add_f64 v[48:49], v[48:49], -v[102:103]
	s_delay_alu instid0(VALU_DEP_3) | instskip(NEXT) | instid1(VALU_DEP_3)
	v_add_f64 v[112:113], v[100:101], -v[36:37]
	v_add_f64 v[34:35], v[34:35], -v[54:55]
	s_delay_alu instid0(VALU_DEP_2) | instskip(SKIP_1) | instid1(VALU_DEP_3)
	v_add_f64 v[114:115], v[100:101], -v[112:113]
	v_add_f64 v[54:55], v[96:97], -v[112:113]
	v_add_f64 v[96:97], v[48:49], v[34:35]
	s_delay_alu instid0(VALU_DEP_3) | instskip(NEXT) | instid1(VALU_DEP_1)
	v_add_f64 v[36:37], v[36:37], -v[114:115]
	v_add_f64 v[36:37], v[54:55], v[36:37]
	s_delay_alu instid0(VALU_DEP_3) | instskip(NEXT) | instid1(VALU_DEP_2)
	v_add_f64 v[54:55], v[96:97], -v[48:49]
	v_add_f64 v[36:37], v[96:97], v[36:37]
	s_delay_alu instid0(VALU_DEP_2) | instskip(SKIP_1) | instid1(VALU_DEP_3)
	v_add_f64 v[96:97], v[96:97], -v[54:55]
	v_add_f64 v[34:35], v[34:35], -v[54:55]
	v_add_f64 v[102:103], v[100:101], v[36:37]
	s_delay_alu instid0(VALU_DEP_3) | instskip(NEXT) | instid1(VALU_DEP_2)
	v_add_f64 v[48:49], v[48:49], -v[96:97]
	v_add_f64 v[54:55], v[102:103], -v[100:101]
	s_delay_alu instid0(VALU_DEP_2) | instskip(NEXT) | instid1(VALU_DEP_2)
	v_add_f64 v[34:35], v[34:35], v[48:49]
	v_add_f64 v[36:37], v[36:37], -v[54:55]
	s_delay_alu instid0(VALU_DEP_1) | instskip(NEXT) | instid1(VALU_DEP_1)
	v_add_f64 v[34:35], v[34:35], v[36:37]
	v_add_f64 v[34:35], v[102:103], v[34:35]
	s_delay_alu instid0(VALU_DEP_1) | instskip(SKIP_1) | instid1(VALU_DEP_2)
	v_dual_cndmask_b32 v35, v35, v13 :: v_dual_cndmask_b32 v34, v34, v12
	v_cmp_ngt_f64_e32 vcc_lo, -1.0, v[12:13]
	v_cndmask_b32_e32 v35, 0x7ff80000, v35, vcc_lo
	v_cmp_nge_f64_e32 vcc_lo, -1.0, v[12:13]
	s_delay_alu instid0(VALU_DEP_4) | instskip(SKIP_1) | instid1(VALU_DEP_4)
	v_cndmask_b32_e32 v34, 0, v34, vcc_lo
	v_cmp_neq_f64_e32 vcc_lo, -1.0, v[12:13]
	v_cndmask_b32_e32 v35, 0xfff00000, v35, vcc_lo
	s_delay_alu instid0(VALU_DEP_1)
	v_add_f64 v[12:13], v[32:33], v[34:35]
.LBB76_346:
	s_or_b32 exec_lo, exec_lo, s6
	s_delay_alu instid0(VALU_DEP_1) | instskip(SKIP_1) | instid1(VALU_DEP_2)
	v_max_f64 v[32:33], v[12:13], v[12:13]
	v_cmp_u_f64_e32 vcc_lo, v[12:13], v[12:13]
	v_min_f64 v[34:35], v[32:33], v[14:15]
	v_max_f64 v[14:15], v[32:33], v[14:15]
	s_delay_alu instid0(VALU_DEP_2) | instskip(NEXT) | instid1(VALU_DEP_2)
	v_dual_cndmask_b32 v32, v34, v12 :: v_dual_cndmask_b32 v33, v35, v13
	v_dual_cndmask_b32 v15, v15, v13 :: v_dual_cndmask_b32 v14, v14, v12
	s_delay_alu instid0(VALU_DEP_2) | instskip(NEXT) | instid1(VALU_DEP_3)
	v_cndmask_b32_e64 v34, v32, v98, s7
	v_cndmask_b32_e64 v35, v33, v99, s7
	s_delay_alu instid0(VALU_DEP_3) | instskip(NEXT) | instid1(VALU_DEP_4)
	v_cndmask_b32_e64 v33, v15, v99, s7
	v_cndmask_b32_e64 v32, v14, v98, s7
	v_dual_mov_b32 v15, v13 :: v_dual_mov_b32 v14, v12
	s_delay_alu instid0(VALU_DEP_4) | instskip(NEXT) | instid1(VALU_DEP_3)
	v_cmp_class_f64_e64 s1, v[34:35], 0x1f8
	v_cmp_neq_f64_e32 vcc_lo, v[34:35], v[32:33]
	s_delay_alu instid0(VALU_DEP_2) | instskip(NEXT) | instid1(SALU_CYCLE_1)
	s_or_b32 s1, vcc_lo, s1
	s_and_saveexec_b32 s16, s1
	s_cbranch_execz .LBB76_348
; %bb.347:
	v_add_f64 v[14:15], v[34:35], -v[32:33]
	s_mov_b32 s2, 0x652b82fe
	s_mov_b32 s3, 0x3ff71547
	;; [unrolled: 1-line block ×10, first 2 shown]
	s_delay_alu instid0(VALU_DEP_1) | instskip(SKIP_4) | instid1(VALU_DEP_3)
	v_mul_f64 v[34:35], v[14:15], s[2:3]
	s_mov_b32 s3, 0xbfe62e42
	s_mov_b32 s2, 0xfefa39ef
	v_cmp_nlt_f64_e32 vcc_lo, 0x40900000, v[14:15]
	v_cmp_ngt_f64_e64 s1, 0xc090cc00, v[14:15]
	v_rndne_f64_e32 v[34:35], v[34:35]
	s_delay_alu instid0(VALU_DEP_1) | instskip(SKIP_2) | instid1(VALU_DEP_2)
	v_fma_f64 v[36:37], v[34:35], s[2:3], v[14:15]
	v_cvt_i32_f64_e32 v54, v[34:35]
	s_mov_b32 s3, 0x3fe62e42
	v_fma_f64 v[36:37], v[34:35], s[4:5], v[36:37]
	s_mov_b32 s5, 0x3c7abc9e
	s_waitcnt lgkmcnt(0)
	s_delay_alu instid0(VALU_DEP_1) | instskip(SKIP_4) | instid1(VALU_DEP_1)
	v_fma_f64 v[48:49], v[36:37], s[18:19], s[6:7]
	s_mov_b32 s6, 0x623fde64
	s_mov_b32 s7, 0x3ec71dee
	;; [unrolled: 1-line block ×4, first 2 shown]
	v_fma_f64 v[48:49], v[36:37], v[48:49], s[6:7]
	s_mov_b32 s6, 0x7c89e6b0
	s_mov_b32 s7, 0x3efa0199
	s_delay_alu instid0(VALU_DEP_1) | instid1(SALU_CYCLE_1)
	v_fma_f64 v[48:49], v[36:37], v[48:49], s[6:7]
	s_mov_b32 s6, 0x14761f6e
	s_mov_b32 s7, 0x3f2a01a0
	s_delay_alu instid0(VALU_DEP_1) | instid1(SALU_CYCLE_1)
	;; [unrolled: 4-line block ×7, first 2 shown]
	v_fma_f64 v[48:49], v[36:37], v[48:49], s[6:7]
	s_mov_b32 s7, 0x3fe55555
	s_mov_b32 s6, 0x55555555
	s_delay_alu instid0(VALU_DEP_1) | instskip(NEXT) | instid1(VALU_DEP_1)
	v_fma_f64 v[48:49], v[36:37], v[48:49], 1.0
	v_fma_f64 v[34:35], v[36:37], v[48:49], 1.0
	s_delay_alu instid0(VALU_DEP_1) | instskip(NEXT) | instid1(VALU_DEP_1)
	v_ldexp_f64 v[34:35], v[34:35], v54
	v_cndmask_b32_e32 v35, 0x7ff00000, v35, vcc_lo
	s_and_b32 vcc_lo, s1, vcc_lo
	s_delay_alu instid0(VALU_DEP_1) | instskip(NEXT) | instid1(VALU_DEP_3)
	v_cndmask_b32_e64 v15, 0, v35, s1
	v_cndmask_b32_e32 v14, 0, v34, vcc_lo
	s_delay_alu instid0(VALU_DEP_1) | instskip(NEXT) | instid1(VALU_DEP_1)
	v_add_f64 v[34:35], v[14:15], 1.0
	v_frexp_mant_f64_e32 v[36:37], v[34:35]
	v_frexp_exp_i32_f64_e32 v54, v[34:35]
	v_add_f64 v[48:49], v[34:35], -1.0
	s_delay_alu instid0(VALU_DEP_3) | instskip(SKIP_1) | instid1(VALU_DEP_2)
	v_cmp_gt_f64_e32 vcc_lo, s[6:7], v[36:37]
	s_mov_b32 s6, 0x55555780
	v_add_f64 v[36:37], v[48:49], -v[34:35]
	v_add_f64 v[48:49], v[14:15], -v[48:49]
	v_subrev_co_ci_u32_e32 v133, vcc_lo, 0, v54, vcc_lo
	s_delay_alu instid0(VALU_DEP_3) | instskip(SKIP_1) | instid1(VALU_DEP_3)
	v_add_f64 v[36:37], v[36:37], 1.0
	v_cmp_eq_f64_e32 vcc_lo, 0x7ff00000, v[14:15]
	v_sub_nc_u32_e32 v96, 0, v133
	s_delay_alu instid0(VALU_DEP_1) | instskip(NEXT) | instid1(VALU_DEP_4)
	v_ldexp_f64 v[34:35], v[34:35], v96
	v_add_f64 v[36:37], v[48:49], v[36:37]
	s_delay_alu instid0(VALU_DEP_2) | instskip(SKIP_1) | instid1(VALU_DEP_3)
	v_add_f64 v[54:55], v[34:35], 1.0
	v_add_f64 v[100:101], v[34:35], -1.0
	v_ldexp_f64 v[36:37], v[36:37], v96
	s_delay_alu instid0(VALU_DEP_3) | instskip(NEXT) | instid1(VALU_DEP_3)
	v_add_f64 v[48:49], v[54:55], -1.0
	v_add_f64 v[102:103], v[100:101], 1.0
	s_delay_alu instid0(VALU_DEP_2) | instskip(NEXT) | instid1(VALU_DEP_2)
	v_add_f64 v[48:49], v[34:35], -v[48:49]
	v_add_f64 v[34:35], v[34:35], -v[102:103]
	s_delay_alu instid0(VALU_DEP_2) | instskip(NEXT) | instid1(VALU_DEP_2)
	v_add_f64 v[48:49], v[36:37], v[48:49]
	v_add_f64 v[34:35], v[36:37], v[34:35]
	s_delay_alu instid0(VALU_DEP_2) | instskip(NEXT) | instid1(VALU_DEP_2)
	v_add_f64 v[96:97], v[54:55], v[48:49]
	v_add_f64 v[102:103], v[100:101], v[34:35]
	s_delay_alu instid0(VALU_DEP_2) | instskip(SKIP_1) | instid1(VALU_DEP_2)
	v_rcp_f64_e32 v[98:99], v[96:97]
	v_add_f64 v[54:55], v[96:97], -v[54:55]
	v_add_f64 v[100:101], v[102:103], -v[100:101]
	s_delay_alu instid0(VALU_DEP_2) | instskip(SKIP_3) | instid1(VALU_DEP_2)
	v_add_f64 v[48:49], v[48:49], -v[54:55]
	s_waitcnt_depctr 0xfff
	v_fma_f64 v[112:113], -v[96:97], v[98:99], 1.0
	v_add_f64 v[34:35], v[34:35], -v[100:101]
	v_fma_f64 v[98:99], v[112:113], v[98:99], v[98:99]
	s_delay_alu instid0(VALU_DEP_1) | instskip(NEXT) | instid1(VALU_DEP_1)
	v_fma_f64 v[36:37], -v[96:97], v[98:99], 1.0
	v_fma_f64 v[36:37], v[36:37], v[98:99], v[98:99]
	s_delay_alu instid0(VALU_DEP_1) | instskip(NEXT) | instid1(VALU_DEP_1)
	v_mul_f64 v[98:99], v[102:103], v[36:37]
	v_mul_f64 v[112:113], v[96:97], v[98:99]
	s_delay_alu instid0(VALU_DEP_1) | instskip(NEXT) | instid1(VALU_DEP_1)
	v_fma_f64 v[54:55], v[98:99], v[96:97], -v[112:113]
	v_fma_f64 v[54:55], v[98:99], v[48:49], v[54:55]
	s_delay_alu instid0(VALU_DEP_1) | instskip(NEXT) | instid1(VALU_DEP_1)
	v_add_f64 v[114:115], v[112:113], v[54:55]
	v_add_f64 v[131:132], v[102:103], -v[114:115]
	v_add_f64 v[100:101], v[114:115], -v[112:113]
	s_delay_alu instid0(VALU_DEP_2) | instskip(NEXT) | instid1(VALU_DEP_2)
	v_add_f64 v[102:103], v[102:103], -v[131:132]
	v_add_f64 v[54:55], v[100:101], -v[54:55]
	s_delay_alu instid0(VALU_DEP_2) | instskip(NEXT) | instid1(VALU_DEP_1)
	v_add_f64 v[102:103], v[102:103], -v[114:115]
	v_add_f64 v[34:35], v[34:35], v[102:103]
	s_delay_alu instid0(VALU_DEP_1) | instskip(NEXT) | instid1(VALU_DEP_1)
	v_add_f64 v[34:35], v[54:55], v[34:35]
	v_add_f64 v[54:55], v[131:132], v[34:35]
	s_delay_alu instid0(VALU_DEP_1) | instskip(SKIP_1) | instid1(VALU_DEP_2)
	v_mul_f64 v[100:101], v[36:37], v[54:55]
	v_add_f64 v[114:115], v[131:132], -v[54:55]
	v_mul_f64 v[102:103], v[96:97], v[100:101]
	s_delay_alu instid0(VALU_DEP_2) | instskip(NEXT) | instid1(VALU_DEP_2)
	v_add_f64 v[34:35], v[34:35], v[114:115]
	v_fma_f64 v[96:97], v[100:101], v[96:97], -v[102:103]
	s_delay_alu instid0(VALU_DEP_1) | instskip(NEXT) | instid1(VALU_DEP_1)
	v_fma_f64 v[48:49], v[100:101], v[48:49], v[96:97]
	v_add_f64 v[96:97], v[102:103], v[48:49]
	s_delay_alu instid0(VALU_DEP_1) | instskip(SKIP_1) | instid1(VALU_DEP_2)
	v_add_f64 v[112:113], v[54:55], -v[96:97]
	v_add_f64 v[102:103], v[96:97], -v[102:103]
	;; [unrolled: 1-line block ×3, first 2 shown]
	s_delay_alu instid0(VALU_DEP_2) | instskip(NEXT) | instid1(VALU_DEP_2)
	v_add_f64 v[48:49], v[102:103], -v[48:49]
	v_add_f64 v[54:55], v[54:55], -v[96:97]
	s_delay_alu instid0(VALU_DEP_1) | instskip(SKIP_1) | instid1(VALU_DEP_2)
	v_add_f64 v[34:35], v[34:35], v[54:55]
	v_add_f64 v[54:55], v[98:99], v[100:101]
	;; [unrolled: 1-line block ×3, first 2 shown]
	s_delay_alu instid0(VALU_DEP_2) | instskip(NEXT) | instid1(VALU_DEP_2)
	v_add_f64 v[48:49], v[54:55], -v[98:99]
	v_add_f64 v[34:35], v[112:113], v[34:35]
	s_delay_alu instid0(VALU_DEP_2) | instskip(NEXT) | instid1(VALU_DEP_2)
	v_add_f64 v[48:49], v[100:101], -v[48:49]
	v_mul_f64 v[34:35], v[36:37], v[34:35]
	s_delay_alu instid0(VALU_DEP_1) | instskip(NEXT) | instid1(VALU_DEP_1)
	v_add_f64 v[34:35], v[48:49], v[34:35]
	v_add_f64 v[36:37], v[54:55], v[34:35]
	s_delay_alu instid0(VALU_DEP_1) | instskip(NEXT) | instid1(VALU_DEP_1)
	v_mul_f64 v[48:49], v[36:37], v[36:37]
	v_fma_f64 v[96:97], v[48:49], s[20:21], s[18:19]
	s_mov_b32 s18, 0xd7f4df2e
	s_mov_b32 s19, 0x3fc7474d
	v_mul_f64 v[98:99], v[36:37], v[48:49]
	s_delay_alu instid0(VALU_DEP_2)
	v_fma_f64 v[96:97], v[48:49], v[96:97], s[18:19]
	s_mov_b32 s18, 0x16291751
	s_mov_b32 s19, 0x3fcc71c0
	s_delay_alu instid0(VALU_DEP_1) | instid1(SALU_CYCLE_1)
	v_fma_f64 v[96:97], v[48:49], v[96:97], s[18:19]
	s_mov_b32 s18, 0x9b27acf1
	s_mov_b32 s19, 0x3fd24924
	s_delay_alu instid0(VALU_DEP_1) | instid1(SALU_CYCLE_1)
	;; [unrolled: 4-line block ×3, first 2 shown]
	v_fma_f64 v[96:97], v[48:49], v[96:97], s[18:19]
	s_delay_alu instid0(VALU_DEP_1) | instskip(SKIP_2) | instid1(VALU_DEP_3)
	v_fma_f64 v[48:49], v[48:49], v[96:97], s[6:7]
	v_ldexp_f64 v[96:97], v[36:37], 1
	v_add_f64 v[36:37], v[36:37], -v[54:55]
	v_mul_f64 v[48:49], v[98:99], v[48:49]
	v_cvt_f64_i32_e32 v[98:99], v133
	s_delay_alu instid0(VALU_DEP_3) | instskip(NEXT) | instid1(VALU_DEP_3)
	v_add_f64 v[34:35], v[34:35], -v[36:37]
	v_add_f64 v[54:55], v[96:97], v[48:49]
	s_delay_alu instid0(VALU_DEP_3) | instskip(NEXT) | instid1(VALU_DEP_3)
	v_mul_f64 v[100:101], v[98:99], s[2:3]
	v_ldexp_f64 v[34:35], v[34:35], 1
	s_delay_alu instid0(VALU_DEP_3) | instskip(NEXT) | instid1(VALU_DEP_3)
	v_add_f64 v[36:37], v[54:55], -v[96:97]
	v_fma_f64 v[96:97], v[98:99], s[2:3], -v[100:101]
	s_delay_alu instid0(VALU_DEP_2) | instskip(NEXT) | instid1(VALU_DEP_2)
	v_add_f64 v[36:37], v[48:49], -v[36:37]
	v_fma_f64 v[48:49], v[98:99], s[4:5], v[96:97]
	s_delay_alu instid0(VALU_DEP_2) | instskip(NEXT) | instid1(VALU_DEP_2)
	v_add_f64 v[34:35], v[34:35], v[36:37]
	v_add_f64 v[36:37], v[100:101], v[48:49]
	s_delay_alu instid0(VALU_DEP_2) | instskip(NEXT) | instid1(VALU_DEP_2)
	v_add_f64 v[96:97], v[54:55], v[34:35]
	v_add_f64 v[100:101], v[36:37], -v[100:101]
	s_delay_alu instid0(VALU_DEP_2) | instskip(SKIP_1) | instid1(VALU_DEP_3)
	v_add_f64 v[98:99], v[36:37], v[96:97]
	v_add_f64 v[54:55], v[96:97], -v[54:55]
	v_add_f64 v[48:49], v[48:49], -v[100:101]
	s_delay_alu instid0(VALU_DEP_3) | instskip(NEXT) | instid1(VALU_DEP_3)
	v_add_f64 v[102:103], v[98:99], -v[36:37]
	v_add_f64 v[34:35], v[34:35], -v[54:55]
	s_delay_alu instid0(VALU_DEP_2) | instskip(SKIP_1) | instid1(VALU_DEP_3)
	v_add_f64 v[112:113], v[98:99], -v[102:103]
	v_add_f64 v[54:55], v[96:97], -v[102:103]
	v_add_f64 v[96:97], v[48:49], v[34:35]
	s_delay_alu instid0(VALU_DEP_3) | instskip(NEXT) | instid1(VALU_DEP_1)
	v_add_f64 v[36:37], v[36:37], -v[112:113]
	v_add_f64 v[36:37], v[54:55], v[36:37]
	s_delay_alu instid0(VALU_DEP_3) | instskip(NEXT) | instid1(VALU_DEP_2)
	v_add_f64 v[54:55], v[96:97], -v[48:49]
	v_add_f64 v[36:37], v[96:97], v[36:37]
	s_delay_alu instid0(VALU_DEP_2) | instskip(SKIP_1) | instid1(VALU_DEP_3)
	v_add_f64 v[96:97], v[96:97], -v[54:55]
	v_add_f64 v[34:35], v[34:35], -v[54:55]
	v_add_f64 v[100:101], v[98:99], v[36:37]
	s_delay_alu instid0(VALU_DEP_3) | instskip(NEXT) | instid1(VALU_DEP_2)
	v_add_f64 v[48:49], v[48:49], -v[96:97]
	v_add_f64 v[54:55], v[100:101], -v[98:99]
	s_delay_alu instid0(VALU_DEP_2) | instskip(NEXT) | instid1(VALU_DEP_2)
	v_add_f64 v[34:35], v[34:35], v[48:49]
	v_add_f64 v[36:37], v[36:37], -v[54:55]
	s_delay_alu instid0(VALU_DEP_1) | instskip(NEXT) | instid1(VALU_DEP_1)
	v_add_f64 v[34:35], v[34:35], v[36:37]
	v_add_f64 v[34:35], v[100:101], v[34:35]
	s_delay_alu instid0(VALU_DEP_1) | instskip(SKIP_1) | instid1(VALU_DEP_2)
	v_dual_cndmask_b32 v35, v35, v15 :: v_dual_cndmask_b32 v34, v34, v14
	v_cmp_ngt_f64_e32 vcc_lo, -1.0, v[14:15]
	v_cndmask_b32_e32 v35, 0x7ff80000, v35, vcc_lo
	v_cmp_nge_f64_e32 vcc_lo, -1.0, v[14:15]
	s_delay_alu instid0(VALU_DEP_4) | instskip(SKIP_1) | instid1(VALU_DEP_4)
	v_cndmask_b32_e32 v34, 0, v34, vcc_lo
	v_cmp_neq_f64_e32 vcc_lo, -1.0, v[14:15]
	v_cndmask_b32_e32 v35, 0xfff00000, v35, vcc_lo
	s_delay_alu instid0(VALU_DEP_1)
	v_add_f64 v[14:15], v[32:33], v[34:35]
.LBB76_348:
	s_or_b32 exec_lo, exec_lo, s16
	s_delay_alu instid0(VALU_DEP_1) | instskip(SKIP_1) | instid1(VALU_DEP_2)
	v_max_f64 v[32:33], v[14:15], v[14:15]
	v_cmp_u_f64_e32 vcc_lo, v[14:15], v[14:15]
	v_min_f64 v[34:35], v[32:33], v[16:17]
	v_max_f64 v[16:17], v[32:33], v[16:17]
	s_delay_alu instid0(VALU_DEP_2) | instskip(NEXT) | instid1(VALU_DEP_2)
	v_dual_cndmask_b32 v32, v34, v14 :: v_dual_cndmask_b32 v33, v35, v15
	v_dual_cndmask_b32 v17, v17, v15 :: v_dual_cndmask_b32 v16, v16, v14
	s_delay_alu instid0(VALU_DEP_2) | instskip(NEXT) | instid1(VALU_DEP_3)
	v_cndmask_b32_e64 v34, v32, v84, s8
	v_cndmask_b32_e64 v35, v33, v85, s8
	s_delay_alu instid0(VALU_DEP_3) | instskip(NEXT) | instid1(VALU_DEP_4)
	v_cndmask_b32_e64 v33, v17, v85, s8
	v_cndmask_b32_e64 v32, v16, v84, s8
	v_dual_mov_b32 v17, v15 :: v_dual_mov_b32 v16, v14
	s_delay_alu instid0(VALU_DEP_4) | instskip(NEXT) | instid1(VALU_DEP_3)
	v_cmp_class_f64_e64 s1, v[34:35], 0x1f8
	v_cmp_neq_f64_e32 vcc_lo, v[34:35], v[32:33]
	s_delay_alu instid0(VALU_DEP_2) | instskip(NEXT) | instid1(SALU_CYCLE_1)
	s_or_b32 s1, vcc_lo, s1
	s_and_saveexec_b32 s8, s1
	s_cbranch_execz .LBB76_350
; %bb.349:
	v_add_f64 v[16:17], v[34:35], -v[32:33]
	s_mov_b32 s2, 0x652b82fe
	s_mov_b32 s3, 0x3ff71547
	;; [unrolled: 1-line block ×10, first 2 shown]
	s_delay_alu instid0(VALU_DEP_1) | instskip(SKIP_4) | instid1(VALU_DEP_3)
	v_mul_f64 v[34:35], v[16:17], s[2:3]
	s_mov_b32 s3, 0xbfe62e42
	s_mov_b32 s2, 0xfefa39ef
	v_cmp_nlt_f64_e32 vcc_lo, 0x40900000, v[16:17]
	v_cmp_ngt_f64_e64 s1, 0xc090cc00, v[16:17]
	v_rndne_f64_e32 v[34:35], v[34:35]
	s_delay_alu instid0(VALU_DEP_1) | instskip(SKIP_2) | instid1(VALU_DEP_2)
	v_fma_f64 v[36:37], v[34:35], s[2:3], v[16:17]
	v_cvt_i32_f64_e32 v54, v[34:35]
	s_mov_b32 s3, 0x3fe62e42
	v_fma_f64 v[36:37], v[34:35], s[4:5], v[36:37]
	s_mov_b32 s5, 0x3c7abc9e
	s_waitcnt lgkmcnt(0)
	s_delay_alu instid0(VALU_DEP_1) | instskip(SKIP_4) | instid1(VALU_DEP_1)
	v_fma_f64 v[48:49], v[36:37], s[16:17], s[6:7]
	s_mov_b32 s6, 0x623fde64
	s_mov_b32 s7, 0x3ec71dee
	;; [unrolled: 1-line block ×4, first 2 shown]
	v_fma_f64 v[48:49], v[36:37], v[48:49], s[6:7]
	s_mov_b32 s6, 0x7c89e6b0
	s_mov_b32 s7, 0x3efa0199
	s_delay_alu instid0(VALU_DEP_1) | instid1(SALU_CYCLE_1)
	v_fma_f64 v[48:49], v[36:37], v[48:49], s[6:7]
	s_mov_b32 s6, 0x14761f6e
	s_mov_b32 s7, 0x3f2a01a0
	s_delay_alu instid0(VALU_DEP_1) | instid1(SALU_CYCLE_1)
	;; [unrolled: 4-line block ×7, first 2 shown]
	v_fma_f64 v[48:49], v[36:37], v[48:49], s[6:7]
	s_mov_b32 s7, 0x3fe55555
	s_mov_b32 s6, 0x55555555
	s_delay_alu instid0(VALU_DEP_1) | instskip(NEXT) | instid1(VALU_DEP_1)
	v_fma_f64 v[48:49], v[36:37], v[48:49], 1.0
	v_fma_f64 v[34:35], v[36:37], v[48:49], 1.0
	s_delay_alu instid0(VALU_DEP_1) | instskip(NEXT) | instid1(VALU_DEP_1)
	v_ldexp_f64 v[34:35], v[34:35], v54
	v_cndmask_b32_e32 v35, 0x7ff00000, v35, vcc_lo
	s_and_b32 vcc_lo, s1, vcc_lo
	s_delay_alu instid0(VALU_DEP_1) | instskip(NEXT) | instid1(VALU_DEP_3)
	v_cndmask_b32_e64 v17, 0, v35, s1
	v_cndmask_b32_e32 v16, 0, v34, vcc_lo
	s_delay_alu instid0(VALU_DEP_1) | instskip(NEXT) | instid1(VALU_DEP_1)
	v_add_f64 v[34:35], v[16:17], 1.0
	v_frexp_mant_f64_e32 v[36:37], v[34:35]
	v_frexp_exp_i32_f64_e32 v54, v[34:35]
	v_add_f64 v[48:49], v[34:35], -1.0
	s_delay_alu instid0(VALU_DEP_3) | instskip(SKIP_1) | instid1(VALU_DEP_2)
	v_cmp_gt_f64_e32 vcc_lo, s[6:7], v[36:37]
	s_mov_b32 s6, 0x55555780
	v_add_f64 v[36:37], v[48:49], -v[34:35]
	v_add_f64 v[48:49], v[16:17], -v[48:49]
	v_subrev_co_ci_u32_e32 v131, vcc_lo, 0, v54, vcc_lo
	s_delay_alu instid0(VALU_DEP_3) | instskip(SKIP_1) | instid1(VALU_DEP_3)
	v_add_f64 v[36:37], v[36:37], 1.0
	v_cmp_eq_f64_e32 vcc_lo, 0x7ff00000, v[16:17]
	v_sub_nc_u32_e32 v84, 0, v131
	s_delay_alu instid0(VALU_DEP_1) | instskip(NEXT) | instid1(VALU_DEP_4)
	v_ldexp_f64 v[34:35], v[34:35], v84
	v_add_f64 v[36:37], v[48:49], v[36:37]
	s_delay_alu instid0(VALU_DEP_2) | instskip(SKIP_1) | instid1(VALU_DEP_3)
	v_add_f64 v[54:55], v[34:35], 1.0
	v_add_f64 v[98:99], v[34:35], -1.0
	v_ldexp_f64 v[36:37], v[36:37], v84
	s_delay_alu instid0(VALU_DEP_3) | instskip(NEXT) | instid1(VALU_DEP_3)
	v_add_f64 v[48:49], v[54:55], -1.0
	v_add_f64 v[100:101], v[98:99], 1.0
	s_delay_alu instid0(VALU_DEP_2) | instskip(NEXT) | instid1(VALU_DEP_2)
	v_add_f64 v[48:49], v[34:35], -v[48:49]
	v_add_f64 v[34:35], v[34:35], -v[100:101]
	s_delay_alu instid0(VALU_DEP_2) | instskip(NEXT) | instid1(VALU_DEP_2)
	v_add_f64 v[48:49], v[36:37], v[48:49]
	v_add_f64 v[34:35], v[36:37], v[34:35]
	s_delay_alu instid0(VALU_DEP_2) | instskip(NEXT) | instid1(VALU_DEP_2)
	v_add_f64 v[84:85], v[54:55], v[48:49]
	v_add_f64 v[100:101], v[98:99], v[34:35]
	s_delay_alu instid0(VALU_DEP_2) | instskip(SKIP_1) | instid1(VALU_DEP_2)
	v_rcp_f64_e32 v[96:97], v[84:85]
	v_add_f64 v[54:55], v[84:85], -v[54:55]
	v_add_f64 v[98:99], v[100:101], -v[98:99]
	s_delay_alu instid0(VALU_DEP_2) | instskip(SKIP_3) | instid1(VALU_DEP_2)
	v_add_f64 v[48:49], v[48:49], -v[54:55]
	s_waitcnt_depctr 0xfff
	v_fma_f64 v[102:103], -v[84:85], v[96:97], 1.0
	v_add_f64 v[34:35], v[34:35], -v[98:99]
	v_fma_f64 v[96:97], v[102:103], v[96:97], v[96:97]
	s_delay_alu instid0(VALU_DEP_1) | instskip(NEXT) | instid1(VALU_DEP_1)
	v_fma_f64 v[36:37], -v[84:85], v[96:97], 1.0
	v_fma_f64 v[36:37], v[36:37], v[96:97], v[96:97]
	s_delay_alu instid0(VALU_DEP_1) | instskip(NEXT) | instid1(VALU_DEP_1)
	v_mul_f64 v[96:97], v[100:101], v[36:37]
	v_mul_f64 v[102:103], v[84:85], v[96:97]
	s_delay_alu instid0(VALU_DEP_1) | instskip(NEXT) | instid1(VALU_DEP_1)
	v_fma_f64 v[54:55], v[96:97], v[84:85], -v[102:103]
	v_fma_f64 v[54:55], v[96:97], v[48:49], v[54:55]
	s_delay_alu instid0(VALU_DEP_1) | instskip(NEXT) | instid1(VALU_DEP_1)
	v_add_f64 v[112:113], v[102:103], v[54:55]
	v_add_f64 v[114:115], v[100:101], -v[112:113]
	v_add_f64 v[98:99], v[112:113], -v[102:103]
	s_delay_alu instid0(VALU_DEP_2) | instskip(NEXT) | instid1(VALU_DEP_2)
	v_add_f64 v[100:101], v[100:101], -v[114:115]
	v_add_f64 v[54:55], v[98:99], -v[54:55]
	s_delay_alu instid0(VALU_DEP_2) | instskip(NEXT) | instid1(VALU_DEP_1)
	v_add_f64 v[100:101], v[100:101], -v[112:113]
	v_add_f64 v[34:35], v[34:35], v[100:101]
	s_delay_alu instid0(VALU_DEP_1) | instskip(NEXT) | instid1(VALU_DEP_1)
	v_add_f64 v[34:35], v[54:55], v[34:35]
	v_add_f64 v[54:55], v[114:115], v[34:35]
	s_delay_alu instid0(VALU_DEP_1) | instskip(SKIP_1) | instid1(VALU_DEP_2)
	v_mul_f64 v[98:99], v[36:37], v[54:55]
	v_add_f64 v[112:113], v[114:115], -v[54:55]
	v_mul_f64 v[100:101], v[84:85], v[98:99]
	s_delay_alu instid0(VALU_DEP_2) | instskip(NEXT) | instid1(VALU_DEP_2)
	v_add_f64 v[34:35], v[34:35], v[112:113]
	v_fma_f64 v[84:85], v[98:99], v[84:85], -v[100:101]
	s_delay_alu instid0(VALU_DEP_1) | instskip(NEXT) | instid1(VALU_DEP_1)
	v_fma_f64 v[48:49], v[98:99], v[48:49], v[84:85]
	v_add_f64 v[84:85], v[100:101], v[48:49]
	s_delay_alu instid0(VALU_DEP_1) | instskip(SKIP_1) | instid1(VALU_DEP_2)
	v_add_f64 v[102:103], v[54:55], -v[84:85]
	v_add_f64 v[100:101], v[84:85], -v[100:101]
	;; [unrolled: 1-line block ×3, first 2 shown]
	s_delay_alu instid0(VALU_DEP_2) | instskip(NEXT) | instid1(VALU_DEP_2)
	v_add_f64 v[48:49], v[100:101], -v[48:49]
	v_add_f64 v[54:55], v[54:55], -v[84:85]
	s_delay_alu instid0(VALU_DEP_1) | instskip(SKIP_1) | instid1(VALU_DEP_2)
	v_add_f64 v[34:35], v[34:35], v[54:55]
	v_add_f64 v[54:55], v[96:97], v[98:99]
	;; [unrolled: 1-line block ×3, first 2 shown]
	s_delay_alu instid0(VALU_DEP_2) | instskip(NEXT) | instid1(VALU_DEP_2)
	v_add_f64 v[48:49], v[54:55], -v[96:97]
	v_add_f64 v[34:35], v[102:103], v[34:35]
	s_delay_alu instid0(VALU_DEP_2) | instskip(NEXT) | instid1(VALU_DEP_2)
	v_add_f64 v[48:49], v[98:99], -v[48:49]
	v_mul_f64 v[34:35], v[36:37], v[34:35]
	s_delay_alu instid0(VALU_DEP_1) | instskip(NEXT) | instid1(VALU_DEP_1)
	v_add_f64 v[34:35], v[48:49], v[34:35]
	v_add_f64 v[36:37], v[54:55], v[34:35]
	s_delay_alu instid0(VALU_DEP_1) | instskip(NEXT) | instid1(VALU_DEP_1)
	v_mul_f64 v[48:49], v[36:37], v[36:37]
	v_fma_f64 v[84:85], v[48:49], s[18:19], s[16:17]
	s_mov_b32 s16, 0xd7f4df2e
	s_mov_b32 s17, 0x3fc7474d
	v_mul_f64 v[96:97], v[36:37], v[48:49]
	s_delay_alu instid0(VALU_DEP_2)
	v_fma_f64 v[84:85], v[48:49], v[84:85], s[16:17]
	s_mov_b32 s16, 0x16291751
	s_mov_b32 s17, 0x3fcc71c0
	s_delay_alu instid0(VALU_DEP_1) | instid1(SALU_CYCLE_1)
	v_fma_f64 v[84:85], v[48:49], v[84:85], s[16:17]
	s_mov_b32 s16, 0x9b27acf1
	s_mov_b32 s17, 0x3fd24924
	s_delay_alu instid0(VALU_DEP_1) | instid1(SALU_CYCLE_1)
	;; [unrolled: 4-line block ×3, first 2 shown]
	v_fma_f64 v[84:85], v[48:49], v[84:85], s[16:17]
	s_delay_alu instid0(VALU_DEP_1) | instskip(SKIP_2) | instid1(VALU_DEP_3)
	v_fma_f64 v[48:49], v[48:49], v[84:85], s[6:7]
	v_ldexp_f64 v[84:85], v[36:37], 1
	v_add_f64 v[36:37], v[36:37], -v[54:55]
	v_mul_f64 v[48:49], v[96:97], v[48:49]
	v_cvt_f64_i32_e32 v[96:97], v131
	s_delay_alu instid0(VALU_DEP_3) | instskip(NEXT) | instid1(VALU_DEP_3)
	v_add_f64 v[34:35], v[34:35], -v[36:37]
	v_add_f64 v[54:55], v[84:85], v[48:49]
	s_delay_alu instid0(VALU_DEP_3) | instskip(NEXT) | instid1(VALU_DEP_3)
	v_mul_f64 v[98:99], v[96:97], s[2:3]
	v_ldexp_f64 v[34:35], v[34:35], 1
	s_delay_alu instid0(VALU_DEP_3) | instskip(NEXT) | instid1(VALU_DEP_3)
	v_add_f64 v[36:37], v[54:55], -v[84:85]
	v_fma_f64 v[84:85], v[96:97], s[2:3], -v[98:99]
	s_delay_alu instid0(VALU_DEP_2) | instskip(NEXT) | instid1(VALU_DEP_2)
	v_add_f64 v[36:37], v[48:49], -v[36:37]
	v_fma_f64 v[48:49], v[96:97], s[4:5], v[84:85]
	s_delay_alu instid0(VALU_DEP_2) | instskip(NEXT) | instid1(VALU_DEP_2)
	v_add_f64 v[34:35], v[34:35], v[36:37]
	v_add_f64 v[36:37], v[98:99], v[48:49]
	s_delay_alu instid0(VALU_DEP_2) | instskip(NEXT) | instid1(VALU_DEP_2)
	v_add_f64 v[84:85], v[54:55], v[34:35]
	v_add_f64 v[98:99], v[36:37], -v[98:99]
	s_delay_alu instid0(VALU_DEP_2) | instskip(SKIP_1) | instid1(VALU_DEP_3)
	v_add_f64 v[96:97], v[36:37], v[84:85]
	v_add_f64 v[54:55], v[84:85], -v[54:55]
	v_add_f64 v[48:49], v[48:49], -v[98:99]
	s_delay_alu instid0(VALU_DEP_3) | instskip(NEXT) | instid1(VALU_DEP_3)
	v_add_f64 v[100:101], v[96:97], -v[36:37]
	v_add_f64 v[34:35], v[34:35], -v[54:55]
	s_delay_alu instid0(VALU_DEP_2) | instskip(SKIP_1) | instid1(VALU_DEP_3)
	v_add_f64 v[102:103], v[96:97], -v[100:101]
	v_add_f64 v[54:55], v[84:85], -v[100:101]
	v_add_f64 v[84:85], v[48:49], v[34:35]
	s_delay_alu instid0(VALU_DEP_3) | instskip(NEXT) | instid1(VALU_DEP_1)
	v_add_f64 v[36:37], v[36:37], -v[102:103]
	v_add_f64 v[36:37], v[54:55], v[36:37]
	s_delay_alu instid0(VALU_DEP_3) | instskip(NEXT) | instid1(VALU_DEP_2)
	v_add_f64 v[54:55], v[84:85], -v[48:49]
	v_add_f64 v[36:37], v[84:85], v[36:37]
	s_delay_alu instid0(VALU_DEP_2) | instskip(SKIP_1) | instid1(VALU_DEP_3)
	v_add_f64 v[84:85], v[84:85], -v[54:55]
	v_add_f64 v[34:35], v[34:35], -v[54:55]
	v_add_f64 v[98:99], v[96:97], v[36:37]
	s_delay_alu instid0(VALU_DEP_3) | instskip(NEXT) | instid1(VALU_DEP_2)
	v_add_f64 v[48:49], v[48:49], -v[84:85]
	v_add_f64 v[54:55], v[98:99], -v[96:97]
	s_delay_alu instid0(VALU_DEP_2) | instskip(NEXT) | instid1(VALU_DEP_2)
	v_add_f64 v[34:35], v[34:35], v[48:49]
	v_add_f64 v[36:37], v[36:37], -v[54:55]
	s_delay_alu instid0(VALU_DEP_1) | instskip(NEXT) | instid1(VALU_DEP_1)
	v_add_f64 v[34:35], v[34:35], v[36:37]
	v_add_f64 v[34:35], v[98:99], v[34:35]
	s_delay_alu instid0(VALU_DEP_1) | instskip(SKIP_1) | instid1(VALU_DEP_2)
	v_dual_cndmask_b32 v35, v35, v17 :: v_dual_cndmask_b32 v34, v34, v16
	v_cmp_ngt_f64_e32 vcc_lo, -1.0, v[16:17]
	v_cndmask_b32_e32 v35, 0x7ff80000, v35, vcc_lo
	v_cmp_nge_f64_e32 vcc_lo, -1.0, v[16:17]
	s_delay_alu instid0(VALU_DEP_4) | instskip(SKIP_1) | instid1(VALU_DEP_4)
	v_cndmask_b32_e32 v34, 0, v34, vcc_lo
	v_cmp_neq_f64_e32 vcc_lo, -1.0, v[16:17]
	v_cndmask_b32_e32 v35, 0xfff00000, v35, vcc_lo
	s_delay_alu instid0(VALU_DEP_1)
	v_add_f64 v[16:17], v[32:33], v[34:35]
.LBB76_350:
	s_or_b32 exec_lo, exec_lo, s8
	s_delay_alu instid0(VALU_DEP_1) | instskip(SKIP_1) | instid1(VALU_DEP_2)
	v_max_f64 v[32:33], v[16:17], v[16:17]
	v_cmp_u_f64_e32 vcc_lo, v[16:17], v[16:17]
	v_min_f64 v[34:35], v[32:33], v[18:19]
	v_max_f64 v[18:19], v[32:33], v[18:19]
	s_delay_alu instid0(VALU_DEP_2) | instskip(NEXT) | instid1(VALU_DEP_2)
	v_dual_cndmask_b32 v32, v34, v16 :: v_dual_cndmask_b32 v33, v35, v17
	v_dual_cndmask_b32 v19, v19, v17 :: v_dual_cndmask_b32 v18, v18, v16
	s_delay_alu instid0(VALU_DEP_2) | instskip(NEXT) | instid1(VALU_DEP_3)
	v_cndmask_b32_e64 v34, v32, v86, s9
	v_cndmask_b32_e64 v35, v33, v87, s9
	s_delay_alu instid0(VALU_DEP_3) | instskip(NEXT) | instid1(VALU_DEP_4)
	v_cndmask_b32_e64 v33, v19, v87, s9
	v_cndmask_b32_e64 v32, v18, v86, s9
	v_dual_mov_b32 v19, v17 :: v_dual_mov_b32 v18, v16
	s_delay_alu instid0(VALU_DEP_4) | instskip(NEXT) | instid1(VALU_DEP_3)
	v_cmp_class_f64_e64 s1, v[34:35], 0x1f8
	v_cmp_neq_f64_e32 vcc_lo, v[34:35], v[32:33]
	s_delay_alu instid0(VALU_DEP_2) | instskip(NEXT) | instid1(SALU_CYCLE_1)
	s_or_b32 s1, vcc_lo, s1
	s_and_saveexec_b32 s8, s1
	s_cbranch_execz .LBB76_352
; %bb.351:
	v_add_f64 v[18:19], v[34:35], -v[32:33]
	s_mov_b32 s2, 0x652b82fe
	s_mov_b32 s3, 0x3ff71547
	;; [unrolled: 1-line block ×10, first 2 shown]
	s_delay_alu instid0(VALU_DEP_1) | instskip(SKIP_4) | instid1(VALU_DEP_3)
	v_mul_f64 v[34:35], v[18:19], s[2:3]
	s_mov_b32 s3, 0xbfe62e42
	s_mov_b32 s2, 0xfefa39ef
	v_cmp_nlt_f64_e32 vcc_lo, 0x40900000, v[18:19]
	v_cmp_ngt_f64_e64 s1, 0xc090cc00, v[18:19]
	v_rndne_f64_e32 v[34:35], v[34:35]
	s_delay_alu instid0(VALU_DEP_1) | instskip(SKIP_2) | instid1(VALU_DEP_2)
	v_fma_f64 v[36:37], v[34:35], s[2:3], v[18:19]
	v_cvt_i32_f64_e32 v54, v[34:35]
	s_mov_b32 s3, 0x3fe62e42
	v_fma_f64 v[36:37], v[34:35], s[4:5], v[36:37]
	s_mov_b32 s5, 0x3c7abc9e
	s_waitcnt lgkmcnt(0)
	s_delay_alu instid0(VALU_DEP_1) | instskip(SKIP_4) | instid1(VALU_DEP_1)
	v_fma_f64 v[48:49], v[36:37], s[16:17], s[6:7]
	s_mov_b32 s6, 0x623fde64
	s_mov_b32 s7, 0x3ec71dee
	;; [unrolled: 1-line block ×4, first 2 shown]
	v_fma_f64 v[48:49], v[36:37], v[48:49], s[6:7]
	s_mov_b32 s6, 0x7c89e6b0
	s_mov_b32 s7, 0x3efa0199
	s_delay_alu instid0(VALU_DEP_1) | instid1(SALU_CYCLE_1)
	v_fma_f64 v[48:49], v[36:37], v[48:49], s[6:7]
	s_mov_b32 s6, 0x14761f6e
	s_mov_b32 s7, 0x3f2a01a0
	s_delay_alu instid0(VALU_DEP_1) | instid1(SALU_CYCLE_1)
	;; [unrolled: 4-line block ×7, first 2 shown]
	v_fma_f64 v[48:49], v[36:37], v[48:49], s[6:7]
	s_mov_b32 s7, 0x3fe55555
	s_mov_b32 s6, 0x55555555
	s_delay_alu instid0(VALU_DEP_1) | instskip(NEXT) | instid1(VALU_DEP_1)
	v_fma_f64 v[48:49], v[36:37], v[48:49], 1.0
	v_fma_f64 v[34:35], v[36:37], v[48:49], 1.0
	s_delay_alu instid0(VALU_DEP_1) | instskip(NEXT) | instid1(VALU_DEP_1)
	v_ldexp_f64 v[34:35], v[34:35], v54
	v_cndmask_b32_e32 v35, 0x7ff00000, v35, vcc_lo
	s_and_b32 vcc_lo, s1, vcc_lo
	s_delay_alu instid0(VALU_DEP_1) | instskip(NEXT) | instid1(VALU_DEP_3)
	v_cndmask_b32_e64 v19, 0, v35, s1
	v_cndmask_b32_e32 v18, 0, v34, vcc_lo
	s_delay_alu instid0(VALU_DEP_1) | instskip(NEXT) | instid1(VALU_DEP_1)
	v_add_f64 v[34:35], v[18:19], 1.0
	v_frexp_mant_f64_e32 v[36:37], v[34:35]
	v_frexp_exp_i32_f64_e32 v54, v[34:35]
	v_add_f64 v[48:49], v[34:35], -1.0
	s_delay_alu instid0(VALU_DEP_3) | instskip(SKIP_1) | instid1(VALU_DEP_2)
	v_cmp_gt_f64_e32 vcc_lo, s[6:7], v[36:37]
	s_mov_b32 s6, 0x55555780
	v_add_f64 v[36:37], v[48:49], -v[34:35]
	v_add_f64 v[48:49], v[18:19], -v[48:49]
	v_subrev_co_ci_u32_e32 v114, vcc_lo, 0, v54, vcc_lo
	s_delay_alu instid0(VALU_DEP_3) | instskip(SKIP_1) | instid1(VALU_DEP_3)
	v_add_f64 v[36:37], v[36:37], 1.0
	v_cmp_eq_f64_e32 vcc_lo, 0x7ff00000, v[18:19]
	v_sub_nc_u32_e32 v84, 0, v114
	s_delay_alu instid0(VALU_DEP_1) | instskip(NEXT) | instid1(VALU_DEP_4)
	v_ldexp_f64 v[34:35], v[34:35], v84
	v_add_f64 v[36:37], v[48:49], v[36:37]
	s_delay_alu instid0(VALU_DEP_2) | instskip(SKIP_1) | instid1(VALU_DEP_3)
	v_add_f64 v[54:55], v[34:35], 1.0
	v_add_f64 v[96:97], v[34:35], -1.0
	v_ldexp_f64 v[36:37], v[36:37], v84
	s_delay_alu instid0(VALU_DEP_3) | instskip(NEXT) | instid1(VALU_DEP_3)
	v_add_f64 v[48:49], v[54:55], -1.0
	v_add_f64 v[98:99], v[96:97], 1.0
	s_delay_alu instid0(VALU_DEP_2) | instskip(NEXT) | instid1(VALU_DEP_2)
	v_add_f64 v[48:49], v[34:35], -v[48:49]
	v_add_f64 v[34:35], v[34:35], -v[98:99]
	s_delay_alu instid0(VALU_DEP_2) | instskip(NEXT) | instid1(VALU_DEP_2)
	v_add_f64 v[48:49], v[36:37], v[48:49]
	v_add_f64 v[34:35], v[36:37], v[34:35]
	s_delay_alu instid0(VALU_DEP_2) | instskip(NEXT) | instid1(VALU_DEP_2)
	v_add_f64 v[84:85], v[54:55], v[48:49]
	v_add_f64 v[98:99], v[96:97], v[34:35]
	s_delay_alu instid0(VALU_DEP_2) | instskip(SKIP_1) | instid1(VALU_DEP_2)
	v_rcp_f64_e32 v[86:87], v[84:85]
	v_add_f64 v[54:55], v[84:85], -v[54:55]
	v_add_f64 v[96:97], v[98:99], -v[96:97]
	s_delay_alu instid0(VALU_DEP_2) | instskip(SKIP_3) | instid1(VALU_DEP_2)
	v_add_f64 v[48:49], v[48:49], -v[54:55]
	s_waitcnt_depctr 0xfff
	v_fma_f64 v[100:101], -v[84:85], v[86:87], 1.0
	v_add_f64 v[34:35], v[34:35], -v[96:97]
	v_fma_f64 v[86:87], v[100:101], v[86:87], v[86:87]
	s_delay_alu instid0(VALU_DEP_1) | instskip(NEXT) | instid1(VALU_DEP_1)
	v_fma_f64 v[36:37], -v[84:85], v[86:87], 1.0
	v_fma_f64 v[36:37], v[36:37], v[86:87], v[86:87]
	s_delay_alu instid0(VALU_DEP_1) | instskip(NEXT) | instid1(VALU_DEP_1)
	v_mul_f64 v[86:87], v[98:99], v[36:37]
	v_mul_f64 v[100:101], v[84:85], v[86:87]
	s_delay_alu instid0(VALU_DEP_1) | instskip(NEXT) | instid1(VALU_DEP_1)
	v_fma_f64 v[54:55], v[86:87], v[84:85], -v[100:101]
	v_fma_f64 v[54:55], v[86:87], v[48:49], v[54:55]
	s_delay_alu instid0(VALU_DEP_1) | instskip(NEXT) | instid1(VALU_DEP_1)
	v_add_f64 v[102:103], v[100:101], v[54:55]
	v_add_f64 v[112:113], v[98:99], -v[102:103]
	v_add_f64 v[96:97], v[102:103], -v[100:101]
	s_delay_alu instid0(VALU_DEP_2) | instskip(NEXT) | instid1(VALU_DEP_2)
	v_add_f64 v[98:99], v[98:99], -v[112:113]
	v_add_f64 v[54:55], v[96:97], -v[54:55]
	s_delay_alu instid0(VALU_DEP_2) | instskip(NEXT) | instid1(VALU_DEP_1)
	v_add_f64 v[98:99], v[98:99], -v[102:103]
	v_add_f64 v[34:35], v[34:35], v[98:99]
	s_delay_alu instid0(VALU_DEP_1) | instskip(NEXT) | instid1(VALU_DEP_1)
	v_add_f64 v[34:35], v[54:55], v[34:35]
	v_add_f64 v[54:55], v[112:113], v[34:35]
	s_delay_alu instid0(VALU_DEP_1) | instskip(SKIP_1) | instid1(VALU_DEP_2)
	v_mul_f64 v[96:97], v[36:37], v[54:55]
	v_add_f64 v[102:103], v[112:113], -v[54:55]
	v_mul_f64 v[98:99], v[84:85], v[96:97]
	s_delay_alu instid0(VALU_DEP_2) | instskip(NEXT) | instid1(VALU_DEP_2)
	v_add_f64 v[34:35], v[34:35], v[102:103]
	v_fma_f64 v[84:85], v[96:97], v[84:85], -v[98:99]
	s_delay_alu instid0(VALU_DEP_1) | instskip(NEXT) | instid1(VALU_DEP_1)
	v_fma_f64 v[48:49], v[96:97], v[48:49], v[84:85]
	v_add_f64 v[84:85], v[98:99], v[48:49]
	s_delay_alu instid0(VALU_DEP_1) | instskip(SKIP_1) | instid1(VALU_DEP_2)
	v_add_f64 v[100:101], v[54:55], -v[84:85]
	v_add_f64 v[98:99], v[84:85], -v[98:99]
	;; [unrolled: 1-line block ×3, first 2 shown]
	s_delay_alu instid0(VALU_DEP_2) | instskip(NEXT) | instid1(VALU_DEP_2)
	v_add_f64 v[48:49], v[98:99], -v[48:49]
	v_add_f64 v[54:55], v[54:55], -v[84:85]
	s_delay_alu instid0(VALU_DEP_1) | instskip(SKIP_1) | instid1(VALU_DEP_2)
	v_add_f64 v[34:35], v[34:35], v[54:55]
	v_add_f64 v[54:55], v[86:87], v[96:97]
	;; [unrolled: 1-line block ×3, first 2 shown]
	s_delay_alu instid0(VALU_DEP_2) | instskip(NEXT) | instid1(VALU_DEP_2)
	v_add_f64 v[48:49], v[54:55], -v[86:87]
	v_add_f64 v[34:35], v[100:101], v[34:35]
	s_delay_alu instid0(VALU_DEP_2) | instskip(NEXT) | instid1(VALU_DEP_2)
	v_add_f64 v[48:49], v[96:97], -v[48:49]
	v_mul_f64 v[34:35], v[36:37], v[34:35]
	s_delay_alu instid0(VALU_DEP_1) | instskip(NEXT) | instid1(VALU_DEP_1)
	v_add_f64 v[34:35], v[48:49], v[34:35]
	v_add_f64 v[36:37], v[54:55], v[34:35]
	s_delay_alu instid0(VALU_DEP_1) | instskip(NEXT) | instid1(VALU_DEP_1)
	v_mul_f64 v[48:49], v[36:37], v[36:37]
	v_fma_f64 v[84:85], v[48:49], s[18:19], s[16:17]
	s_mov_b32 s16, 0xd7f4df2e
	s_mov_b32 s17, 0x3fc7474d
	v_mul_f64 v[86:87], v[36:37], v[48:49]
	s_delay_alu instid0(VALU_DEP_2)
	v_fma_f64 v[84:85], v[48:49], v[84:85], s[16:17]
	s_mov_b32 s16, 0x16291751
	s_mov_b32 s17, 0x3fcc71c0
	s_delay_alu instid0(VALU_DEP_1) | instid1(SALU_CYCLE_1)
	v_fma_f64 v[84:85], v[48:49], v[84:85], s[16:17]
	s_mov_b32 s16, 0x9b27acf1
	s_mov_b32 s17, 0x3fd24924
	s_delay_alu instid0(VALU_DEP_1) | instid1(SALU_CYCLE_1)
	;; [unrolled: 4-line block ×3, first 2 shown]
	v_fma_f64 v[84:85], v[48:49], v[84:85], s[16:17]
	s_delay_alu instid0(VALU_DEP_1) | instskip(SKIP_2) | instid1(VALU_DEP_3)
	v_fma_f64 v[48:49], v[48:49], v[84:85], s[6:7]
	v_ldexp_f64 v[84:85], v[36:37], 1
	v_add_f64 v[36:37], v[36:37], -v[54:55]
	v_mul_f64 v[48:49], v[86:87], v[48:49]
	v_cvt_f64_i32_e32 v[86:87], v114
	s_delay_alu instid0(VALU_DEP_3) | instskip(NEXT) | instid1(VALU_DEP_3)
	v_add_f64 v[34:35], v[34:35], -v[36:37]
	v_add_f64 v[54:55], v[84:85], v[48:49]
	s_delay_alu instid0(VALU_DEP_3) | instskip(NEXT) | instid1(VALU_DEP_3)
	v_mul_f64 v[96:97], v[86:87], s[2:3]
	v_ldexp_f64 v[34:35], v[34:35], 1
	s_delay_alu instid0(VALU_DEP_3) | instskip(NEXT) | instid1(VALU_DEP_3)
	v_add_f64 v[36:37], v[54:55], -v[84:85]
	v_fma_f64 v[84:85], v[86:87], s[2:3], -v[96:97]
	s_delay_alu instid0(VALU_DEP_2) | instskip(NEXT) | instid1(VALU_DEP_2)
	v_add_f64 v[36:37], v[48:49], -v[36:37]
	v_fma_f64 v[48:49], v[86:87], s[4:5], v[84:85]
	s_delay_alu instid0(VALU_DEP_2) | instskip(NEXT) | instid1(VALU_DEP_2)
	v_add_f64 v[34:35], v[34:35], v[36:37]
	v_add_f64 v[36:37], v[96:97], v[48:49]
	s_delay_alu instid0(VALU_DEP_2) | instskip(NEXT) | instid1(VALU_DEP_2)
	v_add_f64 v[84:85], v[54:55], v[34:35]
	v_add_f64 v[96:97], v[36:37], -v[96:97]
	s_delay_alu instid0(VALU_DEP_2) | instskip(SKIP_1) | instid1(VALU_DEP_3)
	v_add_f64 v[86:87], v[36:37], v[84:85]
	v_add_f64 v[54:55], v[84:85], -v[54:55]
	v_add_f64 v[48:49], v[48:49], -v[96:97]
	s_delay_alu instid0(VALU_DEP_3) | instskip(NEXT) | instid1(VALU_DEP_3)
	v_add_f64 v[98:99], v[86:87], -v[36:37]
	v_add_f64 v[34:35], v[34:35], -v[54:55]
	s_delay_alu instid0(VALU_DEP_2) | instskip(SKIP_1) | instid1(VALU_DEP_3)
	v_add_f64 v[100:101], v[86:87], -v[98:99]
	v_add_f64 v[54:55], v[84:85], -v[98:99]
	v_add_f64 v[84:85], v[48:49], v[34:35]
	s_delay_alu instid0(VALU_DEP_3) | instskip(NEXT) | instid1(VALU_DEP_1)
	v_add_f64 v[36:37], v[36:37], -v[100:101]
	v_add_f64 v[36:37], v[54:55], v[36:37]
	s_delay_alu instid0(VALU_DEP_3) | instskip(NEXT) | instid1(VALU_DEP_2)
	v_add_f64 v[54:55], v[84:85], -v[48:49]
	v_add_f64 v[36:37], v[84:85], v[36:37]
	s_delay_alu instid0(VALU_DEP_2) | instskip(SKIP_1) | instid1(VALU_DEP_3)
	v_add_f64 v[84:85], v[84:85], -v[54:55]
	v_add_f64 v[34:35], v[34:35], -v[54:55]
	v_add_f64 v[96:97], v[86:87], v[36:37]
	s_delay_alu instid0(VALU_DEP_3) | instskip(NEXT) | instid1(VALU_DEP_2)
	v_add_f64 v[48:49], v[48:49], -v[84:85]
	v_add_f64 v[54:55], v[96:97], -v[86:87]
	s_delay_alu instid0(VALU_DEP_2) | instskip(NEXT) | instid1(VALU_DEP_2)
	v_add_f64 v[34:35], v[34:35], v[48:49]
	v_add_f64 v[36:37], v[36:37], -v[54:55]
	s_delay_alu instid0(VALU_DEP_1) | instskip(NEXT) | instid1(VALU_DEP_1)
	v_add_f64 v[34:35], v[34:35], v[36:37]
	v_add_f64 v[34:35], v[96:97], v[34:35]
	s_delay_alu instid0(VALU_DEP_1) | instskip(SKIP_1) | instid1(VALU_DEP_2)
	v_dual_cndmask_b32 v35, v35, v19 :: v_dual_cndmask_b32 v34, v34, v18
	v_cmp_ngt_f64_e32 vcc_lo, -1.0, v[18:19]
	v_cndmask_b32_e32 v35, 0x7ff80000, v35, vcc_lo
	v_cmp_nge_f64_e32 vcc_lo, -1.0, v[18:19]
	s_delay_alu instid0(VALU_DEP_4) | instskip(SKIP_1) | instid1(VALU_DEP_4)
	v_cndmask_b32_e32 v34, 0, v34, vcc_lo
	v_cmp_neq_f64_e32 vcc_lo, -1.0, v[18:19]
	v_cndmask_b32_e32 v35, 0xfff00000, v35, vcc_lo
	s_delay_alu instid0(VALU_DEP_1)
	v_add_f64 v[18:19], v[32:33], v[34:35]
.LBB76_352:
	s_or_b32 exec_lo, exec_lo, s8
	s_delay_alu instid0(VALU_DEP_1) | instskip(SKIP_1) | instid1(VALU_DEP_2)
	v_max_f64 v[32:33], v[18:19], v[18:19]
	v_cmp_u_f64_e32 vcc_lo, v[18:19], v[18:19]
	v_min_f64 v[34:35], v[32:33], v[20:21]
	v_max_f64 v[20:21], v[32:33], v[20:21]
	s_delay_alu instid0(VALU_DEP_2) | instskip(NEXT) | instid1(VALU_DEP_2)
	v_dual_cndmask_b32 v32, v34, v18 :: v_dual_cndmask_b32 v33, v35, v19
	v_dual_cndmask_b32 v21, v21, v19 :: v_dual_cndmask_b32 v20, v20, v18
	s_delay_alu instid0(VALU_DEP_2) | instskip(NEXT) | instid1(VALU_DEP_3)
	v_cndmask_b32_e64 v34, v32, v80, s10
	v_cndmask_b32_e64 v35, v33, v81, s10
	s_delay_alu instid0(VALU_DEP_3) | instskip(NEXT) | instid1(VALU_DEP_4)
	v_cndmask_b32_e64 v33, v21, v81, s10
	v_cndmask_b32_e64 v32, v20, v80, s10
	v_dual_mov_b32 v21, v19 :: v_dual_mov_b32 v20, v18
	s_delay_alu instid0(VALU_DEP_4) | instskip(NEXT) | instid1(VALU_DEP_3)
	v_cmp_class_f64_e64 s1, v[34:35], 0x1f8
	v_cmp_neq_f64_e32 vcc_lo, v[34:35], v[32:33]
	s_delay_alu instid0(VALU_DEP_2) | instskip(NEXT) | instid1(SALU_CYCLE_1)
	s_or_b32 s1, vcc_lo, s1
	s_and_saveexec_b32 s8, s1
	s_cbranch_execz .LBB76_354
; %bb.353:
	v_add_f64 v[20:21], v[34:35], -v[32:33]
	s_mov_b32 s2, 0x652b82fe
	s_mov_b32 s3, 0x3ff71547
	;; [unrolled: 1-line block ×10, first 2 shown]
	s_delay_alu instid0(VALU_DEP_1) | instskip(SKIP_4) | instid1(VALU_DEP_3)
	v_mul_f64 v[34:35], v[20:21], s[2:3]
	s_mov_b32 s3, 0xbfe62e42
	s_mov_b32 s2, 0xfefa39ef
	v_cmp_nlt_f64_e32 vcc_lo, 0x40900000, v[20:21]
	v_cmp_ngt_f64_e64 s1, 0xc090cc00, v[20:21]
	v_rndne_f64_e32 v[34:35], v[34:35]
	s_delay_alu instid0(VALU_DEP_1) | instskip(SKIP_2) | instid1(VALU_DEP_2)
	v_fma_f64 v[36:37], v[34:35], s[2:3], v[20:21]
	v_cvt_i32_f64_e32 v54, v[34:35]
	s_mov_b32 s3, 0x3fe62e42
	v_fma_f64 v[36:37], v[34:35], s[4:5], v[36:37]
	s_mov_b32 s5, 0x3c7abc9e
	s_waitcnt lgkmcnt(0)
	s_delay_alu instid0(VALU_DEP_1) | instskip(SKIP_4) | instid1(VALU_DEP_1)
	v_fma_f64 v[48:49], v[36:37], s[16:17], s[6:7]
	s_mov_b32 s6, 0x623fde64
	s_mov_b32 s7, 0x3ec71dee
	;; [unrolled: 1-line block ×4, first 2 shown]
	v_fma_f64 v[48:49], v[36:37], v[48:49], s[6:7]
	s_mov_b32 s6, 0x7c89e6b0
	s_mov_b32 s7, 0x3efa0199
	s_delay_alu instid0(VALU_DEP_1) | instid1(SALU_CYCLE_1)
	v_fma_f64 v[48:49], v[36:37], v[48:49], s[6:7]
	s_mov_b32 s6, 0x14761f6e
	s_mov_b32 s7, 0x3f2a01a0
	s_delay_alu instid0(VALU_DEP_1) | instid1(SALU_CYCLE_1)
	;; [unrolled: 4-line block ×7, first 2 shown]
	v_fma_f64 v[48:49], v[36:37], v[48:49], s[6:7]
	s_mov_b32 s7, 0x3fe55555
	s_mov_b32 s6, 0x55555555
	s_delay_alu instid0(VALU_DEP_1) | instskip(NEXT) | instid1(VALU_DEP_1)
	v_fma_f64 v[48:49], v[36:37], v[48:49], 1.0
	v_fma_f64 v[34:35], v[36:37], v[48:49], 1.0
	s_delay_alu instid0(VALU_DEP_1) | instskip(NEXT) | instid1(VALU_DEP_1)
	v_ldexp_f64 v[34:35], v[34:35], v54
	v_cndmask_b32_e32 v35, 0x7ff00000, v35, vcc_lo
	s_and_b32 vcc_lo, s1, vcc_lo
	s_delay_alu instid0(VALU_DEP_1) | instskip(NEXT) | instid1(VALU_DEP_3)
	v_cndmask_b32_e64 v21, 0, v35, s1
	v_cndmask_b32_e32 v20, 0, v34, vcc_lo
	s_delay_alu instid0(VALU_DEP_1) | instskip(NEXT) | instid1(VALU_DEP_1)
	v_add_f64 v[34:35], v[20:21], 1.0
	v_frexp_mant_f64_e32 v[36:37], v[34:35]
	v_frexp_exp_i32_f64_e32 v54, v[34:35]
	v_add_f64 v[48:49], v[34:35], -1.0
	s_delay_alu instid0(VALU_DEP_3) | instskip(SKIP_1) | instid1(VALU_DEP_2)
	v_cmp_gt_f64_e32 vcc_lo, s[6:7], v[36:37]
	s_mov_b32 s6, 0x55555780
	v_add_f64 v[36:37], v[48:49], -v[34:35]
	v_add_f64 v[48:49], v[20:21], -v[48:49]
	v_subrev_co_ci_u32_e32 v112, vcc_lo, 0, v54, vcc_lo
	s_delay_alu instid0(VALU_DEP_3) | instskip(SKIP_1) | instid1(VALU_DEP_3)
	v_add_f64 v[36:37], v[36:37], 1.0
	v_cmp_eq_f64_e32 vcc_lo, 0x7ff00000, v[20:21]
	v_sub_nc_u32_e32 v80, 0, v112
	s_delay_alu instid0(VALU_DEP_1) | instskip(NEXT) | instid1(VALU_DEP_4)
	v_ldexp_f64 v[34:35], v[34:35], v80
	v_add_f64 v[36:37], v[48:49], v[36:37]
	s_delay_alu instid0(VALU_DEP_2) | instskip(SKIP_1) | instid1(VALU_DEP_3)
	v_add_f64 v[54:55], v[34:35], 1.0
	v_add_f64 v[86:87], v[34:35], -1.0
	v_ldexp_f64 v[36:37], v[36:37], v80
	s_delay_alu instid0(VALU_DEP_3) | instskip(NEXT) | instid1(VALU_DEP_3)
	v_add_f64 v[48:49], v[54:55], -1.0
	v_add_f64 v[96:97], v[86:87], 1.0
	s_delay_alu instid0(VALU_DEP_2) | instskip(NEXT) | instid1(VALU_DEP_2)
	v_add_f64 v[48:49], v[34:35], -v[48:49]
	v_add_f64 v[34:35], v[34:35], -v[96:97]
	s_delay_alu instid0(VALU_DEP_2) | instskip(NEXT) | instid1(VALU_DEP_2)
	v_add_f64 v[48:49], v[36:37], v[48:49]
	v_add_f64 v[34:35], v[36:37], v[34:35]
	s_delay_alu instid0(VALU_DEP_2) | instskip(NEXT) | instid1(VALU_DEP_2)
	v_add_f64 v[80:81], v[54:55], v[48:49]
	v_add_f64 v[96:97], v[86:87], v[34:35]
	s_delay_alu instid0(VALU_DEP_2) | instskip(SKIP_1) | instid1(VALU_DEP_2)
	v_rcp_f64_e32 v[84:85], v[80:81]
	v_add_f64 v[54:55], v[80:81], -v[54:55]
	v_add_f64 v[86:87], v[96:97], -v[86:87]
	s_delay_alu instid0(VALU_DEP_2) | instskip(SKIP_3) | instid1(VALU_DEP_2)
	v_add_f64 v[48:49], v[48:49], -v[54:55]
	s_waitcnt_depctr 0xfff
	v_fma_f64 v[98:99], -v[80:81], v[84:85], 1.0
	v_add_f64 v[34:35], v[34:35], -v[86:87]
	v_fma_f64 v[84:85], v[98:99], v[84:85], v[84:85]
	s_delay_alu instid0(VALU_DEP_1) | instskip(NEXT) | instid1(VALU_DEP_1)
	v_fma_f64 v[36:37], -v[80:81], v[84:85], 1.0
	v_fma_f64 v[36:37], v[36:37], v[84:85], v[84:85]
	s_delay_alu instid0(VALU_DEP_1) | instskip(NEXT) | instid1(VALU_DEP_1)
	v_mul_f64 v[84:85], v[96:97], v[36:37]
	v_mul_f64 v[98:99], v[80:81], v[84:85]
	s_delay_alu instid0(VALU_DEP_1) | instskip(NEXT) | instid1(VALU_DEP_1)
	v_fma_f64 v[54:55], v[84:85], v[80:81], -v[98:99]
	v_fma_f64 v[54:55], v[84:85], v[48:49], v[54:55]
	s_delay_alu instid0(VALU_DEP_1) | instskip(NEXT) | instid1(VALU_DEP_1)
	v_add_f64 v[100:101], v[98:99], v[54:55]
	v_add_f64 v[102:103], v[96:97], -v[100:101]
	v_add_f64 v[86:87], v[100:101], -v[98:99]
	s_delay_alu instid0(VALU_DEP_2) | instskip(NEXT) | instid1(VALU_DEP_2)
	v_add_f64 v[96:97], v[96:97], -v[102:103]
	v_add_f64 v[54:55], v[86:87], -v[54:55]
	s_delay_alu instid0(VALU_DEP_2) | instskip(NEXT) | instid1(VALU_DEP_1)
	v_add_f64 v[96:97], v[96:97], -v[100:101]
	v_add_f64 v[34:35], v[34:35], v[96:97]
	s_delay_alu instid0(VALU_DEP_1) | instskip(NEXT) | instid1(VALU_DEP_1)
	v_add_f64 v[34:35], v[54:55], v[34:35]
	v_add_f64 v[54:55], v[102:103], v[34:35]
	s_delay_alu instid0(VALU_DEP_1) | instskip(SKIP_1) | instid1(VALU_DEP_2)
	v_mul_f64 v[86:87], v[36:37], v[54:55]
	v_add_f64 v[100:101], v[102:103], -v[54:55]
	v_mul_f64 v[96:97], v[80:81], v[86:87]
	s_delay_alu instid0(VALU_DEP_2) | instskip(NEXT) | instid1(VALU_DEP_2)
	v_add_f64 v[34:35], v[34:35], v[100:101]
	v_fma_f64 v[80:81], v[86:87], v[80:81], -v[96:97]
	s_delay_alu instid0(VALU_DEP_1) | instskip(NEXT) | instid1(VALU_DEP_1)
	v_fma_f64 v[48:49], v[86:87], v[48:49], v[80:81]
	v_add_f64 v[80:81], v[96:97], v[48:49]
	s_delay_alu instid0(VALU_DEP_1) | instskip(SKIP_1) | instid1(VALU_DEP_2)
	v_add_f64 v[98:99], v[54:55], -v[80:81]
	v_add_f64 v[96:97], v[80:81], -v[96:97]
	;; [unrolled: 1-line block ×3, first 2 shown]
	s_delay_alu instid0(VALU_DEP_2) | instskip(NEXT) | instid1(VALU_DEP_2)
	v_add_f64 v[48:49], v[96:97], -v[48:49]
	v_add_f64 v[54:55], v[54:55], -v[80:81]
	s_delay_alu instid0(VALU_DEP_1) | instskip(SKIP_1) | instid1(VALU_DEP_2)
	v_add_f64 v[34:35], v[34:35], v[54:55]
	v_add_f64 v[54:55], v[84:85], v[86:87]
	;; [unrolled: 1-line block ×3, first 2 shown]
	s_delay_alu instid0(VALU_DEP_2) | instskip(NEXT) | instid1(VALU_DEP_2)
	v_add_f64 v[48:49], v[54:55], -v[84:85]
	v_add_f64 v[34:35], v[98:99], v[34:35]
	s_delay_alu instid0(VALU_DEP_2) | instskip(NEXT) | instid1(VALU_DEP_2)
	v_add_f64 v[48:49], v[86:87], -v[48:49]
	v_mul_f64 v[34:35], v[36:37], v[34:35]
	s_delay_alu instid0(VALU_DEP_1) | instskip(NEXT) | instid1(VALU_DEP_1)
	v_add_f64 v[34:35], v[48:49], v[34:35]
	v_add_f64 v[36:37], v[54:55], v[34:35]
	s_delay_alu instid0(VALU_DEP_1) | instskip(NEXT) | instid1(VALU_DEP_1)
	v_mul_f64 v[48:49], v[36:37], v[36:37]
	v_fma_f64 v[80:81], v[48:49], s[18:19], s[16:17]
	s_mov_b32 s16, 0xd7f4df2e
	s_mov_b32 s17, 0x3fc7474d
	v_mul_f64 v[84:85], v[36:37], v[48:49]
	s_delay_alu instid0(VALU_DEP_2)
	v_fma_f64 v[80:81], v[48:49], v[80:81], s[16:17]
	s_mov_b32 s16, 0x16291751
	s_mov_b32 s17, 0x3fcc71c0
	s_delay_alu instid0(VALU_DEP_1) | instid1(SALU_CYCLE_1)
	v_fma_f64 v[80:81], v[48:49], v[80:81], s[16:17]
	s_mov_b32 s16, 0x9b27acf1
	s_mov_b32 s17, 0x3fd24924
	s_delay_alu instid0(VALU_DEP_1) | instid1(SALU_CYCLE_1)
	;; [unrolled: 4-line block ×3, first 2 shown]
	v_fma_f64 v[80:81], v[48:49], v[80:81], s[16:17]
	s_delay_alu instid0(VALU_DEP_1) | instskip(SKIP_2) | instid1(VALU_DEP_3)
	v_fma_f64 v[48:49], v[48:49], v[80:81], s[6:7]
	v_ldexp_f64 v[80:81], v[36:37], 1
	v_add_f64 v[36:37], v[36:37], -v[54:55]
	v_mul_f64 v[48:49], v[84:85], v[48:49]
	v_cvt_f64_i32_e32 v[84:85], v112
	s_delay_alu instid0(VALU_DEP_3) | instskip(NEXT) | instid1(VALU_DEP_3)
	v_add_f64 v[34:35], v[34:35], -v[36:37]
	v_add_f64 v[54:55], v[80:81], v[48:49]
	s_delay_alu instid0(VALU_DEP_3) | instskip(NEXT) | instid1(VALU_DEP_3)
	v_mul_f64 v[86:87], v[84:85], s[2:3]
	v_ldexp_f64 v[34:35], v[34:35], 1
	s_delay_alu instid0(VALU_DEP_3) | instskip(NEXT) | instid1(VALU_DEP_3)
	v_add_f64 v[36:37], v[54:55], -v[80:81]
	v_fma_f64 v[80:81], v[84:85], s[2:3], -v[86:87]
	s_delay_alu instid0(VALU_DEP_2) | instskip(NEXT) | instid1(VALU_DEP_2)
	v_add_f64 v[36:37], v[48:49], -v[36:37]
	v_fma_f64 v[48:49], v[84:85], s[4:5], v[80:81]
	s_delay_alu instid0(VALU_DEP_2) | instskip(NEXT) | instid1(VALU_DEP_2)
	v_add_f64 v[34:35], v[34:35], v[36:37]
	v_add_f64 v[36:37], v[86:87], v[48:49]
	s_delay_alu instid0(VALU_DEP_2) | instskip(NEXT) | instid1(VALU_DEP_2)
	v_add_f64 v[80:81], v[54:55], v[34:35]
	v_add_f64 v[86:87], v[36:37], -v[86:87]
	s_delay_alu instid0(VALU_DEP_2) | instskip(SKIP_1) | instid1(VALU_DEP_3)
	v_add_f64 v[84:85], v[36:37], v[80:81]
	v_add_f64 v[54:55], v[80:81], -v[54:55]
	v_add_f64 v[48:49], v[48:49], -v[86:87]
	s_delay_alu instid0(VALU_DEP_3) | instskip(NEXT) | instid1(VALU_DEP_3)
	v_add_f64 v[96:97], v[84:85], -v[36:37]
	v_add_f64 v[34:35], v[34:35], -v[54:55]
	s_delay_alu instid0(VALU_DEP_2) | instskip(SKIP_1) | instid1(VALU_DEP_3)
	v_add_f64 v[98:99], v[84:85], -v[96:97]
	v_add_f64 v[54:55], v[80:81], -v[96:97]
	v_add_f64 v[80:81], v[48:49], v[34:35]
	s_delay_alu instid0(VALU_DEP_3) | instskip(NEXT) | instid1(VALU_DEP_1)
	v_add_f64 v[36:37], v[36:37], -v[98:99]
	v_add_f64 v[36:37], v[54:55], v[36:37]
	s_delay_alu instid0(VALU_DEP_3) | instskip(NEXT) | instid1(VALU_DEP_2)
	v_add_f64 v[54:55], v[80:81], -v[48:49]
	v_add_f64 v[36:37], v[80:81], v[36:37]
	s_delay_alu instid0(VALU_DEP_2) | instskip(SKIP_1) | instid1(VALU_DEP_3)
	v_add_f64 v[80:81], v[80:81], -v[54:55]
	v_add_f64 v[34:35], v[34:35], -v[54:55]
	v_add_f64 v[86:87], v[84:85], v[36:37]
	s_delay_alu instid0(VALU_DEP_3) | instskip(NEXT) | instid1(VALU_DEP_2)
	v_add_f64 v[48:49], v[48:49], -v[80:81]
	v_add_f64 v[54:55], v[86:87], -v[84:85]
	s_delay_alu instid0(VALU_DEP_2) | instskip(NEXT) | instid1(VALU_DEP_2)
	v_add_f64 v[34:35], v[34:35], v[48:49]
	v_add_f64 v[36:37], v[36:37], -v[54:55]
	s_delay_alu instid0(VALU_DEP_1) | instskip(NEXT) | instid1(VALU_DEP_1)
	v_add_f64 v[34:35], v[34:35], v[36:37]
	v_add_f64 v[34:35], v[86:87], v[34:35]
	s_delay_alu instid0(VALU_DEP_1) | instskip(SKIP_1) | instid1(VALU_DEP_2)
	v_dual_cndmask_b32 v35, v35, v21 :: v_dual_cndmask_b32 v34, v34, v20
	v_cmp_ngt_f64_e32 vcc_lo, -1.0, v[20:21]
	v_cndmask_b32_e32 v35, 0x7ff80000, v35, vcc_lo
	v_cmp_nge_f64_e32 vcc_lo, -1.0, v[20:21]
	s_delay_alu instid0(VALU_DEP_4) | instskip(SKIP_1) | instid1(VALU_DEP_4)
	v_cndmask_b32_e32 v34, 0, v34, vcc_lo
	v_cmp_neq_f64_e32 vcc_lo, -1.0, v[20:21]
	v_cndmask_b32_e32 v35, 0xfff00000, v35, vcc_lo
	s_delay_alu instid0(VALU_DEP_1)
	v_add_f64 v[20:21], v[32:33], v[34:35]
.LBB76_354:
	s_or_b32 exec_lo, exec_lo, s8
	s_delay_alu instid0(VALU_DEP_1) | instskip(SKIP_1) | instid1(VALU_DEP_2)
	v_max_f64 v[32:33], v[20:21], v[20:21]
	v_cmp_u_f64_e32 vcc_lo, v[20:21], v[20:21]
	v_min_f64 v[34:35], v[32:33], v[22:23]
	v_max_f64 v[22:23], v[32:33], v[22:23]
	s_delay_alu instid0(VALU_DEP_2) | instskip(NEXT) | instid1(VALU_DEP_2)
	v_dual_cndmask_b32 v32, v34, v20 :: v_dual_cndmask_b32 v33, v35, v21
	v_dual_cndmask_b32 v23, v23, v21 :: v_dual_cndmask_b32 v22, v22, v20
	s_delay_alu instid0(VALU_DEP_2) | instskip(NEXT) | instid1(VALU_DEP_3)
	v_cndmask_b32_e64 v34, v32, v82, s11
	v_cndmask_b32_e64 v35, v33, v83, s11
	s_delay_alu instid0(VALU_DEP_3) | instskip(NEXT) | instid1(VALU_DEP_4)
	v_cndmask_b32_e64 v33, v23, v83, s11
	v_cndmask_b32_e64 v32, v22, v82, s11
	v_dual_mov_b32 v23, v21 :: v_dual_mov_b32 v22, v20
	s_delay_alu instid0(VALU_DEP_4) | instskip(NEXT) | instid1(VALU_DEP_3)
	v_cmp_class_f64_e64 s1, v[34:35], 0x1f8
	v_cmp_neq_f64_e32 vcc_lo, v[34:35], v[32:33]
	s_delay_alu instid0(VALU_DEP_2) | instskip(NEXT) | instid1(SALU_CYCLE_1)
	s_or_b32 s1, vcc_lo, s1
	s_and_saveexec_b32 s8, s1
	s_cbranch_execz .LBB76_356
; %bb.355:
	v_add_f64 v[22:23], v[34:35], -v[32:33]
	s_mov_b32 s2, 0x652b82fe
	s_mov_b32 s3, 0x3ff71547
	;; [unrolled: 1-line block ×10, first 2 shown]
	s_delay_alu instid0(VALU_DEP_1) | instskip(SKIP_4) | instid1(VALU_DEP_3)
	v_mul_f64 v[34:35], v[22:23], s[2:3]
	s_mov_b32 s3, 0xbfe62e42
	s_mov_b32 s2, 0xfefa39ef
	v_cmp_nlt_f64_e32 vcc_lo, 0x40900000, v[22:23]
	v_cmp_ngt_f64_e64 s1, 0xc090cc00, v[22:23]
	v_rndne_f64_e32 v[34:35], v[34:35]
	s_delay_alu instid0(VALU_DEP_1) | instskip(SKIP_2) | instid1(VALU_DEP_2)
	v_fma_f64 v[36:37], v[34:35], s[2:3], v[22:23]
	v_cvt_i32_f64_e32 v54, v[34:35]
	s_mov_b32 s3, 0x3fe62e42
	v_fma_f64 v[36:37], v[34:35], s[4:5], v[36:37]
	s_mov_b32 s5, 0x3c7abc9e
	s_waitcnt lgkmcnt(0)
	s_delay_alu instid0(VALU_DEP_1) | instskip(SKIP_4) | instid1(VALU_DEP_1)
	v_fma_f64 v[48:49], v[36:37], s[10:11], s[6:7]
	s_mov_b32 s6, 0x623fde64
	s_mov_b32 s7, 0x3ec71dee
	;; [unrolled: 1-line block ×4, first 2 shown]
	v_fma_f64 v[48:49], v[36:37], v[48:49], s[6:7]
	s_mov_b32 s6, 0x7c89e6b0
	s_mov_b32 s7, 0x3efa0199
	s_delay_alu instid0(VALU_DEP_1) | instid1(SALU_CYCLE_1)
	v_fma_f64 v[48:49], v[36:37], v[48:49], s[6:7]
	s_mov_b32 s6, 0x14761f6e
	s_mov_b32 s7, 0x3f2a01a0
	s_delay_alu instid0(VALU_DEP_1) | instid1(SALU_CYCLE_1)
	;; [unrolled: 4-line block ×7, first 2 shown]
	v_fma_f64 v[48:49], v[36:37], v[48:49], s[6:7]
	s_mov_b32 s7, 0x3fe55555
	s_mov_b32 s6, 0x55555555
	s_delay_alu instid0(VALU_DEP_1) | instskip(NEXT) | instid1(VALU_DEP_1)
	v_fma_f64 v[48:49], v[36:37], v[48:49], 1.0
	v_fma_f64 v[34:35], v[36:37], v[48:49], 1.0
	s_delay_alu instid0(VALU_DEP_1) | instskip(NEXT) | instid1(VALU_DEP_1)
	v_ldexp_f64 v[34:35], v[34:35], v54
	v_cndmask_b32_e32 v35, 0x7ff00000, v35, vcc_lo
	s_and_b32 vcc_lo, s1, vcc_lo
	s_delay_alu instid0(VALU_DEP_1) | instskip(NEXT) | instid1(VALU_DEP_3)
	v_cndmask_b32_e64 v23, 0, v35, s1
	v_cndmask_b32_e32 v22, 0, v34, vcc_lo
	s_delay_alu instid0(VALU_DEP_1) | instskip(NEXT) | instid1(VALU_DEP_1)
	v_add_f64 v[34:35], v[22:23], 1.0
	v_frexp_mant_f64_e32 v[36:37], v[34:35]
	v_frexp_exp_i32_f64_e32 v54, v[34:35]
	v_add_f64 v[48:49], v[34:35], -1.0
	s_delay_alu instid0(VALU_DEP_3) | instskip(SKIP_1) | instid1(VALU_DEP_2)
	v_cmp_gt_f64_e32 vcc_lo, s[6:7], v[36:37]
	s_mov_b32 s6, 0x55555780
	v_add_f64 v[36:37], v[48:49], -v[34:35]
	v_add_f64 v[48:49], v[22:23], -v[48:49]
	v_subrev_co_ci_u32_e32 v102, vcc_lo, 0, v54, vcc_lo
	s_delay_alu instid0(VALU_DEP_3) | instskip(SKIP_1) | instid1(VALU_DEP_3)
	v_add_f64 v[36:37], v[36:37], 1.0
	v_cmp_eq_f64_e32 vcc_lo, 0x7ff00000, v[22:23]
	v_sub_nc_u32_e32 v80, 0, v102
	s_delay_alu instid0(VALU_DEP_1) | instskip(NEXT) | instid1(VALU_DEP_4)
	v_ldexp_f64 v[34:35], v[34:35], v80
	v_add_f64 v[36:37], v[48:49], v[36:37]
	s_delay_alu instid0(VALU_DEP_2) | instskip(SKIP_1) | instid1(VALU_DEP_3)
	v_add_f64 v[54:55], v[34:35], 1.0
	v_add_f64 v[84:85], v[34:35], -1.0
	v_ldexp_f64 v[36:37], v[36:37], v80
	s_delay_alu instid0(VALU_DEP_3) | instskip(NEXT) | instid1(VALU_DEP_3)
	v_add_f64 v[48:49], v[54:55], -1.0
	v_add_f64 v[86:87], v[84:85], 1.0
	s_delay_alu instid0(VALU_DEP_2) | instskip(NEXT) | instid1(VALU_DEP_2)
	v_add_f64 v[48:49], v[34:35], -v[48:49]
	v_add_f64 v[34:35], v[34:35], -v[86:87]
	s_delay_alu instid0(VALU_DEP_2) | instskip(NEXT) | instid1(VALU_DEP_2)
	v_add_f64 v[48:49], v[36:37], v[48:49]
	v_add_f64 v[34:35], v[36:37], v[34:35]
	s_delay_alu instid0(VALU_DEP_2) | instskip(NEXT) | instid1(VALU_DEP_2)
	v_add_f64 v[80:81], v[54:55], v[48:49]
	v_add_f64 v[86:87], v[84:85], v[34:35]
	s_delay_alu instid0(VALU_DEP_2) | instskip(SKIP_1) | instid1(VALU_DEP_2)
	v_rcp_f64_e32 v[82:83], v[80:81]
	v_add_f64 v[54:55], v[80:81], -v[54:55]
	v_add_f64 v[84:85], v[86:87], -v[84:85]
	s_delay_alu instid0(VALU_DEP_2) | instskip(SKIP_3) | instid1(VALU_DEP_2)
	v_add_f64 v[48:49], v[48:49], -v[54:55]
	s_waitcnt_depctr 0xfff
	v_fma_f64 v[96:97], -v[80:81], v[82:83], 1.0
	v_add_f64 v[34:35], v[34:35], -v[84:85]
	v_fma_f64 v[82:83], v[96:97], v[82:83], v[82:83]
	s_delay_alu instid0(VALU_DEP_1) | instskip(NEXT) | instid1(VALU_DEP_1)
	v_fma_f64 v[36:37], -v[80:81], v[82:83], 1.0
	v_fma_f64 v[36:37], v[36:37], v[82:83], v[82:83]
	s_delay_alu instid0(VALU_DEP_1) | instskip(NEXT) | instid1(VALU_DEP_1)
	v_mul_f64 v[82:83], v[86:87], v[36:37]
	v_mul_f64 v[96:97], v[80:81], v[82:83]
	s_delay_alu instid0(VALU_DEP_1) | instskip(NEXT) | instid1(VALU_DEP_1)
	v_fma_f64 v[54:55], v[82:83], v[80:81], -v[96:97]
	v_fma_f64 v[54:55], v[82:83], v[48:49], v[54:55]
	s_delay_alu instid0(VALU_DEP_1) | instskip(NEXT) | instid1(VALU_DEP_1)
	v_add_f64 v[98:99], v[96:97], v[54:55]
	v_add_f64 v[100:101], v[86:87], -v[98:99]
	v_add_f64 v[84:85], v[98:99], -v[96:97]
	s_delay_alu instid0(VALU_DEP_2) | instskip(NEXT) | instid1(VALU_DEP_2)
	v_add_f64 v[86:87], v[86:87], -v[100:101]
	v_add_f64 v[54:55], v[84:85], -v[54:55]
	s_delay_alu instid0(VALU_DEP_2) | instskip(NEXT) | instid1(VALU_DEP_1)
	v_add_f64 v[86:87], v[86:87], -v[98:99]
	v_add_f64 v[34:35], v[34:35], v[86:87]
	s_delay_alu instid0(VALU_DEP_1) | instskip(NEXT) | instid1(VALU_DEP_1)
	v_add_f64 v[34:35], v[54:55], v[34:35]
	v_add_f64 v[54:55], v[100:101], v[34:35]
	s_delay_alu instid0(VALU_DEP_1) | instskip(SKIP_1) | instid1(VALU_DEP_2)
	v_mul_f64 v[84:85], v[36:37], v[54:55]
	v_add_f64 v[98:99], v[100:101], -v[54:55]
	v_mul_f64 v[86:87], v[80:81], v[84:85]
	s_delay_alu instid0(VALU_DEP_2) | instskip(NEXT) | instid1(VALU_DEP_2)
	v_add_f64 v[34:35], v[34:35], v[98:99]
	v_fma_f64 v[80:81], v[84:85], v[80:81], -v[86:87]
	s_delay_alu instid0(VALU_DEP_1) | instskip(NEXT) | instid1(VALU_DEP_1)
	v_fma_f64 v[48:49], v[84:85], v[48:49], v[80:81]
	v_add_f64 v[80:81], v[86:87], v[48:49]
	s_delay_alu instid0(VALU_DEP_1) | instskip(SKIP_1) | instid1(VALU_DEP_2)
	v_add_f64 v[96:97], v[54:55], -v[80:81]
	v_add_f64 v[86:87], v[80:81], -v[86:87]
	;; [unrolled: 1-line block ×3, first 2 shown]
	s_delay_alu instid0(VALU_DEP_2) | instskip(NEXT) | instid1(VALU_DEP_2)
	v_add_f64 v[48:49], v[86:87], -v[48:49]
	v_add_f64 v[54:55], v[54:55], -v[80:81]
	s_delay_alu instid0(VALU_DEP_1) | instskip(SKIP_1) | instid1(VALU_DEP_2)
	v_add_f64 v[34:35], v[34:35], v[54:55]
	v_add_f64 v[54:55], v[82:83], v[84:85]
	;; [unrolled: 1-line block ×3, first 2 shown]
	s_delay_alu instid0(VALU_DEP_2) | instskip(NEXT) | instid1(VALU_DEP_2)
	v_add_f64 v[48:49], v[54:55], -v[82:83]
	v_add_f64 v[34:35], v[96:97], v[34:35]
	s_delay_alu instid0(VALU_DEP_2) | instskip(NEXT) | instid1(VALU_DEP_2)
	v_add_f64 v[48:49], v[84:85], -v[48:49]
	v_mul_f64 v[34:35], v[36:37], v[34:35]
	s_delay_alu instid0(VALU_DEP_1) | instskip(NEXT) | instid1(VALU_DEP_1)
	v_add_f64 v[34:35], v[48:49], v[34:35]
	v_add_f64 v[36:37], v[54:55], v[34:35]
	s_delay_alu instid0(VALU_DEP_1) | instskip(NEXT) | instid1(VALU_DEP_1)
	v_mul_f64 v[48:49], v[36:37], v[36:37]
	v_fma_f64 v[80:81], v[48:49], s[16:17], s[10:11]
	s_mov_b32 s10, 0xd7f4df2e
	s_mov_b32 s11, 0x3fc7474d
	v_mul_f64 v[82:83], v[36:37], v[48:49]
	s_delay_alu instid0(VALU_DEP_2)
	v_fma_f64 v[80:81], v[48:49], v[80:81], s[10:11]
	s_mov_b32 s10, 0x16291751
	s_mov_b32 s11, 0x3fcc71c0
	s_delay_alu instid0(VALU_DEP_1) | instid1(SALU_CYCLE_1)
	v_fma_f64 v[80:81], v[48:49], v[80:81], s[10:11]
	s_mov_b32 s10, 0x9b27acf1
	s_mov_b32 s11, 0x3fd24924
	s_delay_alu instid0(VALU_DEP_1) | instid1(SALU_CYCLE_1)
	;; [unrolled: 4-line block ×3, first 2 shown]
	v_fma_f64 v[80:81], v[48:49], v[80:81], s[10:11]
	s_delay_alu instid0(VALU_DEP_1) | instskip(SKIP_2) | instid1(VALU_DEP_3)
	v_fma_f64 v[48:49], v[48:49], v[80:81], s[6:7]
	v_ldexp_f64 v[80:81], v[36:37], 1
	v_add_f64 v[36:37], v[36:37], -v[54:55]
	v_mul_f64 v[48:49], v[82:83], v[48:49]
	v_cvt_f64_i32_e32 v[82:83], v102
	s_delay_alu instid0(VALU_DEP_3) | instskip(NEXT) | instid1(VALU_DEP_3)
	v_add_f64 v[34:35], v[34:35], -v[36:37]
	v_add_f64 v[54:55], v[80:81], v[48:49]
	s_delay_alu instid0(VALU_DEP_3) | instskip(NEXT) | instid1(VALU_DEP_3)
	v_mul_f64 v[84:85], v[82:83], s[2:3]
	v_ldexp_f64 v[34:35], v[34:35], 1
	s_delay_alu instid0(VALU_DEP_3) | instskip(NEXT) | instid1(VALU_DEP_3)
	v_add_f64 v[36:37], v[54:55], -v[80:81]
	v_fma_f64 v[80:81], v[82:83], s[2:3], -v[84:85]
	s_delay_alu instid0(VALU_DEP_2) | instskip(NEXT) | instid1(VALU_DEP_2)
	v_add_f64 v[36:37], v[48:49], -v[36:37]
	v_fma_f64 v[48:49], v[82:83], s[4:5], v[80:81]
	s_delay_alu instid0(VALU_DEP_2) | instskip(NEXT) | instid1(VALU_DEP_2)
	v_add_f64 v[34:35], v[34:35], v[36:37]
	v_add_f64 v[36:37], v[84:85], v[48:49]
	s_delay_alu instid0(VALU_DEP_2) | instskip(NEXT) | instid1(VALU_DEP_2)
	v_add_f64 v[80:81], v[54:55], v[34:35]
	v_add_f64 v[84:85], v[36:37], -v[84:85]
	s_delay_alu instid0(VALU_DEP_2) | instskip(SKIP_1) | instid1(VALU_DEP_3)
	v_add_f64 v[82:83], v[36:37], v[80:81]
	v_add_f64 v[54:55], v[80:81], -v[54:55]
	v_add_f64 v[48:49], v[48:49], -v[84:85]
	s_delay_alu instid0(VALU_DEP_3) | instskip(NEXT) | instid1(VALU_DEP_3)
	v_add_f64 v[86:87], v[82:83], -v[36:37]
	v_add_f64 v[34:35], v[34:35], -v[54:55]
	s_delay_alu instid0(VALU_DEP_2) | instskip(SKIP_1) | instid1(VALU_DEP_3)
	v_add_f64 v[96:97], v[82:83], -v[86:87]
	v_add_f64 v[54:55], v[80:81], -v[86:87]
	v_add_f64 v[80:81], v[48:49], v[34:35]
	s_delay_alu instid0(VALU_DEP_3) | instskip(NEXT) | instid1(VALU_DEP_1)
	v_add_f64 v[36:37], v[36:37], -v[96:97]
	v_add_f64 v[36:37], v[54:55], v[36:37]
	s_delay_alu instid0(VALU_DEP_3) | instskip(NEXT) | instid1(VALU_DEP_2)
	v_add_f64 v[54:55], v[80:81], -v[48:49]
	v_add_f64 v[36:37], v[80:81], v[36:37]
	s_delay_alu instid0(VALU_DEP_2) | instskip(SKIP_1) | instid1(VALU_DEP_3)
	v_add_f64 v[80:81], v[80:81], -v[54:55]
	v_add_f64 v[34:35], v[34:35], -v[54:55]
	v_add_f64 v[84:85], v[82:83], v[36:37]
	s_delay_alu instid0(VALU_DEP_3) | instskip(NEXT) | instid1(VALU_DEP_2)
	v_add_f64 v[48:49], v[48:49], -v[80:81]
	v_add_f64 v[54:55], v[84:85], -v[82:83]
	s_delay_alu instid0(VALU_DEP_2) | instskip(NEXT) | instid1(VALU_DEP_2)
	v_add_f64 v[34:35], v[34:35], v[48:49]
	v_add_f64 v[36:37], v[36:37], -v[54:55]
	s_delay_alu instid0(VALU_DEP_1) | instskip(NEXT) | instid1(VALU_DEP_1)
	v_add_f64 v[34:35], v[34:35], v[36:37]
	v_add_f64 v[34:35], v[84:85], v[34:35]
	s_delay_alu instid0(VALU_DEP_1) | instskip(SKIP_1) | instid1(VALU_DEP_2)
	v_dual_cndmask_b32 v35, v35, v23 :: v_dual_cndmask_b32 v34, v34, v22
	v_cmp_ngt_f64_e32 vcc_lo, -1.0, v[22:23]
	v_cndmask_b32_e32 v35, 0x7ff80000, v35, vcc_lo
	v_cmp_nge_f64_e32 vcc_lo, -1.0, v[22:23]
	s_delay_alu instid0(VALU_DEP_4) | instskip(SKIP_1) | instid1(VALU_DEP_4)
	v_cndmask_b32_e32 v34, 0, v34, vcc_lo
	v_cmp_neq_f64_e32 vcc_lo, -1.0, v[22:23]
	v_cndmask_b32_e32 v35, 0xfff00000, v35, vcc_lo
	s_delay_alu instid0(VALU_DEP_1)
	v_add_f64 v[22:23], v[32:33], v[34:35]
.LBB76_356:
	s_or_b32 exec_lo, exec_lo, s8
	s_delay_alu instid0(VALU_DEP_1) | instskip(SKIP_1) | instid1(VALU_DEP_2)
	v_max_f64 v[32:33], v[22:23], v[22:23]
	v_cmp_u_f64_e32 vcc_lo, v[22:23], v[22:23]
	v_min_f64 v[34:35], v[32:33], v[24:25]
	v_max_f64 v[24:25], v[32:33], v[24:25]
	s_delay_alu instid0(VALU_DEP_2) | instskip(NEXT) | instid1(VALU_DEP_2)
	v_dual_cndmask_b32 v32, v34, v22 :: v_dual_cndmask_b32 v33, v35, v23
	v_dual_cndmask_b32 v25, v25, v23 :: v_dual_cndmask_b32 v24, v24, v22
	s_delay_alu instid0(VALU_DEP_2) | instskip(NEXT) | instid1(VALU_DEP_3)
	v_cndmask_b32_e64 v34, v32, v68, s12
	v_cndmask_b32_e64 v35, v33, v69, s12
	s_delay_alu instid0(VALU_DEP_3) | instskip(NEXT) | instid1(VALU_DEP_4)
	v_cndmask_b32_e64 v33, v25, v69, s12
	v_cndmask_b32_e64 v32, v24, v68, s12
	v_dual_mov_b32 v25, v23 :: v_dual_mov_b32 v24, v22
	s_delay_alu instid0(VALU_DEP_4) | instskip(NEXT) | instid1(VALU_DEP_3)
	v_cmp_class_f64_e64 s1, v[34:35], 0x1f8
	v_cmp_neq_f64_e32 vcc_lo, v[34:35], v[32:33]
	s_delay_alu instid0(VALU_DEP_2) | instskip(NEXT) | instid1(SALU_CYCLE_1)
	s_or_b32 s1, vcc_lo, s1
	s_and_saveexec_b32 s8, s1
	s_cbranch_execz .LBB76_358
; %bb.357:
	v_add_f64 v[24:25], v[34:35], -v[32:33]
	s_mov_b32 s2, 0x652b82fe
	s_mov_b32 s3, 0x3ff71547
	;; [unrolled: 1-line block ×10, first 2 shown]
	s_delay_alu instid0(VALU_DEP_1) | instskip(SKIP_4) | instid1(VALU_DEP_3)
	v_mul_f64 v[34:35], v[24:25], s[2:3]
	s_mov_b32 s3, 0xbfe62e42
	s_mov_b32 s2, 0xfefa39ef
	v_cmp_nlt_f64_e32 vcc_lo, 0x40900000, v[24:25]
	v_cmp_ngt_f64_e64 s1, 0xc090cc00, v[24:25]
	v_rndne_f64_e32 v[34:35], v[34:35]
	s_delay_alu instid0(VALU_DEP_1) | instskip(SKIP_2) | instid1(VALU_DEP_2)
	v_fma_f64 v[36:37], v[34:35], s[2:3], v[24:25]
	v_cvt_i32_f64_e32 v54, v[34:35]
	s_mov_b32 s3, 0x3fe62e42
	v_fma_f64 v[36:37], v[34:35], s[4:5], v[36:37]
	s_mov_b32 s5, 0x3c7abc9e
	s_waitcnt lgkmcnt(0)
	s_delay_alu instid0(VALU_DEP_1) | instskip(SKIP_4) | instid1(VALU_DEP_1)
	v_fma_f64 v[48:49], v[36:37], s[10:11], s[6:7]
	s_mov_b32 s6, 0x623fde64
	s_mov_b32 s7, 0x3ec71dee
	;; [unrolled: 1-line block ×4, first 2 shown]
	v_fma_f64 v[48:49], v[36:37], v[48:49], s[6:7]
	s_mov_b32 s6, 0x7c89e6b0
	s_mov_b32 s7, 0x3efa0199
	s_delay_alu instid0(VALU_DEP_1) | instid1(SALU_CYCLE_1)
	v_fma_f64 v[48:49], v[36:37], v[48:49], s[6:7]
	s_mov_b32 s6, 0x14761f6e
	s_mov_b32 s7, 0x3f2a01a0
	s_delay_alu instid0(VALU_DEP_1) | instid1(SALU_CYCLE_1)
	;; [unrolled: 4-line block ×7, first 2 shown]
	v_fma_f64 v[48:49], v[36:37], v[48:49], s[6:7]
	s_mov_b32 s7, 0x3fe55555
	s_mov_b32 s6, 0x55555555
	s_delay_alu instid0(VALU_DEP_1) | instskip(NEXT) | instid1(VALU_DEP_1)
	v_fma_f64 v[48:49], v[36:37], v[48:49], 1.0
	v_fma_f64 v[34:35], v[36:37], v[48:49], 1.0
	s_delay_alu instid0(VALU_DEP_1) | instskip(NEXT) | instid1(VALU_DEP_1)
	v_ldexp_f64 v[34:35], v[34:35], v54
	v_cndmask_b32_e32 v35, 0x7ff00000, v35, vcc_lo
	s_and_b32 vcc_lo, s1, vcc_lo
	s_delay_alu instid0(VALU_DEP_1) | instskip(NEXT) | instid1(VALU_DEP_3)
	v_cndmask_b32_e64 v25, 0, v35, s1
	v_cndmask_b32_e32 v24, 0, v34, vcc_lo
	s_delay_alu instid0(VALU_DEP_1) | instskip(NEXT) | instid1(VALU_DEP_1)
	v_add_f64 v[34:35], v[24:25], 1.0
	v_frexp_mant_f64_e32 v[36:37], v[34:35]
	v_frexp_exp_i32_f64_e32 v54, v[34:35]
	v_add_f64 v[48:49], v[34:35], -1.0
	s_delay_alu instid0(VALU_DEP_3) | instskip(SKIP_1) | instid1(VALU_DEP_2)
	v_cmp_gt_f64_e32 vcc_lo, s[6:7], v[36:37]
	s_mov_b32 s6, 0x55555780
	v_add_f64 v[36:37], v[48:49], -v[34:35]
	v_add_f64 v[48:49], v[24:25], -v[48:49]
	v_subrev_co_ci_u32_e32 v100, vcc_lo, 0, v54, vcc_lo
	s_delay_alu instid0(VALU_DEP_3) | instskip(SKIP_1) | instid1(VALU_DEP_3)
	v_add_f64 v[36:37], v[36:37], 1.0
	v_cmp_eq_f64_e32 vcc_lo, 0x7ff00000, v[24:25]
	v_sub_nc_u32_e32 v68, 0, v100
	s_delay_alu instid0(VALU_DEP_1) | instskip(NEXT) | instid1(VALU_DEP_4)
	v_ldexp_f64 v[34:35], v[34:35], v68
	v_add_f64 v[36:37], v[48:49], v[36:37]
	s_delay_alu instid0(VALU_DEP_2) | instskip(SKIP_1) | instid1(VALU_DEP_3)
	v_add_f64 v[54:55], v[34:35], 1.0
	v_add_f64 v[82:83], v[34:35], -1.0
	v_ldexp_f64 v[36:37], v[36:37], v68
	s_delay_alu instid0(VALU_DEP_3) | instskip(NEXT) | instid1(VALU_DEP_3)
	v_add_f64 v[48:49], v[54:55], -1.0
	v_add_f64 v[84:85], v[82:83], 1.0
	s_delay_alu instid0(VALU_DEP_2) | instskip(NEXT) | instid1(VALU_DEP_2)
	v_add_f64 v[48:49], v[34:35], -v[48:49]
	v_add_f64 v[34:35], v[34:35], -v[84:85]
	s_delay_alu instid0(VALU_DEP_2) | instskip(NEXT) | instid1(VALU_DEP_2)
	v_add_f64 v[48:49], v[36:37], v[48:49]
	v_add_f64 v[34:35], v[36:37], v[34:35]
	s_delay_alu instid0(VALU_DEP_2) | instskip(NEXT) | instid1(VALU_DEP_2)
	v_add_f64 v[68:69], v[54:55], v[48:49]
	v_add_f64 v[84:85], v[82:83], v[34:35]
	s_delay_alu instid0(VALU_DEP_2) | instskip(SKIP_1) | instid1(VALU_DEP_2)
	v_rcp_f64_e32 v[80:81], v[68:69]
	v_add_f64 v[54:55], v[68:69], -v[54:55]
	v_add_f64 v[82:83], v[84:85], -v[82:83]
	s_delay_alu instid0(VALU_DEP_2) | instskip(SKIP_3) | instid1(VALU_DEP_2)
	v_add_f64 v[48:49], v[48:49], -v[54:55]
	s_waitcnt_depctr 0xfff
	v_fma_f64 v[86:87], -v[68:69], v[80:81], 1.0
	v_add_f64 v[34:35], v[34:35], -v[82:83]
	v_fma_f64 v[80:81], v[86:87], v[80:81], v[80:81]
	s_delay_alu instid0(VALU_DEP_1) | instskip(NEXT) | instid1(VALU_DEP_1)
	v_fma_f64 v[36:37], -v[68:69], v[80:81], 1.0
	v_fma_f64 v[36:37], v[36:37], v[80:81], v[80:81]
	s_delay_alu instid0(VALU_DEP_1) | instskip(NEXT) | instid1(VALU_DEP_1)
	v_mul_f64 v[80:81], v[84:85], v[36:37]
	v_mul_f64 v[86:87], v[68:69], v[80:81]
	s_delay_alu instid0(VALU_DEP_1) | instskip(NEXT) | instid1(VALU_DEP_1)
	v_fma_f64 v[54:55], v[80:81], v[68:69], -v[86:87]
	v_fma_f64 v[54:55], v[80:81], v[48:49], v[54:55]
	s_delay_alu instid0(VALU_DEP_1) | instskip(NEXT) | instid1(VALU_DEP_1)
	v_add_f64 v[96:97], v[86:87], v[54:55]
	v_add_f64 v[98:99], v[84:85], -v[96:97]
	v_add_f64 v[82:83], v[96:97], -v[86:87]
	s_delay_alu instid0(VALU_DEP_2) | instskip(NEXT) | instid1(VALU_DEP_2)
	v_add_f64 v[84:85], v[84:85], -v[98:99]
	v_add_f64 v[54:55], v[82:83], -v[54:55]
	s_delay_alu instid0(VALU_DEP_2) | instskip(NEXT) | instid1(VALU_DEP_1)
	v_add_f64 v[84:85], v[84:85], -v[96:97]
	v_add_f64 v[34:35], v[34:35], v[84:85]
	s_delay_alu instid0(VALU_DEP_1) | instskip(NEXT) | instid1(VALU_DEP_1)
	v_add_f64 v[34:35], v[54:55], v[34:35]
	v_add_f64 v[54:55], v[98:99], v[34:35]
	s_delay_alu instid0(VALU_DEP_1) | instskip(SKIP_1) | instid1(VALU_DEP_2)
	v_mul_f64 v[82:83], v[36:37], v[54:55]
	v_add_f64 v[96:97], v[98:99], -v[54:55]
	v_mul_f64 v[84:85], v[68:69], v[82:83]
	s_delay_alu instid0(VALU_DEP_2) | instskip(NEXT) | instid1(VALU_DEP_2)
	v_add_f64 v[34:35], v[34:35], v[96:97]
	v_fma_f64 v[68:69], v[82:83], v[68:69], -v[84:85]
	s_delay_alu instid0(VALU_DEP_1) | instskip(NEXT) | instid1(VALU_DEP_1)
	v_fma_f64 v[48:49], v[82:83], v[48:49], v[68:69]
	v_add_f64 v[68:69], v[84:85], v[48:49]
	s_delay_alu instid0(VALU_DEP_1) | instskip(SKIP_1) | instid1(VALU_DEP_2)
	v_add_f64 v[86:87], v[54:55], -v[68:69]
	v_add_f64 v[84:85], v[68:69], -v[84:85]
	;; [unrolled: 1-line block ×3, first 2 shown]
	s_delay_alu instid0(VALU_DEP_2) | instskip(NEXT) | instid1(VALU_DEP_2)
	v_add_f64 v[48:49], v[84:85], -v[48:49]
	v_add_f64 v[54:55], v[54:55], -v[68:69]
	s_delay_alu instid0(VALU_DEP_1) | instskip(SKIP_1) | instid1(VALU_DEP_2)
	v_add_f64 v[34:35], v[34:35], v[54:55]
	v_add_f64 v[54:55], v[80:81], v[82:83]
	;; [unrolled: 1-line block ×3, first 2 shown]
	s_delay_alu instid0(VALU_DEP_2) | instskip(NEXT) | instid1(VALU_DEP_2)
	v_add_f64 v[48:49], v[54:55], -v[80:81]
	v_add_f64 v[34:35], v[86:87], v[34:35]
	s_delay_alu instid0(VALU_DEP_2) | instskip(NEXT) | instid1(VALU_DEP_2)
	v_add_f64 v[48:49], v[82:83], -v[48:49]
	v_mul_f64 v[34:35], v[36:37], v[34:35]
	s_delay_alu instid0(VALU_DEP_1) | instskip(NEXT) | instid1(VALU_DEP_1)
	v_add_f64 v[34:35], v[48:49], v[34:35]
	v_add_f64 v[36:37], v[54:55], v[34:35]
	s_delay_alu instid0(VALU_DEP_1) | instskip(NEXT) | instid1(VALU_DEP_1)
	v_mul_f64 v[48:49], v[36:37], v[36:37]
	v_fma_f64 v[68:69], v[48:49], s[16:17], s[10:11]
	s_mov_b32 s10, 0xd7f4df2e
	s_mov_b32 s11, 0x3fc7474d
	v_mul_f64 v[80:81], v[36:37], v[48:49]
	s_delay_alu instid0(VALU_DEP_2)
	v_fma_f64 v[68:69], v[48:49], v[68:69], s[10:11]
	s_mov_b32 s10, 0x16291751
	s_mov_b32 s11, 0x3fcc71c0
	s_delay_alu instid0(VALU_DEP_1) | instid1(SALU_CYCLE_1)
	v_fma_f64 v[68:69], v[48:49], v[68:69], s[10:11]
	s_mov_b32 s10, 0x9b27acf1
	s_mov_b32 s11, 0x3fd24924
	s_delay_alu instid0(VALU_DEP_1) | instid1(SALU_CYCLE_1)
	;; [unrolled: 4-line block ×3, first 2 shown]
	v_fma_f64 v[68:69], v[48:49], v[68:69], s[10:11]
	s_delay_alu instid0(VALU_DEP_1) | instskip(SKIP_2) | instid1(VALU_DEP_3)
	v_fma_f64 v[48:49], v[48:49], v[68:69], s[6:7]
	v_ldexp_f64 v[68:69], v[36:37], 1
	v_add_f64 v[36:37], v[36:37], -v[54:55]
	v_mul_f64 v[48:49], v[80:81], v[48:49]
	v_cvt_f64_i32_e32 v[80:81], v100
	s_delay_alu instid0(VALU_DEP_3) | instskip(NEXT) | instid1(VALU_DEP_3)
	v_add_f64 v[34:35], v[34:35], -v[36:37]
	v_add_f64 v[54:55], v[68:69], v[48:49]
	s_delay_alu instid0(VALU_DEP_3) | instskip(NEXT) | instid1(VALU_DEP_3)
	v_mul_f64 v[82:83], v[80:81], s[2:3]
	v_ldexp_f64 v[34:35], v[34:35], 1
	s_delay_alu instid0(VALU_DEP_3) | instskip(NEXT) | instid1(VALU_DEP_3)
	v_add_f64 v[36:37], v[54:55], -v[68:69]
	v_fma_f64 v[68:69], v[80:81], s[2:3], -v[82:83]
	s_delay_alu instid0(VALU_DEP_2) | instskip(NEXT) | instid1(VALU_DEP_2)
	v_add_f64 v[36:37], v[48:49], -v[36:37]
	v_fma_f64 v[48:49], v[80:81], s[4:5], v[68:69]
	s_delay_alu instid0(VALU_DEP_2) | instskip(NEXT) | instid1(VALU_DEP_2)
	v_add_f64 v[34:35], v[34:35], v[36:37]
	v_add_f64 v[36:37], v[82:83], v[48:49]
	s_delay_alu instid0(VALU_DEP_2) | instskip(NEXT) | instid1(VALU_DEP_2)
	v_add_f64 v[68:69], v[54:55], v[34:35]
	v_add_f64 v[82:83], v[36:37], -v[82:83]
	s_delay_alu instid0(VALU_DEP_2) | instskip(SKIP_1) | instid1(VALU_DEP_3)
	v_add_f64 v[80:81], v[36:37], v[68:69]
	v_add_f64 v[54:55], v[68:69], -v[54:55]
	v_add_f64 v[48:49], v[48:49], -v[82:83]
	s_delay_alu instid0(VALU_DEP_3) | instskip(NEXT) | instid1(VALU_DEP_3)
	v_add_f64 v[84:85], v[80:81], -v[36:37]
	v_add_f64 v[34:35], v[34:35], -v[54:55]
	s_delay_alu instid0(VALU_DEP_2) | instskip(SKIP_1) | instid1(VALU_DEP_3)
	v_add_f64 v[86:87], v[80:81], -v[84:85]
	v_add_f64 v[54:55], v[68:69], -v[84:85]
	v_add_f64 v[68:69], v[48:49], v[34:35]
	s_delay_alu instid0(VALU_DEP_3) | instskip(NEXT) | instid1(VALU_DEP_1)
	v_add_f64 v[36:37], v[36:37], -v[86:87]
	v_add_f64 v[36:37], v[54:55], v[36:37]
	s_delay_alu instid0(VALU_DEP_3) | instskip(NEXT) | instid1(VALU_DEP_2)
	v_add_f64 v[54:55], v[68:69], -v[48:49]
	v_add_f64 v[36:37], v[68:69], v[36:37]
	s_delay_alu instid0(VALU_DEP_2) | instskip(SKIP_1) | instid1(VALU_DEP_3)
	v_add_f64 v[68:69], v[68:69], -v[54:55]
	v_add_f64 v[34:35], v[34:35], -v[54:55]
	v_add_f64 v[82:83], v[80:81], v[36:37]
	s_delay_alu instid0(VALU_DEP_3) | instskip(NEXT) | instid1(VALU_DEP_2)
	v_add_f64 v[48:49], v[48:49], -v[68:69]
	v_add_f64 v[54:55], v[82:83], -v[80:81]
	s_delay_alu instid0(VALU_DEP_2) | instskip(NEXT) | instid1(VALU_DEP_2)
	v_add_f64 v[34:35], v[34:35], v[48:49]
	v_add_f64 v[36:37], v[36:37], -v[54:55]
	s_delay_alu instid0(VALU_DEP_1) | instskip(NEXT) | instid1(VALU_DEP_1)
	v_add_f64 v[34:35], v[34:35], v[36:37]
	v_add_f64 v[34:35], v[82:83], v[34:35]
	s_delay_alu instid0(VALU_DEP_1) | instskip(SKIP_1) | instid1(VALU_DEP_2)
	v_dual_cndmask_b32 v35, v35, v25 :: v_dual_cndmask_b32 v34, v34, v24
	v_cmp_ngt_f64_e32 vcc_lo, -1.0, v[24:25]
	v_cndmask_b32_e32 v35, 0x7ff80000, v35, vcc_lo
	v_cmp_nge_f64_e32 vcc_lo, -1.0, v[24:25]
	s_delay_alu instid0(VALU_DEP_4) | instskip(SKIP_1) | instid1(VALU_DEP_4)
	v_cndmask_b32_e32 v34, 0, v34, vcc_lo
	v_cmp_neq_f64_e32 vcc_lo, -1.0, v[24:25]
	v_cndmask_b32_e32 v35, 0xfff00000, v35, vcc_lo
	s_delay_alu instid0(VALU_DEP_1)
	v_add_f64 v[24:25], v[32:33], v[34:35]
.LBB76_358:
	s_or_b32 exec_lo, exec_lo, s8
	s_delay_alu instid0(VALU_DEP_1) | instskip(SKIP_1) | instid1(VALU_DEP_2)
	v_max_f64 v[32:33], v[24:25], v[24:25]
	v_cmp_u_f64_e32 vcc_lo, v[24:25], v[24:25]
	v_min_f64 v[34:35], v[32:33], v[26:27]
	v_max_f64 v[26:27], v[32:33], v[26:27]
	s_delay_alu instid0(VALU_DEP_2) | instskip(NEXT) | instid1(VALU_DEP_2)
	v_dual_cndmask_b32 v32, v34, v24 :: v_dual_cndmask_b32 v33, v35, v25
	v_dual_cndmask_b32 v27, v27, v25 :: v_dual_cndmask_b32 v26, v26, v24
	s_delay_alu instid0(VALU_DEP_2) | instskip(NEXT) | instid1(VALU_DEP_3)
	v_cndmask_b32_e64 v34, v32, v70, s13
	v_cndmask_b32_e64 v35, v33, v71, s13
	s_delay_alu instid0(VALU_DEP_3) | instskip(NEXT) | instid1(VALU_DEP_4)
	v_cndmask_b32_e64 v33, v27, v71, s13
	v_cndmask_b32_e64 v32, v26, v70, s13
	v_dual_mov_b32 v27, v25 :: v_dual_mov_b32 v26, v24
	s_delay_alu instid0(VALU_DEP_4) | instskip(NEXT) | instid1(VALU_DEP_3)
	v_cmp_class_f64_e64 s1, v[34:35], 0x1f8
	v_cmp_neq_f64_e32 vcc_lo, v[34:35], v[32:33]
	s_delay_alu instid0(VALU_DEP_2) | instskip(NEXT) | instid1(SALU_CYCLE_1)
	s_or_b32 s1, vcc_lo, s1
	s_and_saveexec_b32 s8, s1
	s_cbranch_execz .LBB76_360
; %bb.359:
	v_add_f64 v[26:27], v[34:35], -v[32:33]
	s_mov_b32 s2, 0x652b82fe
	s_mov_b32 s3, 0x3ff71547
	s_mov_b32 s5, 0xbc7abc9e
	s_mov_b32 s4, 0x3b39803f
	s_mov_b32 s6, 0xfca7ab0c
	s_mov_b32 s10, 0x6a5dcb37
	s_mov_b32 s7, 0x3e928af3
	s_mov_b32 s11, 0x3e5ade15
	s_mov_b32 s12, 0xbf559e2b
	s_mov_b32 s13, 0x3fc3ab76
	s_delay_alu instid0(VALU_DEP_1) | instskip(SKIP_4) | instid1(VALU_DEP_3)
	v_mul_f64 v[34:35], v[26:27], s[2:3]
	s_mov_b32 s3, 0xbfe62e42
	s_mov_b32 s2, 0xfefa39ef
	v_cmp_nlt_f64_e32 vcc_lo, 0x40900000, v[26:27]
	v_cmp_ngt_f64_e64 s1, 0xc090cc00, v[26:27]
	v_rndne_f64_e32 v[34:35], v[34:35]
	s_delay_alu instid0(VALU_DEP_1) | instskip(SKIP_2) | instid1(VALU_DEP_2)
	v_fma_f64 v[36:37], v[34:35], s[2:3], v[26:27]
	v_cvt_i32_f64_e32 v54, v[34:35]
	s_mov_b32 s3, 0x3fe62e42
	v_fma_f64 v[36:37], v[34:35], s[4:5], v[36:37]
	s_mov_b32 s5, 0x3c7abc9e
	s_waitcnt lgkmcnt(0)
	s_delay_alu instid0(VALU_DEP_1) | instskip(SKIP_4) | instid1(VALU_DEP_1)
	v_fma_f64 v[48:49], v[36:37], s[10:11], s[6:7]
	s_mov_b32 s6, 0x623fde64
	s_mov_b32 s7, 0x3ec71dee
	;; [unrolled: 1-line block ×4, first 2 shown]
	v_fma_f64 v[48:49], v[36:37], v[48:49], s[6:7]
	s_mov_b32 s6, 0x7c89e6b0
	s_mov_b32 s7, 0x3efa0199
	s_delay_alu instid0(VALU_DEP_1) | instid1(SALU_CYCLE_1)
	v_fma_f64 v[48:49], v[36:37], v[48:49], s[6:7]
	s_mov_b32 s6, 0x14761f6e
	s_mov_b32 s7, 0x3f2a01a0
	s_delay_alu instid0(VALU_DEP_1) | instid1(SALU_CYCLE_1)
	;; [unrolled: 4-line block ×7, first 2 shown]
	v_fma_f64 v[48:49], v[36:37], v[48:49], s[6:7]
	s_mov_b32 s7, 0x3fe55555
	s_mov_b32 s6, 0x55555555
	s_delay_alu instid0(VALU_DEP_1) | instskip(NEXT) | instid1(VALU_DEP_1)
	v_fma_f64 v[48:49], v[36:37], v[48:49], 1.0
	v_fma_f64 v[34:35], v[36:37], v[48:49], 1.0
	s_delay_alu instid0(VALU_DEP_1) | instskip(NEXT) | instid1(VALU_DEP_1)
	v_ldexp_f64 v[34:35], v[34:35], v54
	v_cndmask_b32_e32 v35, 0x7ff00000, v35, vcc_lo
	s_and_b32 vcc_lo, s1, vcc_lo
	s_delay_alu instid0(VALU_DEP_1) | instskip(NEXT) | instid1(VALU_DEP_3)
	v_cndmask_b32_e64 v27, 0, v35, s1
	v_cndmask_b32_e32 v26, 0, v34, vcc_lo
	s_delay_alu instid0(VALU_DEP_1) | instskip(NEXT) | instid1(VALU_DEP_1)
	v_add_f64 v[34:35], v[26:27], 1.0
	v_frexp_mant_f64_e32 v[36:37], v[34:35]
	v_frexp_exp_i32_f64_e32 v54, v[34:35]
	v_add_f64 v[48:49], v[34:35], -1.0
	s_delay_alu instid0(VALU_DEP_3) | instskip(SKIP_1) | instid1(VALU_DEP_2)
	v_cmp_gt_f64_e32 vcc_lo, s[6:7], v[36:37]
	s_mov_b32 s6, 0x55555780
	v_add_f64 v[36:37], v[48:49], -v[34:35]
	v_add_f64 v[48:49], v[26:27], -v[48:49]
	v_subrev_co_ci_u32_e32 v98, vcc_lo, 0, v54, vcc_lo
	s_delay_alu instid0(VALU_DEP_3) | instskip(SKIP_1) | instid1(VALU_DEP_3)
	v_add_f64 v[36:37], v[36:37], 1.0
	v_cmp_eq_f64_e32 vcc_lo, 0x7ff00000, v[26:27]
	v_sub_nc_u32_e32 v68, 0, v98
	s_delay_alu instid0(VALU_DEP_1) | instskip(NEXT) | instid1(VALU_DEP_4)
	v_ldexp_f64 v[34:35], v[34:35], v68
	v_add_f64 v[36:37], v[48:49], v[36:37]
	s_delay_alu instid0(VALU_DEP_2) | instskip(SKIP_1) | instid1(VALU_DEP_3)
	v_add_f64 v[54:55], v[34:35], 1.0
	v_add_f64 v[80:81], v[34:35], -1.0
	v_ldexp_f64 v[36:37], v[36:37], v68
	s_delay_alu instid0(VALU_DEP_3) | instskip(NEXT) | instid1(VALU_DEP_3)
	v_add_f64 v[48:49], v[54:55], -1.0
	v_add_f64 v[82:83], v[80:81], 1.0
	s_delay_alu instid0(VALU_DEP_2) | instskip(NEXT) | instid1(VALU_DEP_2)
	v_add_f64 v[48:49], v[34:35], -v[48:49]
	v_add_f64 v[34:35], v[34:35], -v[82:83]
	s_delay_alu instid0(VALU_DEP_2) | instskip(NEXT) | instid1(VALU_DEP_2)
	v_add_f64 v[48:49], v[36:37], v[48:49]
	v_add_f64 v[34:35], v[36:37], v[34:35]
	s_delay_alu instid0(VALU_DEP_2) | instskip(NEXT) | instid1(VALU_DEP_2)
	v_add_f64 v[68:69], v[54:55], v[48:49]
	v_add_f64 v[82:83], v[80:81], v[34:35]
	s_delay_alu instid0(VALU_DEP_2) | instskip(SKIP_1) | instid1(VALU_DEP_2)
	v_rcp_f64_e32 v[70:71], v[68:69]
	v_add_f64 v[54:55], v[68:69], -v[54:55]
	v_add_f64 v[80:81], v[82:83], -v[80:81]
	s_delay_alu instid0(VALU_DEP_2) | instskip(SKIP_3) | instid1(VALU_DEP_2)
	v_add_f64 v[48:49], v[48:49], -v[54:55]
	s_waitcnt_depctr 0xfff
	v_fma_f64 v[84:85], -v[68:69], v[70:71], 1.0
	v_add_f64 v[34:35], v[34:35], -v[80:81]
	v_fma_f64 v[70:71], v[84:85], v[70:71], v[70:71]
	s_delay_alu instid0(VALU_DEP_1) | instskip(NEXT) | instid1(VALU_DEP_1)
	v_fma_f64 v[36:37], -v[68:69], v[70:71], 1.0
	v_fma_f64 v[36:37], v[36:37], v[70:71], v[70:71]
	s_delay_alu instid0(VALU_DEP_1) | instskip(NEXT) | instid1(VALU_DEP_1)
	v_mul_f64 v[70:71], v[82:83], v[36:37]
	v_mul_f64 v[84:85], v[68:69], v[70:71]
	s_delay_alu instid0(VALU_DEP_1) | instskip(NEXT) | instid1(VALU_DEP_1)
	v_fma_f64 v[54:55], v[70:71], v[68:69], -v[84:85]
	v_fma_f64 v[54:55], v[70:71], v[48:49], v[54:55]
	s_delay_alu instid0(VALU_DEP_1) | instskip(NEXT) | instid1(VALU_DEP_1)
	v_add_f64 v[86:87], v[84:85], v[54:55]
	v_add_f64 v[96:97], v[82:83], -v[86:87]
	v_add_f64 v[80:81], v[86:87], -v[84:85]
	s_delay_alu instid0(VALU_DEP_2) | instskip(NEXT) | instid1(VALU_DEP_2)
	v_add_f64 v[82:83], v[82:83], -v[96:97]
	v_add_f64 v[54:55], v[80:81], -v[54:55]
	s_delay_alu instid0(VALU_DEP_2) | instskip(NEXT) | instid1(VALU_DEP_1)
	v_add_f64 v[82:83], v[82:83], -v[86:87]
	v_add_f64 v[34:35], v[34:35], v[82:83]
	s_delay_alu instid0(VALU_DEP_1) | instskip(NEXT) | instid1(VALU_DEP_1)
	v_add_f64 v[34:35], v[54:55], v[34:35]
	v_add_f64 v[54:55], v[96:97], v[34:35]
	s_delay_alu instid0(VALU_DEP_1) | instskip(SKIP_1) | instid1(VALU_DEP_2)
	v_mul_f64 v[80:81], v[36:37], v[54:55]
	v_add_f64 v[86:87], v[96:97], -v[54:55]
	v_mul_f64 v[82:83], v[68:69], v[80:81]
	s_delay_alu instid0(VALU_DEP_2) | instskip(NEXT) | instid1(VALU_DEP_2)
	v_add_f64 v[34:35], v[34:35], v[86:87]
	v_fma_f64 v[68:69], v[80:81], v[68:69], -v[82:83]
	s_delay_alu instid0(VALU_DEP_1) | instskip(NEXT) | instid1(VALU_DEP_1)
	v_fma_f64 v[48:49], v[80:81], v[48:49], v[68:69]
	v_add_f64 v[68:69], v[82:83], v[48:49]
	s_delay_alu instid0(VALU_DEP_1) | instskip(SKIP_1) | instid1(VALU_DEP_2)
	v_add_f64 v[84:85], v[54:55], -v[68:69]
	v_add_f64 v[82:83], v[68:69], -v[82:83]
	;; [unrolled: 1-line block ×3, first 2 shown]
	s_delay_alu instid0(VALU_DEP_2) | instskip(NEXT) | instid1(VALU_DEP_2)
	v_add_f64 v[48:49], v[82:83], -v[48:49]
	v_add_f64 v[54:55], v[54:55], -v[68:69]
	s_delay_alu instid0(VALU_DEP_1) | instskip(SKIP_1) | instid1(VALU_DEP_2)
	v_add_f64 v[34:35], v[34:35], v[54:55]
	v_add_f64 v[54:55], v[70:71], v[80:81]
	;; [unrolled: 1-line block ×3, first 2 shown]
	s_delay_alu instid0(VALU_DEP_2) | instskip(NEXT) | instid1(VALU_DEP_2)
	v_add_f64 v[48:49], v[54:55], -v[70:71]
	v_add_f64 v[34:35], v[84:85], v[34:35]
	s_delay_alu instid0(VALU_DEP_2) | instskip(NEXT) | instid1(VALU_DEP_2)
	v_add_f64 v[48:49], v[80:81], -v[48:49]
	v_mul_f64 v[34:35], v[36:37], v[34:35]
	s_delay_alu instid0(VALU_DEP_1) | instskip(NEXT) | instid1(VALU_DEP_1)
	v_add_f64 v[34:35], v[48:49], v[34:35]
	v_add_f64 v[36:37], v[54:55], v[34:35]
	s_delay_alu instid0(VALU_DEP_1) | instskip(NEXT) | instid1(VALU_DEP_1)
	v_mul_f64 v[48:49], v[36:37], v[36:37]
	v_fma_f64 v[68:69], v[48:49], s[12:13], s[10:11]
	s_mov_b32 s10, 0xd7f4df2e
	s_mov_b32 s11, 0x3fc7474d
	v_mul_f64 v[70:71], v[36:37], v[48:49]
	s_delay_alu instid0(VALU_DEP_2)
	v_fma_f64 v[68:69], v[48:49], v[68:69], s[10:11]
	s_mov_b32 s10, 0x16291751
	s_mov_b32 s11, 0x3fcc71c0
	s_delay_alu instid0(VALU_DEP_1) | instid1(SALU_CYCLE_1)
	v_fma_f64 v[68:69], v[48:49], v[68:69], s[10:11]
	s_mov_b32 s10, 0x9b27acf1
	s_mov_b32 s11, 0x3fd24924
	s_delay_alu instid0(VALU_DEP_1) | instid1(SALU_CYCLE_1)
	;; [unrolled: 4-line block ×3, first 2 shown]
	v_fma_f64 v[68:69], v[48:49], v[68:69], s[10:11]
	s_delay_alu instid0(VALU_DEP_1) | instskip(SKIP_2) | instid1(VALU_DEP_3)
	v_fma_f64 v[48:49], v[48:49], v[68:69], s[6:7]
	v_ldexp_f64 v[68:69], v[36:37], 1
	v_add_f64 v[36:37], v[36:37], -v[54:55]
	v_mul_f64 v[48:49], v[70:71], v[48:49]
	v_cvt_f64_i32_e32 v[70:71], v98
	s_delay_alu instid0(VALU_DEP_3) | instskip(NEXT) | instid1(VALU_DEP_3)
	v_add_f64 v[34:35], v[34:35], -v[36:37]
	v_add_f64 v[54:55], v[68:69], v[48:49]
	s_delay_alu instid0(VALU_DEP_3) | instskip(NEXT) | instid1(VALU_DEP_3)
	v_mul_f64 v[80:81], v[70:71], s[2:3]
	v_ldexp_f64 v[34:35], v[34:35], 1
	s_delay_alu instid0(VALU_DEP_3) | instskip(NEXT) | instid1(VALU_DEP_3)
	v_add_f64 v[36:37], v[54:55], -v[68:69]
	v_fma_f64 v[68:69], v[70:71], s[2:3], -v[80:81]
	s_delay_alu instid0(VALU_DEP_2) | instskip(NEXT) | instid1(VALU_DEP_2)
	v_add_f64 v[36:37], v[48:49], -v[36:37]
	v_fma_f64 v[48:49], v[70:71], s[4:5], v[68:69]
	s_delay_alu instid0(VALU_DEP_2) | instskip(NEXT) | instid1(VALU_DEP_2)
	v_add_f64 v[34:35], v[34:35], v[36:37]
	v_add_f64 v[36:37], v[80:81], v[48:49]
	s_delay_alu instid0(VALU_DEP_2) | instskip(NEXT) | instid1(VALU_DEP_2)
	v_add_f64 v[68:69], v[54:55], v[34:35]
	v_add_f64 v[80:81], v[36:37], -v[80:81]
	s_delay_alu instid0(VALU_DEP_2) | instskip(SKIP_1) | instid1(VALU_DEP_3)
	v_add_f64 v[70:71], v[36:37], v[68:69]
	v_add_f64 v[54:55], v[68:69], -v[54:55]
	v_add_f64 v[48:49], v[48:49], -v[80:81]
	s_delay_alu instid0(VALU_DEP_3) | instskip(NEXT) | instid1(VALU_DEP_3)
	v_add_f64 v[82:83], v[70:71], -v[36:37]
	v_add_f64 v[34:35], v[34:35], -v[54:55]
	s_delay_alu instid0(VALU_DEP_2) | instskip(SKIP_1) | instid1(VALU_DEP_3)
	v_add_f64 v[84:85], v[70:71], -v[82:83]
	v_add_f64 v[54:55], v[68:69], -v[82:83]
	v_add_f64 v[68:69], v[48:49], v[34:35]
	s_delay_alu instid0(VALU_DEP_3) | instskip(NEXT) | instid1(VALU_DEP_1)
	v_add_f64 v[36:37], v[36:37], -v[84:85]
	v_add_f64 v[36:37], v[54:55], v[36:37]
	s_delay_alu instid0(VALU_DEP_3) | instskip(NEXT) | instid1(VALU_DEP_2)
	v_add_f64 v[54:55], v[68:69], -v[48:49]
	v_add_f64 v[36:37], v[68:69], v[36:37]
	s_delay_alu instid0(VALU_DEP_2) | instskip(SKIP_1) | instid1(VALU_DEP_3)
	v_add_f64 v[68:69], v[68:69], -v[54:55]
	v_add_f64 v[34:35], v[34:35], -v[54:55]
	v_add_f64 v[80:81], v[70:71], v[36:37]
	s_delay_alu instid0(VALU_DEP_3) | instskip(NEXT) | instid1(VALU_DEP_2)
	v_add_f64 v[48:49], v[48:49], -v[68:69]
	v_add_f64 v[54:55], v[80:81], -v[70:71]
	s_delay_alu instid0(VALU_DEP_2) | instskip(NEXT) | instid1(VALU_DEP_2)
	v_add_f64 v[34:35], v[34:35], v[48:49]
	v_add_f64 v[36:37], v[36:37], -v[54:55]
	s_delay_alu instid0(VALU_DEP_1) | instskip(NEXT) | instid1(VALU_DEP_1)
	v_add_f64 v[34:35], v[34:35], v[36:37]
	v_add_f64 v[34:35], v[80:81], v[34:35]
	s_delay_alu instid0(VALU_DEP_1) | instskip(SKIP_1) | instid1(VALU_DEP_2)
	v_dual_cndmask_b32 v35, v35, v27 :: v_dual_cndmask_b32 v34, v34, v26
	v_cmp_ngt_f64_e32 vcc_lo, -1.0, v[26:27]
	v_cndmask_b32_e32 v35, 0x7ff80000, v35, vcc_lo
	v_cmp_nge_f64_e32 vcc_lo, -1.0, v[26:27]
	s_delay_alu instid0(VALU_DEP_4) | instskip(SKIP_1) | instid1(VALU_DEP_4)
	v_cndmask_b32_e32 v34, 0, v34, vcc_lo
	v_cmp_neq_f64_e32 vcc_lo, -1.0, v[26:27]
	v_cndmask_b32_e32 v35, 0xfff00000, v35, vcc_lo
	s_delay_alu instid0(VALU_DEP_1)
	v_add_f64 v[26:27], v[32:33], v[34:35]
.LBB76_360:
	s_or_b32 exec_lo, exec_lo, s8
	s_delay_alu instid0(VALU_DEP_1) | instskip(SKIP_1) | instid1(VALU_DEP_2)
	v_max_f64 v[32:33], v[26:27], v[26:27]
	v_cmp_u_f64_e32 vcc_lo, v[26:27], v[26:27]
	v_min_f64 v[34:35], v[32:33], v[28:29]
	v_max_f64 v[28:29], v[32:33], v[28:29]
	s_delay_alu instid0(VALU_DEP_2) | instskip(NEXT) | instid1(VALU_DEP_2)
	v_dual_cndmask_b32 v32, v34, v26 :: v_dual_cndmask_b32 v33, v35, v27
	v_dual_cndmask_b32 v29, v29, v27 :: v_dual_cndmask_b32 v28, v28, v26
	s_delay_alu instid0(VALU_DEP_2) | instskip(NEXT) | instid1(VALU_DEP_3)
	v_cndmask_b32_e64 v34, v32, v64, s14
	v_cndmask_b32_e64 v35, v33, v65, s14
	s_delay_alu instid0(VALU_DEP_3) | instskip(NEXT) | instid1(VALU_DEP_4)
	v_cndmask_b32_e64 v33, v29, v65, s14
	v_cndmask_b32_e64 v32, v28, v64, s14
	v_dual_mov_b32 v29, v27 :: v_dual_mov_b32 v28, v26
	s_delay_alu instid0(VALU_DEP_4) | instskip(NEXT) | instid1(VALU_DEP_3)
	v_cmp_class_f64_e64 s1, v[34:35], 0x1f8
	v_cmp_neq_f64_e32 vcc_lo, v[34:35], v[32:33]
	s_delay_alu instid0(VALU_DEP_2) | instskip(NEXT) | instid1(SALU_CYCLE_1)
	s_or_b32 s1, vcc_lo, s1
	s_and_saveexec_b32 s8, s1
	s_cbranch_execz .LBB76_362
; %bb.361:
	v_add_f64 v[28:29], v[34:35], -v[32:33]
	s_mov_b32 s2, 0x652b82fe
	s_mov_b32 s3, 0x3ff71547
	;; [unrolled: 1-line block ×10, first 2 shown]
	s_delay_alu instid0(VALU_DEP_1) | instskip(SKIP_4) | instid1(VALU_DEP_3)
	v_mul_f64 v[34:35], v[28:29], s[2:3]
	s_mov_b32 s3, 0xbfe62e42
	s_mov_b32 s2, 0xfefa39ef
	v_cmp_nlt_f64_e32 vcc_lo, 0x40900000, v[28:29]
	v_cmp_ngt_f64_e64 s1, 0xc090cc00, v[28:29]
	v_rndne_f64_e32 v[34:35], v[34:35]
	s_delay_alu instid0(VALU_DEP_1) | instskip(SKIP_2) | instid1(VALU_DEP_2)
	v_fma_f64 v[36:37], v[34:35], s[2:3], v[28:29]
	v_cvt_i32_f64_e32 v54, v[34:35]
	s_mov_b32 s3, 0x3fe62e42
	v_fma_f64 v[36:37], v[34:35], s[4:5], v[36:37]
	s_mov_b32 s5, 0x3c7abc9e
	s_waitcnt lgkmcnt(0)
	s_delay_alu instid0(VALU_DEP_1) | instskip(SKIP_4) | instid1(VALU_DEP_1)
	v_fma_f64 v[48:49], v[36:37], s[10:11], s[6:7]
	s_mov_b32 s6, 0x623fde64
	s_mov_b32 s7, 0x3ec71dee
	;; [unrolled: 1-line block ×4, first 2 shown]
	v_fma_f64 v[48:49], v[36:37], v[48:49], s[6:7]
	s_mov_b32 s6, 0x7c89e6b0
	s_mov_b32 s7, 0x3efa0199
	s_delay_alu instid0(VALU_DEP_1) | instid1(SALU_CYCLE_1)
	v_fma_f64 v[48:49], v[36:37], v[48:49], s[6:7]
	s_mov_b32 s6, 0x14761f6e
	s_mov_b32 s7, 0x3f2a01a0
	s_delay_alu instid0(VALU_DEP_1) | instid1(SALU_CYCLE_1)
	v_fma_f64 v[48:49], v[36:37], v[48:49], s[6:7]
	s_mov_b32 s6, 0x1852b7b0
	s_mov_b32 s7, 0x3f56c16c
	s_delay_alu instid0(VALU_DEP_1) | instid1(SALU_CYCLE_1)
	v_fma_f64 v[48:49], v[36:37], v[48:49], s[6:7]
	s_mov_b32 s6, 0x11122322
	s_mov_b32 s7, 0x3f811111
	s_delay_alu instid0(VALU_DEP_1) | instid1(SALU_CYCLE_1)
	v_fma_f64 v[48:49], v[36:37], v[48:49], s[6:7]
	s_mov_b32 s6, 0x555502a1
	s_mov_b32 s7, 0x3fa55555
	s_delay_alu instid0(VALU_DEP_1) | instid1(SALU_CYCLE_1)
	v_fma_f64 v[48:49], v[36:37], v[48:49], s[6:7]
	s_mov_b32 s6, 0x55555511
	s_mov_b32 s7, 0x3fc55555
	s_delay_alu instid0(VALU_DEP_1) | instid1(SALU_CYCLE_1)
	v_fma_f64 v[48:49], v[36:37], v[48:49], s[6:7]
	s_mov_b32 s6, 11
	s_mov_b32 s7, 0x3fe00000
	s_delay_alu instid0(VALU_DEP_1) | instid1(SALU_CYCLE_1)
	v_fma_f64 v[48:49], v[36:37], v[48:49], s[6:7]
	s_mov_b32 s7, 0x3fe55555
	s_mov_b32 s6, 0x55555555
	s_delay_alu instid0(VALU_DEP_1) | instskip(NEXT) | instid1(VALU_DEP_1)
	v_fma_f64 v[48:49], v[36:37], v[48:49], 1.0
	v_fma_f64 v[34:35], v[36:37], v[48:49], 1.0
	s_delay_alu instid0(VALU_DEP_1) | instskip(NEXT) | instid1(VALU_DEP_1)
	v_ldexp_f64 v[34:35], v[34:35], v54
	v_cndmask_b32_e32 v35, 0x7ff00000, v35, vcc_lo
	s_and_b32 vcc_lo, s1, vcc_lo
	s_delay_alu instid0(VALU_DEP_1) | instskip(NEXT) | instid1(VALU_DEP_3)
	v_cndmask_b32_e64 v29, 0, v35, s1
	v_cndmask_b32_e32 v28, 0, v34, vcc_lo
	s_delay_alu instid0(VALU_DEP_1) | instskip(NEXT) | instid1(VALU_DEP_1)
	v_add_f64 v[34:35], v[28:29], 1.0
	v_frexp_mant_f64_e32 v[36:37], v[34:35]
	v_frexp_exp_i32_f64_e32 v54, v[34:35]
	v_add_f64 v[48:49], v[34:35], -1.0
	s_delay_alu instid0(VALU_DEP_3) | instskip(SKIP_1) | instid1(VALU_DEP_2)
	v_cmp_gt_f64_e32 vcc_lo, s[6:7], v[36:37]
	s_mov_b32 s6, 0x55555780
	v_add_f64 v[36:37], v[48:49], -v[34:35]
	v_add_f64 v[48:49], v[28:29], -v[48:49]
	v_subrev_co_ci_u32_e32 v96, vcc_lo, 0, v54, vcc_lo
	s_delay_alu instid0(VALU_DEP_3) | instskip(SKIP_1) | instid1(VALU_DEP_3)
	v_add_f64 v[36:37], v[36:37], 1.0
	v_cmp_eq_f64_e32 vcc_lo, 0x7ff00000, v[28:29]
	v_sub_nc_u32_e32 v64, 0, v96
	s_delay_alu instid0(VALU_DEP_1) | instskip(NEXT) | instid1(VALU_DEP_4)
	v_ldexp_f64 v[34:35], v[34:35], v64
	v_add_f64 v[36:37], v[48:49], v[36:37]
	s_delay_alu instid0(VALU_DEP_2) | instskip(SKIP_1) | instid1(VALU_DEP_3)
	v_add_f64 v[54:55], v[34:35], 1.0
	v_add_f64 v[70:71], v[34:35], -1.0
	v_ldexp_f64 v[36:37], v[36:37], v64
	s_delay_alu instid0(VALU_DEP_3) | instskip(NEXT) | instid1(VALU_DEP_3)
	v_add_f64 v[48:49], v[54:55], -1.0
	v_add_f64 v[80:81], v[70:71], 1.0
	s_delay_alu instid0(VALU_DEP_2) | instskip(NEXT) | instid1(VALU_DEP_2)
	v_add_f64 v[48:49], v[34:35], -v[48:49]
	v_add_f64 v[34:35], v[34:35], -v[80:81]
	s_delay_alu instid0(VALU_DEP_2) | instskip(NEXT) | instid1(VALU_DEP_2)
	v_add_f64 v[48:49], v[36:37], v[48:49]
	v_add_f64 v[34:35], v[36:37], v[34:35]
	s_delay_alu instid0(VALU_DEP_2) | instskip(NEXT) | instid1(VALU_DEP_2)
	v_add_f64 v[64:65], v[54:55], v[48:49]
	v_add_f64 v[80:81], v[70:71], v[34:35]
	s_delay_alu instid0(VALU_DEP_2) | instskip(SKIP_1) | instid1(VALU_DEP_2)
	v_rcp_f64_e32 v[68:69], v[64:65]
	v_add_f64 v[54:55], v[64:65], -v[54:55]
	v_add_f64 v[70:71], v[80:81], -v[70:71]
	s_delay_alu instid0(VALU_DEP_2) | instskip(SKIP_3) | instid1(VALU_DEP_2)
	v_add_f64 v[48:49], v[48:49], -v[54:55]
	s_waitcnt_depctr 0xfff
	v_fma_f64 v[82:83], -v[64:65], v[68:69], 1.0
	v_add_f64 v[34:35], v[34:35], -v[70:71]
	v_fma_f64 v[68:69], v[82:83], v[68:69], v[68:69]
	s_delay_alu instid0(VALU_DEP_1) | instskip(NEXT) | instid1(VALU_DEP_1)
	v_fma_f64 v[36:37], -v[64:65], v[68:69], 1.0
	v_fma_f64 v[36:37], v[36:37], v[68:69], v[68:69]
	s_delay_alu instid0(VALU_DEP_1) | instskip(NEXT) | instid1(VALU_DEP_1)
	v_mul_f64 v[68:69], v[80:81], v[36:37]
	v_mul_f64 v[82:83], v[64:65], v[68:69]
	s_delay_alu instid0(VALU_DEP_1) | instskip(NEXT) | instid1(VALU_DEP_1)
	v_fma_f64 v[54:55], v[68:69], v[64:65], -v[82:83]
	v_fma_f64 v[54:55], v[68:69], v[48:49], v[54:55]
	s_delay_alu instid0(VALU_DEP_1) | instskip(NEXT) | instid1(VALU_DEP_1)
	v_add_f64 v[84:85], v[82:83], v[54:55]
	v_add_f64 v[86:87], v[80:81], -v[84:85]
	v_add_f64 v[70:71], v[84:85], -v[82:83]
	s_delay_alu instid0(VALU_DEP_2) | instskip(NEXT) | instid1(VALU_DEP_2)
	v_add_f64 v[80:81], v[80:81], -v[86:87]
	v_add_f64 v[54:55], v[70:71], -v[54:55]
	s_delay_alu instid0(VALU_DEP_2) | instskip(NEXT) | instid1(VALU_DEP_1)
	v_add_f64 v[80:81], v[80:81], -v[84:85]
	v_add_f64 v[34:35], v[34:35], v[80:81]
	s_delay_alu instid0(VALU_DEP_1) | instskip(NEXT) | instid1(VALU_DEP_1)
	v_add_f64 v[34:35], v[54:55], v[34:35]
	v_add_f64 v[54:55], v[86:87], v[34:35]
	s_delay_alu instid0(VALU_DEP_1) | instskip(SKIP_1) | instid1(VALU_DEP_2)
	v_mul_f64 v[70:71], v[36:37], v[54:55]
	v_add_f64 v[84:85], v[86:87], -v[54:55]
	v_mul_f64 v[80:81], v[64:65], v[70:71]
	s_delay_alu instid0(VALU_DEP_2) | instskip(NEXT) | instid1(VALU_DEP_2)
	v_add_f64 v[34:35], v[34:35], v[84:85]
	v_fma_f64 v[64:65], v[70:71], v[64:65], -v[80:81]
	s_delay_alu instid0(VALU_DEP_1) | instskip(NEXT) | instid1(VALU_DEP_1)
	v_fma_f64 v[48:49], v[70:71], v[48:49], v[64:65]
	v_add_f64 v[64:65], v[80:81], v[48:49]
	s_delay_alu instid0(VALU_DEP_1) | instskip(SKIP_1) | instid1(VALU_DEP_2)
	v_add_f64 v[82:83], v[54:55], -v[64:65]
	v_add_f64 v[80:81], v[64:65], -v[80:81]
	;; [unrolled: 1-line block ×3, first 2 shown]
	s_delay_alu instid0(VALU_DEP_2) | instskip(NEXT) | instid1(VALU_DEP_2)
	v_add_f64 v[48:49], v[80:81], -v[48:49]
	v_add_f64 v[54:55], v[54:55], -v[64:65]
	s_delay_alu instid0(VALU_DEP_1) | instskip(SKIP_1) | instid1(VALU_DEP_2)
	v_add_f64 v[34:35], v[34:35], v[54:55]
	v_add_f64 v[54:55], v[68:69], v[70:71]
	;; [unrolled: 1-line block ×3, first 2 shown]
	s_delay_alu instid0(VALU_DEP_2) | instskip(NEXT) | instid1(VALU_DEP_2)
	v_add_f64 v[48:49], v[54:55], -v[68:69]
	v_add_f64 v[34:35], v[82:83], v[34:35]
	s_delay_alu instid0(VALU_DEP_2) | instskip(NEXT) | instid1(VALU_DEP_2)
	v_add_f64 v[48:49], v[70:71], -v[48:49]
	v_mul_f64 v[34:35], v[36:37], v[34:35]
	s_delay_alu instid0(VALU_DEP_1) | instskip(NEXT) | instid1(VALU_DEP_1)
	v_add_f64 v[34:35], v[48:49], v[34:35]
	v_add_f64 v[36:37], v[54:55], v[34:35]
	s_delay_alu instid0(VALU_DEP_1) | instskip(NEXT) | instid1(VALU_DEP_1)
	v_mul_f64 v[48:49], v[36:37], v[36:37]
	v_fma_f64 v[64:65], v[48:49], s[12:13], s[10:11]
	s_mov_b32 s10, 0xd7f4df2e
	s_mov_b32 s11, 0x3fc7474d
	v_mul_f64 v[68:69], v[36:37], v[48:49]
	s_delay_alu instid0(VALU_DEP_2)
	v_fma_f64 v[64:65], v[48:49], v[64:65], s[10:11]
	s_mov_b32 s10, 0x16291751
	s_mov_b32 s11, 0x3fcc71c0
	s_delay_alu instid0(VALU_DEP_1) | instid1(SALU_CYCLE_1)
	v_fma_f64 v[64:65], v[48:49], v[64:65], s[10:11]
	s_mov_b32 s10, 0x9b27acf1
	s_mov_b32 s11, 0x3fd24924
	s_delay_alu instid0(VALU_DEP_1) | instid1(SALU_CYCLE_1)
	v_fma_f64 v[64:65], v[48:49], v[64:65], s[10:11]
	s_mov_b32 s10, 0x998ef7b6
	s_mov_b32 s11, 0x3fd99999
	s_delay_alu instid0(VALU_DEP_1) | instid1(SALU_CYCLE_1)
	v_fma_f64 v[64:65], v[48:49], v[64:65], s[10:11]
	s_delay_alu instid0(VALU_DEP_1) | instskip(SKIP_2) | instid1(VALU_DEP_3)
	v_fma_f64 v[48:49], v[48:49], v[64:65], s[6:7]
	v_ldexp_f64 v[64:65], v[36:37], 1
	v_add_f64 v[36:37], v[36:37], -v[54:55]
	v_mul_f64 v[48:49], v[68:69], v[48:49]
	v_cvt_f64_i32_e32 v[68:69], v96
	s_delay_alu instid0(VALU_DEP_3) | instskip(NEXT) | instid1(VALU_DEP_3)
	v_add_f64 v[34:35], v[34:35], -v[36:37]
	v_add_f64 v[54:55], v[64:65], v[48:49]
	s_delay_alu instid0(VALU_DEP_3) | instskip(NEXT) | instid1(VALU_DEP_3)
	v_mul_f64 v[70:71], v[68:69], s[2:3]
	v_ldexp_f64 v[34:35], v[34:35], 1
	s_delay_alu instid0(VALU_DEP_3) | instskip(NEXT) | instid1(VALU_DEP_3)
	v_add_f64 v[36:37], v[54:55], -v[64:65]
	v_fma_f64 v[64:65], v[68:69], s[2:3], -v[70:71]
	s_delay_alu instid0(VALU_DEP_2) | instskip(NEXT) | instid1(VALU_DEP_2)
	v_add_f64 v[36:37], v[48:49], -v[36:37]
	v_fma_f64 v[48:49], v[68:69], s[4:5], v[64:65]
	s_delay_alu instid0(VALU_DEP_2) | instskip(NEXT) | instid1(VALU_DEP_2)
	v_add_f64 v[34:35], v[34:35], v[36:37]
	v_add_f64 v[36:37], v[70:71], v[48:49]
	s_delay_alu instid0(VALU_DEP_2) | instskip(NEXT) | instid1(VALU_DEP_2)
	v_add_f64 v[64:65], v[54:55], v[34:35]
	v_add_f64 v[70:71], v[36:37], -v[70:71]
	s_delay_alu instid0(VALU_DEP_2) | instskip(SKIP_1) | instid1(VALU_DEP_3)
	v_add_f64 v[68:69], v[36:37], v[64:65]
	v_add_f64 v[54:55], v[64:65], -v[54:55]
	v_add_f64 v[48:49], v[48:49], -v[70:71]
	s_delay_alu instid0(VALU_DEP_3) | instskip(NEXT) | instid1(VALU_DEP_3)
	v_add_f64 v[80:81], v[68:69], -v[36:37]
	v_add_f64 v[34:35], v[34:35], -v[54:55]
	s_delay_alu instid0(VALU_DEP_2) | instskip(SKIP_1) | instid1(VALU_DEP_3)
	v_add_f64 v[82:83], v[68:69], -v[80:81]
	v_add_f64 v[54:55], v[64:65], -v[80:81]
	v_add_f64 v[64:65], v[48:49], v[34:35]
	s_delay_alu instid0(VALU_DEP_3) | instskip(NEXT) | instid1(VALU_DEP_1)
	v_add_f64 v[36:37], v[36:37], -v[82:83]
	v_add_f64 v[36:37], v[54:55], v[36:37]
	s_delay_alu instid0(VALU_DEP_3) | instskip(NEXT) | instid1(VALU_DEP_2)
	v_add_f64 v[54:55], v[64:65], -v[48:49]
	v_add_f64 v[36:37], v[64:65], v[36:37]
	s_delay_alu instid0(VALU_DEP_2) | instskip(SKIP_1) | instid1(VALU_DEP_3)
	v_add_f64 v[64:65], v[64:65], -v[54:55]
	v_add_f64 v[34:35], v[34:35], -v[54:55]
	v_add_f64 v[70:71], v[68:69], v[36:37]
	s_delay_alu instid0(VALU_DEP_3) | instskip(NEXT) | instid1(VALU_DEP_2)
	v_add_f64 v[48:49], v[48:49], -v[64:65]
	v_add_f64 v[54:55], v[70:71], -v[68:69]
	s_delay_alu instid0(VALU_DEP_2) | instskip(NEXT) | instid1(VALU_DEP_2)
	v_add_f64 v[34:35], v[34:35], v[48:49]
	v_add_f64 v[36:37], v[36:37], -v[54:55]
	s_delay_alu instid0(VALU_DEP_1) | instskip(NEXT) | instid1(VALU_DEP_1)
	v_add_f64 v[34:35], v[34:35], v[36:37]
	v_add_f64 v[34:35], v[70:71], v[34:35]
	s_delay_alu instid0(VALU_DEP_1) | instskip(SKIP_1) | instid1(VALU_DEP_2)
	v_dual_cndmask_b32 v35, v35, v29 :: v_dual_cndmask_b32 v34, v34, v28
	v_cmp_ngt_f64_e32 vcc_lo, -1.0, v[28:29]
	v_cndmask_b32_e32 v35, 0x7ff80000, v35, vcc_lo
	v_cmp_nge_f64_e32 vcc_lo, -1.0, v[28:29]
	s_delay_alu instid0(VALU_DEP_4) | instskip(SKIP_1) | instid1(VALU_DEP_4)
	v_cndmask_b32_e32 v34, 0, v34, vcc_lo
	v_cmp_neq_f64_e32 vcc_lo, -1.0, v[28:29]
	v_cndmask_b32_e32 v35, 0xfff00000, v35, vcc_lo
	s_delay_alu instid0(VALU_DEP_1)
	v_add_f64 v[28:29], v[32:33], v[34:35]
.LBB76_362:
	s_or_b32 exec_lo, exec_lo, s8
	s_delay_alu instid0(VALU_DEP_1) | instskip(SKIP_1) | instid1(VALU_DEP_2)
	v_max_f64 v[32:33], v[28:29], v[28:29]
	v_cmp_u_f64_e32 vcc_lo, v[28:29], v[28:29]
	v_min_f64 v[34:35], v[32:33], v[30:31]
	v_max_f64 v[30:31], v[32:33], v[30:31]
	s_delay_alu instid0(VALU_DEP_2) | instskip(NEXT) | instid1(VALU_DEP_2)
	v_dual_cndmask_b32 v32, v34, v28 :: v_dual_cndmask_b32 v33, v35, v29
	v_dual_cndmask_b32 v31, v31, v29 :: v_dual_cndmask_b32 v30, v30, v28
	s_delay_alu instid0(VALU_DEP_2) | instskip(NEXT) | instid1(VALU_DEP_3)
	v_cndmask_b32_e64 v34, v32, v66, s15
	v_cndmask_b32_e64 v35, v33, v67, s15
	s_delay_alu instid0(VALU_DEP_3) | instskip(NEXT) | instid1(VALU_DEP_4)
	v_cndmask_b32_e64 v33, v31, v67, s15
	v_cndmask_b32_e64 v32, v30, v66, s15
	v_dual_mov_b32 v31, v29 :: v_dual_mov_b32 v30, v28
	s_delay_alu instid0(VALU_DEP_4) | instskip(NEXT) | instid1(VALU_DEP_3)
	v_cmp_class_f64_e64 s1, v[34:35], 0x1f8
	v_cmp_neq_f64_e32 vcc_lo, v[34:35], v[32:33]
	s_delay_alu instid0(VALU_DEP_2) | instskip(NEXT) | instid1(SALU_CYCLE_1)
	s_or_b32 s1, vcc_lo, s1
	s_and_saveexec_b32 s8, s1
	s_cbranch_execz .LBB76_364
; %bb.363:
	v_add_f64 v[30:31], v[34:35], -v[32:33]
	s_mov_b32 s2, 0x652b82fe
	s_mov_b32 s3, 0x3ff71547
	;; [unrolled: 1-line block ×10, first 2 shown]
	s_delay_alu instid0(VALU_DEP_1) | instskip(SKIP_4) | instid1(VALU_DEP_3)
	v_mul_f64 v[34:35], v[30:31], s[2:3]
	s_mov_b32 s3, 0xbfe62e42
	s_mov_b32 s2, 0xfefa39ef
	v_cmp_nlt_f64_e32 vcc_lo, 0x40900000, v[30:31]
	v_cmp_ngt_f64_e64 s1, 0xc090cc00, v[30:31]
	v_rndne_f64_e32 v[34:35], v[34:35]
	s_delay_alu instid0(VALU_DEP_1) | instskip(SKIP_2) | instid1(VALU_DEP_2)
	v_fma_f64 v[36:37], v[34:35], s[2:3], v[30:31]
	v_cvt_i32_f64_e32 v54, v[34:35]
	s_mov_b32 s3, 0x3fe62e42
	v_fma_f64 v[36:37], v[34:35], s[4:5], v[36:37]
	s_mov_b32 s5, 0x3c7abc9e
	s_waitcnt lgkmcnt(0)
	s_delay_alu instid0(VALU_DEP_1) | instskip(SKIP_4) | instid1(VALU_DEP_1)
	v_fma_f64 v[48:49], v[36:37], s[10:11], s[6:7]
	s_mov_b32 s6, 0x623fde64
	s_mov_b32 s7, 0x3ec71dee
	;; [unrolled: 1-line block ×4, first 2 shown]
	v_fma_f64 v[48:49], v[36:37], v[48:49], s[6:7]
	s_mov_b32 s6, 0x7c89e6b0
	s_mov_b32 s7, 0x3efa0199
	s_delay_alu instid0(VALU_DEP_1) | instid1(SALU_CYCLE_1)
	v_fma_f64 v[48:49], v[36:37], v[48:49], s[6:7]
	s_mov_b32 s6, 0x14761f6e
	s_mov_b32 s7, 0x3f2a01a0
	s_delay_alu instid0(VALU_DEP_1) | instid1(SALU_CYCLE_1)
	;; [unrolled: 4-line block ×7, first 2 shown]
	v_fma_f64 v[48:49], v[36:37], v[48:49], s[6:7]
	s_mov_b32 s7, 0x3fe55555
	s_mov_b32 s6, 0x55555555
	s_delay_alu instid0(VALU_DEP_1) | instskip(NEXT) | instid1(VALU_DEP_1)
	v_fma_f64 v[48:49], v[36:37], v[48:49], 1.0
	v_fma_f64 v[34:35], v[36:37], v[48:49], 1.0
	s_delay_alu instid0(VALU_DEP_1) | instskip(NEXT) | instid1(VALU_DEP_1)
	v_ldexp_f64 v[34:35], v[34:35], v54
	v_cndmask_b32_e32 v35, 0x7ff00000, v35, vcc_lo
	s_and_b32 vcc_lo, s1, vcc_lo
	s_delay_alu instid0(VALU_DEP_1) | instskip(NEXT) | instid1(VALU_DEP_3)
	v_cndmask_b32_e64 v31, 0, v35, s1
	v_cndmask_b32_e32 v30, 0, v34, vcc_lo
	s_delay_alu instid0(VALU_DEP_1) | instskip(NEXT) | instid1(VALU_DEP_1)
	v_add_f64 v[34:35], v[30:31], 1.0
	v_frexp_mant_f64_e32 v[36:37], v[34:35]
	v_frexp_exp_i32_f64_e32 v54, v[34:35]
	v_add_f64 v[48:49], v[34:35], -1.0
	s_delay_alu instid0(VALU_DEP_3) | instskip(SKIP_1) | instid1(VALU_DEP_2)
	v_cmp_gt_f64_e32 vcc_lo, s[6:7], v[36:37]
	s_mov_b32 s6, 0x55555780
	v_add_f64 v[36:37], v[48:49], -v[34:35]
	v_add_f64 v[48:49], v[30:31], -v[48:49]
	v_subrev_co_ci_u32_e32 v86, vcc_lo, 0, v54, vcc_lo
	s_delay_alu instid0(VALU_DEP_3) | instskip(SKIP_1) | instid1(VALU_DEP_3)
	v_add_f64 v[36:37], v[36:37], 1.0
	v_cmp_eq_f64_e32 vcc_lo, 0x7ff00000, v[30:31]
	v_sub_nc_u32_e32 v64, 0, v86
	s_delay_alu instid0(VALU_DEP_1) | instskip(NEXT) | instid1(VALU_DEP_4)
	v_ldexp_f64 v[34:35], v[34:35], v64
	v_add_f64 v[36:37], v[48:49], v[36:37]
	s_delay_alu instid0(VALU_DEP_2) | instskip(SKIP_1) | instid1(VALU_DEP_3)
	v_add_f64 v[54:55], v[34:35], 1.0
	v_add_f64 v[68:69], v[34:35], -1.0
	v_ldexp_f64 v[36:37], v[36:37], v64
	s_delay_alu instid0(VALU_DEP_3) | instskip(NEXT) | instid1(VALU_DEP_3)
	v_add_f64 v[48:49], v[54:55], -1.0
	v_add_f64 v[70:71], v[68:69], 1.0
	s_delay_alu instid0(VALU_DEP_2) | instskip(NEXT) | instid1(VALU_DEP_2)
	v_add_f64 v[48:49], v[34:35], -v[48:49]
	v_add_f64 v[34:35], v[34:35], -v[70:71]
	s_delay_alu instid0(VALU_DEP_2) | instskip(NEXT) | instid1(VALU_DEP_2)
	v_add_f64 v[48:49], v[36:37], v[48:49]
	v_add_f64 v[34:35], v[36:37], v[34:35]
	s_delay_alu instid0(VALU_DEP_2) | instskip(NEXT) | instid1(VALU_DEP_2)
	v_add_f64 v[64:65], v[54:55], v[48:49]
	v_add_f64 v[70:71], v[68:69], v[34:35]
	s_delay_alu instid0(VALU_DEP_2) | instskip(SKIP_1) | instid1(VALU_DEP_2)
	v_rcp_f64_e32 v[66:67], v[64:65]
	v_add_f64 v[54:55], v[64:65], -v[54:55]
	v_add_f64 v[68:69], v[70:71], -v[68:69]
	s_delay_alu instid0(VALU_DEP_2) | instskip(SKIP_3) | instid1(VALU_DEP_2)
	v_add_f64 v[48:49], v[48:49], -v[54:55]
	s_waitcnt_depctr 0xfff
	v_fma_f64 v[80:81], -v[64:65], v[66:67], 1.0
	v_add_f64 v[34:35], v[34:35], -v[68:69]
	v_fma_f64 v[66:67], v[80:81], v[66:67], v[66:67]
	s_delay_alu instid0(VALU_DEP_1) | instskip(NEXT) | instid1(VALU_DEP_1)
	v_fma_f64 v[36:37], -v[64:65], v[66:67], 1.0
	v_fma_f64 v[36:37], v[36:37], v[66:67], v[66:67]
	s_delay_alu instid0(VALU_DEP_1) | instskip(NEXT) | instid1(VALU_DEP_1)
	v_mul_f64 v[66:67], v[70:71], v[36:37]
	v_mul_f64 v[80:81], v[64:65], v[66:67]
	s_delay_alu instid0(VALU_DEP_1) | instskip(NEXT) | instid1(VALU_DEP_1)
	v_fma_f64 v[54:55], v[66:67], v[64:65], -v[80:81]
	v_fma_f64 v[54:55], v[66:67], v[48:49], v[54:55]
	s_delay_alu instid0(VALU_DEP_1) | instskip(NEXT) | instid1(VALU_DEP_1)
	v_add_f64 v[82:83], v[80:81], v[54:55]
	v_add_f64 v[84:85], v[70:71], -v[82:83]
	v_add_f64 v[68:69], v[82:83], -v[80:81]
	s_delay_alu instid0(VALU_DEP_2) | instskip(NEXT) | instid1(VALU_DEP_2)
	v_add_f64 v[70:71], v[70:71], -v[84:85]
	v_add_f64 v[54:55], v[68:69], -v[54:55]
	s_delay_alu instid0(VALU_DEP_2) | instskip(NEXT) | instid1(VALU_DEP_1)
	v_add_f64 v[70:71], v[70:71], -v[82:83]
	v_add_f64 v[34:35], v[34:35], v[70:71]
	s_delay_alu instid0(VALU_DEP_1) | instskip(NEXT) | instid1(VALU_DEP_1)
	v_add_f64 v[34:35], v[54:55], v[34:35]
	v_add_f64 v[54:55], v[84:85], v[34:35]
	s_delay_alu instid0(VALU_DEP_1) | instskip(SKIP_1) | instid1(VALU_DEP_2)
	v_mul_f64 v[68:69], v[36:37], v[54:55]
	v_add_f64 v[82:83], v[84:85], -v[54:55]
	v_mul_f64 v[70:71], v[64:65], v[68:69]
	s_delay_alu instid0(VALU_DEP_2) | instskip(NEXT) | instid1(VALU_DEP_2)
	v_add_f64 v[34:35], v[34:35], v[82:83]
	v_fma_f64 v[64:65], v[68:69], v[64:65], -v[70:71]
	s_delay_alu instid0(VALU_DEP_1) | instskip(NEXT) | instid1(VALU_DEP_1)
	v_fma_f64 v[48:49], v[68:69], v[48:49], v[64:65]
	v_add_f64 v[64:65], v[70:71], v[48:49]
	s_delay_alu instid0(VALU_DEP_1) | instskip(SKIP_1) | instid1(VALU_DEP_2)
	v_add_f64 v[80:81], v[54:55], -v[64:65]
	v_add_f64 v[70:71], v[64:65], -v[70:71]
	;; [unrolled: 1-line block ×3, first 2 shown]
	s_delay_alu instid0(VALU_DEP_2) | instskip(NEXT) | instid1(VALU_DEP_2)
	v_add_f64 v[48:49], v[70:71], -v[48:49]
	v_add_f64 v[54:55], v[54:55], -v[64:65]
	s_delay_alu instid0(VALU_DEP_1) | instskip(SKIP_1) | instid1(VALU_DEP_2)
	v_add_f64 v[34:35], v[34:35], v[54:55]
	v_add_f64 v[54:55], v[66:67], v[68:69]
	;; [unrolled: 1-line block ×3, first 2 shown]
	s_delay_alu instid0(VALU_DEP_2) | instskip(NEXT) | instid1(VALU_DEP_2)
	v_add_f64 v[48:49], v[54:55], -v[66:67]
	v_add_f64 v[34:35], v[80:81], v[34:35]
	s_delay_alu instid0(VALU_DEP_2) | instskip(NEXT) | instid1(VALU_DEP_2)
	v_add_f64 v[48:49], v[68:69], -v[48:49]
	v_mul_f64 v[34:35], v[36:37], v[34:35]
	s_delay_alu instid0(VALU_DEP_1) | instskip(NEXT) | instid1(VALU_DEP_1)
	v_add_f64 v[34:35], v[48:49], v[34:35]
	v_add_f64 v[36:37], v[54:55], v[34:35]
	s_delay_alu instid0(VALU_DEP_1) | instskip(NEXT) | instid1(VALU_DEP_1)
	v_mul_f64 v[48:49], v[36:37], v[36:37]
	v_fma_f64 v[64:65], v[48:49], s[12:13], s[10:11]
	s_mov_b32 s10, 0xd7f4df2e
	s_mov_b32 s11, 0x3fc7474d
	v_mul_f64 v[66:67], v[36:37], v[48:49]
	s_delay_alu instid0(VALU_DEP_2)
	v_fma_f64 v[64:65], v[48:49], v[64:65], s[10:11]
	s_mov_b32 s10, 0x16291751
	s_mov_b32 s11, 0x3fcc71c0
	s_delay_alu instid0(VALU_DEP_1) | instid1(SALU_CYCLE_1)
	v_fma_f64 v[64:65], v[48:49], v[64:65], s[10:11]
	s_mov_b32 s10, 0x9b27acf1
	s_mov_b32 s11, 0x3fd24924
	s_delay_alu instid0(VALU_DEP_1) | instid1(SALU_CYCLE_1)
	;; [unrolled: 4-line block ×3, first 2 shown]
	v_fma_f64 v[64:65], v[48:49], v[64:65], s[10:11]
	s_delay_alu instid0(VALU_DEP_1) | instskip(SKIP_2) | instid1(VALU_DEP_3)
	v_fma_f64 v[48:49], v[48:49], v[64:65], s[6:7]
	v_ldexp_f64 v[64:65], v[36:37], 1
	v_add_f64 v[36:37], v[36:37], -v[54:55]
	v_mul_f64 v[48:49], v[66:67], v[48:49]
	v_cvt_f64_i32_e32 v[66:67], v86
	s_delay_alu instid0(VALU_DEP_3) | instskip(NEXT) | instid1(VALU_DEP_3)
	v_add_f64 v[34:35], v[34:35], -v[36:37]
	v_add_f64 v[54:55], v[64:65], v[48:49]
	s_delay_alu instid0(VALU_DEP_3) | instskip(NEXT) | instid1(VALU_DEP_3)
	v_mul_f64 v[68:69], v[66:67], s[2:3]
	v_ldexp_f64 v[34:35], v[34:35], 1
	s_delay_alu instid0(VALU_DEP_3) | instskip(NEXT) | instid1(VALU_DEP_3)
	v_add_f64 v[36:37], v[54:55], -v[64:65]
	v_fma_f64 v[64:65], v[66:67], s[2:3], -v[68:69]
	s_delay_alu instid0(VALU_DEP_2) | instskip(NEXT) | instid1(VALU_DEP_2)
	v_add_f64 v[36:37], v[48:49], -v[36:37]
	v_fma_f64 v[48:49], v[66:67], s[4:5], v[64:65]
	s_delay_alu instid0(VALU_DEP_2) | instskip(NEXT) | instid1(VALU_DEP_2)
	v_add_f64 v[34:35], v[34:35], v[36:37]
	v_add_f64 v[36:37], v[68:69], v[48:49]
	s_delay_alu instid0(VALU_DEP_2) | instskip(NEXT) | instid1(VALU_DEP_2)
	v_add_f64 v[64:65], v[54:55], v[34:35]
	v_add_f64 v[68:69], v[36:37], -v[68:69]
	s_delay_alu instid0(VALU_DEP_2) | instskip(SKIP_1) | instid1(VALU_DEP_3)
	v_add_f64 v[66:67], v[36:37], v[64:65]
	v_add_f64 v[54:55], v[64:65], -v[54:55]
	v_add_f64 v[48:49], v[48:49], -v[68:69]
	s_delay_alu instid0(VALU_DEP_3) | instskip(NEXT) | instid1(VALU_DEP_3)
	v_add_f64 v[70:71], v[66:67], -v[36:37]
	v_add_f64 v[34:35], v[34:35], -v[54:55]
	s_delay_alu instid0(VALU_DEP_2) | instskip(SKIP_1) | instid1(VALU_DEP_3)
	v_add_f64 v[80:81], v[66:67], -v[70:71]
	v_add_f64 v[54:55], v[64:65], -v[70:71]
	v_add_f64 v[64:65], v[48:49], v[34:35]
	s_delay_alu instid0(VALU_DEP_3) | instskip(NEXT) | instid1(VALU_DEP_1)
	v_add_f64 v[36:37], v[36:37], -v[80:81]
	v_add_f64 v[36:37], v[54:55], v[36:37]
	s_delay_alu instid0(VALU_DEP_3) | instskip(NEXT) | instid1(VALU_DEP_2)
	v_add_f64 v[54:55], v[64:65], -v[48:49]
	v_add_f64 v[36:37], v[64:65], v[36:37]
	s_delay_alu instid0(VALU_DEP_2) | instskip(SKIP_1) | instid1(VALU_DEP_3)
	v_add_f64 v[64:65], v[64:65], -v[54:55]
	v_add_f64 v[34:35], v[34:35], -v[54:55]
	v_add_f64 v[68:69], v[66:67], v[36:37]
	s_delay_alu instid0(VALU_DEP_3) | instskip(NEXT) | instid1(VALU_DEP_2)
	v_add_f64 v[48:49], v[48:49], -v[64:65]
	v_add_f64 v[54:55], v[68:69], -v[66:67]
	s_delay_alu instid0(VALU_DEP_2) | instskip(NEXT) | instid1(VALU_DEP_2)
	v_add_f64 v[34:35], v[34:35], v[48:49]
	v_add_f64 v[36:37], v[36:37], -v[54:55]
	s_delay_alu instid0(VALU_DEP_1) | instskip(NEXT) | instid1(VALU_DEP_1)
	v_add_f64 v[34:35], v[34:35], v[36:37]
	v_add_f64 v[34:35], v[68:69], v[34:35]
	s_delay_alu instid0(VALU_DEP_1) | instskip(SKIP_1) | instid1(VALU_DEP_2)
	v_dual_cndmask_b32 v35, v35, v31 :: v_dual_cndmask_b32 v34, v34, v30
	v_cmp_ngt_f64_e32 vcc_lo, -1.0, v[30:31]
	v_cndmask_b32_e32 v35, 0x7ff80000, v35, vcc_lo
	v_cmp_nge_f64_e32 vcc_lo, -1.0, v[30:31]
	s_delay_alu instid0(VALU_DEP_4) | instskip(SKIP_1) | instid1(VALU_DEP_4)
	v_cndmask_b32_e32 v34, 0, v34, vcc_lo
	v_cmp_neq_f64_e32 vcc_lo, -1.0, v[30:31]
	v_cndmask_b32_e32 v35, 0xfff00000, v35, vcc_lo
	s_delay_alu instid0(VALU_DEP_1)
	v_add_f64 v[30:31], v[32:33], v[34:35]
.LBB76_364:
	s_or_b32 exec_lo, exec_lo, s8
	s_delay_alu instid0(SALU_CYCLE_1)
	s_mov_b32 s1, exec_lo
	v_cmpx_eq_u32_e32 0xff, v128
	s_cbranch_execz .LBB76_374
; %bb.365:
	v_add_co_u32 v32, vcc_lo, 0x200, v116
	v_add_co_ci_u32_e32 v33, vcc_lo, 0, v117, vcc_lo
	s_mov_b64 s[2:3], src_shared_base
	s_mov_b32 s2, exec_lo
	s_delay_alu instid0(VALU_DEP_1)
	v_cmpx_ne_u32_e64 s3, v33
	s_xor_b32 s2, exec_lo, s2
	s_cbranch_execz .LBB76_371
; %bb.366:
	s_mov_b64 s[4:5], src_private_base
	s_mov_b32 s3, exec_lo
	v_cmpx_ne_u32_e64 s5, v33
	s_xor_b32 s3, exec_lo, s3
	s_cbranch_execz .LBB76_368
; %bb.367:
	v_dual_mov_b32 v37, 0 :: v_dual_mov_b32 v36, 2
	v_dual_mov_b32 v34, v30 :: v_dual_mov_b32 v35, v31
	;;#ASMSTART
	global_store_dwordx4 v[32:33], v[34:37] off	
s_waitcnt vmcnt(0)
	;;#ASMEND
                                        ; implicit-def: $vgpr32_vgpr33
.LBB76_368:
	s_and_not1_saveexec_b32 s3, s3
	s_cbranch_execz .LBB76_370
; %bb.369:
	v_dual_mov_b32 v37, 0 :: v_dual_mov_b32 v36, 2
	v_dual_mov_b32 v34, v30 :: v_dual_mov_b32 v35, v31
	;;#ASMSTART
	flat_store_dwordx4 v[32:33], v[34:37] 	
s_waitcnt vmcnt(0)
	;;#ASMEND
.LBB76_370:
	s_or_b32 exec_lo, exec_lo, s3
                                        ; implicit-def: $vgpr32_vgpr33
.LBB76_371:
	s_and_not1_saveexec_b32 s2, s2
	s_cbranch_execz .LBB76_373
; %bb.372:
	v_cmp_ne_u64_e32 vcc_lo, 0, v[32:33]
	v_dual_mov_b32 v34, 2 :: v_dual_mov_b32 v33, v31
	v_dual_mov_b32 v35, 0 :: v_dual_cndmask_b32 v36, -1, v32
	v_mov_b32_e32 v32, v30
	;;#ASMSTART
	ds_write_b128 v36, v[32:35] 	
s_waitcnt lgkmcnt(0)
	;;#ASMEND
.LBB76_373:
	s_or_b32 exec_lo, exec_lo, s2
.LBB76_374:
	s_delay_alu instid0(SALU_CYCLE_1) | instskip(NEXT) | instid1(VALU_DEP_2)
	s_or_b32 exec_lo, exec_lo, s1
	v_mov_b32_e32 v35, v31
	s_delay_alu instid0(VALU_DEP_3)
	v_dual_mov_b32 v34, v30 :: v_dual_mov_b32 v33, v29
	v_dual_mov_b32 v32, v28 :: v_dual_mov_b32 v31, v27
	v_mov_b32_e32 v30, v26
	v_mov_b32_e32 v29, v25
	;; [unrolled: 1-line block ×27, first 2 shown]
.LBB76_375:
	v_add_co_u32 v0, vcc_lo, v52, v129
	v_add_co_ci_u32_e32 v1, vcc_lo, v53, v130, vcc_lo
	s_waitcnt lgkmcnt(0)
	s_delay_alu instid0(VALU_DEP_2) | instskip(NEXT) | instid1(VALU_DEP_2)
	v_add_co_u32 v36, vcc_lo, v0, v118
	v_add_co_ci_u32_e32 v37, vcc_lo, v1, v119, vcc_lo
	v_lshlrev_b32_e32 v1, 7, v128
	v_lshrrev_b32_e32 v0, 5, v128
	s_barrier
	buffer_gl0_inv
	s_and_saveexec_b32 s1, s0
	s_delay_alu instid0(SALU_CYCLE_1)
	s_xor_b32 s0, exec_lo, s1
	s_cbranch_execz .LBB76_377
; %bb.376:
	v_lshl_add_u32 v1, v211, 3, v1
	v_lshrrev_b32_e32 v2, 5, v209
	v_lshrrev_b32_e32 v3, 5, v208
	v_add_lshl_u32 v0, v0, v128, 3
                                        ; implicit-def: $vgpr48_vgpr49_vgpr50_vgpr51
                                        ; implicit-def: $vgpr211
                                        ; implicit-def: $vgpr183
                                        ; implicit-def: $vgpr192
                                        ; implicit-def: $vgpr209
                                        ; implicit-def: $vgpr208
	ds_store_2addr_b64 v1, v[4:5], v[6:7] offset1:1
	ds_store_2addr_b64 v1, v[8:9], v[10:11] offset0:2 offset1:3
	ds_store_2addr_b64 v1, v[12:13], v[14:15] offset0:4 offset1:5
	;; [unrolled: 1-line block ×7, first 2 shown]
	v_lshrrev_b32_e32 v8, 5, v199
	v_lshrrev_b32_e32 v1, 5, v210
	v_lshrrev_b32_e32 v9, 5, v197
	v_lshrrev_b32_e32 v10, 5, v196
	v_lshrrev_b32_e32 v11, 5, v195
	v_add_lshl_u32 v8, v8, v128, 3
	v_add_lshl_u32 v4, v1, v128, 3
	;; [unrolled: 1-line block ×7, first 2 shown]
	s_waitcnt lgkmcnt(0)
	s_barrier
	buffer_gl0_inv
	ds_load_b64 v[0:1], v0
	ds_load_b64 v[2:3], v4 offset:2048
	ds_load_b64 v[4:5], v5 offset:4096
	;; [unrolled: 1-line block ×7, first 2 shown]
	v_lshrrev_b32_e32 v24, 5, v180
	v_lshrrev_b32_e32 v16, 5, v194
	;; [unrolled: 1-line block ×8, first 2 shown]
	v_add_lshl_u32 v28, v24, v128, 3
	v_add_co_u32 v24, vcc_lo, v36, v198
	v_add_lshl_u32 v16, v16, v128, 3
	v_add_lshl_u32 v20, v17, v128, 3
	;; [unrolled: 1-line block ×3, first 2 shown]
	v_add_co_ci_u32_e32 v25, vcc_lo, 0, v37, vcc_lo
	v_add_lshl_u32 v21, v18, v128, 3
	v_add_lshl_u32 v30, v26, v128, 3
	;; [unrolled: 1-line block ×4, first 2 shown]
	v_add_co_u32 v34, vcc_lo, 0x1000, v24
	ds_load_b64 v[16:17], v16 offset:16384
	ds_load_b64 v[18:19], v20 offset:18432
	;; [unrolled: 1-line block ×8, first 2 shown]
	v_add_co_ci_u32_e32 v35, vcc_lo, 0, v25, vcc_lo
	v_add_co_u32 v36, vcc_lo, 0x2000, v24
	v_add_co_ci_u32_e32 v37, vcc_lo, 0, v25, vcc_lo
	v_add_co_u32 v38, vcc_lo, 0x3000, v24
	v_add_co_ci_u32_e32 v39, vcc_lo, 0, v25, vcc_lo
	s_waitcnt lgkmcnt(15)
	flat_store_b64 v[24:25], v[0:1]
	s_waitcnt lgkmcnt(15)
	flat_store_b64 v[24:25], v[2:3] offset:2048
	s_waitcnt lgkmcnt(15)
	flat_store_b64 v[34:35], v[4:5]
	s_waitcnt lgkmcnt(15)
	flat_store_b64 v[34:35], v[6:7] offset:2048
	;; [unrolled: 4-line block ×4, first 2 shown]
	v_add_co_u32 v0, vcc_lo, 0x4000, v24
	v_add_co_ci_u32_e32 v1, vcc_lo, 0, v25, vcc_lo
	v_add_co_u32 v2, vcc_lo, 0x5000, v24
	v_add_co_ci_u32_e32 v3, vcc_lo, 0, v25, vcc_lo
	;; [unrolled: 2-line block ×4, first 2 shown]
                                        ; implicit-def: $vgpr36_vgpr37_vgpr38_vgpr39
	s_waitcnt lgkmcnt(15)
	flat_store_b64 v[0:1], v[16:17]
	s_waitcnt lgkmcnt(15)
	flat_store_b64 v[0:1], v[18:19] offset:2048
	s_waitcnt lgkmcnt(15)
	flat_store_b64 v[2:3], v[20:21]
	s_waitcnt lgkmcnt(15)
	flat_store_b64 v[2:3], v[22:23] offset:2048
	;; [unrolled: 4-line block ×4, first 2 shown]
                                        ; implicit-def: $vgpr128
                                        ; implicit-def: $vgpr4_vgpr5_vgpr6_vgpr7_vgpr8_vgpr9_vgpr10_vgpr11_vgpr12_vgpr13_vgpr14_vgpr15_vgpr16_vgpr17_vgpr18_vgpr19_vgpr20_vgpr21_vgpr22_vgpr23_vgpr24_vgpr25_vgpr26_vgpr27_vgpr28_vgpr29_vgpr30_vgpr31_vgpr32_vgpr33_vgpr34_vgpr35
                                        ; implicit-def: $vgpr36
                                        ; implicit-def: $vgpr37
                                        ; implicit-def: $vgpr1
                                        ; implicit-def: $vgpr0
                                        ; implicit-def: $vgpr198
                                        ; implicit-def: $vgpr210
                                        ; implicit-def: $vgpr199
                                        ; implicit-def: $vgpr197
                                        ; implicit-def: $vgpr196
                                        ; implicit-def: $vgpr195
                                        ; implicit-def: $vgpr194
                                        ; implicit-def: $vgpr193
                                        ; implicit-def: $vgpr182
                                        ; implicit-def: $vgpr181
                                        ; implicit-def: $vgpr180
                                        ; implicit-def: $vgpr179
                                        ; implicit-def: $vgpr178
                                        ; implicit-def: $vgpr135
.LBB76_377:
	s_and_not1_saveexec_b32 s0, s0
	s_cbranch_execz .LBB76_455
; %bb.378:
	v_lshl_add_u32 v1, v211, 3, v1
	v_lshrrev_b32_e32 v2, 5, v209
	v_lshrrev_b32_e32 v3, 5, v208
	v_add_lshl_u32 v0, v0, v128, 3
	v_mov_b32_e32 v129, 0
	ds_store_2addr_b64 v1, v[4:5], v[6:7] offset1:1
	ds_store_2addr_b64 v1, v[8:9], v[10:11] offset0:2 offset1:3
	ds_store_2addr_b64 v1, v[12:13], v[14:15] offset0:4 offset1:5
	;; [unrolled: 1-line block ×7, first 2 shown]
	v_lshrrev_b32_e32 v17, 5, v193
	v_lshrrev_b32_e32 v18, 5, v182
	;; [unrolled: 1-line block ×8, first 2 shown]
	v_add_lshl_u32 v19, v17, v128, 3
	v_lshrrev_b32_e32 v17, 5, v181
	v_add_lshl_u32 v20, v18, v128, 3
	v_lshrrev_b32_e32 v18, 5, v180
	v_lshrrev_b32_e32 v21, 5, v179
	;; [unrolled: 1-line block ×4, first 2 shown]
	v_add_lshl_u32 v8, v8, v128, 3
	v_add_lshl_u32 v16, v16, v128, 3
	;; [unrolled: 1-line block ×13, first 2 shown]
	s_waitcnt lgkmcnt(0)
	s_waitcnt_vscnt null, 0x0
	s_barrier
	buffer_gl0_inv
	ds_load_b64 v[2:3], v0
	ds_load_b64 v[0:1], v1 offset:2048
	ds_load_b64 v[4:5], v4 offset:4096
	;; [unrolled: 1-line block ×15, first 2 shown]
	v_add_co_u32 v32, vcc_lo, v36, v198
	v_add_co_ci_u32_e32 v33, vcc_lo, 0, v37, vcc_lo
	s_mov_b32 s1, exec_lo
	v_cmpx_lt_u32_e64 v128, v183
	s_cbranch_execnz .LBB76_456
; %bb.379:
	s_or_b32 exec_lo, exec_lo, s1
	s_delay_alu instid0(SALU_CYCLE_1)
	s_mov_b32 s1, exec_lo
	v_cmpx_lt_u32_e64 v210, v183
	s_cbranch_execnz .LBB76_457
.LBB76_380:
	s_or_b32 exec_lo, exec_lo, s1
	s_delay_alu instid0(SALU_CYCLE_1)
	s_mov_b32 s1, exec_lo
	v_cmpx_lt_u32_e64 v209, v183
	s_cbranch_execnz .LBB76_458
.LBB76_381:
	s_or_b32 exec_lo, exec_lo, s1
	s_delay_alu instid0(SALU_CYCLE_1)
	s_mov_b32 s1, exec_lo
	v_cmpx_lt_u32_e64 v208, v183
	s_cbranch_execnz .LBB76_459
.LBB76_382:
	s_or_b32 exec_lo, exec_lo, s1
	s_delay_alu instid0(SALU_CYCLE_1)
	s_mov_b32 s1, exec_lo
	v_cmpx_lt_u32_e64 v199, v183
	s_cbranch_execnz .LBB76_460
.LBB76_383:
	s_or_b32 exec_lo, exec_lo, s1
	s_delay_alu instid0(SALU_CYCLE_1)
	s_mov_b32 s1, exec_lo
	v_cmpx_lt_u32_e64 v197, v183
	s_cbranch_execnz .LBB76_461
.LBB76_384:
	s_or_b32 exec_lo, exec_lo, s1
	s_delay_alu instid0(SALU_CYCLE_1)
	s_mov_b32 s1, exec_lo
	v_cmpx_lt_u32_e64 v196, v183
	s_cbranch_execnz .LBB76_462
.LBB76_385:
	s_or_b32 exec_lo, exec_lo, s1
	s_delay_alu instid0(SALU_CYCLE_1)
	s_mov_b32 s1, exec_lo
	v_cmpx_lt_u32_e64 v195, v183
	s_cbranch_execnz .LBB76_463
.LBB76_386:
	s_or_b32 exec_lo, exec_lo, s1
	s_delay_alu instid0(SALU_CYCLE_1)
	s_mov_b32 s1, exec_lo
	v_cmpx_lt_u32_e64 v194, v183
	s_cbranch_execnz .LBB76_464
.LBB76_387:
	s_or_b32 exec_lo, exec_lo, s1
	s_delay_alu instid0(SALU_CYCLE_1)
	s_mov_b32 s1, exec_lo
	v_cmpx_lt_u32_e64 v193, v183
	s_cbranch_execnz .LBB76_465
.LBB76_388:
	s_or_b32 exec_lo, exec_lo, s1
	s_delay_alu instid0(SALU_CYCLE_1)
	s_mov_b32 s1, exec_lo
	v_cmpx_lt_u32_e64 v182, v183
	s_cbranch_execnz .LBB76_466
.LBB76_389:
	s_or_b32 exec_lo, exec_lo, s1
	s_delay_alu instid0(SALU_CYCLE_1)
	s_mov_b32 s1, exec_lo
	v_cmpx_lt_u32_e64 v181, v183
	s_cbranch_execnz .LBB76_467
.LBB76_390:
	s_or_b32 exec_lo, exec_lo, s1
	s_delay_alu instid0(SALU_CYCLE_1)
	s_mov_b32 s1, exec_lo
	v_cmpx_lt_u32_e64 v180, v183
	s_cbranch_execnz .LBB76_468
.LBB76_391:
	s_or_b32 exec_lo, exec_lo, s1
	s_delay_alu instid0(SALU_CYCLE_1)
	s_mov_b32 s1, exec_lo
	v_cmpx_lt_u32_e64 v179, v183
	s_cbranch_execnz .LBB76_469
.LBB76_392:
	s_or_b32 exec_lo, exec_lo, s1
	s_delay_alu instid0(SALU_CYCLE_1)
	s_mov_b32 s1, exec_lo
	v_cmpx_lt_u32_e64 v178, v183
	s_cbranch_execnz .LBB76_470
.LBB76_393:
	s_or_b32 exec_lo, exec_lo, s1
	s_delay_alu instid0(SALU_CYCLE_1)
	s_mov_b32 s1, exec_lo
	v_cmpx_lt_u32_e64 v135, v183
	s_cbranch_execz .LBB76_395
.LBB76_394:
	v_add_co_u32 v32, vcc_lo, 0x7000, v32
	v_add_co_ci_u32_e32 v33, vcc_lo, 0, v33, vcc_lo
	s_waitcnt lgkmcnt(0)
	flat_store_b64 v[32:33], v[30:31] offset:2048
.LBB76_395:
	s_or_b32 exec_lo, exec_lo, s1
	s_delay_alu instid0(SALU_CYCLE_1)
	s_mov_b32 s1, exec_lo
	v_cmpx_lt_u64_e32 1, v[50:51]
	s_cbranch_execz .LBB76_454
; %bb.396:
	v_add_co_u32 v32, vcc_lo, v183, -1
	v_add_co_ci_u32_e32 v33, vcc_lo, -1, v192, vcc_lo
	s_delay_alu instid0(VALU_DEP_1) | instskip(NEXT) | instid1(VALU_DEP_1)
	v_lshrrev_b64 v[33:34], 4, v[32:33]
	v_cmp_eq_u64_e32 vcc_lo, v[33:34], v[128:129]
	s_and_b32 exec_lo, exec_lo, vcc_lo
	s_cbranch_execz .LBB76_454
; %bb.397:
	v_dual_mov_b32 v33, 0 :: v_dual_and_b32 v32, 15, v32
	s_mov_b32 s2, exec_lo
	s_delay_alu instid0(VALU_DEP_1)
	v_cmpx_lt_i64_e32 7, v[32:33]
	s_xor_b32 s2, exec_lo, s2
	s_cbranch_execz .LBB76_427
; %bb.398:
	s_mov_b32 s3, exec_lo
	v_cmpx_lt_i64_e32 11, v[32:33]
	s_xor_b32 s3, exec_lo, s3
	s_cbranch_execz .LBB76_412
; %bb.399:
	s_mov_b32 s4, exec_lo
	;; [unrolled: 5-line block ×3, first 2 shown]
	v_cmpx_lt_i64_e32 14, v[32:33]
	s_xor_b32 s5, exec_lo, s5
	s_cbranch_execz .LBB76_402
; %bb.401:
	s_waitcnt lgkmcnt(0)
	flat_store_b64 v[38:39], v[30:31]
                                        ; implicit-def: $vgpr38_vgpr39
                                        ; implicit-def: $vgpr28_vgpr29
.LBB76_402:
	s_and_not1_saveexec_b32 s5, s5
	s_cbranch_execz .LBB76_404
; %bb.403:
	s_waitcnt lgkmcnt(1)
	flat_store_b64 v[38:39], v[28:29]
.LBB76_404:
	s_or_b32 exec_lo, exec_lo, s5
                                        ; implicit-def: $vgpr38_vgpr39
                                        ; implicit-def: $vgpr22_vgpr23
                                        ; implicit-def: $vgpr32_vgpr33
                                        ; implicit-def: $vgpr26_vgpr27
.LBB76_405:
	s_and_not1_saveexec_b32 s4, s4
	s_cbranch_execz .LBB76_411
; %bb.406:
	s_mov_b32 s5, exec_lo
	v_cmpx_lt_i64_e32 12, v[32:33]
	s_xor_b32 s5, exec_lo, s5
	s_cbranch_execz .LBB76_408
; %bb.407:
	s_waitcnt lgkmcnt(2)
	flat_store_b64 v[38:39], v[26:27]
                                        ; implicit-def: $vgpr38_vgpr39
                                        ; implicit-def: $vgpr22_vgpr23
.LBB76_408:
	s_and_not1_saveexec_b32 s5, s5
	s_cbranch_execz .LBB76_410
; %bb.409:
	s_waitcnt lgkmcnt(3)
	flat_store_b64 v[38:39], v[22:23]
.LBB76_410:
	s_or_b32 exec_lo, exec_lo, s5
.LBB76_411:
	s_delay_alu instid0(SALU_CYCLE_1)
	s_or_b32 exec_lo, exec_lo, s4
                                        ; implicit-def: $vgpr32_vgpr33
                                        ; implicit-def: $vgpr38_vgpr39
                                        ; implicit-def: $vgpr16_vgpr17
                                        ; implicit-def: $vgpr20_vgpr21
                                        ; implicit-def: $vgpr18_vgpr19
                                        ; implicit-def: $vgpr24_vgpr25
.LBB76_412:
	s_and_not1_saveexec_b32 s3, s3
	s_cbranch_execz .LBB76_426
; %bb.413:
	s_mov_b32 s4, exec_lo
	v_cmpx_lt_i64_e32 9, v[32:33]
	s_xor_b32 s4, exec_lo, s4
	s_cbranch_execz .LBB76_419
; %bb.414:
	s_mov_b32 s5, exec_lo
	v_cmpx_lt_i64_e32 10, v[32:33]
	s_xor_b32 s5, exec_lo, s5
	s_cbranch_execz .LBB76_416
; %bb.415:
	s_waitcnt lgkmcnt(4)
	flat_store_b64 v[38:39], v[24:25]
                                        ; implicit-def: $vgpr38_vgpr39
                                        ; implicit-def: $vgpr20_vgpr21
.LBB76_416:
	s_and_not1_saveexec_b32 s5, s5
	s_cbranch_execz .LBB76_418
; %bb.417:
	s_waitcnt lgkmcnt(5)
	flat_store_b64 v[38:39], v[20:21]
.LBB76_418:
	s_or_b32 exec_lo, exec_lo, s5
                                        ; implicit-def: $vgpr38_vgpr39
                                        ; implicit-def: $vgpr16_vgpr17
                                        ; implicit-def: $vgpr32_vgpr33
                                        ; implicit-def: $vgpr18_vgpr19
.LBB76_419:
	s_and_not1_saveexec_b32 s4, s4
	s_cbranch_execz .LBB76_425
; %bb.420:
	s_mov_b32 s5, exec_lo
	v_cmpx_lt_i64_e32 8, v[32:33]
	s_xor_b32 s5, exec_lo, s5
	s_cbranch_execz .LBB76_422
; %bb.421:
	s_waitcnt lgkmcnt(6)
	flat_store_b64 v[38:39], v[18:19]
                                        ; implicit-def: $vgpr38_vgpr39
                                        ; implicit-def: $vgpr16_vgpr17
.LBB76_422:
	s_and_not1_saveexec_b32 s5, s5
	s_cbranch_execz .LBB76_424
; %bb.423:
	s_waitcnt lgkmcnt(7)
	flat_store_b64 v[38:39], v[16:17]
.LBB76_424:
	s_or_b32 exec_lo, exec_lo, s5
.LBB76_425:
	s_delay_alu instid0(SALU_CYCLE_1)
	s_or_b32 exec_lo, exec_lo, s4
.LBB76_426:
	s_delay_alu instid0(SALU_CYCLE_1)
	s_or_b32 exec_lo, exec_lo, s3
                                        ; implicit-def: $vgpr2_vgpr3
                                        ; implicit-def: $vgpr0_vgpr1
                                        ; implicit-def: $vgpr4_vgpr5
                                        ; implicit-def: $vgpr6_vgpr7
                                        ; implicit-def: $vgpr8_vgpr9
                                        ; implicit-def: $vgpr10_vgpr11
                                        ; implicit-def: $vgpr12_vgpr13
                                        ; implicit-def: $vgpr14_vgpr15
                                        ; implicit-def: $vgpr38_vgpr39
                                        ; implicit-def: $vgpr32_vgpr33
.LBB76_427:
	s_and_not1_saveexec_b32 s2, s2
	s_cbranch_execz .LBB76_454
; %bb.428:
	s_mov_b32 s2, exec_lo
	v_cmpx_lt_i64_e32 3, v[32:33]
	s_xor_b32 s2, exec_lo, s2
	s_cbranch_execz .LBB76_442
; %bb.429:
	s_mov_b32 s3, exec_lo
	v_cmpx_lt_i64_e32 5, v[32:33]
	s_xor_b32 s3, exec_lo, s3
	;; [unrolled: 5-line block ×3, first 2 shown]
	s_cbranch_execz .LBB76_432
; %bb.431:
	s_waitcnt lgkmcnt(8)
	flat_store_b64 v[38:39], v[14:15]
                                        ; implicit-def: $vgpr38_vgpr39
                                        ; implicit-def: $vgpr12_vgpr13
.LBB76_432:
	s_and_not1_saveexec_b32 s4, s4
	s_cbranch_execz .LBB76_434
; %bb.433:
	s_waitcnt lgkmcnt(9)
	flat_store_b64 v[38:39], v[12:13]
.LBB76_434:
	s_or_b32 exec_lo, exec_lo, s4
                                        ; implicit-def: $vgpr38_vgpr39
                                        ; implicit-def: $vgpr8_vgpr9
                                        ; implicit-def: $vgpr32_vgpr33
                                        ; implicit-def: $vgpr10_vgpr11
.LBB76_435:
	s_and_not1_saveexec_b32 s3, s3
	s_cbranch_execz .LBB76_441
; %bb.436:
	s_mov_b32 s4, exec_lo
	v_cmpx_lt_i64_e32 4, v[32:33]
	s_xor_b32 s4, exec_lo, s4
	s_cbranch_execz .LBB76_438
; %bb.437:
	s_waitcnt lgkmcnt(10)
	flat_store_b64 v[38:39], v[10:11]
                                        ; implicit-def: $vgpr38_vgpr39
                                        ; implicit-def: $vgpr8_vgpr9
.LBB76_438:
	s_and_not1_saveexec_b32 s4, s4
	s_cbranch_execz .LBB76_440
; %bb.439:
	s_waitcnt lgkmcnt(11)
	flat_store_b64 v[38:39], v[8:9]
.LBB76_440:
	s_or_b32 exec_lo, exec_lo, s4
.LBB76_441:
	s_delay_alu instid0(SALU_CYCLE_1)
	s_or_b32 exec_lo, exec_lo, s3
                                        ; implicit-def: $vgpr32_vgpr33
                                        ; implicit-def: $vgpr38_vgpr39
                                        ; implicit-def: $vgpr0_vgpr1
                                        ; implicit-def: $vgpr4_vgpr5
                                        ; implicit-def: $vgpr2_vgpr3
                                        ; implicit-def: $vgpr6_vgpr7
.LBB76_442:
	s_and_not1_saveexec_b32 s2, s2
	s_cbranch_execz .LBB76_454
; %bb.443:
	s_mov_b32 s2, exec_lo
	v_cmpx_lt_i64_e32 1, v[32:33]
	s_xor_b32 s2, exec_lo, s2
	s_cbranch_execz .LBB76_449
; %bb.444:
	s_mov_b32 s3, exec_lo
	v_cmpx_lt_i64_e32 2, v[32:33]
	s_xor_b32 s3, exec_lo, s3
	s_cbranch_execz .LBB76_446
; %bb.445:
	s_waitcnt lgkmcnt(12)
	flat_store_b64 v[38:39], v[6:7]
                                        ; implicit-def: $vgpr38_vgpr39
                                        ; implicit-def: $vgpr4_vgpr5
.LBB76_446:
	s_and_not1_saveexec_b32 s3, s3
	s_cbranch_execz .LBB76_448
; %bb.447:
	s_waitcnt lgkmcnt(13)
	flat_store_b64 v[38:39], v[4:5]
.LBB76_448:
	s_or_b32 exec_lo, exec_lo, s3
                                        ; implicit-def: $vgpr38_vgpr39
                                        ; implicit-def: $vgpr0_vgpr1
                                        ; implicit-def: $vgpr32_vgpr33
                                        ; implicit-def: $vgpr2_vgpr3
.LBB76_449:
	s_and_not1_saveexec_b32 s2, s2
	s_cbranch_execz .LBB76_454
; %bb.450:
	s_mov_b32 s2, exec_lo
	v_cmpx_ne_u64_e32 1, v[32:33]
	s_xor_b32 s2, exec_lo, s2
	s_cbranch_execz .LBB76_452
; %bb.451:
	s_waitcnt lgkmcnt(15)
	flat_store_b64 v[38:39], v[2:3]
                                        ; implicit-def: $vgpr38_vgpr39
                                        ; implicit-def: $vgpr0_vgpr1
.LBB76_452:
	s_and_not1_saveexec_b32 s2, s2
	s_cbranch_execz .LBB76_454
; %bb.453:
	s_waitcnt lgkmcnt(14)
	flat_store_b64 v[38:39], v[0:1]
.LBB76_454:
	s_or_b32 exec_lo, exec_lo, s1
.LBB76_455:
	s_delay_alu instid0(SALU_CYCLE_1)
	s_or_b32 exec_lo, exec_lo, s0
	v_readlane_b32 s30, v46, 0
	v_readlane_b32 s31, v46, 1
	s_or_saveexec_b32 s0, -1
	scratch_load_b32 v46, off, s32          ; 4-byte Folded Reload
	s_mov_b32 exec_lo, s0
	s_waitcnt vmcnt(0) lgkmcnt(0)
	s_setpc_b64 s[30:31]
.LBB76_456:
	s_waitcnt lgkmcnt(15)
	flat_store_b64 v[32:33], v[2:3]
	s_or_b32 exec_lo, exec_lo, s1
	s_delay_alu instid0(SALU_CYCLE_1)
	s_mov_b32 s1, exec_lo
	v_cmpx_lt_u32_e64 v210, v183
	s_cbranch_execz .LBB76_380
.LBB76_457:
	s_waitcnt lgkmcnt(14)
	flat_store_b64 v[32:33], v[0:1] offset:2048
	s_or_b32 exec_lo, exec_lo, s1
	s_delay_alu instid0(SALU_CYCLE_1)
	s_mov_b32 s1, exec_lo
	v_cmpx_lt_u32_e64 v209, v183
	s_cbranch_execz .LBB76_381
.LBB76_458:
	v_add_co_u32 v34, vcc_lo, 0x1000, v32
	v_add_co_ci_u32_e32 v35, vcc_lo, 0, v33, vcc_lo
	s_waitcnt lgkmcnt(13)
	flat_store_b64 v[34:35], v[4:5]
	s_or_b32 exec_lo, exec_lo, s1
	s_delay_alu instid0(SALU_CYCLE_1)
	s_mov_b32 s1, exec_lo
	v_cmpx_lt_u32_e64 v208, v183
	s_cbranch_execz .LBB76_382
.LBB76_459:
	v_add_co_u32 v34, vcc_lo, 0x1000, v32
	v_add_co_ci_u32_e32 v35, vcc_lo, 0, v33, vcc_lo
	s_waitcnt lgkmcnt(12)
	flat_store_b64 v[34:35], v[6:7] offset:2048
	s_or_b32 exec_lo, exec_lo, s1
	s_delay_alu instid0(SALU_CYCLE_1)
	s_mov_b32 s1, exec_lo
	v_cmpx_lt_u32_e64 v199, v183
	s_cbranch_execz .LBB76_383
.LBB76_460:
	v_add_co_u32 v34, vcc_lo, 0x2000, v32
	v_add_co_ci_u32_e32 v35, vcc_lo, 0, v33, vcc_lo
	s_waitcnt lgkmcnt(11)
	flat_store_b64 v[34:35], v[8:9]
	s_or_b32 exec_lo, exec_lo, s1
	s_delay_alu instid0(SALU_CYCLE_1)
	s_mov_b32 s1, exec_lo
	v_cmpx_lt_u32_e64 v197, v183
	s_cbranch_execz .LBB76_384
.LBB76_461:
	v_add_co_u32 v34, vcc_lo, 0x2000, v32
	v_add_co_ci_u32_e32 v35, vcc_lo, 0, v33, vcc_lo
	s_waitcnt lgkmcnt(10)
	flat_store_b64 v[34:35], v[10:11] offset:2048
	s_or_b32 exec_lo, exec_lo, s1
	s_delay_alu instid0(SALU_CYCLE_1)
	s_mov_b32 s1, exec_lo
	v_cmpx_lt_u32_e64 v196, v183
	s_cbranch_execz .LBB76_385
.LBB76_462:
	v_add_co_u32 v34, vcc_lo, 0x3000, v32
	v_add_co_ci_u32_e32 v35, vcc_lo, 0, v33, vcc_lo
	s_waitcnt lgkmcnt(9)
	flat_store_b64 v[34:35], v[12:13]
	s_or_b32 exec_lo, exec_lo, s1
	s_delay_alu instid0(SALU_CYCLE_1)
	s_mov_b32 s1, exec_lo
	v_cmpx_lt_u32_e64 v195, v183
	s_cbranch_execz .LBB76_386
.LBB76_463:
	v_add_co_u32 v34, vcc_lo, 0x3000, v32
	v_add_co_ci_u32_e32 v35, vcc_lo, 0, v33, vcc_lo
	s_waitcnt lgkmcnt(8)
	flat_store_b64 v[34:35], v[14:15] offset:2048
	s_or_b32 exec_lo, exec_lo, s1
	s_delay_alu instid0(SALU_CYCLE_1)
	s_mov_b32 s1, exec_lo
	v_cmpx_lt_u32_e64 v194, v183
	s_cbranch_execz .LBB76_387
.LBB76_464:
	v_add_co_u32 v34, vcc_lo, 0x4000, v32
	v_add_co_ci_u32_e32 v35, vcc_lo, 0, v33, vcc_lo
	s_waitcnt lgkmcnt(7)
	flat_store_b64 v[34:35], v[16:17]
	s_or_b32 exec_lo, exec_lo, s1
	s_delay_alu instid0(SALU_CYCLE_1)
	s_mov_b32 s1, exec_lo
	v_cmpx_lt_u32_e64 v193, v183
	s_cbranch_execz .LBB76_388
.LBB76_465:
	v_add_co_u32 v34, vcc_lo, 0x4000, v32
	v_add_co_ci_u32_e32 v35, vcc_lo, 0, v33, vcc_lo
	s_waitcnt lgkmcnt(6)
	flat_store_b64 v[34:35], v[18:19] offset:2048
	s_or_b32 exec_lo, exec_lo, s1
	s_delay_alu instid0(SALU_CYCLE_1)
	s_mov_b32 s1, exec_lo
	v_cmpx_lt_u32_e64 v182, v183
	s_cbranch_execz .LBB76_389
.LBB76_466:
	v_add_co_u32 v34, vcc_lo, 0x5000, v32
	v_add_co_ci_u32_e32 v35, vcc_lo, 0, v33, vcc_lo
	s_waitcnt lgkmcnt(5)
	flat_store_b64 v[34:35], v[20:21]
	s_or_b32 exec_lo, exec_lo, s1
	s_delay_alu instid0(SALU_CYCLE_1)
	s_mov_b32 s1, exec_lo
	v_cmpx_lt_u32_e64 v181, v183
	s_cbranch_execz .LBB76_390
.LBB76_467:
	v_add_co_u32 v34, vcc_lo, 0x5000, v32
	v_add_co_ci_u32_e32 v35, vcc_lo, 0, v33, vcc_lo
	s_waitcnt lgkmcnt(4)
	flat_store_b64 v[34:35], v[24:25] offset:2048
	s_or_b32 exec_lo, exec_lo, s1
	s_delay_alu instid0(SALU_CYCLE_1)
	s_mov_b32 s1, exec_lo
	v_cmpx_lt_u32_e64 v180, v183
	s_cbranch_execz .LBB76_391
.LBB76_468:
	v_add_co_u32 v34, vcc_lo, 0x6000, v32
	v_add_co_ci_u32_e32 v35, vcc_lo, 0, v33, vcc_lo
	s_waitcnt lgkmcnt(3)
	flat_store_b64 v[34:35], v[22:23]
	s_or_b32 exec_lo, exec_lo, s1
	s_delay_alu instid0(SALU_CYCLE_1)
	s_mov_b32 s1, exec_lo
	v_cmpx_lt_u32_e64 v179, v183
	s_cbranch_execz .LBB76_392
.LBB76_469:
	v_add_co_u32 v34, vcc_lo, 0x6000, v32
	v_add_co_ci_u32_e32 v35, vcc_lo, 0, v33, vcc_lo
	s_waitcnt lgkmcnt(2)
	flat_store_b64 v[34:35], v[26:27] offset:2048
	s_or_b32 exec_lo, exec_lo, s1
	s_delay_alu instid0(SALU_CYCLE_1)
	s_mov_b32 s1, exec_lo
	v_cmpx_lt_u32_e64 v178, v183
	s_cbranch_execz .LBB76_393
.LBB76_470:
	v_add_co_u32 v34, vcc_lo, 0x7000, v32
	v_add_co_ci_u32_e32 v35, vcc_lo, 0, v33, vcc_lo
	s_waitcnt lgkmcnt(1)
	flat_store_b64 v[34:35], v[28:29]
	s_or_b32 exec_lo, exec_lo, s1
	s_delay_alu instid0(SALU_CYCLE_1)
	s_mov_b32 s1, exec_lo
	v_cmpx_lt_u32_e64 v135, v183
	s_cbranch_execnz .LBB76_394
	s_branch .LBB76_395
.Lfunc_end76:
	.size	_ZZZN7rocprim17ROCPRIM_400000_NS6detail9scan_implILNS1_25lookback_scan_determinismE0ELb0ELb0ENS0_14default_configEPKdPddZZZN2at6native31launch_logcumsumexp_cuda_kernelERKNS8_10TensorBaseESC_lENKUlvE_clEvENKUlvE_clEvEUlddE_dEEDaPvRmT3_T4_T5_mT6_P12ihipStream_tbENKUlT_T0_E_clISt17integral_constantIbLb0EESS_IbLb1EEEEDaSO_SP_ENKUlSO_E_clINS1_13target_configIS4_NS1_20scan_config_selectorIdEENS1_11comp_targetILNS1_3genE9ELNS1_11target_archE1100ELNS1_3gpuE3ELNS1_3repE0EEELNS0_4arch9wavefront6targetE0EEEEEDaSO_, .Lfunc_end76-_ZZZN7rocprim17ROCPRIM_400000_NS6detail9scan_implILNS1_25lookback_scan_determinismE0ELb0ELb0ENS0_14default_configEPKdPddZZZN2at6native31launch_logcumsumexp_cuda_kernelERKNS8_10TensorBaseESC_lENKUlvE_clEvENKUlvE_clEvEUlddE_dEEDaPvRmT3_T4_T5_mT6_P12ihipStream_tbENKUlT_T0_E_clISt17integral_constantIbLb0EESS_IbLb1EEEEDaSO_SP_ENKUlSO_E_clINS1_13target_configIS4_NS1_20scan_config_selectorIdEENS1_11comp_targetILNS1_3genE9ELNS1_11target_archE1100ELNS1_3gpuE3ELNS1_3repE0EEELNS0_4arch9wavefront6targetE0EEEEEDaSO_
                                        ; -- End function
	.section	.AMDGPU.csdata,"",@progbits
; Function info:
; codeLenInByte = 185700
; NumSgprs: 78
; NumVgprs: 248
; ScratchSize: 8
; MemoryBound: 0
	.section	.text._ZN7rocprim17ROCPRIM_400000_NS6detail17trampoline_kernelINS0_14default_configENS1_20scan_config_selectorIdEEZZNS1_9scan_implILNS1_25lookback_scan_determinismE0ELb0ELb0ES3_PKdPddZZZN2at6native31launch_logcumsumexp_cuda_kernelERKNSB_10TensorBaseESF_lENKUlvE_clEvENKUlvE_clEvEUlddE_dEEDaPvRmT3_T4_T5_mT6_P12ihipStream_tbENKUlT_T0_E_clISt17integral_constantIbLb0EESV_IbLb1EEEEDaSR_SS_EUlSR_E_NS1_11comp_targetILNS1_3genE9ELNS1_11target_archE1100ELNS1_3gpuE3ELNS1_3repE0EEENS1_30default_config_static_selectorELNS0_4arch9wavefront6targetE0EEEvT1_,"axG",@progbits,_ZN7rocprim17ROCPRIM_400000_NS6detail17trampoline_kernelINS0_14default_configENS1_20scan_config_selectorIdEEZZNS1_9scan_implILNS1_25lookback_scan_determinismE0ELb0ELb0ES3_PKdPddZZZN2at6native31launch_logcumsumexp_cuda_kernelERKNSB_10TensorBaseESF_lENKUlvE_clEvENKUlvE_clEvEUlddE_dEEDaPvRmT3_T4_T5_mT6_P12ihipStream_tbENKUlT_T0_E_clISt17integral_constantIbLb0EESV_IbLb1EEEEDaSR_SS_EUlSR_E_NS1_11comp_targetILNS1_3genE9ELNS1_11target_archE1100ELNS1_3gpuE3ELNS1_3repE0EEENS1_30default_config_static_selectorELNS0_4arch9wavefront6targetE0EEEvT1_,comdat
	.globl	_ZN7rocprim17ROCPRIM_400000_NS6detail17trampoline_kernelINS0_14default_configENS1_20scan_config_selectorIdEEZZNS1_9scan_implILNS1_25lookback_scan_determinismE0ELb0ELb0ES3_PKdPddZZZN2at6native31launch_logcumsumexp_cuda_kernelERKNSB_10TensorBaseESF_lENKUlvE_clEvENKUlvE_clEvEUlddE_dEEDaPvRmT3_T4_T5_mT6_P12ihipStream_tbENKUlT_T0_E_clISt17integral_constantIbLb0EESV_IbLb1EEEEDaSR_SS_EUlSR_E_NS1_11comp_targetILNS1_3genE9ELNS1_11target_archE1100ELNS1_3gpuE3ELNS1_3repE0EEENS1_30default_config_static_selectorELNS0_4arch9wavefront6targetE0EEEvT1_ ; -- Begin function _ZN7rocprim17ROCPRIM_400000_NS6detail17trampoline_kernelINS0_14default_configENS1_20scan_config_selectorIdEEZZNS1_9scan_implILNS1_25lookback_scan_determinismE0ELb0ELb0ES3_PKdPddZZZN2at6native31launch_logcumsumexp_cuda_kernelERKNSB_10TensorBaseESF_lENKUlvE_clEvENKUlvE_clEvEUlddE_dEEDaPvRmT3_T4_T5_mT6_P12ihipStream_tbENKUlT_T0_E_clISt17integral_constantIbLb0EESV_IbLb1EEEEDaSR_SS_EUlSR_E_NS1_11comp_targetILNS1_3genE9ELNS1_11target_archE1100ELNS1_3gpuE3ELNS1_3repE0EEENS1_30default_config_static_selectorELNS0_4arch9wavefront6targetE0EEEvT1_
	.p2align	8
	.type	_ZN7rocprim17ROCPRIM_400000_NS6detail17trampoline_kernelINS0_14default_configENS1_20scan_config_selectorIdEEZZNS1_9scan_implILNS1_25lookback_scan_determinismE0ELb0ELb0ES3_PKdPddZZZN2at6native31launch_logcumsumexp_cuda_kernelERKNSB_10TensorBaseESF_lENKUlvE_clEvENKUlvE_clEvEUlddE_dEEDaPvRmT3_T4_T5_mT6_P12ihipStream_tbENKUlT_T0_E_clISt17integral_constantIbLb0EESV_IbLb1EEEEDaSR_SS_EUlSR_E_NS1_11comp_targetILNS1_3genE9ELNS1_11target_archE1100ELNS1_3gpuE3ELNS1_3repE0EEENS1_30default_config_static_selectorELNS0_4arch9wavefront6targetE0EEEvT1_,@function
_ZN7rocprim17ROCPRIM_400000_NS6detail17trampoline_kernelINS0_14default_configENS1_20scan_config_selectorIdEEZZNS1_9scan_implILNS1_25lookback_scan_determinismE0ELb0ELb0ES3_PKdPddZZZN2at6native31launch_logcumsumexp_cuda_kernelERKNSB_10TensorBaseESF_lENKUlvE_clEvENKUlvE_clEvEUlddE_dEEDaPvRmT3_T4_T5_mT6_P12ihipStream_tbENKUlT_T0_E_clISt17integral_constantIbLb0EESV_IbLb1EEEEDaSR_SS_EUlSR_E_NS1_11comp_targetILNS1_3genE9ELNS1_11target_archE1100ELNS1_3gpuE3ELNS1_3repE0EEENS1_30default_config_static_selectorELNS0_4arch9wavefront6targetE0EEEvT1_: ; @_ZN7rocprim17ROCPRIM_400000_NS6detail17trampoline_kernelINS0_14default_configENS1_20scan_config_selectorIdEEZZNS1_9scan_implILNS1_25lookback_scan_determinismE0ELb0ELb0ES3_PKdPddZZZN2at6native31launch_logcumsumexp_cuda_kernelERKNSB_10TensorBaseESF_lENKUlvE_clEvENKUlvE_clEvEUlddE_dEEDaPvRmT3_T4_T5_mT6_P12ihipStream_tbENKUlT_T0_E_clISt17integral_constantIbLb0EESV_IbLb1EEEEDaSR_SS_EUlSR_E_NS1_11comp_targetILNS1_3genE9ELNS1_11target_archE1100ELNS1_3gpuE3ELNS1_3repE0EEENS1_30default_config_static_selectorELNS0_4arch9wavefront6targetE0EEEvT1_
; %bb.0:
	s_clause 0x3
	s_load_b256 s[12:19], s[0:1], 0x0
	s_load_b256 s[20:27], s[0:1], 0x20
	;; [unrolled: 1-line block ×3, first 2 shown]
	s_load_b64 s[2:3], s[0:1], 0x60
	v_mov_b32_e32 v31, v0
	s_mov_b64 s[4:5], src_private_base
	s_add_u32 s8, s0, 0x68
	s_addc_u32 s9, s1, 0
	s_movk_i32 s32, 0x70
	s_getpc_b64 s[0:1]
	s_add_u32 s0, s0, _ZZZN7rocprim17ROCPRIM_400000_NS6detail9scan_implILNS1_25lookback_scan_determinismE0ELb0ELb0ENS0_14default_configEPKdPddZZZN2at6native31launch_logcumsumexp_cuda_kernelERKNS8_10TensorBaseESC_lENKUlvE_clEvENKUlvE_clEvEUlddE_dEEDaPvRmT3_T4_T5_mT6_P12ihipStream_tbENKUlT_T0_E_clISt17integral_constantIbLb0EESS_IbLb1EEEEDaSO_SP_ENKUlSO_E_clINS1_13target_configIS4_NS1_20scan_config_selectorIdEENS1_11comp_targetILNS1_3genE9ELNS1_11target_archE1100ELNS1_3gpuE3ELNS1_3repE0EEELNS0_4arch9wavefront6targetE0EEEEEDaSO_@rel32@lo+4
	s_addc_u32 s1, s1, _ZZZN7rocprim17ROCPRIM_400000_NS6detail9scan_implILNS1_25lookback_scan_determinismE0ELb0ELb0ENS0_14default_configEPKdPddZZZN2at6native31launch_logcumsumexp_cuda_kernelERKNS8_10TensorBaseESC_lENKUlvE_clEvENKUlvE_clEvEUlddE_dEEDaPvRmT3_T4_T5_mT6_P12ihipStream_tbENKUlT_T0_E_clISt17integral_constantIbLb0EESS_IbLb1EEEEDaSO_SP_ENKUlSO_E_clINS1_13target_configIS4_NS1_20scan_config_selectorIdEENS1_11comp_targetILNS1_3genE9ELNS1_11target_archE1100ELNS1_3gpuE3ELNS1_3repE0EEELNS0_4arch9wavefront6targetE0EEEEEDaSO_@rel32@hi+12
	s_waitcnt lgkmcnt(0)
	v_dual_mov_b32 v0, s12 :: v_dual_mov_b32 v1, s13
	v_dual_mov_b32 v2, s14 :: v_dual_mov_b32 v3, s15
	;; [unrolled: 1-line block ×13, first 2 shown]
	s_clause 0x6
	scratch_store_b128 off, v[0:3], off
	scratch_store_b128 off, v[4:7], off offset:16
	scratch_store_b128 off, v[8:11], off offset:32
	;; [unrolled: 1-line block ×5, first 2 shown]
	scratch_store_b64 off, v[24:25], off offset:96
	v_dual_mov_b32 v0, 0 :: v_dual_mov_b32 v1, s5
	s_swappc_b64 s[30:31], s[0:1]
	s_endpgm
	.section	.rodata,"a",@progbits
	.p2align	6, 0x0
	.amdhsa_kernel _ZN7rocprim17ROCPRIM_400000_NS6detail17trampoline_kernelINS0_14default_configENS1_20scan_config_selectorIdEEZZNS1_9scan_implILNS1_25lookback_scan_determinismE0ELb0ELb0ES3_PKdPddZZZN2at6native31launch_logcumsumexp_cuda_kernelERKNSB_10TensorBaseESF_lENKUlvE_clEvENKUlvE_clEvEUlddE_dEEDaPvRmT3_T4_T5_mT6_P12ihipStream_tbENKUlT_T0_E_clISt17integral_constantIbLb0EESV_IbLb1EEEEDaSR_SS_EUlSR_E_NS1_11comp_targetILNS1_3genE9ELNS1_11target_archE1100ELNS1_3gpuE3ELNS1_3repE0EEENS1_30default_config_static_selectorELNS0_4arch9wavefront6targetE0EEEvT1_
		.amdhsa_group_segment_fixed_size 33792
		.amdhsa_private_segment_fixed_size 120
		.amdhsa_kernarg_size 360
		.amdhsa_user_sgpr_count 15
		.amdhsa_user_sgpr_dispatch_ptr 0
		.amdhsa_user_sgpr_queue_ptr 0
		.amdhsa_user_sgpr_kernarg_segment_ptr 1
		.amdhsa_user_sgpr_dispatch_id 0
		.amdhsa_user_sgpr_private_segment_size 0
		.amdhsa_wavefront_size32 1
		.amdhsa_uses_dynamic_stack 0
		.amdhsa_enable_private_segment 1
		.amdhsa_system_sgpr_workgroup_id_x 1
		.amdhsa_system_sgpr_workgroup_id_y 0
		.amdhsa_system_sgpr_workgroup_id_z 0
		.amdhsa_system_sgpr_workgroup_info 0
		.amdhsa_system_vgpr_workitem_id 0
		.amdhsa_next_free_vgpr 248
		.amdhsa_next_free_sgpr 76
		.amdhsa_reserve_vcc 1
		.amdhsa_float_round_mode_32 0
		.amdhsa_float_round_mode_16_64 0
		.amdhsa_float_denorm_mode_32 3
		.amdhsa_float_denorm_mode_16_64 3
		.amdhsa_dx10_clamp 1
		.amdhsa_ieee_mode 1
		.amdhsa_fp16_overflow 0
		.amdhsa_workgroup_processor_mode 1
		.amdhsa_memory_ordered 1
		.amdhsa_forward_progress 0
		.amdhsa_shared_vgpr_count 0
		.amdhsa_exception_fp_ieee_invalid_op 0
		.amdhsa_exception_fp_denorm_src 0
		.amdhsa_exception_fp_ieee_div_zero 0
		.amdhsa_exception_fp_ieee_overflow 0
		.amdhsa_exception_fp_ieee_underflow 0
		.amdhsa_exception_fp_ieee_inexact 0
		.amdhsa_exception_int_div_zero 0
	.end_amdhsa_kernel
	.section	.text._ZN7rocprim17ROCPRIM_400000_NS6detail17trampoline_kernelINS0_14default_configENS1_20scan_config_selectorIdEEZZNS1_9scan_implILNS1_25lookback_scan_determinismE0ELb0ELb0ES3_PKdPddZZZN2at6native31launch_logcumsumexp_cuda_kernelERKNSB_10TensorBaseESF_lENKUlvE_clEvENKUlvE_clEvEUlddE_dEEDaPvRmT3_T4_T5_mT6_P12ihipStream_tbENKUlT_T0_E_clISt17integral_constantIbLb0EESV_IbLb1EEEEDaSR_SS_EUlSR_E_NS1_11comp_targetILNS1_3genE9ELNS1_11target_archE1100ELNS1_3gpuE3ELNS1_3repE0EEENS1_30default_config_static_selectorELNS0_4arch9wavefront6targetE0EEEvT1_,"axG",@progbits,_ZN7rocprim17ROCPRIM_400000_NS6detail17trampoline_kernelINS0_14default_configENS1_20scan_config_selectorIdEEZZNS1_9scan_implILNS1_25lookback_scan_determinismE0ELb0ELb0ES3_PKdPddZZZN2at6native31launch_logcumsumexp_cuda_kernelERKNSB_10TensorBaseESF_lENKUlvE_clEvENKUlvE_clEvEUlddE_dEEDaPvRmT3_T4_T5_mT6_P12ihipStream_tbENKUlT_T0_E_clISt17integral_constantIbLb0EESV_IbLb1EEEEDaSR_SS_EUlSR_E_NS1_11comp_targetILNS1_3genE9ELNS1_11target_archE1100ELNS1_3gpuE3ELNS1_3repE0EEENS1_30default_config_static_selectorELNS0_4arch9wavefront6targetE0EEEvT1_,comdat
.Lfunc_end77:
	.size	_ZN7rocprim17ROCPRIM_400000_NS6detail17trampoline_kernelINS0_14default_configENS1_20scan_config_selectorIdEEZZNS1_9scan_implILNS1_25lookback_scan_determinismE0ELb0ELb0ES3_PKdPddZZZN2at6native31launch_logcumsumexp_cuda_kernelERKNSB_10TensorBaseESF_lENKUlvE_clEvENKUlvE_clEvEUlddE_dEEDaPvRmT3_T4_T5_mT6_P12ihipStream_tbENKUlT_T0_E_clISt17integral_constantIbLb0EESV_IbLb1EEEEDaSR_SS_EUlSR_E_NS1_11comp_targetILNS1_3genE9ELNS1_11target_archE1100ELNS1_3gpuE3ELNS1_3repE0EEENS1_30default_config_static_selectorELNS0_4arch9wavefront6targetE0EEEvT1_, .Lfunc_end77-_ZN7rocprim17ROCPRIM_400000_NS6detail17trampoline_kernelINS0_14default_configENS1_20scan_config_selectorIdEEZZNS1_9scan_implILNS1_25lookback_scan_determinismE0ELb0ELb0ES3_PKdPddZZZN2at6native31launch_logcumsumexp_cuda_kernelERKNSB_10TensorBaseESF_lENKUlvE_clEvENKUlvE_clEvEUlddE_dEEDaPvRmT3_T4_T5_mT6_P12ihipStream_tbENKUlT_T0_E_clISt17integral_constantIbLb0EESV_IbLb1EEEEDaSR_SS_EUlSR_E_NS1_11comp_targetILNS1_3genE9ELNS1_11target_archE1100ELNS1_3gpuE3ELNS1_3repE0EEENS1_30default_config_static_selectorELNS0_4arch9wavefront6targetE0EEEvT1_
                                        ; -- End function
	.section	.AMDGPU.csdata,"",@progbits
; Kernel info:
; codeLenInByte = 264
; NumSgprs: 78
; NumVgprs: 248
; ScratchSize: 120
; MemoryBound: 0
; FloatMode: 240
; IeeeMode: 1
; LDSByteSize: 33792 bytes/workgroup (compile time only)
; SGPRBlocks: 9
; VGPRBlocks: 30
; NumSGPRsForWavesPerEU: 78
; NumVGPRsForWavesPerEU: 248
; Occupancy: 5
; WaveLimiterHint : 1
; COMPUTE_PGM_RSRC2:SCRATCH_EN: 1
; COMPUTE_PGM_RSRC2:USER_SGPR: 15
; COMPUTE_PGM_RSRC2:TRAP_HANDLER: 0
; COMPUTE_PGM_RSRC2:TGID_X_EN: 1
; COMPUTE_PGM_RSRC2:TGID_Y_EN: 0
; COMPUTE_PGM_RSRC2:TGID_Z_EN: 0
; COMPUTE_PGM_RSRC2:TIDIG_COMP_CNT: 0
	.section	.text._ZN7rocprim17ROCPRIM_400000_NS6detail17trampoline_kernelINS0_14default_configENS1_20scan_config_selectorIdEEZZNS1_9scan_implILNS1_25lookback_scan_determinismE0ELb0ELb0ES3_PKdPddZZZN2at6native31launch_logcumsumexp_cuda_kernelERKNSB_10TensorBaseESF_lENKUlvE_clEvENKUlvE_clEvEUlddE_dEEDaPvRmT3_T4_T5_mT6_P12ihipStream_tbENKUlT_T0_E_clISt17integral_constantIbLb0EESV_IbLb1EEEEDaSR_SS_EUlSR_E_NS1_11comp_targetILNS1_3genE8ELNS1_11target_archE1030ELNS1_3gpuE2ELNS1_3repE0EEENS1_30default_config_static_selectorELNS0_4arch9wavefront6targetE0EEEvT1_,"axG",@progbits,_ZN7rocprim17ROCPRIM_400000_NS6detail17trampoline_kernelINS0_14default_configENS1_20scan_config_selectorIdEEZZNS1_9scan_implILNS1_25lookback_scan_determinismE0ELb0ELb0ES3_PKdPddZZZN2at6native31launch_logcumsumexp_cuda_kernelERKNSB_10TensorBaseESF_lENKUlvE_clEvENKUlvE_clEvEUlddE_dEEDaPvRmT3_T4_T5_mT6_P12ihipStream_tbENKUlT_T0_E_clISt17integral_constantIbLb0EESV_IbLb1EEEEDaSR_SS_EUlSR_E_NS1_11comp_targetILNS1_3genE8ELNS1_11target_archE1030ELNS1_3gpuE2ELNS1_3repE0EEENS1_30default_config_static_selectorELNS0_4arch9wavefront6targetE0EEEvT1_,comdat
	.globl	_ZN7rocprim17ROCPRIM_400000_NS6detail17trampoline_kernelINS0_14default_configENS1_20scan_config_selectorIdEEZZNS1_9scan_implILNS1_25lookback_scan_determinismE0ELb0ELb0ES3_PKdPddZZZN2at6native31launch_logcumsumexp_cuda_kernelERKNSB_10TensorBaseESF_lENKUlvE_clEvENKUlvE_clEvEUlddE_dEEDaPvRmT3_T4_T5_mT6_P12ihipStream_tbENKUlT_T0_E_clISt17integral_constantIbLb0EESV_IbLb1EEEEDaSR_SS_EUlSR_E_NS1_11comp_targetILNS1_3genE8ELNS1_11target_archE1030ELNS1_3gpuE2ELNS1_3repE0EEENS1_30default_config_static_selectorELNS0_4arch9wavefront6targetE0EEEvT1_ ; -- Begin function _ZN7rocprim17ROCPRIM_400000_NS6detail17trampoline_kernelINS0_14default_configENS1_20scan_config_selectorIdEEZZNS1_9scan_implILNS1_25lookback_scan_determinismE0ELb0ELb0ES3_PKdPddZZZN2at6native31launch_logcumsumexp_cuda_kernelERKNSB_10TensorBaseESF_lENKUlvE_clEvENKUlvE_clEvEUlddE_dEEDaPvRmT3_T4_T5_mT6_P12ihipStream_tbENKUlT_T0_E_clISt17integral_constantIbLb0EESV_IbLb1EEEEDaSR_SS_EUlSR_E_NS1_11comp_targetILNS1_3genE8ELNS1_11target_archE1030ELNS1_3gpuE2ELNS1_3repE0EEENS1_30default_config_static_selectorELNS0_4arch9wavefront6targetE0EEEvT1_
	.p2align	8
	.type	_ZN7rocprim17ROCPRIM_400000_NS6detail17trampoline_kernelINS0_14default_configENS1_20scan_config_selectorIdEEZZNS1_9scan_implILNS1_25lookback_scan_determinismE0ELb0ELb0ES3_PKdPddZZZN2at6native31launch_logcumsumexp_cuda_kernelERKNSB_10TensorBaseESF_lENKUlvE_clEvENKUlvE_clEvEUlddE_dEEDaPvRmT3_T4_T5_mT6_P12ihipStream_tbENKUlT_T0_E_clISt17integral_constantIbLb0EESV_IbLb1EEEEDaSR_SS_EUlSR_E_NS1_11comp_targetILNS1_3genE8ELNS1_11target_archE1030ELNS1_3gpuE2ELNS1_3repE0EEENS1_30default_config_static_selectorELNS0_4arch9wavefront6targetE0EEEvT1_,@function
_ZN7rocprim17ROCPRIM_400000_NS6detail17trampoline_kernelINS0_14default_configENS1_20scan_config_selectorIdEEZZNS1_9scan_implILNS1_25lookback_scan_determinismE0ELb0ELb0ES3_PKdPddZZZN2at6native31launch_logcumsumexp_cuda_kernelERKNSB_10TensorBaseESF_lENKUlvE_clEvENKUlvE_clEvEUlddE_dEEDaPvRmT3_T4_T5_mT6_P12ihipStream_tbENKUlT_T0_E_clISt17integral_constantIbLb0EESV_IbLb1EEEEDaSR_SS_EUlSR_E_NS1_11comp_targetILNS1_3genE8ELNS1_11target_archE1030ELNS1_3gpuE2ELNS1_3repE0EEENS1_30default_config_static_selectorELNS0_4arch9wavefront6targetE0EEEvT1_: ; @_ZN7rocprim17ROCPRIM_400000_NS6detail17trampoline_kernelINS0_14default_configENS1_20scan_config_selectorIdEEZZNS1_9scan_implILNS1_25lookback_scan_determinismE0ELb0ELb0ES3_PKdPddZZZN2at6native31launch_logcumsumexp_cuda_kernelERKNSB_10TensorBaseESF_lENKUlvE_clEvENKUlvE_clEvEUlddE_dEEDaPvRmT3_T4_T5_mT6_P12ihipStream_tbENKUlT_T0_E_clISt17integral_constantIbLb0EESV_IbLb1EEEEDaSR_SS_EUlSR_E_NS1_11comp_targetILNS1_3genE8ELNS1_11target_archE1030ELNS1_3gpuE2ELNS1_3repE0EEENS1_30default_config_static_selectorELNS0_4arch9wavefront6targetE0EEEvT1_
; %bb.0:
	.section	.rodata,"a",@progbits
	.p2align	6, 0x0
	.amdhsa_kernel _ZN7rocprim17ROCPRIM_400000_NS6detail17trampoline_kernelINS0_14default_configENS1_20scan_config_selectorIdEEZZNS1_9scan_implILNS1_25lookback_scan_determinismE0ELb0ELb0ES3_PKdPddZZZN2at6native31launch_logcumsumexp_cuda_kernelERKNSB_10TensorBaseESF_lENKUlvE_clEvENKUlvE_clEvEUlddE_dEEDaPvRmT3_T4_T5_mT6_P12ihipStream_tbENKUlT_T0_E_clISt17integral_constantIbLb0EESV_IbLb1EEEEDaSR_SS_EUlSR_E_NS1_11comp_targetILNS1_3genE8ELNS1_11target_archE1030ELNS1_3gpuE2ELNS1_3repE0EEENS1_30default_config_static_selectorELNS0_4arch9wavefront6targetE0EEEvT1_
		.amdhsa_group_segment_fixed_size 0
		.amdhsa_private_segment_fixed_size 0
		.amdhsa_kernarg_size 104
		.amdhsa_user_sgpr_count 15
		.amdhsa_user_sgpr_dispatch_ptr 0
		.amdhsa_user_sgpr_queue_ptr 0
		.amdhsa_user_sgpr_kernarg_segment_ptr 1
		.amdhsa_user_sgpr_dispatch_id 0
		.amdhsa_user_sgpr_private_segment_size 0
		.amdhsa_wavefront_size32 1
		.amdhsa_uses_dynamic_stack 0
		.amdhsa_enable_private_segment 0
		.amdhsa_system_sgpr_workgroup_id_x 1
		.amdhsa_system_sgpr_workgroup_id_y 0
		.amdhsa_system_sgpr_workgroup_id_z 0
		.amdhsa_system_sgpr_workgroup_info 0
		.amdhsa_system_vgpr_workitem_id 0
		.amdhsa_next_free_vgpr 1
		.amdhsa_next_free_sgpr 1
		.amdhsa_reserve_vcc 0
		.amdhsa_float_round_mode_32 0
		.amdhsa_float_round_mode_16_64 0
		.amdhsa_float_denorm_mode_32 3
		.amdhsa_float_denorm_mode_16_64 3
		.amdhsa_dx10_clamp 1
		.amdhsa_ieee_mode 1
		.amdhsa_fp16_overflow 0
		.amdhsa_workgroup_processor_mode 1
		.amdhsa_memory_ordered 1
		.amdhsa_forward_progress 0
		.amdhsa_shared_vgpr_count 0
		.amdhsa_exception_fp_ieee_invalid_op 0
		.amdhsa_exception_fp_denorm_src 0
		.amdhsa_exception_fp_ieee_div_zero 0
		.amdhsa_exception_fp_ieee_overflow 0
		.amdhsa_exception_fp_ieee_underflow 0
		.amdhsa_exception_fp_ieee_inexact 0
		.amdhsa_exception_int_div_zero 0
	.end_amdhsa_kernel
	.section	.text._ZN7rocprim17ROCPRIM_400000_NS6detail17trampoline_kernelINS0_14default_configENS1_20scan_config_selectorIdEEZZNS1_9scan_implILNS1_25lookback_scan_determinismE0ELb0ELb0ES3_PKdPddZZZN2at6native31launch_logcumsumexp_cuda_kernelERKNSB_10TensorBaseESF_lENKUlvE_clEvENKUlvE_clEvEUlddE_dEEDaPvRmT3_T4_T5_mT6_P12ihipStream_tbENKUlT_T0_E_clISt17integral_constantIbLb0EESV_IbLb1EEEEDaSR_SS_EUlSR_E_NS1_11comp_targetILNS1_3genE8ELNS1_11target_archE1030ELNS1_3gpuE2ELNS1_3repE0EEENS1_30default_config_static_selectorELNS0_4arch9wavefront6targetE0EEEvT1_,"axG",@progbits,_ZN7rocprim17ROCPRIM_400000_NS6detail17trampoline_kernelINS0_14default_configENS1_20scan_config_selectorIdEEZZNS1_9scan_implILNS1_25lookback_scan_determinismE0ELb0ELb0ES3_PKdPddZZZN2at6native31launch_logcumsumexp_cuda_kernelERKNSB_10TensorBaseESF_lENKUlvE_clEvENKUlvE_clEvEUlddE_dEEDaPvRmT3_T4_T5_mT6_P12ihipStream_tbENKUlT_T0_E_clISt17integral_constantIbLb0EESV_IbLb1EEEEDaSR_SS_EUlSR_E_NS1_11comp_targetILNS1_3genE8ELNS1_11target_archE1030ELNS1_3gpuE2ELNS1_3repE0EEENS1_30default_config_static_selectorELNS0_4arch9wavefront6targetE0EEEvT1_,comdat
.Lfunc_end78:
	.size	_ZN7rocprim17ROCPRIM_400000_NS6detail17trampoline_kernelINS0_14default_configENS1_20scan_config_selectorIdEEZZNS1_9scan_implILNS1_25lookback_scan_determinismE0ELb0ELb0ES3_PKdPddZZZN2at6native31launch_logcumsumexp_cuda_kernelERKNSB_10TensorBaseESF_lENKUlvE_clEvENKUlvE_clEvEUlddE_dEEDaPvRmT3_T4_T5_mT6_P12ihipStream_tbENKUlT_T0_E_clISt17integral_constantIbLb0EESV_IbLb1EEEEDaSR_SS_EUlSR_E_NS1_11comp_targetILNS1_3genE8ELNS1_11target_archE1030ELNS1_3gpuE2ELNS1_3repE0EEENS1_30default_config_static_selectorELNS0_4arch9wavefront6targetE0EEEvT1_, .Lfunc_end78-_ZN7rocprim17ROCPRIM_400000_NS6detail17trampoline_kernelINS0_14default_configENS1_20scan_config_selectorIdEEZZNS1_9scan_implILNS1_25lookback_scan_determinismE0ELb0ELb0ES3_PKdPddZZZN2at6native31launch_logcumsumexp_cuda_kernelERKNSB_10TensorBaseESF_lENKUlvE_clEvENKUlvE_clEvEUlddE_dEEDaPvRmT3_T4_T5_mT6_P12ihipStream_tbENKUlT_T0_E_clISt17integral_constantIbLb0EESV_IbLb1EEEEDaSR_SS_EUlSR_E_NS1_11comp_targetILNS1_3genE8ELNS1_11target_archE1030ELNS1_3gpuE2ELNS1_3repE0EEENS1_30default_config_static_selectorELNS0_4arch9wavefront6targetE0EEEvT1_
                                        ; -- End function
	.section	.AMDGPU.csdata,"",@progbits
; Kernel info:
; codeLenInByte = 0
; NumSgprs: 0
; NumVgprs: 0
; ScratchSize: 0
; MemoryBound: 0
; FloatMode: 240
; IeeeMode: 1
; LDSByteSize: 0 bytes/workgroup (compile time only)
; SGPRBlocks: 0
; VGPRBlocks: 0
; NumSGPRsForWavesPerEU: 1
; NumVGPRsForWavesPerEU: 1
; Occupancy: 16
; WaveLimiterHint : 0
; COMPUTE_PGM_RSRC2:SCRATCH_EN: 0
; COMPUTE_PGM_RSRC2:USER_SGPR: 15
; COMPUTE_PGM_RSRC2:TRAP_HANDLER: 0
; COMPUTE_PGM_RSRC2:TGID_X_EN: 1
; COMPUTE_PGM_RSRC2:TGID_Y_EN: 0
; COMPUTE_PGM_RSRC2:TGID_Z_EN: 0
; COMPUTE_PGM_RSRC2:TIDIG_COMP_CNT: 0
	.section	.text._ZN7rocprim17ROCPRIM_400000_NS6detail17trampoline_kernelINS0_14default_configENS1_20scan_config_selectorIdEEZZNS1_9scan_implILNS1_25lookback_scan_determinismE0ELb0ELb0ES3_PKdPddZZZN2at6native31launch_logcumsumexp_cuda_kernelERKNSB_10TensorBaseESF_lENKUlvE_clEvENKUlvE_clEvEUlddE_dEEDaPvRmT3_T4_T5_mT6_P12ihipStream_tbENKUlT_T0_E_clISt17integral_constantIbLb0EESV_IbLb1EEEEDaSR_SS_EUlSR_E0_NS1_11comp_targetILNS1_3genE0ELNS1_11target_archE4294967295ELNS1_3gpuE0ELNS1_3repE0EEENS1_30default_config_static_selectorELNS0_4arch9wavefront6targetE0EEEvT1_,"axG",@progbits,_ZN7rocprim17ROCPRIM_400000_NS6detail17trampoline_kernelINS0_14default_configENS1_20scan_config_selectorIdEEZZNS1_9scan_implILNS1_25lookback_scan_determinismE0ELb0ELb0ES3_PKdPddZZZN2at6native31launch_logcumsumexp_cuda_kernelERKNSB_10TensorBaseESF_lENKUlvE_clEvENKUlvE_clEvEUlddE_dEEDaPvRmT3_T4_T5_mT6_P12ihipStream_tbENKUlT_T0_E_clISt17integral_constantIbLb0EESV_IbLb1EEEEDaSR_SS_EUlSR_E0_NS1_11comp_targetILNS1_3genE0ELNS1_11target_archE4294967295ELNS1_3gpuE0ELNS1_3repE0EEENS1_30default_config_static_selectorELNS0_4arch9wavefront6targetE0EEEvT1_,comdat
	.globl	_ZN7rocprim17ROCPRIM_400000_NS6detail17trampoline_kernelINS0_14default_configENS1_20scan_config_selectorIdEEZZNS1_9scan_implILNS1_25lookback_scan_determinismE0ELb0ELb0ES3_PKdPddZZZN2at6native31launch_logcumsumexp_cuda_kernelERKNSB_10TensorBaseESF_lENKUlvE_clEvENKUlvE_clEvEUlddE_dEEDaPvRmT3_T4_T5_mT6_P12ihipStream_tbENKUlT_T0_E_clISt17integral_constantIbLb0EESV_IbLb1EEEEDaSR_SS_EUlSR_E0_NS1_11comp_targetILNS1_3genE0ELNS1_11target_archE4294967295ELNS1_3gpuE0ELNS1_3repE0EEENS1_30default_config_static_selectorELNS0_4arch9wavefront6targetE0EEEvT1_ ; -- Begin function _ZN7rocprim17ROCPRIM_400000_NS6detail17trampoline_kernelINS0_14default_configENS1_20scan_config_selectorIdEEZZNS1_9scan_implILNS1_25lookback_scan_determinismE0ELb0ELb0ES3_PKdPddZZZN2at6native31launch_logcumsumexp_cuda_kernelERKNSB_10TensorBaseESF_lENKUlvE_clEvENKUlvE_clEvEUlddE_dEEDaPvRmT3_T4_T5_mT6_P12ihipStream_tbENKUlT_T0_E_clISt17integral_constantIbLb0EESV_IbLb1EEEEDaSR_SS_EUlSR_E0_NS1_11comp_targetILNS1_3genE0ELNS1_11target_archE4294967295ELNS1_3gpuE0ELNS1_3repE0EEENS1_30default_config_static_selectorELNS0_4arch9wavefront6targetE0EEEvT1_
	.p2align	8
	.type	_ZN7rocprim17ROCPRIM_400000_NS6detail17trampoline_kernelINS0_14default_configENS1_20scan_config_selectorIdEEZZNS1_9scan_implILNS1_25lookback_scan_determinismE0ELb0ELb0ES3_PKdPddZZZN2at6native31launch_logcumsumexp_cuda_kernelERKNSB_10TensorBaseESF_lENKUlvE_clEvENKUlvE_clEvEUlddE_dEEDaPvRmT3_T4_T5_mT6_P12ihipStream_tbENKUlT_T0_E_clISt17integral_constantIbLb0EESV_IbLb1EEEEDaSR_SS_EUlSR_E0_NS1_11comp_targetILNS1_3genE0ELNS1_11target_archE4294967295ELNS1_3gpuE0ELNS1_3repE0EEENS1_30default_config_static_selectorELNS0_4arch9wavefront6targetE0EEEvT1_,@function
_ZN7rocprim17ROCPRIM_400000_NS6detail17trampoline_kernelINS0_14default_configENS1_20scan_config_selectorIdEEZZNS1_9scan_implILNS1_25lookback_scan_determinismE0ELb0ELb0ES3_PKdPddZZZN2at6native31launch_logcumsumexp_cuda_kernelERKNSB_10TensorBaseESF_lENKUlvE_clEvENKUlvE_clEvEUlddE_dEEDaPvRmT3_T4_T5_mT6_P12ihipStream_tbENKUlT_T0_E_clISt17integral_constantIbLb0EESV_IbLb1EEEEDaSR_SS_EUlSR_E0_NS1_11comp_targetILNS1_3genE0ELNS1_11target_archE4294967295ELNS1_3gpuE0ELNS1_3repE0EEENS1_30default_config_static_selectorELNS0_4arch9wavefront6targetE0EEEvT1_: ; @_ZN7rocprim17ROCPRIM_400000_NS6detail17trampoline_kernelINS0_14default_configENS1_20scan_config_selectorIdEEZZNS1_9scan_implILNS1_25lookback_scan_determinismE0ELb0ELb0ES3_PKdPddZZZN2at6native31launch_logcumsumexp_cuda_kernelERKNSB_10TensorBaseESF_lENKUlvE_clEvENKUlvE_clEvEUlddE_dEEDaPvRmT3_T4_T5_mT6_P12ihipStream_tbENKUlT_T0_E_clISt17integral_constantIbLb0EESV_IbLb1EEEEDaSR_SS_EUlSR_E0_NS1_11comp_targetILNS1_3genE0ELNS1_11target_archE4294967295ELNS1_3gpuE0ELNS1_3repE0EEENS1_30default_config_static_selectorELNS0_4arch9wavefront6targetE0EEEvT1_
; %bb.0:
	.section	.rodata,"a",@progbits
	.p2align	6, 0x0
	.amdhsa_kernel _ZN7rocprim17ROCPRIM_400000_NS6detail17trampoline_kernelINS0_14default_configENS1_20scan_config_selectorIdEEZZNS1_9scan_implILNS1_25lookback_scan_determinismE0ELb0ELb0ES3_PKdPddZZZN2at6native31launch_logcumsumexp_cuda_kernelERKNSB_10TensorBaseESF_lENKUlvE_clEvENKUlvE_clEvEUlddE_dEEDaPvRmT3_T4_T5_mT6_P12ihipStream_tbENKUlT_T0_E_clISt17integral_constantIbLb0EESV_IbLb1EEEEDaSR_SS_EUlSR_E0_NS1_11comp_targetILNS1_3genE0ELNS1_11target_archE4294967295ELNS1_3gpuE0ELNS1_3repE0EEENS1_30default_config_static_selectorELNS0_4arch9wavefront6targetE0EEEvT1_
		.amdhsa_group_segment_fixed_size 0
		.amdhsa_private_segment_fixed_size 0
		.amdhsa_kernarg_size 40
		.amdhsa_user_sgpr_count 15
		.amdhsa_user_sgpr_dispatch_ptr 0
		.amdhsa_user_sgpr_queue_ptr 0
		.amdhsa_user_sgpr_kernarg_segment_ptr 1
		.amdhsa_user_sgpr_dispatch_id 0
		.amdhsa_user_sgpr_private_segment_size 0
		.amdhsa_wavefront_size32 1
		.amdhsa_uses_dynamic_stack 0
		.amdhsa_enable_private_segment 0
		.amdhsa_system_sgpr_workgroup_id_x 1
		.amdhsa_system_sgpr_workgroup_id_y 0
		.amdhsa_system_sgpr_workgroup_id_z 0
		.amdhsa_system_sgpr_workgroup_info 0
		.amdhsa_system_vgpr_workitem_id 0
		.amdhsa_next_free_vgpr 1
		.amdhsa_next_free_sgpr 1
		.amdhsa_reserve_vcc 0
		.amdhsa_float_round_mode_32 0
		.amdhsa_float_round_mode_16_64 0
		.amdhsa_float_denorm_mode_32 3
		.amdhsa_float_denorm_mode_16_64 3
		.amdhsa_dx10_clamp 1
		.amdhsa_ieee_mode 1
		.amdhsa_fp16_overflow 0
		.amdhsa_workgroup_processor_mode 1
		.amdhsa_memory_ordered 1
		.amdhsa_forward_progress 0
		.amdhsa_shared_vgpr_count 0
		.amdhsa_exception_fp_ieee_invalid_op 0
		.amdhsa_exception_fp_denorm_src 0
		.amdhsa_exception_fp_ieee_div_zero 0
		.amdhsa_exception_fp_ieee_overflow 0
		.amdhsa_exception_fp_ieee_underflow 0
		.amdhsa_exception_fp_ieee_inexact 0
		.amdhsa_exception_int_div_zero 0
	.end_amdhsa_kernel
	.section	.text._ZN7rocprim17ROCPRIM_400000_NS6detail17trampoline_kernelINS0_14default_configENS1_20scan_config_selectorIdEEZZNS1_9scan_implILNS1_25lookback_scan_determinismE0ELb0ELb0ES3_PKdPddZZZN2at6native31launch_logcumsumexp_cuda_kernelERKNSB_10TensorBaseESF_lENKUlvE_clEvENKUlvE_clEvEUlddE_dEEDaPvRmT3_T4_T5_mT6_P12ihipStream_tbENKUlT_T0_E_clISt17integral_constantIbLb0EESV_IbLb1EEEEDaSR_SS_EUlSR_E0_NS1_11comp_targetILNS1_3genE0ELNS1_11target_archE4294967295ELNS1_3gpuE0ELNS1_3repE0EEENS1_30default_config_static_selectorELNS0_4arch9wavefront6targetE0EEEvT1_,"axG",@progbits,_ZN7rocprim17ROCPRIM_400000_NS6detail17trampoline_kernelINS0_14default_configENS1_20scan_config_selectorIdEEZZNS1_9scan_implILNS1_25lookback_scan_determinismE0ELb0ELb0ES3_PKdPddZZZN2at6native31launch_logcumsumexp_cuda_kernelERKNSB_10TensorBaseESF_lENKUlvE_clEvENKUlvE_clEvEUlddE_dEEDaPvRmT3_T4_T5_mT6_P12ihipStream_tbENKUlT_T0_E_clISt17integral_constantIbLb0EESV_IbLb1EEEEDaSR_SS_EUlSR_E0_NS1_11comp_targetILNS1_3genE0ELNS1_11target_archE4294967295ELNS1_3gpuE0ELNS1_3repE0EEENS1_30default_config_static_selectorELNS0_4arch9wavefront6targetE0EEEvT1_,comdat
.Lfunc_end79:
	.size	_ZN7rocprim17ROCPRIM_400000_NS6detail17trampoline_kernelINS0_14default_configENS1_20scan_config_selectorIdEEZZNS1_9scan_implILNS1_25lookback_scan_determinismE0ELb0ELb0ES3_PKdPddZZZN2at6native31launch_logcumsumexp_cuda_kernelERKNSB_10TensorBaseESF_lENKUlvE_clEvENKUlvE_clEvEUlddE_dEEDaPvRmT3_T4_T5_mT6_P12ihipStream_tbENKUlT_T0_E_clISt17integral_constantIbLb0EESV_IbLb1EEEEDaSR_SS_EUlSR_E0_NS1_11comp_targetILNS1_3genE0ELNS1_11target_archE4294967295ELNS1_3gpuE0ELNS1_3repE0EEENS1_30default_config_static_selectorELNS0_4arch9wavefront6targetE0EEEvT1_, .Lfunc_end79-_ZN7rocprim17ROCPRIM_400000_NS6detail17trampoline_kernelINS0_14default_configENS1_20scan_config_selectorIdEEZZNS1_9scan_implILNS1_25lookback_scan_determinismE0ELb0ELb0ES3_PKdPddZZZN2at6native31launch_logcumsumexp_cuda_kernelERKNSB_10TensorBaseESF_lENKUlvE_clEvENKUlvE_clEvEUlddE_dEEDaPvRmT3_T4_T5_mT6_P12ihipStream_tbENKUlT_T0_E_clISt17integral_constantIbLb0EESV_IbLb1EEEEDaSR_SS_EUlSR_E0_NS1_11comp_targetILNS1_3genE0ELNS1_11target_archE4294967295ELNS1_3gpuE0ELNS1_3repE0EEENS1_30default_config_static_selectorELNS0_4arch9wavefront6targetE0EEEvT1_
                                        ; -- End function
	.section	.AMDGPU.csdata,"",@progbits
; Kernel info:
; codeLenInByte = 0
; NumSgprs: 0
; NumVgprs: 0
; ScratchSize: 0
; MemoryBound: 0
; FloatMode: 240
; IeeeMode: 1
; LDSByteSize: 0 bytes/workgroup (compile time only)
; SGPRBlocks: 0
; VGPRBlocks: 0
; NumSGPRsForWavesPerEU: 1
; NumVGPRsForWavesPerEU: 1
; Occupancy: 16
; WaveLimiterHint : 0
; COMPUTE_PGM_RSRC2:SCRATCH_EN: 0
; COMPUTE_PGM_RSRC2:USER_SGPR: 15
; COMPUTE_PGM_RSRC2:TRAP_HANDLER: 0
; COMPUTE_PGM_RSRC2:TGID_X_EN: 1
; COMPUTE_PGM_RSRC2:TGID_Y_EN: 0
; COMPUTE_PGM_RSRC2:TGID_Z_EN: 0
; COMPUTE_PGM_RSRC2:TIDIG_COMP_CNT: 0
	.section	.text._ZN7rocprim17ROCPRIM_400000_NS6detail17trampoline_kernelINS0_14default_configENS1_20scan_config_selectorIdEEZZNS1_9scan_implILNS1_25lookback_scan_determinismE0ELb0ELb0ES3_PKdPddZZZN2at6native31launch_logcumsumexp_cuda_kernelERKNSB_10TensorBaseESF_lENKUlvE_clEvENKUlvE_clEvEUlddE_dEEDaPvRmT3_T4_T5_mT6_P12ihipStream_tbENKUlT_T0_E_clISt17integral_constantIbLb0EESV_IbLb1EEEEDaSR_SS_EUlSR_E0_NS1_11comp_targetILNS1_3genE5ELNS1_11target_archE942ELNS1_3gpuE9ELNS1_3repE0EEENS1_30default_config_static_selectorELNS0_4arch9wavefront6targetE0EEEvT1_,"axG",@progbits,_ZN7rocprim17ROCPRIM_400000_NS6detail17trampoline_kernelINS0_14default_configENS1_20scan_config_selectorIdEEZZNS1_9scan_implILNS1_25lookback_scan_determinismE0ELb0ELb0ES3_PKdPddZZZN2at6native31launch_logcumsumexp_cuda_kernelERKNSB_10TensorBaseESF_lENKUlvE_clEvENKUlvE_clEvEUlddE_dEEDaPvRmT3_T4_T5_mT6_P12ihipStream_tbENKUlT_T0_E_clISt17integral_constantIbLb0EESV_IbLb1EEEEDaSR_SS_EUlSR_E0_NS1_11comp_targetILNS1_3genE5ELNS1_11target_archE942ELNS1_3gpuE9ELNS1_3repE0EEENS1_30default_config_static_selectorELNS0_4arch9wavefront6targetE0EEEvT1_,comdat
	.globl	_ZN7rocprim17ROCPRIM_400000_NS6detail17trampoline_kernelINS0_14default_configENS1_20scan_config_selectorIdEEZZNS1_9scan_implILNS1_25lookback_scan_determinismE0ELb0ELb0ES3_PKdPddZZZN2at6native31launch_logcumsumexp_cuda_kernelERKNSB_10TensorBaseESF_lENKUlvE_clEvENKUlvE_clEvEUlddE_dEEDaPvRmT3_T4_T5_mT6_P12ihipStream_tbENKUlT_T0_E_clISt17integral_constantIbLb0EESV_IbLb1EEEEDaSR_SS_EUlSR_E0_NS1_11comp_targetILNS1_3genE5ELNS1_11target_archE942ELNS1_3gpuE9ELNS1_3repE0EEENS1_30default_config_static_selectorELNS0_4arch9wavefront6targetE0EEEvT1_ ; -- Begin function _ZN7rocprim17ROCPRIM_400000_NS6detail17trampoline_kernelINS0_14default_configENS1_20scan_config_selectorIdEEZZNS1_9scan_implILNS1_25lookback_scan_determinismE0ELb0ELb0ES3_PKdPddZZZN2at6native31launch_logcumsumexp_cuda_kernelERKNSB_10TensorBaseESF_lENKUlvE_clEvENKUlvE_clEvEUlddE_dEEDaPvRmT3_T4_T5_mT6_P12ihipStream_tbENKUlT_T0_E_clISt17integral_constantIbLb0EESV_IbLb1EEEEDaSR_SS_EUlSR_E0_NS1_11comp_targetILNS1_3genE5ELNS1_11target_archE942ELNS1_3gpuE9ELNS1_3repE0EEENS1_30default_config_static_selectorELNS0_4arch9wavefront6targetE0EEEvT1_
	.p2align	8
	.type	_ZN7rocprim17ROCPRIM_400000_NS6detail17trampoline_kernelINS0_14default_configENS1_20scan_config_selectorIdEEZZNS1_9scan_implILNS1_25lookback_scan_determinismE0ELb0ELb0ES3_PKdPddZZZN2at6native31launch_logcumsumexp_cuda_kernelERKNSB_10TensorBaseESF_lENKUlvE_clEvENKUlvE_clEvEUlddE_dEEDaPvRmT3_T4_T5_mT6_P12ihipStream_tbENKUlT_T0_E_clISt17integral_constantIbLb0EESV_IbLb1EEEEDaSR_SS_EUlSR_E0_NS1_11comp_targetILNS1_3genE5ELNS1_11target_archE942ELNS1_3gpuE9ELNS1_3repE0EEENS1_30default_config_static_selectorELNS0_4arch9wavefront6targetE0EEEvT1_,@function
_ZN7rocprim17ROCPRIM_400000_NS6detail17trampoline_kernelINS0_14default_configENS1_20scan_config_selectorIdEEZZNS1_9scan_implILNS1_25lookback_scan_determinismE0ELb0ELb0ES3_PKdPddZZZN2at6native31launch_logcumsumexp_cuda_kernelERKNSB_10TensorBaseESF_lENKUlvE_clEvENKUlvE_clEvEUlddE_dEEDaPvRmT3_T4_T5_mT6_P12ihipStream_tbENKUlT_T0_E_clISt17integral_constantIbLb0EESV_IbLb1EEEEDaSR_SS_EUlSR_E0_NS1_11comp_targetILNS1_3genE5ELNS1_11target_archE942ELNS1_3gpuE9ELNS1_3repE0EEENS1_30default_config_static_selectorELNS0_4arch9wavefront6targetE0EEEvT1_: ; @_ZN7rocprim17ROCPRIM_400000_NS6detail17trampoline_kernelINS0_14default_configENS1_20scan_config_selectorIdEEZZNS1_9scan_implILNS1_25lookback_scan_determinismE0ELb0ELb0ES3_PKdPddZZZN2at6native31launch_logcumsumexp_cuda_kernelERKNSB_10TensorBaseESF_lENKUlvE_clEvENKUlvE_clEvEUlddE_dEEDaPvRmT3_T4_T5_mT6_P12ihipStream_tbENKUlT_T0_E_clISt17integral_constantIbLb0EESV_IbLb1EEEEDaSR_SS_EUlSR_E0_NS1_11comp_targetILNS1_3genE5ELNS1_11target_archE942ELNS1_3gpuE9ELNS1_3repE0EEENS1_30default_config_static_selectorELNS0_4arch9wavefront6targetE0EEEvT1_
; %bb.0:
	.section	.rodata,"a",@progbits
	.p2align	6, 0x0
	.amdhsa_kernel _ZN7rocprim17ROCPRIM_400000_NS6detail17trampoline_kernelINS0_14default_configENS1_20scan_config_selectorIdEEZZNS1_9scan_implILNS1_25lookback_scan_determinismE0ELb0ELb0ES3_PKdPddZZZN2at6native31launch_logcumsumexp_cuda_kernelERKNSB_10TensorBaseESF_lENKUlvE_clEvENKUlvE_clEvEUlddE_dEEDaPvRmT3_T4_T5_mT6_P12ihipStream_tbENKUlT_T0_E_clISt17integral_constantIbLb0EESV_IbLb1EEEEDaSR_SS_EUlSR_E0_NS1_11comp_targetILNS1_3genE5ELNS1_11target_archE942ELNS1_3gpuE9ELNS1_3repE0EEENS1_30default_config_static_selectorELNS0_4arch9wavefront6targetE0EEEvT1_
		.amdhsa_group_segment_fixed_size 0
		.amdhsa_private_segment_fixed_size 0
		.amdhsa_kernarg_size 40
		.amdhsa_user_sgpr_count 15
		.amdhsa_user_sgpr_dispatch_ptr 0
		.amdhsa_user_sgpr_queue_ptr 0
		.amdhsa_user_sgpr_kernarg_segment_ptr 1
		.amdhsa_user_sgpr_dispatch_id 0
		.amdhsa_user_sgpr_private_segment_size 0
		.amdhsa_wavefront_size32 1
		.amdhsa_uses_dynamic_stack 0
		.amdhsa_enable_private_segment 0
		.amdhsa_system_sgpr_workgroup_id_x 1
		.amdhsa_system_sgpr_workgroup_id_y 0
		.amdhsa_system_sgpr_workgroup_id_z 0
		.amdhsa_system_sgpr_workgroup_info 0
		.amdhsa_system_vgpr_workitem_id 0
		.amdhsa_next_free_vgpr 1
		.amdhsa_next_free_sgpr 1
		.amdhsa_reserve_vcc 0
		.amdhsa_float_round_mode_32 0
		.amdhsa_float_round_mode_16_64 0
		.amdhsa_float_denorm_mode_32 3
		.amdhsa_float_denorm_mode_16_64 3
		.amdhsa_dx10_clamp 1
		.amdhsa_ieee_mode 1
		.amdhsa_fp16_overflow 0
		.amdhsa_workgroup_processor_mode 1
		.amdhsa_memory_ordered 1
		.amdhsa_forward_progress 0
		.amdhsa_shared_vgpr_count 0
		.amdhsa_exception_fp_ieee_invalid_op 0
		.amdhsa_exception_fp_denorm_src 0
		.amdhsa_exception_fp_ieee_div_zero 0
		.amdhsa_exception_fp_ieee_overflow 0
		.amdhsa_exception_fp_ieee_underflow 0
		.amdhsa_exception_fp_ieee_inexact 0
		.amdhsa_exception_int_div_zero 0
	.end_amdhsa_kernel
	.section	.text._ZN7rocprim17ROCPRIM_400000_NS6detail17trampoline_kernelINS0_14default_configENS1_20scan_config_selectorIdEEZZNS1_9scan_implILNS1_25lookback_scan_determinismE0ELb0ELb0ES3_PKdPddZZZN2at6native31launch_logcumsumexp_cuda_kernelERKNSB_10TensorBaseESF_lENKUlvE_clEvENKUlvE_clEvEUlddE_dEEDaPvRmT3_T4_T5_mT6_P12ihipStream_tbENKUlT_T0_E_clISt17integral_constantIbLb0EESV_IbLb1EEEEDaSR_SS_EUlSR_E0_NS1_11comp_targetILNS1_3genE5ELNS1_11target_archE942ELNS1_3gpuE9ELNS1_3repE0EEENS1_30default_config_static_selectorELNS0_4arch9wavefront6targetE0EEEvT1_,"axG",@progbits,_ZN7rocprim17ROCPRIM_400000_NS6detail17trampoline_kernelINS0_14default_configENS1_20scan_config_selectorIdEEZZNS1_9scan_implILNS1_25lookback_scan_determinismE0ELb0ELb0ES3_PKdPddZZZN2at6native31launch_logcumsumexp_cuda_kernelERKNSB_10TensorBaseESF_lENKUlvE_clEvENKUlvE_clEvEUlddE_dEEDaPvRmT3_T4_T5_mT6_P12ihipStream_tbENKUlT_T0_E_clISt17integral_constantIbLb0EESV_IbLb1EEEEDaSR_SS_EUlSR_E0_NS1_11comp_targetILNS1_3genE5ELNS1_11target_archE942ELNS1_3gpuE9ELNS1_3repE0EEENS1_30default_config_static_selectorELNS0_4arch9wavefront6targetE0EEEvT1_,comdat
.Lfunc_end80:
	.size	_ZN7rocprim17ROCPRIM_400000_NS6detail17trampoline_kernelINS0_14default_configENS1_20scan_config_selectorIdEEZZNS1_9scan_implILNS1_25lookback_scan_determinismE0ELb0ELb0ES3_PKdPddZZZN2at6native31launch_logcumsumexp_cuda_kernelERKNSB_10TensorBaseESF_lENKUlvE_clEvENKUlvE_clEvEUlddE_dEEDaPvRmT3_T4_T5_mT6_P12ihipStream_tbENKUlT_T0_E_clISt17integral_constantIbLb0EESV_IbLb1EEEEDaSR_SS_EUlSR_E0_NS1_11comp_targetILNS1_3genE5ELNS1_11target_archE942ELNS1_3gpuE9ELNS1_3repE0EEENS1_30default_config_static_selectorELNS0_4arch9wavefront6targetE0EEEvT1_, .Lfunc_end80-_ZN7rocprim17ROCPRIM_400000_NS6detail17trampoline_kernelINS0_14default_configENS1_20scan_config_selectorIdEEZZNS1_9scan_implILNS1_25lookback_scan_determinismE0ELb0ELb0ES3_PKdPddZZZN2at6native31launch_logcumsumexp_cuda_kernelERKNSB_10TensorBaseESF_lENKUlvE_clEvENKUlvE_clEvEUlddE_dEEDaPvRmT3_T4_T5_mT6_P12ihipStream_tbENKUlT_T0_E_clISt17integral_constantIbLb0EESV_IbLb1EEEEDaSR_SS_EUlSR_E0_NS1_11comp_targetILNS1_3genE5ELNS1_11target_archE942ELNS1_3gpuE9ELNS1_3repE0EEENS1_30default_config_static_selectorELNS0_4arch9wavefront6targetE0EEEvT1_
                                        ; -- End function
	.section	.AMDGPU.csdata,"",@progbits
; Kernel info:
; codeLenInByte = 0
; NumSgprs: 0
; NumVgprs: 0
; ScratchSize: 0
; MemoryBound: 0
; FloatMode: 240
; IeeeMode: 1
; LDSByteSize: 0 bytes/workgroup (compile time only)
; SGPRBlocks: 0
; VGPRBlocks: 0
; NumSGPRsForWavesPerEU: 1
; NumVGPRsForWavesPerEU: 1
; Occupancy: 16
; WaveLimiterHint : 0
; COMPUTE_PGM_RSRC2:SCRATCH_EN: 0
; COMPUTE_PGM_RSRC2:USER_SGPR: 15
; COMPUTE_PGM_RSRC2:TRAP_HANDLER: 0
; COMPUTE_PGM_RSRC2:TGID_X_EN: 1
; COMPUTE_PGM_RSRC2:TGID_Y_EN: 0
; COMPUTE_PGM_RSRC2:TGID_Z_EN: 0
; COMPUTE_PGM_RSRC2:TIDIG_COMP_CNT: 0
	.section	.text._ZN7rocprim17ROCPRIM_400000_NS6detail17trampoline_kernelINS0_14default_configENS1_20scan_config_selectorIdEEZZNS1_9scan_implILNS1_25lookback_scan_determinismE0ELb0ELb0ES3_PKdPddZZZN2at6native31launch_logcumsumexp_cuda_kernelERKNSB_10TensorBaseESF_lENKUlvE_clEvENKUlvE_clEvEUlddE_dEEDaPvRmT3_T4_T5_mT6_P12ihipStream_tbENKUlT_T0_E_clISt17integral_constantIbLb0EESV_IbLb1EEEEDaSR_SS_EUlSR_E0_NS1_11comp_targetILNS1_3genE4ELNS1_11target_archE910ELNS1_3gpuE8ELNS1_3repE0EEENS1_30default_config_static_selectorELNS0_4arch9wavefront6targetE0EEEvT1_,"axG",@progbits,_ZN7rocprim17ROCPRIM_400000_NS6detail17trampoline_kernelINS0_14default_configENS1_20scan_config_selectorIdEEZZNS1_9scan_implILNS1_25lookback_scan_determinismE0ELb0ELb0ES3_PKdPddZZZN2at6native31launch_logcumsumexp_cuda_kernelERKNSB_10TensorBaseESF_lENKUlvE_clEvENKUlvE_clEvEUlddE_dEEDaPvRmT3_T4_T5_mT6_P12ihipStream_tbENKUlT_T0_E_clISt17integral_constantIbLb0EESV_IbLb1EEEEDaSR_SS_EUlSR_E0_NS1_11comp_targetILNS1_3genE4ELNS1_11target_archE910ELNS1_3gpuE8ELNS1_3repE0EEENS1_30default_config_static_selectorELNS0_4arch9wavefront6targetE0EEEvT1_,comdat
	.globl	_ZN7rocprim17ROCPRIM_400000_NS6detail17trampoline_kernelINS0_14default_configENS1_20scan_config_selectorIdEEZZNS1_9scan_implILNS1_25lookback_scan_determinismE0ELb0ELb0ES3_PKdPddZZZN2at6native31launch_logcumsumexp_cuda_kernelERKNSB_10TensorBaseESF_lENKUlvE_clEvENKUlvE_clEvEUlddE_dEEDaPvRmT3_T4_T5_mT6_P12ihipStream_tbENKUlT_T0_E_clISt17integral_constantIbLb0EESV_IbLb1EEEEDaSR_SS_EUlSR_E0_NS1_11comp_targetILNS1_3genE4ELNS1_11target_archE910ELNS1_3gpuE8ELNS1_3repE0EEENS1_30default_config_static_selectorELNS0_4arch9wavefront6targetE0EEEvT1_ ; -- Begin function _ZN7rocprim17ROCPRIM_400000_NS6detail17trampoline_kernelINS0_14default_configENS1_20scan_config_selectorIdEEZZNS1_9scan_implILNS1_25lookback_scan_determinismE0ELb0ELb0ES3_PKdPddZZZN2at6native31launch_logcumsumexp_cuda_kernelERKNSB_10TensorBaseESF_lENKUlvE_clEvENKUlvE_clEvEUlddE_dEEDaPvRmT3_T4_T5_mT6_P12ihipStream_tbENKUlT_T0_E_clISt17integral_constantIbLb0EESV_IbLb1EEEEDaSR_SS_EUlSR_E0_NS1_11comp_targetILNS1_3genE4ELNS1_11target_archE910ELNS1_3gpuE8ELNS1_3repE0EEENS1_30default_config_static_selectorELNS0_4arch9wavefront6targetE0EEEvT1_
	.p2align	8
	.type	_ZN7rocprim17ROCPRIM_400000_NS6detail17trampoline_kernelINS0_14default_configENS1_20scan_config_selectorIdEEZZNS1_9scan_implILNS1_25lookback_scan_determinismE0ELb0ELb0ES3_PKdPddZZZN2at6native31launch_logcumsumexp_cuda_kernelERKNSB_10TensorBaseESF_lENKUlvE_clEvENKUlvE_clEvEUlddE_dEEDaPvRmT3_T4_T5_mT6_P12ihipStream_tbENKUlT_T0_E_clISt17integral_constantIbLb0EESV_IbLb1EEEEDaSR_SS_EUlSR_E0_NS1_11comp_targetILNS1_3genE4ELNS1_11target_archE910ELNS1_3gpuE8ELNS1_3repE0EEENS1_30default_config_static_selectorELNS0_4arch9wavefront6targetE0EEEvT1_,@function
_ZN7rocprim17ROCPRIM_400000_NS6detail17trampoline_kernelINS0_14default_configENS1_20scan_config_selectorIdEEZZNS1_9scan_implILNS1_25lookback_scan_determinismE0ELb0ELb0ES3_PKdPddZZZN2at6native31launch_logcumsumexp_cuda_kernelERKNSB_10TensorBaseESF_lENKUlvE_clEvENKUlvE_clEvEUlddE_dEEDaPvRmT3_T4_T5_mT6_P12ihipStream_tbENKUlT_T0_E_clISt17integral_constantIbLb0EESV_IbLb1EEEEDaSR_SS_EUlSR_E0_NS1_11comp_targetILNS1_3genE4ELNS1_11target_archE910ELNS1_3gpuE8ELNS1_3repE0EEENS1_30default_config_static_selectorELNS0_4arch9wavefront6targetE0EEEvT1_: ; @_ZN7rocprim17ROCPRIM_400000_NS6detail17trampoline_kernelINS0_14default_configENS1_20scan_config_selectorIdEEZZNS1_9scan_implILNS1_25lookback_scan_determinismE0ELb0ELb0ES3_PKdPddZZZN2at6native31launch_logcumsumexp_cuda_kernelERKNSB_10TensorBaseESF_lENKUlvE_clEvENKUlvE_clEvEUlddE_dEEDaPvRmT3_T4_T5_mT6_P12ihipStream_tbENKUlT_T0_E_clISt17integral_constantIbLb0EESV_IbLb1EEEEDaSR_SS_EUlSR_E0_NS1_11comp_targetILNS1_3genE4ELNS1_11target_archE910ELNS1_3gpuE8ELNS1_3repE0EEENS1_30default_config_static_selectorELNS0_4arch9wavefront6targetE0EEEvT1_
; %bb.0:
	.section	.rodata,"a",@progbits
	.p2align	6, 0x0
	.amdhsa_kernel _ZN7rocprim17ROCPRIM_400000_NS6detail17trampoline_kernelINS0_14default_configENS1_20scan_config_selectorIdEEZZNS1_9scan_implILNS1_25lookback_scan_determinismE0ELb0ELb0ES3_PKdPddZZZN2at6native31launch_logcumsumexp_cuda_kernelERKNSB_10TensorBaseESF_lENKUlvE_clEvENKUlvE_clEvEUlddE_dEEDaPvRmT3_T4_T5_mT6_P12ihipStream_tbENKUlT_T0_E_clISt17integral_constantIbLb0EESV_IbLb1EEEEDaSR_SS_EUlSR_E0_NS1_11comp_targetILNS1_3genE4ELNS1_11target_archE910ELNS1_3gpuE8ELNS1_3repE0EEENS1_30default_config_static_selectorELNS0_4arch9wavefront6targetE0EEEvT1_
		.amdhsa_group_segment_fixed_size 0
		.amdhsa_private_segment_fixed_size 0
		.amdhsa_kernarg_size 40
		.amdhsa_user_sgpr_count 15
		.amdhsa_user_sgpr_dispatch_ptr 0
		.amdhsa_user_sgpr_queue_ptr 0
		.amdhsa_user_sgpr_kernarg_segment_ptr 1
		.amdhsa_user_sgpr_dispatch_id 0
		.amdhsa_user_sgpr_private_segment_size 0
		.amdhsa_wavefront_size32 1
		.amdhsa_uses_dynamic_stack 0
		.amdhsa_enable_private_segment 0
		.amdhsa_system_sgpr_workgroup_id_x 1
		.amdhsa_system_sgpr_workgroup_id_y 0
		.amdhsa_system_sgpr_workgroup_id_z 0
		.amdhsa_system_sgpr_workgroup_info 0
		.amdhsa_system_vgpr_workitem_id 0
		.amdhsa_next_free_vgpr 1
		.amdhsa_next_free_sgpr 1
		.amdhsa_reserve_vcc 0
		.amdhsa_float_round_mode_32 0
		.amdhsa_float_round_mode_16_64 0
		.amdhsa_float_denorm_mode_32 3
		.amdhsa_float_denorm_mode_16_64 3
		.amdhsa_dx10_clamp 1
		.amdhsa_ieee_mode 1
		.amdhsa_fp16_overflow 0
		.amdhsa_workgroup_processor_mode 1
		.amdhsa_memory_ordered 1
		.amdhsa_forward_progress 0
		.amdhsa_shared_vgpr_count 0
		.amdhsa_exception_fp_ieee_invalid_op 0
		.amdhsa_exception_fp_denorm_src 0
		.amdhsa_exception_fp_ieee_div_zero 0
		.amdhsa_exception_fp_ieee_overflow 0
		.amdhsa_exception_fp_ieee_underflow 0
		.amdhsa_exception_fp_ieee_inexact 0
		.amdhsa_exception_int_div_zero 0
	.end_amdhsa_kernel
	.section	.text._ZN7rocprim17ROCPRIM_400000_NS6detail17trampoline_kernelINS0_14default_configENS1_20scan_config_selectorIdEEZZNS1_9scan_implILNS1_25lookback_scan_determinismE0ELb0ELb0ES3_PKdPddZZZN2at6native31launch_logcumsumexp_cuda_kernelERKNSB_10TensorBaseESF_lENKUlvE_clEvENKUlvE_clEvEUlddE_dEEDaPvRmT3_T4_T5_mT6_P12ihipStream_tbENKUlT_T0_E_clISt17integral_constantIbLb0EESV_IbLb1EEEEDaSR_SS_EUlSR_E0_NS1_11comp_targetILNS1_3genE4ELNS1_11target_archE910ELNS1_3gpuE8ELNS1_3repE0EEENS1_30default_config_static_selectorELNS0_4arch9wavefront6targetE0EEEvT1_,"axG",@progbits,_ZN7rocprim17ROCPRIM_400000_NS6detail17trampoline_kernelINS0_14default_configENS1_20scan_config_selectorIdEEZZNS1_9scan_implILNS1_25lookback_scan_determinismE0ELb0ELb0ES3_PKdPddZZZN2at6native31launch_logcumsumexp_cuda_kernelERKNSB_10TensorBaseESF_lENKUlvE_clEvENKUlvE_clEvEUlddE_dEEDaPvRmT3_T4_T5_mT6_P12ihipStream_tbENKUlT_T0_E_clISt17integral_constantIbLb0EESV_IbLb1EEEEDaSR_SS_EUlSR_E0_NS1_11comp_targetILNS1_3genE4ELNS1_11target_archE910ELNS1_3gpuE8ELNS1_3repE0EEENS1_30default_config_static_selectorELNS0_4arch9wavefront6targetE0EEEvT1_,comdat
.Lfunc_end81:
	.size	_ZN7rocprim17ROCPRIM_400000_NS6detail17trampoline_kernelINS0_14default_configENS1_20scan_config_selectorIdEEZZNS1_9scan_implILNS1_25lookback_scan_determinismE0ELb0ELb0ES3_PKdPddZZZN2at6native31launch_logcumsumexp_cuda_kernelERKNSB_10TensorBaseESF_lENKUlvE_clEvENKUlvE_clEvEUlddE_dEEDaPvRmT3_T4_T5_mT6_P12ihipStream_tbENKUlT_T0_E_clISt17integral_constantIbLb0EESV_IbLb1EEEEDaSR_SS_EUlSR_E0_NS1_11comp_targetILNS1_3genE4ELNS1_11target_archE910ELNS1_3gpuE8ELNS1_3repE0EEENS1_30default_config_static_selectorELNS0_4arch9wavefront6targetE0EEEvT1_, .Lfunc_end81-_ZN7rocprim17ROCPRIM_400000_NS6detail17trampoline_kernelINS0_14default_configENS1_20scan_config_selectorIdEEZZNS1_9scan_implILNS1_25lookback_scan_determinismE0ELb0ELb0ES3_PKdPddZZZN2at6native31launch_logcumsumexp_cuda_kernelERKNSB_10TensorBaseESF_lENKUlvE_clEvENKUlvE_clEvEUlddE_dEEDaPvRmT3_T4_T5_mT6_P12ihipStream_tbENKUlT_T0_E_clISt17integral_constantIbLb0EESV_IbLb1EEEEDaSR_SS_EUlSR_E0_NS1_11comp_targetILNS1_3genE4ELNS1_11target_archE910ELNS1_3gpuE8ELNS1_3repE0EEENS1_30default_config_static_selectorELNS0_4arch9wavefront6targetE0EEEvT1_
                                        ; -- End function
	.section	.AMDGPU.csdata,"",@progbits
; Kernel info:
; codeLenInByte = 0
; NumSgprs: 0
; NumVgprs: 0
; ScratchSize: 0
; MemoryBound: 0
; FloatMode: 240
; IeeeMode: 1
; LDSByteSize: 0 bytes/workgroup (compile time only)
; SGPRBlocks: 0
; VGPRBlocks: 0
; NumSGPRsForWavesPerEU: 1
; NumVGPRsForWavesPerEU: 1
; Occupancy: 16
; WaveLimiterHint : 0
; COMPUTE_PGM_RSRC2:SCRATCH_EN: 0
; COMPUTE_PGM_RSRC2:USER_SGPR: 15
; COMPUTE_PGM_RSRC2:TRAP_HANDLER: 0
; COMPUTE_PGM_RSRC2:TGID_X_EN: 1
; COMPUTE_PGM_RSRC2:TGID_Y_EN: 0
; COMPUTE_PGM_RSRC2:TGID_Z_EN: 0
; COMPUTE_PGM_RSRC2:TIDIG_COMP_CNT: 0
	.section	.text._ZN7rocprim17ROCPRIM_400000_NS6detail17trampoline_kernelINS0_14default_configENS1_20scan_config_selectorIdEEZZNS1_9scan_implILNS1_25lookback_scan_determinismE0ELb0ELb0ES3_PKdPddZZZN2at6native31launch_logcumsumexp_cuda_kernelERKNSB_10TensorBaseESF_lENKUlvE_clEvENKUlvE_clEvEUlddE_dEEDaPvRmT3_T4_T5_mT6_P12ihipStream_tbENKUlT_T0_E_clISt17integral_constantIbLb0EESV_IbLb1EEEEDaSR_SS_EUlSR_E0_NS1_11comp_targetILNS1_3genE3ELNS1_11target_archE908ELNS1_3gpuE7ELNS1_3repE0EEENS1_30default_config_static_selectorELNS0_4arch9wavefront6targetE0EEEvT1_,"axG",@progbits,_ZN7rocprim17ROCPRIM_400000_NS6detail17trampoline_kernelINS0_14default_configENS1_20scan_config_selectorIdEEZZNS1_9scan_implILNS1_25lookback_scan_determinismE0ELb0ELb0ES3_PKdPddZZZN2at6native31launch_logcumsumexp_cuda_kernelERKNSB_10TensorBaseESF_lENKUlvE_clEvENKUlvE_clEvEUlddE_dEEDaPvRmT3_T4_T5_mT6_P12ihipStream_tbENKUlT_T0_E_clISt17integral_constantIbLb0EESV_IbLb1EEEEDaSR_SS_EUlSR_E0_NS1_11comp_targetILNS1_3genE3ELNS1_11target_archE908ELNS1_3gpuE7ELNS1_3repE0EEENS1_30default_config_static_selectorELNS0_4arch9wavefront6targetE0EEEvT1_,comdat
	.globl	_ZN7rocprim17ROCPRIM_400000_NS6detail17trampoline_kernelINS0_14default_configENS1_20scan_config_selectorIdEEZZNS1_9scan_implILNS1_25lookback_scan_determinismE0ELb0ELb0ES3_PKdPddZZZN2at6native31launch_logcumsumexp_cuda_kernelERKNSB_10TensorBaseESF_lENKUlvE_clEvENKUlvE_clEvEUlddE_dEEDaPvRmT3_T4_T5_mT6_P12ihipStream_tbENKUlT_T0_E_clISt17integral_constantIbLb0EESV_IbLb1EEEEDaSR_SS_EUlSR_E0_NS1_11comp_targetILNS1_3genE3ELNS1_11target_archE908ELNS1_3gpuE7ELNS1_3repE0EEENS1_30default_config_static_selectorELNS0_4arch9wavefront6targetE0EEEvT1_ ; -- Begin function _ZN7rocprim17ROCPRIM_400000_NS6detail17trampoline_kernelINS0_14default_configENS1_20scan_config_selectorIdEEZZNS1_9scan_implILNS1_25lookback_scan_determinismE0ELb0ELb0ES3_PKdPddZZZN2at6native31launch_logcumsumexp_cuda_kernelERKNSB_10TensorBaseESF_lENKUlvE_clEvENKUlvE_clEvEUlddE_dEEDaPvRmT3_T4_T5_mT6_P12ihipStream_tbENKUlT_T0_E_clISt17integral_constantIbLb0EESV_IbLb1EEEEDaSR_SS_EUlSR_E0_NS1_11comp_targetILNS1_3genE3ELNS1_11target_archE908ELNS1_3gpuE7ELNS1_3repE0EEENS1_30default_config_static_selectorELNS0_4arch9wavefront6targetE0EEEvT1_
	.p2align	8
	.type	_ZN7rocprim17ROCPRIM_400000_NS6detail17trampoline_kernelINS0_14default_configENS1_20scan_config_selectorIdEEZZNS1_9scan_implILNS1_25lookback_scan_determinismE0ELb0ELb0ES3_PKdPddZZZN2at6native31launch_logcumsumexp_cuda_kernelERKNSB_10TensorBaseESF_lENKUlvE_clEvENKUlvE_clEvEUlddE_dEEDaPvRmT3_T4_T5_mT6_P12ihipStream_tbENKUlT_T0_E_clISt17integral_constantIbLb0EESV_IbLb1EEEEDaSR_SS_EUlSR_E0_NS1_11comp_targetILNS1_3genE3ELNS1_11target_archE908ELNS1_3gpuE7ELNS1_3repE0EEENS1_30default_config_static_selectorELNS0_4arch9wavefront6targetE0EEEvT1_,@function
_ZN7rocprim17ROCPRIM_400000_NS6detail17trampoline_kernelINS0_14default_configENS1_20scan_config_selectorIdEEZZNS1_9scan_implILNS1_25lookback_scan_determinismE0ELb0ELb0ES3_PKdPddZZZN2at6native31launch_logcumsumexp_cuda_kernelERKNSB_10TensorBaseESF_lENKUlvE_clEvENKUlvE_clEvEUlddE_dEEDaPvRmT3_T4_T5_mT6_P12ihipStream_tbENKUlT_T0_E_clISt17integral_constantIbLb0EESV_IbLb1EEEEDaSR_SS_EUlSR_E0_NS1_11comp_targetILNS1_3genE3ELNS1_11target_archE908ELNS1_3gpuE7ELNS1_3repE0EEENS1_30default_config_static_selectorELNS0_4arch9wavefront6targetE0EEEvT1_: ; @_ZN7rocprim17ROCPRIM_400000_NS6detail17trampoline_kernelINS0_14default_configENS1_20scan_config_selectorIdEEZZNS1_9scan_implILNS1_25lookback_scan_determinismE0ELb0ELb0ES3_PKdPddZZZN2at6native31launch_logcumsumexp_cuda_kernelERKNSB_10TensorBaseESF_lENKUlvE_clEvENKUlvE_clEvEUlddE_dEEDaPvRmT3_T4_T5_mT6_P12ihipStream_tbENKUlT_T0_E_clISt17integral_constantIbLb0EESV_IbLb1EEEEDaSR_SS_EUlSR_E0_NS1_11comp_targetILNS1_3genE3ELNS1_11target_archE908ELNS1_3gpuE7ELNS1_3repE0EEENS1_30default_config_static_selectorELNS0_4arch9wavefront6targetE0EEEvT1_
; %bb.0:
	.section	.rodata,"a",@progbits
	.p2align	6, 0x0
	.amdhsa_kernel _ZN7rocprim17ROCPRIM_400000_NS6detail17trampoline_kernelINS0_14default_configENS1_20scan_config_selectorIdEEZZNS1_9scan_implILNS1_25lookback_scan_determinismE0ELb0ELb0ES3_PKdPddZZZN2at6native31launch_logcumsumexp_cuda_kernelERKNSB_10TensorBaseESF_lENKUlvE_clEvENKUlvE_clEvEUlddE_dEEDaPvRmT3_T4_T5_mT6_P12ihipStream_tbENKUlT_T0_E_clISt17integral_constantIbLb0EESV_IbLb1EEEEDaSR_SS_EUlSR_E0_NS1_11comp_targetILNS1_3genE3ELNS1_11target_archE908ELNS1_3gpuE7ELNS1_3repE0EEENS1_30default_config_static_selectorELNS0_4arch9wavefront6targetE0EEEvT1_
		.amdhsa_group_segment_fixed_size 0
		.amdhsa_private_segment_fixed_size 0
		.amdhsa_kernarg_size 40
		.amdhsa_user_sgpr_count 15
		.amdhsa_user_sgpr_dispatch_ptr 0
		.amdhsa_user_sgpr_queue_ptr 0
		.amdhsa_user_sgpr_kernarg_segment_ptr 1
		.amdhsa_user_sgpr_dispatch_id 0
		.amdhsa_user_sgpr_private_segment_size 0
		.amdhsa_wavefront_size32 1
		.amdhsa_uses_dynamic_stack 0
		.amdhsa_enable_private_segment 0
		.amdhsa_system_sgpr_workgroup_id_x 1
		.amdhsa_system_sgpr_workgroup_id_y 0
		.amdhsa_system_sgpr_workgroup_id_z 0
		.amdhsa_system_sgpr_workgroup_info 0
		.amdhsa_system_vgpr_workitem_id 0
		.amdhsa_next_free_vgpr 1
		.amdhsa_next_free_sgpr 1
		.amdhsa_reserve_vcc 0
		.amdhsa_float_round_mode_32 0
		.amdhsa_float_round_mode_16_64 0
		.amdhsa_float_denorm_mode_32 3
		.amdhsa_float_denorm_mode_16_64 3
		.amdhsa_dx10_clamp 1
		.amdhsa_ieee_mode 1
		.amdhsa_fp16_overflow 0
		.amdhsa_workgroup_processor_mode 1
		.amdhsa_memory_ordered 1
		.amdhsa_forward_progress 0
		.amdhsa_shared_vgpr_count 0
		.amdhsa_exception_fp_ieee_invalid_op 0
		.amdhsa_exception_fp_denorm_src 0
		.amdhsa_exception_fp_ieee_div_zero 0
		.amdhsa_exception_fp_ieee_overflow 0
		.amdhsa_exception_fp_ieee_underflow 0
		.amdhsa_exception_fp_ieee_inexact 0
		.amdhsa_exception_int_div_zero 0
	.end_amdhsa_kernel
	.section	.text._ZN7rocprim17ROCPRIM_400000_NS6detail17trampoline_kernelINS0_14default_configENS1_20scan_config_selectorIdEEZZNS1_9scan_implILNS1_25lookback_scan_determinismE0ELb0ELb0ES3_PKdPddZZZN2at6native31launch_logcumsumexp_cuda_kernelERKNSB_10TensorBaseESF_lENKUlvE_clEvENKUlvE_clEvEUlddE_dEEDaPvRmT3_T4_T5_mT6_P12ihipStream_tbENKUlT_T0_E_clISt17integral_constantIbLb0EESV_IbLb1EEEEDaSR_SS_EUlSR_E0_NS1_11comp_targetILNS1_3genE3ELNS1_11target_archE908ELNS1_3gpuE7ELNS1_3repE0EEENS1_30default_config_static_selectorELNS0_4arch9wavefront6targetE0EEEvT1_,"axG",@progbits,_ZN7rocprim17ROCPRIM_400000_NS6detail17trampoline_kernelINS0_14default_configENS1_20scan_config_selectorIdEEZZNS1_9scan_implILNS1_25lookback_scan_determinismE0ELb0ELb0ES3_PKdPddZZZN2at6native31launch_logcumsumexp_cuda_kernelERKNSB_10TensorBaseESF_lENKUlvE_clEvENKUlvE_clEvEUlddE_dEEDaPvRmT3_T4_T5_mT6_P12ihipStream_tbENKUlT_T0_E_clISt17integral_constantIbLb0EESV_IbLb1EEEEDaSR_SS_EUlSR_E0_NS1_11comp_targetILNS1_3genE3ELNS1_11target_archE908ELNS1_3gpuE7ELNS1_3repE0EEENS1_30default_config_static_selectorELNS0_4arch9wavefront6targetE0EEEvT1_,comdat
.Lfunc_end82:
	.size	_ZN7rocprim17ROCPRIM_400000_NS6detail17trampoline_kernelINS0_14default_configENS1_20scan_config_selectorIdEEZZNS1_9scan_implILNS1_25lookback_scan_determinismE0ELb0ELb0ES3_PKdPddZZZN2at6native31launch_logcumsumexp_cuda_kernelERKNSB_10TensorBaseESF_lENKUlvE_clEvENKUlvE_clEvEUlddE_dEEDaPvRmT3_T4_T5_mT6_P12ihipStream_tbENKUlT_T0_E_clISt17integral_constantIbLb0EESV_IbLb1EEEEDaSR_SS_EUlSR_E0_NS1_11comp_targetILNS1_3genE3ELNS1_11target_archE908ELNS1_3gpuE7ELNS1_3repE0EEENS1_30default_config_static_selectorELNS0_4arch9wavefront6targetE0EEEvT1_, .Lfunc_end82-_ZN7rocprim17ROCPRIM_400000_NS6detail17trampoline_kernelINS0_14default_configENS1_20scan_config_selectorIdEEZZNS1_9scan_implILNS1_25lookback_scan_determinismE0ELb0ELb0ES3_PKdPddZZZN2at6native31launch_logcumsumexp_cuda_kernelERKNSB_10TensorBaseESF_lENKUlvE_clEvENKUlvE_clEvEUlddE_dEEDaPvRmT3_T4_T5_mT6_P12ihipStream_tbENKUlT_T0_E_clISt17integral_constantIbLb0EESV_IbLb1EEEEDaSR_SS_EUlSR_E0_NS1_11comp_targetILNS1_3genE3ELNS1_11target_archE908ELNS1_3gpuE7ELNS1_3repE0EEENS1_30default_config_static_selectorELNS0_4arch9wavefront6targetE0EEEvT1_
                                        ; -- End function
	.section	.AMDGPU.csdata,"",@progbits
; Kernel info:
; codeLenInByte = 0
; NumSgprs: 0
; NumVgprs: 0
; ScratchSize: 0
; MemoryBound: 0
; FloatMode: 240
; IeeeMode: 1
; LDSByteSize: 0 bytes/workgroup (compile time only)
; SGPRBlocks: 0
; VGPRBlocks: 0
; NumSGPRsForWavesPerEU: 1
; NumVGPRsForWavesPerEU: 1
; Occupancy: 16
; WaveLimiterHint : 0
; COMPUTE_PGM_RSRC2:SCRATCH_EN: 0
; COMPUTE_PGM_RSRC2:USER_SGPR: 15
; COMPUTE_PGM_RSRC2:TRAP_HANDLER: 0
; COMPUTE_PGM_RSRC2:TGID_X_EN: 1
; COMPUTE_PGM_RSRC2:TGID_Y_EN: 0
; COMPUTE_PGM_RSRC2:TGID_Z_EN: 0
; COMPUTE_PGM_RSRC2:TIDIG_COMP_CNT: 0
	.section	.text._ZN7rocprim17ROCPRIM_400000_NS6detail17trampoline_kernelINS0_14default_configENS1_20scan_config_selectorIdEEZZNS1_9scan_implILNS1_25lookback_scan_determinismE0ELb0ELb0ES3_PKdPddZZZN2at6native31launch_logcumsumexp_cuda_kernelERKNSB_10TensorBaseESF_lENKUlvE_clEvENKUlvE_clEvEUlddE_dEEDaPvRmT3_T4_T5_mT6_P12ihipStream_tbENKUlT_T0_E_clISt17integral_constantIbLb0EESV_IbLb1EEEEDaSR_SS_EUlSR_E0_NS1_11comp_targetILNS1_3genE2ELNS1_11target_archE906ELNS1_3gpuE6ELNS1_3repE0EEENS1_30default_config_static_selectorELNS0_4arch9wavefront6targetE0EEEvT1_,"axG",@progbits,_ZN7rocprim17ROCPRIM_400000_NS6detail17trampoline_kernelINS0_14default_configENS1_20scan_config_selectorIdEEZZNS1_9scan_implILNS1_25lookback_scan_determinismE0ELb0ELb0ES3_PKdPddZZZN2at6native31launch_logcumsumexp_cuda_kernelERKNSB_10TensorBaseESF_lENKUlvE_clEvENKUlvE_clEvEUlddE_dEEDaPvRmT3_T4_T5_mT6_P12ihipStream_tbENKUlT_T0_E_clISt17integral_constantIbLb0EESV_IbLb1EEEEDaSR_SS_EUlSR_E0_NS1_11comp_targetILNS1_3genE2ELNS1_11target_archE906ELNS1_3gpuE6ELNS1_3repE0EEENS1_30default_config_static_selectorELNS0_4arch9wavefront6targetE0EEEvT1_,comdat
	.globl	_ZN7rocprim17ROCPRIM_400000_NS6detail17trampoline_kernelINS0_14default_configENS1_20scan_config_selectorIdEEZZNS1_9scan_implILNS1_25lookback_scan_determinismE0ELb0ELb0ES3_PKdPddZZZN2at6native31launch_logcumsumexp_cuda_kernelERKNSB_10TensorBaseESF_lENKUlvE_clEvENKUlvE_clEvEUlddE_dEEDaPvRmT3_T4_T5_mT6_P12ihipStream_tbENKUlT_T0_E_clISt17integral_constantIbLb0EESV_IbLb1EEEEDaSR_SS_EUlSR_E0_NS1_11comp_targetILNS1_3genE2ELNS1_11target_archE906ELNS1_3gpuE6ELNS1_3repE0EEENS1_30default_config_static_selectorELNS0_4arch9wavefront6targetE0EEEvT1_ ; -- Begin function _ZN7rocprim17ROCPRIM_400000_NS6detail17trampoline_kernelINS0_14default_configENS1_20scan_config_selectorIdEEZZNS1_9scan_implILNS1_25lookback_scan_determinismE0ELb0ELb0ES3_PKdPddZZZN2at6native31launch_logcumsumexp_cuda_kernelERKNSB_10TensorBaseESF_lENKUlvE_clEvENKUlvE_clEvEUlddE_dEEDaPvRmT3_T4_T5_mT6_P12ihipStream_tbENKUlT_T0_E_clISt17integral_constantIbLb0EESV_IbLb1EEEEDaSR_SS_EUlSR_E0_NS1_11comp_targetILNS1_3genE2ELNS1_11target_archE906ELNS1_3gpuE6ELNS1_3repE0EEENS1_30default_config_static_selectorELNS0_4arch9wavefront6targetE0EEEvT1_
	.p2align	8
	.type	_ZN7rocprim17ROCPRIM_400000_NS6detail17trampoline_kernelINS0_14default_configENS1_20scan_config_selectorIdEEZZNS1_9scan_implILNS1_25lookback_scan_determinismE0ELb0ELb0ES3_PKdPddZZZN2at6native31launch_logcumsumexp_cuda_kernelERKNSB_10TensorBaseESF_lENKUlvE_clEvENKUlvE_clEvEUlddE_dEEDaPvRmT3_T4_T5_mT6_P12ihipStream_tbENKUlT_T0_E_clISt17integral_constantIbLb0EESV_IbLb1EEEEDaSR_SS_EUlSR_E0_NS1_11comp_targetILNS1_3genE2ELNS1_11target_archE906ELNS1_3gpuE6ELNS1_3repE0EEENS1_30default_config_static_selectorELNS0_4arch9wavefront6targetE0EEEvT1_,@function
_ZN7rocprim17ROCPRIM_400000_NS6detail17trampoline_kernelINS0_14default_configENS1_20scan_config_selectorIdEEZZNS1_9scan_implILNS1_25lookback_scan_determinismE0ELb0ELb0ES3_PKdPddZZZN2at6native31launch_logcumsumexp_cuda_kernelERKNSB_10TensorBaseESF_lENKUlvE_clEvENKUlvE_clEvEUlddE_dEEDaPvRmT3_T4_T5_mT6_P12ihipStream_tbENKUlT_T0_E_clISt17integral_constantIbLb0EESV_IbLb1EEEEDaSR_SS_EUlSR_E0_NS1_11comp_targetILNS1_3genE2ELNS1_11target_archE906ELNS1_3gpuE6ELNS1_3repE0EEENS1_30default_config_static_selectorELNS0_4arch9wavefront6targetE0EEEvT1_: ; @_ZN7rocprim17ROCPRIM_400000_NS6detail17trampoline_kernelINS0_14default_configENS1_20scan_config_selectorIdEEZZNS1_9scan_implILNS1_25lookback_scan_determinismE0ELb0ELb0ES3_PKdPddZZZN2at6native31launch_logcumsumexp_cuda_kernelERKNSB_10TensorBaseESF_lENKUlvE_clEvENKUlvE_clEvEUlddE_dEEDaPvRmT3_T4_T5_mT6_P12ihipStream_tbENKUlT_T0_E_clISt17integral_constantIbLb0EESV_IbLb1EEEEDaSR_SS_EUlSR_E0_NS1_11comp_targetILNS1_3genE2ELNS1_11target_archE906ELNS1_3gpuE6ELNS1_3repE0EEENS1_30default_config_static_selectorELNS0_4arch9wavefront6targetE0EEEvT1_
; %bb.0:
	.section	.rodata,"a",@progbits
	.p2align	6, 0x0
	.amdhsa_kernel _ZN7rocprim17ROCPRIM_400000_NS6detail17trampoline_kernelINS0_14default_configENS1_20scan_config_selectorIdEEZZNS1_9scan_implILNS1_25lookback_scan_determinismE0ELb0ELb0ES3_PKdPddZZZN2at6native31launch_logcumsumexp_cuda_kernelERKNSB_10TensorBaseESF_lENKUlvE_clEvENKUlvE_clEvEUlddE_dEEDaPvRmT3_T4_T5_mT6_P12ihipStream_tbENKUlT_T0_E_clISt17integral_constantIbLb0EESV_IbLb1EEEEDaSR_SS_EUlSR_E0_NS1_11comp_targetILNS1_3genE2ELNS1_11target_archE906ELNS1_3gpuE6ELNS1_3repE0EEENS1_30default_config_static_selectorELNS0_4arch9wavefront6targetE0EEEvT1_
		.amdhsa_group_segment_fixed_size 0
		.amdhsa_private_segment_fixed_size 0
		.amdhsa_kernarg_size 40
		.amdhsa_user_sgpr_count 15
		.amdhsa_user_sgpr_dispatch_ptr 0
		.amdhsa_user_sgpr_queue_ptr 0
		.amdhsa_user_sgpr_kernarg_segment_ptr 1
		.amdhsa_user_sgpr_dispatch_id 0
		.amdhsa_user_sgpr_private_segment_size 0
		.amdhsa_wavefront_size32 1
		.amdhsa_uses_dynamic_stack 0
		.amdhsa_enable_private_segment 0
		.amdhsa_system_sgpr_workgroup_id_x 1
		.amdhsa_system_sgpr_workgroup_id_y 0
		.amdhsa_system_sgpr_workgroup_id_z 0
		.amdhsa_system_sgpr_workgroup_info 0
		.amdhsa_system_vgpr_workitem_id 0
		.amdhsa_next_free_vgpr 1
		.amdhsa_next_free_sgpr 1
		.amdhsa_reserve_vcc 0
		.amdhsa_float_round_mode_32 0
		.amdhsa_float_round_mode_16_64 0
		.amdhsa_float_denorm_mode_32 3
		.amdhsa_float_denorm_mode_16_64 3
		.amdhsa_dx10_clamp 1
		.amdhsa_ieee_mode 1
		.amdhsa_fp16_overflow 0
		.amdhsa_workgroup_processor_mode 1
		.amdhsa_memory_ordered 1
		.amdhsa_forward_progress 0
		.amdhsa_shared_vgpr_count 0
		.amdhsa_exception_fp_ieee_invalid_op 0
		.amdhsa_exception_fp_denorm_src 0
		.amdhsa_exception_fp_ieee_div_zero 0
		.amdhsa_exception_fp_ieee_overflow 0
		.amdhsa_exception_fp_ieee_underflow 0
		.amdhsa_exception_fp_ieee_inexact 0
		.amdhsa_exception_int_div_zero 0
	.end_amdhsa_kernel
	.section	.text._ZN7rocprim17ROCPRIM_400000_NS6detail17trampoline_kernelINS0_14default_configENS1_20scan_config_selectorIdEEZZNS1_9scan_implILNS1_25lookback_scan_determinismE0ELb0ELb0ES3_PKdPddZZZN2at6native31launch_logcumsumexp_cuda_kernelERKNSB_10TensorBaseESF_lENKUlvE_clEvENKUlvE_clEvEUlddE_dEEDaPvRmT3_T4_T5_mT6_P12ihipStream_tbENKUlT_T0_E_clISt17integral_constantIbLb0EESV_IbLb1EEEEDaSR_SS_EUlSR_E0_NS1_11comp_targetILNS1_3genE2ELNS1_11target_archE906ELNS1_3gpuE6ELNS1_3repE0EEENS1_30default_config_static_selectorELNS0_4arch9wavefront6targetE0EEEvT1_,"axG",@progbits,_ZN7rocprim17ROCPRIM_400000_NS6detail17trampoline_kernelINS0_14default_configENS1_20scan_config_selectorIdEEZZNS1_9scan_implILNS1_25lookback_scan_determinismE0ELb0ELb0ES3_PKdPddZZZN2at6native31launch_logcumsumexp_cuda_kernelERKNSB_10TensorBaseESF_lENKUlvE_clEvENKUlvE_clEvEUlddE_dEEDaPvRmT3_T4_T5_mT6_P12ihipStream_tbENKUlT_T0_E_clISt17integral_constantIbLb0EESV_IbLb1EEEEDaSR_SS_EUlSR_E0_NS1_11comp_targetILNS1_3genE2ELNS1_11target_archE906ELNS1_3gpuE6ELNS1_3repE0EEENS1_30default_config_static_selectorELNS0_4arch9wavefront6targetE0EEEvT1_,comdat
.Lfunc_end83:
	.size	_ZN7rocprim17ROCPRIM_400000_NS6detail17trampoline_kernelINS0_14default_configENS1_20scan_config_selectorIdEEZZNS1_9scan_implILNS1_25lookback_scan_determinismE0ELb0ELb0ES3_PKdPddZZZN2at6native31launch_logcumsumexp_cuda_kernelERKNSB_10TensorBaseESF_lENKUlvE_clEvENKUlvE_clEvEUlddE_dEEDaPvRmT3_T4_T5_mT6_P12ihipStream_tbENKUlT_T0_E_clISt17integral_constantIbLb0EESV_IbLb1EEEEDaSR_SS_EUlSR_E0_NS1_11comp_targetILNS1_3genE2ELNS1_11target_archE906ELNS1_3gpuE6ELNS1_3repE0EEENS1_30default_config_static_selectorELNS0_4arch9wavefront6targetE0EEEvT1_, .Lfunc_end83-_ZN7rocprim17ROCPRIM_400000_NS6detail17trampoline_kernelINS0_14default_configENS1_20scan_config_selectorIdEEZZNS1_9scan_implILNS1_25lookback_scan_determinismE0ELb0ELb0ES3_PKdPddZZZN2at6native31launch_logcumsumexp_cuda_kernelERKNSB_10TensorBaseESF_lENKUlvE_clEvENKUlvE_clEvEUlddE_dEEDaPvRmT3_T4_T5_mT6_P12ihipStream_tbENKUlT_T0_E_clISt17integral_constantIbLb0EESV_IbLb1EEEEDaSR_SS_EUlSR_E0_NS1_11comp_targetILNS1_3genE2ELNS1_11target_archE906ELNS1_3gpuE6ELNS1_3repE0EEENS1_30default_config_static_selectorELNS0_4arch9wavefront6targetE0EEEvT1_
                                        ; -- End function
	.section	.AMDGPU.csdata,"",@progbits
; Kernel info:
; codeLenInByte = 0
; NumSgprs: 0
; NumVgprs: 0
; ScratchSize: 0
; MemoryBound: 0
; FloatMode: 240
; IeeeMode: 1
; LDSByteSize: 0 bytes/workgroup (compile time only)
; SGPRBlocks: 0
; VGPRBlocks: 0
; NumSGPRsForWavesPerEU: 1
; NumVGPRsForWavesPerEU: 1
; Occupancy: 16
; WaveLimiterHint : 0
; COMPUTE_PGM_RSRC2:SCRATCH_EN: 0
; COMPUTE_PGM_RSRC2:USER_SGPR: 15
; COMPUTE_PGM_RSRC2:TRAP_HANDLER: 0
; COMPUTE_PGM_RSRC2:TGID_X_EN: 1
; COMPUTE_PGM_RSRC2:TGID_Y_EN: 0
; COMPUTE_PGM_RSRC2:TGID_Z_EN: 0
; COMPUTE_PGM_RSRC2:TIDIG_COMP_CNT: 0
	.section	.text._ZN7rocprim17ROCPRIM_400000_NS6detail17trampoline_kernelINS0_14default_configENS1_20scan_config_selectorIdEEZZNS1_9scan_implILNS1_25lookback_scan_determinismE0ELb0ELb0ES3_PKdPddZZZN2at6native31launch_logcumsumexp_cuda_kernelERKNSB_10TensorBaseESF_lENKUlvE_clEvENKUlvE_clEvEUlddE_dEEDaPvRmT3_T4_T5_mT6_P12ihipStream_tbENKUlT_T0_E_clISt17integral_constantIbLb0EESV_IbLb1EEEEDaSR_SS_EUlSR_E0_NS1_11comp_targetILNS1_3genE10ELNS1_11target_archE1201ELNS1_3gpuE5ELNS1_3repE0EEENS1_30default_config_static_selectorELNS0_4arch9wavefront6targetE0EEEvT1_,"axG",@progbits,_ZN7rocprim17ROCPRIM_400000_NS6detail17trampoline_kernelINS0_14default_configENS1_20scan_config_selectorIdEEZZNS1_9scan_implILNS1_25lookback_scan_determinismE0ELb0ELb0ES3_PKdPddZZZN2at6native31launch_logcumsumexp_cuda_kernelERKNSB_10TensorBaseESF_lENKUlvE_clEvENKUlvE_clEvEUlddE_dEEDaPvRmT3_T4_T5_mT6_P12ihipStream_tbENKUlT_T0_E_clISt17integral_constantIbLb0EESV_IbLb1EEEEDaSR_SS_EUlSR_E0_NS1_11comp_targetILNS1_3genE10ELNS1_11target_archE1201ELNS1_3gpuE5ELNS1_3repE0EEENS1_30default_config_static_selectorELNS0_4arch9wavefront6targetE0EEEvT1_,comdat
	.globl	_ZN7rocprim17ROCPRIM_400000_NS6detail17trampoline_kernelINS0_14default_configENS1_20scan_config_selectorIdEEZZNS1_9scan_implILNS1_25lookback_scan_determinismE0ELb0ELb0ES3_PKdPddZZZN2at6native31launch_logcumsumexp_cuda_kernelERKNSB_10TensorBaseESF_lENKUlvE_clEvENKUlvE_clEvEUlddE_dEEDaPvRmT3_T4_T5_mT6_P12ihipStream_tbENKUlT_T0_E_clISt17integral_constantIbLb0EESV_IbLb1EEEEDaSR_SS_EUlSR_E0_NS1_11comp_targetILNS1_3genE10ELNS1_11target_archE1201ELNS1_3gpuE5ELNS1_3repE0EEENS1_30default_config_static_selectorELNS0_4arch9wavefront6targetE0EEEvT1_ ; -- Begin function _ZN7rocprim17ROCPRIM_400000_NS6detail17trampoline_kernelINS0_14default_configENS1_20scan_config_selectorIdEEZZNS1_9scan_implILNS1_25lookback_scan_determinismE0ELb0ELb0ES3_PKdPddZZZN2at6native31launch_logcumsumexp_cuda_kernelERKNSB_10TensorBaseESF_lENKUlvE_clEvENKUlvE_clEvEUlddE_dEEDaPvRmT3_T4_T5_mT6_P12ihipStream_tbENKUlT_T0_E_clISt17integral_constantIbLb0EESV_IbLb1EEEEDaSR_SS_EUlSR_E0_NS1_11comp_targetILNS1_3genE10ELNS1_11target_archE1201ELNS1_3gpuE5ELNS1_3repE0EEENS1_30default_config_static_selectorELNS0_4arch9wavefront6targetE0EEEvT1_
	.p2align	8
	.type	_ZN7rocprim17ROCPRIM_400000_NS6detail17trampoline_kernelINS0_14default_configENS1_20scan_config_selectorIdEEZZNS1_9scan_implILNS1_25lookback_scan_determinismE0ELb0ELb0ES3_PKdPddZZZN2at6native31launch_logcumsumexp_cuda_kernelERKNSB_10TensorBaseESF_lENKUlvE_clEvENKUlvE_clEvEUlddE_dEEDaPvRmT3_T4_T5_mT6_P12ihipStream_tbENKUlT_T0_E_clISt17integral_constantIbLb0EESV_IbLb1EEEEDaSR_SS_EUlSR_E0_NS1_11comp_targetILNS1_3genE10ELNS1_11target_archE1201ELNS1_3gpuE5ELNS1_3repE0EEENS1_30default_config_static_selectorELNS0_4arch9wavefront6targetE0EEEvT1_,@function
_ZN7rocprim17ROCPRIM_400000_NS6detail17trampoline_kernelINS0_14default_configENS1_20scan_config_selectorIdEEZZNS1_9scan_implILNS1_25lookback_scan_determinismE0ELb0ELb0ES3_PKdPddZZZN2at6native31launch_logcumsumexp_cuda_kernelERKNSB_10TensorBaseESF_lENKUlvE_clEvENKUlvE_clEvEUlddE_dEEDaPvRmT3_T4_T5_mT6_P12ihipStream_tbENKUlT_T0_E_clISt17integral_constantIbLb0EESV_IbLb1EEEEDaSR_SS_EUlSR_E0_NS1_11comp_targetILNS1_3genE10ELNS1_11target_archE1201ELNS1_3gpuE5ELNS1_3repE0EEENS1_30default_config_static_selectorELNS0_4arch9wavefront6targetE0EEEvT1_: ; @_ZN7rocprim17ROCPRIM_400000_NS6detail17trampoline_kernelINS0_14default_configENS1_20scan_config_selectorIdEEZZNS1_9scan_implILNS1_25lookback_scan_determinismE0ELb0ELb0ES3_PKdPddZZZN2at6native31launch_logcumsumexp_cuda_kernelERKNSB_10TensorBaseESF_lENKUlvE_clEvENKUlvE_clEvEUlddE_dEEDaPvRmT3_T4_T5_mT6_P12ihipStream_tbENKUlT_T0_E_clISt17integral_constantIbLb0EESV_IbLb1EEEEDaSR_SS_EUlSR_E0_NS1_11comp_targetILNS1_3genE10ELNS1_11target_archE1201ELNS1_3gpuE5ELNS1_3repE0EEENS1_30default_config_static_selectorELNS0_4arch9wavefront6targetE0EEEvT1_
; %bb.0:
	.section	.rodata,"a",@progbits
	.p2align	6, 0x0
	.amdhsa_kernel _ZN7rocprim17ROCPRIM_400000_NS6detail17trampoline_kernelINS0_14default_configENS1_20scan_config_selectorIdEEZZNS1_9scan_implILNS1_25lookback_scan_determinismE0ELb0ELb0ES3_PKdPddZZZN2at6native31launch_logcumsumexp_cuda_kernelERKNSB_10TensorBaseESF_lENKUlvE_clEvENKUlvE_clEvEUlddE_dEEDaPvRmT3_T4_T5_mT6_P12ihipStream_tbENKUlT_T0_E_clISt17integral_constantIbLb0EESV_IbLb1EEEEDaSR_SS_EUlSR_E0_NS1_11comp_targetILNS1_3genE10ELNS1_11target_archE1201ELNS1_3gpuE5ELNS1_3repE0EEENS1_30default_config_static_selectorELNS0_4arch9wavefront6targetE0EEEvT1_
		.amdhsa_group_segment_fixed_size 0
		.amdhsa_private_segment_fixed_size 0
		.amdhsa_kernarg_size 40
		.amdhsa_user_sgpr_count 15
		.amdhsa_user_sgpr_dispatch_ptr 0
		.amdhsa_user_sgpr_queue_ptr 0
		.amdhsa_user_sgpr_kernarg_segment_ptr 1
		.amdhsa_user_sgpr_dispatch_id 0
		.amdhsa_user_sgpr_private_segment_size 0
		.amdhsa_wavefront_size32 1
		.amdhsa_uses_dynamic_stack 0
		.amdhsa_enable_private_segment 0
		.amdhsa_system_sgpr_workgroup_id_x 1
		.amdhsa_system_sgpr_workgroup_id_y 0
		.amdhsa_system_sgpr_workgroup_id_z 0
		.amdhsa_system_sgpr_workgroup_info 0
		.amdhsa_system_vgpr_workitem_id 0
		.amdhsa_next_free_vgpr 1
		.amdhsa_next_free_sgpr 1
		.amdhsa_reserve_vcc 0
		.amdhsa_float_round_mode_32 0
		.amdhsa_float_round_mode_16_64 0
		.amdhsa_float_denorm_mode_32 3
		.amdhsa_float_denorm_mode_16_64 3
		.amdhsa_dx10_clamp 1
		.amdhsa_ieee_mode 1
		.amdhsa_fp16_overflow 0
		.amdhsa_workgroup_processor_mode 1
		.amdhsa_memory_ordered 1
		.amdhsa_forward_progress 0
		.amdhsa_shared_vgpr_count 0
		.amdhsa_exception_fp_ieee_invalid_op 0
		.amdhsa_exception_fp_denorm_src 0
		.amdhsa_exception_fp_ieee_div_zero 0
		.amdhsa_exception_fp_ieee_overflow 0
		.amdhsa_exception_fp_ieee_underflow 0
		.amdhsa_exception_fp_ieee_inexact 0
		.amdhsa_exception_int_div_zero 0
	.end_amdhsa_kernel
	.section	.text._ZN7rocprim17ROCPRIM_400000_NS6detail17trampoline_kernelINS0_14default_configENS1_20scan_config_selectorIdEEZZNS1_9scan_implILNS1_25lookback_scan_determinismE0ELb0ELb0ES3_PKdPddZZZN2at6native31launch_logcumsumexp_cuda_kernelERKNSB_10TensorBaseESF_lENKUlvE_clEvENKUlvE_clEvEUlddE_dEEDaPvRmT3_T4_T5_mT6_P12ihipStream_tbENKUlT_T0_E_clISt17integral_constantIbLb0EESV_IbLb1EEEEDaSR_SS_EUlSR_E0_NS1_11comp_targetILNS1_3genE10ELNS1_11target_archE1201ELNS1_3gpuE5ELNS1_3repE0EEENS1_30default_config_static_selectorELNS0_4arch9wavefront6targetE0EEEvT1_,"axG",@progbits,_ZN7rocprim17ROCPRIM_400000_NS6detail17trampoline_kernelINS0_14default_configENS1_20scan_config_selectorIdEEZZNS1_9scan_implILNS1_25lookback_scan_determinismE0ELb0ELb0ES3_PKdPddZZZN2at6native31launch_logcumsumexp_cuda_kernelERKNSB_10TensorBaseESF_lENKUlvE_clEvENKUlvE_clEvEUlddE_dEEDaPvRmT3_T4_T5_mT6_P12ihipStream_tbENKUlT_T0_E_clISt17integral_constantIbLb0EESV_IbLb1EEEEDaSR_SS_EUlSR_E0_NS1_11comp_targetILNS1_3genE10ELNS1_11target_archE1201ELNS1_3gpuE5ELNS1_3repE0EEENS1_30default_config_static_selectorELNS0_4arch9wavefront6targetE0EEEvT1_,comdat
.Lfunc_end84:
	.size	_ZN7rocprim17ROCPRIM_400000_NS6detail17trampoline_kernelINS0_14default_configENS1_20scan_config_selectorIdEEZZNS1_9scan_implILNS1_25lookback_scan_determinismE0ELb0ELb0ES3_PKdPddZZZN2at6native31launch_logcumsumexp_cuda_kernelERKNSB_10TensorBaseESF_lENKUlvE_clEvENKUlvE_clEvEUlddE_dEEDaPvRmT3_T4_T5_mT6_P12ihipStream_tbENKUlT_T0_E_clISt17integral_constantIbLb0EESV_IbLb1EEEEDaSR_SS_EUlSR_E0_NS1_11comp_targetILNS1_3genE10ELNS1_11target_archE1201ELNS1_3gpuE5ELNS1_3repE0EEENS1_30default_config_static_selectorELNS0_4arch9wavefront6targetE0EEEvT1_, .Lfunc_end84-_ZN7rocprim17ROCPRIM_400000_NS6detail17trampoline_kernelINS0_14default_configENS1_20scan_config_selectorIdEEZZNS1_9scan_implILNS1_25lookback_scan_determinismE0ELb0ELb0ES3_PKdPddZZZN2at6native31launch_logcumsumexp_cuda_kernelERKNSB_10TensorBaseESF_lENKUlvE_clEvENKUlvE_clEvEUlddE_dEEDaPvRmT3_T4_T5_mT6_P12ihipStream_tbENKUlT_T0_E_clISt17integral_constantIbLb0EESV_IbLb1EEEEDaSR_SS_EUlSR_E0_NS1_11comp_targetILNS1_3genE10ELNS1_11target_archE1201ELNS1_3gpuE5ELNS1_3repE0EEENS1_30default_config_static_selectorELNS0_4arch9wavefront6targetE0EEEvT1_
                                        ; -- End function
	.section	.AMDGPU.csdata,"",@progbits
; Kernel info:
; codeLenInByte = 0
; NumSgprs: 0
; NumVgprs: 0
; ScratchSize: 0
; MemoryBound: 0
; FloatMode: 240
; IeeeMode: 1
; LDSByteSize: 0 bytes/workgroup (compile time only)
; SGPRBlocks: 0
; VGPRBlocks: 0
; NumSGPRsForWavesPerEU: 1
; NumVGPRsForWavesPerEU: 1
; Occupancy: 16
; WaveLimiterHint : 0
; COMPUTE_PGM_RSRC2:SCRATCH_EN: 0
; COMPUTE_PGM_RSRC2:USER_SGPR: 15
; COMPUTE_PGM_RSRC2:TRAP_HANDLER: 0
; COMPUTE_PGM_RSRC2:TGID_X_EN: 1
; COMPUTE_PGM_RSRC2:TGID_Y_EN: 0
; COMPUTE_PGM_RSRC2:TGID_Z_EN: 0
; COMPUTE_PGM_RSRC2:TIDIG_COMP_CNT: 0
	.section	.text._ZN7rocprim17ROCPRIM_400000_NS6detail17trampoline_kernelINS0_14default_configENS1_20scan_config_selectorIdEEZZNS1_9scan_implILNS1_25lookback_scan_determinismE0ELb0ELb0ES3_PKdPddZZZN2at6native31launch_logcumsumexp_cuda_kernelERKNSB_10TensorBaseESF_lENKUlvE_clEvENKUlvE_clEvEUlddE_dEEDaPvRmT3_T4_T5_mT6_P12ihipStream_tbENKUlT_T0_E_clISt17integral_constantIbLb0EESV_IbLb1EEEEDaSR_SS_EUlSR_E0_NS1_11comp_targetILNS1_3genE10ELNS1_11target_archE1200ELNS1_3gpuE4ELNS1_3repE0EEENS1_30default_config_static_selectorELNS0_4arch9wavefront6targetE0EEEvT1_,"axG",@progbits,_ZN7rocprim17ROCPRIM_400000_NS6detail17trampoline_kernelINS0_14default_configENS1_20scan_config_selectorIdEEZZNS1_9scan_implILNS1_25lookback_scan_determinismE0ELb0ELb0ES3_PKdPddZZZN2at6native31launch_logcumsumexp_cuda_kernelERKNSB_10TensorBaseESF_lENKUlvE_clEvENKUlvE_clEvEUlddE_dEEDaPvRmT3_T4_T5_mT6_P12ihipStream_tbENKUlT_T0_E_clISt17integral_constantIbLb0EESV_IbLb1EEEEDaSR_SS_EUlSR_E0_NS1_11comp_targetILNS1_3genE10ELNS1_11target_archE1200ELNS1_3gpuE4ELNS1_3repE0EEENS1_30default_config_static_selectorELNS0_4arch9wavefront6targetE0EEEvT1_,comdat
	.globl	_ZN7rocprim17ROCPRIM_400000_NS6detail17trampoline_kernelINS0_14default_configENS1_20scan_config_selectorIdEEZZNS1_9scan_implILNS1_25lookback_scan_determinismE0ELb0ELb0ES3_PKdPddZZZN2at6native31launch_logcumsumexp_cuda_kernelERKNSB_10TensorBaseESF_lENKUlvE_clEvENKUlvE_clEvEUlddE_dEEDaPvRmT3_T4_T5_mT6_P12ihipStream_tbENKUlT_T0_E_clISt17integral_constantIbLb0EESV_IbLb1EEEEDaSR_SS_EUlSR_E0_NS1_11comp_targetILNS1_3genE10ELNS1_11target_archE1200ELNS1_3gpuE4ELNS1_3repE0EEENS1_30default_config_static_selectorELNS0_4arch9wavefront6targetE0EEEvT1_ ; -- Begin function _ZN7rocprim17ROCPRIM_400000_NS6detail17trampoline_kernelINS0_14default_configENS1_20scan_config_selectorIdEEZZNS1_9scan_implILNS1_25lookback_scan_determinismE0ELb0ELb0ES3_PKdPddZZZN2at6native31launch_logcumsumexp_cuda_kernelERKNSB_10TensorBaseESF_lENKUlvE_clEvENKUlvE_clEvEUlddE_dEEDaPvRmT3_T4_T5_mT6_P12ihipStream_tbENKUlT_T0_E_clISt17integral_constantIbLb0EESV_IbLb1EEEEDaSR_SS_EUlSR_E0_NS1_11comp_targetILNS1_3genE10ELNS1_11target_archE1200ELNS1_3gpuE4ELNS1_3repE0EEENS1_30default_config_static_selectorELNS0_4arch9wavefront6targetE0EEEvT1_
	.p2align	8
	.type	_ZN7rocprim17ROCPRIM_400000_NS6detail17trampoline_kernelINS0_14default_configENS1_20scan_config_selectorIdEEZZNS1_9scan_implILNS1_25lookback_scan_determinismE0ELb0ELb0ES3_PKdPddZZZN2at6native31launch_logcumsumexp_cuda_kernelERKNSB_10TensorBaseESF_lENKUlvE_clEvENKUlvE_clEvEUlddE_dEEDaPvRmT3_T4_T5_mT6_P12ihipStream_tbENKUlT_T0_E_clISt17integral_constantIbLb0EESV_IbLb1EEEEDaSR_SS_EUlSR_E0_NS1_11comp_targetILNS1_3genE10ELNS1_11target_archE1200ELNS1_3gpuE4ELNS1_3repE0EEENS1_30default_config_static_selectorELNS0_4arch9wavefront6targetE0EEEvT1_,@function
_ZN7rocprim17ROCPRIM_400000_NS6detail17trampoline_kernelINS0_14default_configENS1_20scan_config_selectorIdEEZZNS1_9scan_implILNS1_25lookback_scan_determinismE0ELb0ELb0ES3_PKdPddZZZN2at6native31launch_logcumsumexp_cuda_kernelERKNSB_10TensorBaseESF_lENKUlvE_clEvENKUlvE_clEvEUlddE_dEEDaPvRmT3_T4_T5_mT6_P12ihipStream_tbENKUlT_T0_E_clISt17integral_constantIbLb0EESV_IbLb1EEEEDaSR_SS_EUlSR_E0_NS1_11comp_targetILNS1_3genE10ELNS1_11target_archE1200ELNS1_3gpuE4ELNS1_3repE0EEENS1_30default_config_static_selectorELNS0_4arch9wavefront6targetE0EEEvT1_: ; @_ZN7rocprim17ROCPRIM_400000_NS6detail17trampoline_kernelINS0_14default_configENS1_20scan_config_selectorIdEEZZNS1_9scan_implILNS1_25lookback_scan_determinismE0ELb0ELb0ES3_PKdPddZZZN2at6native31launch_logcumsumexp_cuda_kernelERKNSB_10TensorBaseESF_lENKUlvE_clEvENKUlvE_clEvEUlddE_dEEDaPvRmT3_T4_T5_mT6_P12ihipStream_tbENKUlT_T0_E_clISt17integral_constantIbLb0EESV_IbLb1EEEEDaSR_SS_EUlSR_E0_NS1_11comp_targetILNS1_3genE10ELNS1_11target_archE1200ELNS1_3gpuE4ELNS1_3repE0EEENS1_30default_config_static_selectorELNS0_4arch9wavefront6targetE0EEEvT1_
; %bb.0:
	.section	.rodata,"a",@progbits
	.p2align	6, 0x0
	.amdhsa_kernel _ZN7rocprim17ROCPRIM_400000_NS6detail17trampoline_kernelINS0_14default_configENS1_20scan_config_selectorIdEEZZNS1_9scan_implILNS1_25lookback_scan_determinismE0ELb0ELb0ES3_PKdPddZZZN2at6native31launch_logcumsumexp_cuda_kernelERKNSB_10TensorBaseESF_lENKUlvE_clEvENKUlvE_clEvEUlddE_dEEDaPvRmT3_T4_T5_mT6_P12ihipStream_tbENKUlT_T0_E_clISt17integral_constantIbLb0EESV_IbLb1EEEEDaSR_SS_EUlSR_E0_NS1_11comp_targetILNS1_3genE10ELNS1_11target_archE1200ELNS1_3gpuE4ELNS1_3repE0EEENS1_30default_config_static_selectorELNS0_4arch9wavefront6targetE0EEEvT1_
		.amdhsa_group_segment_fixed_size 0
		.amdhsa_private_segment_fixed_size 0
		.amdhsa_kernarg_size 40
		.amdhsa_user_sgpr_count 15
		.amdhsa_user_sgpr_dispatch_ptr 0
		.amdhsa_user_sgpr_queue_ptr 0
		.amdhsa_user_sgpr_kernarg_segment_ptr 1
		.amdhsa_user_sgpr_dispatch_id 0
		.amdhsa_user_sgpr_private_segment_size 0
		.amdhsa_wavefront_size32 1
		.amdhsa_uses_dynamic_stack 0
		.amdhsa_enable_private_segment 0
		.amdhsa_system_sgpr_workgroup_id_x 1
		.amdhsa_system_sgpr_workgroup_id_y 0
		.amdhsa_system_sgpr_workgroup_id_z 0
		.amdhsa_system_sgpr_workgroup_info 0
		.amdhsa_system_vgpr_workitem_id 0
		.amdhsa_next_free_vgpr 1
		.amdhsa_next_free_sgpr 1
		.amdhsa_reserve_vcc 0
		.amdhsa_float_round_mode_32 0
		.amdhsa_float_round_mode_16_64 0
		.amdhsa_float_denorm_mode_32 3
		.amdhsa_float_denorm_mode_16_64 3
		.amdhsa_dx10_clamp 1
		.amdhsa_ieee_mode 1
		.amdhsa_fp16_overflow 0
		.amdhsa_workgroup_processor_mode 1
		.amdhsa_memory_ordered 1
		.amdhsa_forward_progress 0
		.amdhsa_shared_vgpr_count 0
		.amdhsa_exception_fp_ieee_invalid_op 0
		.amdhsa_exception_fp_denorm_src 0
		.amdhsa_exception_fp_ieee_div_zero 0
		.amdhsa_exception_fp_ieee_overflow 0
		.amdhsa_exception_fp_ieee_underflow 0
		.amdhsa_exception_fp_ieee_inexact 0
		.amdhsa_exception_int_div_zero 0
	.end_amdhsa_kernel
	.section	.text._ZN7rocprim17ROCPRIM_400000_NS6detail17trampoline_kernelINS0_14default_configENS1_20scan_config_selectorIdEEZZNS1_9scan_implILNS1_25lookback_scan_determinismE0ELb0ELb0ES3_PKdPddZZZN2at6native31launch_logcumsumexp_cuda_kernelERKNSB_10TensorBaseESF_lENKUlvE_clEvENKUlvE_clEvEUlddE_dEEDaPvRmT3_T4_T5_mT6_P12ihipStream_tbENKUlT_T0_E_clISt17integral_constantIbLb0EESV_IbLb1EEEEDaSR_SS_EUlSR_E0_NS1_11comp_targetILNS1_3genE10ELNS1_11target_archE1200ELNS1_3gpuE4ELNS1_3repE0EEENS1_30default_config_static_selectorELNS0_4arch9wavefront6targetE0EEEvT1_,"axG",@progbits,_ZN7rocprim17ROCPRIM_400000_NS6detail17trampoline_kernelINS0_14default_configENS1_20scan_config_selectorIdEEZZNS1_9scan_implILNS1_25lookback_scan_determinismE0ELb0ELb0ES3_PKdPddZZZN2at6native31launch_logcumsumexp_cuda_kernelERKNSB_10TensorBaseESF_lENKUlvE_clEvENKUlvE_clEvEUlddE_dEEDaPvRmT3_T4_T5_mT6_P12ihipStream_tbENKUlT_T0_E_clISt17integral_constantIbLb0EESV_IbLb1EEEEDaSR_SS_EUlSR_E0_NS1_11comp_targetILNS1_3genE10ELNS1_11target_archE1200ELNS1_3gpuE4ELNS1_3repE0EEENS1_30default_config_static_selectorELNS0_4arch9wavefront6targetE0EEEvT1_,comdat
.Lfunc_end85:
	.size	_ZN7rocprim17ROCPRIM_400000_NS6detail17trampoline_kernelINS0_14default_configENS1_20scan_config_selectorIdEEZZNS1_9scan_implILNS1_25lookback_scan_determinismE0ELb0ELb0ES3_PKdPddZZZN2at6native31launch_logcumsumexp_cuda_kernelERKNSB_10TensorBaseESF_lENKUlvE_clEvENKUlvE_clEvEUlddE_dEEDaPvRmT3_T4_T5_mT6_P12ihipStream_tbENKUlT_T0_E_clISt17integral_constantIbLb0EESV_IbLb1EEEEDaSR_SS_EUlSR_E0_NS1_11comp_targetILNS1_3genE10ELNS1_11target_archE1200ELNS1_3gpuE4ELNS1_3repE0EEENS1_30default_config_static_selectorELNS0_4arch9wavefront6targetE0EEEvT1_, .Lfunc_end85-_ZN7rocprim17ROCPRIM_400000_NS6detail17trampoline_kernelINS0_14default_configENS1_20scan_config_selectorIdEEZZNS1_9scan_implILNS1_25lookback_scan_determinismE0ELb0ELb0ES3_PKdPddZZZN2at6native31launch_logcumsumexp_cuda_kernelERKNSB_10TensorBaseESF_lENKUlvE_clEvENKUlvE_clEvEUlddE_dEEDaPvRmT3_T4_T5_mT6_P12ihipStream_tbENKUlT_T0_E_clISt17integral_constantIbLb0EESV_IbLb1EEEEDaSR_SS_EUlSR_E0_NS1_11comp_targetILNS1_3genE10ELNS1_11target_archE1200ELNS1_3gpuE4ELNS1_3repE0EEENS1_30default_config_static_selectorELNS0_4arch9wavefront6targetE0EEEvT1_
                                        ; -- End function
	.section	.AMDGPU.csdata,"",@progbits
; Kernel info:
; codeLenInByte = 0
; NumSgprs: 0
; NumVgprs: 0
; ScratchSize: 0
; MemoryBound: 0
; FloatMode: 240
; IeeeMode: 1
; LDSByteSize: 0 bytes/workgroup (compile time only)
; SGPRBlocks: 0
; VGPRBlocks: 0
; NumSGPRsForWavesPerEU: 1
; NumVGPRsForWavesPerEU: 1
; Occupancy: 16
; WaveLimiterHint : 0
; COMPUTE_PGM_RSRC2:SCRATCH_EN: 0
; COMPUTE_PGM_RSRC2:USER_SGPR: 15
; COMPUTE_PGM_RSRC2:TRAP_HANDLER: 0
; COMPUTE_PGM_RSRC2:TGID_X_EN: 1
; COMPUTE_PGM_RSRC2:TGID_Y_EN: 0
; COMPUTE_PGM_RSRC2:TGID_Z_EN: 0
; COMPUTE_PGM_RSRC2:TIDIG_COMP_CNT: 0
	.section	.text._ZN7rocprim17ROCPRIM_400000_NS6detail17trampoline_kernelINS0_14default_configENS1_20scan_config_selectorIdEEZZNS1_9scan_implILNS1_25lookback_scan_determinismE0ELb0ELb0ES3_PKdPddZZZN2at6native31launch_logcumsumexp_cuda_kernelERKNSB_10TensorBaseESF_lENKUlvE_clEvENKUlvE_clEvEUlddE_dEEDaPvRmT3_T4_T5_mT6_P12ihipStream_tbENKUlT_T0_E_clISt17integral_constantIbLb0EESV_IbLb1EEEEDaSR_SS_EUlSR_E0_NS1_11comp_targetILNS1_3genE9ELNS1_11target_archE1100ELNS1_3gpuE3ELNS1_3repE0EEENS1_30default_config_static_selectorELNS0_4arch9wavefront6targetE0EEEvT1_,"axG",@progbits,_ZN7rocprim17ROCPRIM_400000_NS6detail17trampoline_kernelINS0_14default_configENS1_20scan_config_selectorIdEEZZNS1_9scan_implILNS1_25lookback_scan_determinismE0ELb0ELb0ES3_PKdPddZZZN2at6native31launch_logcumsumexp_cuda_kernelERKNSB_10TensorBaseESF_lENKUlvE_clEvENKUlvE_clEvEUlddE_dEEDaPvRmT3_T4_T5_mT6_P12ihipStream_tbENKUlT_T0_E_clISt17integral_constantIbLb0EESV_IbLb1EEEEDaSR_SS_EUlSR_E0_NS1_11comp_targetILNS1_3genE9ELNS1_11target_archE1100ELNS1_3gpuE3ELNS1_3repE0EEENS1_30default_config_static_selectorELNS0_4arch9wavefront6targetE0EEEvT1_,comdat
	.globl	_ZN7rocprim17ROCPRIM_400000_NS6detail17trampoline_kernelINS0_14default_configENS1_20scan_config_selectorIdEEZZNS1_9scan_implILNS1_25lookback_scan_determinismE0ELb0ELb0ES3_PKdPddZZZN2at6native31launch_logcumsumexp_cuda_kernelERKNSB_10TensorBaseESF_lENKUlvE_clEvENKUlvE_clEvEUlddE_dEEDaPvRmT3_T4_T5_mT6_P12ihipStream_tbENKUlT_T0_E_clISt17integral_constantIbLb0EESV_IbLb1EEEEDaSR_SS_EUlSR_E0_NS1_11comp_targetILNS1_3genE9ELNS1_11target_archE1100ELNS1_3gpuE3ELNS1_3repE0EEENS1_30default_config_static_selectorELNS0_4arch9wavefront6targetE0EEEvT1_ ; -- Begin function _ZN7rocprim17ROCPRIM_400000_NS6detail17trampoline_kernelINS0_14default_configENS1_20scan_config_selectorIdEEZZNS1_9scan_implILNS1_25lookback_scan_determinismE0ELb0ELb0ES3_PKdPddZZZN2at6native31launch_logcumsumexp_cuda_kernelERKNSB_10TensorBaseESF_lENKUlvE_clEvENKUlvE_clEvEUlddE_dEEDaPvRmT3_T4_T5_mT6_P12ihipStream_tbENKUlT_T0_E_clISt17integral_constantIbLb0EESV_IbLb1EEEEDaSR_SS_EUlSR_E0_NS1_11comp_targetILNS1_3genE9ELNS1_11target_archE1100ELNS1_3gpuE3ELNS1_3repE0EEENS1_30default_config_static_selectorELNS0_4arch9wavefront6targetE0EEEvT1_
	.p2align	8
	.type	_ZN7rocprim17ROCPRIM_400000_NS6detail17trampoline_kernelINS0_14default_configENS1_20scan_config_selectorIdEEZZNS1_9scan_implILNS1_25lookback_scan_determinismE0ELb0ELb0ES3_PKdPddZZZN2at6native31launch_logcumsumexp_cuda_kernelERKNSB_10TensorBaseESF_lENKUlvE_clEvENKUlvE_clEvEUlddE_dEEDaPvRmT3_T4_T5_mT6_P12ihipStream_tbENKUlT_T0_E_clISt17integral_constantIbLb0EESV_IbLb1EEEEDaSR_SS_EUlSR_E0_NS1_11comp_targetILNS1_3genE9ELNS1_11target_archE1100ELNS1_3gpuE3ELNS1_3repE0EEENS1_30default_config_static_selectorELNS0_4arch9wavefront6targetE0EEEvT1_,@function
_ZN7rocprim17ROCPRIM_400000_NS6detail17trampoline_kernelINS0_14default_configENS1_20scan_config_selectorIdEEZZNS1_9scan_implILNS1_25lookback_scan_determinismE0ELb0ELb0ES3_PKdPddZZZN2at6native31launch_logcumsumexp_cuda_kernelERKNSB_10TensorBaseESF_lENKUlvE_clEvENKUlvE_clEvEUlddE_dEEDaPvRmT3_T4_T5_mT6_P12ihipStream_tbENKUlT_T0_E_clISt17integral_constantIbLb0EESV_IbLb1EEEEDaSR_SS_EUlSR_E0_NS1_11comp_targetILNS1_3genE9ELNS1_11target_archE1100ELNS1_3gpuE3ELNS1_3repE0EEENS1_30default_config_static_selectorELNS0_4arch9wavefront6targetE0EEEvT1_: ; @_ZN7rocprim17ROCPRIM_400000_NS6detail17trampoline_kernelINS0_14default_configENS1_20scan_config_selectorIdEEZZNS1_9scan_implILNS1_25lookback_scan_determinismE0ELb0ELb0ES3_PKdPddZZZN2at6native31launch_logcumsumexp_cuda_kernelERKNSB_10TensorBaseESF_lENKUlvE_clEvENKUlvE_clEvEUlddE_dEEDaPvRmT3_T4_T5_mT6_P12ihipStream_tbENKUlT_T0_E_clISt17integral_constantIbLb0EESV_IbLb1EEEEDaSR_SS_EUlSR_E0_NS1_11comp_targetILNS1_3genE9ELNS1_11target_archE1100ELNS1_3gpuE3ELNS1_3repE0EEENS1_30default_config_static_selectorELNS0_4arch9wavefront6targetE0EEEvT1_
; %bb.0:
	s_load_b128 s[20:23], s[0:1], 0x0
	v_lshlrev_b32_e32 v77, 3, v0
	s_waitcnt lgkmcnt(0)
	s_load_b64 s[18:19], s[20:21], 0x0
	v_cmp_gt_u32_e32 vcc_lo, s22, v0
	s_waitcnt lgkmcnt(0)
	v_dual_mov_b32 v1, s18 :: v_dual_mov_b32 v2, s19
	s_and_saveexec_b32 s2, vcc_lo
	s_cbranch_execz .LBB86_2
; %bb.1:
	global_load_b64 v[1:2], v77, s[20:21]
.LBB86_2:
	s_or_b32 exec_lo, exec_lo, s2
	v_or_b32_e32 v33, 0x100, v0
	v_dual_mov_b32 v3, s18 :: v_dual_mov_b32 v4, s19
	s_delay_alu instid0(VALU_DEP_2) | instskip(NEXT) | instid1(VALU_DEP_1)
	v_cmp_gt_u32_e64 s2, s22, v33
	s_and_saveexec_b32 s3, s2
	s_cbranch_execz .LBB86_4
; %bb.3:
	global_load_b64 v[3:4], v77, s[20:21] offset:2048
.LBB86_4:
	s_or_b32 exec_lo, exec_lo, s3
	v_or_b32_e32 v34, 0x200, v0
	v_dual_mov_b32 v5, s18 :: v_dual_mov_b32 v6, s19
	s_delay_alu instid0(VALU_DEP_2) | instskip(NEXT) | instid1(VALU_DEP_1)
	v_cmp_gt_u32_e64 s3, s22, v34
	s_and_saveexec_b32 s4, s3
	s_cbranch_execz .LBB86_6
; %bb.5:
	v_lshlrev_b32_e32 v5, 3, v34
	global_load_b64 v[5:6], v5, s[20:21]
.LBB86_6:
	s_or_b32 exec_lo, exec_lo, s4
	v_or_b32_e32 v35, 0x300, v0
	v_dual_mov_b32 v9, s18 :: v_dual_mov_b32 v10, s19
	s_delay_alu instid0(VALU_DEP_2) | instskip(NEXT) | instid1(VALU_DEP_1)
	v_cmp_gt_u32_e64 s4, s22, v35
	s_and_saveexec_b32 s5, s4
	s_cbranch_execz .LBB86_8
; %bb.7:
	v_lshlrev_b32_e32 v7, 3, v35
	global_load_b64 v[9:10], v7, s[20:21]
.LBB86_8:
	;; [unrolled: 11-line block ×14, first 2 shown]
	s_or_b32 exec_lo, exec_lo, s17
	v_lshrrev_b32_e32 v48, 2, v0
	v_lshrrev_b32_e32 v34, 2, v34
	;; [unrolled: 1-line block ×5, first 2 shown]
	v_and_b32_e32 v95, 56, v48
	v_and_b32_e32 v34, 0xf8, v34
	;; [unrolled: 1-line block ×4, first 2 shown]
	s_delay_alu instid0(VALU_DEP_4) | instskip(NEXT) | instid1(VALU_DEP_4)
	v_add_nc_u32_e32 v78, v95, v77
	v_add_nc_u32_e32 v80, v34, v77
	v_and_b32_e32 v34, 0x1f8, v36
	v_lshrrev_b32_e32 v36, 2, v39
	v_add_nc_u32_e32 v79, v33, v77
	v_add_nc_u32_e32 v81, v35, v77
	s_waitcnt vmcnt(0)
	ds_store_b64 v78, v[1:2]
	ds_store_b64 v79, v[3:4] offset:2048
	ds_store_b64 v80, v[5:6] offset:4096
	;; [unrolled: 1-line block ×3, first 2 shown]
	v_and_b32_e32 v1, 0x1f8, v36
	v_lshrrev_b32_e32 v2, 2, v40
	v_lshrrev_b32_e32 v3, 2, v41
	;; [unrolled: 1-line block ×4, first 2 shown]
	v_add_nc_u32_e32 v85, v1, v77
	v_and_b32_e32 v1, 0x3f8, v2
	v_and_b32_e32 v2, 0x3f8, v3
	;; [unrolled: 1-line block ×4, first 2 shown]
	v_lshrrev_b32_e32 v33, 2, v37
	v_add_nc_u32_e32 v86, v1, v77
	v_lshrrev_b32_e32 v1, 2, v44
	v_add_nc_u32_e32 v87, v2, v77
	v_lshrrev_b32_e32 v2, 2, v45
	v_lshrrev_b32_e32 v37, 2, v38
	v_add_nc_u32_e32 v88, v3, v77
	v_lshrrev_b32_e32 v3, 2, v46
	v_add_nc_u32_e32 v89, v4, v77
	v_lshrrev_b32_e32 v4, 2, v47
	v_and_b32_e32 v1, 0x3f8, v1
	v_lshlrev_b32_e32 v5, 4, v0
	v_lshrrev_b32_e32 v6, 1, v0
	v_and_b32_e32 v33, 0x1f8, v33
	v_and_b32_e32 v2, 0x3f8, v2
	v_and_b32_e32 v35, 0x1f8, v37
	v_and_b32_e32 v3, 0x3f8, v3
	v_and_b32_e32 v4, 0x3f8, v4
	v_add_nc_u32_e32 v82, v34, v77
	v_add_nc_u32_e32 v90, v1, v77
	v_add_lshl_u32 v94, v6, v5, 3
	v_add_nc_u32_e32 v83, v33, v77
	v_add_nc_u32_e32 v91, v2, v77
	;; [unrolled: 1-line block ×5, first 2 shown]
	ds_store_b64 v82, v[7:8] offset:8192
	ds_store_b64 v83, v[11:12] offset:10240
	;; [unrolled: 1-line block ×12, first 2 shown]
	s_waitcnt lgkmcnt(0)
	s_barrier
	buffer_gl0_inv
	ds_load_2addr_b64 v[1:4], v94 offset1:1
	ds_load_2addr_b64 v[29:32], v94 offset0:2 offset1:3
	s_waitcnt lgkmcnt(1)
	v_max_f64 v[35:36], v[3:4], v[3:4]
	v_max_f64 v[63:64], v[1:2], v[1:2]
	v_cmp_u_f64_e64 s33, v[1:2], v[1:2]
	v_cmp_u_f64_e64 s17, v[3:4], v[3:4]
	v_dual_mov_b32 v70, v2 :: v_dual_mov_b32 v69, v1
	s_delay_alu instid0(VALU_DEP_4) | instskip(SKIP_1) | instid1(VALU_DEP_2)
	v_min_f64 v[65:66], v[63:64], v[35:36]
	v_max_f64 v[67:68], v[63:64], v[35:36]
	v_cndmask_b32_e64 v5, v65, v1, s33
	s_delay_alu instid0(VALU_DEP_3) | instskip(NEXT) | instid1(VALU_DEP_3)
	v_cndmask_b32_e64 v6, v66, v2, s33
	v_cndmask_b32_e64 v7, v68, v2, s33
	s_delay_alu instid0(VALU_DEP_4) | instskip(NEXT) | instid1(VALU_DEP_4)
	v_cndmask_b32_e64 v8, v67, v1, s33
	v_cndmask_b32_e64 v37, v5, v3, s17
	s_delay_alu instid0(VALU_DEP_4) | instskip(NEXT) | instid1(VALU_DEP_4)
	v_cndmask_b32_e64 v38, v6, v4, s17
	v_cndmask_b32_e64 v34, v7, v4, s17
	s_delay_alu instid0(VALU_DEP_4)
	v_cndmask_b32_e64 v33, v8, v3, s17
	ds_load_2addr_b64 v[25:28], v94 offset0:4 offset1:5
	ds_load_2addr_b64 v[21:24], v94 offset0:6 offset1:7
	;; [unrolled: 1-line block ×6, first 2 shown]
	s_waitcnt lgkmcnt(0)
	v_cmp_class_f64_e64 s19, v[37:38], 0x1f8
	s_barrier
	v_cmp_neq_f64_e64 s18, v[37:38], v[33:34]
	buffer_gl0_inv
	s_or_b32 s18, s18, s19
	s_delay_alu instid0(SALU_CYCLE_1)
	s_and_saveexec_b32 s24, s18
	s_cbranch_execz .LBB86_34
; %bb.33:
	v_add_f64 v[37:38], v[37:38], -v[33:34]
	s_mov_b32 s18, 0x652b82fe
	s_mov_b32 s19, 0x3ff71547
	;; [unrolled: 1-line block ×10, first 2 shown]
	s_delay_alu instid0(VALU_DEP_1) | instskip(SKIP_2) | instid1(VALU_DEP_1)
	v_mul_f64 v[39:40], v[37:38], s[18:19]
	s_mov_b32 s18, 0xfca7ab0c
	s_mov_b32 s19, 0x3e928af3
	v_rndne_f64_e32 v[39:40], v[39:40]
	s_delay_alu instid0(VALU_DEP_1) | instskip(SKIP_2) | instid1(VALU_DEP_2)
	v_fma_f64 v[41:42], v[39:40], s[20:21], v[37:38]
	v_cvt_i32_f64_e32 v45, v[39:40]
	s_mov_b32 s21, 0x3fe62e42
	v_fma_f64 v[41:42], v[39:40], s[22:23], v[41:42]
	s_mov_b32 s23, 0x3c7abc9e
	s_delay_alu instid0(VALU_DEP_1) | instskip(SKIP_4) | instid1(VALU_DEP_1)
	v_fma_f64 v[43:44], v[41:42], s[26:27], s[18:19]
	s_mov_b32 s18, 0x623fde64
	s_mov_b32 s19, 0x3ec71dee
	;; [unrolled: 1-line block ×4, first 2 shown]
	v_fma_f64 v[43:44], v[41:42], v[43:44], s[18:19]
	s_mov_b32 s18, 0x7c89e6b0
	s_mov_b32 s19, 0x3efa0199
	s_delay_alu instid0(VALU_DEP_1) | instid1(SALU_CYCLE_1)
	v_fma_f64 v[43:44], v[41:42], v[43:44], s[18:19]
	s_mov_b32 s18, 0x14761f6e
	s_mov_b32 s19, 0x3f2a01a0
	s_delay_alu instid0(VALU_DEP_1) | instid1(SALU_CYCLE_1)
	;; [unrolled: 4-line block ×7, first 2 shown]
	v_fma_f64 v[43:44], v[41:42], v[43:44], s[18:19]
	v_cmp_nlt_f64_e64 s18, 0x40900000, v[37:38]
	v_cmp_ngt_f64_e64 s19, 0xc090cc00, v[37:38]
	s_delay_alu instid0(VALU_DEP_3) | instskip(NEXT) | instid1(VALU_DEP_1)
	v_fma_f64 v[43:44], v[41:42], v[43:44], 1.0
	v_fma_f64 v[39:40], v[41:42], v[43:44], 1.0
	s_delay_alu instid0(VALU_DEP_1) | instskip(NEXT) | instid1(VALU_DEP_1)
	v_ldexp_f64 v[39:40], v[39:40], v45
	v_cndmask_b32_e64 v40, 0x7ff00000, v40, s18
	s_and_b32 s18, s19, s18
	s_delay_alu instid0(VALU_DEP_2) | instid1(SALU_CYCLE_1)
	v_cndmask_b32_e64 v37, 0, v39, s18
	s_mov_b32 s18, 0x55555555
	s_delay_alu instid0(VALU_DEP_2) | instskip(SKIP_1) | instid1(VALU_DEP_1)
	v_cndmask_b32_e64 v38, 0, v40, s19
	s_mov_b32 s19, 0x3fe55555
	v_add_f64 v[39:40], v[37:38], 1.0
	s_delay_alu instid0(VALU_DEP_1) | instskip(SKIP_2) | instid1(VALU_DEP_3)
	v_frexp_mant_f64_e32 v[41:42], v[39:40]
	v_frexp_exp_i32_f64_e32 v45, v[39:40]
	v_add_f64 v[43:44], v[39:40], -1.0
	v_cmp_gt_f64_e64 s18, s[18:19], v[41:42]
	s_delay_alu instid0(VALU_DEP_2) | instskip(SKIP_1) | instid1(VALU_DEP_3)
	v_add_f64 v[41:42], v[43:44], -v[39:40]
	v_add_f64 v[43:44], v[37:38], -v[43:44]
	v_subrev_co_ci_u32_e64 v61, s18, 0, v45, s18
	s_delay_alu instid0(VALU_DEP_3) | instskip(SKIP_1) | instid1(VALU_DEP_2)
	v_add_f64 v[41:42], v[41:42], 1.0
	s_mov_b32 s18, 0x55555780
	v_sub_nc_u32_e32 v47, 0, v61
	s_delay_alu instid0(VALU_DEP_1) | instskip(NEXT) | instid1(VALU_DEP_3)
	v_ldexp_f64 v[39:40], v[39:40], v47
	v_add_f64 v[41:42], v[43:44], v[41:42]
	s_delay_alu instid0(VALU_DEP_2) | instskip(SKIP_1) | instid1(VALU_DEP_3)
	v_add_f64 v[45:46], v[39:40], 1.0
	v_add_f64 v[51:52], v[39:40], -1.0
	v_ldexp_f64 v[41:42], v[41:42], v47
	s_delay_alu instid0(VALU_DEP_3) | instskip(NEXT) | instid1(VALU_DEP_3)
	v_add_f64 v[43:44], v[45:46], -1.0
	v_add_f64 v[53:54], v[51:52], 1.0
	s_delay_alu instid0(VALU_DEP_2) | instskip(NEXT) | instid1(VALU_DEP_2)
	v_add_f64 v[43:44], v[39:40], -v[43:44]
	v_add_f64 v[39:40], v[39:40], -v[53:54]
	s_delay_alu instid0(VALU_DEP_2) | instskip(NEXT) | instid1(VALU_DEP_2)
	v_add_f64 v[43:44], v[41:42], v[43:44]
	v_add_f64 v[39:40], v[41:42], v[39:40]
	s_delay_alu instid0(VALU_DEP_2) | instskip(NEXT) | instid1(VALU_DEP_2)
	v_add_f64 v[47:48], v[45:46], v[43:44]
	v_add_f64 v[53:54], v[51:52], v[39:40]
	s_delay_alu instid0(VALU_DEP_2) | instskip(SKIP_1) | instid1(VALU_DEP_2)
	v_rcp_f64_e32 v[49:50], v[47:48]
	v_add_f64 v[45:46], v[47:48], -v[45:46]
	v_add_f64 v[51:52], v[53:54], -v[51:52]
	s_delay_alu instid0(VALU_DEP_2) | instskip(SKIP_3) | instid1(VALU_DEP_2)
	v_add_f64 v[43:44], v[43:44], -v[45:46]
	s_waitcnt_depctr 0xfff
	v_fma_f64 v[55:56], -v[47:48], v[49:50], 1.0
	v_add_f64 v[39:40], v[39:40], -v[51:52]
	v_fma_f64 v[49:50], v[55:56], v[49:50], v[49:50]
	s_delay_alu instid0(VALU_DEP_1) | instskip(NEXT) | instid1(VALU_DEP_1)
	v_fma_f64 v[41:42], -v[47:48], v[49:50], 1.0
	v_fma_f64 v[41:42], v[41:42], v[49:50], v[49:50]
	s_delay_alu instid0(VALU_DEP_1) | instskip(NEXT) | instid1(VALU_DEP_1)
	v_mul_f64 v[49:50], v[53:54], v[41:42]
	v_mul_f64 v[55:56], v[47:48], v[49:50]
	s_delay_alu instid0(VALU_DEP_1) | instskip(NEXT) | instid1(VALU_DEP_1)
	v_fma_f64 v[45:46], v[49:50], v[47:48], -v[55:56]
	v_fma_f64 v[45:46], v[49:50], v[43:44], v[45:46]
	s_delay_alu instid0(VALU_DEP_1) | instskip(NEXT) | instid1(VALU_DEP_1)
	v_add_f64 v[57:58], v[55:56], v[45:46]
	v_add_f64 v[59:60], v[53:54], -v[57:58]
	v_add_f64 v[51:52], v[57:58], -v[55:56]
	s_delay_alu instid0(VALU_DEP_2) | instskip(NEXT) | instid1(VALU_DEP_2)
	v_add_f64 v[53:54], v[53:54], -v[59:60]
	v_add_f64 v[45:46], v[51:52], -v[45:46]
	s_delay_alu instid0(VALU_DEP_2) | instskip(NEXT) | instid1(VALU_DEP_1)
	v_add_f64 v[53:54], v[53:54], -v[57:58]
	v_add_f64 v[39:40], v[39:40], v[53:54]
	s_delay_alu instid0(VALU_DEP_1) | instskip(NEXT) | instid1(VALU_DEP_1)
	v_add_f64 v[39:40], v[45:46], v[39:40]
	v_add_f64 v[45:46], v[59:60], v[39:40]
	s_delay_alu instid0(VALU_DEP_1) | instskip(SKIP_1) | instid1(VALU_DEP_2)
	v_mul_f64 v[51:52], v[41:42], v[45:46]
	v_add_f64 v[57:58], v[59:60], -v[45:46]
	v_mul_f64 v[53:54], v[47:48], v[51:52]
	s_delay_alu instid0(VALU_DEP_2) | instskip(NEXT) | instid1(VALU_DEP_2)
	v_add_f64 v[39:40], v[39:40], v[57:58]
	v_fma_f64 v[47:48], v[51:52], v[47:48], -v[53:54]
	s_delay_alu instid0(VALU_DEP_1) | instskip(NEXT) | instid1(VALU_DEP_1)
	v_fma_f64 v[43:44], v[51:52], v[43:44], v[47:48]
	v_add_f64 v[47:48], v[53:54], v[43:44]
	s_delay_alu instid0(VALU_DEP_1) | instskip(SKIP_1) | instid1(VALU_DEP_2)
	v_add_f64 v[55:56], v[45:46], -v[47:48]
	v_add_f64 v[53:54], v[47:48], -v[53:54]
	;; [unrolled: 1-line block ×3, first 2 shown]
	s_delay_alu instid0(VALU_DEP_2) | instskip(NEXT) | instid1(VALU_DEP_2)
	v_add_f64 v[43:44], v[53:54], -v[43:44]
	v_add_f64 v[45:46], v[45:46], -v[47:48]
	s_delay_alu instid0(VALU_DEP_1) | instskip(SKIP_1) | instid1(VALU_DEP_2)
	v_add_f64 v[39:40], v[39:40], v[45:46]
	v_add_f64 v[45:46], v[49:50], v[51:52]
	v_add_f64 v[39:40], v[43:44], v[39:40]
	s_delay_alu instid0(VALU_DEP_2) | instskip(NEXT) | instid1(VALU_DEP_2)
	v_add_f64 v[43:44], v[45:46], -v[49:50]
	v_add_f64 v[39:40], v[55:56], v[39:40]
	s_delay_alu instid0(VALU_DEP_2) | instskip(NEXT) | instid1(VALU_DEP_2)
	v_add_f64 v[43:44], v[51:52], -v[43:44]
	v_mul_f64 v[39:40], v[41:42], v[39:40]
	s_delay_alu instid0(VALU_DEP_1) | instskip(NEXT) | instid1(VALU_DEP_1)
	v_add_f64 v[39:40], v[43:44], v[39:40]
	v_add_f64 v[41:42], v[45:46], v[39:40]
	s_delay_alu instid0(VALU_DEP_1) | instskip(NEXT) | instid1(VALU_DEP_1)
	v_mul_f64 v[43:44], v[41:42], v[41:42]
	v_fma_f64 v[47:48], v[43:44], s[28:29], s[26:27]
	s_mov_b32 s26, 0xd7f4df2e
	s_mov_b32 s27, 0x3fc7474d
	v_mul_f64 v[49:50], v[41:42], v[43:44]
	s_delay_alu instid0(VALU_DEP_2)
	v_fma_f64 v[47:48], v[43:44], v[47:48], s[26:27]
	s_mov_b32 s26, 0x16291751
	s_mov_b32 s27, 0x3fcc71c0
	s_delay_alu instid0(VALU_DEP_1) | instid1(SALU_CYCLE_1)
	v_fma_f64 v[47:48], v[43:44], v[47:48], s[26:27]
	s_mov_b32 s26, 0x9b27acf1
	s_mov_b32 s27, 0x3fd24924
	s_delay_alu instid0(VALU_DEP_1) | instid1(SALU_CYCLE_1)
	v_fma_f64 v[47:48], v[43:44], v[47:48], s[26:27]
	s_mov_b32 s26, 0x998ef7b6
	s_mov_b32 s27, 0x3fd99999
	s_delay_alu instid0(VALU_DEP_1) | instid1(SALU_CYCLE_1)
	v_fma_f64 v[47:48], v[43:44], v[47:48], s[26:27]
	s_delay_alu instid0(VALU_DEP_1) | instskip(SKIP_3) | instid1(VALU_DEP_4)
	v_fma_f64 v[43:44], v[43:44], v[47:48], s[18:19]
	v_ldexp_f64 v[47:48], v[41:42], 1
	v_add_f64 v[41:42], v[41:42], -v[45:46]
	v_cmp_eq_f64_e64 s18, 0x7ff00000, v[37:38]
	v_mul_f64 v[43:44], v[49:50], v[43:44]
	v_cvt_f64_i32_e32 v[49:50], v61
	s_delay_alu instid0(VALU_DEP_4) | instskip(NEXT) | instid1(VALU_DEP_3)
	v_add_f64 v[39:40], v[39:40], -v[41:42]
	v_add_f64 v[45:46], v[47:48], v[43:44]
	s_delay_alu instid0(VALU_DEP_3) | instskip(NEXT) | instid1(VALU_DEP_3)
	v_mul_f64 v[51:52], v[49:50], s[20:21]
	v_ldexp_f64 v[39:40], v[39:40], 1
	s_delay_alu instid0(VALU_DEP_3) | instskip(NEXT) | instid1(VALU_DEP_3)
	v_add_f64 v[41:42], v[45:46], -v[47:48]
	v_fma_f64 v[47:48], v[49:50], s[20:21], -v[51:52]
	s_delay_alu instid0(VALU_DEP_2) | instskip(NEXT) | instid1(VALU_DEP_2)
	v_add_f64 v[41:42], v[43:44], -v[41:42]
	v_fma_f64 v[43:44], v[49:50], s[22:23], v[47:48]
	s_delay_alu instid0(VALU_DEP_2) | instskip(NEXT) | instid1(VALU_DEP_2)
	v_add_f64 v[39:40], v[39:40], v[41:42]
	v_add_f64 v[41:42], v[51:52], v[43:44]
	s_delay_alu instid0(VALU_DEP_2) | instskip(NEXT) | instid1(VALU_DEP_2)
	v_add_f64 v[47:48], v[45:46], v[39:40]
	v_add_f64 v[51:52], v[41:42], -v[51:52]
	s_delay_alu instid0(VALU_DEP_2) | instskip(SKIP_1) | instid1(VALU_DEP_3)
	v_add_f64 v[49:50], v[41:42], v[47:48]
	v_add_f64 v[45:46], v[47:48], -v[45:46]
	v_add_f64 v[43:44], v[43:44], -v[51:52]
	s_delay_alu instid0(VALU_DEP_3) | instskip(NEXT) | instid1(VALU_DEP_3)
	v_add_f64 v[53:54], v[49:50], -v[41:42]
	v_add_f64 v[39:40], v[39:40], -v[45:46]
	s_delay_alu instid0(VALU_DEP_2) | instskip(SKIP_1) | instid1(VALU_DEP_3)
	v_add_f64 v[55:56], v[49:50], -v[53:54]
	v_add_f64 v[45:46], v[47:48], -v[53:54]
	v_add_f64 v[47:48], v[43:44], v[39:40]
	s_delay_alu instid0(VALU_DEP_3) | instskip(NEXT) | instid1(VALU_DEP_1)
	v_add_f64 v[41:42], v[41:42], -v[55:56]
	v_add_f64 v[41:42], v[45:46], v[41:42]
	s_delay_alu instid0(VALU_DEP_3) | instskip(NEXT) | instid1(VALU_DEP_2)
	v_add_f64 v[45:46], v[47:48], -v[43:44]
	v_add_f64 v[41:42], v[47:48], v[41:42]
	s_delay_alu instid0(VALU_DEP_2) | instskip(SKIP_1) | instid1(VALU_DEP_3)
	v_add_f64 v[47:48], v[47:48], -v[45:46]
	v_add_f64 v[39:40], v[39:40], -v[45:46]
	v_add_f64 v[51:52], v[49:50], v[41:42]
	s_delay_alu instid0(VALU_DEP_3) | instskip(NEXT) | instid1(VALU_DEP_2)
	v_add_f64 v[43:44], v[43:44], -v[47:48]
	v_add_f64 v[45:46], v[51:52], -v[49:50]
	s_delay_alu instid0(VALU_DEP_2) | instskip(NEXT) | instid1(VALU_DEP_2)
	v_add_f64 v[39:40], v[39:40], v[43:44]
	v_add_f64 v[41:42], v[41:42], -v[45:46]
	s_delay_alu instid0(VALU_DEP_1) | instskip(NEXT) | instid1(VALU_DEP_1)
	v_add_f64 v[39:40], v[39:40], v[41:42]
	v_add_f64 v[39:40], v[51:52], v[39:40]
	s_delay_alu instid0(VALU_DEP_1) | instskip(NEXT) | instid1(VALU_DEP_2)
	v_cndmask_b32_e64 v39, v39, v37, s18
	v_cndmask_b32_e64 v40, v40, v38, s18
	v_cmp_ngt_f64_e64 s18, -1.0, v[37:38]
	s_delay_alu instid0(VALU_DEP_1) | instskip(SKIP_1) | instid1(VALU_DEP_1)
	v_cndmask_b32_e64 v40, 0x7ff80000, v40, s18
	v_cmp_nge_f64_e64 s18, -1.0, v[37:38]
	v_cndmask_b32_e64 v39, 0, v39, s18
	v_cmp_neq_f64_e64 s18, -1.0, v[37:38]
	s_delay_alu instid0(VALU_DEP_1) | instskip(NEXT) | instid1(VALU_DEP_1)
	v_cndmask_b32_e64 v40, 0xfff00000, v40, s18
	v_add_f64 v[69:70], v[33:34], v[39:40]
.LBB86_34:
	s_or_b32 exec_lo, exec_lo, s24
	v_max_f64 v[33:34], v[29:30], v[29:30]
	s_delay_alu instid0(VALU_DEP_2) | instskip(SKIP_2) | instid1(VALU_DEP_3)
	v_max_f64 v[37:38], v[69:70], v[69:70]
	v_cmp_u_f64_e64 s19, v[69:70], v[69:70]
	v_cmp_u_f64_e64 s18, v[29:30], v[29:30]
	v_min_f64 v[39:40], v[37:38], v[33:34]
	v_max_f64 v[37:38], v[37:38], v[33:34]
	s_delay_alu instid0(VALU_DEP_2) | instskip(NEXT) | instid1(VALU_DEP_3)
	v_cndmask_b32_e64 v39, v39, v69, s19
	v_cndmask_b32_e64 v40, v40, v70, s19
	s_delay_alu instid0(VALU_DEP_3) | instskip(NEXT) | instid1(VALU_DEP_4)
	v_cndmask_b32_e64 v38, v38, v70, s19
	v_cndmask_b32_e64 v37, v37, v69, s19
	s_delay_alu instid0(VALU_DEP_4) | instskip(NEXT) | instid1(VALU_DEP_4)
	v_cndmask_b32_e64 v39, v39, v29, s18
	v_cndmask_b32_e64 v40, v40, v30, s18
	s_delay_alu instid0(VALU_DEP_4) | instskip(NEXT) | instid1(VALU_DEP_4)
	v_cndmask_b32_e64 v38, v38, v30, s18
	v_cndmask_b32_e64 v37, v37, v29, s18
	s_delay_alu instid0(VALU_DEP_3) | instskip(NEXT) | instid1(VALU_DEP_2)
	v_cmp_class_f64_e64 s20, v[39:40], 0x1f8
	v_cmp_neq_f64_e64 s19, v[39:40], v[37:38]
	s_delay_alu instid0(VALU_DEP_1) | instskip(NEXT) | instid1(SALU_CYCLE_1)
	s_or_b32 s19, s19, s20
	s_and_saveexec_b32 s26, s19
	s_cbranch_execz .LBB86_36
; %bb.35:
	v_add_f64 v[39:40], v[39:40], -v[37:38]
	s_mov_b32 s20, 0x652b82fe
	s_mov_b32 s21, 0x3ff71547
	;; [unrolled: 1-line block ×10, first 2 shown]
	s_delay_alu instid0(VALU_DEP_1) | instskip(SKIP_3) | instid1(VALU_DEP_2)
	v_mul_f64 v[41:42], v[39:40], s[20:21]
	s_mov_b32 s20, 0xfca7ab0c
	s_mov_b32 s21, 0x3e928af3
	v_cmp_nlt_f64_e64 s19, 0x40900000, v[39:40]
	v_rndne_f64_e32 v[41:42], v[41:42]
	s_delay_alu instid0(VALU_DEP_1) | instskip(SKIP_2) | instid1(VALU_DEP_2)
	v_fma_f64 v[43:44], v[41:42], s[22:23], v[39:40]
	v_cvt_i32_f64_e32 v47, v[41:42]
	s_mov_b32 s23, 0x3fe62e42
	v_fma_f64 v[43:44], v[41:42], s[24:25], v[43:44]
	s_mov_b32 s25, 0x3c7abc9e
	s_delay_alu instid0(VALU_DEP_1) | instskip(SKIP_4) | instid1(VALU_DEP_1)
	v_fma_f64 v[45:46], v[43:44], s[28:29], s[20:21]
	s_mov_b32 s20, 0x623fde64
	s_mov_b32 s21, 0x3ec71dee
	;; [unrolled: 1-line block ×4, first 2 shown]
	v_fma_f64 v[45:46], v[43:44], v[45:46], s[20:21]
	s_mov_b32 s20, 0x7c89e6b0
	s_mov_b32 s21, 0x3efa0199
	s_delay_alu instid0(VALU_DEP_1) | instid1(SALU_CYCLE_1)
	v_fma_f64 v[45:46], v[43:44], v[45:46], s[20:21]
	s_mov_b32 s20, 0x14761f6e
	s_mov_b32 s21, 0x3f2a01a0
	s_delay_alu instid0(VALU_DEP_1) | instid1(SALU_CYCLE_1)
	;; [unrolled: 4-line block ×7, first 2 shown]
	v_fma_f64 v[45:46], v[43:44], v[45:46], s[20:21]
	v_cmp_ngt_f64_e64 s20, 0xc090cc00, v[39:40]
	s_mov_b32 s21, 0x3fe55555
	s_delay_alu instid0(VALU_DEP_2) | instskip(NEXT) | instid1(VALU_DEP_1)
	v_fma_f64 v[45:46], v[43:44], v[45:46], 1.0
	v_fma_f64 v[41:42], v[43:44], v[45:46], 1.0
	s_delay_alu instid0(VALU_DEP_1) | instskip(NEXT) | instid1(VALU_DEP_1)
	v_ldexp_f64 v[41:42], v[41:42], v47
	v_cndmask_b32_e64 v42, 0x7ff00000, v42, s19
	s_and_b32 s19, s20, s19
	s_delay_alu instid0(VALU_DEP_2) | instid1(SALU_CYCLE_1)
	v_cndmask_b32_e64 v39, 0, v41, s19
	s_delay_alu instid0(VALU_DEP_2) | instskip(SKIP_1) | instid1(VALU_DEP_1)
	v_cndmask_b32_e64 v40, 0, v42, s20
	s_mov_b32 s20, 0x55555555
	v_add_f64 v[41:42], v[39:40], 1.0
	s_delay_alu instid0(VALU_DEP_1) | instskip(SKIP_2) | instid1(VALU_DEP_3)
	v_frexp_mant_f64_e32 v[43:44], v[41:42]
	v_frexp_exp_i32_f64_e32 v47, v[41:42]
	v_add_f64 v[45:46], v[41:42], -1.0
	v_cmp_gt_f64_e64 s19, s[20:21], v[43:44]
	s_mov_b32 s20, 0x55555780
	s_delay_alu instid0(VALU_DEP_2) | instskip(SKIP_1) | instid1(VALU_DEP_3)
	v_add_f64 v[43:44], v[45:46], -v[41:42]
	v_add_f64 v[45:46], v[39:40], -v[45:46]
	v_subrev_co_ci_u32_e64 v69, s19, 0, v47, s19
	s_delay_alu instid0(VALU_DEP_3) | instskip(SKIP_1) | instid1(VALU_DEP_3)
	v_add_f64 v[43:44], v[43:44], 1.0
	v_cmp_eq_f64_e64 s19, 0x7ff00000, v[39:40]
	v_sub_nc_u32_e32 v49, 0, v69
	s_delay_alu instid0(VALU_DEP_1) | instskip(NEXT) | instid1(VALU_DEP_4)
	v_ldexp_f64 v[41:42], v[41:42], v49
	v_add_f64 v[43:44], v[45:46], v[43:44]
	s_delay_alu instid0(VALU_DEP_2) | instskip(SKIP_1) | instid1(VALU_DEP_3)
	v_add_f64 v[47:48], v[41:42], 1.0
	v_add_f64 v[53:54], v[41:42], -1.0
	v_ldexp_f64 v[43:44], v[43:44], v49
	s_delay_alu instid0(VALU_DEP_3) | instskip(NEXT) | instid1(VALU_DEP_3)
	v_add_f64 v[45:46], v[47:48], -1.0
	v_add_f64 v[55:56], v[53:54], 1.0
	s_delay_alu instid0(VALU_DEP_2) | instskip(NEXT) | instid1(VALU_DEP_2)
	v_add_f64 v[45:46], v[41:42], -v[45:46]
	v_add_f64 v[41:42], v[41:42], -v[55:56]
	s_delay_alu instid0(VALU_DEP_2) | instskip(NEXT) | instid1(VALU_DEP_2)
	v_add_f64 v[45:46], v[43:44], v[45:46]
	v_add_f64 v[41:42], v[43:44], v[41:42]
	s_delay_alu instid0(VALU_DEP_2) | instskip(NEXT) | instid1(VALU_DEP_2)
	v_add_f64 v[49:50], v[47:48], v[45:46]
	v_add_f64 v[55:56], v[53:54], v[41:42]
	s_delay_alu instid0(VALU_DEP_2) | instskip(SKIP_1) | instid1(VALU_DEP_2)
	v_rcp_f64_e32 v[51:52], v[49:50]
	v_add_f64 v[47:48], v[49:50], -v[47:48]
	v_add_f64 v[53:54], v[55:56], -v[53:54]
	s_delay_alu instid0(VALU_DEP_2) | instskip(SKIP_3) | instid1(VALU_DEP_2)
	v_add_f64 v[45:46], v[45:46], -v[47:48]
	s_waitcnt_depctr 0xfff
	v_fma_f64 v[57:58], -v[49:50], v[51:52], 1.0
	v_add_f64 v[41:42], v[41:42], -v[53:54]
	v_fma_f64 v[51:52], v[57:58], v[51:52], v[51:52]
	s_delay_alu instid0(VALU_DEP_1) | instskip(NEXT) | instid1(VALU_DEP_1)
	v_fma_f64 v[43:44], -v[49:50], v[51:52], 1.0
	v_fma_f64 v[43:44], v[43:44], v[51:52], v[51:52]
	s_delay_alu instid0(VALU_DEP_1) | instskip(NEXT) | instid1(VALU_DEP_1)
	v_mul_f64 v[51:52], v[55:56], v[43:44]
	v_mul_f64 v[57:58], v[49:50], v[51:52]
	s_delay_alu instid0(VALU_DEP_1) | instskip(NEXT) | instid1(VALU_DEP_1)
	v_fma_f64 v[47:48], v[51:52], v[49:50], -v[57:58]
	v_fma_f64 v[47:48], v[51:52], v[45:46], v[47:48]
	s_delay_alu instid0(VALU_DEP_1) | instskip(NEXT) | instid1(VALU_DEP_1)
	v_add_f64 v[59:60], v[57:58], v[47:48]
	v_add_f64 v[61:62], v[55:56], -v[59:60]
	v_add_f64 v[53:54], v[59:60], -v[57:58]
	s_delay_alu instid0(VALU_DEP_2) | instskip(NEXT) | instid1(VALU_DEP_2)
	v_add_f64 v[55:56], v[55:56], -v[61:62]
	v_add_f64 v[47:48], v[53:54], -v[47:48]
	s_delay_alu instid0(VALU_DEP_2) | instskip(NEXT) | instid1(VALU_DEP_1)
	v_add_f64 v[55:56], v[55:56], -v[59:60]
	v_add_f64 v[41:42], v[41:42], v[55:56]
	s_delay_alu instid0(VALU_DEP_1) | instskip(NEXT) | instid1(VALU_DEP_1)
	v_add_f64 v[41:42], v[47:48], v[41:42]
	v_add_f64 v[47:48], v[61:62], v[41:42]
	s_delay_alu instid0(VALU_DEP_1) | instskip(SKIP_1) | instid1(VALU_DEP_2)
	v_mul_f64 v[53:54], v[43:44], v[47:48]
	v_add_f64 v[59:60], v[61:62], -v[47:48]
	v_mul_f64 v[55:56], v[49:50], v[53:54]
	s_delay_alu instid0(VALU_DEP_2) | instskip(NEXT) | instid1(VALU_DEP_2)
	v_add_f64 v[41:42], v[41:42], v[59:60]
	v_fma_f64 v[49:50], v[53:54], v[49:50], -v[55:56]
	s_delay_alu instid0(VALU_DEP_1) | instskip(NEXT) | instid1(VALU_DEP_1)
	v_fma_f64 v[45:46], v[53:54], v[45:46], v[49:50]
	v_add_f64 v[49:50], v[55:56], v[45:46]
	s_delay_alu instid0(VALU_DEP_1) | instskip(SKIP_1) | instid1(VALU_DEP_2)
	v_add_f64 v[57:58], v[47:48], -v[49:50]
	v_add_f64 v[55:56], v[49:50], -v[55:56]
	;; [unrolled: 1-line block ×3, first 2 shown]
	s_delay_alu instid0(VALU_DEP_2) | instskip(NEXT) | instid1(VALU_DEP_2)
	v_add_f64 v[45:46], v[55:56], -v[45:46]
	v_add_f64 v[47:48], v[47:48], -v[49:50]
	s_delay_alu instid0(VALU_DEP_1) | instskip(SKIP_1) | instid1(VALU_DEP_2)
	v_add_f64 v[41:42], v[41:42], v[47:48]
	v_add_f64 v[47:48], v[51:52], v[53:54]
	v_add_f64 v[41:42], v[45:46], v[41:42]
	s_delay_alu instid0(VALU_DEP_2) | instskip(NEXT) | instid1(VALU_DEP_2)
	v_add_f64 v[45:46], v[47:48], -v[51:52]
	v_add_f64 v[41:42], v[57:58], v[41:42]
	s_delay_alu instid0(VALU_DEP_2) | instskip(NEXT) | instid1(VALU_DEP_2)
	v_add_f64 v[45:46], v[53:54], -v[45:46]
	v_mul_f64 v[41:42], v[43:44], v[41:42]
	s_delay_alu instid0(VALU_DEP_1) | instskip(NEXT) | instid1(VALU_DEP_1)
	v_add_f64 v[41:42], v[45:46], v[41:42]
	v_add_f64 v[43:44], v[47:48], v[41:42]
	s_delay_alu instid0(VALU_DEP_1) | instskip(NEXT) | instid1(VALU_DEP_1)
	v_mul_f64 v[45:46], v[43:44], v[43:44]
	v_fma_f64 v[49:50], v[45:46], s[30:31], s[28:29]
	s_mov_b32 s28, 0xd7f4df2e
	s_mov_b32 s29, 0x3fc7474d
	v_mul_f64 v[51:52], v[43:44], v[45:46]
	s_delay_alu instid0(VALU_DEP_2)
	v_fma_f64 v[49:50], v[45:46], v[49:50], s[28:29]
	s_mov_b32 s28, 0x16291751
	s_mov_b32 s29, 0x3fcc71c0
	s_delay_alu instid0(VALU_DEP_1) | instid1(SALU_CYCLE_1)
	v_fma_f64 v[49:50], v[45:46], v[49:50], s[28:29]
	s_mov_b32 s28, 0x9b27acf1
	s_mov_b32 s29, 0x3fd24924
	s_delay_alu instid0(VALU_DEP_1) | instid1(SALU_CYCLE_1)
	;; [unrolled: 4-line block ×3, first 2 shown]
	v_fma_f64 v[49:50], v[45:46], v[49:50], s[28:29]
	s_delay_alu instid0(VALU_DEP_1) | instskip(SKIP_2) | instid1(VALU_DEP_3)
	v_fma_f64 v[45:46], v[45:46], v[49:50], s[20:21]
	v_ldexp_f64 v[49:50], v[43:44], 1
	v_add_f64 v[43:44], v[43:44], -v[47:48]
	v_mul_f64 v[45:46], v[51:52], v[45:46]
	v_cvt_f64_i32_e32 v[51:52], v69
	s_delay_alu instid0(VALU_DEP_3) | instskip(NEXT) | instid1(VALU_DEP_3)
	v_add_f64 v[41:42], v[41:42], -v[43:44]
	v_add_f64 v[47:48], v[49:50], v[45:46]
	s_delay_alu instid0(VALU_DEP_3) | instskip(NEXT) | instid1(VALU_DEP_3)
	v_mul_f64 v[53:54], v[51:52], s[22:23]
	v_ldexp_f64 v[41:42], v[41:42], 1
	s_delay_alu instid0(VALU_DEP_3) | instskip(NEXT) | instid1(VALU_DEP_3)
	v_add_f64 v[43:44], v[47:48], -v[49:50]
	v_fma_f64 v[49:50], v[51:52], s[22:23], -v[53:54]
	s_delay_alu instid0(VALU_DEP_2) | instskip(NEXT) | instid1(VALU_DEP_2)
	v_add_f64 v[43:44], v[45:46], -v[43:44]
	v_fma_f64 v[45:46], v[51:52], s[24:25], v[49:50]
	s_delay_alu instid0(VALU_DEP_2) | instskip(NEXT) | instid1(VALU_DEP_2)
	v_add_f64 v[41:42], v[41:42], v[43:44]
	v_add_f64 v[43:44], v[53:54], v[45:46]
	s_delay_alu instid0(VALU_DEP_2) | instskip(NEXT) | instid1(VALU_DEP_2)
	v_add_f64 v[49:50], v[47:48], v[41:42]
	v_add_f64 v[53:54], v[43:44], -v[53:54]
	s_delay_alu instid0(VALU_DEP_2) | instskip(SKIP_1) | instid1(VALU_DEP_3)
	v_add_f64 v[51:52], v[43:44], v[49:50]
	v_add_f64 v[47:48], v[49:50], -v[47:48]
	v_add_f64 v[45:46], v[45:46], -v[53:54]
	s_delay_alu instid0(VALU_DEP_3) | instskip(NEXT) | instid1(VALU_DEP_3)
	v_add_f64 v[55:56], v[51:52], -v[43:44]
	v_add_f64 v[41:42], v[41:42], -v[47:48]
	s_delay_alu instid0(VALU_DEP_2) | instskip(SKIP_1) | instid1(VALU_DEP_3)
	v_add_f64 v[57:58], v[51:52], -v[55:56]
	v_add_f64 v[47:48], v[49:50], -v[55:56]
	v_add_f64 v[49:50], v[45:46], v[41:42]
	s_delay_alu instid0(VALU_DEP_3) | instskip(NEXT) | instid1(VALU_DEP_1)
	v_add_f64 v[43:44], v[43:44], -v[57:58]
	v_add_f64 v[43:44], v[47:48], v[43:44]
	s_delay_alu instid0(VALU_DEP_3) | instskip(NEXT) | instid1(VALU_DEP_2)
	v_add_f64 v[47:48], v[49:50], -v[45:46]
	v_add_f64 v[43:44], v[49:50], v[43:44]
	s_delay_alu instid0(VALU_DEP_2) | instskip(SKIP_1) | instid1(VALU_DEP_3)
	v_add_f64 v[49:50], v[49:50], -v[47:48]
	v_add_f64 v[41:42], v[41:42], -v[47:48]
	v_add_f64 v[53:54], v[51:52], v[43:44]
	s_delay_alu instid0(VALU_DEP_3) | instskip(NEXT) | instid1(VALU_DEP_2)
	v_add_f64 v[45:46], v[45:46], -v[49:50]
	v_add_f64 v[47:48], v[53:54], -v[51:52]
	s_delay_alu instid0(VALU_DEP_2) | instskip(NEXT) | instid1(VALU_DEP_2)
	v_add_f64 v[41:42], v[41:42], v[45:46]
	v_add_f64 v[43:44], v[43:44], -v[47:48]
	s_delay_alu instid0(VALU_DEP_1) | instskip(NEXT) | instid1(VALU_DEP_1)
	v_add_f64 v[41:42], v[41:42], v[43:44]
	v_add_f64 v[41:42], v[53:54], v[41:42]
	s_delay_alu instid0(VALU_DEP_1) | instskip(NEXT) | instid1(VALU_DEP_2)
	v_cndmask_b32_e64 v41, v41, v39, s19
	v_cndmask_b32_e64 v42, v42, v40, s19
	v_cmp_ngt_f64_e64 s19, -1.0, v[39:40]
	s_delay_alu instid0(VALU_DEP_1) | instskip(SKIP_1) | instid1(VALU_DEP_1)
	v_cndmask_b32_e64 v42, 0x7ff80000, v42, s19
	v_cmp_nge_f64_e64 s19, -1.0, v[39:40]
	v_cndmask_b32_e64 v41, 0, v41, s19
	v_cmp_neq_f64_e64 s19, -1.0, v[39:40]
	s_delay_alu instid0(VALU_DEP_1) | instskip(NEXT) | instid1(VALU_DEP_1)
	v_cndmask_b32_e64 v42, 0xfff00000, v42, s19
	v_add_f64 v[69:70], v[37:38], v[41:42]
.LBB86_36:
	s_or_b32 exec_lo, exec_lo, s26
	v_max_f64 v[37:38], v[31:32], v[31:32]
	s_delay_alu instid0(VALU_DEP_2) | instskip(SKIP_2) | instid1(VALU_DEP_3)
	v_max_f64 v[39:40], v[69:70], v[69:70]
	v_cmp_u_f64_e64 s20, v[69:70], v[69:70]
	v_cmp_u_f64_e64 s19, v[31:32], v[31:32]
	v_min_f64 v[41:42], v[39:40], v[37:38]
	v_max_f64 v[39:40], v[39:40], v[37:38]
	s_delay_alu instid0(VALU_DEP_2) | instskip(NEXT) | instid1(VALU_DEP_3)
	v_cndmask_b32_e64 v41, v41, v69, s20
	v_cndmask_b32_e64 v42, v42, v70, s20
	s_delay_alu instid0(VALU_DEP_3) | instskip(NEXT) | instid1(VALU_DEP_4)
	v_cndmask_b32_e64 v40, v40, v70, s20
	v_cndmask_b32_e64 v39, v39, v69, s20
	s_delay_alu instid0(VALU_DEP_4) | instskip(NEXT) | instid1(VALU_DEP_4)
	v_cndmask_b32_e64 v41, v41, v31, s19
	v_cndmask_b32_e64 v42, v42, v32, s19
	s_delay_alu instid0(VALU_DEP_4) | instskip(NEXT) | instid1(VALU_DEP_4)
	v_cndmask_b32_e64 v40, v40, v32, s19
	v_cndmask_b32_e64 v39, v39, v31, s19
	s_delay_alu instid0(VALU_DEP_3) | instskip(NEXT) | instid1(VALU_DEP_2)
	v_cmp_class_f64_e64 s21, v[41:42], 0x1f8
	v_cmp_neq_f64_e64 s20, v[41:42], v[39:40]
	s_delay_alu instid0(VALU_DEP_1) | instskip(NEXT) | instid1(SALU_CYCLE_1)
	s_or_b32 s20, s20, s21
	s_and_saveexec_b32 s26, s20
	s_cbranch_execz .LBB86_38
; %bb.37:
	v_add_f64 v[41:42], v[41:42], -v[39:40]
	s_mov_b32 s20, 0x652b82fe
	s_mov_b32 s21, 0x3ff71547
	;; [unrolled: 1-line block ×10, first 2 shown]
	s_delay_alu instid0(VALU_DEP_1) | instskip(SKIP_2) | instid1(VALU_DEP_1)
	v_mul_f64 v[43:44], v[41:42], s[20:21]
	s_mov_b32 s20, 0xfca7ab0c
	s_mov_b32 s21, 0x3e928af3
	v_rndne_f64_e32 v[43:44], v[43:44]
	s_delay_alu instid0(VALU_DEP_1) | instskip(SKIP_2) | instid1(VALU_DEP_2)
	v_fma_f64 v[45:46], v[43:44], s[22:23], v[41:42]
	v_cvt_i32_f64_e32 v49, v[43:44]
	s_mov_b32 s23, 0x3fe62e42
	v_fma_f64 v[45:46], v[43:44], s[24:25], v[45:46]
	s_mov_b32 s25, 0x3c7abc9e
	s_delay_alu instid0(VALU_DEP_1) | instskip(SKIP_4) | instid1(VALU_DEP_1)
	v_fma_f64 v[47:48], v[45:46], s[28:29], s[20:21]
	s_mov_b32 s20, 0x623fde64
	s_mov_b32 s21, 0x3ec71dee
	;; [unrolled: 1-line block ×4, first 2 shown]
	v_fma_f64 v[47:48], v[45:46], v[47:48], s[20:21]
	s_mov_b32 s20, 0x7c89e6b0
	s_mov_b32 s21, 0x3efa0199
	s_delay_alu instid0(VALU_DEP_1) | instid1(SALU_CYCLE_1)
	v_fma_f64 v[47:48], v[45:46], v[47:48], s[20:21]
	s_mov_b32 s20, 0x14761f6e
	s_mov_b32 s21, 0x3f2a01a0
	s_delay_alu instid0(VALU_DEP_1) | instid1(SALU_CYCLE_1)
	;; [unrolled: 4-line block ×7, first 2 shown]
	v_fma_f64 v[47:48], v[45:46], v[47:48], s[20:21]
	v_cmp_nlt_f64_e64 s20, 0x40900000, v[41:42]
	v_cmp_ngt_f64_e64 s21, 0xc090cc00, v[41:42]
	s_delay_alu instid0(VALU_DEP_3) | instskip(NEXT) | instid1(VALU_DEP_1)
	v_fma_f64 v[47:48], v[45:46], v[47:48], 1.0
	v_fma_f64 v[43:44], v[45:46], v[47:48], 1.0
	s_delay_alu instid0(VALU_DEP_1) | instskip(NEXT) | instid1(VALU_DEP_1)
	v_ldexp_f64 v[43:44], v[43:44], v49
	v_cndmask_b32_e64 v44, 0x7ff00000, v44, s20
	s_and_b32 s20, s21, s20
	s_delay_alu instid0(VALU_DEP_2) | instid1(SALU_CYCLE_1)
	v_cndmask_b32_e64 v41, 0, v43, s20
	s_mov_b32 s20, 0x55555555
	s_delay_alu instid0(VALU_DEP_2) | instskip(SKIP_1) | instid1(VALU_DEP_1)
	v_cndmask_b32_e64 v42, 0, v44, s21
	s_mov_b32 s21, 0x3fe55555
	v_add_f64 v[43:44], v[41:42], 1.0
	s_delay_alu instid0(VALU_DEP_1) | instskip(SKIP_2) | instid1(VALU_DEP_3)
	v_frexp_mant_f64_e32 v[45:46], v[43:44]
	v_frexp_exp_i32_f64_e32 v49, v[43:44]
	v_add_f64 v[47:48], v[43:44], -1.0
	v_cmp_gt_f64_e64 s20, s[20:21], v[45:46]
	s_delay_alu instid0(VALU_DEP_2) | instskip(SKIP_1) | instid1(VALU_DEP_3)
	v_add_f64 v[45:46], v[47:48], -v[43:44]
	v_add_f64 v[47:48], v[41:42], -v[47:48]
	v_subrev_co_ci_u32_e64 v71, s20, 0, v49, s20
	s_delay_alu instid0(VALU_DEP_3) | instskip(SKIP_1) | instid1(VALU_DEP_2)
	v_add_f64 v[45:46], v[45:46], 1.0
	s_mov_b32 s20, 0x55555780
	v_sub_nc_u32_e32 v51, 0, v71
	s_delay_alu instid0(VALU_DEP_1) | instskip(NEXT) | instid1(VALU_DEP_3)
	v_ldexp_f64 v[43:44], v[43:44], v51
	v_add_f64 v[45:46], v[47:48], v[45:46]
	s_delay_alu instid0(VALU_DEP_2) | instskip(SKIP_1) | instid1(VALU_DEP_3)
	v_add_f64 v[49:50], v[43:44], 1.0
	v_add_f64 v[55:56], v[43:44], -1.0
	v_ldexp_f64 v[45:46], v[45:46], v51
	s_delay_alu instid0(VALU_DEP_3) | instskip(NEXT) | instid1(VALU_DEP_3)
	v_add_f64 v[47:48], v[49:50], -1.0
	v_add_f64 v[57:58], v[55:56], 1.0
	s_delay_alu instid0(VALU_DEP_2) | instskip(NEXT) | instid1(VALU_DEP_2)
	v_add_f64 v[47:48], v[43:44], -v[47:48]
	v_add_f64 v[43:44], v[43:44], -v[57:58]
	s_delay_alu instid0(VALU_DEP_2) | instskip(NEXT) | instid1(VALU_DEP_2)
	v_add_f64 v[47:48], v[45:46], v[47:48]
	v_add_f64 v[43:44], v[45:46], v[43:44]
	s_delay_alu instid0(VALU_DEP_2) | instskip(NEXT) | instid1(VALU_DEP_2)
	v_add_f64 v[51:52], v[49:50], v[47:48]
	v_add_f64 v[57:58], v[55:56], v[43:44]
	s_delay_alu instid0(VALU_DEP_2) | instskip(SKIP_1) | instid1(VALU_DEP_2)
	v_rcp_f64_e32 v[53:54], v[51:52]
	v_add_f64 v[49:50], v[51:52], -v[49:50]
	v_add_f64 v[55:56], v[57:58], -v[55:56]
	s_delay_alu instid0(VALU_DEP_2) | instskip(SKIP_3) | instid1(VALU_DEP_2)
	v_add_f64 v[47:48], v[47:48], -v[49:50]
	s_waitcnt_depctr 0xfff
	v_fma_f64 v[59:60], -v[51:52], v[53:54], 1.0
	v_add_f64 v[43:44], v[43:44], -v[55:56]
	v_fma_f64 v[53:54], v[59:60], v[53:54], v[53:54]
	s_delay_alu instid0(VALU_DEP_1) | instskip(NEXT) | instid1(VALU_DEP_1)
	v_fma_f64 v[45:46], -v[51:52], v[53:54], 1.0
	v_fma_f64 v[45:46], v[45:46], v[53:54], v[53:54]
	s_delay_alu instid0(VALU_DEP_1) | instskip(NEXT) | instid1(VALU_DEP_1)
	v_mul_f64 v[53:54], v[57:58], v[45:46]
	v_mul_f64 v[59:60], v[51:52], v[53:54]
	s_delay_alu instid0(VALU_DEP_1) | instskip(NEXT) | instid1(VALU_DEP_1)
	v_fma_f64 v[49:50], v[53:54], v[51:52], -v[59:60]
	v_fma_f64 v[49:50], v[53:54], v[47:48], v[49:50]
	s_delay_alu instid0(VALU_DEP_1) | instskip(NEXT) | instid1(VALU_DEP_1)
	v_add_f64 v[61:62], v[59:60], v[49:50]
	v_add_f64 v[69:70], v[57:58], -v[61:62]
	v_add_f64 v[55:56], v[61:62], -v[59:60]
	s_delay_alu instid0(VALU_DEP_2) | instskip(NEXT) | instid1(VALU_DEP_2)
	v_add_f64 v[57:58], v[57:58], -v[69:70]
	v_add_f64 v[49:50], v[55:56], -v[49:50]
	s_delay_alu instid0(VALU_DEP_2) | instskip(NEXT) | instid1(VALU_DEP_1)
	v_add_f64 v[57:58], v[57:58], -v[61:62]
	v_add_f64 v[43:44], v[43:44], v[57:58]
	s_delay_alu instid0(VALU_DEP_1) | instskip(NEXT) | instid1(VALU_DEP_1)
	v_add_f64 v[43:44], v[49:50], v[43:44]
	v_add_f64 v[49:50], v[69:70], v[43:44]
	s_delay_alu instid0(VALU_DEP_1) | instskip(SKIP_1) | instid1(VALU_DEP_2)
	v_mul_f64 v[55:56], v[45:46], v[49:50]
	v_add_f64 v[61:62], v[69:70], -v[49:50]
	v_mul_f64 v[57:58], v[51:52], v[55:56]
	s_delay_alu instid0(VALU_DEP_2) | instskip(NEXT) | instid1(VALU_DEP_2)
	v_add_f64 v[43:44], v[43:44], v[61:62]
	v_fma_f64 v[51:52], v[55:56], v[51:52], -v[57:58]
	s_delay_alu instid0(VALU_DEP_1) | instskip(NEXT) | instid1(VALU_DEP_1)
	v_fma_f64 v[47:48], v[55:56], v[47:48], v[51:52]
	v_add_f64 v[51:52], v[57:58], v[47:48]
	s_delay_alu instid0(VALU_DEP_1) | instskip(SKIP_1) | instid1(VALU_DEP_2)
	v_add_f64 v[59:60], v[49:50], -v[51:52]
	v_add_f64 v[57:58], v[51:52], -v[57:58]
	;; [unrolled: 1-line block ×3, first 2 shown]
	s_delay_alu instid0(VALU_DEP_2) | instskip(NEXT) | instid1(VALU_DEP_2)
	v_add_f64 v[47:48], v[57:58], -v[47:48]
	v_add_f64 v[49:50], v[49:50], -v[51:52]
	s_delay_alu instid0(VALU_DEP_1) | instskip(SKIP_1) | instid1(VALU_DEP_2)
	v_add_f64 v[43:44], v[43:44], v[49:50]
	v_add_f64 v[49:50], v[53:54], v[55:56]
	;; [unrolled: 1-line block ×3, first 2 shown]
	s_delay_alu instid0(VALU_DEP_2) | instskip(NEXT) | instid1(VALU_DEP_2)
	v_add_f64 v[47:48], v[49:50], -v[53:54]
	v_add_f64 v[43:44], v[59:60], v[43:44]
	s_delay_alu instid0(VALU_DEP_2) | instskip(NEXT) | instid1(VALU_DEP_2)
	v_add_f64 v[47:48], v[55:56], -v[47:48]
	v_mul_f64 v[43:44], v[45:46], v[43:44]
	s_delay_alu instid0(VALU_DEP_1) | instskip(NEXT) | instid1(VALU_DEP_1)
	v_add_f64 v[43:44], v[47:48], v[43:44]
	v_add_f64 v[45:46], v[49:50], v[43:44]
	s_delay_alu instid0(VALU_DEP_1) | instskip(NEXT) | instid1(VALU_DEP_1)
	v_mul_f64 v[47:48], v[45:46], v[45:46]
	v_fma_f64 v[51:52], v[47:48], s[30:31], s[28:29]
	s_mov_b32 s28, 0xd7f4df2e
	s_mov_b32 s29, 0x3fc7474d
	v_mul_f64 v[53:54], v[45:46], v[47:48]
	s_delay_alu instid0(VALU_DEP_2)
	v_fma_f64 v[51:52], v[47:48], v[51:52], s[28:29]
	s_mov_b32 s28, 0x16291751
	s_mov_b32 s29, 0x3fcc71c0
	s_delay_alu instid0(VALU_DEP_1) | instid1(SALU_CYCLE_1)
	v_fma_f64 v[51:52], v[47:48], v[51:52], s[28:29]
	s_mov_b32 s28, 0x9b27acf1
	s_mov_b32 s29, 0x3fd24924
	s_delay_alu instid0(VALU_DEP_1) | instid1(SALU_CYCLE_1)
	;; [unrolled: 4-line block ×3, first 2 shown]
	v_fma_f64 v[51:52], v[47:48], v[51:52], s[28:29]
	s_delay_alu instid0(VALU_DEP_1) | instskip(SKIP_3) | instid1(VALU_DEP_4)
	v_fma_f64 v[47:48], v[47:48], v[51:52], s[20:21]
	v_ldexp_f64 v[51:52], v[45:46], 1
	v_add_f64 v[45:46], v[45:46], -v[49:50]
	v_cmp_eq_f64_e64 s20, 0x7ff00000, v[41:42]
	v_mul_f64 v[47:48], v[53:54], v[47:48]
	v_cvt_f64_i32_e32 v[53:54], v71
	s_delay_alu instid0(VALU_DEP_4) | instskip(NEXT) | instid1(VALU_DEP_3)
	v_add_f64 v[43:44], v[43:44], -v[45:46]
	v_add_f64 v[49:50], v[51:52], v[47:48]
	s_delay_alu instid0(VALU_DEP_3) | instskip(NEXT) | instid1(VALU_DEP_3)
	v_mul_f64 v[55:56], v[53:54], s[22:23]
	v_ldexp_f64 v[43:44], v[43:44], 1
	s_delay_alu instid0(VALU_DEP_3) | instskip(NEXT) | instid1(VALU_DEP_3)
	v_add_f64 v[45:46], v[49:50], -v[51:52]
	v_fma_f64 v[51:52], v[53:54], s[22:23], -v[55:56]
	s_delay_alu instid0(VALU_DEP_2) | instskip(NEXT) | instid1(VALU_DEP_2)
	v_add_f64 v[45:46], v[47:48], -v[45:46]
	v_fma_f64 v[47:48], v[53:54], s[24:25], v[51:52]
	s_delay_alu instid0(VALU_DEP_2) | instskip(NEXT) | instid1(VALU_DEP_2)
	v_add_f64 v[43:44], v[43:44], v[45:46]
	v_add_f64 v[45:46], v[55:56], v[47:48]
	s_delay_alu instid0(VALU_DEP_2) | instskip(NEXT) | instid1(VALU_DEP_2)
	v_add_f64 v[51:52], v[49:50], v[43:44]
	v_add_f64 v[55:56], v[45:46], -v[55:56]
	s_delay_alu instid0(VALU_DEP_2) | instskip(SKIP_1) | instid1(VALU_DEP_3)
	v_add_f64 v[53:54], v[45:46], v[51:52]
	v_add_f64 v[49:50], v[51:52], -v[49:50]
	v_add_f64 v[47:48], v[47:48], -v[55:56]
	s_delay_alu instid0(VALU_DEP_3) | instskip(NEXT) | instid1(VALU_DEP_3)
	v_add_f64 v[57:58], v[53:54], -v[45:46]
	v_add_f64 v[43:44], v[43:44], -v[49:50]
	s_delay_alu instid0(VALU_DEP_2) | instskip(SKIP_1) | instid1(VALU_DEP_3)
	v_add_f64 v[59:60], v[53:54], -v[57:58]
	v_add_f64 v[49:50], v[51:52], -v[57:58]
	v_add_f64 v[51:52], v[47:48], v[43:44]
	s_delay_alu instid0(VALU_DEP_3) | instskip(NEXT) | instid1(VALU_DEP_1)
	v_add_f64 v[45:46], v[45:46], -v[59:60]
	v_add_f64 v[45:46], v[49:50], v[45:46]
	s_delay_alu instid0(VALU_DEP_3) | instskip(NEXT) | instid1(VALU_DEP_2)
	v_add_f64 v[49:50], v[51:52], -v[47:48]
	v_add_f64 v[45:46], v[51:52], v[45:46]
	s_delay_alu instid0(VALU_DEP_2) | instskip(SKIP_1) | instid1(VALU_DEP_3)
	v_add_f64 v[51:52], v[51:52], -v[49:50]
	v_add_f64 v[43:44], v[43:44], -v[49:50]
	v_add_f64 v[55:56], v[53:54], v[45:46]
	s_delay_alu instid0(VALU_DEP_3) | instskip(NEXT) | instid1(VALU_DEP_2)
	v_add_f64 v[47:48], v[47:48], -v[51:52]
	v_add_f64 v[49:50], v[55:56], -v[53:54]
	s_delay_alu instid0(VALU_DEP_2) | instskip(NEXT) | instid1(VALU_DEP_2)
	v_add_f64 v[43:44], v[43:44], v[47:48]
	v_add_f64 v[45:46], v[45:46], -v[49:50]
	s_delay_alu instid0(VALU_DEP_1) | instskip(NEXT) | instid1(VALU_DEP_1)
	v_add_f64 v[43:44], v[43:44], v[45:46]
	v_add_f64 v[43:44], v[55:56], v[43:44]
	s_delay_alu instid0(VALU_DEP_1) | instskip(NEXT) | instid1(VALU_DEP_2)
	v_cndmask_b32_e64 v43, v43, v41, s20
	v_cndmask_b32_e64 v44, v44, v42, s20
	v_cmp_ngt_f64_e64 s20, -1.0, v[41:42]
	s_delay_alu instid0(VALU_DEP_1) | instskip(SKIP_1) | instid1(VALU_DEP_1)
	v_cndmask_b32_e64 v44, 0x7ff80000, v44, s20
	v_cmp_nge_f64_e64 s20, -1.0, v[41:42]
	v_cndmask_b32_e64 v43, 0, v43, s20
	v_cmp_neq_f64_e64 s20, -1.0, v[41:42]
	s_delay_alu instid0(VALU_DEP_1) | instskip(NEXT) | instid1(VALU_DEP_1)
	v_cndmask_b32_e64 v44, 0xfff00000, v44, s20
	v_add_f64 v[69:70], v[39:40], v[43:44]
.LBB86_38:
	s_or_b32 exec_lo, exec_lo, s26
	v_max_f64 v[39:40], v[25:26], v[25:26]
	s_delay_alu instid0(VALU_DEP_2) | instskip(SKIP_2) | instid1(VALU_DEP_3)
	v_max_f64 v[41:42], v[69:70], v[69:70]
	v_cmp_u_f64_e64 s21, v[69:70], v[69:70]
	v_cmp_u_f64_e64 s20, v[25:26], v[25:26]
	v_min_f64 v[43:44], v[41:42], v[39:40]
	v_max_f64 v[41:42], v[41:42], v[39:40]
	s_delay_alu instid0(VALU_DEP_2) | instskip(NEXT) | instid1(VALU_DEP_3)
	v_cndmask_b32_e64 v43, v43, v69, s21
	v_cndmask_b32_e64 v44, v44, v70, s21
	s_delay_alu instid0(VALU_DEP_3) | instskip(NEXT) | instid1(VALU_DEP_4)
	v_cndmask_b32_e64 v42, v42, v70, s21
	v_cndmask_b32_e64 v41, v41, v69, s21
	s_delay_alu instid0(VALU_DEP_4) | instskip(NEXT) | instid1(VALU_DEP_4)
	v_cndmask_b32_e64 v43, v43, v25, s20
	v_cndmask_b32_e64 v44, v44, v26, s20
	s_delay_alu instid0(VALU_DEP_4) | instskip(NEXT) | instid1(VALU_DEP_4)
	v_cndmask_b32_e64 v42, v42, v26, s20
	v_cndmask_b32_e64 v41, v41, v25, s20
	s_delay_alu instid0(VALU_DEP_3) | instskip(NEXT) | instid1(VALU_DEP_2)
	v_cmp_class_f64_e64 s22, v[43:44], 0x1f8
	v_cmp_neq_f64_e64 s21, v[43:44], v[41:42]
	s_delay_alu instid0(VALU_DEP_1) | instskip(NEXT) | instid1(SALU_CYCLE_1)
	s_or_b32 s21, s21, s22
	s_and_saveexec_b32 s28, s21
	s_cbranch_execz .LBB86_40
; %bb.39:
	v_add_f64 v[43:44], v[43:44], -v[41:42]
	s_mov_b32 s22, 0x652b82fe
	s_mov_b32 s23, 0x3ff71547
	;; [unrolled: 1-line block ×10, first 2 shown]
	s_delay_alu instid0(VALU_DEP_1) | instskip(SKIP_3) | instid1(VALU_DEP_2)
	v_mul_f64 v[45:46], v[43:44], s[22:23]
	s_mov_b32 s22, 0xfca7ab0c
	s_mov_b32 s23, 0x3e928af3
	v_cmp_nlt_f64_e64 s21, 0x40900000, v[43:44]
	v_rndne_f64_e32 v[45:46], v[45:46]
	s_delay_alu instid0(VALU_DEP_1) | instskip(SKIP_2) | instid1(VALU_DEP_2)
	v_fma_f64 v[47:48], v[45:46], s[24:25], v[43:44]
	v_cvt_i32_f64_e32 v51, v[45:46]
	s_mov_b32 s25, 0x3fe62e42
	v_fma_f64 v[47:48], v[45:46], s[26:27], v[47:48]
	s_mov_b32 s27, 0x3c7abc9e
	s_delay_alu instid0(VALU_DEP_1) | instskip(SKIP_4) | instid1(VALU_DEP_1)
	v_fma_f64 v[49:50], v[47:48], s[30:31], s[22:23]
	s_mov_b32 s22, 0x623fde64
	s_mov_b32 s23, 0x3ec71dee
	;; [unrolled: 1-line block ×4, first 2 shown]
	v_fma_f64 v[49:50], v[47:48], v[49:50], s[22:23]
	s_mov_b32 s22, 0x7c89e6b0
	s_mov_b32 s23, 0x3efa0199
	s_delay_alu instid0(VALU_DEP_1) | instid1(SALU_CYCLE_1)
	v_fma_f64 v[49:50], v[47:48], v[49:50], s[22:23]
	s_mov_b32 s22, 0x14761f6e
	s_mov_b32 s23, 0x3f2a01a0
	s_delay_alu instid0(VALU_DEP_1) | instid1(SALU_CYCLE_1)
	;; [unrolled: 4-line block ×7, first 2 shown]
	v_fma_f64 v[49:50], v[47:48], v[49:50], s[22:23]
	v_cmp_ngt_f64_e64 s22, 0xc090cc00, v[43:44]
	s_mov_b32 s23, 0x3fe55555
	s_delay_alu instid0(VALU_DEP_2) | instskip(NEXT) | instid1(VALU_DEP_1)
	v_fma_f64 v[49:50], v[47:48], v[49:50], 1.0
	v_fma_f64 v[45:46], v[47:48], v[49:50], 1.0
	s_delay_alu instid0(VALU_DEP_1) | instskip(NEXT) | instid1(VALU_DEP_1)
	v_ldexp_f64 v[45:46], v[45:46], v51
	v_cndmask_b32_e64 v46, 0x7ff00000, v46, s21
	s_and_b32 s21, s22, s21
	s_delay_alu instid0(VALU_DEP_2) | instid1(SALU_CYCLE_1)
	v_cndmask_b32_e64 v43, 0, v45, s21
	s_delay_alu instid0(VALU_DEP_2) | instskip(SKIP_1) | instid1(VALU_DEP_1)
	v_cndmask_b32_e64 v44, 0, v46, s22
	s_mov_b32 s22, 0x55555555
	v_add_f64 v[45:46], v[43:44], 1.0
	s_delay_alu instid0(VALU_DEP_1) | instskip(SKIP_2) | instid1(VALU_DEP_3)
	v_frexp_mant_f64_e32 v[47:48], v[45:46]
	v_frexp_exp_i32_f64_e32 v51, v[45:46]
	v_add_f64 v[49:50], v[45:46], -1.0
	v_cmp_gt_f64_e64 s21, s[22:23], v[47:48]
	s_mov_b32 s22, 0x55555780
	s_delay_alu instid0(VALU_DEP_2) | instskip(SKIP_1) | instid1(VALU_DEP_3)
	v_add_f64 v[47:48], v[49:50], -v[45:46]
	v_add_f64 v[49:50], v[43:44], -v[49:50]
	v_subrev_co_ci_u32_e64 v73, s21, 0, v51, s21
	s_delay_alu instid0(VALU_DEP_3) | instskip(SKIP_1) | instid1(VALU_DEP_3)
	v_add_f64 v[47:48], v[47:48], 1.0
	v_cmp_eq_f64_e64 s21, 0x7ff00000, v[43:44]
	v_sub_nc_u32_e32 v53, 0, v73
	s_delay_alu instid0(VALU_DEP_1) | instskip(NEXT) | instid1(VALU_DEP_4)
	v_ldexp_f64 v[45:46], v[45:46], v53
	v_add_f64 v[47:48], v[49:50], v[47:48]
	s_delay_alu instid0(VALU_DEP_2) | instskip(SKIP_1) | instid1(VALU_DEP_3)
	v_add_f64 v[51:52], v[45:46], 1.0
	v_add_f64 v[57:58], v[45:46], -1.0
	v_ldexp_f64 v[47:48], v[47:48], v53
	s_delay_alu instid0(VALU_DEP_3) | instskip(NEXT) | instid1(VALU_DEP_3)
	v_add_f64 v[49:50], v[51:52], -1.0
	v_add_f64 v[59:60], v[57:58], 1.0
	s_delay_alu instid0(VALU_DEP_2) | instskip(NEXT) | instid1(VALU_DEP_2)
	v_add_f64 v[49:50], v[45:46], -v[49:50]
	v_add_f64 v[45:46], v[45:46], -v[59:60]
	s_delay_alu instid0(VALU_DEP_2) | instskip(NEXT) | instid1(VALU_DEP_2)
	v_add_f64 v[49:50], v[47:48], v[49:50]
	v_add_f64 v[45:46], v[47:48], v[45:46]
	s_delay_alu instid0(VALU_DEP_2) | instskip(NEXT) | instid1(VALU_DEP_2)
	v_add_f64 v[53:54], v[51:52], v[49:50]
	v_add_f64 v[59:60], v[57:58], v[45:46]
	s_delay_alu instid0(VALU_DEP_2) | instskip(SKIP_1) | instid1(VALU_DEP_2)
	v_rcp_f64_e32 v[55:56], v[53:54]
	v_add_f64 v[51:52], v[53:54], -v[51:52]
	v_add_f64 v[57:58], v[59:60], -v[57:58]
	s_delay_alu instid0(VALU_DEP_2) | instskip(SKIP_3) | instid1(VALU_DEP_2)
	v_add_f64 v[49:50], v[49:50], -v[51:52]
	s_waitcnt_depctr 0xfff
	v_fma_f64 v[61:62], -v[53:54], v[55:56], 1.0
	v_add_f64 v[45:46], v[45:46], -v[57:58]
	v_fma_f64 v[55:56], v[61:62], v[55:56], v[55:56]
	s_delay_alu instid0(VALU_DEP_1) | instskip(NEXT) | instid1(VALU_DEP_1)
	v_fma_f64 v[47:48], -v[53:54], v[55:56], 1.0
	v_fma_f64 v[47:48], v[47:48], v[55:56], v[55:56]
	s_delay_alu instid0(VALU_DEP_1) | instskip(NEXT) | instid1(VALU_DEP_1)
	v_mul_f64 v[55:56], v[59:60], v[47:48]
	v_mul_f64 v[61:62], v[53:54], v[55:56]
	s_delay_alu instid0(VALU_DEP_1) | instskip(NEXT) | instid1(VALU_DEP_1)
	v_fma_f64 v[51:52], v[55:56], v[53:54], -v[61:62]
	v_fma_f64 v[51:52], v[55:56], v[49:50], v[51:52]
	s_delay_alu instid0(VALU_DEP_1) | instskip(NEXT) | instid1(VALU_DEP_1)
	v_add_f64 v[69:70], v[61:62], v[51:52]
	v_add_f64 v[71:72], v[59:60], -v[69:70]
	v_add_f64 v[57:58], v[69:70], -v[61:62]
	s_delay_alu instid0(VALU_DEP_2) | instskip(NEXT) | instid1(VALU_DEP_2)
	v_add_f64 v[59:60], v[59:60], -v[71:72]
	v_add_f64 v[51:52], v[57:58], -v[51:52]
	s_delay_alu instid0(VALU_DEP_2) | instskip(NEXT) | instid1(VALU_DEP_1)
	v_add_f64 v[59:60], v[59:60], -v[69:70]
	v_add_f64 v[45:46], v[45:46], v[59:60]
	s_delay_alu instid0(VALU_DEP_1) | instskip(NEXT) | instid1(VALU_DEP_1)
	v_add_f64 v[45:46], v[51:52], v[45:46]
	v_add_f64 v[51:52], v[71:72], v[45:46]
	s_delay_alu instid0(VALU_DEP_1) | instskip(SKIP_1) | instid1(VALU_DEP_2)
	v_mul_f64 v[57:58], v[47:48], v[51:52]
	v_add_f64 v[69:70], v[71:72], -v[51:52]
	v_mul_f64 v[59:60], v[53:54], v[57:58]
	s_delay_alu instid0(VALU_DEP_2) | instskip(NEXT) | instid1(VALU_DEP_2)
	v_add_f64 v[45:46], v[45:46], v[69:70]
	v_fma_f64 v[53:54], v[57:58], v[53:54], -v[59:60]
	s_delay_alu instid0(VALU_DEP_1) | instskip(NEXT) | instid1(VALU_DEP_1)
	v_fma_f64 v[49:50], v[57:58], v[49:50], v[53:54]
	v_add_f64 v[53:54], v[59:60], v[49:50]
	s_delay_alu instid0(VALU_DEP_1) | instskip(SKIP_1) | instid1(VALU_DEP_2)
	v_add_f64 v[61:62], v[51:52], -v[53:54]
	v_add_f64 v[59:60], v[53:54], -v[59:60]
	;; [unrolled: 1-line block ×3, first 2 shown]
	s_delay_alu instid0(VALU_DEP_2) | instskip(NEXT) | instid1(VALU_DEP_2)
	v_add_f64 v[49:50], v[59:60], -v[49:50]
	v_add_f64 v[51:52], v[51:52], -v[53:54]
	s_delay_alu instid0(VALU_DEP_1) | instskip(SKIP_1) | instid1(VALU_DEP_2)
	v_add_f64 v[45:46], v[45:46], v[51:52]
	v_add_f64 v[51:52], v[55:56], v[57:58]
	;; [unrolled: 1-line block ×3, first 2 shown]
	s_delay_alu instid0(VALU_DEP_2) | instskip(NEXT) | instid1(VALU_DEP_2)
	v_add_f64 v[49:50], v[51:52], -v[55:56]
	v_add_f64 v[45:46], v[61:62], v[45:46]
	s_delay_alu instid0(VALU_DEP_2) | instskip(NEXT) | instid1(VALU_DEP_2)
	v_add_f64 v[49:50], v[57:58], -v[49:50]
	v_mul_f64 v[45:46], v[47:48], v[45:46]
	s_delay_alu instid0(VALU_DEP_1) | instskip(NEXT) | instid1(VALU_DEP_1)
	v_add_f64 v[45:46], v[49:50], v[45:46]
	v_add_f64 v[47:48], v[51:52], v[45:46]
	s_delay_alu instid0(VALU_DEP_1) | instskip(NEXT) | instid1(VALU_DEP_1)
	v_mul_f64 v[49:50], v[47:48], v[47:48]
	v_fma_f64 v[53:54], v[49:50], s[34:35], s[30:31]
	s_mov_b32 s30, 0xd7f4df2e
	s_mov_b32 s31, 0x3fc7474d
	v_mul_f64 v[55:56], v[47:48], v[49:50]
	s_delay_alu instid0(VALU_DEP_2)
	v_fma_f64 v[53:54], v[49:50], v[53:54], s[30:31]
	s_mov_b32 s30, 0x16291751
	s_mov_b32 s31, 0x3fcc71c0
	s_delay_alu instid0(VALU_DEP_1) | instid1(SALU_CYCLE_1)
	v_fma_f64 v[53:54], v[49:50], v[53:54], s[30:31]
	s_mov_b32 s30, 0x9b27acf1
	s_mov_b32 s31, 0x3fd24924
	s_delay_alu instid0(VALU_DEP_1) | instid1(SALU_CYCLE_1)
	;; [unrolled: 4-line block ×3, first 2 shown]
	v_fma_f64 v[53:54], v[49:50], v[53:54], s[30:31]
	s_delay_alu instid0(VALU_DEP_1) | instskip(SKIP_2) | instid1(VALU_DEP_3)
	v_fma_f64 v[49:50], v[49:50], v[53:54], s[22:23]
	v_ldexp_f64 v[53:54], v[47:48], 1
	v_add_f64 v[47:48], v[47:48], -v[51:52]
	v_mul_f64 v[49:50], v[55:56], v[49:50]
	v_cvt_f64_i32_e32 v[55:56], v73
	s_delay_alu instid0(VALU_DEP_3) | instskip(NEXT) | instid1(VALU_DEP_3)
	v_add_f64 v[45:46], v[45:46], -v[47:48]
	v_add_f64 v[51:52], v[53:54], v[49:50]
	s_delay_alu instid0(VALU_DEP_3) | instskip(NEXT) | instid1(VALU_DEP_3)
	v_mul_f64 v[57:58], v[55:56], s[24:25]
	v_ldexp_f64 v[45:46], v[45:46], 1
	s_delay_alu instid0(VALU_DEP_3) | instskip(NEXT) | instid1(VALU_DEP_3)
	v_add_f64 v[47:48], v[51:52], -v[53:54]
	v_fma_f64 v[53:54], v[55:56], s[24:25], -v[57:58]
	s_delay_alu instid0(VALU_DEP_2) | instskip(NEXT) | instid1(VALU_DEP_2)
	v_add_f64 v[47:48], v[49:50], -v[47:48]
	v_fma_f64 v[49:50], v[55:56], s[26:27], v[53:54]
	s_delay_alu instid0(VALU_DEP_2) | instskip(NEXT) | instid1(VALU_DEP_2)
	v_add_f64 v[45:46], v[45:46], v[47:48]
	v_add_f64 v[47:48], v[57:58], v[49:50]
	s_delay_alu instid0(VALU_DEP_2) | instskip(NEXT) | instid1(VALU_DEP_2)
	v_add_f64 v[53:54], v[51:52], v[45:46]
	v_add_f64 v[57:58], v[47:48], -v[57:58]
	s_delay_alu instid0(VALU_DEP_2) | instskip(SKIP_1) | instid1(VALU_DEP_3)
	v_add_f64 v[55:56], v[47:48], v[53:54]
	v_add_f64 v[51:52], v[53:54], -v[51:52]
	v_add_f64 v[49:50], v[49:50], -v[57:58]
	s_delay_alu instid0(VALU_DEP_3) | instskip(NEXT) | instid1(VALU_DEP_3)
	v_add_f64 v[59:60], v[55:56], -v[47:48]
	v_add_f64 v[45:46], v[45:46], -v[51:52]
	s_delay_alu instid0(VALU_DEP_2) | instskip(SKIP_1) | instid1(VALU_DEP_3)
	v_add_f64 v[61:62], v[55:56], -v[59:60]
	v_add_f64 v[51:52], v[53:54], -v[59:60]
	v_add_f64 v[53:54], v[49:50], v[45:46]
	s_delay_alu instid0(VALU_DEP_3) | instskip(NEXT) | instid1(VALU_DEP_1)
	v_add_f64 v[47:48], v[47:48], -v[61:62]
	v_add_f64 v[47:48], v[51:52], v[47:48]
	s_delay_alu instid0(VALU_DEP_3) | instskip(NEXT) | instid1(VALU_DEP_2)
	v_add_f64 v[51:52], v[53:54], -v[49:50]
	v_add_f64 v[47:48], v[53:54], v[47:48]
	s_delay_alu instid0(VALU_DEP_2) | instskip(SKIP_1) | instid1(VALU_DEP_3)
	v_add_f64 v[53:54], v[53:54], -v[51:52]
	v_add_f64 v[45:46], v[45:46], -v[51:52]
	v_add_f64 v[57:58], v[55:56], v[47:48]
	s_delay_alu instid0(VALU_DEP_3) | instskip(NEXT) | instid1(VALU_DEP_2)
	v_add_f64 v[49:50], v[49:50], -v[53:54]
	v_add_f64 v[51:52], v[57:58], -v[55:56]
	s_delay_alu instid0(VALU_DEP_2) | instskip(NEXT) | instid1(VALU_DEP_2)
	v_add_f64 v[45:46], v[45:46], v[49:50]
	v_add_f64 v[47:48], v[47:48], -v[51:52]
	s_delay_alu instid0(VALU_DEP_1) | instskip(NEXT) | instid1(VALU_DEP_1)
	v_add_f64 v[45:46], v[45:46], v[47:48]
	v_add_f64 v[45:46], v[57:58], v[45:46]
	s_delay_alu instid0(VALU_DEP_1) | instskip(NEXT) | instid1(VALU_DEP_2)
	v_cndmask_b32_e64 v45, v45, v43, s21
	v_cndmask_b32_e64 v46, v46, v44, s21
	v_cmp_ngt_f64_e64 s21, -1.0, v[43:44]
	s_delay_alu instid0(VALU_DEP_1) | instskip(SKIP_1) | instid1(VALU_DEP_1)
	v_cndmask_b32_e64 v46, 0x7ff80000, v46, s21
	v_cmp_nge_f64_e64 s21, -1.0, v[43:44]
	v_cndmask_b32_e64 v45, 0, v45, s21
	v_cmp_neq_f64_e64 s21, -1.0, v[43:44]
	s_delay_alu instid0(VALU_DEP_1) | instskip(NEXT) | instid1(VALU_DEP_1)
	v_cndmask_b32_e64 v46, 0xfff00000, v46, s21
	v_add_f64 v[69:70], v[41:42], v[45:46]
.LBB86_40:
	s_or_b32 exec_lo, exec_lo, s28
	v_max_f64 v[41:42], v[27:28], v[27:28]
	s_delay_alu instid0(VALU_DEP_2) | instskip(SKIP_2) | instid1(VALU_DEP_3)
	v_max_f64 v[43:44], v[69:70], v[69:70]
	v_cmp_u_f64_e64 s22, v[69:70], v[69:70]
	v_cmp_u_f64_e64 s21, v[27:28], v[27:28]
	v_min_f64 v[45:46], v[43:44], v[41:42]
	v_max_f64 v[43:44], v[43:44], v[41:42]
	s_delay_alu instid0(VALU_DEP_2) | instskip(NEXT) | instid1(VALU_DEP_3)
	v_cndmask_b32_e64 v45, v45, v69, s22
	v_cndmask_b32_e64 v46, v46, v70, s22
	s_delay_alu instid0(VALU_DEP_3) | instskip(NEXT) | instid1(VALU_DEP_4)
	v_cndmask_b32_e64 v44, v44, v70, s22
	v_cndmask_b32_e64 v43, v43, v69, s22
	s_delay_alu instid0(VALU_DEP_4) | instskip(NEXT) | instid1(VALU_DEP_4)
	v_cndmask_b32_e64 v45, v45, v27, s21
	v_cndmask_b32_e64 v46, v46, v28, s21
	s_delay_alu instid0(VALU_DEP_4) | instskip(NEXT) | instid1(VALU_DEP_4)
	v_cndmask_b32_e64 v44, v44, v28, s21
	v_cndmask_b32_e64 v43, v43, v27, s21
	s_delay_alu instid0(VALU_DEP_3) | instskip(NEXT) | instid1(VALU_DEP_2)
	v_cmp_class_f64_e64 s23, v[45:46], 0x1f8
	v_cmp_neq_f64_e64 s22, v[45:46], v[43:44]
	s_delay_alu instid0(VALU_DEP_1) | instskip(NEXT) | instid1(SALU_CYCLE_1)
	s_or_b32 s22, s22, s23
	s_and_saveexec_b32 s28, s22
	s_cbranch_execz .LBB86_42
; %bb.41:
	v_add_f64 v[45:46], v[45:46], -v[43:44]
	s_mov_b32 s22, 0x652b82fe
	s_mov_b32 s23, 0x3ff71547
	;; [unrolled: 1-line block ×10, first 2 shown]
	s_delay_alu instid0(VALU_DEP_1) | instskip(SKIP_2) | instid1(VALU_DEP_1)
	v_mul_f64 v[47:48], v[45:46], s[22:23]
	s_mov_b32 s22, 0xfca7ab0c
	s_mov_b32 s23, 0x3e928af3
	v_rndne_f64_e32 v[47:48], v[47:48]
	s_delay_alu instid0(VALU_DEP_1) | instskip(SKIP_2) | instid1(VALU_DEP_2)
	v_fma_f64 v[49:50], v[47:48], s[24:25], v[45:46]
	v_cvt_i32_f64_e32 v53, v[47:48]
	s_mov_b32 s25, 0x3fe62e42
	v_fma_f64 v[49:50], v[47:48], s[26:27], v[49:50]
	s_mov_b32 s27, 0x3c7abc9e
	s_delay_alu instid0(VALU_DEP_1) | instskip(SKIP_4) | instid1(VALU_DEP_1)
	v_fma_f64 v[51:52], v[49:50], s[30:31], s[22:23]
	s_mov_b32 s22, 0x623fde64
	s_mov_b32 s23, 0x3ec71dee
	;; [unrolled: 1-line block ×4, first 2 shown]
	v_fma_f64 v[51:52], v[49:50], v[51:52], s[22:23]
	s_mov_b32 s22, 0x7c89e6b0
	s_mov_b32 s23, 0x3efa0199
	s_delay_alu instid0(VALU_DEP_1) | instid1(SALU_CYCLE_1)
	v_fma_f64 v[51:52], v[49:50], v[51:52], s[22:23]
	s_mov_b32 s22, 0x14761f6e
	s_mov_b32 s23, 0x3f2a01a0
	s_delay_alu instid0(VALU_DEP_1) | instid1(SALU_CYCLE_1)
	;; [unrolled: 4-line block ×7, first 2 shown]
	v_fma_f64 v[51:52], v[49:50], v[51:52], s[22:23]
	v_cmp_nlt_f64_e64 s22, 0x40900000, v[45:46]
	v_cmp_ngt_f64_e64 s23, 0xc090cc00, v[45:46]
	s_delay_alu instid0(VALU_DEP_3) | instskip(NEXT) | instid1(VALU_DEP_1)
	v_fma_f64 v[51:52], v[49:50], v[51:52], 1.0
	v_fma_f64 v[47:48], v[49:50], v[51:52], 1.0
	s_delay_alu instid0(VALU_DEP_1) | instskip(NEXT) | instid1(VALU_DEP_1)
	v_ldexp_f64 v[47:48], v[47:48], v53
	v_cndmask_b32_e64 v48, 0x7ff00000, v48, s22
	s_and_b32 s22, s23, s22
	s_delay_alu instid0(VALU_DEP_2) | instid1(SALU_CYCLE_1)
	v_cndmask_b32_e64 v45, 0, v47, s22
	s_mov_b32 s22, 0x55555555
	s_delay_alu instid0(VALU_DEP_2) | instskip(SKIP_1) | instid1(VALU_DEP_1)
	v_cndmask_b32_e64 v46, 0, v48, s23
	s_mov_b32 s23, 0x3fe55555
	v_add_f64 v[47:48], v[45:46], 1.0
	s_delay_alu instid0(VALU_DEP_1) | instskip(SKIP_2) | instid1(VALU_DEP_3)
	v_frexp_mant_f64_e32 v[49:50], v[47:48]
	v_frexp_exp_i32_f64_e32 v53, v[47:48]
	v_add_f64 v[51:52], v[47:48], -1.0
	v_cmp_gt_f64_e64 s22, s[22:23], v[49:50]
	s_delay_alu instid0(VALU_DEP_2) | instskip(SKIP_1) | instid1(VALU_DEP_3)
	v_add_f64 v[49:50], v[51:52], -v[47:48]
	v_add_f64 v[51:52], v[45:46], -v[51:52]
	v_subrev_co_ci_u32_e64 v75, s22, 0, v53, s22
	s_delay_alu instid0(VALU_DEP_3) | instskip(SKIP_1) | instid1(VALU_DEP_2)
	v_add_f64 v[49:50], v[49:50], 1.0
	s_mov_b32 s22, 0x55555780
	v_sub_nc_u32_e32 v55, 0, v75
	s_delay_alu instid0(VALU_DEP_1) | instskip(NEXT) | instid1(VALU_DEP_3)
	v_ldexp_f64 v[47:48], v[47:48], v55
	v_add_f64 v[49:50], v[51:52], v[49:50]
	s_delay_alu instid0(VALU_DEP_2) | instskip(SKIP_1) | instid1(VALU_DEP_3)
	v_add_f64 v[53:54], v[47:48], 1.0
	v_add_f64 v[59:60], v[47:48], -1.0
	v_ldexp_f64 v[49:50], v[49:50], v55
	s_delay_alu instid0(VALU_DEP_3) | instskip(NEXT) | instid1(VALU_DEP_3)
	v_add_f64 v[51:52], v[53:54], -1.0
	v_add_f64 v[61:62], v[59:60], 1.0
	s_delay_alu instid0(VALU_DEP_2) | instskip(NEXT) | instid1(VALU_DEP_2)
	v_add_f64 v[51:52], v[47:48], -v[51:52]
	v_add_f64 v[47:48], v[47:48], -v[61:62]
	s_delay_alu instid0(VALU_DEP_2) | instskip(NEXT) | instid1(VALU_DEP_2)
	v_add_f64 v[51:52], v[49:50], v[51:52]
	v_add_f64 v[47:48], v[49:50], v[47:48]
	s_delay_alu instid0(VALU_DEP_2) | instskip(NEXT) | instid1(VALU_DEP_2)
	v_add_f64 v[55:56], v[53:54], v[51:52]
	v_add_f64 v[61:62], v[59:60], v[47:48]
	s_delay_alu instid0(VALU_DEP_2) | instskip(SKIP_1) | instid1(VALU_DEP_2)
	v_rcp_f64_e32 v[57:58], v[55:56]
	v_add_f64 v[53:54], v[55:56], -v[53:54]
	v_add_f64 v[59:60], v[61:62], -v[59:60]
	s_delay_alu instid0(VALU_DEP_2) | instskip(SKIP_3) | instid1(VALU_DEP_2)
	v_add_f64 v[51:52], v[51:52], -v[53:54]
	s_waitcnt_depctr 0xfff
	v_fma_f64 v[69:70], -v[55:56], v[57:58], 1.0
	v_add_f64 v[47:48], v[47:48], -v[59:60]
	v_fma_f64 v[57:58], v[69:70], v[57:58], v[57:58]
	s_delay_alu instid0(VALU_DEP_1) | instskip(NEXT) | instid1(VALU_DEP_1)
	v_fma_f64 v[49:50], -v[55:56], v[57:58], 1.0
	v_fma_f64 v[49:50], v[49:50], v[57:58], v[57:58]
	s_delay_alu instid0(VALU_DEP_1) | instskip(NEXT) | instid1(VALU_DEP_1)
	v_mul_f64 v[57:58], v[61:62], v[49:50]
	v_mul_f64 v[69:70], v[55:56], v[57:58]
	s_delay_alu instid0(VALU_DEP_1) | instskip(NEXT) | instid1(VALU_DEP_1)
	v_fma_f64 v[53:54], v[57:58], v[55:56], -v[69:70]
	v_fma_f64 v[53:54], v[57:58], v[51:52], v[53:54]
	s_delay_alu instid0(VALU_DEP_1) | instskip(NEXT) | instid1(VALU_DEP_1)
	v_add_f64 v[71:72], v[69:70], v[53:54]
	v_add_f64 v[73:74], v[61:62], -v[71:72]
	v_add_f64 v[59:60], v[71:72], -v[69:70]
	s_delay_alu instid0(VALU_DEP_2) | instskip(NEXT) | instid1(VALU_DEP_2)
	v_add_f64 v[61:62], v[61:62], -v[73:74]
	v_add_f64 v[53:54], v[59:60], -v[53:54]
	s_delay_alu instid0(VALU_DEP_2) | instskip(NEXT) | instid1(VALU_DEP_1)
	v_add_f64 v[61:62], v[61:62], -v[71:72]
	v_add_f64 v[47:48], v[47:48], v[61:62]
	s_delay_alu instid0(VALU_DEP_1) | instskip(NEXT) | instid1(VALU_DEP_1)
	v_add_f64 v[47:48], v[53:54], v[47:48]
	v_add_f64 v[53:54], v[73:74], v[47:48]
	s_delay_alu instid0(VALU_DEP_1) | instskip(SKIP_1) | instid1(VALU_DEP_2)
	v_mul_f64 v[59:60], v[49:50], v[53:54]
	v_add_f64 v[71:72], v[73:74], -v[53:54]
	v_mul_f64 v[61:62], v[55:56], v[59:60]
	s_delay_alu instid0(VALU_DEP_2) | instskip(NEXT) | instid1(VALU_DEP_2)
	v_add_f64 v[47:48], v[47:48], v[71:72]
	v_fma_f64 v[55:56], v[59:60], v[55:56], -v[61:62]
	s_delay_alu instid0(VALU_DEP_1) | instskip(NEXT) | instid1(VALU_DEP_1)
	v_fma_f64 v[51:52], v[59:60], v[51:52], v[55:56]
	v_add_f64 v[55:56], v[61:62], v[51:52]
	s_delay_alu instid0(VALU_DEP_1) | instskip(SKIP_1) | instid1(VALU_DEP_2)
	v_add_f64 v[69:70], v[53:54], -v[55:56]
	v_add_f64 v[61:62], v[55:56], -v[61:62]
	;; [unrolled: 1-line block ×3, first 2 shown]
	s_delay_alu instid0(VALU_DEP_2) | instskip(NEXT) | instid1(VALU_DEP_2)
	v_add_f64 v[51:52], v[61:62], -v[51:52]
	v_add_f64 v[53:54], v[53:54], -v[55:56]
	s_delay_alu instid0(VALU_DEP_1) | instskip(SKIP_1) | instid1(VALU_DEP_2)
	v_add_f64 v[47:48], v[47:48], v[53:54]
	v_add_f64 v[53:54], v[57:58], v[59:60]
	;; [unrolled: 1-line block ×3, first 2 shown]
	s_delay_alu instid0(VALU_DEP_2) | instskip(NEXT) | instid1(VALU_DEP_2)
	v_add_f64 v[51:52], v[53:54], -v[57:58]
	v_add_f64 v[47:48], v[69:70], v[47:48]
	s_delay_alu instid0(VALU_DEP_2) | instskip(NEXT) | instid1(VALU_DEP_2)
	v_add_f64 v[51:52], v[59:60], -v[51:52]
	v_mul_f64 v[47:48], v[49:50], v[47:48]
	s_delay_alu instid0(VALU_DEP_1) | instskip(NEXT) | instid1(VALU_DEP_1)
	v_add_f64 v[47:48], v[51:52], v[47:48]
	v_add_f64 v[49:50], v[53:54], v[47:48]
	s_delay_alu instid0(VALU_DEP_1) | instskip(NEXT) | instid1(VALU_DEP_1)
	v_mul_f64 v[51:52], v[49:50], v[49:50]
	v_fma_f64 v[55:56], v[51:52], s[34:35], s[30:31]
	s_mov_b32 s30, 0xd7f4df2e
	s_mov_b32 s31, 0x3fc7474d
	v_mul_f64 v[57:58], v[49:50], v[51:52]
	s_delay_alu instid0(VALU_DEP_2)
	v_fma_f64 v[55:56], v[51:52], v[55:56], s[30:31]
	s_mov_b32 s30, 0x16291751
	s_mov_b32 s31, 0x3fcc71c0
	s_delay_alu instid0(VALU_DEP_1) | instid1(SALU_CYCLE_1)
	v_fma_f64 v[55:56], v[51:52], v[55:56], s[30:31]
	s_mov_b32 s30, 0x9b27acf1
	s_mov_b32 s31, 0x3fd24924
	s_delay_alu instid0(VALU_DEP_1) | instid1(SALU_CYCLE_1)
	;; [unrolled: 4-line block ×3, first 2 shown]
	v_fma_f64 v[55:56], v[51:52], v[55:56], s[30:31]
	s_delay_alu instid0(VALU_DEP_1) | instskip(SKIP_3) | instid1(VALU_DEP_4)
	v_fma_f64 v[51:52], v[51:52], v[55:56], s[22:23]
	v_ldexp_f64 v[55:56], v[49:50], 1
	v_add_f64 v[49:50], v[49:50], -v[53:54]
	v_cmp_eq_f64_e64 s22, 0x7ff00000, v[45:46]
	v_mul_f64 v[51:52], v[57:58], v[51:52]
	v_cvt_f64_i32_e32 v[57:58], v75
	s_delay_alu instid0(VALU_DEP_4) | instskip(NEXT) | instid1(VALU_DEP_3)
	v_add_f64 v[47:48], v[47:48], -v[49:50]
	v_add_f64 v[53:54], v[55:56], v[51:52]
	s_delay_alu instid0(VALU_DEP_3) | instskip(NEXT) | instid1(VALU_DEP_3)
	v_mul_f64 v[59:60], v[57:58], s[24:25]
	v_ldexp_f64 v[47:48], v[47:48], 1
	s_delay_alu instid0(VALU_DEP_3) | instskip(NEXT) | instid1(VALU_DEP_3)
	v_add_f64 v[49:50], v[53:54], -v[55:56]
	v_fma_f64 v[55:56], v[57:58], s[24:25], -v[59:60]
	s_delay_alu instid0(VALU_DEP_2) | instskip(NEXT) | instid1(VALU_DEP_2)
	v_add_f64 v[49:50], v[51:52], -v[49:50]
	v_fma_f64 v[51:52], v[57:58], s[26:27], v[55:56]
	s_delay_alu instid0(VALU_DEP_2) | instskip(NEXT) | instid1(VALU_DEP_2)
	v_add_f64 v[47:48], v[47:48], v[49:50]
	v_add_f64 v[49:50], v[59:60], v[51:52]
	s_delay_alu instid0(VALU_DEP_2) | instskip(NEXT) | instid1(VALU_DEP_2)
	v_add_f64 v[55:56], v[53:54], v[47:48]
	v_add_f64 v[59:60], v[49:50], -v[59:60]
	s_delay_alu instid0(VALU_DEP_2) | instskip(SKIP_1) | instid1(VALU_DEP_3)
	v_add_f64 v[57:58], v[49:50], v[55:56]
	v_add_f64 v[53:54], v[55:56], -v[53:54]
	v_add_f64 v[51:52], v[51:52], -v[59:60]
	s_delay_alu instid0(VALU_DEP_3) | instskip(NEXT) | instid1(VALU_DEP_3)
	v_add_f64 v[61:62], v[57:58], -v[49:50]
	v_add_f64 v[47:48], v[47:48], -v[53:54]
	s_delay_alu instid0(VALU_DEP_2) | instskip(SKIP_1) | instid1(VALU_DEP_3)
	v_add_f64 v[69:70], v[57:58], -v[61:62]
	v_add_f64 v[53:54], v[55:56], -v[61:62]
	v_add_f64 v[55:56], v[51:52], v[47:48]
	s_delay_alu instid0(VALU_DEP_3) | instskip(NEXT) | instid1(VALU_DEP_1)
	v_add_f64 v[49:50], v[49:50], -v[69:70]
	v_add_f64 v[49:50], v[53:54], v[49:50]
	s_delay_alu instid0(VALU_DEP_3) | instskip(NEXT) | instid1(VALU_DEP_2)
	v_add_f64 v[53:54], v[55:56], -v[51:52]
	v_add_f64 v[49:50], v[55:56], v[49:50]
	s_delay_alu instid0(VALU_DEP_2) | instskip(SKIP_1) | instid1(VALU_DEP_3)
	v_add_f64 v[55:56], v[55:56], -v[53:54]
	v_add_f64 v[47:48], v[47:48], -v[53:54]
	v_add_f64 v[59:60], v[57:58], v[49:50]
	s_delay_alu instid0(VALU_DEP_3) | instskip(NEXT) | instid1(VALU_DEP_2)
	v_add_f64 v[51:52], v[51:52], -v[55:56]
	v_add_f64 v[53:54], v[59:60], -v[57:58]
	s_delay_alu instid0(VALU_DEP_2) | instskip(NEXT) | instid1(VALU_DEP_2)
	v_add_f64 v[47:48], v[47:48], v[51:52]
	v_add_f64 v[49:50], v[49:50], -v[53:54]
	s_delay_alu instid0(VALU_DEP_1) | instskip(NEXT) | instid1(VALU_DEP_1)
	v_add_f64 v[47:48], v[47:48], v[49:50]
	v_add_f64 v[47:48], v[59:60], v[47:48]
	s_delay_alu instid0(VALU_DEP_1) | instskip(NEXT) | instid1(VALU_DEP_2)
	v_cndmask_b32_e64 v47, v47, v45, s22
	v_cndmask_b32_e64 v48, v48, v46, s22
	v_cmp_ngt_f64_e64 s22, -1.0, v[45:46]
	s_delay_alu instid0(VALU_DEP_1) | instskip(SKIP_1) | instid1(VALU_DEP_1)
	v_cndmask_b32_e64 v48, 0x7ff80000, v48, s22
	v_cmp_nge_f64_e64 s22, -1.0, v[45:46]
	v_cndmask_b32_e64 v47, 0, v47, s22
	v_cmp_neq_f64_e64 s22, -1.0, v[45:46]
	s_delay_alu instid0(VALU_DEP_1) | instskip(NEXT) | instid1(VALU_DEP_1)
	v_cndmask_b32_e64 v48, 0xfff00000, v48, s22
	v_add_f64 v[69:70], v[43:44], v[47:48]
.LBB86_42:
	s_or_b32 exec_lo, exec_lo, s28
	v_max_f64 v[43:44], v[21:22], v[21:22]
	s_delay_alu instid0(VALU_DEP_2) | instskip(SKIP_2) | instid1(VALU_DEP_3)
	v_max_f64 v[45:46], v[69:70], v[69:70]
	v_cmp_u_f64_e64 s23, v[69:70], v[69:70]
	v_cmp_u_f64_e64 s22, v[21:22], v[21:22]
	v_min_f64 v[47:48], v[45:46], v[43:44]
	v_max_f64 v[45:46], v[45:46], v[43:44]
	s_delay_alu instid0(VALU_DEP_2) | instskip(NEXT) | instid1(VALU_DEP_3)
	v_cndmask_b32_e64 v47, v47, v69, s23
	v_cndmask_b32_e64 v48, v48, v70, s23
	s_delay_alu instid0(VALU_DEP_3) | instskip(NEXT) | instid1(VALU_DEP_4)
	v_cndmask_b32_e64 v46, v46, v70, s23
	v_cndmask_b32_e64 v45, v45, v69, s23
	s_delay_alu instid0(VALU_DEP_4) | instskip(NEXT) | instid1(VALU_DEP_4)
	v_cndmask_b32_e64 v47, v47, v21, s22
	v_cndmask_b32_e64 v48, v48, v22, s22
	s_delay_alu instid0(VALU_DEP_4) | instskip(NEXT) | instid1(VALU_DEP_4)
	v_cndmask_b32_e64 v46, v46, v22, s22
	v_cndmask_b32_e64 v45, v45, v21, s22
	s_delay_alu instid0(VALU_DEP_3) | instskip(NEXT) | instid1(VALU_DEP_2)
	v_cmp_class_f64_e64 s24, v[47:48], 0x1f8
	v_cmp_neq_f64_e64 s23, v[47:48], v[45:46]
	s_delay_alu instid0(VALU_DEP_1) | instskip(NEXT) | instid1(SALU_CYCLE_1)
	s_or_b32 s23, s23, s24
	s_and_saveexec_b32 s30, s23
	s_cbranch_execz .LBB86_44
; %bb.43:
	v_add_f64 v[47:48], v[47:48], -v[45:46]
	s_mov_b32 s24, 0x652b82fe
	s_mov_b32 s25, 0x3ff71547
	;; [unrolled: 1-line block ×10, first 2 shown]
	s_delay_alu instid0(VALU_DEP_1) | instskip(SKIP_3) | instid1(VALU_DEP_2)
	v_mul_f64 v[49:50], v[47:48], s[24:25]
	s_mov_b32 s24, 0xfca7ab0c
	s_mov_b32 s25, 0x3e928af3
	v_cmp_nlt_f64_e64 s23, 0x40900000, v[47:48]
	v_rndne_f64_e32 v[49:50], v[49:50]
	s_delay_alu instid0(VALU_DEP_1) | instskip(SKIP_2) | instid1(VALU_DEP_2)
	v_fma_f64 v[51:52], v[49:50], s[26:27], v[47:48]
	v_cvt_i32_f64_e32 v55, v[49:50]
	s_mov_b32 s27, 0x3fe62e42
	v_fma_f64 v[51:52], v[49:50], s[28:29], v[51:52]
	s_mov_b32 s29, 0x3c7abc9e
	s_delay_alu instid0(VALU_DEP_1) | instskip(SKIP_4) | instid1(VALU_DEP_1)
	v_fma_f64 v[53:54], v[51:52], s[34:35], s[24:25]
	s_mov_b32 s24, 0x623fde64
	s_mov_b32 s25, 0x3ec71dee
	;; [unrolled: 1-line block ×4, first 2 shown]
	v_fma_f64 v[53:54], v[51:52], v[53:54], s[24:25]
	s_mov_b32 s24, 0x7c89e6b0
	s_mov_b32 s25, 0x3efa0199
	s_delay_alu instid0(VALU_DEP_1) | instid1(SALU_CYCLE_1)
	v_fma_f64 v[53:54], v[51:52], v[53:54], s[24:25]
	s_mov_b32 s24, 0x14761f6e
	s_mov_b32 s25, 0x3f2a01a0
	s_delay_alu instid0(VALU_DEP_1) | instid1(SALU_CYCLE_1)
	;; [unrolled: 4-line block ×7, first 2 shown]
	v_fma_f64 v[53:54], v[51:52], v[53:54], s[24:25]
	v_cmp_ngt_f64_e64 s24, 0xc090cc00, v[47:48]
	s_mov_b32 s25, 0x3fe55555
	s_delay_alu instid0(VALU_DEP_2) | instskip(NEXT) | instid1(VALU_DEP_1)
	v_fma_f64 v[53:54], v[51:52], v[53:54], 1.0
	v_fma_f64 v[49:50], v[51:52], v[53:54], 1.0
	s_delay_alu instid0(VALU_DEP_1) | instskip(NEXT) | instid1(VALU_DEP_1)
	v_ldexp_f64 v[49:50], v[49:50], v55
	v_cndmask_b32_e64 v50, 0x7ff00000, v50, s23
	s_and_b32 s23, s24, s23
	s_delay_alu instid0(VALU_DEP_2) | instid1(SALU_CYCLE_1)
	v_cndmask_b32_e64 v47, 0, v49, s23
	s_delay_alu instid0(VALU_DEP_2) | instskip(SKIP_1) | instid1(VALU_DEP_1)
	v_cndmask_b32_e64 v48, 0, v50, s24
	s_mov_b32 s24, 0x55555555
	v_add_f64 v[49:50], v[47:48], 1.0
	s_delay_alu instid0(VALU_DEP_1) | instskip(SKIP_2) | instid1(VALU_DEP_3)
	v_frexp_mant_f64_e32 v[51:52], v[49:50]
	v_frexp_exp_i32_f64_e32 v55, v[49:50]
	v_add_f64 v[53:54], v[49:50], -1.0
	v_cmp_gt_f64_e64 s23, s[24:25], v[51:52]
	s_mov_b32 s24, 0x55555780
	s_delay_alu instid0(VALU_DEP_2) | instskip(SKIP_1) | instid1(VALU_DEP_3)
	v_add_f64 v[51:52], v[53:54], -v[49:50]
	v_add_f64 v[53:54], v[47:48], -v[53:54]
	v_subrev_co_ci_u32_e64 v96, s23, 0, v55, s23
	s_delay_alu instid0(VALU_DEP_3) | instskip(SKIP_1) | instid1(VALU_DEP_3)
	v_add_f64 v[51:52], v[51:52], 1.0
	v_cmp_eq_f64_e64 s23, 0x7ff00000, v[47:48]
	v_sub_nc_u32_e32 v57, 0, v96
	s_delay_alu instid0(VALU_DEP_1) | instskip(NEXT) | instid1(VALU_DEP_4)
	v_ldexp_f64 v[49:50], v[49:50], v57
	v_add_f64 v[51:52], v[53:54], v[51:52]
	s_delay_alu instid0(VALU_DEP_2) | instskip(SKIP_1) | instid1(VALU_DEP_3)
	v_add_f64 v[55:56], v[49:50], 1.0
	v_add_f64 v[61:62], v[49:50], -1.0
	v_ldexp_f64 v[51:52], v[51:52], v57
	s_delay_alu instid0(VALU_DEP_3) | instskip(NEXT) | instid1(VALU_DEP_3)
	v_add_f64 v[53:54], v[55:56], -1.0
	v_add_f64 v[69:70], v[61:62], 1.0
	s_delay_alu instid0(VALU_DEP_2) | instskip(NEXT) | instid1(VALU_DEP_2)
	v_add_f64 v[53:54], v[49:50], -v[53:54]
	v_add_f64 v[49:50], v[49:50], -v[69:70]
	s_delay_alu instid0(VALU_DEP_2) | instskip(NEXT) | instid1(VALU_DEP_2)
	v_add_f64 v[53:54], v[51:52], v[53:54]
	v_add_f64 v[49:50], v[51:52], v[49:50]
	s_delay_alu instid0(VALU_DEP_2) | instskip(NEXT) | instid1(VALU_DEP_2)
	v_add_f64 v[57:58], v[55:56], v[53:54]
	v_add_f64 v[69:70], v[61:62], v[49:50]
	s_delay_alu instid0(VALU_DEP_2) | instskip(SKIP_1) | instid1(VALU_DEP_2)
	v_rcp_f64_e32 v[59:60], v[57:58]
	v_add_f64 v[55:56], v[57:58], -v[55:56]
	v_add_f64 v[61:62], v[69:70], -v[61:62]
	s_delay_alu instid0(VALU_DEP_2) | instskip(SKIP_3) | instid1(VALU_DEP_2)
	v_add_f64 v[53:54], v[53:54], -v[55:56]
	s_waitcnt_depctr 0xfff
	v_fma_f64 v[71:72], -v[57:58], v[59:60], 1.0
	v_add_f64 v[49:50], v[49:50], -v[61:62]
	v_fma_f64 v[59:60], v[71:72], v[59:60], v[59:60]
	s_delay_alu instid0(VALU_DEP_1) | instskip(NEXT) | instid1(VALU_DEP_1)
	v_fma_f64 v[51:52], -v[57:58], v[59:60], 1.0
	v_fma_f64 v[51:52], v[51:52], v[59:60], v[59:60]
	s_delay_alu instid0(VALU_DEP_1) | instskip(NEXT) | instid1(VALU_DEP_1)
	v_mul_f64 v[59:60], v[69:70], v[51:52]
	v_mul_f64 v[71:72], v[57:58], v[59:60]
	s_delay_alu instid0(VALU_DEP_1) | instskip(NEXT) | instid1(VALU_DEP_1)
	v_fma_f64 v[55:56], v[59:60], v[57:58], -v[71:72]
	v_fma_f64 v[55:56], v[59:60], v[53:54], v[55:56]
	s_delay_alu instid0(VALU_DEP_1) | instskip(NEXT) | instid1(VALU_DEP_1)
	v_add_f64 v[73:74], v[71:72], v[55:56]
	v_add_f64 v[75:76], v[69:70], -v[73:74]
	v_add_f64 v[61:62], v[73:74], -v[71:72]
	s_delay_alu instid0(VALU_DEP_2) | instskip(NEXT) | instid1(VALU_DEP_2)
	v_add_f64 v[69:70], v[69:70], -v[75:76]
	v_add_f64 v[55:56], v[61:62], -v[55:56]
	s_delay_alu instid0(VALU_DEP_2) | instskip(NEXT) | instid1(VALU_DEP_1)
	v_add_f64 v[69:70], v[69:70], -v[73:74]
	v_add_f64 v[49:50], v[49:50], v[69:70]
	s_delay_alu instid0(VALU_DEP_1) | instskip(NEXT) | instid1(VALU_DEP_1)
	v_add_f64 v[49:50], v[55:56], v[49:50]
	v_add_f64 v[55:56], v[75:76], v[49:50]
	s_delay_alu instid0(VALU_DEP_1) | instskip(SKIP_1) | instid1(VALU_DEP_2)
	v_mul_f64 v[61:62], v[51:52], v[55:56]
	v_add_f64 v[73:74], v[75:76], -v[55:56]
	v_mul_f64 v[69:70], v[57:58], v[61:62]
	s_delay_alu instid0(VALU_DEP_2) | instskip(NEXT) | instid1(VALU_DEP_2)
	v_add_f64 v[49:50], v[49:50], v[73:74]
	v_fma_f64 v[57:58], v[61:62], v[57:58], -v[69:70]
	s_delay_alu instid0(VALU_DEP_1) | instskip(NEXT) | instid1(VALU_DEP_1)
	v_fma_f64 v[53:54], v[61:62], v[53:54], v[57:58]
	v_add_f64 v[57:58], v[69:70], v[53:54]
	s_delay_alu instid0(VALU_DEP_1) | instskip(SKIP_1) | instid1(VALU_DEP_2)
	v_add_f64 v[71:72], v[55:56], -v[57:58]
	v_add_f64 v[69:70], v[57:58], -v[69:70]
	;; [unrolled: 1-line block ×3, first 2 shown]
	s_delay_alu instid0(VALU_DEP_2) | instskip(NEXT) | instid1(VALU_DEP_2)
	v_add_f64 v[53:54], v[69:70], -v[53:54]
	v_add_f64 v[55:56], v[55:56], -v[57:58]
	s_delay_alu instid0(VALU_DEP_1) | instskip(SKIP_1) | instid1(VALU_DEP_2)
	v_add_f64 v[49:50], v[49:50], v[55:56]
	v_add_f64 v[55:56], v[59:60], v[61:62]
	;; [unrolled: 1-line block ×3, first 2 shown]
	s_delay_alu instid0(VALU_DEP_2) | instskip(NEXT) | instid1(VALU_DEP_2)
	v_add_f64 v[53:54], v[55:56], -v[59:60]
	v_add_f64 v[49:50], v[71:72], v[49:50]
	s_delay_alu instid0(VALU_DEP_2) | instskip(NEXT) | instid1(VALU_DEP_2)
	v_add_f64 v[53:54], v[61:62], -v[53:54]
	v_mul_f64 v[49:50], v[51:52], v[49:50]
	s_delay_alu instid0(VALU_DEP_1) | instskip(NEXT) | instid1(VALU_DEP_1)
	v_add_f64 v[49:50], v[53:54], v[49:50]
	v_add_f64 v[51:52], v[55:56], v[49:50]
	s_delay_alu instid0(VALU_DEP_1) | instskip(NEXT) | instid1(VALU_DEP_1)
	v_mul_f64 v[53:54], v[51:52], v[51:52]
	v_fma_f64 v[57:58], v[53:54], s[36:37], s[34:35]
	s_mov_b32 s34, 0xd7f4df2e
	s_mov_b32 s35, 0x3fc7474d
	v_mul_f64 v[59:60], v[51:52], v[53:54]
	s_delay_alu instid0(VALU_DEP_2)
	v_fma_f64 v[57:58], v[53:54], v[57:58], s[34:35]
	s_mov_b32 s34, 0x16291751
	s_mov_b32 s35, 0x3fcc71c0
	s_delay_alu instid0(VALU_DEP_1) | instid1(SALU_CYCLE_1)
	v_fma_f64 v[57:58], v[53:54], v[57:58], s[34:35]
	s_mov_b32 s34, 0x9b27acf1
	s_mov_b32 s35, 0x3fd24924
	s_delay_alu instid0(VALU_DEP_1) | instid1(SALU_CYCLE_1)
	;; [unrolled: 4-line block ×3, first 2 shown]
	v_fma_f64 v[57:58], v[53:54], v[57:58], s[34:35]
	s_delay_alu instid0(VALU_DEP_1) | instskip(SKIP_2) | instid1(VALU_DEP_3)
	v_fma_f64 v[53:54], v[53:54], v[57:58], s[24:25]
	v_ldexp_f64 v[57:58], v[51:52], 1
	v_add_f64 v[51:52], v[51:52], -v[55:56]
	v_mul_f64 v[53:54], v[59:60], v[53:54]
	v_cvt_f64_i32_e32 v[59:60], v96
	s_delay_alu instid0(VALU_DEP_3) | instskip(NEXT) | instid1(VALU_DEP_3)
	v_add_f64 v[49:50], v[49:50], -v[51:52]
	v_add_f64 v[55:56], v[57:58], v[53:54]
	s_delay_alu instid0(VALU_DEP_3) | instskip(NEXT) | instid1(VALU_DEP_3)
	v_mul_f64 v[61:62], v[59:60], s[26:27]
	v_ldexp_f64 v[49:50], v[49:50], 1
	s_delay_alu instid0(VALU_DEP_3) | instskip(NEXT) | instid1(VALU_DEP_3)
	v_add_f64 v[51:52], v[55:56], -v[57:58]
	v_fma_f64 v[57:58], v[59:60], s[26:27], -v[61:62]
	s_delay_alu instid0(VALU_DEP_2) | instskip(NEXT) | instid1(VALU_DEP_2)
	v_add_f64 v[51:52], v[53:54], -v[51:52]
	v_fma_f64 v[53:54], v[59:60], s[28:29], v[57:58]
	s_delay_alu instid0(VALU_DEP_2) | instskip(NEXT) | instid1(VALU_DEP_2)
	v_add_f64 v[49:50], v[49:50], v[51:52]
	v_add_f64 v[51:52], v[61:62], v[53:54]
	s_delay_alu instid0(VALU_DEP_2) | instskip(NEXT) | instid1(VALU_DEP_2)
	v_add_f64 v[57:58], v[55:56], v[49:50]
	v_add_f64 v[61:62], v[51:52], -v[61:62]
	s_delay_alu instid0(VALU_DEP_2) | instskip(SKIP_1) | instid1(VALU_DEP_3)
	v_add_f64 v[59:60], v[51:52], v[57:58]
	v_add_f64 v[55:56], v[57:58], -v[55:56]
	v_add_f64 v[53:54], v[53:54], -v[61:62]
	s_delay_alu instid0(VALU_DEP_3) | instskip(NEXT) | instid1(VALU_DEP_3)
	v_add_f64 v[69:70], v[59:60], -v[51:52]
	v_add_f64 v[49:50], v[49:50], -v[55:56]
	s_delay_alu instid0(VALU_DEP_2) | instskip(SKIP_1) | instid1(VALU_DEP_3)
	v_add_f64 v[71:72], v[59:60], -v[69:70]
	v_add_f64 v[55:56], v[57:58], -v[69:70]
	v_add_f64 v[57:58], v[53:54], v[49:50]
	s_delay_alu instid0(VALU_DEP_3) | instskip(NEXT) | instid1(VALU_DEP_1)
	v_add_f64 v[51:52], v[51:52], -v[71:72]
	v_add_f64 v[51:52], v[55:56], v[51:52]
	s_delay_alu instid0(VALU_DEP_3) | instskip(NEXT) | instid1(VALU_DEP_2)
	v_add_f64 v[55:56], v[57:58], -v[53:54]
	v_add_f64 v[51:52], v[57:58], v[51:52]
	s_delay_alu instid0(VALU_DEP_2) | instskip(SKIP_1) | instid1(VALU_DEP_3)
	v_add_f64 v[57:58], v[57:58], -v[55:56]
	v_add_f64 v[49:50], v[49:50], -v[55:56]
	v_add_f64 v[61:62], v[59:60], v[51:52]
	s_delay_alu instid0(VALU_DEP_3) | instskip(NEXT) | instid1(VALU_DEP_2)
	v_add_f64 v[53:54], v[53:54], -v[57:58]
	v_add_f64 v[55:56], v[61:62], -v[59:60]
	s_delay_alu instid0(VALU_DEP_2) | instskip(NEXT) | instid1(VALU_DEP_2)
	v_add_f64 v[49:50], v[49:50], v[53:54]
	v_add_f64 v[51:52], v[51:52], -v[55:56]
	s_delay_alu instid0(VALU_DEP_1) | instskip(NEXT) | instid1(VALU_DEP_1)
	v_add_f64 v[49:50], v[49:50], v[51:52]
	v_add_f64 v[49:50], v[61:62], v[49:50]
	s_delay_alu instid0(VALU_DEP_1) | instskip(NEXT) | instid1(VALU_DEP_2)
	v_cndmask_b32_e64 v49, v49, v47, s23
	v_cndmask_b32_e64 v50, v50, v48, s23
	v_cmp_ngt_f64_e64 s23, -1.0, v[47:48]
	s_delay_alu instid0(VALU_DEP_1) | instskip(SKIP_1) | instid1(VALU_DEP_1)
	v_cndmask_b32_e64 v50, 0x7ff80000, v50, s23
	v_cmp_nge_f64_e64 s23, -1.0, v[47:48]
	v_cndmask_b32_e64 v49, 0, v49, s23
	v_cmp_neq_f64_e64 s23, -1.0, v[47:48]
	s_delay_alu instid0(VALU_DEP_1) | instskip(NEXT) | instid1(VALU_DEP_1)
	v_cndmask_b32_e64 v50, 0xfff00000, v50, s23
	v_add_f64 v[69:70], v[45:46], v[49:50]
.LBB86_44:
	s_or_b32 exec_lo, exec_lo, s30
	v_max_f64 v[45:46], v[23:24], v[23:24]
	s_delay_alu instid0(VALU_DEP_2) | instskip(SKIP_2) | instid1(VALU_DEP_3)
	v_max_f64 v[47:48], v[69:70], v[69:70]
	v_cmp_u_f64_e64 s24, v[69:70], v[69:70]
	v_cmp_u_f64_e64 s23, v[23:24], v[23:24]
	v_min_f64 v[49:50], v[47:48], v[45:46]
	v_max_f64 v[47:48], v[47:48], v[45:46]
	s_delay_alu instid0(VALU_DEP_2) | instskip(NEXT) | instid1(VALU_DEP_3)
	v_cndmask_b32_e64 v49, v49, v69, s24
	v_cndmask_b32_e64 v50, v50, v70, s24
	s_delay_alu instid0(VALU_DEP_3) | instskip(NEXT) | instid1(VALU_DEP_4)
	v_cndmask_b32_e64 v48, v48, v70, s24
	v_cndmask_b32_e64 v47, v47, v69, s24
	s_delay_alu instid0(VALU_DEP_4) | instskip(NEXT) | instid1(VALU_DEP_4)
	v_cndmask_b32_e64 v49, v49, v23, s23
	v_cndmask_b32_e64 v50, v50, v24, s23
	s_delay_alu instid0(VALU_DEP_4) | instskip(NEXT) | instid1(VALU_DEP_4)
	v_cndmask_b32_e64 v48, v48, v24, s23
	v_cndmask_b32_e64 v47, v47, v23, s23
	s_delay_alu instid0(VALU_DEP_3) | instskip(NEXT) | instid1(VALU_DEP_2)
	v_cmp_class_f64_e64 s25, v[49:50], 0x1f8
	v_cmp_neq_f64_e64 s24, v[49:50], v[47:48]
	s_delay_alu instid0(VALU_DEP_1) | instskip(NEXT) | instid1(SALU_CYCLE_1)
	s_or_b32 s24, s24, s25
	s_and_saveexec_b32 s30, s24
	s_cbranch_execz .LBB86_46
; %bb.45:
	v_add_f64 v[49:50], v[49:50], -v[47:48]
	s_mov_b32 s24, 0x652b82fe
	s_mov_b32 s25, 0x3ff71547
	;; [unrolled: 1-line block ×10, first 2 shown]
	s_delay_alu instid0(VALU_DEP_1) | instskip(SKIP_2) | instid1(VALU_DEP_1)
	v_mul_f64 v[51:52], v[49:50], s[24:25]
	s_mov_b32 s24, 0xfca7ab0c
	s_mov_b32 s25, 0x3e928af3
	v_rndne_f64_e32 v[51:52], v[51:52]
	s_delay_alu instid0(VALU_DEP_1) | instskip(SKIP_2) | instid1(VALU_DEP_2)
	v_fma_f64 v[53:54], v[51:52], s[26:27], v[49:50]
	v_cvt_i32_f64_e32 v57, v[51:52]
	s_mov_b32 s27, 0x3fe62e42
	v_fma_f64 v[53:54], v[51:52], s[28:29], v[53:54]
	s_mov_b32 s29, 0x3c7abc9e
	s_delay_alu instid0(VALU_DEP_1) | instskip(SKIP_4) | instid1(VALU_DEP_1)
	v_fma_f64 v[55:56], v[53:54], s[34:35], s[24:25]
	s_mov_b32 s24, 0x623fde64
	s_mov_b32 s25, 0x3ec71dee
	;; [unrolled: 1-line block ×4, first 2 shown]
	v_fma_f64 v[55:56], v[53:54], v[55:56], s[24:25]
	s_mov_b32 s24, 0x7c89e6b0
	s_mov_b32 s25, 0x3efa0199
	s_delay_alu instid0(VALU_DEP_1) | instid1(SALU_CYCLE_1)
	v_fma_f64 v[55:56], v[53:54], v[55:56], s[24:25]
	s_mov_b32 s24, 0x14761f6e
	s_mov_b32 s25, 0x3f2a01a0
	s_delay_alu instid0(VALU_DEP_1) | instid1(SALU_CYCLE_1)
	;; [unrolled: 4-line block ×7, first 2 shown]
	v_fma_f64 v[55:56], v[53:54], v[55:56], s[24:25]
	v_cmp_nlt_f64_e64 s24, 0x40900000, v[49:50]
	v_cmp_ngt_f64_e64 s25, 0xc090cc00, v[49:50]
	s_delay_alu instid0(VALU_DEP_3) | instskip(NEXT) | instid1(VALU_DEP_1)
	v_fma_f64 v[55:56], v[53:54], v[55:56], 1.0
	v_fma_f64 v[51:52], v[53:54], v[55:56], 1.0
	s_delay_alu instid0(VALU_DEP_1) | instskip(NEXT) | instid1(VALU_DEP_1)
	v_ldexp_f64 v[51:52], v[51:52], v57
	v_cndmask_b32_e64 v52, 0x7ff00000, v52, s24
	s_and_b32 s24, s25, s24
	s_delay_alu instid0(VALU_DEP_2) | instid1(SALU_CYCLE_1)
	v_cndmask_b32_e64 v49, 0, v51, s24
	s_mov_b32 s24, 0x55555555
	s_delay_alu instid0(VALU_DEP_2) | instskip(SKIP_1) | instid1(VALU_DEP_1)
	v_cndmask_b32_e64 v50, 0, v52, s25
	s_mov_b32 s25, 0x3fe55555
	v_add_f64 v[51:52], v[49:50], 1.0
	s_delay_alu instid0(VALU_DEP_1) | instskip(SKIP_2) | instid1(VALU_DEP_3)
	v_frexp_mant_f64_e32 v[53:54], v[51:52]
	v_frexp_exp_i32_f64_e32 v57, v[51:52]
	v_add_f64 v[55:56], v[51:52], -1.0
	v_cmp_gt_f64_e64 s24, s[24:25], v[53:54]
	s_delay_alu instid0(VALU_DEP_2) | instskip(SKIP_1) | instid1(VALU_DEP_3)
	v_add_f64 v[53:54], v[55:56], -v[51:52]
	v_add_f64 v[55:56], v[49:50], -v[55:56]
	v_subrev_co_ci_u32_e64 v98, s24, 0, v57, s24
	s_delay_alu instid0(VALU_DEP_3) | instskip(SKIP_1) | instid1(VALU_DEP_2)
	v_add_f64 v[53:54], v[53:54], 1.0
	s_mov_b32 s24, 0x55555780
	v_sub_nc_u32_e32 v59, 0, v98
	s_delay_alu instid0(VALU_DEP_1) | instskip(NEXT) | instid1(VALU_DEP_3)
	v_ldexp_f64 v[51:52], v[51:52], v59
	v_add_f64 v[53:54], v[55:56], v[53:54]
	s_delay_alu instid0(VALU_DEP_2) | instskip(SKIP_1) | instid1(VALU_DEP_3)
	v_add_f64 v[57:58], v[51:52], 1.0
	v_add_f64 v[69:70], v[51:52], -1.0
	v_ldexp_f64 v[53:54], v[53:54], v59
	s_delay_alu instid0(VALU_DEP_3) | instskip(NEXT) | instid1(VALU_DEP_3)
	v_add_f64 v[55:56], v[57:58], -1.0
	v_add_f64 v[71:72], v[69:70], 1.0
	s_delay_alu instid0(VALU_DEP_2) | instskip(NEXT) | instid1(VALU_DEP_2)
	v_add_f64 v[55:56], v[51:52], -v[55:56]
	v_add_f64 v[51:52], v[51:52], -v[71:72]
	s_delay_alu instid0(VALU_DEP_2) | instskip(NEXT) | instid1(VALU_DEP_2)
	v_add_f64 v[55:56], v[53:54], v[55:56]
	v_add_f64 v[51:52], v[53:54], v[51:52]
	s_delay_alu instid0(VALU_DEP_2) | instskip(NEXT) | instid1(VALU_DEP_2)
	v_add_f64 v[59:60], v[57:58], v[55:56]
	v_add_f64 v[71:72], v[69:70], v[51:52]
	s_delay_alu instid0(VALU_DEP_2) | instskip(SKIP_1) | instid1(VALU_DEP_2)
	v_rcp_f64_e32 v[61:62], v[59:60]
	v_add_f64 v[57:58], v[59:60], -v[57:58]
	v_add_f64 v[69:70], v[71:72], -v[69:70]
	s_delay_alu instid0(VALU_DEP_2) | instskip(SKIP_3) | instid1(VALU_DEP_2)
	v_add_f64 v[55:56], v[55:56], -v[57:58]
	s_waitcnt_depctr 0xfff
	v_fma_f64 v[73:74], -v[59:60], v[61:62], 1.0
	v_add_f64 v[51:52], v[51:52], -v[69:70]
	v_fma_f64 v[61:62], v[73:74], v[61:62], v[61:62]
	s_delay_alu instid0(VALU_DEP_1) | instskip(NEXT) | instid1(VALU_DEP_1)
	v_fma_f64 v[53:54], -v[59:60], v[61:62], 1.0
	v_fma_f64 v[53:54], v[53:54], v[61:62], v[61:62]
	s_delay_alu instid0(VALU_DEP_1) | instskip(NEXT) | instid1(VALU_DEP_1)
	v_mul_f64 v[61:62], v[71:72], v[53:54]
	v_mul_f64 v[73:74], v[59:60], v[61:62]
	s_delay_alu instid0(VALU_DEP_1) | instskip(NEXT) | instid1(VALU_DEP_1)
	v_fma_f64 v[57:58], v[61:62], v[59:60], -v[73:74]
	v_fma_f64 v[57:58], v[61:62], v[55:56], v[57:58]
	s_delay_alu instid0(VALU_DEP_1) | instskip(NEXT) | instid1(VALU_DEP_1)
	v_add_f64 v[75:76], v[73:74], v[57:58]
	v_add_f64 v[96:97], v[71:72], -v[75:76]
	v_add_f64 v[69:70], v[75:76], -v[73:74]
	s_delay_alu instid0(VALU_DEP_2) | instskip(NEXT) | instid1(VALU_DEP_2)
	v_add_f64 v[71:72], v[71:72], -v[96:97]
	v_add_f64 v[57:58], v[69:70], -v[57:58]
	s_delay_alu instid0(VALU_DEP_2) | instskip(NEXT) | instid1(VALU_DEP_1)
	v_add_f64 v[71:72], v[71:72], -v[75:76]
	v_add_f64 v[51:52], v[51:52], v[71:72]
	s_delay_alu instid0(VALU_DEP_1) | instskip(NEXT) | instid1(VALU_DEP_1)
	v_add_f64 v[51:52], v[57:58], v[51:52]
	v_add_f64 v[57:58], v[96:97], v[51:52]
	s_delay_alu instid0(VALU_DEP_1) | instskip(SKIP_1) | instid1(VALU_DEP_2)
	v_mul_f64 v[69:70], v[53:54], v[57:58]
	v_add_f64 v[75:76], v[96:97], -v[57:58]
	v_mul_f64 v[71:72], v[59:60], v[69:70]
	s_delay_alu instid0(VALU_DEP_2) | instskip(NEXT) | instid1(VALU_DEP_2)
	v_add_f64 v[51:52], v[51:52], v[75:76]
	v_fma_f64 v[59:60], v[69:70], v[59:60], -v[71:72]
	s_delay_alu instid0(VALU_DEP_1) | instskip(NEXT) | instid1(VALU_DEP_1)
	v_fma_f64 v[55:56], v[69:70], v[55:56], v[59:60]
	v_add_f64 v[59:60], v[71:72], v[55:56]
	s_delay_alu instid0(VALU_DEP_1) | instskip(SKIP_1) | instid1(VALU_DEP_2)
	v_add_f64 v[73:74], v[57:58], -v[59:60]
	v_add_f64 v[71:72], v[59:60], -v[71:72]
	;; [unrolled: 1-line block ×3, first 2 shown]
	s_delay_alu instid0(VALU_DEP_2) | instskip(NEXT) | instid1(VALU_DEP_2)
	v_add_f64 v[55:56], v[71:72], -v[55:56]
	v_add_f64 v[57:58], v[57:58], -v[59:60]
	s_delay_alu instid0(VALU_DEP_1) | instskip(SKIP_1) | instid1(VALU_DEP_2)
	v_add_f64 v[51:52], v[51:52], v[57:58]
	v_add_f64 v[57:58], v[61:62], v[69:70]
	v_add_f64 v[51:52], v[55:56], v[51:52]
	s_delay_alu instid0(VALU_DEP_2) | instskip(NEXT) | instid1(VALU_DEP_2)
	v_add_f64 v[55:56], v[57:58], -v[61:62]
	v_add_f64 v[51:52], v[73:74], v[51:52]
	s_delay_alu instid0(VALU_DEP_2) | instskip(NEXT) | instid1(VALU_DEP_2)
	v_add_f64 v[55:56], v[69:70], -v[55:56]
	v_mul_f64 v[51:52], v[53:54], v[51:52]
	s_delay_alu instid0(VALU_DEP_1) | instskip(NEXT) | instid1(VALU_DEP_1)
	v_add_f64 v[51:52], v[55:56], v[51:52]
	v_add_f64 v[53:54], v[57:58], v[51:52]
	s_delay_alu instid0(VALU_DEP_1) | instskip(NEXT) | instid1(VALU_DEP_1)
	v_mul_f64 v[55:56], v[53:54], v[53:54]
	v_fma_f64 v[59:60], v[55:56], s[36:37], s[34:35]
	s_mov_b32 s34, 0xd7f4df2e
	s_mov_b32 s35, 0x3fc7474d
	v_mul_f64 v[61:62], v[53:54], v[55:56]
	s_delay_alu instid0(VALU_DEP_2)
	v_fma_f64 v[59:60], v[55:56], v[59:60], s[34:35]
	s_mov_b32 s34, 0x16291751
	s_mov_b32 s35, 0x3fcc71c0
	s_delay_alu instid0(VALU_DEP_1) | instid1(SALU_CYCLE_1)
	v_fma_f64 v[59:60], v[55:56], v[59:60], s[34:35]
	s_mov_b32 s34, 0x9b27acf1
	s_mov_b32 s35, 0x3fd24924
	s_delay_alu instid0(VALU_DEP_1) | instid1(SALU_CYCLE_1)
	;; [unrolled: 4-line block ×3, first 2 shown]
	v_fma_f64 v[59:60], v[55:56], v[59:60], s[34:35]
	s_delay_alu instid0(VALU_DEP_1) | instskip(SKIP_3) | instid1(VALU_DEP_4)
	v_fma_f64 v[55:56], v[55:56], v[59:60], s[24:25]
	v_ldexp_f64 v[59:60], v[53:54], 1
	v_add_f64 v[53:54], v[53:54], -v[57:58]
	v_cmp_eq_f64_e64 s24, 0x7ff00000, v[49:50]
	v_mul_f64 v[55:56], v[61:62], v[55:56]
	v_cvt_f64_i32_e32 v[61:62], v98
	s_delay_alu instid0(VALU_DEP_4) | instskip(NEXT) | instid1(VALU_DEP_3)
	v_add_f64 v[51:52], v[51:52], -v[53:54]
	v_add_f64 v[57:58], v[59:60], v[55:56]
	s_delay_alu instid0(VALU_DEP_3) | instskip(NEXT) | instid1(VALU_DEP_3)
	v_mul_f64 v[69:70], v[61:62], s[26:27]
	v_ldexp_f64 v[51:52], v[51:52], 1
	s_delay_alu instid0(VALU_DEP_3) | instskip(NEXT) | instid1(VALU_DEP_3)
	v_add_f64 v[53:54], v[57:58], -v[59:60]
	v_fma_f64 v[59:60], v[61:62], s[26:27], -v[69:70]
	s_delay_alu instid0(VALU_DEP_2) | instskip(NEXT) | instid1(VALU_DEP_2)
	v_add_f64 v[53:54], v[55:56], -v[53:54]
	v_fma_f64 v[55:56], v[61:62], s[28:29], v[59:60]
	s_delay_alu instid0(VALU_DEP_2) | instskip(NEXT) | instid1(VALU_DEP_2)
	v_add_f64 v[51:52], v[51:52], v[53:54]
	v_add_f64 v[53:54], v[69:70], v[55:56]
	s_delay_alu instid0(VALU_DEP_2) | instskip(NEXT) | instid1(VALU_DEP_2)
	v_add_f64 v[59:60], v[57:58], v[51:52]
	v_add_f64 v[69:70], v[53:54], -v[69:70]
	s_delay_alu instid0(VALU_DEP_2) | instskip(SKIP_1) | instid1(VALU_DEP_3)
	v_add_f64 v[61:62], v[53:54], v[59:60]
	v_add_f64 v[57:58], v[59:60], -v[57:58]
	v_add_f64 v[55:56], v[55:56], -v[69:70]
	s_delay_alu instid0(VALU_DEP_3) | instskip(NEXT) | instid1(VALU_DEP_3)
	v_add_f64 v[71:72], v[61:62], -v[53:54]
	v_add_f64 v[51:52], v[51:52], -v[57:58]
	s_delay_alu instid0(VALU_DEP_2) | instskip(SKIP_1) | instid1(VALU_DEP_3)
	v_add_f64 v[73:74], v[61:62], -v[71:72]
	v_add_f64 v[57:58], v[59:60], -v[71:72]
	v_add_f64 v[59:60], v[55:56], v[51:52]
	s_delay_alu instid0(VALU_DEP_3) | instskip(NEXT) | instid1(VALU_DEP_1)
	v_add_f64 v[53:54], v[53:54], -v[73:74]
	v_add_f64 v[53:54], v[57:58], v[53:54]
	s_delay_alu instid0(VALU_DEP_3) | instskip(NEXT) | instid1(VALU_DEP_2)
	v_add_f64 v[57:58], v[59:60], -v[55:56]
	v_add_f64 v[53:54], v[59:60], v[53:54]
	s_delay_alu instid0(VALU_DEP_2) | instskip(SKIP_1) | instid1(VALU_DEP_3)
	v_add_f64 v[59:60], v[59:60], -v[57:58]
	v_add_f64 v[51:52], v[51:52], -v[57:58]
	v_add_f64 v[69:70], v[61:62], v[53:54]
	s_delay_alu instid0(VALU_DEP_3) | instskip(NEXT) | instid1(VALU_DEP_2)
	v_add_f64 v[55:56], v[55:56], -v[59:60]
	v_add_f64 v[57:58], v[69:70], -v[61:62]
	s_delay_alu instid0(VALU_DEP_2) | instskip(NEXT) | instid1(VALU_DEP_2)
	v_add_f64 v[51:52], v[51:52], v[55:56]
	v_add_f64 v[53:54], v[53:54], -v[57:58]
	s_delay_alu instid0(VALU_DEP_1) | instskip(NEXT) | instid1(VALU_DEP_1)
	v_add_f64 v[51:52], v[51:52], v[53:54]
	v_add_f64 v[51:52], v[69:70], v[51:52]
	s_delay_alu instid0(VALU_DEP_1) | instskip(NEXT) | instid1(VALU_DEP_2)
	v_cndmask_b32_e64 v51, v51, v49, s24
	v_cndmask_b32_e64 v52, v52, v50, s24
	v_cmp_ngt_f64_e64 s24, -1.0, v[49:50]
	s_delay_alu instid0(VALU_DEP_1) | instskip(SKIP_1) | instid1(VALU_DEP_1)
	v_cndmask_b32_e64 v52, 0x7ff80000, v52, s24
	v_cmp_nge_f64_e64 s24, -1.0, v[49:50]
	v_cndmask_b32_e64 v51, 0, v51, s24
	v_cmp_neq_f64_e64 s24, -1.0, v[49:50]
	s_delay_alu instid0(VALU_DEP_1) | instskip(NEXT) | instid1(VALU_DEP_1)
	v_cndmask_b32_e64 v52, 0xfff00000, v52, s24
	v_add_f64 v[69:70], v[47:48], v[51:52]
.LBB86_46:
	s_or_b32 exec_lo, exec_lo, s30
	v_max_f64 v[47:48], v[17:18], v[17:18]
	s_delay_alu instid0(VALU_DEP_2) | instskip(SKIP_2) | instid1(VALU_DEP_3)
	v_max_f64 v[49:50], v[69:70], v[69:70]
	v_cmp_u_f64_e64 s25, v[69:70], v[69:70]
	v_cmp_u_f64_e64 s24, v[17:18], v[17:18]
	v_min_f64 v[51:52], v[49:50], v[47:48]
	v_max_f64 v[49:50], v[49:50], v[47:48]
	s_delay_alu instid0(VALU_DEP_2) | instskip(NEXT) | instid1(VALU_DEP_3)
	v_cndmask_b32_e64 v51, v51, v69, s25
	v_cndmask_b32_e64 v52, v52, v70, s25
	s_delay_alu instid0(VALU_DEP_3) | instskip(NEXT) | instid1(VALU_DEP_4)
	v_cndmask_b32_e64 v50, v50, v70, s25
	v_cndmask_b32_e64 v49, v49, v69, s25
	s_delay_alu instid0(VALU_DEP_4) | instskip(NEXT) | instid1(VALU_DEP_4)
	v_cndmask_b32_e64 v51, v51, v17, s24
	v_cndmask_b32_e64 v52, v52, v18, s24
	s_delay_alu instid0(VALU_DEP_4) | instskip(NEXT) | instid1(VALU_DEP_4)
	v_cndmask_b32_e64 v50, v50, v18, s24
	v_cndmask_b32_e64 v49, v49, v17, s24
	s_delay_alu instid0(VALU_DEP_3) | instskip(NEXT) | instid1(VALU_DEP_2)
	v_cmp_class_f64_e64 s26, v[51:52], 0x1f8
	v_cmp_neq_f64_e64 s25, v[51:52], v[49:50]
	s_delay_alu instid0(VALU_DEP_1) | instskip(NEXT) | instid1(SALU_CYCLE_1)
	s_or_b32 s25, s25, s26
	s_and_saveexec_b32 s34, s25
	s_cbranch_execz .LBB86_48
; %bb.47:
	v_add_f64 v[51:52], v[51:52], -v[49:50]
	s_mov_b32 s26, 0x652b82fe
	s_mov_b32 s27, 0x3ff71547
	;; [unrolled: 1-line block ×10, first 2 shown]
	s_delay_alu instid0(VALU_DEP_1) | instskip(SKIP_3) | instid1(VALU_DEP_2)
	v_mul_f64 v[53:54], v[51:52], s[26:27]
	s_mov_b32 s26, 0xfca7ab0c
	s_mov_b32 s27, 0x3e928af3
	v_cmp_nlt_f64_e64 s25, 0x40900000, v[51:52]
	v_rndne_f64_e32 v[53:54], v[53:54]
	s_delay_alu instid0(VALU_DEP_1) | instskip(SKIP_2) | instid1(VALU_DEP_2)
	v_fma_f64 v[55:56], v[53:54], s[28:29], v[51:52]
	v_cvt_i32_f64_e32 v59, v[53:54]
	s_mov_b32 s29, 0x3fe62e42
	v_fma_f64 v[55:56], v[53:54], s[30:31], v[55:56]
	s_mov_b32 s31, 0x3c7abc9e
	s_delay_alu instid0(VALU_DEP_1) | instskip(SKIP_4) | instid1(VALU_DEP_1)
	v_fma_f64 v[57:58], v[55:56], s[36:37], s[26:27]
	s_mov_b32 s26, 0x623fde64
	s_mov_b32 s27, 0x3ec71dee
	;; [unrolled: 1-line block ×4, first 2 shown]
	v_fma_f64 v[57:58], v[55:56], v[57:58], s[26:27]
	s_mov_b32 s26, 0x7c89e6b0
	s_mov_b32 s27, 0x3efa0199
	s_delay_alu instid0(VALU_DEP_1) | instid1(SALU_CYCLE_1)
	v_fma_f64 v[57:58], v[55:56], v[57:58], s[26:27]
	s_mov_b32 s26, 0x14761f6e
	s_mov_b32 s27, 0x3f2a01a0
	s_delay_alu instid0(VALU_DEP_1) | instid1(SALU_CYCLE_1)
	;; [unrolled: 4-line block ×7, first 2 shown]
	v_fma_f64 v[57:58], v[55:56], v[57:58], s[26:27]
	v_cmp_ngt_f64_e64 s26, 0xc090cc00, v[51:52]
	s_mov_b32 s27, 0x3fe55555
	s_delay_alu instid0(VALU_DEP_2) | instskip(NEXT) | instid1(VALU_DEP_1)
	v_fma_f64 v[57:58], v[55:56], v[57:58], 1.0
	v_fma_f64 v[53:54], v[55:56], v[57:58], 1.0
	s_delay_alu instid0(VALU_DEP_1) | instskip(NEXT) | instid1(VALU_DEP_1)
	v_ldexp_f64 v[53:54], v[53:54], v59
	v_cndmask_b32_e64 v54, 0x7ff00000, v54, s25
	s_and_b32 s25, s26, s25
	s_delay_alu instid0(VALU_DEP_2) | instid1(SALU_CYCLE_1)
	v_cndmask_b32_e64 v51, 0, v53, s25
	s_delay_alu instid0(VALU_DEP_2) | instskip(SKIP_1) | instid1(VALU_DEP_1)
	v_cndmask_b32_e64 v52, 0, v54, s26
	s_mov_b32 s26, 0x55555555
	v_add_f64 v[53:54], v[51:52], 1.0
	s_delay_alu instid0(VALU_DEP_1) | instskip(SKIP_2) | instid1(VALU_DEP_3)
	v_frexp_mant_f64_e32 v[55:56], v[53:54]
	v_frexp_exp_i32_f64_e32 v59, v[53:54]
	v_add_f64 v[57:58], v[53:54], -1.0
	v_cmp_gt_f64_e64 s25, s[26:27], v[55:56]
	s_mov_b32 s26, 0x55555780
	s_delay_alu instid0(VALU_DEP_2) | instskip(SKIP_1) | instid1(VALU_DEP_3)
	v_add_f64 v[55:56], v[57:58], -v[53:54]
	v_add_f64 v[57:58], v[51:52], -v[57:58]
	v_subrev_co_ci_u32_e64 v100, s25, 0, v59, s25
	s_delay_alu instid0(VALU_DEP_3) | instskip(SKIP_1) | instid1(VALU_DEP_3)
	v_add_f64 v[55:56], v[55:56], 1.0
	v_cmp_eq_f64_e64 s25, 0x7ff00000, v[51:52]
	v_sub_nc_u32_e32 v61, 0, v100
	s_delay_alu instid0(VALU_DEP_1) | instskip(NEXT) | instid1(VALU_DEP_4)
	v_ldexp_f64 v[53:54], v[53:54], v61
	v_add_f64 v[55:56], v[57:58], v[55:56]
	s_delay_alu instid0(VALU_DEP_2) | instskip(SKIP_1) | instid1(VALU_DEP_3)
	v_add_f64 v[59:60], v[53:54], 1.0
	v_add_f64 v[71:72], v[53:54], -1.0
	v_ldexp_f64 v[55:56], v[55:56], v61
	s_delay_alu instid0(VALU_DEP_3) | instskip(NEXT) | instid1(VALU_DEP_3)
	v_add_f64 v[57:58], v[59:60], -1.0
	v_add_f64 v[73:74], v[71:72], 1.0
	s_delay_alu instid0(VALU_DEP_2) | instskip(NEXT) | instid1(VALU_DEP_2)
	v_add_f64 v[57:58], v[53:54], -v[57:58]
	v_add_f64 v[53:54], v[53:54], -v[73:74]
	s_delay_alu instid0(VALU_DEP_2) | instskip(NEXT) | instid1(VALU_DEP_2)
	v_add_f64 v[57:58], v[55:56], v[57:58]
	v_add_f64 v[53:54], v[55:56], v[53:54]
	s_delay_alu instid0(VALU_DEP_2) | instskip(NEXT) | instid1(VALU_DEP_2)
	v_add_f64 v[61:62], v[59:60], v[57:58]
	v_add_f64 v[73:74], v[71:72], v[53:54]
	s_delay_alu instid0(VALU_DEP_2) | instskip(SKIP_1) | instid1(VALU_DEP_2)
	v_rcp_f64_e32 v[69:70], v[61:62]
	v_add_f64 v[59:60], v[61:62], -v[59:60]
	v_add_f64 v[71:72], v[73:74], -v[71:72]
	s_delay_alu instid0(VALU_DEP_2) | instskip(SKIP_3) | instid1(VALU_DEP_2)
	v_add_f64 v[57:58], v[57:58], -v[59:60]
	s_waitcnt_depctr 0xfff
	v_fma_f64 v[75:76], -v[61:62], v[69:70], 1.0
	v_add_f64 v[53:54], v[53:54], -v[71:72]
	v_fma_f64 v[69:70], v[75:76], v[69:70], v[69:70]
	s_delay_alu instid0(VALU_DEP_1) | instskip(NEXT) | instid1(VALU_DEP_1)
	v_fma_f64 v[55:56], -v[61:62], v[69:70], 1.0
	v_fma_f64 v[55:56], v[55:56], v[69:70], v[69:70]
	s_delay_alu instid0(VALU_DEP_1) | instskip(NEXT) | instid1(VALU_DEP_1)
	v_mul_f64 v[69:70], v[73:74], v[55:56]
	v_mul_f64 v[75:76], v[61:62], v[69:70]
	s_delay_alu instid0(VALU_DEP_1) | instskip(NEXT) | instid1(VALU_DEP_1)
	v_fma_f64 v[59:60], v[69:70], v[61:62], -v[75:76]
	v_fma_f64 v[59:60], v[69:70], v[57:58], v[59:60]
	s_delay_alu instid0(VALU_DEP_1) | instskip(NEXT) | instid1(VALU_DEP_1)
	v_add_f64 v[96:97], v[75:76], v[59:60]
	v_add_f64 v[98:99], v[73:74], -v[96:97]
	v_add_f64 v[71:72], v[96:97], -v[75:76]
	s_delay_alu instid0(VALU_DEP_2) | instskip(NEXT) | instid1(VALU_DEP_2)
	v_add_f64 v[73:74], v[73:74], -v[98:99]
	v_add_f64 v[59:60], v[71:72], -v[59:60]
	s_delay_alu instid0(VALU_DEP_2) | instskip(NEXT) | instid1(VALU_DEP_1)
	v_add_f64 v[73:74], v[73:74], -v[96:97]
	v_add_f64 v[53:54], v[53:54], v[73:74]
	s_delay_alu instid0(VALU_DEP_1) | instskip(NEXT) | instid1(VALU_DEP_1)
	v_add_f64 v[53:54], v[59:60], v[53:54]
	v_add_f64 v[59:60], v[98:99], v[53:54]
	s_delay_alu instid0(VALU_DEP_1) | instskip(SKIP_1) | instid1(VALU_DEP_2)
	v_mul_f64 v[71:72], v[55:56], v[59:60]
	v_add_f64 v[96:97], v[98:99], -v[59:60]
	v_mul_f64 v[73:74], v[61:62], v[71:72]
	s_delay_alu instid0(VALU_DEP_2) | instskip(NEXT) | instid1(VALU_DEP_2)
	v_add_f64 v[53:54], v[53:54], v[96:97]
	v_fma_f64 v[61:62], v[71:72], v[61:62], -v[73:74]
	s_delay_alu instid0(VALU_DEP_1) | instskip(NEXT) | instid1(VALU_DEP_1)
	v_fma_f64 v[57:58], v[71:72], v[57:58], v[61:62]
	v_add_f64 v[61:62], v[73:74], v[57:58]
	s_delay_alu instid0(VALU_DEP_1) | instskip(SKIP_1) | instid1(VALU_DEP_2)
	v_add_f64 v[75:76], v[59:60], -v[61:62]
	v_add_f64 v[73:74], v[61:62], -v[73:74]
	v_add_f64 v[59:60], v[59:60], -v[75:76]
	s_delay_alu instid0(VALU_DEP_2) | instskip(NEXT) | instid1(VALU_DEP_2)
	v_add_f64 v[57:58], v[73:74], -v[57:58]
	v_add_f64 v[59:60], v[59:60], -v[61:62]
	s_delay_alu instid0(VALU_DEP_1) | instskip(SKIP_1) | instid1(VALU_DEP_2)
	v_add_f64 v[53:54], v[53:54], v[59:60]
	v_add_f64 v[59:60], v[69:70], v[71:72]
	;; [unrolled: 1-line block ×3, first 2 shown]
	s_delay_alu instid0(VALU_DEP_2) | instskip(NEXT) | instid1(VALU_DEP_2)
	v_add_f64 v[57:58], v[59:60], -v[69:70]
	v_add_f64 v[53:54], v[75:76], v[53:54]
	s_delay_alu instid0(VALU_DEP_2) | instskip(NEXT) | instid1(VALU_DEP_2)
	v_add_f64 v[57:58], v[71:72], -v[57:58]
	v_mul_f64 v[53:54], v[55:56], v[53:54]
	s_delay_alu instid0(VALU_DEP_1) | instskip(NEXT) | instid1(VALU_DEP_1)
	v_add_f64 v[53:54], v[57:58], v[53:54]
	v_add_f64 v[55:56], v[59:60], v[53:54]
	s_delay_alu instid0(VALU_DEP_1) | instskip(NEXT) | instid1(VALU_DEP_1)
	v_mul_f64 v[57:58], v[55:56], v[55:56]
	v_fma_f64 v[61:62], v[57:58], s[38:39], s[36:37]
	s_mov_b32 s36, 0xd7f4df2e
	s_mov_b32 s37, 0x3fc7474d
	v_mul_f64 v[69:70], v[55:56], v[57:58]
	s_delay_alu instid0(VALU_DEP_2)
	v_fma_f64 v[61:62], v[57:58], v[61:62], s[36:37]
	s_mov_b32 s36, 0x16291751
	s_mov_b32 s37, 0x3fcc71c0
	s_delay_alu instid0(VALU_DEP_1) | instid1(SALU_CYCLE_1)
	v_fma_f64 v[61:62], v[57:58], v[61:62], s[36:37]
	s_mov_b32 s36, 0x9b27acf1
	s_mov_b32 s37, 0x3fd24924
	s_delay_alu instid0(VALU_DEP_1) | instid1(SALU_CYCLE_1)
	;; [unrolled: 4-line block ×3, first 2 shown]
	v_fma_f64 v[61:62], v[57:58], v[61:62], s[36:37]
	s_delay_alu instid0(VALU_DEP_1) | instskip(SKIP_2) | instid1(VALU_DEP_3)
	v_fma_f64 v[57:58], v[57:58], v[61:62], s[26:27]
	v_ldexp_f64 v[61:62], v[55:56], 1
	v_add_f64 v[55:56], v[55:56], -v[59:60]
	v_mul_f64 v[57:58], v[69:70], v[57:58]
	v_cvt_f64_i32_e32 v[69:70], v100
	s_delay_alu instid0(VALU_DEP_3) | instskip(NEXT) | instid1(VALU_DEP_3)
	v_add_f64 v[53:54], v[53:54], -v[55:56]
	v_add_f64 v[59:60], v[61:62], v[57:58]
	s_delay_alu instid0(VALU_DEP_3) | instskip(NEXT) | instid1(VALU_DEP_3)
	v_mul_f64 v[71:72], v[69:70], s[28:29]
	v_ldexp_f64 v[53:54], v[53:54], 1
	s_delay_alu instid0(VALU_DEP_3) | instskip(NEXT) | instid1(VALU_DEP_3)
	v_add_f64 v[55:56], v[59:60], -v[61:62]
	v_fma_f64 v[61:62], v[69:70], s[28:29], -v[71:72]
	s_delay_alu instid0(VALU_DEP_2) | instskip(NEXT) | instid1(VALU_DEP_2)
	v_add_f64 v[55:56], v[57:58], -v[55:56]
	v_fma_f64 v[57:58], v[69:70], s[30:31], v[61:62]
	s_delay_alu instid0(VALU_DEP_2) | instskip(NEXT) | instid1(VALU_DEP_2)
	v_add_f64 v[53:54], v[53:54], v[55:56]
	v_add_f64 v[55:56], v[71:72], v[57:58]
	s_delay_alu instid0(VALU_DEP_2) | instskip(NEXT) | instid1(VALU_DEP_2)
	v_add_f64 v[61:62], v[59:60], v[53:54]
	v_add_f64 v[71:72], v[55:56], -v[71:72]
	s_delay_alu instid0(VALU_DEP_2) | instskip(SKIP_1) | instid1(VALU_DEP_3)
	v_add_f64 v[69:70], v[55:56], v[61:62]
	v_add_f64 v[59:60], v[61:62], -v[59:60]
	v_add_f64 v[57:58], v[57:58], -v[71:72]
	s_delay_alu instid0(VALU_DEP_3) | instskip(NEXT) | instid1(VALU_DEP_3)
	v_add_f64 v[73:74], v[69:70], -v[55:56]
	v_add_f64 v[53:54], v[53:54], -v[59:60]
	s_delay_alu instid0(VALU_DEP_2) | instskip(SKIP_1) | instid1(VALU_DEP_3)
	v_add_f64 v[75:76], v[69:70], -v[73:74]
	v_add_f64 v[59:60], v[61:62], -v[73:74]
	v_add_f64 v[61:62], v[57:58], v[53:54]
	s_delay_alu instid0(VALU_DEP_3) | instskip(NEXT) | instid1(VALU_DEP_1)
	v_add_f64 v[55:56], v[55:56], -v[75:76]
	v_add_f64 v[55:56], v[59:60], v[55:56]
	s_delay_alu instid0(VALU_DEP_3) | instskip(NEXT) | instid1(VALU_DEP_2)
	v_add_f64 v[59:60], v[61:62], -v[57:58]
	v_add_f64 v[55:56], v[61:62], v[55:56]
	s_delay_alu instid0(VALU_DEP_2) | instskip(SKIP_1) | instid1(VALU_DEP_3)
	v_add_f64 v[61:62], v[61:62], -v[59:60]
	v_add_f64 v[53:54], v[53:54], -v[59:60]
	v_add_f64 v[71:72], v[69:70], v[55:56]
	s_delay_alu instid0(VALU_DEP_3) | instskip(NEXT) | instid1(VALU_DEP_2)
	v_add_f64 v[57:58], v[57:58], -v[61:62]
	v_add_f64 v[59:60], v[71:72], -v[69:70]
	s_delay_alu instid0(VALU_DEP_2) | instskip(NEXT) | instid1(VALU_DEP_2)
	v_add_f64 v[53:54], v[53:54], v[57:58]
	v_add_f64 v[55:56], v[55:56], -v[59:60]
	s_delay_alu instid0(VALU_DEP_1) | instskip(NEXT) | instid1(VALU_DEP_1)
	v_add_f64 v[53:54], v[53:54], v[55:56]
	v_add_f64 v[53:54], v[71:72], v[53:54]
	s_delay_alu instid0(VALU_DEP_1) | instskip(NEXT) | instid1(VALU_DEP_2)
	v_cndmask_b32_e64 v53, v53, v51, s25
	v_cndmask_b32_e64 v54, v54, v52, s25
	v_cmp_ngt_f64_e64 s25, -1.0, v[51:52]
	s_delay_alu instid0(VALU_DEP_1) | instskip(SKIP_1) | instid1(VALU_DEP_1)
	v_cndmask_b32_e64 v54, 0x7ff80000, v54, s25
	v_cmp_nge_f64_e64 s25, -1.0, v[51:52]
	v_cndmask_b32_e64 v53, 0, v53, s25
	v_cmp_neq_f64_e64 s25, -1.0, v[51:52]
	s_delay_alu instid0(VALU_DEP_1) | instskip(NEXT) | instid1(VALU_DEP_1)
	v_cndmask_b32_e64 v54, 0xfff00000, v54, s25
	v_add_f64 v[69:70], v[49:50], v[53:54]
.LBB86_48:
	s_or_b32 exec_lo, exec_lo, s34
	v_max_f64 v[49:50], v[19:20], v[19:20]
	s_delay_alu instid0(VALU_DEP_2) | instskip(SKIP_2) | instid1(VALU_DEP_3)
	v_max_f64 v[51:52], v[69:70], v[69:70]
	v_cmp_u_f64_e64 s26, v[69:70], v[69:70]
	v_cmp_u_f64_e64 s25, v[19:20], v[19:20]
	v_min_f64 v[53:54], v[51:52], v[49:50]
	v_max_f64 v[51:52], v[51:52], v[49:50]
	s_delay_alu instid0(VALU_DEP_2) | instskip(NEXT) | instid1(VALU_DEP_3)
	v_cndmask_b32_e64 v53, v53, v69, s26
	v_cndmask_b32_e64 v54, v54, v70, s26
	s_delay_alu instid0(VALU_DEP_3) | instskip(NEXT) | instid1(VALU_DEP_4)
	v_cndmask_b32_e64 v52, v52, v70, s26
	v_cndmask_b32_e64 v51, v51, v69, s26
	s_delay_alu instid0(VALU_DEP_4) | instskip(NEXT) | instid1(VALU_DEP_4)
	v_cndmask_b32_e64 v53, v53, v19, s25
	v_cndmask_b32_e64 v54, v54, v20, s25
	s_delay_alu instid0(VALU_DEP_4) | instskip(NEXT) | instid1(VALU_DEP_4)
	v_cndmask_b32_e64 v52, v52, v20, s25
	v_cndmask_b32_e64 v51, v51, v19, s25
	s_delay_alu instid0(VALU_DEP_3) | instskip(NEXT) | instid1(VALU_DEP_2)
	v_cmp_class_f64_e64 s27, v[53:54], 0x1f8
	v_cmp_neq_f64_e64 s26, v[53:54], v[51:52]
	s_delay_alu instid0(VALU_DEP_1) | instskip(NEXT) | instid1(SALU_CYCLE_1)
	s_or_b32 s26, s26, s27
	s_and_saveexec_b32 s34, s26
	s_cbranch_execz .LBB86_50
; %bb.49:
	v_add_f64 v[53:54], v[53:54], -v[51:52]
	s_mov_b32 s26, 0x652b82fe
	s_mov_b32 s27, 0x3ff71547
	;; [unrolled: 1-line block ×10, first 2 shown]
	s_delay_alu instid0(VALU_DEP_1) | instskip(SKIP_2) | instid1(VALU_DEP_1)
	v_mul_f64 v[55:56], v[53:54], s[26:27]
	s_mov_b32 s26, 0xfca7ab0c
	s_mov_b32 s27, 0x3e928af3
	v_rndne_f64_e32 v[55:56], v[55:56]
	s_delay_alu instid0(VALU_DEP_1) | instskip(SKIP_2) | instid1(VALU_DEP_2)
	v_fma_f64 v[57:58], v[55:56], s[28:29], v[53:54]
	v_cvt_i32_f64_e32 v61, v[55:56]
	s_mov_b32 s29, 0x3fe62e42
	v_fma_f64 v[57:58], v[55:56], s[30:31], v[57:58]
	s_mov_b32 s31, 0x3c7abc9e
	s_delay_alu instid0(VALU_DEP_1) | instskip(SKIP_4) | instid1(VALU_DEP_1)
	v_fma_f64 v[59:60], v[57:58], s[36:37], s[26:27]
	s_mov_b32 s26, 0x623fde64
	s_mov_b32 s27, 0x3ec71dee
	;; [unrolled: 1-line block ×4, first 2 shown]
	v_fma_f64 v[59:60], v[57:58], v[59:60], s[26:27]
	s_mov_b32 s26, 0x7c89e6b0
	s_mov_b32 s27, 0x3efa0199
	s_delay_alu instid0(VALU_DEP_1) | instid1(SALU_CYCLE_1)
	v_fma_f64 v[59:60], v[57:58], v[59:60], s[26:27]
	s_mov_b32 s26, 0x14761f6e
	s_mov_b32 s27, 0x3f2a01a0
	s_delay_alu instid0(VALU_DEP_1) | instid1(SALU_CYCLE_1)
	;; [unrolled: 4-line block ×7, first 2 shown]
	v_fma_f64 v[59:60], v[57:58], v[59:60], s[26:27]
	v_cmp_nlt_f64_e64 s26, 0x40900000, v[53:54]
	v_cmp_ngt_f64_e64 s27, 0xc090cc00, v[53:54]
	s_delay_alu instid0(VALU_DEP_3) | instskip(NEXT) | instid1(VALU_DEP_1)
	v_fma_f64 v[59:60], v[57:58], v[59:60], 1.0
	v_fma_f64 v[55:56], v[57:58], v[59:60], 1.0
	s_delay_alu instid0(VALU_DEP_1) | instskip(NEXT) | instid1(VALU_DEP_1)
	v_ldexp_f64 v[55:56], v[55:56], v61
	v_cndmask_b32_e64 v56, 0x7ff00000, v56, s26
	s_and_b32 s26, s27, s26
	s_delay_alu instid0(VALU_DEP_2) | instid1(SALU_CYCLE_1)
	v_cndmask_b32_e64 v53, 0, v55, s26
	s_mov_b32 s26, 0x55555555
	s_delay_alu instid0(VALU_DEP_2) | instskip(SKIP_1) | instid1(VALU_DEP_1)
	v_cndmask_b32_e64 v54, 0, v56, s27
	s_mov_b32 s27, 0x3fe55555
	v_add_f64 v[55:56], v[53:54], 1.0
	s_delay_alu instid0(VALU_DEP_1) | instskip(SKIP_2) | instid1(VALU_DEP_3)
	v_frexp_mant_f64_e32 v[57:58], v[55:56]
	v_frexp_exp_i32_f64_e32 v61, v[55:56]
	v_add_f64 v[59:60], v[55:56], -1.0
	v_cmp_gt_f64_e64 s26, s[26:27], v[57:58]
	s_delay_alu instid0(VALU_DEP_2) | instskip(SKIP_1) | instid1(VALU_DEP_3)
	v_add_f64 v[57:58], v[59:60], -v[55:56]
	v_add_f64 v[59:60], v[53:54], -v[59:60]
	v_subrev_co_ci_u32_e64 v102, s26, 0, v61, s26
	s_delay_alu instid0(VALU_DEP_3) | instskip(SKIP_1) | instid1(VALU_DEP_2)
	v_add_f64 v[57:58], v[57:58], 1.0
	s_mov_b32 s26, 0x55555780
	v_sub_nc_u32_e32 v69, 0, v102
	s_delay_alu instid0(VALU_DEP_1) | instskip(NEXT) | instid1(VALU_DEP_3)
	v_ldexp_f64 v[55:56], v[55:56], v69
	v_add_f64 v[57:58], v[59:60], v[57:58]
	s_delay_alu instid0(VALU_DEP_2) | instskip(SKIP_1) | instid1(VALU_DEP_3)
	v_add_f64 v[61:62], v[55:56], 1.0
	v_add_f64 v[73:74], v[55:56], -1.0
	v_ldexp_f64 v[57:58], v[57:58], v69
	s_delay_alu instid0(VALU_DEP_3) | instskip(NEXT) | instid1(VALU_DEP_3)
	v_add_f64 v[59:60], v[61:62], -1.0
	v_add_f64 v[75:76], v[73:74], 1.0
	s_delay_alu instid0(VALU_DEP_2) | instskip(NEXT) | instid1(VALU_DEP_2)
	v_add_f64 v[59:60], v[55:56], -v[59:60]
	v_add_f64 v[55:56], v[55:56], -v[75:76]
	s_delay_alu instid0(VALU_DEP_2) | instskip(NEXT) | instid1(VALU_DEP_2)
	v_add_f64 v[59:60], v[57:58], v[59:60]
	v_add_f64 v[55:56], v[57:58], v[55:56]
	s_delay_alu instid0(VALU_DEP_2) | instskip(NEXT) | instid1(VALU_DEP_2)
	v_add_f64 v[69:70], v[61:62], v[59:60]
	v_add_f64 v[75:76], v[73:74], v[55:56]
	s_delay_alu instid0(VALU_DEP_2) | instskip(SKIP_1) | instid1(VALU_DEP_2)
	v_rcp_f64_e32 v[71:72], v[69:70]
	v_add_f64 v[61:62], v[69:70], -v[61:62]
	v_add_f64 v[73:74], v[75:76], -v[73:74]
	s_delay_alu instid0(VALU_DEP_2) | instskip(SKIP_3) | instid1(VALU_DEP_2)
	v_add_f64 v[59:60], v[59:60], -v[61:62]
	s_waitcnt_depctr 0xfff
	v_fma_f64 v[96:97], -v[69:70], v[71:72], 1.0
	v_add_f64 v[55:56], v[55:56], -v[73:74]
	v_fma_f64 v[71:72], v[96:97], v[71:72], v[71:72]
	s_delay_alu instid0(VALU_DEP_1) | instskip(NEXT) | instid1(VALU_DEP_1)
	v_fma_f64 v[57:58], -v[69:70], v[71:72], 1.0
	v_fma_f64 v[57:58], v[57:58], v[71:72], v[71:72]
	s_delay_alu instid0(VALU_DEP_1) | instskip(NEXT) | instid1(VALU_DEP_1)
	v_mul_f64 v[71:72], v[75:76], v[57:58]
	v_mul_f64 v[96:97], v[69:70], v[71:72]
	s_delay_alu instid0(VALU_DEP_1) | instskip(NEXT) | instid1(VALU_DEP_1)
	v_fma_f64 v[61:62], v[71:72], v[69:70], -v[96:97]
	v_fma_f64 v[61:62], v[71:72], v[59:60], v[61:62]
	s_delay_alu instid0(VALU_DEP_1) | instskip(NEXT) | instid1(VALU_DEP_1)
	v_add_f64 v[98:99], v[96:97], v[61:62]
	v_add_f64 v[100:101], v[75:76], -v[98:99]
	v_add_f64 v[73:74], v[98:99], -v[96:97]
	s_delay_alu instid0(VALU_DEP_2) | instskip(NEXT) | instid1(VALU_DEP_2)
	v_add_f64 v[75:76], v[75:76], -v[100:101]
	v_add_f64 v[61:62], v[73:74], -v[61:62]
	s_delay_alu instid0(VALU_DEP_2) | instskip(NEXT) | instid1(VALU_DEP_1)
	v_add_f64 v[75:76], v[75:76], -v[98:99]
	v_add_f64 v[55:56], v[55:56], v[75:76]
	s_delay_alu instid0(VALU_DEP_1) | instskip(NEXT) | instid1(VALU_DEP_1)
	v_add_f64 v[55:56], v[61:62], v[55:56]
	v_add_f64 v[61:62], v[100:101], v[55:56]
	s_delay_alu instid0(VALU_DEP_1) | instskip(SKIP_1) | instid1(VALU_DEP_2)
	v_mul_f64 v[73:74], v[57:58], v[61:62]
	v_add_f64 v[98:99], v[100:101], -v[61:62]
	v_mul_f64 v[75:76], v[69:70], v[73:74]
	s_delay_alu instid0(VALU_DEP_2) | instskip(NEXT) | instid1(VALU_DEP_2)
	v_add_f64 v[55:56], v[55:56], v[98:99]
	v_fma_f64 v[69:70], v[73:74], v[69:70], -v[75:76]
	s_delay_alu instid0(VALU_DEP_1) | instskip(NEXT) | instid1(VALU_DEP_1)
	v_fma_f64 v[59:60], v[73:74], v[59:60], v[69:70]
	v_add_f64 v[69:70], v[75:76], v[59:60]
	s_delay_alu instid0(VALU_DEP_1) | instskip(SKIP_1) | instid1(VALU_DEP_2)
	v_add_f64 v[96:97], v[61:62], -v[69:70]
	v_add_f64 v[75:76], v[69:70], -v[75:76]
	;; [unrolled: 1-line block ×3, first 2 shown]
	s_delay_alu instid0(VALU_DEP_2) | instskip(NEXT) | instid1(VALU_DEP_2)
	v_add_f64 v[59:60], v[75:76], -v[59:60]
	v_add_f64 v[61:62], v[61:62], -v[69:70]
	s_delay_alu instid0(VALU_DEP_1) | instskip(SKIP_1) | instid1(VALU_DEP_2)
	v_add_f64 v[55:56], v[55:56], v[61:62]
	v_add_f64 v[61:62], v[71:72], v[73:74]
	;; [unrolled: 1-line block ×3, first 2 shown]
	s_delay_alu instid0(VALU_DEP_2) | instskip(NEXT) | instid1(VALU_DEP_2)
	v_add_f64 v[59:60], v[61:62], -v[71:72]
	v_add_f64 v[55:56], v[96:97], v[55:56]
	s_delay_alu instid0(VALU_DEP_2) | instskip(NEXT) | instid1(VALU_DEP_2)
	v_add_f64 v[59:60], v[73:74], -v[59:60]
	v_mul_f64 v[55:56], v[57:58], v[55:56]
	s_delay_alu instid0(VALU_DEP_1) | instskip(NEXT) | instid1(VALU_DEP_1)
	v_add_f64 v[55:56], v[59:60], v[55:56]
	v_add_f64 v[57:58], v[61:62], v[55:56]
	s_delay_alu instid0(VALU_DEP_1) | instskip(NEXT) | instid1(VALU_DEP_1)
	v_mul_f64 v[59:60], v[57:58], v[57:58]
	v_fma_f64 v[69:70], v[59:60], s[38:39], s[36:37]
	s_mov_b32 s36, 0xd7f4df2e
	s_mov_b32 s37, 0x3fc7474d
	v_mul_f64 v[71:72], v[57:58], v[59:60]
	s_delay_alu instid0(VALU_DEP_2)
	v_fma_f64 v[69:70], v[59:60], v[69:70], s[36:37]
	s_mov_b32 s36, 0x16291751
	s_mov_b32 s37, 0x3fcc71c0
	s_delay_alu instid0(VALU_DEP_1) | instid1(SALU_CYCLE_1)
	v_fma_f64 v[69:70], v[59:60], v[69:70], s[36:37]
	s_mov_b32 s36, 0x9b27acf1
	s_mov_b32 s37, 0x3fd24924
	s_delay_alu instid0(VALU_DEP_1) | instid1(SALU_CYCLE_1)
	;; [unrolled: 4-line block ×3, first 2 shown]
	v_fma_f64 v[69:70], v[59:60], v[69:70], s[36:37]
	s_delay_alu instid0(VALU_DEP_1) | instskip(SKIP_3) | instid1(VALU_DEP_4)
	v_fma_f64 v[59:60], v[59:60], v[69:70], s[26:27]
	v_ldexp_f64 v[69:70], v[57:58], 1
	v_add_f64 v[57:58], v[57:58], -v[61:62]
	v_cmp_eq_f64_e64 s26, 0x7ff00000, v[53:54]
	v_mul_f64 v[59:60], v[71:72], v[59:60]
	v_cvt_f64_i32_e32 v[71:72], v102
	s_delay_alu instid0(VALU_DEP_4) | instskip(NEXT) | instid1(VALU_DEP_3)
	v_add_f64 v[55:56], v[55:56], -v[57:58]
	v_add_f64 v[61:62], v[69:70], v[59:60]
	s_delay_alu instid0(VALU_DEP_3) | instskip(NEXT) | instid1(VALU_DEP_3)
	v_mul_f64 v[73:74], v[71:72], s[28:29]
	v_ldexp_f64 v[55:56], v[55:56], 1
	s_delay_alu instid0(VALU_DEP_3) | instskip(NEXT) | instid1(VALU_DEP_3)
	v_add_f64 v[57:58], v[61:62], -v[69:70]
	v_fma_f64 v[69:70], v[71:72], s[28:29], -v[73:74]
	s_delay_alu instid0(VALU_DEP_2) | instskip(NEXT) | instid1(VALU_DEP_2)
	v_add_f64 v[57:58], v[59:60], -v[57:58]
	v_fma_f64 v[59:60], v[71:72], s[30:31], v[69:70]
	s_delay_alu instid0(VALU_DEP_2) | instskip(NEXT) | instid1(VALU_DEP_2)
	v_add_f64 v[55:56], v[55:56], v[57:58]
	v_add_f64 v[57:58], v[73:74], v[59:60]
	s_delay_alu instid0(VALU_DEP_2) | instskip(NEXT) | instid1(VALU_DEP_2)
	v_add_f64 v[69:70], v[61:62], v[55:56]
	v_add_f64 v[73:74], v[57:58], -v[73:74]
	s_delay_alu instid0(VALU_DEP_2) | instskip(SKIP_1) | instid1(VALU_DEP_3)
	v_add_f64 v[71:72], v[57:58], v[69:70]
	v_add_f64 v[61:62], v[69:70], -v[61:62]
	v_add_f64 v[59:60], v[59:60], -v[73:74]
	s_delay_alu instid0(VALU_DEP_3) | instskip(NEXT) | instid1(VALU_DEP_3)
	v_add_f64 v[75:76], v[71:72], -v[57:58]
	v_add_f64 v[55:56], v[55:56], -v[61:62]
	s_delay_alu instid0(VALU_DEP_2) | instskip(SKIP_1) | instid1(VALU_DEP_3)
	v_add_f64 v[96:97], v[71:72], -v[75:76]
	v_add_f64 v[61:62], v[69:70], -v[75:76]
	v_add_f64 v[69:70], v[59:60], v[55:56]
	s_delay_alu instid0(VALU_DEP_3) | instskip(NEXT) | instid1(VALU_DEP_1)
	v_add_f64 v[57:58], v[57:58], -v[96:97]
	v_add_f64 v[57:58], v[61:62], v[57:58]
	s_delay_alu instid0(VALU_DEP_3) | instskip(NEXT) | instid1(VALU_DEP_2)
	v_add_f64 v[61:62], v[69:70], -v[59:60]
	v_add_f64 v[57:58], v[69:70], v[57:58]
	s_delay_alu instid0(VALU_DEP_2) | instskip(SKIP_1) | instid1(VALU_DEP_3)
	v_add_f64 v[69:70], v[69:70], -v[61:62]
	v_add_f64 v[55:56], v[55:56], -v[61:62]
	v_add_f64 v[73:74], v[71:72], v[57:58]
	s_delay_alu instid0(VALU_DEP_3) | instskip(NEXT) | instid1(VALU_DEP_2)
	v_add_f64 v[59:60], v[59:60], -v[69:70]
	v_add_f64 v[61:62], v[73:74], -v[71:72]
	s_delay_alu instid0(VALU_DEP_2) | instskip(NEXT) | instid1(VALU_DEP_2)
	v_add_f64 v[55:56], v[55:56], v[59:60]
	v_add_f64 v[57:58], v[57:58], -v[61:62]
	s_delay_alu instid0(VALU_DEP_1) | instskip(NEXT) | instid1(VALU_DEP_1)
	v_add_f64 v[55:56], v[55:56], v[57:58]
	v_add_f64 v[55:56], v[73:74], v[55:56]
	s_delay_alu instid0(VALU_DEP_1) | instskip(NEXT) | instid1(VALU_DEP_2)
	v_cndmask_b32_e64 v55, v55, v53, s26
	v_cndmask_b32_e64 v56, v56, v54, s26
	v_cmp_ngt_f64_e64 s26, -1.0, v[53:54]
	s_delay_alu instid0(VALU_DEP_1) | instskip(SKIP_1) | instid1(VALU_DEP_1)
	v_cndmask_b32_e64 v56, 0x7ff80000, v56, s26
	v_cmp_nge_f64_e64 s26, -1.0, v[53:54]
	v_cndmask_b32_e64 v55, 0, v55, s26
	v_cmp_neq_f64_e64 s26, -1.0, v[53:54]
	s_delay_alu instid0(VALU_DEP_1) | instskip(NEXT) | instid1(VALU_DEP_1)
	v_cndmask_b32_e64 v56, 0xfff00000, v56, s26
	v_add_f64 v[69:70], v[51:52], v[55:56]
.LBB86_50:
	s_or_b32 exec_lo, exec_lo, s34
	v_max_f64 v[51:52], v[13:14], v[13:14]
	s_delay_alu instid0(VALU_DEP_2) | instskip(SKIP_2) | instid1(VALU_DEP_3)
	v_max_f64 v[53:54], v[69:70], v[69:70]
	v_cmp_u_f64_e64 s27, v[69:70], v[69:70]
	v_cmp_u_f64_e64 s26, v[13:14], v[13:14]
	v_min_f64 v[55:56], v[53:54], v[51:52]
	v_max_f64 v[53:54], v[53:54], v[51:52]
	s_delay_alu instid0(VALU_DEP_2) | instskip(NEXT) | instid1(VALU_DEP_3)
	v_cndmask_b32_e64 v55, v55, v69, s27
	v_cndmask_b32_e64 v56, v56, v70, s27
	s_delay_alu instid0(VALU_DEP_3) | instskip(NEXT) | instid1(VALU_DEP_4)
	v_cndmask_b32_e64 v54, v54, v70, s27
	v_cndmask_b32_e64 v53, v53, v69, s27
	s_delay_alu instid0(VALU_DEP_4) | instskip(NEXT) | instid1(VALU_DEP_4)
	v_cndmask_b32_e64 v55, v55, v13, s26
	v_cndmask_b32_e64 v56, v56, v14, s26
	s_delay_alu instid0(VALU_DEP_4) | instskip(NEXT) | instid1(VALU_DEP_4)
	v_cndmask_b32_e64 v54, v54, v14, s26
	v_cndmask_b32_e64 v53, v53, v13, s26
	s_delay_alu instid0(VALU_DEP_3) | instskip(NEXT) | instid1(VALU_DEP_2)
	v_cmp_class_f64_e64 s28, v[55:56], 0x1f8
	v_cmp_neq_f64_e64 s27, v[55:56], v[53:54]
	s_delay_alu instid0(VALU_DEP_1) | instskip(NEXT) | instid1(SALU_CYCLE_1)
	s_or_b32 s27, s27, s28
	s_and_saveexec_b32 s36, s27
	s_cbranch_execz .LBB86_52
; %bb.51:
	v_add_f64 v[55:56], v[55:56], -v[53:54]
	s_mov_b32 s28, 0x652b82fe
	s_mov_b32 s29, 0x3ff71547
	s_mov_b32 s31, 0xbfe62e42
	s_mov_b32 s30, 0xfefa39ef
	s_mov_b32 s35, 0xbc7abc9e
	s_mov_b32 s34, 0x3b39803f
	s_mov_b32 s38, 0x6a5dcb37
	s_mov_b32 s39, 0x3e5ade15
	s_mov_b32 s40, 0xbf559e2b
	s_mov_b32 s41, 0x3fc3ab76
	s_delay_alu instid0(VALU_DEP_1) | instskip(SKIP_3) | instid1(VALU_DEP_2)
	v_mul_f64 v[57:58], v[55:56], s[28:29]
	s_mov_b32 s28, 0xfca7ab0c
	s_mov_b32 s29, 0x3e928af3
	v_cmp_nlt_f64_e64 s27, 0x40900000, v[55:56]
	v_rndne_f64_e32 v[57:58], v[57:58]
	s_delay_alu instid0(VALU_DEP_1) | instskip(SKIP_2) | instid1(VALU_DEP_2)
	v_fma_f64 v[59:60], v[57:58], s[30:31], v[55:56]
	v_cvt_i32_f64_e32 v69, v[57:58]
	s_mov_b32 s31, 0x3fe62e42
	v_fma_f64 v[59:60], v[57:58], s[34:35], v[59:60]
	s_mov_b32 s35, 0x3c7abc9e
	s_delay_alu instid0(VALU_DEP_1) | instskip(SKIP_4) | instid1(VALU_DEP_1)
	v_fma_f64 v[61:62], v[59:60], s[38:39], s[28:29]
	s_mov_b32 s28, 0x623fde64
	s_mov_b32 s29, 0x3ec71dee
	;; [unrolled: 1-line block ×4, first 2 shown]
	v_fma_f64 v[61:62], v[59:60], v[61:62], s[28:29]
	s_mov_b32 s28, 0x7c89e6b0
	s_mov_b32 s29, 0x3efa0199
	s_delay_alu instid0(VALU_DEP_1) | instid1(SALU_CYCLE_1)
	v_fma_f64 v[61:62], v[59:60], v[61:62], s[28:29]
	s_mov_b32 s28, 0x14761f6e
	s_mov_b32 s29, 0x3f2a01a0
	s_delay_alu instid0(VALU_DEP_1) | instid1(SALU_CYCLE_1)
	;; [unrolled: 4-line block ×7, first 2 shown]
	v_fma_f64 v[61:62], v[59:60], v[61:62], s[28:29]
	v_cmp_ngt_f64_e64 s28, 0xc090cc00, v[55:56]
	s_mov_b32 s29, 0x3fe55555
	s_delay_alu instid0(VALU_DEP_2) | instskip(NEXT) | instid1(VALU_DEP_1)
	v_fma_f64 v[61:62], v[59:60], v[61:62], 1.0
	v_fma_f64 v[57:58], v[59:60], v[61:62], 1.0
	s_delay_alu instid0(VALU_DEP_1) | instskip(NEXT) | instid1(VALU_DEP_1)
	v_ldexp_f64 v[57:58], v[57:58], v69
	v_cndmask_b32_e64 v58, 0x7ff00000, v58, s27
	s_and_b32 s27, s28, s27
	s_delay_alu instid0(VALU_DEP_2) | instid1(SALU_CYCLE_1)
	v_cndmask_b32_e64 v55, 0, v57, s27
	s_delay_alu instid0(VALU_DEP_2) | instskip(SKIP_1) | instid1(VALU_DEP_1)
	v_cndmask_b32_e64 v56, 0, v58, s28
	s_mov_b32 s28, 0x55555555
	v_add_f64 v[57:58], v[55:56], 1.0
	s_delay_alu instid0(VALU_DEP_1) | instskip(SKIP_2) | instid1(VALU_DEP_3)
	v_frexp_mant_f64_e32 v[59:60], v[57:58]
	v_frexp_exp_i32_f64_e32 v69, v[57:58]
	v_add_f64 v[61:62], v[57:58], -1.0
	v_cmp_gt_f64_e64 s27, s[28:29], v[59:60]
	s_mov_b32 s28, 0x55555780
	s_delay_alu instid0(VALU_DEP_2) | instskip(SKIP_1) | instid1(VALU_DEP_3)
	v_add_f64 v[59:60], v[61:62], -v[57:58]
	v_add_f64 v[61:62], v[55:56], -v[61:62]
	v_subrev_co_ci_u32_e64 v104, s27, 0, v69, s27
	s_delay_alu instid0(VALU_DEP_3) | instskip(SKIP_1) | instid1(VALU_DEP_3)
	v_add_f64 v[59:60], v[59:60], 1.0
	v_cmp_eq_f64_e64 s27, 0x7ff00000, v[55:56]
	v_sub_nc_u32_e32 v71, 0, v104
	s_delay_alu instid0(VALU_DEP_1) | instskip(NEXT) | instid1(VALU_DEP_4)
	v_ldexp_f64 v[57:58], v[57:58], v71
	v_add_f64 v[59:60], v[61:62], v[59:60]
	s_delay_alu instid0(VALU_DEP_2) | instskip(SKIP_1) | instid1(VALU_DEP_3)
	v_add_f64 v[69:70], v[57:58], 1.0
	v_add_f64 v[75:76], v[57:58], -1.0
	v_ldexp_f64 v[59:60], v[59:60], v71
	s_delay_alu instid0(VALU_DEP_3) | instskip(NEXT) | instid1(VALU_DEP_3)
	v_add_f64 v[61:62], v[69:70], -1.0
	v_add_f64 v[96:97], v[75:76], 1.0
	s_delay_alu instid0(VALU_DEP_2) | instskip(NEXT) | instid1(VALU_DEP_2)
	v_add_f64 v[61:62], v[57:58], -v[61:62]
	v_add_f64 v[57:58], v[57:58], -v[96:97]
	s_delay_alu instid0(VALU_DEP_2) | instskip(NEXT) | instid1(VALU_DEP_2)
	v_add_f64 v[61:62], v[59:60], v[61:62]
	v_add_f64 v[57:58], v[59:60], v[57:58]
	s_delay_alu instid0(VALU_DEP_2) | instskip(NEXT) | instid1(VALU_DEP_2)
	v_add_f64 v[71:72], v[69:70], v[61:62]
	v_add_f64 v[96:97], v[75:76], v[57:58]
	s_delay_alu instid0(VALU_DEP_2) | instskip(SKIP_1) | instid1(VALU_DEP_2)
	v_rcp_f64_e32 v[73:74], v[71:72]
	v_add_f64 v[69:70], v[71:72], -v[69:70]
	v_add_f64 v[75:76], v[96:97], -v[75:76]
	s_delay_alu instid0(VALU_DEP_2) | instskip(SKIP_3) | instid1(VALU_DEP_2)
	v_add_f64 v[61:62], v[61:62], -v[69:70]
	s_waitcnt_depctr 0xfff
	v_fma_f64 v[98:99], -v[71:72], v[73:74], 1.0
	v_add_f64 v[57:58], v[57:58], -v[75:76]
	v_fma_f64 v[73:74], v[98:99], v[73:74], v[73:74]
	s_delay_alu instid0(VALU_DEP_1) | instskip(NEXT) | instid1(VALU_DEP_1)
	v_fma_f64 v[59:60], -v[71:72], v[73:74], 1.0
	v_fma_f64 v[59:60], v[59:60], v[73:74], v[73:74]
	s_delay_alu instid0(VALU_DEP_1) | instskip(NEXT) | instid1(VALU_DEP_1)
	v_mul_f64 v[73:74], v[96:97], v[59:60]
	v_mul_f64 v[98:99], v[71:72], v[73:74]
	s_delay_alu instid0(VALU_DEP_1) | instskip(NEXT) | instid1(VALU_DEP_1)
	v_fma_f64 v[69:70], v[73:74], v[71:72], -v[98:99]
	v_fma_f64 v[69:70], v[73:74], v[61:62], v[69:70]
	s_delay_alu instid0(VALU_DEP_1) | instskip(NEXT) | instid1(VALU_DEP_1)
	v_add_f64 v[100:101], v[98:99], v[69:70]
	v_add_f64 v[102:103], v[96:97], -v[100:101]
	v_add_f64 v[75:76], v[100:101], -v[98:99]
	s_delay_alu instid0(VALU_DEP_2) | instskip(NEXT) | instid1(VALU_DEP_2)
	v_add_f64 v[96:97], v[96:97], -v[102:103]
	v_add_f64 v[69:70], v[75:76], -v[69:70]
	s_delay_alu instid0(VALU_DEP_2) | instskip(NEXT) | instid1(VALU_DEP_1)
	v_add_f64 v[96:97], v[96:97], -v[100:101]
	v_add_f64 v[57:58], v[57:58], v[96:97]
	s_delay_alu instid0(VALU_DEP_1) | instskip(NEXT) | instid1(VALU_DEP_1)
	v_add_f64 v[57:58], v[69:70], v[57:58]
	v_add_f64 v[69:70], v[102:103], v[57:58]
	s_delay_alu instid0(VALU_DEP_1) | instskip(SKIP_1) | instid1(VALU_DEP_2)
	v_mul_f64 v[75:76], v[59:60], v[69:70]
	v_add_f64 v[100:101], v[102:103], -v[69:70]
	v_mul_f64 v[96:97], v[71:72], v[75:76]
	s_delay_alu instid0(VALU_DEP_2) | instskip(NEXT) | instid1(VALU_DEP_2)
	v_add_f64 v[57:58], v[57:58], v[100:101]
	v_fma_f64 v[71:72], v[75:76], v[71:72], -v[96:97]
	s_delay_alu instid0(VALU_DEP_1) | instskip(NEXT) | instid1(VALU_DEP_1)
	v_fma_f64 v[61:62], v[75:76], v[61:62], v[71:72]
	v_add_f64 v[71:72], v[96:97], v[61:62]
	s_delay_alu instid0(VALU_DEP_1) | instskip(SKIP_1) | instid1(VALU_DEP_2)
	v_add_f64 v[98:99], v[69:70], -v[71:72]
	v_add_f64 v[96:97], v[71:72], -v[96:97]
	v_add_f64 v[69:70], v[69:70], -v[98:99]
	s_delay_alu instid0(VALU_DEP_2) | instskip(NEXT) | instid1(VALU_DEP_2)
	v_add_f64 v[61:62], v[96:97], -v[61:62]
	v_add_f64 v[69:70], v[69:70], -v[71:72]
	s_delay_alu instid0(VALU_DEP_1) | instskip(SKIP_1) | instid1(VALU_DEP_2)
	v_add_f64 v[57:58], v[57:58], v[69:70]
	v_add_f64 v[69:70], v[73:74], v[75:76]
	;; [unrolled: 1-line block ×3, first 2 shown]
	s_delay_alu instid0(VALU_DEP_2) | instskip(NEXT) | instid1(VALU_DEP_2)
	v_add_f64 v[61:62], v[69:70], -v[73:74]
	v_add_f64 v[57:58], v[98:99], v[57:58]
	s_delay_alu instid0(VALU_DEP_2) | instskip(NEXT) | instid1(VALU_DEP_2)
	v_add_f64 v[61:62], v[75:76], -v[61:62]
	v_mul_f64 v[57:58], v[59:60], v[57:58]
	s_delay_alu instid0(VALU_DEP_1) | instskip(NEXT) | instid1(VALU_DEP_1)
	v_add_f64 v[57:58], v[61:62], v[57:58]
	v_add_f64 v[59:60], v[69:70], v[57:58]
	s_delay_alu instid0(VALU_DEP_1) | instskip(NEXT) | instid1(VALU_DEP_1)
	v_mul_f64 v[61:62], v[59:60], v[59:60]
	v_fma_f64 v[71:72], v[61:62], s[40:41], s[38:39]
	s_mov_b32 s38, 0xd7f4df2e
	s_mov_b32 s39, 0x3fc7474d
	v_mul_f64 v[73:74], v[59:60], v[61:62]
	s_delay_alu instid0(VALU_DEP_2)
	v_fma_f64 v[71:72], v[61:62], v[71:72], s[38:39]
	s_mov_b32 s38, 0x16291751
	s_mov_b32 s39, 0x3fcc71c0
	s_delay_alu instid0(VALU_DEP_1) | instid1(SALU_CYCLE_1)
	v_fma_f64 v[71:72], v[61:62], v[71:72], s[38:39]
	s_mov_b32 s38, 0x9b27acf1
	s_mov_b32 s39, 0x3fd24924
	s_delay_alu instid0(VALU_DEP_1) | instid1(SALU_CYCLE_1)
	;; [unrolled: 4-line block ×3, first 2 shown]
	v_fma_f64 v[71:72], v[61:62], v[71:72], s[38:39]
	s_delay_alu instid0(VALU_DEP_1) | instskip(SKIP_2) | instid1(VALU_DEP_3)
	v_fma_f64 v[61:62], v[61:62], v[71:72], s[28:29]
	v_ldexp_f64 v[71:72], v[59:60], 1
	v_add_f64 v[59:60], v[59:60], -v[69:70]
	v_mul_f64 v[61:62], v[73:74], v[61:62]
	v_cvt_f64_i32_e32 v[73:74], v104
	s_delay_alu instid0(VALU_DEP_3) | instskip(NEXT) | instid1(VALU_DEP_3)
	v_add_f64 v[57:58], v[57:58], -v[59:60]
	v_add_f64 v[69:70], v[71:72], v[61:62]
	s_delay_alu instid0(VALU_DEP_3) | instskip(NEXT) | instid1(VALU_DEP_3)
	v_mul_f64 v[75:76], v[73:74], s[30:31]
	v_ldexp_f64 v[57:58], v[57:58], 1
	s_delay_alu instid0(VALU_DEP_3) | instskip(NEXT) | instid1(VALU_DEP_3)
	v_add_f64 v[59:60], v[69:70], -v[71:72]
	v_fma_f64 v[71:72], v[73:74], s[30:31], -v[75:76]
	s_delay_alu instid0(VALU_DEP_2) | instskip(NEXT) | instid1(VALU_DEP_2)
	v_add_f64 v[59:60], v[61:62], -v[59:60]
	v_fma_f64 v[61:62], v[73:74], s[34:35], v[71:72]
	s_delay_alu instid0(VALU_DEP_2) | instskip(NEXT) | instid1(VALU_DEP_2)
	v_add_f64 v[57:58], v[57:58], v[59:60]
	v_add_f64 v[59:60], v[75:76], v[61:62]
	s_delay_alu instid0(VALU_DEP_2) | instskip(NEXT) | instid1(VALU_DEP_2)
	v_add_f64 v[71:72], v[69:70], v[57:58]
	v_add_f64 v[75:76], v[59:60], -v[75:76]
	s_delay_alu instid0(VALU_DEP_2) | instskip(SKIP_1) | instid1(VALU_DEP_3)
	v_add_f64 v[73:74], v[59:60], v[71:72]
	v_add_f64 v[69:70], v[71:72], -v[69:70]
	v_add_f64 v[61:62], v[61:62], -v[75:76]
	s_delay_alu instid0(VALU_DEP_3) | instskip(NEXT) | instid1(VALU_DEP_3)
	v_add_f64 v[96:97], v[73:74], -v[59:60]
	v_add_f64 v[57:58], v[57:58], -v[69:70]
	s_delay_alu instid0(VALU_DEP_2) | instskip(SKIP_1) | instid1(VALU_DEP_3)
	v_add_f64 v[98:99], v[73:74], -v[96:97]
	v_add_f64 v[69:70], v[71:72], -v[96:97]
	v_add_f64 v[71:72], v[61:62], v[57:58]
	s_delay_alu instid0(VALU_DEP_3) | instskip(NEXT) | instid1(VALU_DEP_1)
	v_add_f64 v[59:60], v[59:60], -v[98:99]
	v_add_f64 v[59:60], v[69:70], v[59:60]
	s_delay_alu instid0(VALU_DEP_3) | instskip(NEXT) | instid1(VALU_DEP_2)
	v_add_f64 v[69:70], v[71:72], -v[61:62]
	v_add_f64 v[59:60], v[71:72], v[59:60]
	s_delay_alu instid0(VALU_DEP_2) | instskip(SKIP_1) | instid1(VALU_DEP_3)
	v_add_f64 v[71:72], v[71:72], -v[69:70]
	v_add_f64 v[57:58], v[57:58], -v[69:70]
	v_add_f64 v[75:76], v[73:74], v[59:60]
	s_delay_alu instid0(VALU_DEP_3) | instskip(NEXT) | instid1(VALU_DEP_2)
	v_add_f64 v[61:62], v[61:62], -v[71:72]
	v_add_f64 v[69:70], v[75:76], -v[73:74]
	s_delay_alu instid0(VALU_DEP_2) | instskip(NEXT) | instid1(VALU_DEP_2)
	v_add_f64 v[57:58], v[57:58], v[61:62]
	v_add_f64 v[59:60], v[59:60], -v[69:70]
	s_delay_alu instid0(VALU_DEP_1) | instskip(NEXT) | instid1(VALU_DEP_1)
	v_add_f64 v[57:58], v[57:58], v[59:60]
	v_add_f64 v[57:58], v[75:76], v[57:58]
	s_delay_alu instid0(VALU_DEP_1) | instskip(NEXT) | instid1(VALU_DEP_2)
	v_cndmask_b32_e64 v57, v57, v55, s27
	v_cndmask_b32_e64 v58, v58, v56, s27
	v_cmp_ngt_f64_e64 s27, -1.0, v[55:56]
	s_delay_alu instid0(VALU_DEP_1) | instskip(SKIP_1) | instid1(VALU_DEP_1)
	v_cndmask_b32_e64 v58, 0x7ff80000, v58, s27
	v_cmp_nge_f64_e64 s27, -1.0, v[55:56]
	v_cndmask_b32_e64 v57, 0, v57, s27
	v_cmp_neq_f64_e64 s27, -1.0, v[55:56]
	s_delay_alu instid0(VALU_DEP_1) | instskip(NEXT) | instid1(VALU_DEP_1)
	v_cndmask_b32_e64 v58, 0xfff00000, v58, s27
	v_add_f64 v[69:70], v[53:54], v[57:58]
.LBB86_52:
	s_or_b32 exec_lo, exec_lo, s36
	v_max_f64 v[53:54], v[15:16], v[15:16]
	s_delay_alu instid0(VALU_DEP_2) | instskip(SKIP_2) | instid1(VALU_DEP_3)
	v_max_f64 v[55:56], v[69:70], v[69:70]
	v_cmp_u_f64_e64 s28, v[69:70], v[69:70]
	v_cmp_u_f64_e64 s27, v[15:16], v[15:16]
	v_min_f64 v[57:58], v[55:56], v[53:54]
	v_max_f64 v[55:56], v[55:56], v[53:54]
	s_delay_alu instid0(VALU_DEP_2) | instskip(NEXT) | instid1(VALU_DEP_3)
	v_cndmask_b32_e64 v57, v57, v69, s28
	v_cndmask_b32_e64 v58, v58, v70, s28
	s_delay_alu instid0(VALU_DEP_3) | instskip(NEXT) | instid1(VALU_DEP_4)
	v_cndmask_b32_e64 v56, v56, v70, s28
	v_cndmask_b32_e64 v55, v55, v69, s28
	s_delay_alu instid0(VALU_DEP_4) | instskip(NEXT) | instid1(VALU_DEP_4)
	v_cndmask_b32_e64 v57, v57, v15, s27
	v_cndmask_b32_e64 v58, v58, v16, s27
	s_delay_alu instid0(VALU_DEP_4) | instskip(NEXT) | instid1(VALU_DEP_4)
	v_cndmask_b32_e64 v56, v56, v16, s27
	v_cndmask_b32_e64 v55, v55, v15, s27
	s_delay_alu instid0(VALU_DEP_3) | instskip(NEXT) | instid1(VALU_DEP_2)
	v_cmp_class_f64_e64 s29, v[57:58], 0x1f8
	v_cmp_neq_f64_e64 s28, v[57:58], v[55:56]
	s_delay_alu instid0(VALU_DEP_1) | instskip(NEXT) | instid1(SALU_CYCLE_1)
	s_or_b32 s28, s28, s29
	s_and_saveexec_b32 s36, s28
	s_cbranch_execz .LBB86_54
; %bb.53:
	v_add_f64 v[57:58], v[57:58], -v[55:56]
	s_mov_b32 s28, 0x652b82fe
	s_mov_b32 s29, 0x3ff71547
	;; [unrolled: 1-line block ×10, first 2 shown]
	s_delay_alu instid0(VALU_DEP_1) | instskip(SKIP_2) | instid1(VALU_DEP_1)
	v_mul_f64 v[59:60], v[57:58], s[28:29]
	s_mov_b32 s28, 0xfca7ab0c
	s_mov_b32 s29, 0x3e928af3
	v_rndne_f64_e32 v[59:60], v[59:60]
	s_delay_alu instid0(VALU_DEP_1) | instskip(SKIP_2) | instid1(VALU_DEP_2)
	v_fma_f64 v[61:62], v[59:60], s[30:31], v[57:58]
	v_cvt_i32_f64_e32 v71, v[59:60]
	s_mov_b32 s31, 0x3fe62e42
	v_fma_f64 v[61:62], v[59:60], s[34:35], v[61:62]
	s_mov_b32 s35, 0x3c7abc9e
	s_delay_alu instid0(VALU_DEP_1) | instskip(SKIP_4) | instid1(VALU_DEP_1)
	v_fma_f64 v[69:70], v[61:62], s[38:39], s[28:29]
	s_mov_b32 s28, 0x623fde64
	s_mov_b32 s29, 0x3ec71dee
	s_mov_b32 s38, 0x6b47b09a
	s_mov_b32 s39, 0x3fc38538
	v_fma_f64 v[69:70], v[61:62], v[69:70], s[28:29]
	s_mov_b32 s28, 0x7c89e6b0
	s_mov_b32 s29, 0x3efa0199
	s_delay_alu instid0(VALU_DEP_1) | instid1(SALU_CYCLE_1)
	v_fma_f64 v[69:70], v[61:62], v[69:70], s[28:29]
	s_mov_b32 s28, 0x14761f6e
	s_mov_b32 s29, 0x3f2a01a0
	s_delay_alu instid0(VALU_DEP_1) | instid1(SALU_CYCLE_1)
	;; [unrolled: 4-line block ×7, first 2 shown]
	v_fma_f64 v[69:70], v[61:62], v[69:70], s[28:29]
	v_cmp_nlt_f64_e64 s28, 0x40900000, v[57:58]
	v_cmp_ngt_f64_e64 s29, 0xc090cc00, v[57:58]
	s_delay_alu instid0(VALU_DEP_3) | instskip(NEXT) | instid1(VALU_DEP_1)
	v_fma_f64 v[69:70], v[61:62], v[69:70], 1.0
	v_fma_f64 v[59:60], v[61:62], v[69:70], 1.0
	s_delay_alu instid0(VALU_DEP_1) | instskip(NEXT) | instid1(VALU_DEP_1)
	v_ldexp_f64 v[59:60], v[59:60], v71
	v_cndmask_b32_e64 v60, 0x7ff00000, v60, s28
	s_and_b32 s28, s29, s28
	s_delay_alu instid0(VALU_DEP_2) | instid1(SALU_CYCLE_1)
	v_cndmask_b32_e64 v57, 0, v59, s28
	s_mov_b32 s28, 0x55555555
	s_delay_alu instid0(VALU_DEP_2) | instskip(SKIP_1) | instid1(VALU_DEP_1)
	v_cndmask_b32_e64 v58, 0, v60, s29
	s_mov_b32 s29, 0x3fe55555
	v_add_f64 v[59:60], v[57:58], 1.0
	s_delay_alu instid0(VALU_DEP_1) | instskip(SKIP_2) | instid1(VALU_DEP_3)
	v_frexp_mant_f64_e32 v[61:62], v[59:60]
	v_frexp_exp_i32_f64_e32 v71, v[59:60]
	v_add_f64 v[69:70], v[59:60], -1.0
	v_cmp_gt_f64_e64 s28, s[28:29], v[61:62]
	s_delay_alu instid0(VALU_DEP_2) | instskip(SKIP_1) | instid1(VALU_DEP_3)
	v_add_f64 v[61:62], v[69:70], -v[59:60]
	v_add_f64 v[69:70], v[57:58], -v[69:70]
	v_subrev_co_ci_u32_e64 v106, s28, 0, v71, s28
	s_delay_alu instid0(VALU_DEP_3) | instskip(SKIP_1) | instid1(VALU_DEP_2)
	v_add_f64 v[61:62], v[61:62], 1.0
	s_mov_b32 s28, 0x55555780
	v_sub_nc_u32_e32 v73, 0, v106
	s_delay_alu instid0(VALU_DEP_1) | instskip(NEXT) | instid1(VALU_DEP_3)
	v_ldexp_f64 v[59:60], v[59:60], v73
	v_add_f64 v[61:62], v[69:70], v[61:62]
	s_delay_alu instid0(VALU_DEP_2) | instskip(SKIP_1) | instid1(VALU_DEP_3)
	v_add_f64 v[71:72], v[59:60], 1.0
	v_add_f64 v[96:97], v[59:60], -1.0
	v_ldexp_f64 v[61:62], v[61:62], v73
	s_delay_alu instid0(VALU_DEP_3) | instskip(NEXT) | instid1(VALU_DEP_3)
	v_add_f64 v[69:70], v[71:72], -1.0
	v_add_f64 v[98:99], v[96:97], 1.0
	s_delay_alu instid0(VALU_DEP_2) | instskip(NEXT) | instid1(VALU_DEP_2)
	v_add_f64 v[69:70], v[59:60], -v[69:70]
	v_add_f64 v[59:60], v[59:60], -v[98:99]
	s_delay_alu instid0(VALU_DEP_2) | instskip(NEXT) | instid1(VALU_DEP_2)
	v_add_f64 v[69:70], v[61:62], v[69:70]
	v_add_f64 v[59:60], v[61:62], v[59:60]
	s_delay_alu instid0(VALU_DEP_2) | instskip(NEXT) | instid1(VALU_DEP_2)
	v_add_f64 v[73:74], v[71:72], v[69:70]
	v_add_f64 v[98:99], v[96:97], v[59:60]
	s_delay_alu instid0(VALU_DEP_2) | instskip(SKIP_1) | instid1(VALU_DEP_2)
	v_rcp_f64_e32 v[75:76], v[73:74]
	v_add_f64 v[71:72], v[73:74], -v[71:72]
	v_add_f64 v[96:97], v[98:99], -v[96:97]
	s_delay_alu instid0(VALU_DEP_2) | instskip(SKIP_3) | instid1(VALU_DEP_2)
	v_add_f64 v[69:70], v[69:70], -v[71:72]
	s_waitcnt_depctr 0xfff
	v_fma_f64 v[100:101], -v[73:74], v[75:76], 1.0
	v_add_f64 v[59:60], v[59:60], -v[96:97]
	v_fma_f64 v[75:76], v[100:101], v[75:76], v[75:76]
	s_delay_alu instid0(VALU_DEP_1) | instskip(NEXT) | instid1(VALU_DEP_1)
	v_fma_f64 v[61:62], -v[73:74], v[75:76], 1.0
	v_fma_f64 v[61:62], v[61:62], v[75:76], v[75:76]
	s_delay_alu instid0(VALU_DEP_1) | instskip(NEXT) | instid1(VALU_DEP_1)
	v_mul_f64 v[75:76], v[98:99], v[61:62]
	v_mul_f64 v[100:101], v[73:74], v[75:76]
	s_delay_alu instid0(VALU_DEP_1) | instskip(NEXT) | instid1(VALU_DEP_1)
	v_fma_f64 v[71:72], v[75:76], v[73:74], -v[100:101]
	v_fma_f64 v[71:72], v[75:76], v[69:70], v[71:72]
	s_delay_alu instid0(VALU_DEP_1) | instskip(NEXT) | instid1(VALU_DEP_1)
	v_add_f64 v[102:103], v[100:101], v[71:72]
	v_add_f64 v[104:105], v[98:99], -v[102:103]
	v_add_f64 v[96:97], v[102:103], -v[100:101]
	s_delay_alu instid0(VALU_DEP_2) | instskip(NEXT) | instid1(VALU_DEP_2)
	v_add_f64 v[98:99], v[98:99], -v[104:105]
	v_add_f64 v[71:72], v[96:97], -v[71:72]
	s_delay_alu instid0(VALU_DEP_2) | instskip(NEXT) | instid1(VALU_DEP_1)
	v_add_f64 v[98:99], v[98:99], -v[102:103]
	v_add_f64 v[59:60], v[59:60], v[98:99]
	s_delay_alu instid0(VALU_DEP_1) | instskip(NEXT) | instid1(VALU_DEP_1)
	v_add_f64 v[59:60], v[71:72], v[59:60]
	v_add_f64 v[71:72], v[104:105], v[59:60]
	s_delay_alu instid0(VALU_DEP_1) | instskip(SKIP_1) | instid1(VALU_DEP_2)
	v_mul_f64 v[96:97], v[61:62], v[71:72]
	v_add_f64 v[102:103], v[104:105], -v[71:72]
	v_mul_f64 v[98:99], v[73:74], v[96:97]
	s_delay_alu instid0(VALU_DEP_2) | instskip(NEXT) | instid1(VALU_DEP_2)
	v_add_f64 v[59:60], v[59:60], v[102:103]
	v_fma_f64 v[73:74], v[96:97], v[73:74], -v[98:99]
	s_delay_alu instid0(VALU_DEP_1) | instskip(NEXT) | instid1(VALU_DEP_1)
	v_fma_f64 v[69:70], v[96:97], v[69:70], v[73:74]
	v_add_f64 v[73:74], v[98:99], v[69:70]
	s_delay_alu instid0(VALU_DEP_1) | instskip(SKIP_1) | instid1(VALU_DEP_2)
	v_add_f64 v[100:101], v[71:72], -v[73:74]
	v_add_f64 v[98:99], v[73:74], -v[98:99]
	;; [unrolled: 1-line block ×3, first 2 shown]
	s_delay_alu instid0(VALU_DEP_2) | instskip(NEXT) | instid1(VALU_DEP_2)
	v_add_f64 v[69:70], v[98:99], -v[69:70]
	v_add_f64 v[71:72], v[71:72], -v[73:74]
	s_delay_alu instid0(VALU_DEP_1) | instskip(SKIP_1) | instid1(VALU_DEP_2)
	v_add_f64 v[59:60], v[59:60], v[71:72]
	v_add_f64 v[71:72], v[75:76], v[96:97]
	;; [unrolled: 1-line block ×3, first 2 shown]
	s_delay_alu instid0(VALU_DEP_2) | instskip(NEXT) | instid1(VALU_DEP_2)
	v_add_f64 v[69:70], v[71:72], -v[75:76]
	v_add_f64 v[59:60], v[100:101], v[59:60]
	s_delay_alu instid0(VALU_DEP_2) | instskip(NEXT) | instid1(VALU_DEP_2)
	v_add_f64 v[69:70], v[96:97], -v[69:70]
	v_mul_f64 v[59:60], v[61:62], v[59:60]
	s_delay_alu instid0(VALU_DEP_1) | instskip(NEXT) | instid1(VALU_DEP_1)
	v_add_f64 v[59:60], v[69:70], v[59:60]
	v_add_f64 v[61:62], v[71:72], v[59:60]
	s_delay_alu instid0(VALU_DEP_1) | instskip(NEXT) | instid1(VALU_DEP_1)
	v_mul_f64 v[69:70], v[61:62], v[61:62]
	v_fma_f64 v[73:74], v[69:70], s[40:41], s[38:39]
	s_mov_b32 s38, 0xd7f4df2e
	s_mov_b32 s39, 0x3fc7474d
	v_mul_f64 v[75:76], v[61:62], v[69:70]
	s_delay_alu instid0(VALU_DEP_2)
	v_fma_f64 v[73:74], v[69:70], v[73:74], s[38:39]
	s_mov_b32 s38, 0x16291751
	s_mov_b32 s39, 0x3fcc71c0
	s_delay_alu instid0(VALU_DEP_1) | instid1(SALU_CYCLE_1)
	v_fma_f64 v[73:74], v[69:70], v[73:74], s[38:39]
	s_mov_b32 s38, 0x9b27acf1
	s_mov_b32 s39, 0x3fd24924
	s_delay_alu instid0(VALU_DEP_1) | instid1(SALU_CYCLE_1)
	;; [unrolled: 4-line block ×3, first 2 shown]
	v_fma_f64 v[73:74], v[69:70], v[73:74], s[38:39]
	s_delay_alu instid0(VALU_DEP_1) | instskip(SKIP_3) | instid1(VALU_DEP_4)
	v_fma_f64 v[69:70], v[69:70], v[73:74], s[28:29]
	v_ldexp_f64 v[73:74], v[61:62], 1
	v_add_f64 v[61:62], v[61:62], -v[71:72]
	v_cmp_eq_f64_e64 s28, 0x7ff00000, v[57:58]
	v_mul_f64 v[69:70], v[75:76], v[69:70]
	v_cvt_f64_i32_e32 v[75:76], v106
	s_delay_alu instid0(VALU_DEP_4) | instskip(NEXT) | instid1(VALU_DEP_3)
	v_add_f64 v[59:60], v[59:60], -v[61:62]
	v_add_f64 v[71:72], v[73:74], v[69:70]
	s_delay_alu instid0(VALU_DEP_3) | instskip(NEXT) | instid1(VALU_DEP_3)
	v_mul_f64 v[96:97], v[75:76], s[30:31]
	v_ldexp_f64 v[59:60], v[59:60], 1
	s_delay_alu instid0(VALU_DEP_3) | instskip(NEXT) | instid1(VALU_DEP_3)
	v_add_f64 v[61:62], v[71:72], -v[73:74]
	v_fma_f64 v[73:74], v[75:76], s[30:31], -v[96:97]
	s_delay_alu instid0(VALU_DEP_2) | instskip(NEXT) | instid1(VALU_DEP_2)
	v_add_f64 v[61:62], v[69:70], -v[61:62]
	v_fma_f64 v[69:70], v[75:76], s[34:35], v[73:74]
	s_delay_alu instid0(VALU_DEP_2) | instskip(NEXT) | instid1(VALU_DEP_2)
	v_add_f64 v[59:60], v[59:60], v[61:62]
	v_add_f64 v[61:62], v[96:97], v[69:70]
	s_delay_alu instid0(VALU_DEP_2) | instskip(NEXT) | instid1(VALU_DEP_2)
	v_add_f64 v[73:74], v[71:72], v[59:60]
	v_add_f64 v[96:97], v[61:62], -v[96:97]
	s_delay_alu instid0(VALU_DEP_2) | instskip(SKIP_1) | instid1(VALU_DEP_3)
	v_add_f64 v[75:76], v[61:62], v[73:74]
	v_add_f64 v[71:72], v[73:74], -v[71:72]
	v_add_f64 v[69:70], v[69:70], -v[96:97]
	s_delay_alu instid0(VALU_DEP_3) | instskip(NEXT) | instid1(VALU_DEP_3)
	v_add_f64 v[98:99], v[75:76], -v[61:62]
	v_add_f64 v[59:60], v[59:60], -v[71:72]
	s_delay_alu instid0(VALU_DEP_2) | instskip(SKIP_1) | instid1(VALU_DEP_3)
	v_add_f64 v[100:101], v[75:76], -v[98:99]
	v_add_f64 v[71:72], v[73:74], -v[98:99]
	v_add_f64 v[73:74], v[69:70], v[59:60]
	s_delay_alu instid0(VALU_DEP_3) | instskip(NEXT) | instid1(VALU_DEP_1)
	v_add_f64 v[61:62], v[61:62], -v[100:101]
	v_add_f64 v[61:62], v[71:72], v[61:62]
	s_delay_alu instid0(VALU_DEP_3) | instskip(NEXT) | instid1(VALU_DEP_2)
	v_add_f64 v[71:72], v[73:74], -v[69:70]
	v_add_f64 v[61:62], v[73:74], v[61:62]
	s_delay_alu instid0(VALU_DEP_2) | instskip(SKIP_1) | instid1(VALU_DEP_3)
	v_add_f64 v[73:74], v[73:74], -v[71:72]
	v_add_f64 v[59:60], v[59:60], -v[71:72]
	v_add_f64 v[96:97], v[75:76], v[61:62]
	s_delay_alu instid0(VALU_DEP_3) | instskip(NEXT) | instid1(VALU_DEP_2)
	v_add_f64 v[69:70], v[69:70], -v[73:74]
	v_add_f64 v[71:72], v[96:97], -v[75:76]
	s_delay_alu instid0(VALU_DEP_2) | instskip(NEXT) | instid1(VALU_DEP_2)
	v_add_f64 v[59:60], v[59:60], v[69:70]
	v_add_f64 v[61:62], v[61:62], -v[71:72]
	s_delay_alu instid0(VALU_DEP_1) | instskip(NEXT) | instid1(VALU_DEP_1)
	v_add_f64 v[59:60], v[59:60], v[61:62]
	v_add_f64 v[59:60], v[96:97], v[59:60]
	s_delay_alu instid0(VALU_DEP_1) | instskip(NEXT) | instid1(VALU_DEP_2)
	v_cndmask_b32_e64 v59, v59, v57, s28
	v_cndmask_b32_e64 v60, v60, v58, s28
	v_cmp_ngt_f64_e64 s28, -1.0, v[57:58]
	s_delay_alu instid0(VALU_DEP_1) | instskip(SKIP_1) | instid1(VALU_DEP_1)
	v_cndmask_b32_e64 v60, 0x7ff80000, v60, s28
	v_cmp_nge_f64_e64 s28, -1.0, v[57:58]
	v_cndmask_b32_e64 v59, 0, v59, s28
	v_cmp_neq_f64_e64 s28, -1.0, v[57:58]
	s_delay_alu instid0(VALU_DEP_1) | instskip(NEXT) | instid1(VALU_DEP_1)
	v_cndmask_b32_e64 v60, 0xfff00000, v60, s28
	v_add_f64 v[69:70], v[55:56], v[59:60]
.LBB86_54:
	s_or_b32 exec_lo, exec_lo, s36
	v_max_f64 v[55:56], v[9:10], v[9:10]
	s_delay_alu instid0(VALU_DEP_2) | instskip(SKIP_2) | instid1(VALU_DEP_3)
	v_max_f64 v[57:58], v[69:70], v[69:70]
	v_cmp_u_f64_e64 s29, v[69:70], v[69:70]
	v_cmp_u_f64_e64 s28, v[9:10], v[9:10]
	v_min_f64 v[59:60], v[57:58], v[55:56]
	v_max_f64 v[57:58], v[57:58], v[55:56]
	s_delay_alu instid0(VALU_DEP_2) | instskip(NEXT) | instid1(VALU_DEP_3)
	v_cndmask_b32_e64 v59, v59, v69, s29
	v_cndmask_b32_e64 v60, v60, v70, s29
	s_delay_alu instid0(VALU_DEP_3) | instskip(NEXT) | instid1(VALU_DEP_4)
	v_cndmask_b32_e64 v58, v58, v70, s29
	v_cndmask_b32_e64 v57, v57, v69, s29
	s_delay_alu instid0(VALU_DEP_4) | instskip(NEXT) | instid1(VALU_DEP_4)
	v_cndmask_b32_e64 v59, v59, v9, s28
	v_cndmask_b32_e64 v60, v60, v10, s28
	s_delay_alu instid0(VALU_DEP_4) | instskip(NEXT) | instid1(VALU_DEP_4)
	v_cndmask_b32_e64 v58, v58, v10, s28
	v_cndmask_b32_e64 v57, v57, v9, s28
	s_delay_alu instid0(VALU_DEP_3) | instskip(NEXT) | instid1(VALU_DEP_2)
	v_cmp_class_f64_e64 s30, v[59:60], 0x1f8
	v_cmp_neq_f64_e64 s29, v[59:60], v[57:58]
	s_delay_alu instid0(VALU_DEP_1) | instskip(NEXT) | instid1(SALU_CYCLE_1)
	s_or_b32 s29, s29, s30
	s_and_saveexec_b32 s38, s29
	s_cbranch_execz .LBB86_56
; %bb.55:
	v_add_f64 v[59:60], v[59:60], -v[57:58]
	s_mov_b32 s30, 0x652b82fe
	s_mov_b32 s31, 0x3ff71547
	;; [unrolled: 1-line block ×10, first 2 shown]
	s_delay_alu instid0(VALU_DEP_1) | instskip(SKIP_3) | instid1(VALU_DEP_2)
	v_mul_f64 v[61:62], v[59:60], s[30:31]
	s_mov_b32 s30, 0xfca7ab0c
	s_mov_b32 s31, 0x3e928af3
	v_cmp_nlt_f64_e64 s29, 0x40900000, v[59:60]
	v_rndne_f64_e32 v[61:62], v[61:62]
	s_delay_alu instid0(VALU_DEP_1) | instskip(SKIP_2) | instid1(VALU_DEP_2)
	v_fma_f64 v[69:70], v[61:62], s[34:35], v[59:60]
	v_cvt_i32_f64_e32 v73, v[61:62]
	s_mov_b32 s35, 0x3fe62e42
	v_fma_f64 v[69:70], v[61:62], s[36:37], v[69:70]
	s_mov_b32 s37, 0x3c7abc9e
	s_delay_alu instid0(VALU_DEP_1) | instskip(SKIP_4) | instid1(VALU_DEP_1)
	v_fma_f64 v[71:72], v[69:70], s[40:41], s[30:31]
	s_mov_b32 s30, 0x623fde64
	s_mov_b32 s31, 0x3ec71dee
	;; [unrolled: 1-line block ×4, first 2 shown]
	v_fma_f64 v[71:72], v[69:70], v[71:72], s[30:31]
	s_mov_b32 s30, 0x7c89e6b0
	s_mov_b32 s31, 0x3efa0199
	s_delay_alu instid0(VALU_DEP_1) | instid1(SALU_CYCLE_1)
	v_fma_f64 v[71:72], v[69:70], v[71:72], s[30:31]
	s_mov_b32 s30, 0x14761f6e
	s_mov_b32 s31, 0x3f2a01a0
	s_delay_alu instid0(VALU_DEP_1) | instid1(SALU_CYCLE_1)
	;; [unrolled: 4-line block ×7, first 2 shown]
	v_fma_f64 v[71:72], v[69:70], v[71:72], s[30:31]
	v_cmp_ngt_f64_e64 s30, 0xc090cc00, v[59:60]
	s_mov_b32 s31, 0x3fe55555
	s_delay_alu instid0(VALU_DEP_2) | instskip(NEXT) | instid1(VALU_DEP_1)
	v_fma_f64 v[71:72], v[69:70], v[71:72], 1.0
	v_fma_f64 v[61:62], v[69:70], v[71:72], 1.0
	s_delay_alu instid0(VALU_DEP_1) | instskip(NEXT) | instid1(VALU_DEP_1)
	v_ldexp_f64 v[61:62], v[61:62], v73
	v_cndmask_b32_e64 v62, 0x7ff00000, v62, s29
	s_and_b32 s29, s30, s29
	s_delay_alu instid0(VALU_DEP_2) | instid1(SALU_CYCLE_1)
	v_cndmask_b32_e64 v59, 0, v61, s29
	s_delay_alu instid0(VALU_DEP_2) | instskip(SKIP_1) | instid1(VALU_DEP_1)
	v_cndmask_b32_e64 v60, 0, v62, s30
	s_mov_b32 s30, 0x55555555
	v_add_f64 v[61:62], v[59:60], 1.0
	s_delay_alu instid0(VALU_DEP_1) | instskip(SKIP_2) | instid1(VALU_DEP_3)
	v_frexp_mant_f64_e32 v[69:70], v[61:62]
	v_frexp_exp_i32_f64_e32 v73, v[61:62]
	v_add_f64 v[71:72], v[61:62], -1.0
	v_cmp_gt_f64_e64 s29, s[30:31], v[69:70]
	s_mov_b32 s30, 0x55555780
	s_delay_alu instid0(VALU_DEP_2) | instskip(SKIP_1) | instid1(VALU_DEP_3)
	v_add_f64 v[69:70], v[71:72], -v[61:62]
	v_add_f64 v[71:72], v[59:60], -v[71:72]
	v_subrev_co_ci_u32_e64 v108, s29, 0, v73, s29
	s_delay_alu instid0(VALU_DEP_3) | instskip(SKIP_1) | instid1(VALU_DEP_3)
	v_add_f64 v[69:70], v[69:70], 1.0
	v_cmp_eq_f64_e64 s29, 0x7ff00000, v[59:60]
	v_sub_nc_u32_e32 v75, 0, v108
	s_delay_alu instid0(VALU_DEP_1) | instskip(NEXT) | instid1(VALU_DEP_4)
	v_ldexp_f64 v[61:62], v[61:62], v75
	v_add_f64 v[69:70], v[71:72], v[69:70]
	s_delay_alu instid0(VALU_DEP_2) | instskip(SKIP_1) | instid1(VALU_DEP_3)
	v_add_f64 v[73:74], v[61:62], 1.0
	v_add_f64 v[98:99], v[61:62], -1.0
	v_ldexp_f64 v[69:70], v[69:70], v75
	s_delay_alu instid0(VALU_DEP_3) | instskip(NEXT) | instid1(VALU_DEP_3)
	v_add_f64 v[71:72], v[73:74], -1.0
	v_add_f64 v[100:101], v[98:99], 1.0
	s_delay_alu instid0(VALU_DEP_2) | instskip(NEXT) | instid1(VALU_DEP_2)
	v_add_f64 v[71:72], v[61:62], -v[71:72]
	v_add_f64 v[61:62], v[61:62], -v[100:101]
	s_delay_alu instid0(VALU_DEP_2) | instskip(NEXT) | instid1(VALU_DEP_2)
	v_add_f64 v[71:72], v[69:70], v[71:72]
	v_add_f64 v[61:62], v[69:70], v[61:62]
	s_delay_alu instid0(VALU_DEP_2) | instskip(NEXT) | instid1(VALU_DEP_2)
	v_add_f64 v[75:76], v[73:74], v[71:72]
	v_add_f64 v[100:101], v[98:99], v[61:62]
	s_delay_alu instid0(VALU_DEP_2) | instskip(SKIP_1) | instid1(VALU_DEP_2)
	v_rcp_f64_e32 v[96:97], v[75:76]
	v_add_f64 v[73:74], v[75:76], -v[73:74]
	v_add_f64 v[98:99], v[100:101], -v[98:99]
	s_delay_alu instid0(VALU_DEP_2) | instskip(SKIP_3) | instid1(VALU_DEP_2)
	v_add_f64 v[71:72], v[71:72], -v[73:74]
	s_waitcnt_depctr 0xfff
	v_fma_f64 v[102:103], -v[75:76], v[96:97], 1.0
	v_add_f64 v[61:62], v[61:62], -v[98:99]
	v_fma_f64 v[96:97], v[102:103], v[96:97], v[96:97]
	s_delay_alu instid0(VALU_DEP_1) | instskip(NEXT) | instid1(VALU_DEP_1)
	v_fma_f64 v[69:70], -v[75:76], v[96:97], 1.0
	v_fma_f64 v[69:70], v[69:70], v[96:97], v[96:97]
	s_delay_alu instid0(VALU_DEP_1) | instskip(NEXT) | instid1(VALU_DEP_1)
	v_mul_f64 v[96:97], v[100:101], v[69:70]
	v_mul_f64 v[102:103], v[75:76], v[96:97]
	s_delay_alu instid0(VALU_DEP_1) | instskip(NEXT) | instid1(VALU_DEP_1)
	v_fma_f64 v[73:74], v[96:97], v[75:76], -v[102:103]
	v_fma_f64 v[73:74], v[96:97], v[71:72], v[73:74]
	s_delay_alu instid0(VALU_DEP_1) | instskip(NEXT) | instid1(VALU_DEP_1)
	v_add_f64 v[104:105], v[102:103], v[73:74]
	v_add_f64 v[106:107], v[100:101], -v[104:105]
	v_add_f64 v[98:99], v[104:105], -v[102:103]
	s_delay_alu instid0(VALU_DEP_2) | instskip(NEXT) | instid1(VALU_DEP_2)
	v_add_f64 v[100:101], v[100:101], -v[106:107]
	v_add_f64 v[73:74], v[98:99], -v[73:74]
	s_delay_alu instid0(VALU_DEP_2) | instskip(NEXT) | instid1(VALU_DEP_1)
	v_add_f64 v[100:101], v[100:101], -v[104:105]
	v_add_f64 v[61:62], v[61:62], v[100:101]
	s_delay_alu instid0(VALU_DEP_1) | instskip(NEXT) | instid1(VALU_DEP_1)
	v_add_f64 v[61:62], v[73:74], v[61:62]
	v_add_f64 v[73:74], v[106:107], v[61:62]
	s_delay_alu instid0(VALU_DEP_1) | instskip(SKIP_1) | instid1(VALU_DEP_2)
	v_mul_f64 v[98:99], v[69:70], v[73:74]
	v_add_f64 v[104:105], v[106:107], -v[73:74]
	v_mul_f64 v[100:101], v[75:76], v[98:99]
	s_delay_alu instid0(VALU_DEP_2) | instskip(NEXT) | instid1(VALU_DEP_2)
	v_add_f64 v[61:62], v[61:62], v[104:105]
	v_fma_f64 v[75:76], v[98:99], v[75:76], -v[100:101]
	s_delay_alu instid0(VALU_DEP_1) | instskip(NEXT) | instid1(VALU_DEP_1)
	v_fma_f64 v[71:72], v[98:99], v[71:72], v[75:76]
	v_add_f64 v[75:76], v[100:101], v[71:72]
	s_delay_alu instid0(VALU_DEP_1) | instskip(SKIP_1) | instid1(VALU_DEP_2)
	v_add_f64 v[102:103], v[73:74], -v[75:76]
	v_add_f64 v[100:101], v[75:76], -v[100:101]
	;; [unrolled: 1-line block ×3, first 2 shown]
	s_delay_alu instid0(VALU_DEP_2) | instskip(NEXT) | instid1(VALU_DEP_2)
	v_add_f64 v[71:72], v[100:101], -v[71:72]
	v_add_f64 v[73:74], v[73:74], -v[75:76]
	s_delay_alu instid0(VALU_DEP_1) | instskip(SKIP_1) | instid1(VALU_DEP_2)
	v_add_f64 v[61:62], v[61:62], v[73:74]
	v_add_f64 v[73:74], v[96:97], v[98:99]
	;; [unrolled: 1-line block ×3, first 2 shown]
	s_delay_alu instid0(VALU_DEP_2) | instskip(NEXT) | instid1(VALU_DEP_2)
	v_add_f64 v[71:72], v[73:74], -v[96:97]
	v_add_f64 v[61:62], v[102:103], v[61:62]
	s_delay_alu instid0(VALU_DEP_2) | instskip(NEXT) | instid1(VALU_DEP_2)
	v_add_f64 v[71:72], v[98:99], -v[71:72]
	v_mul_f64 v[61:62], v[69:70], v[61:62]
	s_delay_alu instid0(VALU_DEP_1) | instskip(NEXT) | instid1(VALU_DEP_1)
	v_add_f64 v[61:62], v[71:72], v[61:62]
	v_add_f64 v[69:70], v[73:74], v[61:62]
	s_delay_alu instid0(VALU_DEP_1) | instskip(NEXT) | instid1(VALU_DEP_1)
	v_mul_f64 v[71:72], v[69:70], v[69:70]
	v_fma_f64 v[75:76], v[71:72], s[42:43], s[40:41]
	s_mov_b32 s40, 0xd7f4df2e
	s_mov_b32 s41, 0x3fc7474d
	v_mul_f64 v[96:97], v[69:70], v[71:72]
	s_delay_alu instid0(VALU_DEP_2)
	v_fma_f64 v[75:76], v[71:72], v[75:76], s[40:41]
	s_mov_b32 s40, 0x16291751
	s_mov_b32 s41, 0x3fcc71c0
	s_delay_alu instid0(VALU_DEP_1) | instid1(SALU_CYCLE_1)
	v_fma_f64 v[75:76], v[71:72], v[75:76], s[40:41]
	s_mov_b32 s40, 0x9b27acf1
	s_mov_b32 s41, 0x3fd24924
	s_delay_alu instid0(VALU_DEP_1) | instid1(SALU_CYCLE_1)
	;; [unrolled: 4-line block ×3, first 2 shown]
	v_fma_f64 v[75:76], v[71:72], v[75:76], s[40:41]
	s_delay_alu instid0(VALU_DEP_1) | instskip(SKIP_2) | instid1(VALU_DEP_3)
	v_fma_f64 v[71:72], v[71:72], v[75:76], s[30:31]
	v_ldexp_f64 v[75:76], v[69:70], 1
	v_add_f64 v[69:70], v[69:70], -v[73:74]
	v_mul_f64 v[71:72], v[96:97], v[71:72]
	v_cvt_f64_i32_e32 v[96:97], v108
	s_delay_alu instid0(VALU_DEP_3) | instskip(NEXT) | instid1(VALU_DEP_3)
	v_add_f64 v[61:62], v[61:62], -v[69:70]
	v_add_f64 v[73:74], v[75:76], v[71:72]
	s_delay_alu instid0(VALU_DEP_3) | instskip(NEXT) | instid1(VALU_DEP_3)
	v_mul_f64 v[98:99], v[96:97], s[34:35]
	v_ldexp_f64 v[61:62], v[61:62], 1
	s_delay_alu instid0(VALU_DEP_3) | instskip(NEXT) | instid1(VALU_DEP_3)
	v_add_f64 v[69:70], v[73:74], -v[75:76]
	v_fma_f64 v[75:76], v[96:97], s[34:35], -v[98:99]
	s_delay_alu instid0(VALU_DEP_2) | instskip(NEXT) | instid1(VALU_DEP_2)
	v_add_f64 v[69:70], v[71:72], -v[69:70]
	v_fma_f64 v[71:72], v[96:97], s[36:37], v[75:76]
	s_delay_alu instid0(VALU_DEP_2) | instskip(NEXT) | instid1(VALU_DEP_2)
	v_add_f64 v[61:62], v[61:62], v[69:70]
	v_add_f64 v[69:70], v[98:99], v[71:72]
	s_delay_alu instid0(VALU_DEP_2) | instskip(NEXT) | instid1(VALU_DEP_2)
	v_add_f64 v[75:76], v[73:74], v[61:62]
	v_add_f64 v[98:99], v[69:70], -v[98:99]
	s_delay_alu instid0(VALU_DEP_2) | instskip(SKIP_1) | instid1(VALU_DEP_3)
	v_add_f64 v[96:97], v[69:70], v[75:76]
	v_add_f64 v[73:74], v[75:76], -v[73:74]
	v_add_f64 v[71:72], v[71:72], -v[98:99]
	s_delay_alu instid0(VALU_DEP_3) | instskip(NEXT) | instid1(VALU_DEP_3)
	v_add_f64 v[100:101], v[96:97], -v[69:70]
	v_add_f64 v[61:62], v[61:62], -v[73:74]
	s_delay_alu instid0(VALU_DEP_2) | instskip(SKIP_1) | instid1(VALU_DEP_3)
	v_add_f64 v[102:103], v[96:97], -v[100:101]
	v_add_f64 v[73:74], v[75:76], -v[100:101]
	v_add_f64 v[75:76], v[71:72], v[61:62]
	s_delay_alu instid0(VALU_DEP_3) | instskip(NEXT) | instid1(VALU_DEP_1)
	v_add_f64 v[69:70], v[69:70], -v[102:103]
	v_add_f64 v[69:70], v[73:74], v[69:70]
	s_delay_alu instid0(VALU_DEP_3) | instskip(NEXT) | instid1(VALU_DEP_2)
	v_add_f64 v[73:74], v[75:76], -v[71:72]
	v_add_f64 v[69:70], v[75:76], v[69:70]
	s_delay_alu instid0(VALU_DEP_2) | instskip(SKIP_1) | instid1(VALU_DEP_3)
	v_add_f64 v[75:76], v[75:76], -v[73:74]
	v_add_f64 v[61:62], v[61:62], -v[73:74]
	v_add_f64 v[98:99], v[96:97], v[69:70]
	s_delay_alu instid0(VALU_DEP_3) | instskip(NEXT) | instid1(VALU_DEP_2)
	v_add_f64 v[71:72], v[71:72], -v[75:76]
	v_add_f64 v[73:74], v[98:99], -v[96:97]
	s_delay_alu instid0(VALU_DEP_2) | instskip(NEXT) | instid1(VALU_DEP_2)
	v_add_f64 v[61:62], v[61:62], v[71:72]
	v_add_f64 v[69:70], v[69:70], -v[73:74]
	s_delay_alu instid0(VALU_DEP_1) | instskip(NEXT) | instid1(VALU_DEP_1)
	v_add_f64 v[61:62], v[61:62], v[69:70]
	v_add_f64 v[61:62], v[98:99], v[61:62]
	s_delay_alu instid0(VALU_DEP_1) | instskip(NEXT) | instid1(VALU_DEP_2)
	v_cndmask_b32_e64 v61, v61, v59, s29
	v_cndmask_b32_e64 v62, v62, v60, s29
	v_cmp_ngt_f64_e64 s29, -1.0, v[59:60]
	s_delay_alu instid0(VALU_DEP_1) | instskip(SKIP_1) | instid1(VALU_DEP_1)
	v_cndmask_b32_e64 v62, 0x7ff80000, v62, s29
	v_cmp_nge_f64_e64 s29, -1.0, v[59:60]
	v_cndmask_b32_e64 v61, 0, v61, s29
	v_cmp_neq_f64_e64 s29, -1.0, v[59:60]
	s_delay_alu instid0(VALU_DEP_1) | instskip(NEXT) | instid1(VALU_DEP_1)
	v_cndmask_b32_e64 v62, 0xfff00000, v62, s29
	v_add_f64 v[69:70], v[57:58], v[61:62]
.LBB86_56:
	s_or_b32 exec_lo, exec_lo, s38
	v_max_f64 v[57:58], v[11:12], v[11:12]
	s_delay_alu instid0(VALU_DEP_2) | instskip(SKIP_2) | instid1(VALU_DEP_3)
	v_max_f64 v[59:60], v[69:70], v[69:70]
	v_cmp_u_f64_e64 s30, v[69:70], v[69:70]
	v_cmp_u_f64_e64 s29, v[11:12], v[11:12]
	v_min_f64 v[61:62], v[59:60], v[57:58]
	v_max_f64 v[59:60], v[59:60], v[57:58]
	s_delay_alu instid0(VALU_DEP_2) | instskip(NEXT) | instid1(VALU_DEP_3)
	v_cndmask_b32_e64 v61, v61, v69, s30
	v_cndmask_b32_e64 v62, v62, v70, s30
	s_delay_alu instid0(VALU_DEP_3) | instskip(NEXT) | instid1(VALU_DEP_4)
	v_cndmask_b32_e64 v60, v60, v70, s30
	v_cndmask_b32_e64 v59, v59, v69, s30
	s_delay_alu instid0(VALU_DEP_4) | instskip(NEXT) | instid1(VALU_DEP_4)
	v_cndmask_b32_e64 v61, v61, v11, s29
	v_cndmask_b32_e64 v62, v62, v12, s29
	s_delay_alu instid0(VALU_DEP_4) | instskip(NEXT) | instid1(VALU_DEP_4)
	v_cndmask_b32_e64 v60, v60, v12, s29
	v_cndmask_b32_e64 v59, v59, v11, s29
	s_delay_alu instid0(VALU_DEP_3) | instskip(NEXT) | instid1(VALU_DEP_2)
	v_cmp_class_f64_e64 s31, v[61:62], 0x1f8
	v_cmp_neq_f64_e64 s30, v[61:62], v[59:60]
	s_delay_alu instid0(VALU_DEP_1) | instskip(NEXT) | instid1(SALU_CYCLE_1)
	s_or_b32 s30, s30, s31
	s_and_saveexec_b32 s38, s30
	s_cbranch_execz .LBB86_58
; %bb.57:
	v_add_f64 v[61:62], v[61:62], -v[59:60]
	s_mov_b32 s30, 0x652b82fe
	s_mov_b32 s31, 0x3ff71547
	;; [unrolled: 1-line block ×10, first 2 shown]
	s_delay_alu instid0(VALU_DEP_1) | instskip(SKIP_2) | instid1(VALU_DEP_1)
	v_mul_f64 v[69:70], v[61:62], s[30:31]
	s_mov_b32 s30, 0xfca7ab0c
	s_mov_b32 s31, 0x3e928af3
	v_rndne_f64_e32 v[69:70], v[69:70]
	s_delay_alu instid0(VALU_DEP_1) | instskip(SKIP_2) | instid1(VALU_DEP_2)
	v_fma_f64 v[71:72], v[69:70], s[34:35], v[61:62]
	v_cvt_i32_f64_e32 v75, v[69:70]
	s_mov_b32 s35, 0x3fe62e42
	v_fma_f64 v[71:72], v[69:70], s[36:37], v[71:72]
	s_mov_b32 s37, 0x3c7abc9e
	s_delay_alu instid0(VALU_DEP_1) | instskip(SKIP_4) | instid1(VALU_DEP_1)
	v_fma_f64 v[73:74], v[71:72], s[40:41], s[30:31]
	s_mov_b32 s30, 0x623fde64
	s_mov_b32 s31, 0x3ec71dee
	;; [unrolled: 1-line block ×4, first 2 shown]
	v_fma_f64 v[73:74], v[71:72], v[73:74], s[30:31]
	s_mov_b32 s30, 0x7c89e6b0
	s_mov_b32 s31, 0x3efa0199
	s_delay_alu instid0(VALU_DEP_1) | instid1(SALU_CYCLE_1)
	v_fma_f64 v[73:74], v[71:72], v[73:74], s[30:31]
	s_mov_b32 s30, 0x14761f6e
	s_mov_b32 s31, 0x3f2a01a0
	s_delay_alu instid0(VALU_DEP_1) | instid1(SALU_CYCLE_1)
	;; [unrolled: 4-line block ×7, first 2 shown]
	v_fma_f64 v[73:74], v[71:72], v[73:74], s[30:31]
	v_cmp_nlt_f64_e64 s30, 0x40900000, v[61:62]
	v_cmp_ngt_f64_e64 s31, 0xc090cc00, v[61:62]
	s_delay_alu instid0(VALU_DEP_3) | instskip(NEXT) | instid1(VALU_DEP_1)
	v_fma_f64 v[73:74], v[71:72], v[73:74], 1.0
	v_fma_f64 v[69:70], v[71:72], v[73:74], 1.0
	s_delay_alu instid0(VALU_DEP_1) | instskip(NEXT) | instid1(VALU_DEP_1)
	v_ldexp_f64 v[69:70], v[69:70], v75
	v_cndmask_b32_e64 v70, 0x7ff00000, v70, s30
	s_and_b32 s30, s31, s30
	s_delay_alu instid0(VALU_DEP_2) | instid1(SALU_CYCLE_1)
	v_cndmask_b32_e64 v61, 0, v69, s30
	s_mov_b32 s30, 0x55555555
	s_delay_alu instid0(VALU_DEP_2) | instskip(SKIP_1) | instid1(VALU_DEP_1)
	v_cndmask_b32_e64 v62, 0, v70, s31
	s_mov_b32 s31, 0x3fe55555
	v_add_f64 v[69:70], v[61:62], 1.0
	s_delay_alu instid0(VALU_DEP_1) | instskip(SKIP_2) | instid1(VALU_DEP_3)
	v_frexp_mant_f64_e32 v[71:72], v[69:70]
	v_frexp_exp_i32_f64_e32 v75, v[69:70]
	v_add_f64 v[73:74], v[69:70], -1.0
	v_cmp_gt_f64_e64 s30, s[30:31], v[71:72]
	s_delay_alu instid0(VALU_DEP_2) | instskip(SKIP_1) | instid1(VALU_DEP_3)
	v_add_f64 v[71:72], v[73:74], -v[69:70]
	v_add_f64 v[73:74], v[61:62], -v[73:74]
	v_subrev_co_ci_u32_e64 v110, s30, 0, v75, s30
	s_delay_alu instid0(VALU_DEP_3) | instskip(SKIP_1) | instid1(VALU_DEP_2)
	v_add_f64 v[71:72], v[71:72], 1.0
	s_mov_b32 s30, 0x55555780
	v_sub_nc_u32_e32 v96, 0, v110
	s_delay_alu instid0(VALU_DEP_1) | instskip(NEXT) | instid1(VALU_DEP_3)
	v_ldexp_f64 v[69:70], v[69:70], v96
	v_add_f64 v[71:72], v[73:74], v[71:72]
	s_delay_alu instid0(VALU_DEP_2) | instskip(SKIP_1) | instid1(VALU_DEP_3)
	v_add_f64 v[75:76], v[69:70], 1.0
	v_add_f64 v[100:101], v[69:70], -1.0
	v_ldexp_f64 v[71:72], v[71:72], v96
	s_delay_alu instid0(VALU_DEP_3) | instskip(NEXT) | instid1(VALU_DEP_3)
	v_add_f64 v[73:74], v[75:76], -1.0
	v_add_f64 v[102:103], v[100:101], 1.0
	s_delay_alu instid0(VALU_DEP_2) | instskip(NEXT) | instid1(VALU_DEP_2)
	v_add_f64 v[73:74], v[69:70], -v[73:74]
	v_add_f64 v[69:70], v[69:70], -v[102:103]
	s_delay_alu instid0(VALU_DEP_2) | instskip(NEXT) | instid1(VALU_DEP_2)
	v_add_f64 v[73:74], v[71:72], v[73:74]
	v_add_f64 v[69:70], v[71:72], v[69:70]
	s_delay_alu instid0(VALU_DEP_2) | instskip(NEXT) | instid1(VALU_DEP_2)
	v_add_f64 v[96:97], v[75:76], v[73:74]
	v_add_f64 v[102:103], v[100:101], v[69:70]
	s_delay_alu instid0(VALU_DEP_2) | instskip(SKIP_1) | instid1(VALU_DEP_2)
	v_rcp_f64_e32 v[98:99], v[96:97]
	v_add_f64 v[75:76], v[96:97], -v[75:76]
	v_add_f64 v[100:101], v[102:103], -v[100:101]
	s_delay_alu instid0(VALU_DEP_2) | instskip(SKIP_3) | instid1(VALU_DEP_2)
	v_add_f64 v[73:74], v[73:74], -v[75:76]
	s_waitcnt_depctr 0xfff
	v_fma_f64 v[104:105], -v[96:97], v[98:99], 1.0
	v_add_f64 v[69:70], v[69:70], -v[100:101]
	v_fma_f64 v[98:99], v[104:105], v[98:99], v[98:99]
	s_delay_alu instid0(VALU_DEP_1) | instskip(NEXT) | instid1(VALU_DEP_1)
	v_fma_f64 v[71:72], -v[96:97], v[98:99], 1.0
	v_fma_f64 v[71:72], v[71:72], v[98:99], v[98:99]
	s_delay_alu instid0(VALU_DEP_1) | instskip(NEXT) | instid1(VALU_DEP_1)
	v_mul_f64 v[98:99], v[102:103], v[71:72]
	v_mul_f64 v[104:105], v[96:97], v[98:99]
	s_delay_alu instid0(VALU_DEP_1) | instskip(NEXT) | instid1(VALU_DEP_1)
	v_fma_f64 v[75:76], v[98:99], v[96:97], -v[104:105]
	v_fma_f64 v[75:76], v[98:99], v[73:74], v[75:76]
	s_delay_alu instid0(VALU_DEP_1) | instskip(NEXT) | instid1(VALU_DEP_1)
	v_add_f64 v[106:107], v[104:105], v[75:76]
	v_add_f64 v[108:109], v[102:103], -v[106:107]
	v_add_f64 v[100:101], v[106:107], -v[104:105]
	s_delay_alu instid0(VALU_DEP_2) | instskip(NEXT) | instid1(VALU_DEP_2)
	v_add_f64 v[102:103], v[102:103], -v[108:109]
	v_add_f64 v[75:76], v[100:101], -v[75:76]
	s_delay_alu instid0(VALU_DEP_2) | instskip(NEXT) | instid1(VALU_DEP_1)
	v_add_f64 v[102:103], v[102:103], -v[106:107]
	v_add_f64 v[69:70], v[69:70], v[102:103]
	s_delay_alu instid0(VALU_DEP_1) | instskip(NEXT) | instid1(VALU_DEP_1)
	v_add_f64 v[69:70], v[75:76], v[69:70]
	v_add_f64 v[75:76], v[108:109], v[69:70]
	s_delay_alu instid0(VALU_DEP_1) | instskip(SKIP_1) | instid1(VALU_DEP_2)
	v_mul_f64 v[100:101], v[71:72], v[75:76]
	v_add_f64 v[106:107], v[108:109], -v[75:76]
	v_mul_f64 v[102:103], v[96:97], v[100:101]
	s_delay_alu instid0(VALU_DEP_2) | instskip(NEXT) | instid1(VALU_DEP_2)
	v_add_f64 v[69:70], v[69:70], v[106:107]
	v_fma_f64 v[96:97], v[100:101], v[96:97], -v[102:103]
	s_delay_alu instid0(VALU_DEP_1) | instskip(NEXT) | instid1(VALU_DEP_1)
	v_fma_f64 v[73:74], v[100:101], v[73:74], v[96:97]
	v_add_f64 v[96:97], v[102:103], v[73:74]
	s_delay_alu instid0(VALU_DEP_1) | instskip(SKIP_1) | instid1(VALU_DEP_2)
	v_add_f64 v[104:105], v[75:76], -v[96:97]
	v_add_f64 v[102:103], v[96:97], -v[102:103]
	v_add_f64 v[75:76], v[75:76], -v[104:105]
	s_delay_alu instid0(VALU_DEP_2) | instskip(NEXT) | instid1(VALU_DEP_2)
	v_add_f64 v[73:74], v[102:103], -v[73:74]
	v_add_f64 v[75:76], v[75:76], -v[96:97]
	s_delay_alu instid0(VALU_DEP_1) | instskip(SKIP_1) | instid1(VALU_DEP_2)
	v_add_f64 v[69:70], v[69:70], v[75:76]
	v_add_f64 v[75:76], v[98:99], v[100:101]
	;; [unrolled: 1-line block ×3, first 2 shown]
	s_delay_alu instid0(VALU_DEP_2) | instskip(NEXT) | instid1(VALU_DEP_2)
	v_add_f64 v[73:74], v[75:76], -v[98:99]
	v_add_f64 v[69:70], v[104:105], v[69:70]
	s_delay_alu instid0(VALU_DEP_2) | instskip(NEXT) | instid1(VALU_DEP_2)
	v_add_f64 v[73:74], v[100:101], -v[73:74]
	v_mul_f64 v[69:70], v[71:72], v[69:70]
	s_delay_alu instid0(VALU_DEP_1) | instskip(NEXT) | instid1(VALU_DEP_1)
	v_add_f64 v[69:70], v[73:74], v[69:70]
	v_add_f64 v[71:72], v[75:76], v[69:70]
	s_delay_alu instid0(VALU_DEP_1) | instskip(NEXT) | instid1(VALU_DEP_1)
	v_mul_f64 v[73:74], v[71:72], v[71:72]
	v_fma_f64 v[96:97], v[73:74], s[42:43], s[40:41]
	s_mov_b32 s40, 0xd7f4df2e
	s_mov_b32 s41, 0x3fc7474d
	v_mul_f64 v[98:99], v[71:72], v[73:74]
	s_delay_alu instid0(VALU_DEP_2)
	v_fma_f64 v[96:97], v[73:74], v[96:97], s[40:41]
	s_mov_b32 s40, 0x16291751
	s_mov_b32 s41, 0x3fcc71c0
	s_delay_alu instid0(VALU_DEP_1) | instid1(SALU_CYCLE_1)
	v_fma_f64 v[96:97], v[73:74], v[96:97], s[40:41]
	s_mov_b32 s40, 0x9b27acf1
	s_mov_b32 s41, 0x3fd24924
	s_delay_alu instid0(VALU_DEP_1) | instid1(SALU_CYCLE_1)
	v_fma_f64 v[96:97], v[73:74], v[96:97], s[40:41]
	s_mov_b32 s40, 0x998ef7b6
	s_mov_b32 s41, 0x3fd99999
	s_delay_alu instid0(VALU_DEP_1) | instid1(SALU_CYCLE_1)
	v_fma_f64 v[96:97], v[73:74], v[96:97], s[40:41]
	s_delay_alu instid0(VALU_DEP_1) | instskip(SKIP_3) | instid1(VALU_DEP_4)
	v_fma_f64 v[73:74], v[73:74], v[96:97], s[30:31]
	v_ldexp_f64 v[96:97], v[71:72], 1
	v_add_f64 v[71:72], v[71:72], -v[75:76]
	v_cmp_eq_f64_e64 s30, 0x7ff00000, v[61:62]
	v_mul_f64 v[73:74], v[98:99], v[73:74]
	v_cvt_f64_i32_e32 v[98:99], v110
	s_delay_alu instid0(VALU_DEP_4) | instskip(NEXT) | instid1(VALU_DEP_3)
	v_add_f64 v[69:70], v[69:70], -v[71:72]
	v_add_f64 v[75:76], v[96:97], v[73:74]
	s_delay_alu instid0(VALU_DEP_3) | instskip(NEXT) | instid1(VALU_DEP_3)
	v_mul_f64 v[100:101], v[98:99], s[34:35]
	v_ldexp_f64 v[69:70], v[69:70], 1
	s_delay_alu instid0(VALU_DEP_3) | instskip(NEXT) | instid1(VALU_DEP_3)
	v_add_f64 v[71:72], v[75:76], -v[96:97]
	v_fma_f64 v[96:97], v[98:99], s[34:35], -v[100:101]
	s_delay_alu instid0(VALU_DEP_2) | instskip(NEXT) | instid1(VALU_DEP_2)
	v_add_f64 v[71:72], v[73:74], -v[71:72]
	v_fma_f64 v[73:74], v[98:99], s[36:37], v[96:97]
	s_delay_alu instid0(VALU_DEP_2) | instskip(NEXT) | instid1(VALU_DEP_2)
	v_add_f64 v[69:70], v[69:70], v[71:72]
	v_add_f64 v[71:72], v[100:101], v[73:74]
	s_delay_alu instid0(VALU_DEP_2) | instskip(NEXT) | instid1(VALU_DEP_2)
	v_add_f64 v[96:97], v[75:76], v[69:70]
	v_add_f64 v[100:101], v[71:72], -v[100:101]
	s_delay_alu instid0(VALU_DEP_2) | instskip(SKIP_1) | instid1(VALU_DEP_3)
	v_add_f64 v[98:99], v[71:72], v[96:97]
	v_add_f64 v[75:76], v[96:97], -v[75:76]
	v_add_f64 v[73:74], v[73:74], -v[100:101]
	s_delay_alu instid0(VALU_DEP_3) | instskip(NEXT) | instid1(VALU_DEP_3)
	v_add_f64 v[102:103], v[98:99], -v[71:72]
	v_add_f64 v[69:70], v[69:70], -v[75:76]
	s_delay_alu instid0(VALU_DEP_2) | instskip(SKIP_1) | instid1(VALU_DEP_3)
	v_add_f64 v[104:105], v[98:99], -v[102:103]
	v_add_f64 v[75:76], v[96:97], -v[102:103]
	v_add_f64 v[96:97], v[73:74], v[69:70]
	s_delay_alu instid0(VALU_DEP_3) | instskip(NEXT) | instid1(VALU_DEP_1)
	v_add_f64 v[71:72], v[71:72], -v[104:105]
	v_add_f64 v[71:72], v[75:76], v[71:72]
	s_delay_alu instid0(VALU_DEP_3) | instskip(NEXT) | instid1(VALU_DEP_2)
	v_add_f64 v[75:76], v[96:97], -v[73:74]
	v_add_f64 v[71:72], v[96:97], v[71:72]
	s_delay_alu instid0(VALU_DEP_2) | instskip(SKIP_1) | instid1(VALU_DEP_3)
	v_add_f64 v[96:97], v[96:97], -v[75:76]
	v_add_f64 v[69:70], v[69:70], -v[75:76]
	v_add_f64 v[100:101], v[98:99], v[71:72]
	s_delay_alu instid0(VALU_DEP_3) | instskip(NEXT) | instid1(VALU_DEP_2)
	v_add_f64 v[73:74], v[73:74], -v[96:97]
	v_add_f64 v[75:76], v[100:101], -v[98:99]
	s_delay_alu instid0(VALU_DEP_2) | instskip(NEXT) | instid1(VALU_DEP_2)
	v_add_f64 v[69:70], v[69:70], v[73:74]
	v_add_f64 v[71:72], v[71:72], -v[75:76]
	s_delay_alu instid0(VALU_DEP_1) | instskip(NEXT) | instid1(VALU_DEP_1)
	v_add_f64 v[69:70], v[69:70], v[71:72]
	v_add_f64 v[69:70], v[100:101], v[69:70]
	s_delay_alu instid0(VALU_DEP_1) | instskip(NEXT) | instid1(VALU_DEP_2)
	v_cndmask_b32_e64 v69, v69, v61, s30
	v_cndmask_b32_e64 v70, v70, v62, s30
	v_cmp_ngt_f64_e64 s30, -1.0, v[61:62]
	s_delay_alu instid0(VALU_DEP_1) | instskip(SKIP_1) | instid1(VALU_DEP_1)
	v_cndmask_b32_e64 v70, 0x7ff80000, v70, s30
	v_cmp_nge_f64_e64 s30, -1.0, v[61:62]
	v_cndmask_b32_e64 v69, 0, v69, s30
	v_cmp_neq_f64_e64 s30, -1.0, v[61:62]
	s_delay_alu instid0(VALU_DEP_1) | instskip(NEXT) | instid1(VALU_DEP_1)
	v_cndmask_b32_e64 v70, 0xfff00000, v70, s30
	v_add_f64 v[69:70], v[59:60], v[69:70]
.LBB86_58:
	s_or_b32 exec_lo, exec_lo, s38
	v_max_f64 v[59:60], v[5:6], v[5:6]
	s_delay_alu instid0(VALU_DEP_2) | instskip(SKIP_2) | instid1(VALU_DEP_3)
	v_max_f64 v[61:62], v[69:70], v[69:70]
	v_cmp_u_f64_e64 s31, v[69:70], v[69:70]
	v_cmp_u_f64_e64 s30, v[5:6], v[5:6]
	v_min_f64 v[71:72], v[61:62], v[59:60]
	v_max_f64 v[61:62], v[61:62], v[59:60]
	s_delay_alu instid0(VALU_DEP_2) | instskip(NEXT) | instid1(VALU_DEP_3)
	v_cndmask_b32_e64 v71, v71, v69, s31
	v_cndmask_b32_e64 v72, v72, v70, s31
	s_delay_alu instid0(VALU_DEP_3) | instskip(NEXT) | instid1(VALU_DEP_4)
	v_cndmask_b32_e64 v62, v62, v70, s31
	v_cndmask_b32_e64 v61, v61, v69, s31
	s_delay_alu instid0(VALU_DEP_4) | instskip(NEXT) | instid1(VALU_DEP_4)
	v_cndmask_b32_e64 v71, v71, v5, s30
	v_cndmask_b32_e64 v72, v72, v6, s30
	s_delay_alu instid0(VALU_DEP_4) | instskip(NEXT) | instid1(VALU_DEP_4)
	v_cndmask_b32_e64 v62, v62, v6, s30
	v_cndmask_b32_e64 v61, v61, v5, s30
	s_delay_alu instid0(VALU_DEP_3) | instskip(NEXT) | instid1(VALU_DEP_2)
	v_cmp_class_f64_e64 s34, v[71:72], 0x1f8
	v_cmp_neq_f64_e64 s31, v[71:72], v[61:62]
	s_delay_alu instid0(VALU_DEP_1) | instskip(NEXT) | instid1(SALU_CYCLE_1)
	s_or_b32 s31, s31, s34
	s_and_saveexec_b32 s40, s31
	s_cbranch_execz .LBB86_60
; %bb.59:
	v_add_f64 v[69:70], v[71:72], -v[61:62]
	s_mov_b32 s34, 0x652b82fe
	s_mov_b32 s35, 0x3ff71547
	;; [unrolled: 1-line block ×10, first 2 shown]
	s_delay_alu instid0(VALU_DEP_1) | instskip(SKIP_3) | instid1(VALU_DEP_2)
	v_mul_f64 v[71:72], v[69:70], s[34:35]
	s_mov_b32 s34, 0xfca7ab0c
	s_mov_b32 s35, 0x3e928af3
	v_cmp_nlt_f64_e64 s31, 0x40900000, v[69:70]
	v_rndne_f64_e32 v[71:72], v[71:72]
	s_delay_alu instid0(VALU_DEP_1) | instskip(SKIP_2) | instid1(VALU_DEP_2)
	v_fma_f64 v[73:74], v[71:72], s[36:37], v[69:70]
	v_cvt_i32_f64_e32 v96, v[71:72]
	s_mov_b32 s37, 0x3fe62e42
	v_fma_f64 v[73:74], v[71:72], s[38:39], v[73:74]
	s_mov_b32 s39, 0x3c7abc9e
	s_delay_alu instid0(VALU_DEP_1) | instskip(SKIP_4) | instid1(VALU_DEP_1)
	v_fma_f64 v[75:76], v[73:74], s[42:43], s[34:35]
	s_mov_b32 s34, 0x623fde64
	s_mov_b32 s35, 0x3ec71dee
	;; [unrolled: 1-line block ×4, first 2 shown]
	v_fma_f64 v[75:76], v[73:74], v[75:76], s[34:35]
	s_mov_b32 s34, 0x7c89e6b0
	s_mov_b32 s35, 0x3efa0199
	s_delay_alu instid0(VALU_DEP_1) | instid1(SALU_CYCLE_1)
	v_fma_f64 v[75:76], v[73:74], v[75:76], s[34:35]
	s_mov_b32 s34, 0x14761f6e
	s_mov_b32 s35, 0x3f2a01a0
	s_delay_alu instid0(VALU_DEP_1) | instid1(SALU_CYCLE_1)
	;; [unrolled: 4-line block ×7, first 2 shown]
	v_fma_f64 v[75:76], v[73:74], v[75:76], s[34:35]
	v_cmp_ngt_f64_e64 s34, 0xc090cc00, v[69:70]
	s_mov_b32 s35, 0x3fe55555
	s_delay_alu instid0(VALU_DEP_2) | instskip(NEXT) | instid1(VALU_DEP_1)
	v_fma_f64 v[75:76], v[73:74], v[75:76], 1.0
	v_fma_f64 v[71:72], v[73:74], v[75:76], 1.0
	s_delay_alu instid0(VALU_DEP_1) | instskip(NEXT) | instid1(VALU_DEP_1)
	v_ldexp_f64 v[71:72], v[71:72], v96
	v_cndmask_b32_e64 v72, 0x7ff00000, v72, s31
	s_and_b32 s31, s34, s31
	s_delay_alu instid0(VALU_DEP_2) | instid1(SALU_CYCLE_1)
	v_cndmask_b32_e64 v69, 0, v71, s31
	s_delay_alu instid0(VALU_DEP_2) | instskip(SKIP_1) | instid1(VALU_DEP_1)
	v_cndmask_b32_e64 v70, 0, v72, s34
	s_mov_b32 s34, 0x55555555
	v_add_f64 v[71:72], v[69:70], 1.0
	s_delay_alu instid0(VALU_DEP_1) | instskip(SKIP_2) | instid1(VALU_DEP_3)
	v_frexp_mant_f64_e32 v[73:74], v[71:72]
	v_frexp_exp_i32_f64_e32 v96, v[71:72]
	v_add_f64 v[75:76], v[71:72], -1.0
	v_cmp_gt_f64_e64 s31, s[34:35], v[73:74]
	s_mov_b32 s34, 0x55555780
	s_delay_alu instid0(VALU_DEP_2) | instskip(SKIP_1) | instid1(VALU_DEP_3)
	v_add_f64 v[73:74], v[75:76], -v[71:72]
	v_add_f64 v[75:76], v[69:70], -v[75:76]
	v_subrev_co_ci_u32_e64 v112, s31, 0, v96, s31
	s_delay_alu instid0(VALU_DEP_3) | instskip(SKIP_1) | instid1(VALU_DEP_3)
	v_add_f64 v[73:74], v[73:74], 1.0
	v_cmp_eq_f64_e64 s31, 0x7ff00000, v[69:70]
	v_sub_nc_u32_e32 v98, 0, v112
	s_delay_alu instid0(VALU_DEP_1) | instskip(NEXT) | instid1(VALU_DEP_4)
	v_ldexp_f64 v[71:72], v[71:72], v98
	v_add_f64 v[73:74], v[75:76], v[73:74]
	s_delay_alu instid0(VALU_DEP_2) | instskip(SKIP_1) | instid1(VALU_DEP_3)
	v_add_f64 v[96:97], v[71:72], 1.0
	v_add_f64 v[102:103], v[71:72], -1.0
	v_ldexp_f64 v[73:74], v[73:74], v98
	s_delay_alu instid0(VALU_DEP_3) | instskip(NEXT) | instid1(VALU_DEP_3)
	v_add_f64 v[75:76], v[96:97], -1.0
	v_add_f64 v[104:105], v[102:103], 1.0
	s_delay_alu instid0(VALU_DEP_2) | instskip(NEXT) | instid1(VALU_DEP_2)
	v_add_f64 v[75:76], v[71:72], -v[75:76]
	v_add_f64 v[71:72], v[71:72], -v[104:105]
	s_delay_alu instid0(VALU_DEP_2) | instskip(NEXT) | instid1(VALU_DEP_2)
	v_add_f64 v[75:76], v[73:74], v[75:76]
	v_add_f64 v[71:72], v[73:74], v[71:72]
	s_delay_alu instid0(VALU_DEP_2) | instskip(NEXT) | instid1(VALU_DEP_2)
	v_add_f64 v[98:99], v[96:97], v[75:76]
	v_add_f64 v[104:105], v[102:103], v[71:72]
	s_delay_alu instid0(VALU_DEP_2) | instskip(SKIP_1) | instid1(VALU_DEP_2)
	v_rcp_f64_e32 v[100:101], v[98:99]
	v_add_f64 v[96:97], v[98:99], -v[96:97]
	v_add_f64 v[102:103], v[104:105], -v[102:103]
	s_delay_alu instid0(VALU_DEP_2) | instskip(SKIP_3) | instid1(VALU_DEP_2)
	v_add_f64 v[75:76], v[75:76], -v[96:97]
	s_waitcnt_depctr 0xfff
	v_fma_f64 v[106:107], -v[98:99], v[100:101], 1.0
	v_add_f64 v[71:72], v[71:72], -v[102:103]
	v_fma_f64 v[100:101], v[106:107], v[100:101], v[100:101]
	s_delay_alu instid0(VALU_DEP_1) | instskip(NEXT) | instid1(VALU_DEP_1)
	v_fma_f64 v[73:74], -v[98:99], v[100:101], 1.0
	v_fma_f64 v[73:74], v[73:74], v[100:101], v[100:101]
	s_delay_alu instid0(VALU_DEP_1) | instskip(NEXT) | instid1(VALU_DEP_1)
	v_mul_f64 v[100:101], v[104:105], v[73:74]
	v_mul_f64 v[106:107], v[98:99], v[100:101]
	s_delay_alu instid0(VALU_DEP_1) | instskip(NEXT) | instid1(VALU_DEP_1)
	v_fma_f64 v[96:97], v[100:101], v[98:99], -v[106:107]
	v_fma_f64 v[96:97], v[100:101], v[75:76], v[96:97]
	s_delay_alu instid0(VALU_DEP_1) | instskip(NEXT) | instid1(VALU_DEP_1)
	v_add_f64 v[108:109], v[106:107], v[96:97]
	v_add_f64 v[110:111], v[104:105], -v[108:109]
	v_add_f64 v[102:103], v[108:109], -v[106:107]
	s_delay_alu instid0(VALU_DEP_2) | instskip(NEXT) | instid1(VALU_DEP_2)
	v_add_f64 v[104:105], v[104:105], -v[110:111]
	v_add_f64 v[96:97], v[102:103], -v[96:97]
	s_delay_alu instid0(VALU_DEP_2) | instskip(NEXT) | instid1(VALU_DEP_1)
	v_add_f64 v[104:105], v[104:105], -v[108:109]
	v_add_f64 v[71:72], v[71:72], v[104:105]
	s_delay_alu instid0(VALU_DEP_1) | instskip(NEXT) | instid1(VALU_DEP_1)
	v_add_f64 v[71:72], v[96:97], v[71:72]
	v_add_f64 v[96:97], v[110:111], v[71:72]
	s_delay_alu instid0(VALU_DEP_1) | instskip(SKIP_1) | instid1(VALU_DEP_2)
	v_mul_f64 v[102:103], v[73:74], v[96:97]
	v_add_f64 v[108:109], v[110:111], -v[96:97]
	v_mul_f64 v[104:105], v[98:99], v[102:103]
	s_delay_alu instid0(VALU_DEP_2) | instskip(NEXT) | instid1(VALU_DEP_2)
	v_add_f64 v[71:72], v[71:72], v[108:109]
	v_fma_f64 v[98:99], v[102:103], v[98:99], -v[104:105]
	s_delay_alu instid0(VALU_DEP_1) | instskip(NEXT) | instid1(VALU_DEP_1)
	v_fma_f64 v[75:76], v[102:103], v[75:76], v[98:99]
	v_add_f64 v[98:99], v[104:105], v[75:76]
	s_delay_alu instid0(VALU_DEP_1) | instskip(SKIP_1) | instid1(VALU_DEP_2)
	v_add_f64 v[106:107], v[96:97], -v[98:99]
	v_add_f64 v[104:105], v[98:99], -v[104:105]
	;; [unrolled: 1-line block ×3, first 2 shown]
	s_delay_alu instid0(VALU_DEP_2) | instskip(NEXT) | instid1(VALU_DEP_2)
	v_add_f64 v[75:76], v[104:105], -v[75:76]
	v_add_f64 v[96:97], v[96:97], -v[98:99]
	s_delay_alu instid0(VALU_DEP_1) | instskip(SKIP_1) | instid1(VALU_DEP_2)
	v_add_f64 v[71:72], v[71:72], v[96:97]
	v_add_f64 v[96:97], v[100:101], v[102:103]
	;; [unrolled: 1-line block ×3, first 2 shown]
	s_delay_alu instid0(VALU_DEP_2) | instskip(NEXT) | instid1(VALU_DEP_2)
	v_add_f64 v[75:76], v[96:97], -v[100:101]
	v_add_f64 v[71:72], v[106:107], v[71:72]
	s_delay_alu instid0(VALU_DEP_2) | instskip(NEXT) | instid1(VALU_DEP_2)
	v_add_f64 v[75:76], v[102:103], -v[75:76]
	v_mul_f64 v[71:72], v[73:74], v[71:72]
	s_delay_alu instid0(VALU_DEP_1) | instskip(NEXT) | instid1(VALU_DEP_1)
	v_add_f64 v[71:72], v[75:76], v[71:72]
	v_add_f64 v[73:74], v[96:97], v[71:72]
	s_delay_alu instid0(VALU_DEP_1) | instskip(NEXT) | instid1(VALU_DEP_1)
	v_mul_f64 v[75:76], v[73:74], v[73:74]
	v_fma_f64 v[98:99], v[75:76], s[44:45], s[42:43]
	s_mov_b32 s42, 0xd7f4df2e
	s_mov_b32 s43, 0x3fc7474d
	v_mul_f64 v[100:101], v[73:74], v[75:76]
	s_delay_alu instid0(VALU_DEP_2)
	v_fma_f64 v[98:99], v[75:76], v[98:99], s[42:43]
	s_mov_b32 s42, 0x16291751
	s_mov_b32 s43, 0x3fcc71c0
	s_delay_alu instid0(VALU_DEP_1) | instid1(SALU_CYCLE_1)
	v_fma_f64 v[98:99], v[75:76], v[98:99], s[42:43]
	s_mov_b32 s42, 0x9b27acf1
	s_mov_b32 s43, 0x3fd24924
	s_delay_alu instid0(VALU_DEP_1) | instid1(SALU_CYCLE_1)
	;; [unrolled: 4-line block ×3, first 2 shown]
	v_fma_f64 v[98:99], v[75:76], v[98:99], s[42:43]
	s_delay_alu instid0(VALU_DEP_1) | instskip(SKIP_2) | instid1(VALU_DEP_3)
	v_fma_f64 v[75:76], v[75:76], v[98:99], s[34:35]
	v_ldexp_f64 v[98:99], v[73:74], 1
	v_add_f64 v[73:74], v[73:74], -v[96:97]
	v_mul_f64 v[75:76], v[100:101], v[75:76]
	v_cvt_f64_i32_e32 v[100:101], v112
	s_delay_alu instid0(VALU_DEP_3) | instskip(NEXT) | instid1(VALU_DEP_3)
	v_add_f64 v[71:72], v[71:72], -v[73:74]
	v_add_f64 v[96:97], v[98:99], v[75:76]
	s_delay_alu instid0(VALU_DEP_3) | instskip(NEXT) | instid1(VALU_DEP_3)
	v_mul_f64 v[102:103], v[100:101], s[36:37]
	v_ldexp_f64 v[71:72], v[71:72], 1
	s_delay_alu instid0(VALU_DEP_3) | instskip(NEXT) | instid1(VALU_DEP_3)
	v_add_f64 v[73:74], v[96:97], -v[98:99]
	v_fma_f64 v[98:99], v[100:101], s[36:37], -v[102:103]
	s_delay_alu instid0(VALU_DEP_2) | instskip(NEXT) | instid1(VALU_DEP_2)
	v_add_f64 v[73:74], v[75:76], -v[73:74]
	v_fma_f64 v[75:76], v[100:101], s[38:39], v[98:99]
	s_delay_alu instid0(VALU_DEP_2) | instskip(NEXT) | instid1(VALU_DEP_2)
	v_add_f64 v[71:72], v[71:72], v[73:74]
	v_add_f64 v[73:74], v[102:103], v[75:76]
	s_delay_alu instid0(VALU_DEP_2) | instskip(NEXT) | instid1(VALU_DEP_2)
	v_add_f64 v[98:99], v[96:97], v[71:72]
	v_add_f64 v[102:103], v[73:74], -v[102:103]
	s_delay_alu instid0(VALU_DEP_2) | instskip(SKIP_1) | instid1(VALU_DEP_3)
	v_add_f64 v[100:101], v[73:74], v[98:99]
	v_add_f64 v[96:97], v[98:99], -v[96:97]
	v_add_f64 v[75:76], v[75:76], -v[102:103]
	s_delay_alu instid0(VALU_DEP_3) | instskip(NEXT) | instid1(VALU_DEP_3)
	v_add_f64 v[104:105], v[100:101], -v[73:74]
	v_add_f64 v[71:72], v[71:72], -v[96:97]
	s_delay_alu instid0(VALU_DEP_2) | instskip(SKIP_1) | instid1(VALU_DEP_3)
	v_add_f64 v[106:107], v[100:101], -v[104:105]
	v_add_f64 v[96:97], v[98:99], -v[104:105]
	v_add_f64 v[98:99], v[75:76], v[71:72]
	s_delay_alu instid0(VALU_DEP_3) | instskip(NEXT) | instid1(VALU_DEP_1)
	v_add_f64 v[73:74], v[73:74], -v[106:107]
	v_add_f64 v[73:74], v[96:97], v[73:74]
	s_delay_alu instid0(VALU_DEP_3) | instskip(NEXT) | instid1(VALU_DEP_2)
	v_add_f64 v[96:97], v[98:99], -v[75:76]
	v_add_f64 v[73:74], v[98:99], v[73:74]
	s_delay_alu instid0(VALU_DEP_2) | instskip(SKIP_1) | instid1(VALU_DEP_3)
	v_add_f64 v[98:99], v[98:99], -v[96:97]
	v_add_f64 v[71:72], v[71:72], -v[96:97]
	v_add_f64 v[102:103], v[100:101], v[73:74]
	s_delay_alu instid0(VALU_DEP_3) | instskip(NEXT) | instid1(VALU_DEP_2)
	v_add_f64 v[75:76], v[75:76], -v[98:99]
	v_add_f64 v[96:97], v[102:103], -v[100:101]
	s_delay_alu instid0(VALU_DEP_2) | instskip(NEXT) | instid1(VALU_DEP_2)
	v_add_f64 v[71:72], v[71:72], v[75:76]
	v_add_f64 v[73:74], v[73:74], -v[96:97]
	s_delay_alu instid0(VALU_DEP_1) | instskip(NEXT) | instid1(VALU_DEP_1)
	v_add_f64 v[71:72], v[71:72], v[73:74]
	v_add_f64 v[71:72], v[102:103], v[71:72]
	s_delay_alu instid0(VALU_DEP_1) | instskip(NEXT) | instid1(VALU_DEP_2)
	v_cndmask_b32_e64 v71, v71, v69, s31
	v_cndmask_b32_e64 v72, v72, v70, s31
	v_cmp_ngt_f64_e64 s31, -1.0, v[69:70]
	s_delay_alu instid0(VALU_DEP_1) | instskip(SKIP_1) | instid1(VALU_DEP_1)
	v_cndmask_b32_e64 v72, 0x7ff80000, v72, s31
	v_cmp_nge_f64_e64 s31, -1.0, v[69:70]
	v_cndmask_b32_e64 v71, 0, v71, s31
	v_cmp_neq_f64_e64 s31, -1.0, v[69:70]
	s_delay_alu instid0(VALU_DEP_1) | instskip(NEXT) | instid1(VALU_DEP_1)
	v_cndmask_b32_e64 v72, 0xfff00000, v72, s31
	v_add_f64 v[69:70], v[61:62], v[71:72]
.LBB86_60:
	s_or_b32 exec_lo, exec_lo, s40
	v_max_f64 v[61:62], v[7:8], v[7:8]
	s_delay_alu instid0(VALU_DEP_2) | instskip(SKIP_2) | instid1(VALU_DEP_3)
	v_max_f64 v[71:72], v[69:70], v[69:70]
	v_cmp_u_f64_e64 s34, v[69:70], v[69:70]
	v_cmp_u_f64_e64 s31, v[7:8], v[7:8]
	v_min_f64 v[73:74], v[71:72], v[61:62]
	v_max_f64 v[71:72], v[71:72], v[61:62]
	s_delay_alu instid0(VALU_DEP_2) | instskip(NEXT) | instid1(VALU_DEP_3)
	v_cndmask_b32_e64 v73, v73, v69, s34
	v_cndmask_b32_e64 v74, v74, v70, s34
	s_delay_alu instid0(VALU_DEP_3) | instskip(NEXT) | instid1(VALU_DEP_4)
	v_cndmask_b32_e64 v72, v72, v70, s34
	v_cndmask_b32_e64 v71, v71, v69, s34
	s_delay_alu instid0(VALU_DEP_4) | instskip(NEXT) | instid1(VALU_DEP_4)
	v_cndmask_b32_e64 v73, v73, v7, s31
	v_cndmask_b32_e64 v74, v74, v8, s31
	s_delay_alu instid0(VALU_DEP_4) | instskip(NEXT) | instid1(VALU_DEP_4)
	v_cndmask_b32_e64 v72, v72, v8, s31
	v_cndmask_b32_e64 v71, v71, v7, s31
	s_delay_alu instid0(VALU_DEP_3) | instskip(NEXT) | instid1(VALU_DEP_2)
	v_cmp_class_f64_e64 s35, v[73:74], 0x1f8
	v_cmp_neq_f64_e64 s34, v[73:74], v[71:72]
	s_delay_alu instid0(VALU_DEP_1) | instskip(NEXT) | instid1(SALU_CYCLE_1)
	s_or_b32 s34, s34, s35
	s_and_saveexec_b32 s40, s34
	s_cbranch_execz .LBB86_62
; %bb.61:
	v_add_f64 v[69:70], v[73:74], -v[71:72]
	s_mov_b32 s34, 0x652b82fe
	s_mov_b32 s35, 0x3ff71547
	;; [unrolled: 1-line block ×10, first 2 shown]
	s_delay_alu instid0(VALU_DEP_1) | instskip(SKIP_2) | instid1(VALU_DEP_1)
	v_mul_f64 v[73:74], v[69:70], s[34:35]
	s_mov_b32 s34, 0xfca7ab0c
	s_mov_b32 s35, 0x3e928af3
	v_rndne_f64_e32 v[73:74], v[73:74]
	s_delay_alu instid0(VALU_DEP_1) | instskip(SKIP_2) | instid1(VALU_DEP_2)
	v_fma_f64 v[75:76], v[73:74], s[36:37], v[69:70]
	v_cvt_i32_f64_e32 v98, v[73:74]
	s_mov_b32 s37, 0x3fe62e42
	v_fma_f64 v[75:76], v[73:74], s[38:39], v[75:76]
	s_mov_b32 s39, 0x3c7abc9e
	s_delay_alu instid0(VALU_DEP_1) | instskip(SKIP_4) | instid1(VALU_DEP_1)
	v_fma_f64 v[96:97], v[75:76], s[42:43], s[34:35]
	s_mov_b32 s34, 0x623fde64
	s_mov_b32 s35, 0x3ec71dee
	s_mov_b32 s42, 0x6b47b09a
	s_mov_b32 s43, 0x3fc38538
	v_fma_f64 v[96:97], v[75:76], v[96:97], s[34:35]
	s_mov_b32 s34, 0x7c89e6b0
	s_mov_b32 s35, 0x3efa0199
	s_delay_alu instid0(VALU_DEP_1) | instid1(SALU_CYCLE_1)
	v_fma_f64 v[96:97], v[75:76], v[96:97], s[34:35]
	s_mov_b32 s34, 0x14761f6e
	s_mov_b32 s35, 0x3f2a01a0
	s_delay_alu instid0(VALU_DEP_1) | instid1(SALU_CYCLE_1)
	;; [unrolled: 4-line block ×7, first 2 shown]
	v_fma_f64 v[96:97], v[75:76], v[96:97], s[34:35]
	v_cmp_nlt_f64_e64 s34, 0x40900000, v[69:70]
	v_cmp_ngt_f64_e64 s35, 0xc090cc00, v[69:70]
	s_delay_alu instid0(VALU_DEP_3) | instskip(NEXT) | instid1(VALU_DEP_1)
	v_fma_f64 v[96:97], v[75:76], v[96:97], 1.0
	v_fma_f64 v[73:74], v[75:76], v[96:97], 1.0
	s_delay_alu instid0(VALU_DEP_1) | instskip(NEXT) | instid1(VALU_DEP_1)
	v_ldexp_f64 v[73:74], v[73:74], v98
	v_cndmask_b32_e64 v74, 0x7ff00000, v74, s34
	s_and_b32 s34, s35, s34
	s_delay_alu instid0(VALU_DEP_2) | instid1(SALU_CYCLE_1)
	v_cndmask_b32_e64 v69, 0, v73, s34
	s_mov_b32 s34, 0x55555555
	s_delay_alu instid0(VALU_DEP_2) | instskip(SKIP_1) | instid1(VALU_DEP_1)
	v_cndmask_b32_e64 v70, 0, v74, s35
	s_mov_b32 s35, 0x3fe55555
	v_add_f64 v[73:74], v[69:70], 1.0
	s_delay_alu instid0(VALU_DEP_1) | instskip(SKIP_2) | instid1(VALU_DEP_3)
	v_frexp_mant_f64_e32 v[75:76], v[73:74]
	v_frexp_exp_i32_f64_e32 v98, v[73:74]
	v_add_f64 v[96:97], v[73:74], -1.0
	v_cmp_gt_f64_e64 s34, s[34:35], v[75:76]
	s_delay_alu instid0(VALU_DEP_2) | instskip(SKIP_1) | instid1(VALU_DEP_3)
	v_add_f64 v[75:76], v[96:97], -v[73:74]
	v_add_f64 v[96:97], v[69:70], -v[96:97]
	v_subrev_co_ci_u32_e64 v114, s34, 0, v98, s34
	s_delay_alu instid0(VALU_DEP_3) | instskip(SKIP_1) | instid1(VALU_DEP_2)
	v_add_f64 v[75:76], v[75:76], 1.0
	s_mov_b32 s34, 0x55555780
	v_sub_nc_u32_e32 v100, 0, v114
	s_delay_alu instid0(VALU_DEP_1) | instskip(NEXT) | instid1(VALU_DEP_3)
	v_ldexp_f64 v[73:74], v[73:74], v100
	v_add_f64 v[75:76], v[96:97], v[75:76]
	s_delay_alu instid0(VALU_DEP_2) | instskip(SKIP_1) | instid1(VALU_DEP_3)
	v_add_f64 v[98:99], v[73:74], 1.0
	v_add_f64 v[104:105], v[73:74], -1.0
	v_ldexp_f64 v[75:76], v[75:76], v100
	s_delay_alu instid0(VALU_DEP_3) | instskip(NEXT) | instid1(VALU_DEP_3)
	v_add_f64 v[96:97], v[98:99], -1.0
	v_add_f64 v[106:107], v[104:105], 1.0
	s_delay_alu instid0(VALU_DEP_2) | instskip(NEXT) | instid1(VALU_DEP_2)
	v_add_f64 v[96:97], v[73:74], -v[96:97]
	v_add_f64 v[73:74], v[73:74], -v[106:107]
	s_delay_alu instid0(VALU_DEP_2) | instskip(NEXT) | instid1(VALU_DEP_2)
	v_add_f64 v[96:97], v[75:76], v[96:97]
	v_add_f64 v[73:74], v[75:76], v[73:74]
	s_delay_alu instid0(VALU_DEP_2) | instskip(NEXT) | instid1(VALU_DEP_2)
	v_add_f64 v[100:101], v[98:99], v[96:97]
	v_add_f64 v[106:107], v[104:105], v[73:74]
	s_delay_alu instid0(VALU_DEP_2) | instskip(SKIP_1) | instid1(VALU_DEP_2)
	v_rcp_f64_e32 v[102:103], v[100:101]
	v_add_f64 v[98:99], v[100:101], -v[98:99]
	v_add_f64 v[104:105], v[106:107], -v[104:105]
	s_delay_alu instid0(VALU_DEP_2) | instskip(SKIP_3) | instid1(VALU_DEP_2)
	v_add_f64 v[96:97], v[96:97], -v[98:99]
	s_waitcnt_depctr 0xfff
	v_fma_f64 v[108:109], -v[100:101], v[102:103], 1.0
	v_add_f64 v[73:74], v[73:74], -v[104:105]
	v_fma_f64 v[102:103], v[108:109], v[102:103], v[102:103]
	s_delay_alu instid0(VALU_DEP_1) | instskip(NEXT) | instid1(VALU_DEP_1)
	v_fma_f64 v[75:76], -v[100:101], v[102:103], 1.0
	v_fma_f64 v[75:76], v[75:76], v[102:103], v[102:103]
	s_delay_alu instid0(VALU_DEP_1) | instskip(NEXT) | instid1(VALU_DEP_1)
	v_mul_f64 v[102:103], v[106:107], v[75:76]
	v_mul_f64 v[108:109], v[100:101], v[102:103]
	s_delay_alu instid0(VALU_DEP_1) | instskip(NEXT) | instid1(VALU_DEP_1)
	v_fma_f64 v[98:99], v[102:103], v[100:101], -v[108:109]
	v_fma_f64 v[98:99], v[102:103], v[96:97], v[98:99]
	s_delay_alu instid0(VALU_DEP_1) | instskip(NEXT) | instid1(VALU_DEP_1)
	v_add_f64 v[110:111], v[108:109], v[98:99]
	v_add_f64 v[112:113], v[106:107], -v[110:111]
	v_add_f64 v[104:105], v[110:111], -v[108:109]
	s_delay_alu instid0(VALU_DEP_2) | instskip(NEXT) | instid1(VALU_DEP_2)
	v_add_f64 v[106:107], v[106:107], -v[112:113]
	v_add_f64 v[98:99], v[104:105], -v[98:99]
	s_delay_alu instid0(VALU_DEP_2) | instskip(NEXT) | instid1(VALU_DEP_1)
	v_add_f64 v[106:107], v[106:107], -v[110:111]
	v_add_f64 v[73:74], v[73:74], v[106:107]
	s_delay_alu instid0(VALU_DEP_1) | instskip(NEXT) | instid1(VALU_DEP_1)
	v_add_f64 v[73:74], v[98:99], v[73:74]
	v_add_f64 v[98:99], v[112:113], v[73:74]
	s_delay_alu instid0(VALU_DEP_1) | instskip(SKIP_1) | instid1(VALU_DEP_2)
	v_mul_f64 v[104:105], v[75:76], v[98:99]
	v_add_f64 v[110:111], v[112:113], -v[98:99]
	v_mul_f64 v[106:107], v[100:101], v[104:105]
	s_delay_alu instid0(VALU_DEP_2) | instskip(NEXT) | instid1(VALU_DEP_2)
	v_add_f64 v[73:74], v[73:74], v[110:111]
	v_fma_f64 v[100:101], v[104:105], v[100:101], -v[106:107]
	s_delay_alu instid0(VALU_DEP_1) | instskip(NEXT) | instid1(VALU_DEP_1)
	v_fma_f64 v[96:97], v[104:105], v[96:97], v[100:101]
	v_add_f64 v[100:101], v[106:107], v[96:97]
	s_delay_alu instid0(VALU_DEP_1) | instskip(SKIP_1) | instid1(VALU_DEP_2)
	v_add_f64 v[108:109], v[98:99], -v[100:101]
	v_add_f64 v[106:107], v[100:101], -v[106:107]
	;; [unrolled: 1-line block ×3, first 2 shown]
	s_delay_alu instid0(VALU_DEP_2) | instskip(NEXT) | instid1(VALU_DEP_2)
	v_add_f64 v[96:97], v[106:107], -v[96:97]
	v_add_f64 v[98:99], v[98:99], -v[100:101]
	s_delay_alu instid0(VALU_DEP_1) | instskip(SKIP_1) | instid1(VALU_DEP_2)
	v_add_f64 v[73:74], v[73:74], v[98:99]
	v_add_f64 v[98:99], v[102:103], v[104:105]
	;; [unrolled: 1-line block ×3, first 2 shown]
	s_delay_alu instid0(VALU_DEP_2) | instskip(NEXT) | instid1(VALU_DEP_2)
	v_add_f64 v[96:97], v[98:99], -v[102:103]
	v_add_f64 v[73:74], v[108:109], v[73:74]
	s_delay_alu instid0(VALU_DEP_2) | instskip(NEXT) | instid1(VALU_DEP_2)
	v_add_f64 v[96:97], v[104:105], -v[96:97]
	v_mul_f64 v[73:74], v[75:76], v[73:74]
	s_delay_alu instid0(VALU_DEP_1) | instskip(NEXT) | instid1(VALU_DEP_1)
	v_add_f64 v[73:74], v[96:97], v[73:74]
	v_add_f64 v[75:76], v[98:99], v[73:74]
	s_delay_alu instid0(VALU_DEP_1) | instskip(NEXT) | instid1(VALU_DEP_1)
	v_mul_f64 v[96:97], v[75:76], v[75:76]
	v_fma_f64 v[100:101], v[96:97], s[44:45], s[42:43]
	s_mov_b32 s42, 0xd7f4df2e
	s_mov_b32 s43, 0x3fc7474d
	v_mul_f64 v[102:103], v[75:76], v[96:97]
	s_delay_alu instid0(VALU_DEP_2)
	v_fma_f64 v[100:101], v[96:97], v[100:101], s[42:43]
	s_mov_b32 s42, 0x16291751
	s_mov_b32 s43, 0x3fcc71c0
	s_delay_alu instid0(VALU_DEP_1) | instid1(SALU_CYCLE_1)
	v_fma_f64 v[100:101], v[96:97], v[100:101], s[42:43]
	s_mov_b32 s42, 0x9b27acf1
	s_mov_b32 s43, 0x3fd24924
	s_delay_alu instid0(VALU_DEP_1) | instid1(SALU_CYCLE_1)
	;; [unrolled: 4-line block ×3, first 2 shown]
	v_fma_f64 v[100:101], v[96:97], v[100:101], s[42:43]
	s_delay_alu instid0(VALU_DEP_1) | instskip(SKIP_3) | instid1(VALU_DEP_4)
	v_fma_f64 v[96:97], v[96:97], v[100:101], s[34:35]
	v_ldexp_f64 v[100:101], v[75:76], 1
	v_add_f64 v[75:76], v[75:76], -v[98:99]
	v_cmp_eq_f64_e64 s34, 0x7ff00000, v[69:70]
	v_mul_f64 v[96:97], v[102:103], v[96:97]
	v_cvt_f64_i32_e32 v[102:103], v114
	s_delay_alu instid0(VALU_DEP_4) | instskip(NEXT) | instid1(VALU_DEP_3)
	v_add_f64 v[73:74], v[73:74], -v[75:76]
	v_add_f64 v[98:99], v[100:101], v[96:97]
	s_delay_alu instid0(VALU_DEP_3) | instskip(NEXT) | instid1(VALU_DEP_3)
	v_mul_f64 v[104:105], v[102:103], s[36:37]
	v_ldexp_f64 v[73:74], v[73:74], 1
	s_delay_alu instid0(VALU_DEP_3) | instskip(NEXT) | instid1(VALU_DEP_3)
	v_add_f64 v[75:76], v[98:99], -v[100:101]
	v_fma_f64 v[100:101], v[102:103], s[36:37], -v[104:105]
	s_delay_alu instid0(VALU_DEP_2) | instskip(NEXT) | instid1(VALU_DEP_2)
	v_add_f64 v[75:76], v[96:97], -v[75:76]
	v_fma_f64 v[96:97], v[102:103], s[38:39], v[100:101]
	s_delay_alu instid0(VALU_DEP_2) | instskip(NEXT) | instid1(VALU_DEP_2)
	v_add_f64 v[73:74], v[73:74], v[75:76]
	v_add_f64 v[75:76], v[104:105], v[96:97]
	s_delay_alu instid0(VALU_DEP_2) | instskip(NEXT) | instid1(VALU_DEP_2)
	v_add_f64 v[100:101], v[98:99], v[73:74]
	v_add_f64 v[104:105], v[75:76], -v[104:105]
	s_delay_alu instid0(VALU_DEP_2) | instskip(SKIP_1) | instid1(VALU_DEP_3)
	v_add_f64 v[102:103], v[75:76], v[100:101]
	v_add_f64 v[98:99], v[100:101], -v[98:99]
	v_add_f64 v[96:97], v[96:97], -v[104:105]
	s_delay_alu instid0(VALU_DEP_3) | instskip(NEXT) | instid1(VALU_DEP_3)
	v_add_f64 v[106:107], v[102:103], -v[75:76]
	v_add_f64 v[73:74], v[73:74], -v[98:99]
	s_delay_alu instid0(VALU_DEP_2) | instskip(SKIP_1) | instid1(VALU_DEP_3)
	v_add_f64 v[108:109], v[102:103], -v[106:107]
	v_add_f64 v[98:99], v[100:101], -v[106:107]
	v_add_f64 v[100:101], v[96:97], v[73:74]
	s_delay_alu instid0(VALU_DEP_3) | instskip(NEXT) | instid1(VALU_DEP_1)
	v_add_f64 v[75:76], v[75:76], -v[108:109]
	v_add_f64 v[75:76], v[98:99], v[75:76]
	s_delay_alu instid0(VALU_DEP_3) | instskip(NEXT) | instid1(VALU_DEP_2)
	v_add_f64 v[98:99], v[100:101], -v[96:97]
	v_add_f64 v[75:76], v[100:101], v[75:76]
	s_delay_alu instid0(VALU_DEP_2) | instskip(SKIP_1) | instid1(VALU_DEP_3)
	v_add_f64 v[100:101], v[100:101], -v[98:99]
	v_add_f64 v[73:74], v[73:74], -v[98:99]
	v_add_f64 v[104:105], v[102:103], v[75:76]
	s_delay_alu instid0(VALU_DEP_3) | instskip(NEXT) | instid1(VALU_DEP_2)
	v_add_f64 v[96:97], v[96:97], -v[100:101]
	v_add_f64 v[98:99], v[104:105], -v[102:103]
	s_delay_alu instid0(VALU_DEP_2) | instskip(NEXT) | instid1(VALU_DEP_2)
	v_add_f64 v[73:74], v[73:74], v[96:97]
	v_add_f64 v[75:76], v[75:76], -v[98:99]
	s_delay_alu instid0(VALU_DEP_1) | instskip(NEXT) | instid1(VALU_DEP_1)
	v_add_f64 v[73:74], v[73:74], v[75:76]
	v_add_f64 v[73:74], v[104:105], v[73:74]
	s_delay_alu instid0(VALU_DEP_1) | instskip(NEXT) | instid1(VALU_DEP_2)
	v_cndmask_b32_e64 v73, v73, v69, s34
	v_cndmask_b32_e64 v74, v74, v70, s34
	v_cmp_ngt_f64_e64 s34, -1.0, v[69:70]
	s_delay_alu instid0(VALU_DEP_1) | instskip(SKIP_1) | instid1(VALU_DEP_1)
	v_cndmask_b32_e64 v74, 0x7ff80000, v74, s34
	v_cmp_nge_f64_e64 s34, -1.0, v[69:70]
	v_cndmask_b32_e64 v73, 0, v73, s34
	v_cmp_neq_f64_e64 s34, -1.0, v[69:70]
	s_delay_alu instid0(VALU_DEP_1) | instskip(NEXT) | instid1(VALU_DEP_1)
	v_cndmask_b32_e64 v74, 0xfff00000, v74, s34
	v_add_f64 v[69:70], v[71:72], v[73:74]
.LBB86_62:
	s_or_b32 exec_lo, exec_lo, s40
	s_load_b64 s[34:35], s[0:1], 0x20
	v_mbcnt_lo_u32_b32 v96, -1, 0
	s_delay_alu instid0(VALU_DEP_2) | instskip(NEXT) | instid1(VALU_DEP_3)
	v_mov_b32_dpp v71, v69 row_shr:1 row_mask:0xf bank_mask:0xf
	v_mov_b32_dpp v72, v70 row_shr:1 row_mask:0xf bank_mask:0xf
	v_dual_mov_b32 v73, v69 :: v_dual_mov_b32 v74, v70
	s_delay_alu instid0(VALU_DEP_4) | instskip(SKIP_1) | instid1(VALU_DEP_1)
	v_and_b32_e32 v75, 15, v96
	s_mov_b32 s40, exec_lo
	v_cmpx_ne_u32_e32 0, v75
	s_cbranch_execz .LBB86_66
; %bb.63:
	v_max_f64 v[73:74], v[71:72], v[71:72]
	v_max_f64 v[97:98], v[69:70], v[69:70]
	v_cmp_u_f64_e64 s0, v[71:72], v[71:72]
	v_cmp_u_f64_e64 s1, v[69:70], v[69:70]
	s_delay_alu instid0(VALU_DEP_3) | instskip(SKIP_1) | instid1(VALU_DEP_2)
	v_min_f64 v[99:100], v[73:74], v[97:98]
	v_max_f64 v[73:74], v[73:74], v[97:98]
	v_cndmask_b32_e64 v76, v99, v71, s0
	s_delay_alu instid0(VALU_DEP_3) | instskip(NEXT) | instid1(VALU_DEP_3)
	v_cndmask_b32_e64 v97, v100, v72, s0
	v_cndmask_b32_e64 v98, v74, v72, s0
	s_delay_alu instid0(VALU_DEP_4) | instskip(NEXT) | instid1(VALU_DEP_4)
	v_cndmask_b32_e64 v99, v73, v71, s0
	v_cndmask_b32_e64 v73, v76, v69, s1
	s_delay_alu instid0(VALU_DEP_4) | instskip(NEXT) | instid1(VALU_DEP_4)
	v_cndmask_b32_e64 v74, v97, v70, s1
	v_cndmask_b32_e64 v70, v98, v70, s1
	s_delay_alu instid0(VALU_DEP_4) | instskip(NEXT) | instid1(VALU_DEP_3)
	v_cndmask_b32_e64 v69, v99, v69, s1
	v_cmp_class_f64_e64 s1, v[73:74], 0x1f8
	s_delay_alu instid0(VALU_DEP_2) | instskip(NEXT) | instid1(VALU_DEP_1)
	v_cmp_neq_f64_e64 s0, v[73:74], v[69:70]
	s_or_b32 s0, s0, s1
	s_delay_alu instid0(SALU_CYCLE_1)
	s_and_saveexec_b32 s41, s0
	s_cbranch_execz .LBB86_65
; %bb.64:
	v_add_f64 v[71:72], v[73:74], -v[69:70]
	s_mov_b32 s0, 0x652b82fe
	s_mov_b32 s1, 0x3ff71547
	;; [unrolled: 1-line block ×10, first 2 shown]
	s_delay_alu instid0(VALU_DEP_1) | instskip(SKIP_2) | instid1(VALU_DEP_1)
	v_mul_f64 v[73:74], v[71:72], s[0:1]
	s_mov_b32 s0, 0xfca7ab0c
	s_mov_b32 s1, 0x3e928af3
	v_rndne_f64_e32 v[73:74], v[73:74]
	s_delay_alu instid0(VALU_DEP_1) | instskip(SKIP_2) | instid1(VALU_DEP_2)
	v_fma_f64 v[97:98], v[73:74], s[36:37], v[71:72]
	v_cvt_i32_f64_e32 v76, v[73:74]
	s_mov_b32 s37, 0x3fe62e42
	v_fma_f64 v[97:98], v[73:74], s[38:39], v[97:98]
	s_mov_b32 s39, 0x3c7abc9e
	s_delay_alu instid0(VALU_DEP_1) | instskip(SKIP_4) | instid1(VALU_DEP_1)
	v_fma_f64 v[99:100], v[97:98], s[42:43], s[0:1]
	s_mov_b32 s0, 0x623fde64
	s_mov_b32 s1, 0x3ec71dee
	s_mov_b32 s42, 0x6b47b09a
	s_mov_b32 s43, 0x3fc38538
	v_fma_f64 v[99:100], v[97:98], v[99:100], s[0:1]
	s_mov_b32 s0, 0x7c89e6b0
	s_mov_b32 s1, 0x3efa0199
	s_delay_alu instid0(VALU_DEP_1) | instid1(SALU_CYCLE_1)
	v_fma_f64 v[99:100], v[97:98], v[99:100], s[0:1]
	s_mov_b32 s0, 0x14761f6e
	s_mov_b32 s1, 0x3f2a01a0
	s_delay_alu instid0(VALU_DEP_1) | instid1(SALU_CYCLE_1)
	;; [unrolled: 4-line block ×7, first 2 shown]
	v_fma_f64 v[99:100], v[97:98], v[99:100], s[0:1]
	v_cmp_nlt_f64_e64 s0, 0x40900000, v[71:72]
	v_cmp_ngt_f64_e64 s1, 0xc090cc00, v[71:72]
	s_delay_alu instid0(VALU_DEP_3) | instskip(NEXT) | instid1(VALU_DEP_1)
	v_fma_f64 v[99:100], v[97:98], v[99:100], 1.0
	v_fma_f64 v[73:74], v[97:98], v[99:100], 1.0
	s_delay_alu instid0(VALU_DEP_1) | instskip(NEXT) | instid1(VALU_DEP_1)
	v_ldexp_f64 v[73:74], v[73:74], v76
	v_cndmask_b32_e64 v74, 0x7ff00000, v74, s0
	s_and_b32 s0, s1, s0
	s_delay_alu instid0(VALU_DEP_2) | instid1(SALU_CYCLE_1)
	v_cndmask_b32_e64 v71, 0, v73, s0
	s_mov_b32 s0, 0x55555555
	s_delay_alu instid0(VALU_DEP_2) | instskip(SKIP_1) | instid1(VALU_DEP_1)
	v_cndmask_b32_e64 v72, 0, v74, s1
	s_mov_b32 s1, 0x3fe55555
	v_add_f64 v[73:74], v[71:72], 1.0
	s_delay_alu instid0(VALU_DEP_1) | instskip(SKIP_2) | instid1(VALU_DEP_3)
	v_frexp_mant_f64_e32 v[97:98], v[73:74]
	v_frexp_exp_i32_f64_e32 v76, v[73:74]
	v_add_f64 v[99:100], v[73:74], -1.0
	v_cmp_gt_f64_e64 s0, s[0:1], v[97:98]
	s_delay_alu instid0(VALU_DEP_2) | instskip(SKIP_1) | instid1(VALU_DEP_3)
	v_add_f64 v[97:98], v[99:100], -v[73:74]
	v_add_f64 v[99:100], v[71:72], -v[99:100]
	v_subrev_co_ci_u32_e64 v76, s0, 0, v76, s0
	s_delay_alu instid0(VALU_DEP_3) | instskip(SKIP_1) | instid1(VALU_DEP_2)
	v_add_f64 v[97:98], v[97:98], 1.0
	s_mov_b32 s0, 0x55555780
	v_sub_nc_u32_e32 v103, 0, v76
	s_delay_alu instid0(VALU_DEP_1) | instskip(NEXT) | instid1(VALU_DEP_3)
	v_ldexp_f64 v[73:74], v[73:74], v103
	v_add_f64 v[97:98], v[99:100], v[97:98]
	s_delay_alu instid0(VALU_DEP_2) | instskip(SKIP_1) | instid1(VALU_DEP_3)
	v_add_f64 v[101:102], v[73:74], 1.0
	v_add_f64 v[107:108], v[73:74], -1.0
	v_ldexp_f64 v[97:98], v[97:98], v103
	s_delay_alu instid0(VALU_DEP_3) | instskip(NEXT) | instid1(VALU_DEP_3)
	v_add_f64 v[99:100], v[101:102], -1.0
	v_add_f64 v[109:110], v[107:108], 1.0
	s_delay_alu instid0(VALU_DEP_2) | instskip(NEXT) | instid1(VALU_DEP_2)
	v_add_f64 v[99:100], v[73:74], -v[99:100]
	v_add_f64 v[73:74], v[73:74], -v[109:110]
	s_delay_alu instid0(VALU_DEP_2) | instskip(NEXT) | instid1(VALU_DEP_2)
	v_add_f64 v[99:100], v[97:98], v[99:100]
	v_add_f64 v[73:74], v[97:98], v[73:74]
	s_delay_alu instid0(VALU_DEP_2) | instskip(NEXT) | instid1(VALU_DEP_2)
	v_add_f64 v[103:104], v[101:102], v[99:100]
	v_add_f64 v[109:110], v[107:108], v[73:74]
	s_delay_alu instid0(VALU_DEP_2) | instskip(SKIP_1) | instid1(VALU_DEP_2)
	v_rcp_f64_e32 v[105:106], v[103:104]
	v_add_f64 v[101:102], v[103:104], -v[101:102]
	v_add_f64 v[107:108], v[109:110], -v[107:108]
	s_delay_alu instid0(VALU_DEP_2) | instskip(SKIP_3) | instid1(VALU_DEP_2)
	v_add_f64 v[99:100], v[99:100], -v[101:102]
	s_waitcnt_depctr 0xfff
	v_fma_f64 v[111:112], -v[103:104], v[105:106], 1.0
	v_add_f64 v[73:74], v[73:74], -v[107:108]
	v_fma_f64 v[105:106], v[111:112], v[105:106], v[105:106]
	s_delay_alu instid0(VALU_DEP_1) | instskip(NEXT) | instid1(VALU_DEP_1)
	v_fma_f64 v[97:98], -v[103:104], v[105:106], 1.0
	v_fma_f64 v[97:98], v[97:98], v[105:106], v[105:106]
	s_delay_alu instid0(VALU_DEP_1) | instskip(NEXT) | instid1(VALU_DEP_1)
	v_mul_f64 v[105:106], v[109:110], v[97:98]
	v_mul_f64 v[111:112], v[103:104], v[105:106]
	s_delay_alu instid0(VALU_DEP_1) | instskip(NEXT) | instid1(VALU_DEP_1)
	v_fma_f64 v[101:102], v[105:106], v[103:104], -v[111:112]
	v_fma_f64 v[101:102], v[105:106], v[99:100], v[101:102]
	s_delay_alu instid0(VALU_DEP_1) | instskip(NEXT) | instid1(VALU_DEP_1)
	v_add_f64 v[113:114], v[111:112], v[101:102]
	v_add_f64 v[115:116], v[109:110], -v[113:114]
	v_add_f64 v[107:108], v[113:114], -v[111:112]
	s_delay_alu instid0(VALU_DEP_2) | instskip(NEXT) | instid1(VALU_DEP_2)
	v_add_f64 v[109:110], v[109:110], -v[115:116]
	v_add_f64 v[101:102], v[107:108], -v[101:102]
	s_delay_alu instid0(VALU_DEP_2) | instskip(NEXT) | instid1(VALU_DEP_1)
	v_add_f64 v[109:110], v[109:110], -v[113:114]
	v_add_f64 v[73:74], v[73:74], v[109:110]
	s_delay_alu instid0(VALU_DEP_1) | instskip(NEXT) | instid1(VALU_DEP_1)
	v_add_f64 v[73:74], v[101:102], v[73:74]
	v_add_f64 v[101:102], v[115:116], v[73:74]
	s_delay_alu instid0(VALU_DEP_1) | instskip(SKIP_1) | instid1(VALU_DEP_2)
	v_mul_f64 v[107:108], v[97:98], v[101:102]
	v_add_f64 v[113:114], v[115:116], -v[101:102]
	v_mul_f64 v[109:110], v[103:104], v[107:108]
	s_delay_alu instid0(VALU_DEP_2) | instskip(NEXT) | instid1(VALU_DEP_2)
	v_add_f64 v[73:74], v[73:74], v[113:114]
	v_fma_f64 v[103:104], v[107:108], v[103:104], -v[109:110]
	s_delay_alu instid0(VALU_DEP_1) | instskip(NEXT) | instid1(VALU_DEP_1)
	v_fma_f64 v[99:100], v[107:108], v[99:100], v[103:104]
	v_add_f64 v[103:104], v[109:110], v[99:100]
	s_delay_alu instid0(VALU_DEP_1) | instskip(SKIP_1) | instid1(VALU_DEP_2)
	v_add_f64 v[111:112], v[101:102], -v[103:104]
	v_add_f64 v[109:110], v[103:104], -v[109:110]
	;; [unrolled: 1-line block ×3, first 2 shown]
	s_delay_alu instid0(VALU_DEP_2) | instskip(NEXT) | instid1(VALU_DEP_2)
	v_add_f64 v[99:100], v[109:110], -v[99:100]
	v_add_f64 v[101:102], v[101:102], -v[103:104]
	s_delay_alu instid0(VALU_DEP_1) | instskip(SKIP_1) | instid1(VALU_DEP_2)
	v_add_f64 v[73:74], v[73:74], v[101:102]
	v_add_f64 v[101:102], v[105:106], v[107:108]
	;; [unrolled: 1-line block ×3, first 2 shown]
	s_delay_alu instid0(VALU_DEP_2) | instskip(NEXT) | instid1(VALU_DEP_2)
	v_add_f64 v[99:100], v[101:102], -v[105:106]
	v_add_f64 v[73:74], v[111:112], v[73:74]
	s_delay_alu instid0(VALU_DEP_2) | instskip(NEXT) | instid1(VALU_DEP_2)
	v_add_f64 v[99:100], v[107:108], -v[99:100]
	v_mul_f64 v[73:74], v[97:98], v[73:74]
	s_delay_alu instid0(VALU_DEP_1) | instskip(NEXT) | instid1(VALU_DEP_1)
	v_add_f64 v[73:74], v[99:100], v[73:74]
	v_add_f64 v[97:98], v[101:102], v[73:74]
	s_delay_alu instid0(VALU_DEP_1) | instskip(NEXT) | instid1(VALU_DEP_1)
	v_mul_f64 v[99:100], v[97:98], v[97:98]
	v_fma_f64 v[103:104], v[99:100], s[44:45], s[42:43]
	s_mov_b32 s42, 0xd7f4df2e
	s_mov_b32 s43, 0x3fc7474d
	v_mul_f64 v[105:106], v[97:98], v[99:100]
	s_delay_alu instid0(VALU_DEP_2)
	v_fma_f64 v[103:104], v[99:100], v[103:104], s[42:43]
	s_mov_b32 s42, 0x16291751
	s_mov_b32 s43, 0x3fcc71c0
	s_delay_alu instid0(VALU_DEP_1) | instid1(SALU_CYCLE_1)
	v_fma_f64 v[103:104], v[99:100], v[103:104], s[42:43]
	s_mov_b32 s42, 0x9b27acf1
	s_mov_b32 s43, 0x3fd24924
	s_delay_alu instid0(VALU_DEP_1) | instid1(SALU_CYCLE_1)
	;; [unrolled: 4-line block ×3, first 2 shown]
	v_fma_f64 v[103:104], v[99:100], v[103:104], s[42:43]
	s_delay_alu instid0(VALU_DEP_1) | instskip(SKIP_3) | instid1(VALU_DEP_4)
	v_fma_f64 v[99:100], v[99:100], v[103:104], s[0:1]
	v_ldexp_f64 v[103:104], v[97:98], 1
	v_add_f64 v[97:98], v[97:98], -v[101:102]
	v_cmp_eq_f64_e64 s0, 0x7ff00000, v[71:72]
	v_mul_f64 v[99:100], v[105:106], v[99:100]
	v_cvt_f64_i32_e32 v[105:106], v76
	s_delay_alu instid0(VALU_DEP_4) | instskip(NEXT) | instid1(VALU_DEP_3)
	v_add_f64 v[73:74], v[73:74], -v[97:98]
	v_add_f64 v[101:102], v[103:104], v[99:100]
	s_delay_alu instid0(VALU_DEP_3) | instskip(NEXT) | instid1(VALU_DEP_3)
	v_mul_f64 v[107:108], v[105:106], s[36:37]
	v_ldexp_f64 v[73:74], v[73:74], 1
	s_delay_alu instid0(VALU_DEP_3) | instskip(NEXT) | instid1(VALU_DEP_3)
	v_add_f64 v[97:98], v[101:102], -v[103:104]
	v_fma_f64 v[103:104], v[105:106], s[36:37], -v[107:108]
	s_delay_alu instid0(VALU_DEP_2) | instskip(NEXT) | instid1(VALU_DEP_2)
	v_add_f64 v[97:98], v[99:100], -v[97:98]
	v_fma_f64 v[99:100], v[105:106], s[38:39], v[103:104]
	s_delay_alu instid0(VALU_DEP_2) | instskip(NEXT) | instid1(VALU_DEP_2)
	v_add_f64 v[73:74], v[73:74], v[97:98]
	v_add_f64 v[97:98], v[107:108], v[99:100]
	s_delay_alu instid0(VALU_DEP_2) | instskip(NEXT) | instid1(VALU_DEP_2)
	v_add_f64 v[103:104], v[101:102], v[73:74]
	v_add_f64 v[107:108], v[97:98], -v[107:108]
	s_delay_alu instid0(VALU_DEP_2) | instskip(SKIP_1) | instid1(VALU_DEP_3)
	v_add_f64 v[105:106], v[97:98], v[103:104]
	v_add_f64 v[101:102], v[103:104], -v[101:102]
	v_add_f64 v[99:100], v[99:100], -v[107:108]
	s_delay_alu instid0(VALU_DEP_3) | instskip(NEXT) | instid1(VALU_DEP_3)
	v_add_f64 v[109:110], v[105:106], -v[97:98]
	v_add_f64 v[73:74], v[73:74], -v[101:102]
	s_delay_alu instid0(VALU_DEP_2) | instskip(SKIP_1) | instid1(VALU_DEP_3)
	v_add_f64 v[111:112], v[105:106], -v[109:110]
	v_add_f64 v[101:102], v[103:104], -v[109:110]
	v_add_f64 v[103:104], v[99:100], v[73:74]
	s_delay_alu instid0(VALU_DEP_3) | instskip(NEXT) | instid1(VALU_DEP_1)
	v_add_f64 v[97:98], v[97:98], -v[111:112]
	v_add_f64 v[97:98], v[101:102], v[97:98]
	s_delay_alu instid0(VALU_DEP_3) | instskip(NEXT) | instid1(VALU_DEP_2)
	v_add_f64 v[101:102], v[103:104], -v[99:100]
	v_add_f64 v[97:98], v[103:104], v[97:98]
	s_delay_alu instid0(VALU_DEP_2) | instskip(SKIP_1) | instid1(VALU_DEP_3)
	v_add_f64 v[103:104], v[103:104], -v[101:102]
	v_add_f64 v[73:74], v[73:74], -v[101:102]
	v_add_f64 v[107:108], v[105:106], v[97:98]
	s_delay_alu instid0(VALU_DEP_3) | instskip(NEXT) | instid1(VALU_DEP_2)
	v_add_f64 v[99:100], v[99:100], -v[103:104]
	v_add_f64 v[101:102], v[107:108], -v[105:106]
	s_delay_alu instid0(VALU_DEP_2) | instskip(NEXT) | instid1(VALU_DEP_2)
	v_add_f64 v[73:74], v[73:74], v[99:100]
	v_add_f64 v[97:98], v[97:98], -v[101:102]
	s_delay_alu instid0(VALU_DEP_1) | instskip(NEXT) | instid1(VALU_DEP_1)
	v_add_f64 v[73:74], v[73:74], v[97:98]
	v_add_f64 v[73:74], v[107:108], v[73:74]
	s_delay_alu instid0(VALU_DEP_1) | instskip(NEXT) | instid1(VALU_DEP_2)
	v_cndmask_b32_e64 v73, v73, v71, s0
	v_cndmask_b32_e64 v74, v74, v72, s0
	v_cmp_ngt_f64_e64 s0, -1.0, v[71:72]
	s_delay_alu instid0(VALU_DEP_1) | instskip(SKIP_1) | instid1(VALU_DEP_1)
	v_cndmask_b32_e64 v74, 0x7ff80000, v74, s0
	v_cmp_nge_f64_e64 s0, -1.0, v[71:72]
	v_cndmask_b32_e64 v73, 0, v73, s0
	v_cmp_neq_f64_e64 s0, -1.0, v[71:72]
	s_delay_alu instid0(VALU_DEP_1) | instskip(NEXT) | instid1(VALU_DEP_1)
	v_cndmask_b32_e64 v74, 0xfff00000, v74, s0
	v_add_f64 v[71:72], v[69:70], v[73:74]
.LBB86_65:
	s_or_b32 exec_lo, exec_lo, s41
	s_delay_alu instid0(VALU_DEP_1)
	v_dual_mov_b32 v73, v71 :: v_dual_mov_b32 v74, v72
	v_dual_mov_b32 v69, v71 :: v_dual_mov_b32 v70, v72
.LBB86_66:
	s_or_b32 exec_lo, exec_lo, s40
	s_delay_alu instid0(VALU_DEP_2) | instskip(NEXT) | instid1(VALU_DEP_3)
	v_mov_b32_dpp v71, v73 row_shr:2 row_mask:0xf bank_mask:0xf
	v_mov_b32_dpp v72, v74 row_shr:2 row_mask:0xf bank_mask:0xf
	s_mov_b32 s40, exec_lo
	v_cmpx_lt_u32_e32 1, v75
	s_cbranch_execz .LBB86_70
; %bb.67:
	s_delay_alu instid0(VALU_DEP_2) | instskip(SKIP_3) | instid1(VALU_DEP_3)
	v_max_f64 v[73:74], v[71:72], v[71:72]
	v_max_f64 v[97:98], v[69:70], v[69:70]
	v_cmp_u_f64_e64 s0, v[71:72], v[71:72]
	v_cmp_u_f64_e64 s1, v[69:70], v[69:70]
	v_min_f64 v[99:100], v[73:74], v[97:98]
	v_max_f64 v[73:74], v[73:74], v[97:98]
	s_delay_alu instid0(VALU_DEP_2) | instskip(NEXT) | instid1(VALU_DEP_3)
	v_cndmask_b32_e64 v76, v99, v71, s0
	v_cndmask_b32_e64 v97, v100, v72, s0
	s_delay_alu instid0(VALU_DEP_3) | instskip(NEXT) | instid1(VALU_DEP_4)
	v_cndmask_b32_e64 v98, v74, v72, s0
	v_cndmask_b32_e64 v99, v73, v71, s0
	s_delay_alu instid0(VALU_DEP_4) | instskip(NEXT) | instid1(VALU_DEP_4)
	v_cndmask_b32_e64 v73, v76, v69, s1
	v_cndmask_b32_e64 v74, v97, v70, s1
	s_delay_alu instid0(VALU_DEP_4) | instskip(NEXT) | instid1(VALU_DEP_4)
	v_cndmask_b32_e64 v70, v98, v70, s1
	v_cndmask_b32_e64 v69, v99, v69, s1
	s_delay_alu instid0(VALU_DEP_3) | instskip(NEXT) | instid1(VALU_DEP_2)
	v_cmp_class_f64_e64 s1, v[73:74], 0x1f8
	v_cmp_neq_f64_e64 s0, v[73:74], v[69:70]
	s_delay_alu instid0(VALU_DEP_1) | instskip(NEXT) | instid1(SALU_CYCLE_1)
	s_or_b32 s0, s0, s1
	s_and_saveexec_b32 s41, s0
	s_cbranch_execz .LBB86_69
; %bb.68:
	v_add_f64 v[71:72], v[73:74], -v[69:70]
	s_mov_b32 s0, 0x652b82fe
	s_mov_b32 s1, 0x3ff71547
	;; [unrolled: 1-line block ×10, first 2 shown]
	s_delay_alu instid0(VALU_DEP_1) | instskip(SKIP_2) | instid1(VALU_DEP_1)
	v_mul_f64 v[73:74], v[71:72], s[0:1]
	s_mov_b32 s0, 0xfca7ab0c
	s_mov_b32 s1, 0x3e928af3
	v_rndne_f64_e32 v[73:74], v[73:74]
	s_delay_alu instid0(VALU_DEP_1) | instskip(SKIP_2) | instid1(VALU_DEP_2)
	v_fma_f64 v[97:98], v[73:74], s[36:37], v[71:72]
	v_cvt_i32_f64_e32 v76, v[73:74]
	s_mov_b32 s37, 0x3fe62e42
	v_fma_f64 v[97:98], v[73:74], s[38:39], v[97:98]
	s_mov_b32 s39, 0x3c7abc9e
	s_delay_alu instid0(VALU_DEP_1) | instskip(SKIP_4) | instid1(VALU_DEP_1)
	v_fma_f64 v[99:100], v[97:98], s[42:43], s[0:1]
	s_mov_b32 s0, 0x623fde64
	s_mov_b32 s1, 0x3ec71dee
	;; [unrolled: 1-line block ×4, first 2 shown]
	v_fma_f64 v[99:100], v[97:98], v[99:100], s[0:1]
	s_mov_b32 s0, 0x7c89e6b0
	s_mov_b32 s1, 0x3efa0199
	s_delay_alu instid0(VALU_DEP_1) | instid1(SALU_CYCLE_1)
	v_fma_f64 v[99:100], v[97:98], v[99:100], s[0:1]
	s_mov_b32 s0, 0x14761f6e
	s_mov_b32 s1, 0x3f2a01a0
	s_delay_alu instid0(VALU_DEP_1) | instid1(SALU_CYCLE_1)
	;; [unrolled: 4-line block ×7, first 2 shown]
	v_fma_f64 v[99:100], v[97:98], v[99:100], s[0:1]
	v_cmp_nlt_f64_e64 s0, 0x40900000, v[71:72]
	v_cmp_ngt_f64_e64 s1, 0xc090cc00, v[71:72]
	s_delay_alu instid0(VALU_DEP_3) | instskip(NEXT) | instid1(VALU_DEP_1)
	v_fma_f64 v[99:100], v[97:98], v[99:100], 1.0
	v_fma_f64 v[73:74], v[97:98], v[99:100], 1.0
	s_delay_alu instid0(VALU_DEP_1) | instskip(NEXT) | instid1(VALU_DEP_1)
	v_ldexp_f64 v[73:74], v[73:74], v76
	v_cndmask_b32_e64 v74, 0x7ff00000, v74, s0
	s_and_b32 s0, s1, s0
	s_delay_alu instid0(VALU_DEP_2) | instid1(SALU_CYCLE_1)
	v_cndmask_b32_e64 v71, 0, v73, s0
	s_mov_b32 s0, 0x55555555
	s_delay_alu instid0(VALU_DEP_2) | instskip(SKIP_1) | instid1(VALU_DEP_1)
	v_cndmask_b32_e64 v72, 0, v74, s1
	s_mov_b32 s1, 0x3fe55555
	v_add_f64 v[73:74], v[71:72], 1.0
	s_delay_alu instid0(VALU_DEP_1) | instskip(SKIP_2) | instid1(VALU_DEP_3)
	v_frexp_mant_f64_e32 v[97:98], v[73:74]
	v_frexp_exp_i32_f64_e32 v76, v[73:74]
	v_add_f64 v[99:100], v[73:74], -1.0
	v_cmp_gt_f64_e64 s0, s[0:1], v[97:98]
	s_delay_alu instid0(VALU_DEP_2) | instskip(SKIP_1) | instid1(VALU_DEP_3)
	v_add_f64 v[97:98], v[99:100], -v[73:74]
	v_add_f64 v[99:100], v[71:72], -v[99:100]
	v_subrev_co_ci_u32_e64 v76, s0, 0, v76, s0
	s_delay_alu instid0(VALU_DEP_3) | instskip(SKIP_1) | instid1(VALU_DEP_2)
	v_add_f64 v[97:98], v[97:98], 1.0
	s_mov_b32 s0, 0x55555780
	v_sub_nc_u32_e32 v103, 0, v76
	s_delay_alu instid0(VALU_DEP_1) | instskip(NEXT) | instid1(VALU_DEP_3)
	v_ldexp_f64 v[73:74], v[73:74], v103
	v_add_f64 v[97:98], v[99:100], v[97:98]
	s_delay_alu instid0(VALU_DEP_2) | instskip(SKIP_1) | instid1(VALU_DEP_3)
	v_add_f64 v[101:102], v[73:74], 1.0
	v_add_f64 v[107:108], v[73:74], -1.0
	v_ldexp_f64 v[97:98], v[97:98], v103
	s_delay_alu instid0(VALU_DEP_3) | instskip(NEXT) | instid1(VALU_DEP_3)
	v_add_f64 v[99:100], v[101:102], -1.0
	v_add_f64 v[109:110], v[107:108], 1.0
	s_delay_alu instid0(VALU_DEP_2) | instskip(NEXT) | instid1(VALU_DEP_2)
	v_add_f64 v[99:100], v[73:74], -v[99:100]
	v_add_f64 v[73:74], v[73:74], -v[109:110]
	s_delay_alu instid0(VALU_DEP_2) | instskip(NEXT) | instid1(VALU_DEP_2)
	v_add_f64 v[99:100], v[97:98], v[99:100]
	v_add_f64 v[73:74], v[97:98], v[73:74]
	s_delay_alu instid0(VALU_DEP_2) | instskip(NEXT) | instid1(VALU_DEP_2)
	v_add_f64 v[103:104], v[101:102], v[99:100]
	v_add_f64 v[109:110], v[107:108], v[73:74]
	s_delay_alu instid0(VALU_DEP_2) | instskip(SKIP_1) | instid1(VALU_DEP_2)
	v_rcp_f64_e32 v[105:106], v[103:104]
	v_add_f64 v[101:102], v[103:104], -v[101:102]
	v_add_f64 v[107:108], v[109:110], -v[107:108]
	s_delay_alu instid0(VALU_DEP_2) | instskip(SKIP_3) | instid1(VALU_DEP_2)
	v_add_f64 v[99:100], v[99:100], -v[101:102]
	s_waitcnt_depctr 0xfff
	v_fma_f64 v[111:112], -v[103:104], v[105:106], 1.0
	v_add_f64 v[73:74], v[73:74], -v[107:108]
	v_fma_f64 v[105:106], v[111:112], v[105:106], v[105:106]
	s_delay_alu instid0(VALU_DEP_1) | instskip(NEXT) | instid1(VALU_DEP_1)
	v_fma_f64 v[97:98], -v[103:104], v[105:106], 1.0
	v_fma_f64 v[97:98], v[97:98], v[105:106], v[105:106]
	s_delay_alu instid0(VALU_DEP_1) | instskip(NEXT) | instid1(VALU_DEP_1)
	v_mul_f64 v[105:106], v[109:110], v[97:98]
	v_mul_f64 v[111:112], v[103:104], v[105:106]
	s_delay_alu instid0(VALU_DEP_1) | instskip(NEXT) | instid1(VALU_DEP_1)
	v_fma_f64 v[101:102], v[105:106], v[103:104], -v[111:112]
	v_fma_f64 v[101:102], v[105:106], v[99:100], v[101:102]
	s_delay_alu instid0(VALU_DEP_1) | instskip(NEXT) | instid1(VALU_DEP_1)
	v_add_f64 v[113:114], v[111:112], v[101:102]
	v_add_f64 v[115:116], v[109:110], -v[113:114]
	v_add_f64 v[107:108], v[113:114], -v[111:112]
	s_delay_alu instid0(VALU_DEP_2) | instskip(NEXT) | instid1(VALU_DEP_2)
	v_add_f64 v[109:110], v[109:110], -v[115:116]
	v_add_f64 v[101:102], v[107:108], -v[101:102]
	s_delay_alu instid0(VALU_DEP_2) | instskip(NEXT) | instid1(VALU_DEP_1)
	v_add_f64 v[109:110], v[109:110], -v[113:114]
	v_add_f64 v[73:74], v[73:74], v[109:110]
	s_delay_alu instid0(VALU_DEP_1) | instskip(NEXT) | instid1(VALU_DEP_1)
	v_add_f64 v[73:74], v[101:102], v[73:74]
	v_add_f64 v[101:102], v[115:116], v[73:74]
	s_delay_alu instid0(VALU_DEP_1) | instskip(SKIP_1) | instid1(VALU_DEP_2)
	v_mul_f64 v[107:108], v[97:98], v[101:102]
	v_add_f64 v[113:114], v[115:116], -v[101:102]
	v_mul_f64 v[109:110], v[103:104], v[107:108]
	s_delay_alu instid0(VALU_DEP_2) | instskip(NEXT) | instid1(VALU_DEP_2)
	v_add_f64 v[73:74], v[73:74], v[113:114]
	v_fma_f64 v[103:104], v[107:108], v[103:104], -v[109:110]
	s_delay_alu instid0(VALU_DEP_1) | instskip(NEXT) | instid1(VALU_DEP_1)
	v_fma_f64 v[99:100], v[107:108], v[99:100], v[103:104]
	v_add_f64 v[103:104], v[109:110], v[99:100]
	s_delay_alu instid0(VALU_DEP_1) | instskip(SKIP_1) | instid1(VALU_DEP_2)
	v_add_f64 v[111:112], v[101:102], -v[103:104]
	v_add_f64 v[109:110], v[103:104], -v[109:110]
	;; [unrolled: 1-line block ×3, first 2 shown]
	s_delay_alu instid0(VALU_DEP_2) | instskip(NEXT) | instid1(VALU_DEP_2)
	v_add_f64 v[99:100], v[109:110], -v[99:100]
	v_add_f64 v[101:102], v[101:102], -v[103:104]
	s_delay_alu instid0(VALU_DEP_1) | instskip(SKIP_1) | instid1(VALU_DEP_2)
	v_add_f64 v[73:74], v[73:74], v[101:102]
	v_add_f64 v[101:102], v[105:106], v[107:108]
	;; [unrolled: 1-line block ×3, first 2 shown]
	s_delay_alu instid0(VALU_DEP_2) | instskip(NEXT) | instid1(VALU_DEP_2)
	v_add_f64 v[99:100], v[101:102], -v[105:106]
	v_add_f64 v[73:74], v[111:112], v[73:74]
	s_delay_alu instid0(VALU_DEP_2) | instskip(NEXT) | instid1(VALU_DEP_2)
	v_add_f64 v[99:100], v[107:108], -v[99:100]
	v_mul_f64 v[73:74], v[97:98], v[73:74]
	s_delay_alu instid0(VALU_DEP_1) | instskip(NEXT) | instid1(VALU_DEP_1)
	v_add_f64 v[73:74], v[99:100], v[73:74]
	v_add_f64 v[97:98], v[101:102], v[73:74]
	s_delay_alu instid0(VALU_DEP_1) | instskip(NEXT) | instid1(VALU_DEP_1)
	v_mul_f64 v[99:100], v[97:98], v[97:98]
	v_fma_f64 v[103:104], v[99:100], s[44:45], s[42:43]
	s_mov_b32 s42, 0xd7f4df2e
	s_mov_b32 s43, 0x3fc7474d
	v_mul_f64 v[105:106], v[97:98], v[99:100]
	s_delay_alu instid0(VALU_DEP_2)
	v_fma_f64 v[103:104], v[99:100], v[103:104], s[42:43]
	s_mov_b32 s42, 0x16291751
	s_mov_b32 s43, 0x3fcc71c0
	s_delay_alu instid0(VALU_DEP_1) | instid1(SALU_CYCLE_1)
	v_fma_f64 v[103:104], v[99:100], v[103:104], s[42:43]
	s_mov_b32 s42, 0x9b27acf1
	s_mov_b32 s43, 0x3fd24924
	s_delay_alu instid0(VALU_DEP_1) | instid1(SALU_CYCLE_1)
	;; [unrolled: 4-line block ×3, first 2 shown]
	v_fma_f64 v[103:104], v[99:100], v[103:104], s[42:43]
	s_delay_alu instid0(VALU_DEP_1) | instskip(SKIP_3) | instid1(VALU_DEP_4)
	v_fma_f64 v[99:100], v[99:100], v[103:104], s[0:1]
	v_ldexp_f64 v[103:104], v[97:98], 1
	v_add_f64 v[97:98], v[97:98], -v[101:102]
	v_cmp_eq_f64_e64 s0, 0x7ff00000, v[71:72]
	v_mul_f64 v[99:100], v[105:106], v[99:100]
	v_cvt_f64_i32_e32 v[105:106], v76
	s_delay_alu instid0(VALU_DEP_4) | instskip(NEXT) | instid1(VALU_DEP_3)
	v_add_f64 v[73:74], v[73:74], -v[97:98]
	v_add_f64 v[101:102], v[103:104], v[99:100]
	s_delay_alu instid0(VALU_DEP_3) | instskip(NEXT) | instid1(VALU_DEP_3)
	v_mul_f64 v[107:108], v[105:106], s[36:37]
	v_ldexp_f64 v[73:74], v[73:74], 1
	s_delay_alu instid0(VALU_DEP_3) | instskip(NEXT) | instid1(VALU_DEP_3)
	v_add_f64 v[97:98], v[101:102], -v[103:104]
	v_fma_f64 v[103:104], v[105:106], s[36:37], -v[107:108]
	s_delay_alu instid0(VALU_DEP_2) | instskip(NEXT) | instid1(VALU_DEP_2)
	v_add_f64 v[97:98], v[99:100], -v[97:98]
	v_fma_f64 v[99:100], v[105:106], s[38:39], v[103:104]
	s_delay_alu instid0(VALU_DEP_2) | instskip(NEXT) | instid1(VALU_DEP_2)
	v_add_f64 v[73:74], v[73:74], v[97:98]
	v_add_f64 v[97:98], v[107:108], v[99:100]
	s_delay_alu instid0(VALU_DEP_2) | instskip(NEXT) | instid1(VALU_DEP_2)
	v_add_f64 v[103:104], v[101:102], v[73:74]
	v_add_f64 v[107:108], v[97:98], -v[107:108]
	s_delay_alu instid0(VALU_DEP_2) | instskip(SKIP_1) | instid1(VALU_DEP_3)
	v_add_f64 v[105:106], v[97:98], v[103:104]
	v_add_f64 v[101:102], v[103:104], -v[101:102]
	v_add_f64 v[99:100], v[99:100], -v[107:108]
	s_delay_alu instid0(VALU_DEP_3) | instskip(NEXT) | instid1(VALU_DEP_3)
	v_add_f64 v[109:110], v[105:106], -v[97:98]
	v_add_f64 v[73:74], v[73:74], -v[101:102]
	s_delay_alu instid0(VALU_DEP_2) | instskip(SKIP_1) | instid1(VALU_DEP_3)
	v_add_f64 v[111:112], v[105:106], -v[109:110]
	v_add_f64 v[101:102], v[103:104], -v[109:110]
	v_add_f64 v[103:104], v[99:100], v[73:74]
	s_delay_alu instid0(VALU_DEP_3) | instskip(NEXT) | instid1(VALU_DEP_1)
	v_add_f64 v[97:98], v[97:98], -v[111:112]
	v_add_f64 v[97:98], v[101:102], v[97:98]
	s_delay_alu instid0(VALU_DEP_3) | instskip(NEXT) | instid1(VALU_DEP_2)
	v_add_f64 v[101:102], v[103:104], -v[99:100]
	v_add_f64 v[97:98], v[103:104], v[97:98]
	s_delay_alu instid0(VALU_DEP_2) | instskip(SKIP_1) | instid1(VALU_DEP_3)
	v_add_f64 v[103:104], v[103:104], -v[101:102]
	v_add_f64 v[73:74], v[73:74], -v[101:102]
	v_add_f64 v[107:108], v[105:106], v[97:98]
	s_delay_alu instid0(VALU_DEP_3) | instskip(NEXT) | instid1(VALU_DEP_2)
	v_add_f64 v[99:100], v[99:100], -v[103:104]
	v_add_f64 v[101:102], v[107:108], -v[105:106]
	s_delay_alu instid0(VALU_DEP_2) | instskip(NEXT) | instid1(VALU_DEP_2)
	v_add_f64 v[73:74], v[73:74], v[99:100]
	v_add_f64 v[97:98], v[97:98], -v[101:102]
	s_delay_alu instid0(VALU_DEP_1) | instskip(NEXT) | instid1(VALU_DEP_1)
	v_add_f64 v[73:74], v[73:74], v[97:98]
	v_add_f64 v[73:74], v[107:108], v[73:74]
	s_delay_alu instid0(VALU_DEP_1) | instskip(NEXT) | instid1(VALU_DEP_2)
	v_cndmask_b32_e64 v73, v73, v71, s0
	v_cndmask_b32_e64 v74, v74, v72, s0
	v_cmp_ngt_f64_e64 s0, -1.0, v[71:72]
	s_delay_alu instid0(VALU_DEP_1) | instskip(SKIP_1) | instid1(VALU_DEP_1)
	v_cndmask_b32_e64 v74, 0x7ff80000, v74, s0
	v_cmp_nge_f64_e64 s0, -1.0, v[71:72]
	v_cndmask_b32_e64 v73, 0, v73, s0
	v_cmp_neq_f64_e64 s0, -1.0, v[71:72]
	s_delay_alu instid0(VALU_DEP_1) | instskip(NEXT) | instid1(VALU_DEP_1)
	v_cndmask_b32_e64 v74, 0xfff00000, v74, s0
	v_add_f64 v[71:72], v[69:70], v[73:74]
.LBB86_69:
	s_or_b32 exec_lo, exec_lo, s41
	s_delay_alu instid0(VALU_DEP_1)
	v_dual_mov_b32 v69, v71 :: v_dual_mov_b32 v70, v72
	v_dual_mov_b32 v73, v71 :: v_dual_mov_b32 v74, v72
.LBB86_70:
	s_or_b32 exec_lo, exec_lo, s40
	s_delay_alu instid0(VALU_DEP_1) | instskip(NEXT) | instid1(VALU_DEP_2)
	v_mov_b32_dpp v71, v73 row_shr:4 row_mask:0xf bank_mask:0xf
	v_mov_b32_dpp v72, v74 row_shr:4 row_mask:0xf bank_mask:0xf
	s_mov_b32 s40, exec_lo
	v_cmpx_lt_u32_e32 3, v75
	s_cbranch_execz .LBB86_74
; %bb.71:
	s_delay_alu instid0(VALU_DEP_2) | instskip(SKIP_3) | instid1(VALU_DEP_3)
	v_max_f64 v[73:74], v[71:72], v[71:72]
	v_max_f64 v[97:98], v[69:70], v[69:70]
	v_cmp_u_f64_e64 s0, v[71:72], v[71:72]
	v_cmp_u_f64_e64 s1, v[69:70], v[69:70]
	v_min_f64 v[99:100], v[73:74], v[97:98]
	v_max_f64 v[73:74], v[73:74], v[97:98]
	s_delay_alu instid0(VALU_DEP_2) | instskip(NEXT) | instid1(VALU_DEP_3)
	v_cndmask_b32_e64 v76, v99, v71, s0
	v_cndmask_b32_e64 v97, v100, v72, s0
	s_delay_alu instid0(VALU_DEP_3) | instskip(NEXT) | instid1(VALU_DEP_4)
	v_cndmask_b32_e64 v98, v74, v72, s0
	v_cndmask_b32_e64 v99, v73, v71, s0
	s_delay_alu instid0(VALU_DEP_4) | instskip(NEXT) | instid1(VALU_DEP_4)
	v_cndmask_b32_e64 v73, v76, v69, s1
	v_cndmask_b32_e64 v74, v97, v70, s1
	s_delay_alu instid0(VALU_DEP_4) | instskip(NEXT) | instid1(VALU_DEP_4)
	v_cndmask_b32_e64 v70, v98, v70, s1
	v_cndmask_b32_e64 v69, v99, v69, s1
	s_delay_alu instid0(VALU_DEP_3) | instskip(NEXT) | instid1(VALU_DEP_2)
	v_cmp_class_f64_e64 s1, v[73:74], 0x1f8
	v_cmp_neq_f64_e64 s0, v[73:74], v[69:70]
	s_delay_alu instid0(VALU_DEP_1) | instskip(NEXT) | instid1(SALU_CYCLE_1)
	s_or_b32 s0, s0, s1
	s_and_saveexec_b32 s41, s0
	s_cbranch_execz .LBB86_73
; %bb.72:
	v_add_f64 v[71:72], v[73:74], -v[69:70]
	s_mov_b32 s0, 0x652b82fe
	s_mov_b32 s1, 0x3ff71547
	;; [unrolled: 1-line block ×10, first 2 shown]
	s_delay_alu instid0(VALU_DEP_1) | instskip(SKIP_2) | instid1(VALU_DEP_1)
	v_mul_f64 v[73:74], v[71:72], s[0:1]
	s_mov_b32 s0, 0xfca7ab0c
	s_mov_b32 s1, 0x3e928af3
	v_rndne_f64_e32 v[73:74], v[73:74]
	s_delay_alu instid0(VALU_DEP_1) | instskip(SKIP_2) | instid1(VALU_DEP_2)
	v_fma_f64 v[97:98], v[73:74], s[36:37], v[71:72]
	v_cvt_i32_f64_e32 v76, v[73:74]
	s_mov_b32 s37, 0x3fe62e42
	v_fma_f64 v[97:98], v[73:74], s[38:39], v[97:98]
	s_mov_b32 s39, 0x3c7abc9e
	s_delay_alu instid0(VALU_DEP_1) | instskip(SKIP_4) | instid1(VALU_DEP_1)
	v_fma_f64 v[99:100], v[97:98], s[42:43], s[0:1]
	s_mov_b32 s0, 0x623fde64
	s_mov_b32 s1, 0x3ec71dee
	;; [unrolled: 1-line block ×4, first 2 shown]
	v_fma_f64 v[99:100], v[97:98], v[99:100], s[0:1]
	s_mov_b32 s0, 0x7c89e6b0
	s_mov_b32 s1, 0x3efa0199
	s_delay_alu instid0(VALU_DEP_1) | instid1(SALU_CYCLE_1)
	v_fma_f64 v[99:100], v[97:98], v[99:100], s[0:1]
	s_mov_b32 s0, 0x14761f6e
	s_mov_b32 s1, 0x3f2a01a0
	s_delay_alu instid0(VALU_DEP_1) | instid1(SALU_CYCLE_1)
	;; [unrolled: 4-line block ×7, first 2 shown]
	v_fma_f64 v[99:100], v[97:98], v[99:100], s[0:1]
	v_cmp_nlt_f64_e64 s0, 0x40900000, v[71:72]
	v_cmp_ngt_f64_e64 s1, 0xc090cc00, v[71:72]
	s_delay_alu instid0(VALU_DEP_3) | instskip(NEXT) | instid1(VALU_DEP_1)
	v_fma_f64 v[99:100], v[97:98], v[99:100], 1.0
	v_fma_f64 v[73:74], v[97:98], v[99:100], 1.0
	s_delay_alu instid0(VALU_DEP_1) | instskip(NEXT) | instid1(VALU_DEP_1)
	v_ldexp_f64 v[73:74], v[73:74], v76
	v_cndmask_b32_e64 v74, 0x7ff00000, v74, s0
	s_and_b32 s0, s1, s0
	s_delay_alu instid0(VALU_DEP_2) | instid1(SALU_CYCLE_1)
	v_cndmask_b32_e64 v71, 0, v73, s0
	s_mov_b32 s0, 0x55555555
	s_delay_alu instid0(VALU_DEP_2) | instskip(SKIP_1) | instid1(VALU_DEP_1)
	v_cndmask_b32_e64 v72, 0, v74, s1
	s_mov_b32 s1, 0x3fe55555
	v_add_f64 v[73:74], v[71:72], 1.0
	s_delay_alu instid0(VALU_DEP_1) | instskip(SKIP_2) | instid1(VALU_DEP_3)
	v_frexp_mant_f64_e32 v[97:98], v[73:74]
	v_frexp_exp_i32_f64_e32 v76, v[73:74]
	v_add_f64 v[99:100], v[73:74], -1.0
	v_cmp_gt_f64_e64 s0, s[0:1], v[97:98]
	s_delay_alu instid0(VALU_DEP_2) | instskip(SKIP_1) | instid1(VALU_DEP_3)
	v_add_f64 v[97:98], v[99:100], -v[73:74]
	v_add_f64 v[99:100], v[71:72], -v[99:100]
	v_subrev_co_ci_u32_e64 v76, s0, 0, v76, s0
	s_delay_alu instid0(VALU_DEP_3) | instskip(SKIP_1) | instid1(VALU_DEP_2)
	v_add_f64 v[97:98], v[97:98], 1.0
	s_mov_b32 s0, 0x55555780
	v_sub_nc_u32_e32 v103, 0, v76
	s_delay_alu instid0(VALU_DEP_1) | instskip(NEXT) | instid1(VALU_DEP_3)
	v_ldexp_f64 v[73:74], v[73:74], v103
	v_add_f64 v[97:98], v[99:100], v[97:98]
	s_delay_alu instid0(VALU_DEP_2) | instskip(SKIP_1) | instid1(VALU_DEP_3)
	v_add_f64 v[101:102], v[73:74], 1.0
	v_add_f64 v[107:108], v[73:74], -1.0
	v_ldexp_f64 v[97:98], v[97:98], v103
	s_delay_alu instid0(VALU_DEP_3) | instskip(NEXT) | instid1(VALU_DEP_3)
	v_add_f64 v[99:100], v[101:102], -1.0
	v_add_f64 v[109:110], v[107:108], 1.0
	s_delay_alu instid0(VALU_DEP_2) | instskip(NEXT) | instid1(VALU_DEP_2)
	v_add_f64 v[99:100], v[73:74], -v[99:100]
	v_add_f64 v[73:74], v[73:74], -v[109:110]
	s_delay_alu instid0(VALU_DEP_2) | instskip(NEXT) | instid1(VALU_DEP_2)
	v_add_f64 v[99:100], v[97:98], v[99:100]
	v_add_f64 v[73:74], v[97:98], v[73:74]
	s_delay_alu instid0(VALU_DEP_2) | instskip(NEXT) | instid1(VALU_DEP_2)
	v_add_f64 v[103:104], v[101:102], v[99:100]
	v_add_f64 v[109:110], v[107:108], v[73:74]
	s_delay_alu instid0(VALU_DEP_2) | instskip(SKIP_1) | instid1(VALU_DEP_2)
	v_rcp_f64_e32 v[105:106], v[103:104]
	v_add_f64 v[101:102], v[103:104], -v[101:102]
	v_add_f64 v[107:108], v[109:110], -v[107:108]
	s_delay_alu instid0(VALU_DEP_2) | instskip(SKIP_3) | instid1(VALU_DEP_2)
	v_add_f64 v[99:100], v[99:100], -v[101:102]
	s_waitcnt_depctr 0xfff
	v_fma_f64 v[111:112], -v[103:104], v[105:106], 1.0
	v_add_f64 v[73:74], v[73:74], -v[107:108]
	v_fma_f64 v[105:106], v[111:112], v[105:106], v[105:106]
	s_delay_alu instid0(VALU_DEP_1) | instskip(NEXT) | instid1(VALU_DEP_1)
	v_fma_f64 v[97:98], -v[103:104], v[105:106], 1.0
	v_fma_f64 v[97:98], v[97:98], v[105:106], v[105:106]
	s_delay_alu instid0(VALU_DEP_1) | instskip(NEXT) | instid1(VALU_DEP_1)
	v_mul_f64 v[105:106], v[109:110], v[97:98]
	v_mul_f64 v[111:112], v[103:104], v[105:106]
	s_delay_alu instid0(VALU_DEP_1) | instskip(NEXT) | instid1(VALU_DEP_1)
	v_fma_f64 v[101:102], v[105:106], v[103:104], -v[111:112]
	v_fma_f64 v[101:102], v[105:106], v[99:100], v[101:102]
	s_delay_alu instid0(VALU_DEP_1) | instskip(NEXT) | instid1(VALU_DEP_1)
	v_add_f64 v[113:114], v[111:112], v[101:102]
	v_add_f64 v[115:116], v[109:110], -v[113:114]
	v_add_f64 v[107:108], v[113:114], -v[111:112]
	s_delay_alu instid0(VALU_DEP_2) | instskip(NEXT) | instid1(VALU_DEP_2)
	v_add_f64 v[109:110], v[109:110], -v[115:116]
	v_add_f64 v[101:102], v[107:108], -v[101:102]
	s_delay_alu instid0(VALU_DEP_2) | instskip(NEXT) | instid1(VALU_DEP_1)
	v_add_f64 v[109:110], v[109:110], -v[113:114]
	v_add_f64 v[73:74], v[73:74], v[109:110]
	s_delay_alu instid0(VALU_DEP_1) | instskip(NEXT) | instid1(VALU_DEP_1)
	v_add_f64 v[73:74], v[101:102], v[73:74]
	v_add_f64 v[101:102], v[115:116], v[73:74]
	s_delay_alu instid0(VALU_DEP_1) | instskip(SKIP_1) | instid1(VALU_DEP_2)
	v_mul_f64 v[107:108], v[97:98], v[101:102]
	v_add_f64 v[113:114], v[115:116], -v[101:102]
	v_mul_f64 v[109:110], v[103:104], v[107:108]
	s_delay_alu instid0(VALU_DEP_2) | instskip(NEXT) | instid1(VALU_DEP_2)
	v_add_f64 v[73:74], v[73:74], v[113:114]
	v_fma_f64 v[103:104], v[107:108], v[103:104], -v[109:110]
	s_delay_alu instid0(VALU_DEP_1) | instskip(NEXT) | instid1(VALU_DEP_1)
	v_fma_f64 v[99:100], v[107:108], v[99:100], v[103:104]
	v_add_f64 v[103:104], v[109:110], v[99:100]
	s_delay_alu instid0(VALU_DEP_1) | instskip(SKIP_1) | instid1(VALU_DEP_2)
	v_add_f64 v[111:112], v[101:102], -v[103:104]
	v_add_f64 v[109:110], v[103:104], -v[109:110]
	;; [unrolled: 1-line block ×3, first 2 shown]
	s_delay_alu instid0(VALU_DEP_2) | instskip(NEXT) | instid1(VALU_DEP_2)
	v_add_f64 v[99:100], v[109:110], -v[99:100]
	v_add_f64 v[101:102], v[101:102], -v[103:104]
	s_delay_alu instid0(VALU_DEP_1) | instskip(SKIP_1) | instid1(VALU_DEP_2)
	v_add_f64 v[73:74], v[73:74], v[101:102]
	v_add_f64 v[101:102], v[105:106], v[107:108]
	;; [unrolled: 1-line block ×3, first 2 shown]
	s_delay_alu instid0(VALU_DEP_2) | instskip(NEXT) | instid1(VALU_DEP_2)
	v_add_f64 v[99:100], v[101:102], -v[105:106]
	v_add_f64 v[73:74], v[111:112], v[73:74]
	s_delay_alu instid0(VALU_DEP_2) | instskip(NEXT) | instid1(VALU_DEP_2)
	v_add_f64 v[99:100], v[107:108], -v[99:100]
	v_mul_f64 v[73:74], v[97:98], v[73:74]
	s_delay_alu instid0(VALU_DEP_1) | instskip(NEXT) | instid1(VALU_DEP_1)
	v_add_f64 v[73:74], v[99:100], v[73:74]
	v_add_f64 v[97:98], v[101:102], v[73:74]
	s_delay_alu instid0(VALU_DEP_1) | instskip(NEXT) | instid1(VALU_DEP_1)
	v_mul_f64 v[99:100], v[97:98], v[97:98]
	v_fma_f64 v[103:104], v[99:100], s[44:45], s[42:43]
	s_mov_b32 s42, 0xd7f4df2e
	s_mov_b32 s43, 0x3fc7474d
	v_mul_f64 v[105:106], v[97:98], v[99:100]
	s_delay_alu instid0(VALU_DEP_2)
	v_fma_f64 v[103:104], v[99:100], v[103:104], s[42:43]
	s_mov_b32 s42, 0x16291751
	s_mov_b32 s43, 0x3fcc71c0
	s_delay_alu instid0(VALU_DEP_1) | instid1(SALU_CYCLE_1)
	v_fma_f64 v[103:104], v[99:100], v[103:104], s[42:43]
	s_mov_b32 s42, 0x9b27acf1
	s_mov_b32 s43, 0x3fd24924
	s_delay_alu instid0(VALU_DEP_1) | instid1(SALU_CYCLE_1)
	;; [unrolled: 4-line block ×3, first 2 shown]
	v_fma_f64 v[103:104], v[99:100], v[103:104], s[42:43]
	s_delay_alu instid0(VALU_DEP_1) | instskip(SKIP_3) | instid1(VALU_DEP_4)
	v_fma_f64 v[99:100], v[99:100], v[103:104], s[0:1]
	v_ldexp_f64 v[103:104], v[97:98], 1
	v_add_f64 v[97:98], v[97:98], -v[101:102]
	v_cmp_eq_f64_e64 s0, 0x7ff00000, v[71:72]
	v_mul_f64 v[99:100], v[105:106], v[99:100]
	v_cvt_f64_i32_e32 v[105:106], v76
	s_delay_alu instid0(VALU_DEP_4) | instskip(NEXT) | instid1(VALU_DEP_3)
	v_add_f64 v[73:74], v[73:74], -v[97:98]
	v_add_f64 v[101:102], v[103:104], v[99:100]
	s_delay_alu instid0(VALU_DEP_3) | instskip(NEXT) | instid1(VALU_DEP_3)
	v_mul_f64 v[107:108], v[105:106], s[36:37]
	v_ldexp_f64 v[73:74], v[73:74], 1
	s_delay_alu instid0(VALU_DEP_3) | instskip(NEXT) | instid1(VALU_DEP_3)
	v_add_f64 v[97:98], v[101:102], -v[103:104]
	v_fma_f64 v[103:104], v[105:106], s[36:37], -v[107:108]
	s_delay_alu instid0(VALU_DEP_2) | instskip(NEXT) | instid1(VALU_DEP_2)
	v_add_f64 v[97:98], v[99:100], -v[97:98]
	v_fma_f64 v[99:100], v[105:106], s[38:39], v[103:104]
	s_delay_alu instid0(VALU_DEP_2) | instskip(NEXT) | instid1(VALU_DEP_2)
	v_add_f64 v[73:74], v[73:74], v[97:98]
	v_add_f64 v[97:98], v[107:108], v[99:100]
	s_delay_alu instid0(VALU_DEP_2) | instskip(NEXT) | instid1(VALU_DEP_2)
	v_add_f64 v[103:104], v[101:102], v[73:74]
	v_add_f64 v[107:108], v[97:98], -v[107:108]
	s_delay_alu instid0(VALU_DEP_2) | instskip(SKIP_1) | instid1(VALU_DEP_3)
	v_add_f64 v[105:106], v[97:98], v[103:104]
	v_add_f64 v[101:102], v[103:104], -v[101:102]
	v_add_f64 v[99:100], v[99:100], -v[107:108]
	s_delay_alu instid0(VALU_DEP_3) | instskip(NEXT) | instid1(VALU_DEP_3)
	v_add_f64 v[109:110], v[105:106], -v[97:98]
	v_add_f64 v[73:74], v[73:74], -v[101:102]
	s_delay_alu instid0(VALU_DEP_2) | instskip(SKIP_1) | instid1(VALU_DEP_3)
	v_add_f64 v[111:112], v[105:106], -v[109:110]
	v_add_f64 v[101:102], v[103:104], -v[109:110]
	v_add_f64 v[103:104], v[99:100], v[73:74]
	s_delay_alu instid0(VALU_DEP_3) | instskip(NEXT) | instid1(VALU_DEP_1)
	v_add_f64 v[97:98], v[97:98], -v[111:112]
	v_add_f64 v[97:98], v[101:102], v[97:98]
	s_delay_alu instid0(VALU_DEP_3) | instskip(NEXT) | instid1(VALU_DEP_2)
	v_add_f64 v[101:102], v[103:104], -v[99:100]
	v_add_f64 v[97:98], v[103:104], v[97:98]
	s_delay_alu instid0(VALU_DEP_2) | instskip(SKIP_1) | instid1(VALU_DEP_3)
	v_add_f64 v[103:104], v[103:104], -v[101:102]
	v_add_f64 v[73:74], v[73:74], -v[101:102]
	v_add_f64 v[107:108], v[105:106], v[97:98]
	s_delay_alu instid0(VALU_DEP_3) | instskip(NEXT) | instid1(VALU_DEP_2)
	v_add_f64 v[99:100], v[99:100], -v[103:104]
	v_add_f64 v[101:102], v[107:108], -v[105:106]
	s_delay_alu instid0(VALU_DEP_2) | instskip(NEXT) | instid1(VALU_DEP_2)
	v_add_f64 v[73:74], v[73:74], v[99:100]
	v_add_f64 v[97:98], v[97:98], -v[101:102]
	s_delay_alu instid0(VALU_DEP_1) | instskip(NEXT) | instid1(VALU_DEP_1)
	v_add_f64 v[73:74], v[73:74], v[97:98]
	v_add_f64 v[73:74], v[107:108], v[73:74]
	s_delay_alu instid0(VALU_DEP_1) | instskip(NEXT) | instid1(VALU_DEP_2)
	v_cndmask_b32_e64 v73, v73, v71, s0
	v_cndmask_b32_e64 v74, v74, v72, s0
	v_cmp_ngt_f64_e64 s0, -1.0, v[71:72]
	s_delay_alu instid0(VALU_DEP_1) | instskip(SKIP_1) | instid1(VALU_DEP_1)
	v_cndmask_b32_e64 v74, 0x7ff80000, v74, s0
	v_cmp_nge_f64_e64 s0, -1.0, v[71:72]
	v_cndmask_b32_e64 v73, 0, v73, s0
	v_cmp_neq_f64_e64 s0, -1.0, v[71:72]
	s_delay_alu instid0(VALU_DEP_1) | instskip(NEXT) | instid1(VALU_DEP_1)
	v_cndmask_b32_e64 v74, 0xfff00000, v74, s0
	v_add_f64 v[71:72], v[69:70], v[73:74]
.LBB86_73:
	s_or_b32 exec_lo, exec_lo, s41
	s_delay_alu instid0(VALU_DEP_1)
	v_dual_mov_b32 v69, v71 :: v_dual_mov_b32 v70, v72
	v_dual_mov_b32 v73, v71 :: v_dual_mov_b32 v74, v72
.LBB86_74:
	s_or_b32 exec_lo, exec_lo, s40
	s_delay_alu instid0(VALU_DEP_1) | instskip(NEXT) | instid1(VALU_DEP_2)
	v_mov_b32_dpp v71, v73 row_shr:8 row_mask:0xf bank_mask:0xf
	v_mov_b32_dpp v72, v74 row_shr:8 row_mask:0xf bank_mask:0xf
	s_mov_b32 s40, exec_lo
	v_cmpx_lt_u32_e32 7, v75
	s_cbranch_execz .LBB86_78
; %bb.75:
	s_delay_alu instid0(VALU_DEP_2) | instskip(SKIP_3) | instid1(VALU_DEP_3)
	v_max_f64 v[73:74], v[71:72], v[71:72]
	v_max_f64 v[75:76], v[69:70], v[69:70]
	v_cmp_u_f64_e64 s0, v[71:72], v[71:72]
	v_cmp_u_f64_e64 s1, v[69:70], v[69:70]
	v_min_f64 v[97:98], v[73:74], v[75:76]
	v_max_f64 v[73:74], v[73:74], v[75:76]
	s_delay_alu instid0(VALU_DEP_2) | instskip(NEXT) | instid1(VALU_DEP_3)
	v_cndmask_b32_e64 v75, v97, v71, s0
	v_cndmask_b32_e64 v76, v98, v72, s0
	s_delay_alu instid0(VALU_DEP_3) | instskip(NEXT) | instid1(VALU_DEP_4)
	v_cndmask_b32_e64 v97, v74, v72, s0
	v_cndmask_b32_e64 v98, v73, v71, s0
	s_delay_alu instid0(VALU_DEP_4) | instskip(NEXT) | instid1(VALU_DEP_4)
	v_cndmask_b32_e64 v73, v75, v69, s1
	v_cndmask_b32_e64 v74, v76, v70, s1
	s_delay_alu instid0(VALU_DEP_4) | instskip(NEXT) | instid1(VALU_DEP_4)
	v_cndmask_b32_e64 v70, v97, v70, s1
	v_cndmask_b32_e64 v69, v98, v69, s1
	s_delay_alu instid0(VALU_DEP_3) | instskip(NEXT) | instid1(VALU_DEP_2)
	v_cmp_class_f64_e64 s1, v[73:74], 0x1f8
	v_cmp_neq_f64_e64 s0, v[73:74], v[69:70]
	s_delay_alu instid0(VALU_DEP_1) | instskip(NEXT) | instid1(SALU_CYCLE_1)
	s_or_b32 s0, s0, s1
	s_and_saveexec_b32 s41, s0
	s_cbranch_execz .LBB86_77
; %bb.76:
	v_add_f64 v[71:72], v[73:74], -v[69:70]
	s_mov_b32 s0, 0x652b82fe
	s_mov_b32 s1, 0x3ff71547
	;; [unrolled: 1-line block ×10, first 2 shown]
	s_delay_alu instid0(VALU_DEP_1) | instskip(SKIP_2) | instid1(VALU_DEP_1)
	v_mul_f64 v[73:74], v[71:72], s[0:1]
	s_mov_b32 s0, 0xfca7ab0c
	s_mov_b32 s1, 0x3e928af3
	v_rndne_f64_e32 v[73:74], v[73:74]
	s_delay_alu instid0(VALU_DEP_1) | instskip(SKIP_2) | instid1(VALU_DEP_2)
	v_fma_f64 v[75:76], v[73:74], s[36:37], v[71:72]
	v_cvt_i32_f64_e32 v99, v[73:74]
	s_mov_b32 s37, 0x3fe62e42
	v_fma_f64 v[75:76], v[73:74], s[38:39], v[75:76]
	s_mov_b32 s39, 0x3c7abc9e
	s_delay_alu instid0(VALU_DEP_1) | instskip(SKIP_4) | instid1(VALU_DEP_1)
	v_fma_f64 v[97:98], v[75:76], s[42:43], s[0:1]
	s_mov_b32 s0, 0x623fde64
	s_mov_b32 s1, 0x3ec71dee
	;; [unrolled: 1-line block ×4, first 2 shown]
	v_fma_f64 v[97:98], v[75:76], v[97:98], s[0:1]
	s_mov_b32 s0, 0x7c89e6b0
	s_mov_b32 s1, 0x3efa0199
	s_delay_alu instid0(VALU_DEP_1) | instid1(SALU_CYCLE_1)
	v_fma_f64 v[97:98], v[75:76], v[97:98], s[0:1]
	s_mov_b32 s0, 0x14761f6e
	s_mov_b32 s1, 0x3f2a01a0
	s_delay_alu instid0(VALU_DEP_1) | instid1(SALU_CYCLE_1)
	;; [unrolled: 4-line block ×7, first 2 shown]
	v_fma_f64 v[97:98], v[75:76], v[97:98], s[0:1]
	v_cmp_nlt_f64_e64 s0, 0x40900000, v[71:72]
	v_cmp_ngt_f64_e64 s1, 0xc090cc00, v[71:72]
	s_delay_alu instid0(VALU_DEP_3) | instskip(NEXT) | instid1(VALU_DEP_1)
	v_fma_f64 v[97:98], v[75:76], v[97:98], 1.0
	v_fma_f64 v[73:74], v[75:76], v[97:98], 1.0
	s_delay_alu instid0(VALU_DEP_1) | instskip(NEXT) | instid1(VALU_DEP_1)
	v_ldexp_f64 v[73:74], v[73:74], v99
	v_cndmask_b32_e64 v74, 0x7ff00000, v74, s0
	s_and_b32 s0, s1, s0
	s_delay_alu instid0(VALU_DEP_2) | instid1(SALU_CYCLE_1)
	v_cndmask_b32_e64 v71, 0, v73, s0
	s_mov_b32 s0, 0x55555555
	s_delay_alu instid0(VALU_DEP_2) | instskip(SKIP_1) | instid1(VALU_DEP_1)
	v_cndmask_b32_e64 v72, 0, v74, s1
	s_mov_b32 s1, 0x3fe55555
	v_add_f64 v[73:74], v[71:72], 1.0
	s_delay_alu instid0(VALU_DEP_1) | instskip(SKIP_2) | instid1(VALU_DEP_3)
	v_frexp_mant_f64_e32 v[75:76], v[73:74]
	v_frexp_exp_i32_f64_e32 v99, v[73:74]
	v_add_f64 v[97:98], v[73:74], -1.0
	v_cmp_gt_f64_e64 s0, s[0:1], v[75:76]
	s_delay_alu instid0(VALU_DEP_2) | instskip(SKIP_1) | instid1(VALU_DEP_3)
	v_add_f64 v[75:76], v[97:98], -v[73:74]
	v_add_f64 v[97:98], v[71:72], -v[97:98]
	v_subrev_co_ci_u32_e64 v115, s0, 0, v99, s0
	s_delay_alu instid0(VALU_DEP_3) | instskip(SKIP_1) | instid1(VALU_DEP_2)
	v_add_f64 v[75:76], v[75:76], 1.0
	s_mov_b32 s0, 0x55555780
	v_sub_nc_u32_e32 v101, 0, v115
	s_delay_alu instid0(VALU_DEP_1) | instskip(NEXT) | instid1(VALU_DEP_3)
	v_ldexp_f64 v[73:74], v[73:74], v101
	v_add_f64 v[75:76], v[97:98], v[75:76]
	s_delay_alu instid0(VALU_DEP_2) | instskip(SKIP_1) | instid1(VALU_DEP_3)
	v_add_f64 v[99:100], v[73:74], 1.0
	v_add_f64 v[105:106], v[73:74], -1.0
	v_ldexp_f64 v[75:76], v[75:76], v101
	s_delay_alu instid0(VALU_DEP_3) | instskip(NEXT) | instid1(VALU_DEP_3)
	v_add_f64 v[97:98], v[99:100], -1.0
	v_add_f64 v[107:108], v[105:106], 1.0
	s_delay_alu instid0(VALU_DEP_2) | instskip(NEXT) | instid1(VALU_DEP_2)
	v_add_f64 v[97:98], v[73:74], -v[97:98]
	v_add_f64 v[73:74], v[73:74], -v[107:108]
	s_delay_alu instid0(VALU_DEP_2) | instskip(NEXT) | instid1(VALU_DEP_2)
	v_add_f64 v[97:98], v[75:76], v[97:98]
	v_add_f64 v[73:74], v[75:76], v[73:74]
	s_delay_alu instid0(VALU_DEP_2) | instskip(NEXT) | instid1(VALU_DEP_2)
	v_add_f64 v[101:102], v[99:100], v[97:98]
	v_add_f64 v[107:108], v[105:106], v[73:74]
	s_delay_alu instid0(VALU_DEP_2) | instskip(SKIP_1) | instid1(VALU_DEP_2)
	v_rcp_f64_e32 v[103:104], v[101:102]
	v_add_f64 v[99:100], v[101:102], -v[99:100]
	v_add_f64 v[105:106], v[107:108], -v[105:106]
	s_delay_alu instid0(VALU_DEP_2) | instskip(SKIP_3) | instid1(VALU_DEP_2)
	v_add_f64 v[97:98], v[97:98], -v[99:100]
	s_waitcnt_depctr 0xfff
	v_fma_f64 v[109:110], -v[101:102], v[103:104], 1.0
	v_add_f64 v[73:74], v[73:74], -v[105:106]
	v_fma_f64 v[103:104], v[109:110], v[103:104], v[103:104]
	s_delay_alu instid0(VALU_DEP_1) | instskip(NEXT) | instid1(VALU_DEP_1)
	v_fma_f64 v[75:76], -v[101:102], v[103:104], 1.0
	v_fma_f64 v[75:76], v[75:76], v[103:104], v[103:104]
	s_delay_alu instid0(VALU_DEP_1) | instskip(NEXT) | instid1(VALU_DEP_1)
	v_mul_f64 v[103:104], v[107:108], v[75:76]
	v_mul_f64 v[109:110], v[101:102], v[103:104]
	s_delay_alu instid0(VALU_DEP_1) | instskip(NEXT) | instid1(VALU_DEP_1)
	v_fma_f64 v[99:100], v[103:104], v[101:102], -v[109:110]
	v_fma_f64 v[99:100], v[103:104], v[97:98], v[99:100]
	s_delay_alu instid0(VALU_DEP_1) | instskip(NEXT) | instid1(VALU_DEP_1)
	v_add_f64 v[111:112], v[109:110], v[99:100]
	v_add_f64 v[113:114], v[107:108], -v[111:112]
	v_add_f64 v[105:106], v[111:112], -v[109:110]
	s_delay_alu instid0(VALU_DEP_2) | instskip(NEXT) | instid1(VALU_DEP_2)
	v_add_f64 v[107:108], v[107:108], -v[113:114]
	v_add_f64 v[99:100], v[105:106], -v[99:100]
	s_delay_alu instid0(VALU_DEP_2) | instskip(NEXT) | instid1(VALU_DEP_1)
	v_add_f64 v[107:108], v[107:108], -v[111:112]
	v_add_f64 v[73:74], v[73:74], v[107:108]
	s_delay_alu instid0(VALU_DEP_1) | instskip(NEXT) | instid1(VALU_DEP_1)
	v_add_f64 v[73:74], v[99:100], v[73:74]
	v_add_f64 v[99:100], v[113:114], v[73:74]
	s_delay_alu instid0(VALU_DEP_1) | instskip(SKIP_1) | instid1(VALU_DEP_2)
	v_mul_f64 v[105:106], v[75:76], v[99:100]
	v_add_f64 v[111:112], v[113:114], -v[99:100]
	v_mul_f64 v[107:108], v[101:102], v[105:106]
	s_delay_alu instid0(VALU_DEP_2) | instskip(NEXT) | instid1(VALU_DEP_2)
	v_add_f64 v[73:74], v[73:74], v[111:112]
	v_fma_f64 v[101:102], v[105:106], v[101:102], -v[107:108]
	s_delay_alu instid0(VALU_DEP_1) | instskip(NEXT) | instid1(VALU_DEP_1)
	v_fma_f64 v[97:98], v[105:106], v[97:98], v[101:102]
	v_add_f64 v[101:102], v[107:108], v[97:98]
	s_delay_alu instid0(VALU_DEP_1) | instskip(SKIP_1) | instid1(VALU_DEP_2)
	v_add_f64 v[109:110], v[99:100], -v[101:102]
	v_add_f64 v[107:108], v[101:102], -v[107:108]
	;; [unrolled: 1-line block ×3, first 2 shown]
	s_delay_alu instid0(VALU_DEP_2) | instskip(NEXT) | instid1(VALU_DEP_2)
	v_add_f64 v[97:98], v[107:108], -v[97:98]
	v_add_f64 v[99:100], v[99:100], -v[101:102]
	s_delay_alu instid0(VALU_DEP_1) | instskip(SKIP_1) | instid1(VALU_DEP_2)
	v_add_f64 v[73:74], v[73:74], v[99:100]
	v_add_f64 v[99:100], v[103:104], v[105:106]
	;; [unrolled: 1-line block ×3, first 2 shown]
	s_delay_alu instid0(VALU_DEP_2) | instskip(NEXT) | instid1(VALU_DEP_2)
	v_add_f64 v[97:98], v[99:100], -v[103:104]
	v_add_f64 v[73:74], v[109:110], v[73:74]
	s_delay_alu instid0(VALU_DEP_2) | instskip(NEXT) | instid1(VALU_DEP_2)
	v_add_f64 v[97:98], v[105:106], -v[97:98]
	v_mul_f64 v[73:74], v[75:76], v[73:74]
	s_delay_alu instid0(VALU_DEP_1) | instskip(NEXT) | instid1(VALU_DEP_1)
	v_add_f64 v[73:74], v[97:98], v[73:74]
	v_add_f64 v[75:76], v[99:100], v[73:74]
	s_delay_alu instid0(VALU_DEP_1) | instskip(NEXT) | instid1(VALU_DEP_1)
	v_mul_f64 v[97:98], v[75:76], v[75:76]
	v_fma_f64 v[101:102], v[97:98], s[44:45], s[42:43]
	s_mov_b32 s42, 0xd7f4df2e
	s_mov_b32 s43, 0x3fc7474d
	v_mul_f64 v[103:104], v[75:76], v[97:98]
	s_delay_alu instid0(VALU_DEP_2)
	v_fma_f64 v[101:102], v[97:98], v[101:102], s[42:43]
	s_mov_b32 s42, 0x16291751
	s_mov_b32 s43, 0x3fcc71c0
	s_delay_alu instid0(VALU_DEP_1) | instid1(SALU_CYCLE_1)
	v_fma_f64 v[101:102], v[97:98], v[101:102], s[42:43]
	s_mov_b32 s42, 0x9b27acf1
	s_mov_b32 s43, 0x3fd24924
	s_delay_alu instid0(VALU_DEP_1) | instid1(SALU_CYCLE_1)
	v_fma_f64 v[101:102], v[97:98], v[101:102], s[42:43]
	s_mov_b32 s42, 0x998ef7b6
	s_mov_b32 s43, 0x3fd99999
	s_delay_alu instid0(VALU_DEP_1) | instid1(SALU_CYCLE_1)
	v_fma_f64 v[101:102], v[97:98], v[101:102], s[42:43]
	s_delay_alu instid0(VALU_DEP_1) | instskip(SKIP_3) | instid1(VALU_DEP_4)
	v_fma_f64 v[97:98], v[97:98], v[101:102], s[0:1]
	v_ldexp_f64 v[101:102], v[75:76], 1
	v_add_f64 v[75:76], v[75:76], -v[99:100]
	v_cmp_eq_f64_e64 s0, 0x7ff00000, v[71:72]
	v_mul_f64 v[97:98], v[103:104], v[97:98]
	v_cvt_f64_i32_e32 v[103:104], v115
	s_delay_alu instid0(VALU_DEP_4) | instskip(NEXT) | instid1(VALU_DEP_3)
	v_add_f64 v[73:74], v[73:74], -v[75:76]
	v_add_f64 v[99:100], v[101:102], v[97:98]
	s_delay_alu instid0(VALU_DEP_3) | instskip(NEXT) | instid1(VALU_DEP_3)
	v_mul_f64 v[105:106], v[103:104], s[36:37]
	v_ldexp_f64 v[73:74], v[73:74], 1
	s_delay_alu instid0(VALU_DEP_3) | instskip(NEXT) | instid1(VALU_DEP_3)
	v_add_f64 v[75:76], v[99:100], -v[101:102]
	v_fma_f64 v[101:102], v[103:104], s[36:37], -v[105:106]
	s_delay_alu instid0(VALU_DEP_2) | instskip(NEXT) | instid1(VALU_DEP_2)
	v_add_f64 v[75:76], v[97:98], -v[75:76]
	v_fma_f64 v[97:98], v[103:104], s[38:39], v[101:102]
	s_delay_alu instid0(VALU_DEP_2) | instskip(NEXT) | instid1(VALU_DEP_2)
	v_add_f64 v[73:74], v[73:74], v[75:76]
	v_add_f64 v[75:76], v[105:106], v[97:98]
	s_delay_alu instid0(VALU_DEP_2) | instskip(NEXT) | instid1(VALU_DEP_2)
	v_add_f64 v[101:102], v[99:100], v[73:74]
	v_add_f64 v[105:106], v[75:76], -v[105:106]
	s_delay_alu instid0(VALU_DEP_2) | instskip(SKIP_1) | instid1(VALU_DEP_3)
	v_add_f64 v[103:104], v[75:76], v[101:102]
	v_add_f64 v[99:100], v[101:102], -v[99:100]
	v_add_f64 v[97:98], v[97:98], -v[105:106]
	s_delay_alu instid0(VALU_DEP_3) | instskip(NEXT) | instid1(VALU_DEP_3)
	v_add_f64 v[107:108], v[103:104], -v[75:76]
	v_add_f64 v[73:74], v[73:74], -v[99:100]
	s_delay_alu instid0(VALU_DEP_2) | instskip(SKIP_1) | instid1(VALU_DEP_3)
	v_add_f64 v[109:110], v[103:104], -v[107:108]
	v_add_f64 v[99:100], v[101:102], -v[107:108]
	v_add_f64 v[101:102], v[97:98], v[73:74]
	s_delay_alu instid0(VALU_DEP_3) | instskip(NEXT) | instid1(VALU_DEP_1)
	v_add_f64 v[75:76], v[75:76], -v[109:110]
	v_add_f64 v[75:76], v[99:100], v[75:76]
	s_delay_alu instid0(VALU_DEP_3) | instskip(NEXT) | instid1(VALU_DEP_2)
	v_add_f64 v[99:100], v[101:102], -v[97:98]
	v_add_f64 v[75:76], v[101:102], v[75:76]
	s_delay_alu instid0(VALU_DEP_2) | instskip(SKIP_1) | instid1(VALU_DEP_3)
	v_add_f64 v[101:102], v[101:102], -v[99:100]
	v_add_f64 v[73:74], v[73:74], -v[99:100]
	v_add_f64 v[105:106], v[103:104], v[75:76]
	s_delay_alu instid0(VALU_DEP_3) | instskip(NEXT) | instid1(VALU_DEP_2)
	v_add_f64 v[97:98], v[97:98], -v[101:102]
	v_add_f64 v[99:100], v[105:106], -v[103:104]
	s_delay_alu instid0(VALU_DEP_2) | instskip(NEXT) | instid1(VALU_DEP_2)
	v_add_f64 v[73:74], v[73:74], v[97:98]
	v_add_f64 v[75:76], v[75:76], -v[99:100]
	s_delay_alu instid0(VALU_DEP_1) | instskip(NEXT) | instid1(VALU_DEP_1)
	v_add_f64 v[73:74], v[73:74], v[75:76]
	v_add_f64 v[73:74], v[105:106], v[73:74]
	s_delay_alu instid0(VALU_DEP_1) | instskip(NEXT) | instid1(VALU_DEP_2)
	v_cndmask_b32_e64 v73, v73, v71, s0
	v_cndmask_b32_e64 v74, v74, v72, s0
	v_cmp_ngt_f64_e64 s0, -1.0, v[71:72]
	s_delay_alu instid0(VALU_DEP_1) | instskip(SKIP_1) | instid1(VALU_DEP_1)
	v_cndmask_b32_e64 v74, 0x7ff80000, v74, s0
	v_cmp_nge_f64_e64 s0, -1.0, v[71:72]
	v_cndmask_b32_e64 v73, 0, v73, s0
	v_cmp_neq_f64_e64 s0, -1.0, v[71:72]
	s_delay_alu instid0(VALU_DEP_1) | instskip(NEXT) | instid1(VALU_DEP_1)
	v_cndmask_b32_e64 v74, 0xfff00000, v74, s0
	v_add_f64 v[71:72], v[69:70], v[73:74]
.LBB86_77:
	s_or_b32 exec_lo, exec_lo, s41
	s_delay_alu instid0(VALU_DEP_1)
	v_dual_mov_b32 v73, v71 :: v_dual_mov_b32 v74, v72
	v_dual_mov_b32 v69, v71 :: v_dual_mov_b32 v70, v72
.LBB86_78:
	s_or_b32 exec_lo, exec_lo, s40
	ds_swizzle_b32 v71, v73 offset:swizzle(BROADCAST,32,15)
	ds_swizzle_b32 v72, v74 offset:swizzle(BROADCAST,32,15)
	v_and_b32_e32 v73, 16, v96
	s_mov_b32 s40, exec_lo
	s_delay_alu instid0(VALU_DEP_1)
	v_cmpx_ne_u32_e32 0, v73
	s_cbranch_execz .LBB86_82
; %bb.79:
	s_waitcnt lgkmcnt(0)
	v_max_f64 v[73:74], v[71:72], v[71:72]
	v_max_f64 v[75:76], v[69:70], v[69:70]
	v_cmp_u_f64_e64 s0, v[71:72], v[71:72]
	v_cmp_u_f64_e64 s1, v[69:70], v[69:70]
	s_delay_alu instid0(VALU_DEP_3) | instskip(SKIP_1) | instid1(VALU_DEP_2)
	v_min_f64 v[97:98], v[73:74], v[75:76]
	v_max_f64 v[73:74], v[73:74], v[75:76]
	v_cndmask_b32_e64 v75, v97, v71, s0
	s_delay_alu instid0(VALU_DEP_3) | instskip(NEXT) | instid1(VALU_DEP_3)
	v_cndmask_b32_e64 v76, v98, v72, s0
	v_cndmask_b32_e64 v97, v74, v72, s0
	s_delay_alu instid0(VALU_DEP_4) | instskip(NEXT) | instid1(VALU_DEP_4)
	v_cndmask_b32_e64 v98, v73, v71, s0
	v_cndmask_b32_e64 v73, v75, v69, s1
	s_delay_alu instid0(VALU_DEP_4) | instskip(NEXT) | instid1(VALU_DEP_4)
	v_cndmask_b32_e64 v74, v76, v70, s1
	v_cndmask_b32_e64 v70, v97, v70, s1
	s_delay_alu instid0(VALU_DEP_4) | instskip(NEXT) | instid1(VALU_DEP_3)
	v_cndmask_b32_e64 v69, v98, v69, s1
	v_cmp_class_f64_e64 s1, v[73:74], 0x1f8
	s_delay_alu instid0(VALU_DEP_2) | instskip(NEXT) | instid1(VALU_DEP_1)
	v_cmp_neq_f64_e64 s0, v[73:74], v[69:70]
	s_or_b32 s0, s0, s1
	s_delay_alu instid0(SALU_CYCLE_1)
	s_and_saveexec_b32 s41, s0
	s_cbranch_execz .LBB86_81
; %bb.80:
	v_add_f64 v[71:72], v[73:74], -v[69:70]
	s_mov_b32 s0, 0x652b82fe
	s_mov_b32 s1, 0x3ff71547
	;; [unrolled: 1-line block ×10, first 2 shown]
	s_delay_alu instid0(VALU_DEP_1) | instskip(SKIP_2) | instid1(VALU_DEP_1)
	v_mul_f64 v[73:74], v[71:72], s[0:1]
	s_mov_b32 s0, 0xfca7ab0c
	s_mov_b32 s1, 0x3e928af3
	v_rndne_f64_e32 v[73:74], v[73:74]
	s_delay_alu instid0(VALU_DEP_1) | instskip(SKIP_2) | instid1(VALU_DEP_2)
	v_fma_f64 v[75:76], v[73:74], s[36:37], v[71:72]
	v_cvt_i32_f64_e32 v99, v[73:74]
	s_mov_b32 s37, 0x3fe62e42
	v_fma_f64 v[75:76], v[73:74], s[38:39], v[75:76]
	s_mov_b32 s39, 0x3c7abc9e
	s_delay_alu instid0(VALU_DEP_1) | instskip(SKIP_4) | instid1(VALU_DEP_1)
	v_fma_f64 v[97:98], v[75:76], s[42:43], s[0:1]
	s_mov_b32 s0, 0x623fde64
	s_mov_b32 s1, 0x3ec71dee
	;; [unrolled: 1-line block ×4, first 2 shown]
	v_fma_f64 v[97:98], v[75:76], v[97:98], s[0:1]
	s_mov_b32 s0, 0x7c89e6b0
	s_mov_b32 s1, 0x3efa0199
	s_delay_alu instid0(VALU_DEP_1) | instid1(SALU_CYCLE_1)
	v_fma_f64 v[97:98], v[75:76], v[97:98], s[0:1]
	s_mov_b32 s0, 0x14761f6e
	s_mov_b32 s1, 0x3f2a01a0
	s_delay_alu instid0(VALU_DEP_1) | instid1(SALU_CYCLE_1)
	;; [unrolled: 4-line block ×7, first 2 shown]
	v_fma_f64 v[97:98], v[75:76], v[97:98], s[0:1]
	v_cmp_nlt_f64_e64 s0, 0x40900000, v[71:72]
	v_cmp_ngt_f64_e64 s1, 0xc090cc00, v[71:72]
	s_delay_alu instid0(VALU_DEP_3) | instskip(NEXT) | instid1(VALU_DEP_1)
	v_fma_f64 v[97:98], v[75:76], v[97:98], 1.0
	v_fma_f64 v[73:74], v[75:76], v[97:98], 1.0
	s_delay_alu instid0(VALU_DEP_1) | instskip(NEXT) | instid1(VALU_DEP_1)
	v_ldexp_f64 v[73:74], v[73:74], v99
	v_cndmask_b32_e64 v74, 0x7ff00000, v74, s0
	s_and_b32 s0, s1, s0
	s_delay_alu instid0(VALU_DEP_2) | instid1(SALU_CYCLE_1)
	v_cndmask_b32_e64 v71, 0, v73, s0
	s_mov_b32 s0, 0x55555555
	s_delay_alu instid0(VALU_DEP_2) | instskip(SKIP_1) | instid1(VALU_DEP_1)
	v_cndmask_b32_e64 v72, 0, v74, s1
	s_mov_b32 s1, 0x3fe55555
	v_add_f64 v[73:74], v[71:72], 1.0
	s_delay_alu instid0(VALU_DEP_1) | instskip(SKIP_2) | instid1(VALU_DEP_3)
	v_frexp_mant_f64_e32 v[75:76], v[73:74]
	v_frexp_exp_i32_f64_e32 v99, v[73:74]
	v_add_f64 v[97:98], v[73:74], -1.0
	v_cmp_gt_f64_e64 s0, s[0:1], v[75:76]
	s_delay_alu instid0(VALU_DEP_2) | instskip(SKIP_1) | instid1(VALU_DEP_3)
	v_add_f64 v[75:76], v[97:98], -v[73:74]
	v_add_f64 v[97:98], v[71:72], -v[97:98]
	v_subrev_co_ci_u32_e64 v115, s0, 0, v99, s0
	s_delay_alu instid0(VALU_DEP_3) | instskip(SKIP_1) | instid1(VALU_DEP_2)
	v_add_f64 v[75:76], v[75:76], 1.0
	s_mov_b32 s0, 0x55555780
	v_sub_nc_u32_e32 v101, 0, v115
	s_delay_alu instid0(VALU_DEP_1) | instskip(NEXT) | instid1(VALU_DEP_3)
	v_ldexp_f64 v[73:74], v[73:74], v101
	v_add_f64 v[75:76], v[97:98], v[75:76]
	s_delay_alu instid0(VALU_DEP_2) | instskip(SKIP_1) | instid1(VALU_DEP_3)
	v_add_f64 v[99:100], v[73:74], 1.0
	v_add_f64 v[105:106], v[73:74], -1.0
	v_ldexp_f64 v[75:76], v[75:76], v101
	s_delay_alu instid0(VALU_DEP_3) | instskip(NEXT) | instid1(VALU_DEP_3)
	v_add_f64 v[97:98], v[99:100], -1.0
	v_add_f64 v[107:108], v[105:106], 1.0
	s_delay_alu instid0(VALU_DEP_2) | instskip(NEXT) | instid1(VALU_DEP_2)
	v_add_f64 v[97:98], v[73:74], -v[97:98]
	v_add_f64 v[73:74], v[73:74], -v[107:108]
	s_delay_alu instid0(VALU_DEP_2) | instskip(NEXT) | instid1(VALU_DEP_2)
	v_add_f64 v[97:98], v[75:76], v[97:98]
	v_add_f64 v[73:74], v[75:76], v[73:74]
	s_delay_alu instid0(VALU_DEP_2) | instskip(NEXT) | instid1(VALU_DEP_2)
	v_add_f64 v[101:102], v[99:100], v[97:98]
	v_add_f64 v[107:108], v[105:106], v[73:74]
	s_delay_alu instid0(VALU_DEP_2) | instskip(SKIP_1) | instid1(VALU_DEP_2)
	v_rcp_f64_e32 v[103:104], v[101:102]
	v_add_f64 v[99:100], v[101:102], -v[99:100]
	v_add_f64 v[105:106], v[107:108], -v[105:106]
	s_delay_alu instid0(VALU_DEP_2) | instskip(SKIP_3) | instid1(VALU_DEP_2)
	v_add_f64 v[97:98], v[97:98], -v[99:100]
	s_waitcnt_depctr 0xfff
	v_fma_f64 v[109:110], -v[101:102], v[103:104], 1.0
	v_add_f64 v[73:74], v[73:74], -v[105:106]
	v_fma_f64 v[103:104], v[109:110], v[103:104], v[103:104]
	s_delay_alu instid0(VALU_DEP_1) | instskip(NEXT) | instid1(VALU_DEP_1)
	v_fma_f64 v[75:76], -v[101:102], v[103:104], 1.0
	v_fma_f64 v[75:76], v[75:76], v[103:104], v[103:104]
	s_delay_alu instid0(VALU_DEP_1) | instskip(NEXT) | instid1(VALU_DEP_1)
	v_mul_f64 v[103:104], v[107:108], v[75:76]
	v_mul_f64 v[109:110], v[101:102], v[103:104]
	s_delay_alu instid0(VALU_DEP_1) | instskip(NEXT) | instid1(VALU_DEP_1)
	v_fma_f64 v[99:100], v[103:104], v[101:102], -v[109:110]
	v_fma_f64 v[99:100], v[103:104], v[97:98], v[99:100]
	s_delay_alu instid0(VALU_DEP_1) | instskip(NEXT) | instid1(VALU_DEP_1)
	v_add_f64 v[111:112], v[109:110], v[99:100]
	v_add_f64 v[113:114], v[107:108], -v[111:112]
	v_add_f64 v[105:106], v[111:112], -v[109:110]
	s_delay_alu instid0(VALU_DEP_2) | instskip(NEXT) | instid1(VALU_DEP_2)
	v_add_f64 v[107:108], v[107:108], -v[113:114]
	v_add_f64 v[99:100], v[105:106], -v[99:100]
	s_delay_alu instid0(VALU_DEP_2) | instskip(NEXT) | instid1(VALU_DEP_1)
	v_add_f64 v[107:108], v[107:108], -v[111:112]
	v_add_f64 v[73:74], v[73:74], v[107:108]
	s_delay_alu instid0(VALU_DEP_1) | instskip(NEXT) | instid1(VALU_DEP_1)
	v_add_f64 v[73:74], v[99:100], v[73:74]
	v_add_f64 v[99:100], v[113:114], v[73:74]
	s_delay_alu instid0(VALU_DEP_1) | instskip(SKIP_1) | instid1(VALU_DEP_2)
	v_mul_f64 v[105:106], v[75:76], v[99:100]
	v_add_f64 v[111:112], v[113:114], -v[99:100]
	v_mul_f64 v[107:108], v[101:102], v[105:106]
	s_delay_alu instid0(VALU_DEP_2) | instskip(NEXT) | instid1(VALU_DEP_2)
	v_add_f64 v[73:74], v[73:74], v[111:112]
	v_fma_f64 v[101:102], v[105:106], v[101:102], -v[107:108]
	s_delay_alu instid0(VALU_DEP_1) | instskip(NEXT) | instid1(VALU_DEP_1)
	v_fma_f64 v[97:98], v[105:106], v[97:98], v[101:102]
	v_add_f64 v[101:102], v[107:108], v[97:98]
	s_delay_alu instid0(VALU_DEP_1) | instskip(SKIP_1) | instid1(VALU_DEP_2)
	v_add_f64 v[109:110], v[99:100], -v[101:102]
	v_add_f64 v[107:108], v[101:102], -v[107:108]
	;; [unrolled: 1-line block ×3, first 2 shown]
	s_delay_alu instid0(VALU_DEP_2) | instskip(NEXT) | instid1(VALU_DEP_2)
	v_add_f64 v[97:98], v[107:108], -v[97:98]
	v_add_f64 v[99:100], v[99:100], -v[101:102]
	s_delay_alu instid0(VALU_DEP_1) | instskip(SKIP_1) | instid1(VALU_DEP_2)
	v_add_f64 v[73:74], v[73:74], v[99:100]
	v_add_f64 v[99:100], v[103:104], v[105:106]
	;; [unrolled: 1-line block ×3, first 2 shown]
	s_delay_alu instid0(VALU_DEP_2) | instskip(NEXT) | instid1(VALU_DEP_2)
	v_add_f64 v[97:98], v[99:100], -v[103:104]
	v_add_f64 v[73:74], v[109:110], v[73:74]
	s_delay_alu instid0(VALU_DEP_2) | instskip(NEXT) | instid1(VALU_DEP_2)
	v_add_f64 v[97:98], v[105:106], -v[97:98]
	v_mul_f64 v[73:74], v[75:76], v[73:74]
	s_delay_alu instid0(VALU_DEP_1) | instskip(NEXT) | instid1(VALU_DEP_1)
	v_add_f64 v[73:74], v[97:98], v[73:74]
	v_add_f64 v[75:76], v[99:100], v[73:74]
	s_delay_alu instid0(VALU_DEP_1) | instskip(NEXT) | instid1(VALU_DEP_1)
	v_mul_f64 v[97:98], v[75:76], v[75:76]
	v_fma_f64 v[101:102], v[97:98], s[44:45], s[42:43]
	s_mov_b32 s42, 0xd7f4df2e
	s_mov_b32 s43, 0x3fc7474d
	v_mul_f64 v[103:104], v[75:76], v[97:98]
	s_delay_alu instid0(VALU_DEP_2)
	v_fma_f64 v[101:102], v[97:98], v[101:102], s[42:43]
	s_mov_b32 s42, 0x16291751
	s_mov_b32 s43, 0x3fcc71c0
	s_delay_alu instid0(VALU_DEP_1) | instid1(SALU_CYCLE_1)
	v_fma_f64 v[101:102], v[97:98], v[101:102], s[42:43]
	s_mov_b32 s42, 0x9b27acf1
	s_mov_b32 s43, 0x3fd24924
	s_delay_alu instid0(VALU_DEP_1) | instid1(SALU_CYCLE_1)
	;; [unrolled: 4-line block ×3, first 2 shown]
	v_fma_f64 v[101:102], v[97:98], v[101:102], s[42:43]
	s_delay_alu instid0(VALU_DEP_1) | instskip(SKIP_3) | instid1(VALU_DEP_4)
	v_fma_f64 v[97:98], v[97:98], v[101:102], s[0:1]
	v_ldexp_f64 v[101:102], v[75:76], 1
	v_add_f64 v[75:76], v[75:76], -v[99:100]
	v_cmp_eq_f64_e64 s0, 0x7ff00000, v[71:72]
	v_mul_f64 v[97:98], v[103:104], v[97:98]
	v_cvt_f64_i32_e32 v[103:104], v115
	s_delay_alu instid0(VALU_DEP_4) | instskip(NEXT) | instid1(VALU_DEP_3)
	v_add_f64 v[73:74], v[73:74], -v[75:76]
	v_add_f64 v[99:100], v[101:102], v[97:98]
	s_delay_alu instid0(VALU_DEP_3) | instskip(NEXT) | instid1(VALU_DEP_3)
	v_mul_f64 v[105:106], v[103:104], s[36:37]
	v_ldexp_f64 v[73:74], v[73:74], 1
	s_delay_alu instid0(VALU_DEP_3) | instskip(NEXT) | instid1(VALU_DEP_3)
	v_add_f64 v[75:76], v[99:100], -v[101:102]
	v_fma_f64 v[101:102], v[103:104], s[36:37], -v[105:106]
	s_delay_alu instid0(VALU_DEP_2) | instskip(NEXT) | instid1(VALU_DEP_2)
	v_add_f64 v[75:76], v[97:98], -v[75:76]
	v_fma_f64 v[97:98], v[103:104], s[38:39], v[101:102]
	s_delay_alu instid0(VALU_DEP_2) | instskip(NEXT) | instid1(VALU_DEP_2)
	v_add_f64 v[73:74], v[73:74], v[75:76]
	v_add_f64 v[75:76], v[105:106], v[97:98]
	s_delay_alu instid0(VALU_DEP_2) | instskip(NEXT) | instid1(VALU_DEP_2)
	v_add_f64 v[101:102], v[99:100], v[73:74]
	v_add_f64 v[105:106], v[75:76], -v[105:106]
	s_delay_alu instid0(VALU_DEP_2) | instskip(SKIP_1) | instid1(VALU_DEP_3)
	v_add_f64 v[103:104], v[75:76], v[101:102]
	v_add_f64 v[99:100], v[101:102], -v[99:100]
	v_add_f64 v[97:98], v[97:98], -v[105:106]
	s_delay_alu instid0(VALU_DEP_3) | instskip(NEXT) | instid1(VALU_DEP_3)
	v_add_f64 v[107:108], v[103:104], -v[75:76]
	v_add_f64 v[73:74], v[73:74], -v[99:100]
	s_delay_alu instid0(VALU_DEP_2) | instskip(SKIP_1) | instid1(VALU_DEP_3)
	v_add_f64 v[109:110], v[103:104], -v[107:108]
	v_add_f64 v[99:100], v[101:102], -v[107:108]
	v_add_f64 v[101:102], v[97:98], v[73:74]
	s_delay_alu instid0(VALU_DEP_3) | instskip(NEXT) | instid1(VALU_DEP_1)
	v_add_f64 v[75:76], v[75:76], -v[109:110]
	v_add_f64 v[75:76], v[99:100], v[75:76]
	s_delay_alu instid0(VALU_DEP_3) | instskip(NEXT) | instid1(VALU_DEP_2)
	v_add_f64 v[99:100], v[101:102], -v[97:98]
	v_add_f64 v[75:76], v[101:102], v[75:76]
	s_delay_alu instid0(VALU_DEP_2) | instskip(SKIP_1) | instid1(VALU_DEP_3)
	v_add_f64 v[101:102], v[101:102], -v[99:100]
	v_add_f64 v[73:74], v[73:74], -v[99:100]
	v_add_f64 v[105:106], v[103:104], v[75:76]
	s_delay_alu instid0(VALU_DEP_3) | instskip(NEXT) | instid1(VALU_DEP_2)
	v_add_f64 v[97:98], v[97:98], -v[101:102]
	v_add_f64 v[99:100], v[105:106], -v[103:104]
	s_delay_alu instid0(VALU_DEP_2) | instskip(NEXT) | instid1(VALU_DEP_2)
	v_add_f64 v[73:74], v[73:74], v[97:98]
	v_add_f64 v[75:76], v[75:76], -v[99:100]
	s_delay_alu instid0(VALU_DEP_1) | instskip(NEXT) | instid1(VALU_DEP_1)
	v_add_f64 v[73:74], v[73:74], v[75:76]
	v_add_f64 v[73:74], v[105:106], v[73:74]
	s_delay_alu instid0(VALU_DEP_1) | instskip(NEXT) | instid1(VALU_DEP_2)
	v_cndmask_b32_e64 v73, v73, v71, s0
	v_cndmask_b32_e64 v74, v74, v72, s0
	v_cmp_ngt_f64_e64 s0, -1.0, v[71:72]
	s_delay_alu instid0(VALU_DEP_1) | instskip(SKIP_1) | instid1(VALU_DEP_1)
	v_cndmask_b32_e64 v74, 0x7ff80000, v74, s0
	v_cmp_nge_f64_e64 s0, -1.0, v[71:72]
	v_cndmask_b32_e64 v73, 0, v73, s0
	v_cmp_neq_f64_e64 s0, -1.0, v[71:72]
	s_delay_alu instid0(VALU_DEP_1) | instskip(NEXT) | instid1(VALU_DEP_1)
	v_cndmask_b32_e64 v74, 0xfff00000, v74, s0
	v_add_f64 v[71:72], v[69:70], v[73:74]
.LBB86_81:
	s_or_b32 exec_lo, exec_lo, s41
	s_delay_alu instid0(VALU_DEP_1)
	v_dual_mov_b32 v69, v71 :: v_dual_mov_b32 v70, v72
.LBB86_82:
	s_or_b32 exec_lo, exec_lo, s40
	s_waitcnt lgkmcnt(0)
	v_or_b32_e32 v71, 31, v0
	s_mov_b32 s1, exec_lo
	s_delay_alu instid0(VALU_DEP_1)
	v_cmpx_eq_u32_e64 v71, v0
	s_cbranch_execz .LBB86_84
; %bb.83:
	ds_store_b64 v95, v[69:70]
.LBB86_84:
	s_or_b32 exec_lo, exec_lo, s1
	s_delay_alu instid0(SALU_CYCLE_1)
	s_mov_b32 s40, exec_lo
	s_waitcnt lgkmcnt(0)
	s_barrier
	buffer_gl0_inv
	v_cmpx_gt_u32_e32 8, v0
	s_cbranch_execz .LBB86_98
; %bb.85:
	ds_load_b64 v[71:72], v77
	v_and_b32_e32 v97, 7, v96
	s_mov_b32 s41, exec_lo
	s_waitcnt lgkmcnt(0)
	v_mov_b32_e32 v76, v72
	v_mov_b32_dpp v73, v71 row_shr:1 row_mask:0xf bank_mask:0xf
	v_mov_b32_dpp v74, v72 row_shr:1 row_mask:0xf bank_mask:0xf
	v_mov_b32_e32 v75, v71
	v_cmpx_ne_u32_e32 0, v97
	s_cbranch_execz .LBB86_89
; %bb.86:
	s_delay_alu instid0(VALU_DEP_3) | instskip(SKIP_3) | instid1(VALU_DEP_3)
	v_max_f64 v[75:76], v[73:74], v[73:74]
	v_max_f64 v[98:99], v[71:72], v[71:72]
	v_cmp_u_f64_e64 s0, v[73:74], v[73:74]
	v_cmp_u_f64_e64 s1, v[71:72], v[71:72]
	v_min_f64 v[100:101], v[75:76], v[98:99]
	v_max_f64 v[75:76], v[75:76], v[98:99]
	s_delay_alu instid0(VALU_DEP_2) | instskip(NEXT) | instid1(VALU_DEP_3)
	v_cndmask_b32_e64 v98, v100, v73, s0
	v_cndmask_b32_e64 v99, v101, v74, s0
	s_delay_alu instid0(VALU_DEP_3) | instskip(NEXT) | instid1(VALU_DEP_4)
	v_cndmask_b32_e64 v100, v76, v74, s0
	v_cndmask_b32_e64 v101, v75, v73, s0
	s_delay_alu instid0(VALU_DEP_4) | instskip(NEXT) | instid1(VALU_DEP_4)
	v_cndmask_b32_e64 v75, v98, v71, s1
	v_cndmask_b32_e64 v76, v99, v72, s1
	s_delay_alu instid0(VALU_DEP_4) | instskip(NEXT) | instid1(VALU_DEP_4)
	v_cndmask_b32_e64 v72, v100, v72, s1
	v_cndmask_b32_e64 v71, v101, v71, s1
	s_delay_alu instid0(VALU_DEP_3) | instskip(NEXT) | instid1(VALU_DEP_2)
	v_cmp_class_f64_e64 s1, v[75:76], 0x1f8
	v_cmp_neq_f64_e64 s0, v[75:76], v[71:72]
	s_delay_alu instid0(VALU_DEP_1) | instskip(NEXT) | instid1(SALU_CYCLE_1)
	s_or_b32 s0, s0, s1
	s_and_saveexec_b32 s42, s0
	s_cbranch_execz .LBB86_88
; %bb.87:
	v_add_f64 v[73:74], v[75:76], -v[71:72]
	s_mov_b32 s0, 0x652b82fe
	s_mov_b32 s1, 0x3ff71547
	;; [unrolled: 1-line block ×10, first 2 shown]
	s_delay_alu instid0(VALU_DEP_1) | instskip(SKIP_2) | instid1(VALU_DEP_1)
	v_mul_f64 v[75:76], v[73:74], s[0:1]
	s_mov_b32 s0, 0xfca7ab0c
	s_mov_b32 s1, 0x3e928af3
	v_rndne_f64_e32 v[75:76], v[75:76]
	s_delay_alu instid0(VALU_DEP_1) | instskip(SKIP_2) | instid1(VALU_DEP_2)
	v_fma_f64 v[98:99], v[75:76], s[36:37], v[73:74]
	v_cvt_i32_f64_e32 v102, v[75:76]
	s_mov_b32 s37, 0x3fe62e42
	v_fma_f64 v[98:99], v[75:76], s[38:39], v[98:99]
	s_mov_b32 s39, 0x3c7abc9e
	s_delay_alu instid0(VALU_DEP_1) | instskip(SKIP_4) | instid1(VALU_DEP_1)
	v_fma_f64 v[100:101], v[98:99], s[44:45], s[0:1]
	s_mov_b32 s0, 0x623fde64
	s_mov_b32 s1, 0x3ec71dee
	;; [unrolled: 1-line block ×4, first 2 shown]
	v_fma_f64 v[100:101], v[98:99], v[100:101], s[0:1]
	s_mov_b32 s0, 0x7c89e6b0
	s_mov_b32 s1, 0x3efa0199
	s_delay_alu instid0(VALU_DEP_1) | instid1(SALU_CYCLE_1)
	v_fma_f64 v[100:101], v[98:99], v[100:101], s[0:1]
	s_mov_b32 s0, 0x14761f6e
	s_mov_b32 s1, 0x3f2a01a0
	s_delay_alu instid0(VALU_DEP_1) | instid1(SALU_CYCLE_1)
	v_fma_f64 v[100:101], v[98:99], v[100:101], s[0:1]
	s_mov_b32 s0, 0x1852b7b0
	s_mov_b32 s1, 0x3f56c16c
	s_delay_alu instid0(VALU_DEP_1) | instid1(SALU_CYCLE_1)
	v_fma_f64 v[100:101], v[98:99], v[100:101], s[0:1]
	s_mov_b32 s0, 0x11122322
	s_mov_b32 s1, 0x3f811111
	s_delay_alu instid0(VALU_DEP_1) | instid1(SALU_CYCLE_1)
	v_fma_f64 v[100:101], v[98:99], v[100:101], s[0:1]
	s_mov_b32 s0, 0x555502a1
	s_mov_b32 s1, 0x3fa55555
	s_delay_alu instid0(VALU_DEP_1) | instid1(SALU_CYCLE_1)
	v_fma_f64 v[100:101], v[98:99], v[100:101], s[0:1]
	s_mov_b32 s0, 0x55555511
	s_mov_b32 s1, 0x3fc55555
	s_delay_alu instid0(VALU_DEP_1) | instid1(SALU_CYCLE_1)
	v_fma_f64 v[100:101], v[98:99], v[100:101], s[0:1]
	s_mov_b32 s0, 11
	s_mov_b32 s1, 0x3fe00000
	s_delay_alu instid0(VALU_DEP_1) | instid1(SALU_CYCLE_1)
	v_fma_f64 v[100:101], v[98:99], v[100:101], s[0:1]
	v_cmp_nlt_f64_e64 s0, 0x40900000, v[73:74]
	v_cmp_ngt_f64_e64 s1, 0xc090cc00, v[73:74]
	s_delay_alu instid0(VALU_DEP_3) | instskip(NEXT) | instid1(VALU_DEP_1)
	v_fma_f64 v[100:101], v[98:99], v[100:101], 1.0
	v_fma_f64 v[75:76], v[98:99], v[100:101], 1.0
	s_delay_alu instid0(VALU_DEP_1) | instskip(NEXT) | instid1(VALU_DEP_1)
	v_ldexp_f64 v[75:76], v[75:76], v102
	v_cndmask_b32_e64 v76, 0x7ff00000, v76, s0
	s_and_b32 s0, s1, s0
	s_delay_alu instid0(VALU_DEP_2) | instid1(SALU_CYCLE_1)
	v_cndmask_b32_e64 v73, 0, v75, s0
	s_mov_b32 s0, 0x55555555
	s_delay_alu instid0(VALU_DEP_2) | instskip(SKIP_1) | instid1(VALU_DEP_1)
	v_cndmask_b32_e64 v74, 0, v76, s1
	s_mov_b32 s1, 0x3fe55555
	v_add_f64 v[75:76], v[73:74], 1.0
	s_delay_alu instid0(VALU_DEP_1) | instskip(SKIP_2) | instid1(VALU_DEP_3)
	v_frexp_mant_f64_e32 v[98:99], v[75:76]
	v_frexp_exp_i32_f64_e32 v102, v[75:76]
	v_add_f64 v[100:101], v[75:76], -1.0
	v_cmp_gt_f64_e64 s0, s[0:1], v[98:99]
	s_delay_alu instid0(VALU_DEP_2) | instskip(SKIP_1) | instid1(VALU_DEP_3)
	v_add_f64 v[98:99], v[100:101], -v[75:76]
	v_add_f64 v[100:101], v[73:74], -v[100:101]
	v_subrev_co_ci_u32_e64 v118, s0, 0, v102, s0
	s_delay_alu instid0(VALU_DEP_3) | instskip(SKIP_1) | instid1(VALU_DEP_2)
	v_add_f64 v[98:99], v[98:99], 1.0
	s_mov_b32 s0, 0x55555780
	v_sub_nc_u32_e32 v104, 0, v118
	s_delay_alu instid0(VALU_DEP_1) | instskip(NEXT) | instid1(VALU_DEP_3)
	v_ldexp_f64 v[75:76], v[75:76], v104
	v_add_f64 v[98:99], v[100:101], v[98:99]
	s_delay_alu instid0(VALU_DEP_2) | instskip(SKIP_1) | instid1(VALU_DEP_3)
	v_add_f64 v[102:103], v[75:76], 1.0
	v_add_f64 v[108:109], v[75:76], -1.0
	v_ldexp_f64 v[98:99], v[98:99], v104
	s_delay_alu instid0(VALU_DEP_3) | instskip(NEXT) | instid1(VALU_DEP_3)
	v_add_f64 v[100:101], v[102:103], -1.0
	v_add_f64 v[110:111], v[108:109], 1.0
	s_delay_alu instid0(VALU_DEP_2) | instskip(NEXT) | instid1(VALU_DEP_2)
	v_add_f64 v[100:101], v[75:76], -v[100:101]
	v_add_f64 v[75:76], v[75:76], -v[110:111]
	s_delay_alu instid0(VALU_DEP_2) | instskip(NEXT) | instid1(VALU_DEP_2)
	v_add_f64 v[100:101], v[98:99], v[100:101]
	v_add_f64 v[75:76], v[98:99], v[75:76]
	s_delay_alu instid0(VALU_DEP_2) | instskip(NEXT) | instid1(VALU_DEP_2)
	v_add_f64 v[104:105], v[102:103], v[100:101]
	v_add_f64 v[110:111], v[108:109], v[75:76]
	s_delay_alu instid0(VALU_DEP_2) | instskip(SKIP_1) | instid1(VALU_DEP_2)
	v_rcp_f64_e32 v[106:107], v[104:105]
	v_add_f64 v[102:103], v[104:105], -v[102:103]
	v_add_f64 v[108:109], v[110:111], -v[108:109]
	s_delay_alu instid0(VALU_DEP_2) | instskip(SKIP_3) | instid1(VALU_DEP_2)
	v_add_f64 v[100:101], v[100:101], -v[102:103]
	s_waitcnt_depctr 0xfff
	v_fma_f64 v[112:113], -v[104:105], v[106:107], 1.0
	v_add_f64 v[75:76], v[75:76], -v[108:109]
	v_fma_f64 v[106:107], v[112:113], v[106:107], v[106:107]
	s_delay_alu instid0(VALU_DEP_1) | instskip(NEXT) | instid1(VALU_DEP_1)
	v_fma_f64 v[98:99], -v[104:105], v[106:107], 1.0
	v_fma_f64 v[98:99], v[98:99], v[106:107], v[106:107]
	s_delay_alu instid0(VALU_DEP_1) | instskip(NEXT) | instid1(VALU_DEP_1)
	v_mul_f64 v[106:107], v[110:111], v[98:99]
	v_mul_f64 v[112:113], v[104:105], v[106:107]
	s_delay_alu instid0(VALU_DEP_1) | instskip(NEXT) | instid1(VALU_DEP_1)
	v_fma_f64 v[102:103], v[106:107], v[104:105], -v[112:113]
	v_fma_f64 v[102:103], v[106:107], v[100:101], v[102:103]
	s_delay_alu instid0(VALU_DEP_1) | instskip(NEXT) | instid1(VALU_DEP_1)
	v_add_f64 v[114:115], v[112:113], v[102:103]
	v_add_f64 v[116:117], v[110:111], -v[114:115]
	v_add_f64 v[108:109], v[114:115], -v[112:113]
	s_delay_alu instid0(VALU_DEP_2) | instskip(NEXT) | instid1(VALU_DEP_2)
	v_add_f64 v[110:111], v[110:111], -v[116:117]
	v_add_f64 v[102:103], v[108:109], -v[102:103]
	s_delay_alu instid0(VALU_DEP_2) | instskip(NEXT) | instid1(VALU_DEP_1)
	v_add_f64 v[110:111], v[110:111], -v[114:115]
	v_add_f64 v[75:76], v[75:76], v[110:111]
	s_delay_alu instid0(VALU_DEP_1) | instskip(NEXT) | instid1(VALU_DEP_1)
	v_add_f64 v[75:76], v[102:103], v[75:76]
	v_add_f64 v[102:103], v[116:117], v[75:76]
	s_delay_alu instid0(VALU_DEP_1) | instskip(SKIP_1) | instid1(VALU_DEP_2)
	v_mul_f64 v[108:109], v[98:99], v[102:103]
	v_add_f64 v[114:115], v[116:117], -v[102:103]
	v_mul_f64 v[110:111], v[104:105], v[108:109]
	s_delay_alu instid0(VALU_DEP_2) | instskip(NEXT) | instid1(VALU_DEP_2)
	v_add_f64 v[75:76], v[75:76], v[114:115]
	v_fma_f64 v[104:105], v[108:109], v[104:105], -v[110:111]
	s_delay_alu instid0(VALU_DEP_1) | instskip(NEXT) | instid1(VALU_DEP_1)
	v_fma_f64 v[100:101], v[108:109], v[100:101], v[104:105]
	v_add_f64 v[104:105], v[110:111], v[100:101]
	s_delay_alu instid0(VALU_DEP_1) | instskip(SKIP_1) | instid1(VALU_DEP_2)
	v_add_f64 v[112:113], v[102:103], -v[104:105]
	v_add_f64 v[110:111], v[104:105], -v[110:111]
	;; [unrolled: 1-line block ×3, first 2 shown]
	s_delay_alu instid0(VALU_DEP_2) | instskip(NEXT) | instid1(VALU_DEP_2)
	v_add_f64 v[100:101], v[110:111], -v[100:101]
	v_add_f64 v[102:103], v[102:103], -v[104:105]
	s_delay_alu instid0(VALU_DEP_1) | instskip(SKIP_1) | instid1(VALU_DEP_2)
	v_add_f64 v[75:76], v[75:76], v[102:103]
	v_add_f64 v[102:103], v[106:107], v[108:109]
	;; [unrolled: 1-line block ×3, first 2 shown]
	s_delay_alu instid0(VALU_DEP_2) | instskip(NEXT) | instid1(VALU_DEP_2)
	v_add_f64 v[100:101], v[102:103], -v[106:107]
	v_add_f64 v[75:76], v[112:113], v[75:76]
	s_delay_alu instid0(VALU_DEP_2) | instskip(NEXT) | instid1(VALU_DEP_2)
	v_add_f64 v[100:101], v[108:109], -v[100:101]
	v_mul_f64 v[75:76], v[98:99], v[75:76]
	s_delay_alu instid0(VALU_DEP_1) | instskip(NEXT) | instid1(VALU_DEP_1)
	v_add_f64 v[75:76], v[100:101], v[75:76]
	v_add_f64 v[98:99], v[102:103], v[75:76]
	s_delay_alu instid0(VALU_DEP_1) | instskip(NEXT) | instid1(VALU_DEP_1)
	v_mul_f64 v[100:101], v[98:99], v[98:99]
	v_fma_f64 v[104:105], v[100:101], s[46:47], s[44:45]
	s_mov_b32 s44, 0xd7f4df2e
	s_mov_b32 s45, 0x3fc7474d
	v_mul_f64 v[106:107], v[98:99], v[100:101]
	s_delay_alu instid0(VALU_DEP_2)
	v_fma_f64 v[104:105], v[100:101], v[104:105], s[44:45]
	s_mov_b32 s44, 0x16291751
	s_mov_b32 s45, 0x3fcc71c0
	s_delay_alu instid0(VALU_DEP_1) | instid1(SALU_CYCLE_1)
	v_fma_f64 v[104:105], v[100:101], v[104:105], s[44:45]
	s_mov_b32 s44, 0x9b27acf1
	s_mov_b32 s45, 0x3fd24924
	s_delay_alu instid0(VALU_DEP_1) | instid1(SALU_CYCLE_1)
	;; [unrolled: 4-line block ×3, first 2 shown]
	v_fma_f64 v[104:105], v[100:101], v[104:105], s[44:45]
	s_delay_alu instid0(VALU_DEP_1) | instskip(SKIP_3) | instid1(VALU_DEP_4)
	v_fma_f64 v[100:101], v[100:101], v[104:105], s[0:1]
	v_ldexp_f64 v[104:105], v[98:99], 1
	v_add_f64 v[98:99], v[98:99], -v[102:103]
	v_cmp_eq_f64_e64 s0, 0x7ff00000, v[73:74]
	v_mul_f64 v[100:101], v[106:107], v[100:101]
	v_cvt_f64_i32_e32 v[106:107], v118
	s_delay_alu instid0(VALU_DEP_4) | instskip(NEXT) | instid1(VALU_DEP_3)
	v_add_f64 v[75:76], v[75:76], -v[98:99]
	v_add_f64 v[102:103], v[104:105], v[100:101]
	s_delay_alu instid0(VALU_DEP_3) | instskip(NEXT) | instid1(VALU_DEP_3)
	v_mul_f64 v[108:109], v[106:107], s[36:37]
	v_ldexp_f64 v[75:76], v[75:76], 1
	s_delay_alu instid0(VALU_DEP_3) | instskip(NEXT) | instid1(VALU_DEP_3)
	v_add_f64 v[98:99], v[102:103], -v[104:105]
	v_fma_f64 v[104:105], v[106:107], s[36:37], -v[108:109]
	s_delay_alu instid0(VALU_DEP_2) | instskip(NEXT) | instid1(VALU_DEP_2)
	v_add_f64 v[98:99], v[100:101], -v[98:99]
	v_fma_f64 v[100:101], v[106:107], s[38:39], v[104:105]
	s_delay_alu instid0(VALU_DEP_2) | instskip(NEXT) | instid1(VALU_DEP_2)
	v_add_f64 v[75:76], v[75:76], v[98:99]
	v_add_f64 v[98:99], v[108:109], v[100:101]
	s_delay_alu instid0(VALU_DEP_2) | instskip(NEXT) | instid1(VALU_DEP_2)
	v_add_f64 v[104:105], v[102:103], v[75:76]
	v_add_f64 v[108:109], v[98:99], -v[108:109]
	s_delay_alu instid0(VALU_DEP_2) | instskip(SKIP_1) | instid1(VALU_DEP_3)
	v_add_f64 v[106:107], v[98:99], v[104:105]
	v_add_f64 v[102:103], v[104:105], -v[102:103]
	v_add_f64 v[100:101], v[100:101], -v[108:109]
	s_delay_alu instid0(VALU_DEP_3) | instskip(NEXT) | instid1(VALU_DEP_3)
	v_add_f64 v[110:111], v[106:107], -v[98:99]
	v_add_f64 v[75:76], v[75:76], -v[102:103]
	s_delay_alu instid0(VALU_DEP_2) | instskip(SKIP_1) | instid1(VALU_DEP_3)
	v_add_f64 v[112:113], v[106:107], -v[110:111]
	v_add_f64 v[102:103], v[104:105], -v[110:111]
	v_add_f64 v[104:105], v[100:101], v[75:76]
	s_delay_alu instid0(VALU_DEP_3) | instskip(NEXT) | instid1(VALU_DEP_1)
	v_add_f64 v[98:99], v[98:99], -v[112:113]
	v_add_f64 v[98:99], v[102:103], v[98:99]
	s_delay_alu instid0(VALU_DEP_3) | instskip(NEXT) | instid1(VALU_DEP_2)
	v_add_f64 v[102:103], v[104:105], -v[100:101]
	v_add_f64 v[98:99], v[104:105], v[98:99]
	s_delay_alu instid0(VALU_DEP_2) | instskip(SKIP_1) | instid1(VALU_DEP_3)
	v_add_f64 v[104:105], v[104:105], -v[102:103]
	v_add_f64 v[75:76], v[75:76], -v[102:103]
	v_add_f64 v[108:109], v[106:107], v[98:99]
	s_delay_alu instid0(VALU_DEP_3) | instskip(NEXT) | instid1(VALU_DEP_2)
	v_add_f64 v[100:101], v[100:101], -v[104:105]
	v_add_f64 v[102:103], v[108:109], -v[106:107]
	s_delay_alu instid0(VALU_DEP_2) | instskip(NEXT) | instid1(VALU_DEP_2)
	v_add_f64 v[75:76], v[75:76], v[100:101]
	v_add_f64 v[98:99], v[98:99], -v[102:103]
	s_delay_alu instid0(VALU_DEP_1) | instskip(NEXT) | instid1(VALU_DEP_1)
	v_add_f64 v[75:76], v[75:76], v[98:99]
	v_add_f64 v[75:76], v[108:109], v[75:76]
	s_delay_alu instid0(VALU_DEP_1) | instskip(NEXT) | instid1(VALU_DEP_2)
	v_cndmask_b32_e64 v75, v75, v73, s0
	v_cndmask_b32_e64 v76, v76, v74, s0
	v_cmp_ngt_f64_e64 s0, -1.0, v[73:74]
	s_delay_alu instid0(VALU_DEP_1) | instskip(SKIP_1) | instid1(VALU_DEP_1)
	v_cndmask_b32_e64 v76, 0x7ff80000, v76, s0
	v_cmp_nge_f64_e64 s0, -1.0, v[73:74]
	v_cndmask_b32_e64 v75, 0, v75, s0
	v_cmp_neq_f64_e64 s0, -1.0, v[73:74]
	s_delay_alu instid0(VALU_DEP_1) | instskip(NEXT) | instid1(VALU_DEP_1)
	v_cndmask_b32_e64 v76, 0xfff00000, v76, s0
	v_add_f64 v[73:74], v[71:72], v[75:76]
.LBB86_88:
	s_or_b32 exec_lo, exec_lo, s42
	s_delay_alu instid0(VALU_DEP_1)
	v_dual_mov_b32 v75, v73 :: v_dual_mov_b32 v76, v74
	v_dual_mov_b32 v71, v73 :: v_dual_mov_b32 v72, v74
.LBB86_89:
	s_or_b32 exec_lo, exec_lo, s41
	s_delay_alu instid0(VALU_DEP_2) | instskip(NEXT) | instid1(VALU_DEP_3)
	v_mov_b32_dpp v73, v75 row_shr:2 row_mask:0xf bank_mask:0xf
	v_mov_b32_dpp v74, v76 row_shr:2 row_mask:0xf bank_mask:0xf
	s_mov_b32 s41, exec_lo
	v_cmpx_lt_u32_e32 1, v97
	s_cbranch_execz .LBB86_93
; %bb.90:
	s_delay_alu instid0(VALU_DEP_2) | instskip(SKIP_3) | instid1(VALU_DEP_3)
	v_max_f64 v[75:76], v[73:74], v[73:74]
	v_max_f64 v[98:99], v[71:72], v[71:72]
	v_cmp_u_f64_e64 s0, v[73:74], v[73:74]
	v_cmp_u_f64_e64 s1, v[71:72], v[71:72]
	v_min_f64 v[100:101], v[75:76], v[98:99]
	v_max_f64 v[75:76], v[75:76], v[98:99]
	s_delay_alu instid0(VALU_DEP_2) | instskip(NEXT) | instid1(VALU_DEP_3)
	v_cndmask_b32_e64 v98, v100, v73, s0
	v_cndmask_b32_e64 v99, v101, v74, s0
	s_delay_alu instid0(VALU_DEP_3) | instskip(NEXT) | instid1(VALU_DEP_4)
	v_cndmask_b32_e64 v100, v76, v74, s0
	v_cndmask_b32_e64 v101, v75, v73, s0
	s_delay_alu instid0(VALU_DEP_4) | instskip(NEXT) | instid1(VALU_DEP_4)
	v_cndmask_b32_e64 v75, v98, v71, s1
	v_cndmask_b32_e64 v76, v99, v72, s1
	s_delay_alu instid0(VALU_DEP_4) | instskip(NEXT) | instid1(VALU_DEP_4)
	v_cndmask_b32_e64 v72, v100, v72, s1
	v_cndmask_b32_e64 v71, v101, v71, s1
	s_delay_alu instid0(VALU_DEP_3) | instskip(NEXT) | instid1(VALU_DEP_2)
	v_cmp_class_f64_e64 s1, v[75:76], 0x1f8
	v_cmp_neq_f64_e64 s0, v[75:76], v[71:72]
	s_delay_alu instid0(VALU_DEP_1) | instskip(NEXT) | instid1(SALU_CYCLE_1)
	s_or_b32 s0, s0, s1
	s_and_saveexec_b32 s42, s0
	s_cbranch_execz .LBB86_92
; %bb.91:
	v_add_f64 v[73:74], v[75:76], -v[71:72]
	s_mov_b32 s0, 0x652b82fe
	s_mov_b32 s1, 0x3ff71547
	s_mov_b32 s37, 0xbfe62e42
	s_mov_b32 s36, 0xfefa39ef
	s_mov_b32 s39, 0xbc7abc9e
	s_mov_b32 s38, 0x3b39803f
	s_mov_b32 s44, 0x6a5dcb37
	s_mov_b32 s45, 0x3e5ade15
	s_mov_b32 s46, 0xbf559e2b
	s_mov_b32 s47, 0x3fc3ab76
	s_delay_alu instid0(VALU_DEP_1) | instskip(SKIP_2) | instid1(VALU_DEP_1)
	v_mul_f64 v[75:76], v[73:74], s[0:1]
	s_mov_b32 s0, 0xfca7ab0c
	s_mov_b32 s1, 0x3e928af3
	v_rndne_f64_e32 v[75:76], v[75:76]
	s_delay_alu instid0(VALU_DEP_1) | instskip(SKIP_2) | instid1(VALU_DEP_2)
	v_fma_f64 v[98:99], v[75:76], s[36:37], v[73:74]
	v_cvt_i32_f64_e32 v102, v[75:76]
	s_mov_b32 s37, 0x3fe62e42
	v_fma_f64 v[98:99], v[75:76], s[38:39], v[98:99]
	s_mov_b32 s39, 0x3c7abc9e
	s_delay_alu instid0(VALU_DEP_1) | instskip(SKIP_4) | instid1(VALU_DEP_1)
	v_fma_f64 v[100:101], v[98:99], s[44:45], s[0:1]
	s_mov_b32 s0, 0x623fde64
	s_mov_b32 s1, 0x3ec71dee
	;; [unrolled: 1-line block ×4, first 2 shown]
	v_fma_f64 v[100:101], v[98:99], v[100:101], s[0:1]
	s_mov_b32 s0, 0x7c89e6b0
	s_mov_b32 s1, 0x3efa0199
	s_delay_alu instid0(VALU_DEP_1) | instid1(SALU_CYCLE_1)
	v_fma_f64 v[100:101], v[98:99], v[100:101], s[0:1]
	s_mov_b32 s0, 0x14761f6e
	s_mov_b32 s1, 0x3f2a01a0
	s_delay_alu instid0(VALU_DEP_1) | instid1(SALU_CYCLE_1)
	v_fma_f64 v[100:101], v[98:99], v[100:101], s[0:1]
	s_mov_b32 s0, 0x1852b7b0
	s_mov_b32 s1, 0x3f56c16c
	s_delay_alu instid0(VALU_DEP_1) | instid1(SALU_CYCLE_1)
	v_fma_f64 v[100:101], v[98:99], v[100:101], s[0:1]
	s_mov_b32 s0, 0x11122322
	s_mov_b32 s1, 0x3f811111
	s_delay_alu instid0(VALU_DEP_1) | instid1(SALU_CYCLE_1)
	v_fma_f64 v[100:101], v[98:99], v[100:101], s[0:1]
	s_mov_b32 s0, 0x555502a1
	s_mov_b32 s1, 0x3fa55555
	s_delay_alu instid0(VALU_DEP_1) | instid1(SALU_CYCLE_1)
	v_fma_f64 v[100:101], v[98:99], v[100:101], s[0:1]
	s_mov_b32 s0, 0x55555511
	s_mov_b32 s1, 0x3fc55555
	s_delay_alu instid0(VALU_DEP_1) | instid1(SALU_CYCLE_1)
	v_fma_f64 v[100:101], v[98:99], v[100:101], s[0:1]
	s_mov_b32 s0, 11
	s_mov_b32 s1, 0x3fe00000
	s_delay_alu instid0(VALU_DEP_1) | instid1(SALU_CYCLE_1)
	v_fma_f64 v[100:101], v[98:99], v[100:101], s[0:1]
	v_cmp_nlt_f64_e64 s0, 0x40900000, v[73:74]
	v_cmp_ngt_f64_e64 s1, 0xc090cc00, v[73:74]
	s_delay_alu instid0(VALU_DEP_3) | instskip(NEXT) | instid1(VALU_DEP_1)
	v_fma_f64 v[100:101], v[98:99], v[100:101], 1.0
	v_fma_f64 v[75:76], v[98:99], v[100:101], 1.0
	s_delay_alu instid0(VALU_DEP_1) | instskip(NEXT) | instid1(VALU_DEP_1)
	v_ldexp_f64 v[75:76], v[75:76], v102
	v_cndmask_b32_e64 v76, 0x7ff00000, v76, s0
	s_and_b32 s0, s1, s0
	s_delay_alu instid0(VALU_DEP_2) | instid1(SALU_CYCLE_1)
	v_cndmask_b32_e64 v73, 0, v75, s0
	s_mov_b32 s0, 0x55555555
	s_delay_alu instid0(VALU_DEP_2) | instskip(SKIP_1) | instid1(VALU_DEP_1)
	v_cndmask_b32_e64 v74, 0, v76, s1
	s_mov_b32 s1, 0x3fe55555
	v_add_f64 v[75:76], v[73:74], 1.0
	s_delay_alu instid0(VALU_DEP_1) | instskip(SKIP_2) | instid1(VALU_DEP_3)
	v_frexp_mant_f64_e32 v[98:99], v[75:76]
	v_frexp_exp_i32_f64_e32 v102, v[75:76]
	v_add_f64 v[100:101], v[75:76], -1.0
	v_cmp_gt_f64_e64 s0, s[0:1], v[98:99]
	s_delay_alu instid0(VALU_DEP_2) | instskip(SKIP_1) | instid1(VALU_DEP_3)
	v_add_f64 v[98:99], v[100:101], -v[75:76]
	v_add_f64 v[100:101], v[73:74], -v[100:101]
	v_subrev_co_ci_u32_e64 v118, s0, 0, v102, s0
	s_delay_alu instid0(VALU_DEP_3) | instskip(SKIP_1) | instid1(VALU_DEP_2)
	v_add_f64 v[98:99], v[98:99], 1.0
	s_mov_b32 s0, 0x55555780
	v_sub_nc_u32_e32 v104, 0, v118
	s_delay_alu instid0(VALU_DEP_1) | instskip(NEXT) | instid1(VALU_DEP_3)
	v_ldexp_f64 v[75:76], v[75:76], v104
	v_add_f64 v[98:99], v[100:101], v[98:99]
	s_delay_alu instid0(VALU_DEP_2) | instskip(SKIP_1) | instid1(VALU_DEP_3)
	v_add_f64 v[102:103], v[75:76], 1.0
	v_add_f64 v[108:109], v[75:76], -1.0
	v_ldexp_f64 v[98:99], v[98:99], v104
	s_delay_alu instid0(VALU_DEP_3) | instskip(NEXT) | instid1(VALU_DEP_3)
	v_add_f64 v[100:101], v[102:103], -1.0
	v_add_f64 v[110:111], v[108:109], 1.0
	s_delay_alu instid0(VALU_DEP_2) | instskip(NEXT) | instid1(VALU_DEP_2)
	v_add_f64 v[100:101], v[75:76], -v[100:101]
	v_add_f64 v[75:76], v[75:76], -v[110:111]
	s_delay_alu instid0(VALU_DEP_2) | instskip(NEXT) | instid1(VALU_DEP_2)
	v_add_f64 v[100:101], v[98:99], v[100:101]
	v_add_f64 v[75:76], v[98:99], v[75:76]
	s_delay_alu instid0(VALU_DEP_2) | instskip(NEXT) | instid1(VALU_DEP_2)
	v_add_f64 v[104:105], v[102:103], v[100:101]
	v_add_f64 v[110:111], v[108:109], v[75:76]
	s_delay_alu instid0(VALU_DEP_2) | instskip(SKIP_1) | instid1(VALU_DEP_2)
	v_rcp_f64_e32 v[106:107], v[104:105]
	v_add_f64 v[102:103], v[104:105], -v[102:103]
	v_add_f64 v[108:109], v[110:111], -v[108:109]
	s_delay_alu instid0(VALU_DEP_2) | instskip(SKIP_3) | instid1(VALU_DEP_2)
	v_add_f64 v[100:101], v[100:101], -v[102:103]
	s_waitcnt_depctr 0xfff
	v_fma_f64 v[112:113], -v[104:105], v[106:107], 1.0
	v_add_f64 v[75:76], v[75:76], -v[108:109]
	v_fma_f64 v[106:107], v[112:113], v[106:107], v[106:107]
	s_delay_alu instid0(VALU_DEP_1) | instskip(NEXT) | instid1(VALU_DEP_1)
	v_fma_f64 v[98:99], -v[104:105], v[106:107], 1.0
	v_fma_f64 v[98:99], v[98:99], v[106:107], v[106:107]
	s_delay_alu instid0(VALU_DEP_1) | instskip(NEXT) | instid1(VALU_DEP_1)
	v_mul_f64 v[106:107], v[110:111], v[98:99]
	v_mul_f64 v[112:113], v[104:105], v[106:107]
	s_delay_alu instid0(VALU_DEP_1) | instskip(NEXT) | instid1(VALU_DEP_1)
	v_fma_f64 v[102:103], v[106:107], v[104:105], -v[112:113]
	v_fma_f64 v[102:103], v[106:107], v[100:101], v[102:103]
	s_delay_alu instid0(VALU_DEP_1) | instskip(NEXT) | instid1(VALU_DEP_1)
	v_add_f64 v[114:115], v[112:113], v[102:103]
	v_add_f64 v[116:117], v[110:111], -v[114:115]
	v_add_f64 v[108:109], v[114:115], -v[112:113]
	s_delay_alu instid0(VALU_DEP_2) | instskip(NEXT) | instid1(VALU_DEP_2)
	v_add_f64 v[110:111], v[110:111], -v[116:117]
	v_add_f64 v[102:103], v[108:109], -v[102:103]
	s_delay_alu instid0(VALU_DEP_2) | instskip(NEXT) | instid1(VALU_DEP_1)
	v_add_f64 v[110:111], v[110:111], -v[114:115]
	v_add_f64 v[75:76], v[75:76], v[110:111]
	s_delay_alu instid0(VALU_DEP_1) | instskip(NEXT) | instid1(VALU_DEP_1)
	v_add_f64 v[75:76], v[102:103], v[75:76]
	v_add_f64 v[102:103], v[116:117], v[75:76]
	s_delay_alu instid0(VALU_DEP_1) | instskip(SKIP_1) | instid1(VALU_DEP_2)
	v_mul_f64 v[108:109], v[98:99], v[102:103]
	v_add_f64 v[114:115], v[116:117], -v[102:103]
	v_mul_f64 v[110:111], v[104:105], v[108:109]
	s_delay_alu instid0(VALU_DEP_2) | instskip(NEXT) | instid1(VALU_DEP_2)
	v_add_f64 v[75:76], v[75:76], v[114:115]
	v_fma_f64 v[104:105], v[108:109], v[104:105], -v[110:111]
	s_delay_alu instid0(VALU_DEP_1) | instskip(NEXT) | instid1(VALU_DEP_1)
	v_fma_f64 v[100:101], v[108:109], v[100:101], v[104:105]
	v_add_f64 v[104:105], v[110:111], v[100:101]
	s_delay_alu instid0(VALU_DEP_1) | instskip(SKIP_1) | instid1(VALU_DEP_2)
	v_add_f64 v[112:113], v[102:103], -v[104:105]
	v_add_f64 v[110:111], v[104:105], -v[110:111]
	;; [unrolled: 1-line block ×3, first 2 shown]
	s_delay_alu instid0(VALU_DEP_2) | instskip(NEXT) | instid1(VALU_DEP_2)
	v_add_f64 v[100:101], v[110:111], -v[100:101]
	v_add_f64 v[102:103], v[102:103], -v[104:105]
	s_delay_alu instid0(VALU_DEP_1) | instskip(SKIP_1) | instid1(VALU_DEP_2)
	v_add_f64 v[75:76], v[75:76], v[102:103]
	v_add_f64 v[102:103], v[106:107], v[108:109]
	;; [unrolled: 1-line block ×3, first 2 shown]
	s_delay_alu instid0(VALU_DEP_2) | instskip(NEXT) | instid1(VALU_DEP_2)
	v_add_f64 v[100:101], v[102:103], -v[106:107]
	v_add_f64 v[75:76], v[112:113], v[75:76]
	s_delay_alu instid0(VALU_DEP_2) | instskip(NEXT) | instid1(VALU_DEP_2)
	v_add_f64 v[100:101], v[108:109], -v[100:101]
	v_mul_f64 v[75:76], v[98:99], v[75:76]
	s_delay_alu instid0(VALU_DEP_1) | instskip(NEXT) | instid1(VALU_DEP_1)
	v_add_f64 v[75:76], v[100:101], v[75:76]
	v_add_f64 v[98:99], v[102:103], v[75:76]
	s_delay_alu instid0(VALU_DEP_1) | instskip(NEXT) | instid1(VALU_DEP_1)
	v_mul_f64 v[100:101], v[98:99], v[98:99]
	v_fma_f64 v[104:105], v[100:101], s[46:47], s[44:45]
	s_mov_b32 s44, 0xd7f4df2e
	s_mov_b32 s45, 0x3fc7474d
	v_mul_f64 v[106:107], v[98:99], v[100:101]
	s_delay_alu instid0(VALU_DEP_2)
	v_fma_f64 v[104:105], v[100:101], v[104:105], s[44:45]
	s_mov_b32 s44, 0x16291751
	s_mov_b32 s45, 0x3fcc71c0
	s_delay_alu instid0(VALU_DEP_1) | instid1(SALU_CYCLE_1)
	v_fma_f64 v[104:105], v[100:101], v[104:105], s[44:45]
	s_mov_b32 s44, 0x9b27acf1
	s_mov_b32 s45, 0x3fd24924
	s_delay_alu instid0(VALU_DEP_1) | instid1(SALU_CYCLE_1)
	;; [unrolled: 4-line block ×3, first 2 shown]
	v_fma_f64 v[104:105], v[100:101], v[104:105], s[44:45]
	s_delay_alu instid0(VALU_DEP_1) | instskip(SKIP_3) | instid1(VALU_DEP_4)
	v_fma_f64 v[100:101], v[100:101], v[104:105], s[0:1]
	v_ldexp_f64 v[104:105], v[98:99], 1
	v_add_f64 v[98:99], v[98:99], -v[102:103]
	v_cmp_eq_f64_e64 s0, 0x7ff00000, v[73:74]
	v_mul_f64 v[100:101], v[106:107], v[100:101]
	v_cvt_f64_i32_e32 v[106:107], v118
	s_delay_alu instid0(VALU_DEP_4) | instskip(NEXT) | instid1(VALU_DEP_3)
	v_add_f64 v[75:76], v[75:76], -v[98:99]
	v_add_f64 v[102:103], v[104:105], v[100:101]
	s_delay_alu instid0(VALU_DEP_3) | instskip(NEXT) | instid1(VALU_DEP_3)
	v_mul_f64 v[108:109], v[106:107], s[36:37]
	v_ldexp_f64 v[75:76], v[75:76], 1
	s_delay_alu instid0(VALU_DEP_3) | instskip(NEXT) | instid1(VALU_DEP_3)
	v_add_f64 v[98:99], v[102:103], -v[104:105]
	v_fma_f64 v[104:105], v[106:107], s[36:37], -v[108:109]
	s_delay_alu instid0(VALU_DEP_2) | instskip(NEXT) | instid1(VALU_DEP_2)
	v_add_f64 v[98:99], v[100:101], -v[98:99]
	v_fma_f64 v[100:101], v[106:107], s[38:39], v[104:105]
	s_delay_alu instid0(VALU_DEP_2) | instskip(NEXT) | instid1(VALU_DEP_2)
	v_add_f64 v[75:76], v[75:76], v[98:99]
	v_add_f64 v[98:99], v[108:109], v[100:101]
	s_delay_alu instid0(VALU_DEP_2) | instskip(NEXT) | instid1(VALU_DEP_2)
	v_add_f64 v[104:105], v[102:103], v[75:76]
	v_add_f64 v[108:109], v[98:99], -v[108:109]
	s_delay_alu instid0(VALU_DEP_2) | instskip(SKIP_1) | instid1(VALU_DEP_3)
	v_add_f64 v[106:107], v[98:99], v[104:105]
	v_add_f64 v[102:103], v[104:105], -v[102:103]
	v_add_f64 v[100:101], v[100:101], -v[108:109]
	s_delay_alu instid0(VALU_DEP_3) | instskip(NEXT) | instid1(VALU_DEP_3)
	v_add_f64 v[110:111], v[106:107], -v[98:99]
	v_add_f64 v[75:76], v[75:76], -v[102:103]
	s_delay_alu instid0(VALU_DEP_2) | instskip(SKIP_1) | instid1(VALU_DEP_3)
	v_add_f64 v[112:113], v[106:107], -v[110:111]
	v_add_f64 v[102:103], v[104:105], -v[110:111]
	v_add_f64 v[104:105], v[100:101], v[75:76]
	s_delay_alu instid0(VALU_DEP_3) | instskip(NEXT) | instid1(VALU_DEP_1)
	v_add_f64 v[98:99], v[98:99], -v[112:113]
	v_add_f64 v[98:99], v[102:103], v[98:99]
	s_delay_alu instid0(VALU_DEP_3) | instskip(NEXT) | instid1(VALU_DEP_2)
	v_add_f64 v[102:103], v[104:105], -v[100:101]
	v_add_f64 v[98:99], v[104:105], v[98:99]
	s_delay_alu instid0(VALU_DEP_2) | instskip(SKIP_1) | instid1(VALU_DEP_3)
	v_add_f64 v[104:105], v[104:105], -v[102:103]
	v_add_f64 v[75:76], v[75:76], -v[102:103]
	v_add_f64 v[108:109], v[106:107], v[98:99]
	s_delay_alu instid0(VALU_DEP_3) | instskip(NEXT) | instid1(VALU_DEP_2)
	v_add_f64 v[100:101], v[100:101], -v[104:105]
	v_add_f64 v[102:103], v[108:109], -v[106:107]
	s_delay_alu instid0(VALU_DEP_2) | instskip(NEXT) | instid1(VALU_DEP_2)
	v_add_f64 v[75:76], v[75:76], v[100:101]
	v_add_f64 v[98:99], v[98:99], -v[102:103]
	s_delay_alu instid0(VALU_DEP_1) | instskip(NEXT) | instid1(VALU_DEP_1)
	v_add_f64 v[75:76], v[75:76], v[98:99]
	v_add_f64 v[75:76], v[108:109], v[75:76]
	s_delay_alu instid0(VALU_DEP_1) | instskip(NEXT) | instid1(VALU_DEP_2)
	v_cndmask_b32_e64 v75, v75, v73, s0
	v_cndmask_b32_e64 v76, v76, v74, s0
	v_cmp_ngt_f64_e64 s0, -1.0, v[73:74]
	s_delay_alu instid0(VALU_DEP_1) | instskip(SKIP_1) | instid1(VALU_DEP_1)
	v_cndmask_b32_e64 v76, 0x7ff80000, v76, s0
	v_cmp_nge_f64_e64 s0, -1.0, v[73:74]
	v_cndmask_b32_e64 v75, 0, v75, s0
	v_cmp_neq_f64_e64 s0, -1.0, v[73:74]
	s_delay_alu instid0(VALU_DEP_1) | instskip(NEXT) | instid1(VALU_DEP_1)
	v_cndmask_b32_e64 v76, 0xfff00000, v76, s0
	v_add_f64 v[73:74], v[71:72], v[75:76]
.LBB86_92:
	s_or_b32 exec_lo, exec_lo, s42
	s_delay_alu instid0(VALU_DEP_1)
	v_dual_mov_b32 v75, v73 :: v_dual_mov_b32 v76, v74
	v_dual_mov_b32 v71, v73 :: v_dual_mov_b32 v72, v74
.LBB86_93:
	s_or_b32 exec_lo, exec_lo, s41
	s_delay_alu instid0(VALU_DEP_2) | instskip(NEXT) | instid1(VALU_DEP_3)
	v_mov_b32_dpp v73, v75 row_shr:4 row_mask:0xf bank_mask:0xf
	v_mov_b32_dpp v74, v76 row_shr:4 row_mask:0xf bank_mask:0xf
	s_mov_b32 s41, exec_lo
	v_cmpx_lt_u32_e32 3, v97
	s_cbranch_execz .LBB86_97
; %bb.94:
	s_delay_alu instid0(VALU_DEP_2) | instskip(SKIP_3) | instid1(VALU_DEP_3)
	v_max_f64 v[75:76], v[73:74], v[73:74]
	v_max_f64 v[97:98], v[71:72], v[71:72]
	v_cmp_u_f64_e64 s0, v[73:74], v[73:74]
	v_cmp_u_f64_e64 s1, v[71:72], v[71:72]
	v_min_f64 v[99:100], v[75:76], v[97:98]
	v_max_f64 v[75:76], v[75:76], v[97:98]
	s_delay_alu instid0(VALU_DEP_2) | instskip(NEXT) | instid1(VALU_DEP_3)
	v_cndmask_b32_e64 v97, v99, v73, s0
	v_cndmask_b32_e64 v98, v100, v74, s0
	s_delay_alu instid0(VALU_DEP_3) | instskip(NEXT) | instid1(VALU_DEP_4)
	v_cndmask_b32_e64 v99, v76, v74, s0
	v_cndmask_b32_e64 v100, v75, v73, s0
	s_delay_alu instid0(VALU_DEP_4) | instskip(NEXT) | instid1(VALU_DEP_4)
	v_cndmask_b32_e64 v75, v97, v71, s1
	v_cndmask_b32_e64 v76, v98, v72, s1
	s_delay_alu instid0(VALU_DEP_4) | instskip(NEXT) | instid1(VALU_DEP_4)
	v_cndmask_b32_e64 v72, v99, v72, s1
	v_cndmask_b32_e64 v71, v100, v71, s1
	s_delay_alu instid0(VALU_DEP_3) | instskip(NEXT) | instid1(VALU_DEP_2)
	v_cmp_class_f64_e64 s1, v[75:76], 0x1f8
	v_cmp_neq_f64_e64 s0, v[75:76], v[71:72]
	s_delay_alu instid0(VALU_DEP_1) | instskip(NEXT) | instid1(SALU_CYCLE_1)
	s_or_b32 s0, s0, s1
	s_and_saveexec_b32 s42, s0
	s_cbranch_execz .LBB86_96
; %bb.95:
	v_add_f64 v[73:74], v[75:76], -v[71:72]
	s_mov_b32 s0, 0x652b82fe
	s_mov_b32 s1, 0x3ff71547
	;; [unrolled: 1-line block ×10, first 2 shown]
	s_delay_alu instid0(VALU_DEP_1) | instskip(SKIP_2) | instid1(VALU_DEP_1)
	v_mul_f64 v[75:76], v[73:74], s[0:1]
	s_mov_b32 s0, 0xfca7ab0c
	s_mov_b32 s1, 0x3e928af3
	v_rndne_f64_e32 v[75:76], v[75:76]
	s_delay_alu instid0(VALU_DEP_1) | instskip(SKIP_2) | instid1(VALU_DEP_2)
	v_fma_f64 v[97:98], v[75:76], s[36:37], v[73:74]
	v_cvt_i32_f64_e32 v101, v[75:76]
	s_mov_b32 s37, 0x3fe62e42
	v_fma_f64 v[97:98], v[75:76], s[38:39], v[97:98]
	s_mov_b32 s39, 0x3c7abc9e
	s_delay_alu instid0(VALU_DEP_1) | instskip(SKIP_4) | instid1(VALU_DEP_1)
	v_fma_f64 v[99:100], v[97:98], s[44:45], s[0:1]
	s_mov_b32 s0, 0x623fde64
	s_mov_b32 s1, 0x3ec71dee
	;; [unrolled: 1-line block ×4, first 2 shown]
	v_fma_f64 v[99:100], v[97:98], v[99:100], s[0:1]
	s_mov_b32 s0, 0x7c89e6b0
	s_mov_b32 s1, 0x3efa0199
	s_delay_alu instid0(VALU_DEP_1) | instid1(SALU_CYCLE_1)
	v_fma_f64 v[99:100], v[97:98], v[99:100], s[0:1]
	s_mov_b32 s0, 0x14761f6e
	s_mov_b32 s1, 0x3f2a01a0
	s_delay_alu instid0(VALU_DEP_1) | instid1(SALU_CYCLE_1)
	v_fma_f64 v[99:100], v[97:98], v[99:100], s[0:1]
	s_mov_b32 s0, 0x1852b7b0
	s_mov_b32 s1, 0x3f56c16c
	s_delay_alu instid0(VALU_DEP_1) | instid1(SALU_CYCLE_1)
	v_fma_f64 v[99:100], v[97:98], v[99:100], s[0:1]
	s_mov_b32 s0, 0x11122322
	s_mov_b32 s1, 0x3f811111
	s_delay_alu instid0(VALU_DEP_1) | instid1(SALU_CYCLE_1)
	v_fma_f64 v[99:100], v[97:98], v[99:100], s[0:1]
	s_mov_b32 s0, 0x555502a1
	s_mov_b32 s1, 0x3fa55555
	s_delay_alu instid0(VALU_DEP_1) | instid1(SALU_CYCLE_1)
	v_fma_f64 v[99:100], v[97:98], v[99:100], s[0:1]
	s_mov_b32 s0, 0x55555511
	s_mov_b32 s1, 0x3fc55555
	s_delay_alu instid0(VALU_DEP_1) | instid1(SALU_CYCLE_1)
	v_fma_f64 v[99:100], v[97:98], v[99:100], s[0:1]
	s_mov_b32 s0, 11
	s_mov_b32 s1, 0x3fe00000
	s_delay_alu instid0(VALU_DEP_1) | instid1(SALU_CYCLE_1)
	v_fma_f64 v[99:100], v[97:98], v[99:100], s[0:1]
	v_cmp_nlt_f64_e64 s0, 0x40900000, v[73:74]
	v_cmp_ngt_f64_e64 s1, 0xc090cc00, v[73:74]
	s_delay_alu instid0(VALU_DEP_3) | instskip(NEXT) | instid1(VALU_DEP_1)
	v_fma_f64 v[99:100], v[97:98], v[99:100], 1.0
	v_fma_f64 v[75:76], v[97:98], v[99:100], 1.0
	s_delay_alu instid0(VALU_DEP_1) | instskip(NEXT) | instid1(VALU_DEP_1)
	v_ldexp_f64 v[75:76], v[75:76], v101
	v_cndmask_b32_e64 v76, 0x7ff00000, v76, s0
	s_and_b32 s0, s1, s0
	s_delay_alu instid0(VALU_DEP_2) | instid1(SALU_CYCLE_1)
	v_cndmask_b32_e64 v73, 0, v75, s0
	s_mov_b32 s0, 0x55555555
	s_delay_alu instid0(VALU_DEP_2) | instskip(SKIP_1) | instid1(VALU_DEP_1)
	v_cndmask_b32_e64 v74, 0, v76, s1
	s_mov_b32 s1, 0x3fe55555
	v_add_f64 v[75:76], v[73:74], 1.0
	s_delay_alu instid0(VALU_DEP_1) | instskip(SKIP_2) | instid1(VALU_DEP_3)
	v_frexp_mant_f64_e32 v[97:98], v[75:76]
	v_frexp_exp_i32_f64_e32 v101, v[75:76]
	v_add_f64 v[99:100], v[75:76], -1.0
	v_cmp_gt_f64_e64 s0, s[0:1], v[97:98]
	s_delay_alu instid0(VALU_DEP_2) | instskip(SKIP_1) | instid1(VALU_DEP_3)
	v_add_f64 v[97:98], v[99:100], -v[75:76]
	v_add_f64 v[99:100], v[73:74], -v[99:100]
	v_subrev_co_ci_u32_e64 v117, s0, 0, v101, s0
	s_delay_alu instid0(VALU_DEP_3) | instskip(SKIP_1) | instid1(VALU_DEP_2)
	v_add_f64 v[97:98], v[97:98], 1.0
	s_mov_b32 s0, 0x55555780
	v_sub_nc_u32_e32 v103, 0, v117
	s_delay_alu instid0(VALU_DEP_1) | instskip(NEXT) | instid1(VALU_DEP_3)
	v_ldexp_f64 v[75:76], v[75:76], v103
	v_add_f64 v[97:98], v[99:100], v[97:98]
	s_delay_alu instid0(VALU_DEP_2) | instskip(SKIP_1) | instid1(VALU_DEP_3)
	v_add_f64 v[101:102], v[75:76], 1.0
	v_add_f64 v[107:108], v[75:76], -1.0
	v_ldexp_f64 v[97:98], v[97:98], v103
	s_delay_alu instid0(VALU_DEP_3) | instskip(NEXT) | instid1(VALU_DEP_3)
	v_add_f64 v[99:100], v[101:102], -1.0
	v_add_f64 v[109:110], v[107:108], 1.0
	s_delay_alu instid0(VALU_DEP_2) | instskip(NEXT) | instid1(VALU_DEP_2)
	v_add_f64 v[99:100], v[75:76], -v[99:100]
	v_add_f64 v[75:76], v[75:76], -v[109:110]
	s_delay_alu instid0(VALU_DEP_2) | instskip(NEXT) | instid1(VALU_DEP_2)
	v_add_f64 v[99:100], v[97:98], v[99:100]
	v_add_f64 v[75:76], v[97:98], v[75:76]
	s_delay_alu instid0(VALU_DEP_2) | instskip(NEXT) | instid1(VALU_DEP_2)
	v_add_f64 v[103:104], v[101:102], v[99:100]
	v_add_f64 v[109:110], v[107:108], v[75:76]
	s_delay_alu instid0(VALU_DEP_2) | instskip(SKIP_1) | instid1(VALU_DEP_2)
	v_rcp_f64_e32 v[105:106], v[103:104]
	v_add_f64 v[101:102], v[103:104], -v[101:102]
	v_add_f64 v[107:108], v[109:110], -v[107:108]
	s_delay_alu instid0(VALU_DEP_2) | instskip(SKIP_3) | instid1(VALU_DEP_2)
	v_add_f64 v[99:100], v[99:100], -v[101:102]
	s_waitcnt_depctr 0xfff
	v_fma_f64 v[111:112], -v[103:104], v[105:106], 1.0
	v_add_f64 v[75:76], v[75:76], -v[107:108]
	v_fma_f64 v[105:106], v[111:112], v[105:106], v[105:106]
	s_delay_alu instid0(VALU_DEP_1) | instskip(NEXT) | instid1(VALU_DEP_1)
	v_fma_f64 v[97:98], -v[103:104], v[105:106], 1.0
	v_fma_f64 v[97:98], v[97:98], v[105:106], v[105:106]
	s_delay_alu instid0(VALU_DEP_1) | instskip(NEXT) | instid1(VALU_DEP_1)
	v_mul_f64 v[105:106], v[109:110], v[97:98]
	v_mul_f64 v[111:112], v[103:104], v[105:106]
	s_delay_alu instid0(VALU_DEP_1) | instskip(NEXT) | instid1(VALU_DEP_1)
	v_fma_f64 v[101:102], v[105:106], v[103:104], -v[111:112]
	v_fma_f64 v[101:102], v[105:106], v[99:100], v[101:102]
	s_delay_alu instid0(VALU_DEP_1) | instskip(NEXT) | instid1(VALU_DEP_1)
	v_add_f64 v[113:114], v[111:112], v[101:102]
	v_add_f64 v[115:116], v[109:110], -v[113:114]
	v_add_f64 v[107:108], v[113:114], -v[111:112]
	s_delay_alu instid0(VALU_DEP_2) | instskip(NEXT) | instid1(VALU_DEP_2)
	v_add_f64 v[109:110], v[109:110], -v[115:116]
	v_add_f64 v[101:102], v[107:108], -v[101:102]
	s_delay_alu instid0(VALU_DEP_2) | instskip(NEXT) | instid1(VALU_DEP_1)
	v_add_f64 v[109:110], v[109:110], -v[113:114]
	v_add_f64 v[75:76], v[75:76], v[109:110]
	s_delay_alu instid0(VALU_DEP_1) | instskip(NEXT) | instid1(VALU_DEP_1)
	v_add_f64 v[75:76], v[101:102], v[75:76]
	v_add_f64 v[101:102], v[115:116], v[75:76]
	s_delay_alu instid0(VALU_DEP_1) | instskip(SKIP_1) | instid1(VALU_DEP_2)
	v_mul_f64 v[107:108], v[97:98], v[101:102]
	v_add_f64 v[113:114], v[115:116], -v[101:102]
	v_mul_f64 v[109:110], v[103:104], v[107:108]
	s_delay_alu instid0(VALU_DEP_2) | instskip(NEXT) | instid1(VALU_DEP_2)
	v_add_f64 v[75:76], v[75:76], v[113:114]
	v_fma_f64 v[103:104], v[107:108], v[103:104], -v[109:110]
	s_delay_alu instid0(VALU_DEP_1) | instskip(NEXT) | instid1(VALU_DEP_1)
	v_fma_f64 v[99:100], v[107:108], v[99:100], v[103:104]
	v_add_f64 v[103:104], v[109:110], v[99:100]
	s_delay_alu instid0(VALU_DEP_1) | instskip(SKIP_1) | instid1(VALU_DEP_2)
	v_add_f64 v[111:112], v[101:102], -v[103:104]
	v_add_f64 v[109:110], v[103:104], -v[109:110]
	;; [unrolled: 1-line block ×3, first 2 shown]
	s_delay_alu instid0(VALU_DEP_2) | instskip(NEXT) | instid1(VALU_DEP_2)
	v_add_f64 v[99:100], v[109:110], -v[99:100]
	v_add_f64 v[101:102], v[101:102], -v[103:104]
	s_delay_alu instid0(VALU_DEP_1) | instskip(SKIP_1) | instid1(VALU_DEP_2)
	v_add_f64 v[75:76], v[75:76], v[101:102]
	v_add_f64 v[101:102], v[105:106], v[107:108]
	;; [unrolled: 1-line block ×3, first 2 shown]
	s_delay_alu instid0(VALU_DEP_2) | instskip(NEXT) | instid1(VALU_DEP_2)
	v_add_f64 v[99:100], v[101:102], -v[105:106]
	v_add_f64 v[75:76], v[111:112], v[75:76]
	s_delay_alu instid0(VALU_DEP_2) | instskip(NEXT) | instid1(VALU_DEP_2)
	v_add_f64 v[99:100], v[107:108], -v[99:100]
	v_mul_f64 v[75:76], v[97:98], v[75:76]
	s_delay_alu instid0(VALU_DEP_1) | instskip(NEXT) | instid1(VALU_DEP_1)
	v_add_f64 v[75:76], v[99:100], v[75:76]
	v_add_f64 v[97:98], v[101:102], v[75:76]
	s_delay_alu instid0(VALU_DEP_1) | instskip(NEXT) | instid1(VALU_DEP_1)
	v_mul_f64 v[99:100], v[97:98], v[97:98]
	v_fma_f64 v[103:104], v[99:100], s[46:47], s[44:45]
	s_mov_b32 s44, 0xd7f4df2e
	s_mov_b32 s45, 0x3fc7474d
	v_mul_f64 v[105:106], v[97:98], v[99:100]
	s_delay_alu instid0(VALU_DEP_2)
	v_fma_f64 v[103:104], v[99:100], v[103:104], s[44:45]
	s_mov_b32 s44, 0x16291751
	s_mov_b32 s45, 0x3fcc71c0
	s_delay_alu instid0(VALU_DEP_1) | instid1(SALU_CYCLE_1)
	v_fma_f64 v[103:104], v[99:100], v[103:104], s[44:45]
	s_mov_b32 s44, 0x9b27acf1
	s_mov_b32 s45, 0x3fd24924
	s_delay_alu instid0(VALU_DEP_1) | instid1(SALU_CYCLE_1)
	;; [unrolled: 4-line block ×3, first 2 shown]
	v_fma_f64 v[103:104], v[99:100], v[103:104], s[44:45]
	s_delay_alu instid0(VALU_DEP_1) | instskip(SKIP_3) | instid1(VALU_DEP_4)
	v_fma_f64 v[99:100], v[99:100], v[103:104], s[0:1]
	v_ldexp_f64 v[103:104], v[97:98], 1
	v_add_f64 v[97:98], v[97:98], -v[101:102]
	v_cmp_eq_f64_e64 s0, 0x7ff00000, v[73:74]
	v_mul_f64 v[99:100], v[105:106], v[99:100]
	v_cvt_f64_i32_e32 v[105:106], v117
	s_delay_alu instid0(VALU_DEP_4) | instskip(NEXT) | instid1(VALU_DEP_3)
	v_add_f64 v[75:76], v[75:76], -v[97:98]
	v_add_f64 v[101:102], v[103:104], v[99:100]
	s_delay_alu instid0(VALU_DEP_3) | instskip(NEXT) | instid1(VALU_DEP_3)
	v_mul_f64 v[107:108], v[105:106], s[36:37]
	v_ldexp_f64 v[75:76], v[75:76], 1
	s_delay_alu instid0(VALU_DEP_3) | instskip(NEXT) | instid1(VALU_DEP_3)
	v_add_f64 v[97:98], v[101:102], -v[103:104]
	v_fma_f64 v[103:104], v[105:106], s[36:37], -v[107:108]
	s_delay_alu instid0(VALU_DEP_2) | instskip(NEXT) | instid1(VALU_DEP_2)
	v_add_f64 v[97:98], v[99:100], -v[97:98]
	v_fma_f64 v[99:100], v[105:106], s[38:39], v[103:104]
	s_delay_alu instid0(VALU_DEP_2) | instskip(NEXT) | instid1(VALU_DEP_2)
	v_add_f64 v[75:76], v[75:76], v[97:98]
	v_add_f64 v[97:98], v[107:108], v[99:100]
	s_delay_alu instid0(VALU_DEP_2) | instskip(NEXT) | instid1(VALU_DEP_2)
	v_add_f64 v[103:104], v[101:102], v[75:76]
	v_add_f64 v[107:108], v[97:98], -v[107:108]
	s_delay_alu instid0(VALU_DEP_2) | instskip(SKIP_1) | instid1(VALU_DEP_3)
	v_add_f64 v[105:106], v[97:98], v[103:104]
	v_add_f64 v[101:102], v[103:104], -v[101:102]
	v_add_f64 v[99:100], v[99:100], -v[107:108]
	s_delay_alu instid0(VALU_DEP_3) | instskip(NEXT) | instid1(VALU_DEP_3)
	v_add_f64 v[109:110], v[105:106], -v[97:98]
	v_add_f64 v[75:76], v[75:76], -v[101:102]
	s_delay_alu instid0(VALU_DEP_2) | instskip(SKIP_1) | instid1(VALU_DEP_3)
	v_add_f64 v[111:112], v[105:106], -v[109:110]
	v_add_f64 v[101:102], v[103:104], -v[109:110]
	v_add_f64 v[103:104], v[99:100], v[75:76]
	s_delay_alu instid0(VALU_DEP_3) | instskip(NEXT) | instid1(VALU_DEP_1)
	v_add_f64 v[97:98], v[97:98], -v[111:112]
	v_add_f64 v[97:98], v[101:102], v[97:98]
	s_delay_alu instid0(VALU_DEP_3) | instskip(NEXT) | instid1(VALU_DEP_2)
	v_add_f64 v[101:102], v[103:104], -v[99:100]
	v_add_f64 v[97:98], v[103:104], v[97:98]
	s_delay_alu instid0(VALU_DEP_2) | instskip(SKIP_1) | instid1(VALU_DEP_3)
	v_add_f64 v[103:104], v[103:104], -v[101:102]
	v_add_f64 v[75:76], v[75:76], -v[101:102]
	v_add_f64 v[107:108], v[105:106], v[97:98]
	s_delay_alu instid0(VALU_DEP_3) | instskip(NEXT) | instid1(VALU_DEP_2)
	v_add_f64 v[99:100], v[99:100], -v[103:104]
	v_add_f64 v[101:102], v[107:108], -v[105:106]
	s_delay_alu instid0(VALU_DEP_2) | instskip(NEXT) | instid1(VALU_DEP_2)
	v_add_f64 v[75:76], v[75:76], v[99:100]
	v_add_f64 v[97:98], v[97:98], -v[101:102]
	s_delay_alu instid0(VALU_DEP_1) | instskip(NEXT) | instid1(VALU_DEP_1)
	v_add_f64 v[75:76], v[75:76], v[97:98]
	v_add_f64 v[75:76], v[107:108], v[75:76]
	s_delay_alu instid0(VALU_DEP_1) | instskip(NEXT) | instid1(VALU_DEP_2)
	v_cndmask_b32_e64 v75, v75, v73, s0
	v_cndmask_b32_e64 v76, v76, v74, s0
	v_cmp_ngt_f64_e64 s0, -1.0, v[73:74]
	s_delay_alu instid0(VALU_DEP_1) | instskip(SKIP_1) | instid1(VALU_DEP_1)
	v_cndmask_b32_e64 v76, 0x7ff80000, v76, s0
	v_cmp_nge_f64_e64 s0, -1.0, v[73:74]
	v_cndmask_b32_e64 v75, 0, v75, s0
	v_cmp_neq_f64_e64 s0, -1.0, v[73:74]
	s_delay_alu instid0(VALU_DEP_1) | instskip(NEXT) | instid1(VALU_DEP_1)
	v_cndmask_b32_e64 v76, 0xfff00000, v76, s0
	v_add_f64 v[73:74], v[71:72], v[75:76]
.LBB86_96:
	s_or_b32 exec_lo, exec_lo, s42
	s_delay_alu instid0(VALU_DEP_1)
	v_dual_mov_b32 v71, v73 :: v_dual_mov_b32 v72, v74
.LBB86_97:
	s_or_b32 exec_lo, exec_lo, s41
	ds_store_b64 v77, v[71:72]
.LBB86_98:
	s_or_b32 exec_lo, exec_lo, s40
	s_delay_alu instid0(SALU_CYCLE_1)
	s_mov_b32 s40, exec_lo
	s_waitcnt lgkmcnt(0)
	s_barrier
	buffer_gl0_inv
                                        ; implicit-def: $vgpr71_vgpr72
	v_cmpx_lt_u32_e32 31, v0
	s_cbranch_execz .LBB86_102
; %bb.99:
	v_add_nc_u32_e32 v71, -8, v95
	v_max_f64 v[73:74], v[69:70], v[69:70]
	v_cmp_u_f64_e64 s1, v[69:70], v[69:70]
	ds_load_b64 v[71:72], v71
	s_waitcnt lgkmcnt(0)
	v_max_f64 v[75:76], v[71:72], v[71:72]
	v_cmp_u_f64_e64 s0, v[71:72], v[71:72]
	s_delay_alu instid0(VALU_DEP_2) | instskip(SKIP_1) | instid1(VALU_DEP_2)
	v_min_f64 v[97:98], v[75:76], v[73:74]
	v_max_f64 v[73:74], v[75:76], v[73:74]
	v_cndmask_b32_e64 v75, v97, v71, s0
	s_delay_alu instid0(VALU_DEP_3) | instskip(NEXT) | instid1(VALU_DEP_3)
	v_cndmask_b32_e64 v76, v98, v72, s0
	v_cndmask_b32_e64 v74, v74, v72, s0
	s_delay_alu instid0(VALU_DEP_4) | instskip(NEXT) | instid1(VALU_DEP_4)
	v_cndmask_b32_e64 v73, v73, v71, s0
	v_cndmask_b32_e64 v75, v75, v69, s1
	s_delay_alu instid0(VALU_DEP_4) | instskip(NEXT) | instid1(VALU_DEP_4)
	v_cndmask_b32_e64 v76, v76, v70, s1
	v_cndmask_b32_e64 v74, v74, v70, s1
	s_delay_alu instid0(VALU_DEP_4) | instskip(SKIP_1) | instid1(VALU_DEP_4)
	v_cndmask_b32_e64 v73, v73, v69, s1
	v_dual_mov_b32 v69, v71 :: v_dual_mov_b32 v70, v72
	v_cmp_class_f64_e64 s1, v[75:76], 0x1f8
	s_delay_alu instid0(VALU_DEP_3) | instskip(NEXT) | instid1(VALU_DEP_1)
	v_cmp_neq_f64_e64 s0, v[75:76], v[73:74]
	s_or_b32 s0, s0, s1
	s_delay_alu instid0(SALU_CYCLE_1)
	s_and_saveexec_b32 s41, s0
	s_cbranch_execz .LBB86_101
; %bb.100:
	v_add_f64 v[69:70], v[75:76], -v[73:74]
	s_mov_b32 s0, 0x652b82fe
	s_mov_b32 s1, 0x3ff71547
	;; [unrolled: 1-line block ×10, first 2 shown]
	s_delay_alu instid0(VALU_DEP_1) | instskip(SKIP_2) | instid1(VALU_DEP_1)
	v_mul_f64 v[75:76], v[69:70], s[0:1]
	s_mov_b32 s0, 0xfca7ab0c
	s_mov_b32 s1, 0x3e928af3
	v_rndne_f64_e32 v[75:76], v[75:76]
	s_delay_alu instid0(VALU_DEP_1) | instskip(SKIP_2) | instid1(VALU_DEP_2)
	v_fma_f64 v[97:98], v[75:76], s[36:37], v[69:70]
	v_cvt_i32_f64_e32 v95, v[75:76]
	s_mov_b32 s37, 0x3fe62e42
	v_fma_f64 v[97:98], v[75:76], s[38:39], v[97:98]
	s_mov_b32 s39, 0x3c7abc9e
	s_delay_alu instid0(VALU_DEP_1) | instskip(SKIP_4) | instid1(VALU_DEP_1)
	v_fma_f64 v[99:100], v[97:98], s[42:43], s[0:1]
	s_mov_b32 s0, 0x623fde64
	s_mov_b32 s1, 0x3ec71dee
	;; [unrolled: 1-line block ×4, first 2 shown]
	v_fma_f64 v[99:100], v[97:98], v[99:100], s[0:1]
	s_mov_b32 s0, 0x7c89e6b0
	s_mov_b32 s1, 0x3efa0199
	s_delay_alu instid0(VALU_DEP_1) | instid1(SALU_CYCLE_1)
	v_fma_f64 v[99:100], v[97:98], v[99:100], s[0:1]
	s_mov_b32 s0, 0x14761f6e
	s_mov_b32 s1, 0x3f2a01a0
	s_delay_alu instid0(VALU_DEP_1) | instid1(SALU_CYCLE_1)
	;; [unrolled: 4-line block ×7, first 2 shown]
	v_fma_f64 v[99:100], v[97:98], v[99:100], s[0:1]
	v_cmp_nlt_f64_e64 s0, 0x40900000, v[69:70]
	v_cmp_ngt_f64_e64 s1, 0xc090cc00, v[69:70]
	s_delay_alu instid0(VALU_DEP_3) | instskip(NEXT) | instid1(VALU_DEP_1)
	v_fma_f64 v[99:100], v[97:98], v[99:100], 1.0
	v_fma_f64 v[75:76], v[97:98], v[99:100], 1.0
	s_delay_alu instid0(VALU_DEP_1) | instskip(NEXT) | instid1(VALU_DEP_1)
	v_ldexp_f64 v[75:76], v[75:76], v95
	v_cndmask_b32_e64 v76, 0x7ff00000, v76, s0
	s_and_b32 s0, s1, s0
	s_delay_alu instid0(VALU_DEP_2) | instid1(SALU_CYCLE_1)
	v_cndmask_b32_e64 v69, 0, v75, s0
	s_mov_b32 s0, 0x55555555
	s_delay_alu instid0(VALU_DEP_2) | instskip(SKIP_1) | instid1(VALU_DEP_1)
	v_cndmask_b32_e64 v70, 0, v76, s1
	s_mov_b32 s1, 0x3fe55555
	v_add_f64 v[75:76], v[69:70], 1.0
	s_delay_alu instid0(VALU_DEP_1) | instskip(SKIP_2) | instid1(VALU_DEP_3)
	v_frexp_mant_f64_e32 v[97:98], v[75:76]
	v_frexp_exp_i32_f64_e32 v95, v[75:76]
	v_add_f64 v[99:100], v[75:76], -1.0
	v_cmp_gt_f64_e64 s0, s[0:1], v[97:98]
	s_delay_alu instid0(VALU_DEP_2) | instskip(SKIP_1) | instid1(VALU_DEP_3)
	v_add_f64 v[97:98], v[99:100], -v[75:76]
	v_add_f64 v[99:100], v[69:70], -v[99:100]
	v_subrev_co_ci_u32_e64 v95, s0, 0, v95, s0
	s_delay_alu instid0(VALU_DEP_3) | instskip(SKIP_1) | instid1(VALU_DEP_2)
	v_add_f64 v[97:98], v[97:98], 1.0
	s_mov_b32 s0, 0x55555780
	v_sub_nc_u32_e32 v103, 0, v95
	s_delay_alu instid0(VALU_DEP_1) | instskip(NEXT) | instid1(VALU_DEP_3)
	v_ldexp_f64 v[75:76], v[75:76], v103
	v_add_f64 v[97:98], v[99:100], v[97:98]
	s_delay_alu instid0(VALU_DEP_2) | instskip(SKIP_1) | instid1(VALU_DEP_3)
	v_add_f64 v[101:102], v[75:76], 1.0
	v_add_f64 v[107:108], v[75:76], -1.0
	v_ldexp_f64 v[97:98], v[97:98], v103
	s_delay_alu instid0(VALU_DEP_3) | instskip(NEXT) | instid1(VALU_DEP_3)
	v_add_f64 v[99:100], v[101:102], -1.0
	v_add_f64 v[109:110], v[107:108], 1.0
	s_delay_alu instid0(VALU_DEP_2) | instskip(NEXT) | instid1(VALU_DEP_2)
	v_add_f64 v[99:100], v[75:76], -v[99:100]
	v_add_f64 v[75:76], v[75:76], -v[109:110]
	s_delay_alu instid0(VALU_DEP_2) | instskip(NEXT) | instid1(VALU_DEP_2)
	v_add_f64 v[99:100], v[97:98], v[99:100]
	v_add_f64 v[75:76], v[97:98], v[75:76]
	s_delay_alu instid0(VALU_DEP_2) | instskip(NEXT) | instid1(VALU_DEP_2)
	v_add_f64 v[103:104], v[101:102], v[99:100]
	v_add_f64 v[109:110], v[107:108], v[75:76]
	s_delay_alu instid0(VALU_DEP_2) | instskip(SKIP_1) | instid1(VALU_DEP_2)
	v_rcp_f64_e32 v[105:106], v[103:104]
	v_add_f64 v[101:102], v[103:104], -v[101:102]
	v_add_f64 v[107:108], v[109:110], -v[107:108]
	s_delay_alu instid0(VALU_DEP_2) | instskip(SKIP_3) | instid1(VALU_DEP_2)
	v_add_f64 v[99:100], v[99:100], -v[101:102]
	s_waitcnt_depctr 0xfff
	v_fma_f64 v[111:112], -v[103:104], v[105:106], 1.0
	v_add_f64 v[75:76], v[75:76], -v[107:108]
	v_fma_f64 v[105:106], v[111:112], v[105:106], v[105:106]
	s_delay_alu instid0(VALU_DEP_1) | instskip(NEXT) | instid1(VALU_DEP_1)
	v_fma_f64 v[97:98], -v[103:104], v[105:106], 1.0
	v_fma_f64 v[97:98], v[97:98], v[105:106], v[105:106]
	s_delay_alu instid0(VALU_DEP_1) | instskip(NEXT) | instid1(VALU_DEP_1)
	v_mul_f64 v[105:106], v[109:110], v[97:98]
	v_mul_f64 v[111:112], v[103:104], v[105:106]
	s_delay_alu instid0(VALU_DEP_1) | instskip(NEXT) | instid1(VALU_DEP_1)
	v_fma_f64 v[101:102], v[105:106], v[103:104], -v[111:112]
	v_fma_f64 v[101:102], v[105:106], v[99:100], v[101:102]
	s_delay_alu instid0(VALU_DEP_1) | instskip(NEXT) | instid1(VALU_DEP_1)
	v_add_f64 v[113:114], v[111:112], v[101:102]
	v_add_f64 v[115:116], v[109:110], -v[113:114]
	v_add_f64 v[107:108], v[113:114], -v[111:112]
	s_delay_alu instid0(VALU_DEP_2) | instskip(NEXT) | instid1(VALU_DEP_2)
	v_add_f64 v[109:110], v[109:110], -v[115:116]
	v_add_f64 v[101:102], v[107:108], -v[101:102]
	s_delay_alu instid0(VALU_DEP_2) | instskip(NEXT) | instid1(VALU_DEP_1)
	v_add_f64 v[109:110], v[109:110], -v[113:114]
	v_add_f64 v[75:76], v[75:76], v[109:110]
	s_delay_alu instid0(VALU_DEP_1) | instskip(NEXT) | instid1(VALU_DEP_1)
	v_add_f64 v[75:76], v[101:102], v[75:76]
	v_add_f64 v[101:102], v[115:116], v[75:76]
	s_delay_alu instid0(VALU_DEP_1) | instskip(SKIP_1) | instid1(VALU_DEP_2)
	v_mul_f64 v[107:108], v[97:98], v[101:102]
	v_add_f64 v[113:114], v[115:116], -v[101:102]
	v_mul_f64 v[109:110], v[103:104], v[107:108]
	s_delay_alu instid0(VALU_DEP_2) | instskip(NEXT) | instid1(VALU_DEP_2)
	v_add_f64 v[75:76], v[75:76], v[113:114]
	v_fma_f64 v[103:104], v[107:108], v[103:104], -v[109:110]
	s_delay_alu instid0(VALU_DEP_1) | instskip(NEXT) | instid1(VALU_DEP_1)
	v_fma_f64 v[99:100], v[107:108], v[99:100], v[103:104]
	v_add_f64 v[103:104], v[109:110], v[99:100]
	s_delay_alu instid0(VALU_DEP_1) | instskip(SKIP_1) | instid1(VALU_DEP_2)
	v_add_f64 v[111:112], v[101:102], -v[103:104]
	v_add_f64 v[109:110], v[103:104], -v[109:110]
	;; [unrolled: 1-line block ×3, first 2 shown]
	s_delay_alu instid0(VALU_DEP_2) | instskip(NEXT) | instid1(VALU_DEP_2)
	v_add_f64 v[99:100], v[109:110], -v[99:100]
	v_add_f64 v[101:102], v[101:102], -v[103:104]
	s_delay_alu instid0(VALU_DEP_1) | instskip(SKIP_1) | instid1(VALU_DEP_2)
	v_add_f64 v[75:76], v[75:76], v[101:102]
	v_add_f64 v[101:102], v[105:106], v[107:108]
	;; [unrolled: 1-line block ×3, first 2 shown]
	s_delay_alu instid0(VALU_DEP_2) | instskip(NEXT) | instid1(VALU_DEP_2)
	v_add_f64 v[99:100], v[101:102], -v[105:106]
	v_add_f64 v[75:76], v[111:112], v[75:76]
	s_delay_alu instid0(VALU_DEP_2) | instskip(NEXT) | instid1(VALU_DEP_2)
	v_add_f64 v[99:100], v[107:108], -v[99:100]
	v_mul_f64 v[75:76], v[97:98], v[75:76]
	s_delay_alu instid0(VALU_DEP_1) | instskip(NEXT) | instid1(VALU_DEP_1)
	v_add_f64 v[75:76], v[99:100], v[75:76]
	v_add_f64 v[97:98], v[101:102], v[75:76]
	s_delay_alu instid0(VALU_DEP_1) | instskip(NEXT) | instid1(VALU_DEP_1)
	v_mul_f64 v[99:100], v[97:98], v[97:98]
	v_fma_f64 v[103:104], v[99:100], s[44:45], s[42:43]
	s_mov_b32 s42, 0xd7f4df2e
	s_mov_b32 s43, 0x3fc7474d
	v_mul_f64 v[105:106], v[97:98], v[99:100]
	s_delay_alu instid0(VALU_DEP_2)
	v_fma_f64 v[103:104], v[99:100], v[103:104], s[42:43]
	s_mov_b32 s42, 0x16291751
	s_mov_b32 s43, 0x3fcc71c0
	s_delay_alu instid0(VALU_DEP_1) | instid1(SALU_CYCLE_1)
	v_fma_f64 v[103:104], v[99:100], v[103:104], s[42:43]
	s_mov_b32 s42, 0x9b27acf1
	s_mov_b32 s43, 0x3fd24924
	s_delay_alu instid0(VALU_DEP_1) | instid1(SALU_CYCLE_1)
	;; [unrolled: 4-line block ×3, first 2 shown]
	v_fma_f64 v[103:104], v[99:100], v[103:104], s[42:43]
	s_delay_alu instid0(VALU_DEP_1) | instskip(SKIP_3) | instid1(VALU_DEP_4)
	v_fma_f64 v[99:100], v[99:100], v[103:104], s[0:1]
	v_ldexp_f64 v[103:104], v[97:98], 1
	v_add_f64 v[97:98], v[97:98], -v[101:102]
	v_cmp_eq_f64_e64 s0, 0x7ff00000, v[69:70]
	v_mul_f64 v[99:100], v[105:106], v[99:100]
	v_cvt_f64_i32_e32 v[105:106], v95
	s_delay_alu instid0(VALU_DEP_4) | instskip(NEXT) | instid1(VALU_DEP_3)
	v_add_f64 v[75:76], v[75:76], -v[97:98]
	v_add_f64 v[101:102], v[103:104], v[99:100]
	s_delay_alu instid0(VALU_DEP_3) | instskip(NEXT) | instid1(VALU_DEP_3)
	v_mul_f64 v[107:108], v[105:106], s[36:37]
	v_ldexp_f64 v[75:76], v[75:76], 1
	s_delay_alu instid0(VALU_DEP_3) | instskip(NEXT) | instid1(VALU_DEP_3)
	v_add_f64 v[97:98], v[101:102], -v[103:104]
	v_fma_f64 v[103:104], v[105:106], s[36:37], -v[107:108]
	s_delay_alu instid0(VALU_DEP_2) | instskip(NEXT) | instid1(VALU_DEP_2)
	v_add_f64 v[97:98], v[99:100], -v[97:98]
	v_fma_f64 v[99:100], v[105:106], s[38:39], v[103:104]
	s_delay_alu instid0(VALU_DEP_2) | instskip(NEXT) | instid1(VALU_DEP_2)
	v_add_f64 v[75:76], v[75:76], v[97:98]
	v_add_f64 v[97:98], v[107:108], v[99:100]
	s_delay_alu instid0(VALU_DEP_2) | instskip(NEXT) | instid1(VALU_DEP_2)
	v_add_f64 v[103:104], v[101:102], v[75:76]
	v_add_f64 v[107:108], v[97:98], -v[107:108]
	s_delay_alu instid0(VALU_DEP_2) | instskip(SKIP_1) | instid1(VALU_DEP_3)
	v_add_f64 v[105:106], v[97:98], v[103:104]
	v_add_f64 v[101:102], v[103:104], -v[101:102]
	v_add_f64 v[99:100], v[99:100], -v[107:108]
	s_delay_alu instid0(VALU_DEP_3) | instskip(NEXT) | instid1(VALU_DEP_3)
	v_add_f64 v[109:110], v[105:106], -v[97:98]
	v_add_f64 v[75:76], v[75:76], -v[101:102]
	s_delay_alu instid0(VALU_DEP_2) | instskip(SKIP_1) | instid1(VALU_DEP_3)
	v_add_f64 v[111:112], v[105:106], -v[109:110]
	v_add_f64 v[101:102], v[103:104], -v[109:110]
	v_add_f64 v[103:104], v[99:100], v[75:76]
	s_delay_alu instid0(VALU_DEP_3) | instskip(NEXT) | instid1(VALU_DEP_1)
	v_add_f64 v[97:98], v[97:98], -v[111:112]
	v_add_f64 v[97:98], v[101:102], v[97:98]
	s_delay_alu instid0(VALU_DEP_3) | instskip(NEXT) | instid1(VALU_DEP_2)
	v_add_f64 v[101:102], v[103:104], -v[99:100]
	v_add_f64 v[97:98], v[103:104], v[97:98]
	s_delay_alu instid0(VALU_DEP_2) | instskip(SKIP_1) | instid1(VALU_DEP_3)
	v_add_f64 v[103:104], v[103:104], -v[101:102]
	v_add_f64 v[75:76], v[75:76], -v[101:102]
	v_add_f64 v[107:108], v[105:106], v[97:98]
	s_delay_alu instid0(VALU_DEP_3) | instskip(NEXT) | instid1(VALU_DEP_2)
	v_add_f64 v[99:100], v[99:100], -v[103:104]
	v_add_f64 v[101:102], v[107:108], -v[105:106]
	s_delay_alu instid0(VALU_DEP_2) | instskip(NEXT) | instid1(VALU_DEP_2)
	v_add_f64 v[75:76], v[75:76], v[99:100]
	v_add_f64 v[97:98], v[97:98], -v[101:102]
	s_delay_alu instid0(VALU_DEP_1) | instskip(NEXT) | instid1(VALU_DEP_1)
	v_add_f64 v[75:76], v[75:76], v[97:98]
	v_add_f64 v[75:76], v[107:108], v[75:76]
	s_delay_alu instid0(VALU_DEP_1) | instskip(NEXT) | instid1(VALU_DEP_2)
	v_cndmask_b32_e64 v75, v75, v69, s0
	v_cndmask_b32_e64 v76, v76, v70, s0
	v_cmp_ngt_f64_e64 s0, -1.0, v[69:70]
	s_delay_alu instid0(VALU_DEP_1) | instskip(SKIP_1) | instid1(VALU_DEP_1)
	v_cndmask_b32_e64 v76, 0x7ff80000, v76, s0
	v_cmp_nge_f64_e64 s0, -1.0, v[69:70]
	v_cndmask_b32_e64 v75, 0, v75, s0
	v_cmp_neq_f64_e64 s0, -1.0, v[69:70]
	s_delay_alu instid0(VALU_DEP_1) | instskip(NEXT) | instid1(VALU_DEP_1)
	v_cndmask_b32_e64 v76, 0xfff00000, v76, s0
	v_add_f64 v[69:70], v[73:74], v[75:76]
.LBB86_101:
	s_or_b32 exec_lo, exec_lo, s41
.LBB86_102:
	s_delay_alu instid0(SALU_CYCLE_1) | instskip(SKIP_2) | instid1(VALU_DEP_1)
	s_or_b32 exec_lo, exec_lo, s40
	v_add_nc_u32_e32 v73, -1, v96
	s_mov_b32 s40, exec_lo
	v_cmp_gt_i32_e64 s0, 0, v73
	s_delay_alu instid0(VALU_DEP_1) | instskip(NEXT) | instid1(VALU_DEP_1)
	v_cndmask_b32_e64 v73, v73, v96, s0
	v_lshlrev_b32_e32 v73, 2, v73
	ds_bpermute_b32 v69, v73, v69
	ds_bpermute_b32 v70, v73, v70
	v_cmpx_ne_u32_e32 0, v0
	s_cbranch_execz .LBB86_106
; %bb.103:
	v_cmp_eq_u32_e64 s0, 0, v96
	s_waitcnt lgkmcnt(0)
	s_delay_alu instid0(VALU_DEP_1) | instskip(SKIP_1) | instid1(VALU_DEP_1)
	v_cndmask_b32_e64 v70, v70, v72, s0
	v_cndmask_b32_e64 v69, v69, v71, s0
	v_max_f64 v[65:66], v[69:70], v[69:70]
	v_cmp_u_f64_e64 s0, v[69:70], v[69:70]
	s_delay_alu instid0(VALU_DEP_2) | instskip(SKIP_1) | instid1(VALU_DEP_2)
	v_min_f64 v[67:68], v[65:66], v[63:64]
	v_max_f64 v[63:64], v[65:66], v[63:64]
	v_cndmask_b32_e64 v0, v67, v69, s0
	s_delay_alu instid0(VALU_DEP_3) | instskip(NEXT) | instid1(VALU_DEP_3)
	v_cndmask_b32_e64 v65, v68, v70, s0
	v_cndmask_b32_e64 v66, v64, v70, s0
	s_delay_alu instid0(VALU_DEP_4) | instskip(NEXT) | instid1(VALU_DEP_4)
	v_cndmask_b32_e64 v67, v63, v69, s0
	v_cndmask_b32_e64 v63, v0, v1, s33
	s_delay_alu instid0(VALU_DEP_4) | instskip(NEXT) | instid1(VALU_DEP_4)
	v_cndmask_b32_e64 v64, v65, v2, s33
	v_cndmask_b32_e64 v2, v66, v2, s33
	s_delay_alu instid0(VALU_DEP_4) | instskip(NEXT) | instid1(VALU_DEP_3)
	v_cndmask_b32_e64 v1, v67, v1, s33
	v_cmp_class_f64_e64 s1, v[63:64], 0x1f8
	s_delay_alu instid0(VALU_DEP_2) | instskip(NEXT) | instid1(VALU_DEP_1)
	v_cmp_neq_f64_e64 s0, v[63:64], v[1:2]
	s_or_b32 s0, s0, s1
	s_delay_alu instid0(SALU_CYCLE_1)
	s_and_saveexec_b32 s33, s0
	s_cbranch_execz .LBB86_105
; %bb.104:
	v_add_f64 v[63:64], v[63:64], -v[1:2]
	s_mov_b32 s0, 0x652b82fe
	s_mov_b32 s1, 0x3ff71547
	;; [unrolled: 1-line block ×10, first 2 shown]
	s_delay_alu instid0(VALU_DEP_1) | instskip(SKIP_2) | instid1(VALU_DEP_1)
	v_mul_f64 v[65:66], v[63:64], s[0:1]
	s_mov_b32 s0, 0xfca7ab0c
	s_mov_b32 s1, 0x3e928af3
	v_rndne_f64_e32 v[65:66], v[65:66]
	s_delay_alu instid0(VALU_DEP_1) | instskip(SKIP_2) | instid1(VALU_DEP_2)
	v_fma_f64 v[67:68], v[65:66], s[36:37], v[63:64]
	v_cvt_i32_f64_e32 v0, v[65:66]
	s_mov_b32 s37, 0x3fe62e42
	v_fma_f64 v[67:68], v[65:66], s[38:39], v[67:68]
	s_mov_b32 s39, 0x3c7abc9e
	s_delay_alu instid0(VALU_DEP_1) | instskip(SKIP_4) | instid1(VALU_DEP_1)
	v_fma_f64 v[69:70], v[67:68], s[42:43], s[0:1]
	s_mov_b32 s0, 0x623fde64
	s_mov_b32 s1, 0x3ec71dee
	;; [unrolled: 1-line block ×4, first 2 shown]
	v_fma_f64 v[69:70], v[67:68], v[69:70], s[0:1]
	s_mov_b32 s0, 0x7c89e6b0
	s_mov_b32 s1, 0x3efa0199
	s_delay_alu instid0(VALU_DEP_1) | instid1(SALU_CYCLE_1)
	v_fma_f64 v[69:70], v[67:68], v[69:70], s[0:1]
	s_mov_b32 s0, 0x14761f6e
	s_mov_b32 s1, 0x3f2a01a0
	s_delay_alu instid0(VALU_DEP_1) | instid1(SALU_CYCLE_1)
	;; [unrolled: 4-line block ×7, first 2 shown]
	v_fma_f64 v[69:70], v[67:68], v[69:70], s[0:1]
	v_cmp_nlt_f64_e64 s0, 0x40900000, v[63:64]
	v_cmp_ngt_f64_e64 s1, 0xc090cc00, v[63:64]
	s_delay_alu instid0(VALU_DEP_3) | instskip(NEXT) | instid1(VALU_DEP_1)
	v_fma_f64 v[69:70], v[67:68], v[69:70], 1.0
	v_fma_f64 v[65:66], v[67:68], v[69:70], 1.0
	s_delay_alu instid0(VALU_DEP_1) | instskip(NEXT) | instid1(VALU_DEP_1)
	v_ldexp_f64 v[65:66], v[65:66], v0
	v_cndmask_b32_e64 v0, 0x7ff00000, v66, s0
	s_and_b32 s0, s1, s0
	s_delay_alu instid0(VALU_DEP_2) | instid1(SALU_CYCLE_1)
	v_cndmask_b32_e64 v63, 0, v65, s0
	s_mov_b32 s0, 0x55555555
	s_delay_alu instid0(VALU_DEP_2) | instskip(SKIP_1) | instid1(VALU_DEP_1)
	v_cndmask_b32_e64 v64, 0, v0, s1
	s_mov_b32 s1, 0x3fe55555
	v_add_f64 v[65:66], v[63:64], 1.0
	s_delay_alu instid0(VALU_DEP_1) | instskip(SKIP_2) | instid1(VALU_DEP_3)
	v_frexp_mant_f64_e32 v[67:68], v[65:66]
	v_frexp_exp_i32_f64_e32 v0, v[65:66]
	v_add_f64 v[69:70], v[65:66], -1.0
	v_cmp_gt_f64_e64 s0, s[0:1], v[67:68]
	s_delay_alu instid0(VALU_DEP_2) | instskip(SKIP_1) | instid1(VALU_DEP_3)
	v_add_f64 v[67:68], v[69:70], -v[65:66]
	v_add_f64 v[69:70], v[63:64], -v[69:70]
	v_subrev_co_ci_u32_e64 v0, s0, 0, v0, s0
	s_delay_alu instid0(VALU_DEP_3) | instskip(SKIP_1) | instid1(VALU_DEP_2)
	v_add_f64 v[67:68], v[67:68], 1.0
	s_mov_b32 s0, 0x55555780
	v_sub_nc_u32_e32 v73, 0, v0
	s_delay_alu instid0(VALU_DEP_1) | instskip(NEXT) | instid1(VALU_DEP_3)
	v_ldexp_f64 v[65:66], v[65:66], v73
	v_add_f64 v[67:68], v[69:70], v[67:68]
	s_delay_alu instid0(VALU_DEP_2) | instskip(SKIP_1) | instid1(VALU_DEP_3)
	v_add_f64 v[71:72], v[65:66], 1.0
	v_add_f64 v[95:96], v[65:66], -1.0
	v_ldexp_f64 v[67:68], v[67:68], v73
	s_delay_alu instid0(VALU_DEP_3) | instskip(NEXT) | instid1(VALU_DEP_3)
	v_add_f64 v[69:70], v[71:72], -1.0
	v_add_f64 v[97:98], v[95:96], 1.0
	s_delay_alu instid0(VALU_DEP_2) | instskip(NEXT) | instid1(VALU_DEP_2)
	v_add_f64 v[69:70], v[65:66], -v[69:70]
	v_add_f64 v[65:66], v[65:66], -v[97:98]
	s_delay_alu instid0(VALU_DEP_2) | instskip(NEXT) | instid1(VALU_DEP_2)
	v_add_f64 v[69:70], v[67:68], v[69:70]
	v_add_f64 v[65:66], v[67:68], v[65:66]
	s_delay_alu instid0(VALU_DEP_2) | instskip(NEXT) | instid1(VALU_DEP_2)
	v_add_f64 v[73:74], v[71:72], v[69:70]
	v_add_f64 v[97:98], v[95:96], v[65:66]
	s_delay_alu instid0(VALU_DEP_2) | instskip(SKIP_1) | instid1(VALU_DEP_2)
	v_rcp_f64_e32 v[75:76], v[73:74]
	v_add_f64 v[71:72], v[73:74], -v[71:72]
	v_add_f64 v[95:96], v[97:98], -v[95:96]
	s_delay_alu instid0(VALU_DEP_2) | instskip(SKIP_3) | instid1(VALU_DEP_2)
	v_add_f64 v[69:70], v[69:70], -v[71:72]
	s_waitcnt_depctr 0xfff
	v_fma_f64 v[99:100], -v[73:74], v[75:76], 1.0
	v_add_f64 v[65:66], v[65:66], -v[95:96]
	v_fma_f64 v[75:76], v[99:100], v[75:76], v[75:76]
	s_delay_alu instid0(VALU_DEP_1) | instskip(NEXT) | instid1(VALU_DEP_1)
	v_fma_f64 v[67:68], -v[73:74], v[75:76], 1.0
	v_fma_f64 v[67:68], v[67:68], v[75:76], v[75:76]
	s_delay_alu instid0(VALU_DEP_1) | instskip(NEXT) | instid1(VALU_DEP_1)
	v_mul_f64 v[75:76], v[97:98], v[67:68]
	v_mul_f64 v[99:100], v[73:74], v[75:76]
	s_delay_alu instid0(VALU_DEP_1) | instskip(NEXT) | instid1(VALU_DEP_1)
	v_fma_f64 v[71:72], v[75:76], v[73:74], -v[99:100]
	v_fma_f64 v[71:72], v[75:76], v[69:70], v[71:72]
	s_delay_alu instid0(VALU_DEP_1) | instskip(NEXT) | instid1(VALU_DEP_1)
	v_add_f64 v[101:102], v[99:100], v[71:72]
	v_add_f64 v[103:104], v[97:98], -v[101:102]
	v_add_f64 v[95:96], v[101:102], -v[99:100]
	s_delay_alu instid0(VALU_DEP_2) | instskip(NEXT) | instid1(VALU_DEP_2)
	v_add_f64 v[97:98], v[97:98], -v[103:104]
	v_add_f64 v[71:72], v[95:96], -v[71:72]
	s_delay_alu instid0(VALU_DEP_2) | instskip(NEXT) | instid1(VALU_DEP_1)
	v_add_f64 v[97:98], v[97:98], -v[101:102]
	v_add_f64 v[65:66], v[65:66], v[97:98]
	s_delay_alu instid0(VALU_DEP_1) | instskip(NEXT) | instid1(VALU_DEP_1)
	v_add_f64 v[65:66], v[71:72], v[65:66]
	v_add_f64 v[71:72], v[103:104], v[65:66]
	s_delay_alu instid0(VALU_DEP_1) | instskip(SKIP_1) | instid1(VALU_DEP_2)
	v_mul_f64 v[95:96], v[67:68], v[71:72]
	v_add_f64 v[101:102], v[103:104], -v[71:72]
	v_mul_f64 v[97:98], v[73:74], v[95:96]
	s_delay_alu instid0(VALU_DEP_2) | instskip(NEXT) | instid1(VALU_DEP_2)
	v_add_f64 v[65:66], v[65:66], v[101:102]
	v_fma_f64 v[73:74], v[95:96], v[73:74], -v[97:98]
	s_delay_alu instid0(VALU_DEP_1) | instskip(NEXT) | instid1(VALU_DEP_1)
	v_fma_f64 v[69:70], v[95:96], v[69:70], v[73:74]
	v_add_f64 v[73:74], v[97:98], v[69:70]
	s_delay_alu instid0(VALU_DEP_1) | instskip(SKIP_1) | instid1(VALU_DEP_2)
	v_add_f64 v[99:100], v[71:72], -v[73:74]
	v_add_f64 v[97:98], v[73:74], -v[97:98]
	;; [unrolled: 1-line block ×3, first 2 shown]
	s_delay_alu instid0(VALU_DEP_2) | instskip(NEXT) | instid1(VALU_DEP_2)
	v_add_f64 v[69:70], v[97:98], -v[69:70]
	v_add_f64 v[71:72], v[71:72], -v[73:74]
	s_delay_alu instid0(VALU_DEP_1) | instskip(SKIP_1) | instid1(VALU_DEP_2)
	v_add_f64 v[65:66], v[65:66], v[71:72]
	v_add_f64 v[71:72], v[75:76], v[95:96]
	;; [unrolled: 1-line block ×3, first 2 shown]
	s_delay_alu instid0(VALU_DEP_2) | instskip(NEXT) | instid1(VALU_DEP_2)
	v_add_f64 v[69:70], v[71:72], -v[75:76]
	v_add_f64 v[65:66], v[99:100], v[65:66]
	s_delay_alu instid0(VALU_DEP_2) | instskip(NEXT) | instid1(VALU_DEP_2)
	v_add_f64 v[69:70], v[95:96], -v[69:70]
	v_mul_f64 v[65:66], v[67:68], v[65:66]
	s_delay_alu instid0(VALU_DEP_1) | instskip(NEXT) | instid1(VALU_DEP_1)
	v_add_f64 v[65:66], v[69:70], v[65:66]
	v_add_f64 v[67:68], v[71:72], v[65:66]
	s_delay_alu instid0(VALU_DEP_1) | instskip(NEXT) | instid1(VALU_DEP_1)
	v_mul_f64 v[69:70], v[67:68], v[67:68]
	v_fma_f64 v[73:74], v[69:70], s[44:45], s[42:43]
	s_mov_b32 s42, 0xd7f4df2e
	s_mov_b32 s43, 0x3fc7474d
	v_mul_f64 v[75:76], v[67:68], v[69:70]
	s_delay_alu instid0(VALU_DEP_2)
	v_fma_f64 v[73:74], v[69:70], v[73:74], s[42:43]
	s_mov_b32 s42, 0x16291751
	s_mov_b32 s43, 0x3fcc71c0
	s_delay_alu instid0(VALU_DEP_1) | instid1(SALU_CYCLE_1)
	v_fma_f64 v[73:74], v[69:70], v[73:74], s[42:43]
	s_mov_b32 s42, 0x9b27acf1
	s_mov_b32 s43, 0x3fd24924
	s_delay_alu instid0(VALU_DEP_1) | instid1(SALU_CYCLE_1)
	;; [unrolled: 4-line block ×3, first 2 shown]
	v_fma_f64 v[73:74], v[69:70], v[73:74], s[42:43]
	s_delay_alu instid0(VALU_DEP_1) | instskip(SKIP_3) | instid1(VALU_DEP_4)
	v_fma_f64 v[69:70], v[69:70], v[73:74], s[0:1]
	v_ldexp_f64 v[73:74], v[67:68], 1
	v_add_f64 v[67:68], v[67:68], -v[71:72]
	v_cmp_eq_f64_e64 s0, 0x7ff00000, v[63:64]
	v_mul_f64 v[69:70], v[75:76], v[69:70]
	v_cvt_f64_i32_e32 v[75:76], v0
	s_delay_alu instid0(VALU_DEP_4) | instskip(NEXT) | instid1(VALU_DEP_3)
	v_add_f64 v[65:66], v[65:66], -v[67:68]
	v_add_f64 v[71:72], v[73:74], v[69:70]
	s_delay_alu instid0(VALU_DEP_3) | instskip(NEXT) | instid1(VALU_DEP_3)
	v_mul_f64 v[95:96], v[75:76], s[36:37]
	v_ldexp_f64 v[65:66], v[65:66], 1
	s_delay_alu instid0(VALU_DEP_3) | instskip(NEXT) | instid1(VALU_DEP_3)
	v_add_f64 v[67:68], v[71:72], -v[73:74]
	v_fma_f64 v[73:74], v[75:76], s[36:37], -v[95:96]
	s_delay_alu instid0(VALU_DEP_2) | instskip(NEXT) | instid1(VALU_DEP_2)
	v_add_f64 v[67:68], v[69:70], -v[67:68]
	v_fma_f64 v[69:70], v[75:76], s[38:39], v[73:74]
	s_delay_alu instid0(VALU_DEP_2) | instskip(NEXT) | instid1(VALU_DEP_2)
	v_add_f64 v[65:66], v[65:66], v[67:68]
	v_add_f64 v[67:68], v[95:96], v[69:70]
	s_delay_alu instid0(VALU_DEP_2) | instskip(NEXT) | instid1(VALU_DEP_2)
	v_add_f64 v[73:74], v[71:72], v[65:66]
	v_add_f64 v[95:96], v[67:68], -v[95:96]
	s_delay_alu instid0(VALU_DEP_2) | instskip(SKIP_1) | instid1(VALU_DEP_3)
	v_add_f64 v[75:76], v[67:68], v[73:74]
	v_add_f64 v[71:72], v[73:74], -v[71:72]
	v_add_f64 v[69:70], v[69:70], -v[95:96]
	s_delay_alu instid0(VALU_DEP_3) | instskip(NEXT) | instid1(VALU_DEP_3)
	v_add_f64 v[97:98], v[75:76], -v[67:68]
	v_add_f64 v[65:66], v[65:66], -v[71:72]
	s_delay_alu instid0(VALU_DEP_2) | instskip(SKIP_1) | instid1(VALU_DEP_3)
	v_add_f64 v[99:100], v[75:76], -v[97:98]
	v_add_f64 v[71:72], v[73:74], -v[97:98]
	v_add_f64 v[73:74], v[69:70], v[65:66]
	s_delay_alu instid0(VALU_DEP_3) | instskip(NEXT) | instid1(VALU_DEP_1)
	v_add_f64 v[67:68], v[67:68], -v[99:100]
	v_add_f64 v[67:68], v[71:72], v[67:68]
	s_delay_alu instid0(VALU_DEP_3) | instskip(NEXT) | instid1(VALU_DEP_2)
	v_add_f64 v[71:72], v[73:74], -v[69:70]
	v_add_f64 v[67:68], v[73:74], v[67:68]
	s_delay_alu instid0(VALU_DEP_2) | instskip(SKIP_1) | instid1(VALU_DEP_3)
	v_add_f64 v[73:74], v[73:74], -v[71:72]
	v_add_f64 v[65:66], v[65:66], -v[71:72]
	v_add_f64 v[95:96], v[75:76], v[67:68]
	s_delay_alu instid0(VALU_DEP_3) | instskip(NEXT) | instid1(VALU_DEP_2)
	v_add_f64 v[69:70], v[69:70], -v[73:74]
	v_add_f64 v[71:72], v[95:96], -v[75:76]
	s_delay_alu instid0(VALU_DEP_2) | instskip(NEXT) | instid1(VALU_DEP_2)
	v_add_f64 v[65:66], v[65:66], v[69:70]
	v_add_f64 v[67:68], v[67:68], -v[71:72]
	s_delay_alu instid0(VALU_DEP_1) | instskip(NEXT) | instid1(VALU_DEP_1)
	v_add_f64 v[65:66], v[65:66], v[67:68]
	v_add_f64 v[65:66], v[95:96], v[65:66]
	s_delay_alu instid0(VALU_DEP_1) | instskip(NEXT) | instid1(VALU_DEP_2)
	v_cndmask_b32_e64 v0, v65, v63, s0
	v_cndmask_b32_e64 v65, v66, v64, s0
	v_cmp_ngt_f64_e64 s0, -1.0, v[63:64]
	s_delay_alu instid0(VALU_DEP_1) | instskip(SKIP_1) | instid1(VALU_DEP_1)
	v_cndmask_b32_e64 v66, 0x7ff80000, v65, s0
	v_cmp_nge_f64_e64 s0, -1.0, v[63:64]
	v_cndmask_b32_e64 v65, 0, v0, s0
	v_cmp_neq_f64_e64 s0, -1.0, v[63:64]
	s_delay_alu instid0(VALU_DEP_1) | instskip(NEXT) | instid1(VALU_DEP_1)
	v_cndmask_b32_e64 v66, 0xfff00000, v66, s0
	v_add_f64 v[69:70], v[1:2], v[65:66]
.LBB86_105:
	s_or_b32 exec_lo, exec_lo, s33
	s_delay_alu instid0(VALU_DEP_1) | instskip(SKIP_1) | instid1(VALU_DEP_1)
	v_max_f64 v[0:1], v[69:70], v[69:70]
	;;#ASMSTART
	;;#ASMEND
	v_min_f64 v[65:66], v[0:1], v[35:36]
	v_max_f64 v[67:68], v[0:1], v[35:36]
	v_dual_mov_b32 v1, v69 :: v_dual_mov_b32 v2, v70
.LBB86_106:
	s_or_b32 exec_lo, exec_lo, s40
	s_delay_alu instid0(VALU_DEP_1) | instskip(NEXT) | instid1(VALU_DEP_1)
	v_cmp_u_f64_e64 s0, v[1:2], v[1:2]
	v_cndmask_b32_e64 v0, v65, v1, s0
	v_cndmask_b32_e64 v35, v66, v2, s0
	;; [unrolled: 1-line block ×4, first 2 shown]
	s_delay_alu instid0(VALU_DEP_4) | instskip(NEXT) | instid1(VALU_DEP_4)
	v_cndmask_b32_e64 v63, v0, v3, s17
	v_cndmask_b32_e64 v64, v35, v4, s17
	s_delay_alu instid0(VALU_DEP_4) | instskip(NEXT) | instid1(VALU_DEP_4)
	v_cndmask_b32_e64 v36, v36, v4, s17
	v_cndmask_b32_e64 v35, v65, v3, s17
	v_dual_mov_b32 v4, v2 :: v_dual_mov_b32 v3, v1
	s_delay_alu instid0(VALU_DEP_4) | instskip(NEXT) | instid1(VALU_DEP_3)
	v_cmp_class_f64_e64 s1, v[63:64], 0x1f8
	v_cmp_neq_f64_e64 s0, v[63:64], v[35:36]
	s_delay_alu instid0(VALU_DEP_1) | instskip(NEXT) | instid1(SALU_CYCLE_1)
	s_or_b32 s0, s0, s1
	s_and_saveexec_b32 s17, s0
	s_cbranch_execz .LBB86_108
; %bb.107:
	v_add_f64 v[3:4], v[63:64], -v[35:36]
	s_mov_b32 s0, 0x652b82fe
	s_mov_b32 s1, 0x3ff71547
	;; [unrolled: 1-line block ×10, first 2 shown]
	s_delay_alu instid0(VALU_DEP_1) | instskip(SKIP_2) | instid1(VALU_DEP_1)
	v_mul_f64 v[63:64], v[3:4], s[0:1]
	s_mov_b32 s0, 0xfca7ab0c
	s_mov_b32 s1, 0x3e928af3
	v_rndne_f64_e32 v[63:64], v[63:64]
	s_delay_alu instid0(VALU_DEP_1) | instskip(SKIP_2) | instid1(VALU_DEP_2)
	v_fma_f64 v[65:66], v[63:64], s[36:37], v[3:4]
	v_cvt_i32_f64_e32 v0, v[63:64]
	s_mov_b32 s37, 0x3fe62e42
	v_fma_f64 v[65:66], v[63:64], s[38:39], v[65:66]
	s_mov_b32 s39, 0x3c7abc9e
	s_delay_alu instid0(VALU_DEP_1) | instskip(SKIP_4) | instid1(VALU_DEP_1)
	v_fma_f64 v[67:68], v[65:66], s[40:41], s[0:1]
	s_mov_b32 s0, 0x623fde64
	s_mov_b32 s1, 0x3ec71dee
	s_mov_b32 s40, 0x6b47b09a
	s_mov_b32 s41, 0x3fc38538
	v_fma_f64 v[67:68], v[65:66], v[67:68], s[0:1]
	s_mov_b32 s0, 0x7c89e6b0
	s_mov_b32 s1, 0x3efa0199
	s_delay_alu instid0(VALU_DEP_1) | instid1(SALU_CYCLE_1)
	v_fma_f64 v[67:68], v[65:66], v[67:68], s[0:1]
	s_mov_b32 s0, 0x14761f6e
	s_mov_b32 s1, 0x3f2a01a0
	s_delay_alu instid0(VALU_DEP_1) | instid1(SALU_CYCLE_1)
	;; [unrolled: 4-line block ×7, first 2 shown]
	v_fma_f64 v[67:68], v[65:66], v[67:68], s[0:1]
	v_cmp_nlt_f64_e64 s0, 0x40900000, v[3:4]
	v_cmp_ngt_f64_e64 s1, 0xc090cc00, v[3:4]
	s_delay_alu instid0(VALU_DEP_3) | instskip(NEXT) | instid1(VALU_DEP_1)
	v_fma_f64 v[67:68], v[65:66], v[67:68], 1.0
	v_fma_f64 v[63:64], v[65:66], v[67:68], 1.0
	s_delay_alu instid0(VALU_DEP_1) | instskip(NEXT) | instid1(VALU_DEP_1)
	v_ldexp_f64 v[63:64], v[63:64], v0
	v_cndmask_b32_e64 v0, 0x7ff00000, v64, s0
	s_and_b32 s0, s1, s0
	s_delay_alu instid0(VALU_DEP_2) | instid1(SALU_CYCLE_1)
	v_cndmask_b32_e64 v3, 0, v63, s0
	s_mov_b32 s0, 0x55555555
	s_delay_alu instid0(VALU_DEP_2) | instskip(SKIP_1) | instid1(VALU_DEP_1)
	v_cndmask_b32_e64 v4, 0, v0, s1
	s_mov_b32 s1, 0x3fe55555
	v_add_f64 v[63:64], v[3:4], 1.0
	s_delay_alu instid0(VALU_DEP_1) | instskip(SKIP_2) | instid1(VALU_DEP_3)
	v_frexp_mant_f64_e32 v[65:66], v[63:64]
	v_frexp_exp_i32_f64_e32 v0, v[63:64]
	v_add_f64 v[67:68], v[63:64], -1.0
	v_cmp_gt_f64_e64 s0, s[0:1], v[65:66]
	s_delay_alu instid0(VALU_DEP_2) | instskip(SKIP_1) | instid1(VALU_DEP_3)
	v_add_f64 v[65:66], v[67:68], -v[63:64]
	v_add_f64 v[67:68], v[3:4], -v[67:68]
	v_subrev_co_ci_u32_e64 v0, s0, 0, v0, s0
	s_delay_alu instid0(VALU_DEP_3) | instskip(SKIP_1) | instid1(VALU_DEP_2)
	v_add_f64 v[65:66], v[65:66], 1.0
	s_mov_b32 s0, 0x55555780
	v_sub_nc_u32_e32 v71, 0, v0
	s_delay_alu instid0(VALU_DEP_1) | instskip(NEXT) | instid1(VALU_DEP_3)
	v_ldexp_f64 v[63:64], v[63:64], v71
	v_add_f64 v[65:66], v[67:68], v[65:66]
	s_waitcnt lgkmcnt(0)
	s_delay_alu instid0(VALU_DEP_2) | instskip(SKIP_1) | instid1(VALU_DEP_3)
	v_add_f64 v[69:70], v[63:64], 1.0
	v_add_f64 v[75:76], v[63:64], -1.0
	v_ldexp_f64 v[65:66], v[65:66], v71
	s_delay_alu instid0(VALU_DEP_3) | instskip(NEXT) | instid1(VALU_DEP_3)
	v_add_f64 v[67:68], v[69:70], -1.0
	v_add_f64 v[95:96], v[75:76], 1.0
	s_delay_alu instid0(VALU_DEP_2) | instskip(NEXT) | instid1(VALU_DEP_2)
	v_add_f64 v[67:68], v[63:64], -v[67:68]
	v_add_f64 v[63:64], v[63:64], -v[95:96]
	s_delay_alu instid0(VALU_DEP_2) | instskip(NEXT) | instid1(VALU_DEP_2)
	v_add_f64 v[67:68], v[65:66], v[67:68]
	v_add_f64 v[63:64], v[65:66], v[63:64]
	s_delay_alu instid0(VALU_DEP_2) | instskip(NEXT) | instid1(VALU_DEP_2)
	v_add_f64 v[71:72], v[69:70], v[67:68]
	v_add_f64 v[95:96], v[75:76], v[63:64]
	s_delay_alu instid0(VALU_DEP_2) | instskip(SKIP_1) | instid1(VALU_DEP_2)
	v_rcp_f64_e32 v[73:74], v[71:72]
	v_add_f64 v[69:70], v[71:72], -v[69:70]
	v_add_f64 v[75:76], v[95:96], -v[75:76]
	s_delay_alu instid0(VALU_DEP_2) | instskip(SKIP_3) | instid1(VALU_DEP_2)
	v_add_f64 v[67:68], v[67:68], -v[69:70]
	s_waitcnt_depctr 0xfff
	v_fma_f64 v[97:98], -v[71:72], v[73:74], 1.0
	v_add_f64 v[63:64], v[63:64], -v[75:76]
	v_fma_f64 v[73:74], v[97:98], v[73:74], v[73:74]
	s_delay_alu instid0(VALU_DEP_1) | instskip(NEXT) | instid1(VALU_DEP_1)
	v_fma_f64 v[65:66], -v[71:72], v[73:74], 1.0
	v_fma_f64 v[65:66], v[65:66], v[73:74], v[73:74]
	s_delay_alu instid0(VALU_DEP_1) | instskip(NEXT) | instid1(VALU_DEP_1)
	v_mul_f64 v[73:74], v[95:96], v[65:66]
	v_mul_f64 v[97:98], v[71:72], v[73:74]
	s_delay_alu instid0(VALU_DEP_1) | instskip(NEXT) | instid1(VALU_DEP_1)
	v_fma_f64 v[69:70], v[73:74], v[71:72], -v[97:98]
	v_fma_f64 v[69:70], v[73:74], v[67:68], v[69:70]
	s_delay_alu instid0(VALU_DEP_1) | instskip(NEXT) | instid1(VALU_DEP_1)
	v_add_f64 v[99:100], v[97:98], v[69:70]
	v_add_f64 v[101:102], v[95:96], -v[99:100]
	v_add_f64 v[75:76], v[99:100], -v[97:98]
	s_delay_alu instid0(VALU_DEP_2) | instskip(NEXT) | instid1(VALU_DEP_2)
	v_add_f64 v[95:96], v[95:96], -v[101:102]
	v_add_f64 v[69:70], v[75:76], -v[69:70]
	s_delay_alu instid0(VALU_DEP_2) | instskip(NEXT) | instid1(VALU_DEP_1)
	v_add_f64 v[95:96], v[95:96], -v[99:100]
	v_add_f64 v[63:64], v[63:64], v[95:96]
	s_delay_alu instid0(VALU_DEP_1) | instskip(NEXT) | instid1(VALU_DEP_1)
	v_add_f64 v[63:64], v[69:70], v[63:64]
	v_add_f64 v[69:70], v[101:102], v[63:64]
	s_delay_alu instid0(VALU_DEP_1) | instskip(SKIP_1) | instid1(VALU_DEP_2)
	v_mul_f64 v[75:76], v[65:66], v[69:70]
	v_add_f64 v[99:100], v[101:102], -v[69:70]
	v_mul_f64 v[95:96], v[71:72], v[75:76]
	s_delay_alu instid0(VALU_DEP_2) | instskip(NEXT) | instid1(VALU_DEP_2)
	v_add_f64 v[63:64], v[63:64], v[99:100]
	v_fma_f64 v[71:72], v[75:76], v[71:72], -v[95:96]
	s_delay_alu instid0(VALU_DEP_1) | instskip(NEXT) | instid1(VALU_DEP_1)
	v_fma_f64 v[67:68], v[75:76], v[67:68], v[71:72]
	v_add_f64 v[71:72], v[95:96], v[67:68]
	s_delay_alu instid0(VALU_DEP_1) | instskip(SKIP_1) | instid1(VALU_DEP_2)
	v_add_f64 v[97:98], v[69:70], -v[71:72]
	v_add_f64 v[95:96], v[71:72], -v[95:96]
	;; [unrolled: 1-line block ×3, first 2 shown]
	s_delay_alu instid0(VALU_DEP_2) | instskip(NEXT) | instid1(VALU_DEP_2)
	v_add_f64 v[67:68], v[95:96], -v[67:68]
	v_add_f64 v[69:70], v[69:70], -v[71:72]
	s_delay_alu instid0(VALU_DEP_1) | instskip(SKIP_1) | instid1(VALU_DEP_2)
	v_add_f64 v[63:64], v[63:64], v[69:70]
	v_add_f64 v[69:70], v[73:74], v[75:76]
	;; [unrolled: 1-line block ×3, first 2 shown]
	s_delay_alu instid0(VALU_DEP_2) | instskip(NEXT) | instid1(VALU_DEP_2)
	v_add_f64 v[67:68], v[69:70], -v[73:74]
	v_add_f64 v[63:64], v[97:98], v[63:64]
	s_delay_alu instid0(VALU_DEP_2) | instskip(NEXT) | instid1(VALU_DEP_2)
	v_add_f64 v[67:68], v[75:76], -v[67:68]
	v_mul_f64 v[63:64], v[65:66], v[63:64]
	s_delay_alu instid0(VALU_DEP_1) | instskip(NEXT) | instid1(VALU_DEP_1)
	v_add_f64 v[63:64], v[67:68], v[63:64]
	v_add_f64 v[65:66], v[69:70], v[63:64]
	s_delay_alu instid0(VALU_DEP_1) | instskip(NEXT) | instid1(VALU_DEP_1)
	v_mul_f64 v[67:68], v[65:66], v[65:66]
	v_fma_f64 v[71:72], v[67:68], s[42:43], s[40:41]
	s_mov_b32 s40, 0xd7f4df2e
	s_mov_b32 s41, 0x3fc7474d
	v_mul_f64 v[73:74], v[65:66], v[67:68]
	s_delay_alu instid0(VALU_DEP_2)
	v_fma_f64 v[71:72], v[67:68], v[71:72], s[40:41]
	s_mov_b32 s40, 0x16291751
	s_mov_b32 s41, 0x3fcc71c0
	s_delay_alu instid0(VALU_DEP_1) | instid1(SALU_CYCLE_1)
	v_fma_f64 v[71:72], v[67:68], v[71:72], s[40:41]
	s_mov_b32 s40, 0x9b27acf1
	s_mov_b32 s41, 0x3fd24924
	s_delay_alu instid0(VALU_DEP_1) | instid1(SALU_CYCLE_1)
	;; [unrolled: 4-line block ×3, first 2 shown]
	v_fma_f64 v[71:72], v[67:68], v[71:72], s[40:41]
	s_delay_alu instid0(VALU_DEP_1) | instskip(SKIP_3) | instid1(VALU_DEP_4)
	v_fma_f64 v[67:68], v[67:68], v[71:72], s[0:1]
	v_ldexp_f64 v[71:72], v[65:66], 1
	v_add_f64 v[65:66], v[65:66], -v[69:70]
	v_cmp_eq_f64_e64 s0, 0x7ff00000, v[3:4]
	v_mul_f64 v[67:68], v[73:74], v[67:68]
	v_cvt_f64_i32_e32 v[73:74], v0
	s_delay_alu instid0(VALU_DEP_4) | instskip(NEXT) | instid1(VALU_DEP_3)
	v_add_f64 v[63:64], v[63:64], -v[65:66]
	v_add_f64 v[69:70], v[71:72], v[67:68]
	s_delay_alu instid0(VALU_DEP_3) | instskip(NEXT) | instid1(VALU_DEP_3)
	v_mul_f64 v[75:76], v[73:74], s[36:37]
	v_ldexp_f64 v[63:64], v[63:64], 1
	s_delay_alu instid0(VALU_DEP_3) | instskip(NEXT) | instid1(VALU_DEP_3)
	v_add_f64 v[65:66], v[69:70], -v[71:72]
	v_fma_f64 v[71:72], v[73:74], s[36:37], -v[75:76]
	s_delay_alu instid0(VALU_DEP_2) | instskip(NEXT) | instid1(VALU_DEP_2)
	v_add_f64 v[65:66], v[67:68], -v[65:66]
	v_fma_f64 v[67:68], v[73:74], s[38:39], v[71:72]
	s_delay_alu instid0(VALU_DEP_2) | instskip(NEXT) | instid1(VALU_DEP_2)
	v_add_f64 v[63:64], v[63:64], v[65:66]
	v_add_f64 v[65:66], v[75:76], v[67:68]
	s_delay_alu instid0(VALU_DEP_2) | instskip(NEXT) | instid1(VALU_DEP_2)
	v_add_f64 v[71:72], v[69:70], v[63:64]
	v_add_f64 v[75:76], v[65:66], -v[75:76]
	s_delay_alu instid0(VALU_DEP_2) | instskip(SKIP_1) | instid1(VALU_DEP_3)
	v_add_f64 v[73:74], v[65:66], v[71:72]
	v_add_f64 v[69:70], v[71:72], -v[69:70]
	v_add_f64 v[67:68], v[67:68], -v[75:76]
	s_delay_alu instid0(VALU_DEP_3) | instskip(NEXT) | instid1(VALU_DEP_3)
	v_add_f64 v[95:96], v[73:74], -v[65:66]
	v_add_f64 v[63:64], v[63:64], -v[69:70]
	s_delay_alu instid0(VALU_DEP_2) | instskip(SKIP_1) | instid1(VALU_DEP_3)
	v_add_f64 v[97:98], v[73:74], -v[95:96]
	v_add_f64 v[69:70], v[71:72], -v[95:96]
	v_add_f64 v[71:72], v[67:68], v[63:64]
	s_delay_alu instid0(VALU_DEP_3) | instskip(NEXT) | instid1(VALU_DEP_1)
	v_add_f64 v[65:66], v[65:66], -v[97:98]
	v_add_f64 v[65:66], v[69:70], v[65:66]
	s_delay_alu instid0(VALU_DEP_3) | instskip(NEXT) | instid1(VALU_DEP_2)
	v_add_f64 v[69:70], v[71:72], -v[67:68]
	v_add_f64 v[65:66], v[71:72], v[65:66]
	s_delay_alu instid0(VALU_DEP_2) | instskip(SKIP_1) | instid1(VALU_DEP_3)
	v_add_f64 v[71:72], v[71:72], -v[69:70]
	v_add_f64 v[63:64], v[63:64], -v[69:70]
	v_add_f64 v[75:76], v[73:74], v[65:66]
	s_delay_alu instid0(VALU_DEP_3) | instskip(NEXT) | instid1(VALU_DEP_2)
	v_add_f64 v[67:68], v[67:68], -v[71:72]
	v_add_f64 v[69:70], v[75:76], -v[73:74]
	s_delay_alu instid0(VALU_DEP_2) | instskip(NEXT) | instid1(VALU_DEP_2)
	v_add_f64 v[63:64], v[63:64], v[67:68]
	v_add_f64 v[65:66], v[65:66], -v[69:70]
	s_delay_alu instid0(VALU_DEP_1) | instskip(NEXT) | instid1(VALU_DEP_1)
	v_add_f64 v[63:64], v[63:64], v[65:66]
	v_add_f64 v[63:64], v[75:76], v[63:64]
	s_delay_alu instid0(VALU_DEP_1) | instskip(NEXT) | instid1(VALU_DEP_2)
	v_cndmask_b32_e64 v0, v63, v3, s0
	v_cndmask_b32_e64 v63, v64, v4, s0
	v_cmp_ngt_f64_e64 s0, -1.0, v[3:4]
	s_delay_alu instid0(VALU_DEP_1) | instskip(SKIP_1) | instid1(VALU_DEP_1)
	v_cndmask_b32_e64 v64, 0x7ff80000, v63, s0
	v_cmp_nge_f64_e64 s0, -1.0, v[3:4]
	v_cndmask_b32_e64 v63, 0, v0, s0
	v_cmp_neq_f64_e64 s0, -1.0, v[3:4]
	s_delay_alu instid0(VALU_DEP_1) | instskip(NEXT) | instid1(VALU_DEP_1)
	v_cndmask_b32_e64 v64, 0xfff00000, v64, s0
	v_add_f64 v[3:4], v[35:36], v[63:64]
.LBB86_108:
	s_or_b32 exec_lo, exec_lo, s17
	s_delay_alu instid0(VALU_DEP_1) | instskip(SKIP_1) | instid1(VALU_DEP_2)
	v_max_f64 v[35:36], v[3:4], v[3:4]
	v_cmp_u_f64_e64 s0, v[3:4], v[3:4]
	v_min_f64 v[63:64], v[35:36], v[33:34]
	v_max_f64 v[33:34], v[35:36], v[33:34]
	s_delay_alu instid0(VALU_DEP_2) | instskip(NEXT) | instid1(VALU_DEP_3)
	v_cndmask_b32_e64 v0, v63, v3, s0
	v_cndmask_b32_e64 v35, v64, v4, s0
	s_delay_alu instid0(VALU_DEP_3) | instskip(NEXT) | instid1(VALU_DEP_4)
	v_cndmask_b32_e64 v34, v34, v4, s0
	v_cndmask_b32_e64 v33, v33, v3, s0
	s_delay_alu instid0(VALU_DEP_3) | instskip(SKIP_1) | instid1(VALU_DEP_4)
	v_cndmask_b32_e64 v36, v35, v30, s18
	v_cndmask_b32_e64 v35, v0, v29, s18
	;; [unrolled: 1-line block ×3, first 2 shown]
	s_delay_alu instid0(VALU_DEP_4) | instskip(SKIP_1) | instid1(VALU_DEP_4)
	v_cndmask_b32_e64 v33, v33, v29, s18
	v_dual_mov_b32 v30, v4 :: v_dual_mov_b32 v29, v3
	v_cmp_class_f64_e64 s1, v[35:36], 0x1f8
	s_delay_alu instid0(VALU_DEP_3) | instskip(NEXT) | instid1(VALU_DEP_1)
	v_cmp_neq_f64_e64 s0, v[35:36], v[33:34]
	s_or_b32 s0, s0, s1
	s_delay_alu instid0(SALU_CYCLE_1)
	s_and_saveexec_b32 s17, s0
	s_cbranch_execz .LBB86_110
; %bb.109:
	v_add_f64 v[29:30], v[35:36], -v[33:34]
	s_mov_b32 s0, 0x652b82fe
	s_mov_b32 s1, 0x3ff71547
	;; [unrolled: 1-line block ×10, first 2 shown]
	s_delay_alu instid0(VALU_DEP_1) | instskip(SKIP_2) | instid1(VALU_DEP_1)
	v_mul_f64 v[35:36], v[29:30], s[0:1]
	s_mov_b32 s0, 0xfca7ab0c
	s_mov_b32 s1, 0x3e928af3
	v_rndne_f64_e32 v[35:36], v[35:36]
	s_delay_alu instid0(VALU_DEP_1) | instskip(SKIP_2) | instid1(VALU_DEP_2)
	v_fma_f64 v[63:64], v[35:36], s[36:37], v[29:30]
	v_cvt_i32_f64_e32 v0, v[35:36]
	s_mov_b32 s37, 0x3fe62e42
	v_fma_f64 v[63:64], v[35:36], s[38:39], v[63:64]
	s_mov_b32 s39, 0x3c7abc9e
	s_delay_alu instid0(VALU_DEP_1) | instskip(SKIP_4) | instid1(VALU_DEP_1)
	v_fma_f64 v[65:66], v[63:64], s[40:41], s[0:1]
	s_mov_b32 s0, 0x623fde64
	s_mov_b32 s1, 0x3ec71dee
	;; [unrolled: 1-line block ×4, first 2 shown]
	v_fma_f64 v[65:66], v[63:64], v[65:66], s[0:1]
	s_mov_b32 s0, 0x7c89e6b0
	s_mov_b32 s1, 0x3efa0199
	s_delay_alu instid0(VALU_DEP_1) | instid1(SALU_CYCLE_1)
	v_fma_f64 v[65:66], v[63:64], v[65:66], s[0:1]
	s_mov_b32 s0, 0x14761f6e
	s_mov_b32 s1, 0x3f2a01a0
	s_delay_alu instid0(VALU_DEP_1) | instid1(SALU_CYCLE_1)
	v_fma_f64 v[65:66], v[63:64], v[65:66], s[0:1]
	s_mov_b32 s0, 0x1852b7b0
	s_mov_b32 s1, 0x3f56c16c
	s_delay_alu instid0(VALU_DEP_1) | instid1(SALU_CYCLE_1)
	v_fma_f64 v[65:66], v[63:64], v[65:66], s[0:1]
	s_mov_b32 s0, 0x11122322
	s_mov_b32 s1, 0x3f811111
	s_delay_alu instid0(VALU_DEP_1) | instid1(SALU_CYCLE_1)
	v_fma_f64 v[65:66], v[63:64], v[65:66], s[0:1]
	s_mov_b32 s0, 0x555502a1
	s_mov_b32 s1, 0x3fa55555
	s_delay_alu instid0(VALU_DEP_1) | instid1(SALU_CYCLE_1)
	v_fma_f64 v[65:66], v[63:64], v[65:66], s[0:1]
	s_mov_b32 s0, 0x55555511
	s_mov_b32 s1, 0x3fc55555
	s_delay_alu instid0(VALU_DEP_1) | instid1(SALU_CYCLE_1)
	v_fma_f64 v[65:66], v[63:64], v[65:66], s[0:1]
	s_mov_b32 s0, 11
	s_mov_b32 s1, 0x3fe00000
	s_delay_alu instid0(VALU_DEP_1) | instid1(SALU_CYCLE_1)
	v_fma_f64 v[65:66], v[63:64], v[65:66], s[0:1]
	v_cmp_nlt_f64_e64 s0, 0x40900000, v[29:30]
	v_cmp_ngt_f64_e64 s1, 0xc090cc00, v[29:30]
	s_delay_alu instid0(VALU_DEP_3) | instskip(NEXT) | instid1(VALU_DEP_1)
	v_fma_f64 v[65:66], v[63:64], v[65:66], 1.0
	v_fma_f64 v[35:36], v[63:64], v[65:66], 1.0
	s_delay_alu instid0(VALU_DEP_1) | instskip(NEXT) | instid1(VALU_DEP_1)
	v_ldexp_f64 v[35:36], v[35:36], v0
	v_cndmask_b32_e64 v0, 0x7ff00000, v36, s0
	s_and_b32 s0, s1, s0
	s_delay_alu instid0(VALU_DEP_2) | instid1(SALU_CYCLE_1)
	v_cndmask_b32_e64 v29, 0, v35, s0
	s_mov_b32 s0, 0x55555555
	s_delay_alu instid0(VALU_DEP_2) | instskip(SKIP_1) | instid1(VALU_DEP_1)
	v_cndmask_b32_e64 v30, 0, v0, s1
	s_mov_b32 s1, 0x3fe55555
	v_add_f64 v[35:36], v[29:30], 1.0
	s_delay_alu instid0(VALU_DEP_1) | instskip(SKIP_2) | instid1(VALU_DEP_3)
	v_frexp_mant_f64_e32 v[63:64], v[35:36]
	v_frexp_exp_i32_f64_e32 v0, v[35:36]
	v_add_f64 v[65:66], v[35:36], -1.0
	v_cmp_gt_f64_e64 s0, s[0:1], v[63:64]
	s_delay_alu instid0(VALU_DEP_2) | instskip(SKIP_1) | instid1(VALU_DEP_3)
	v_add_f64 v[63:64], v[65:66], -v[35:36]
	v_add_f64 v[65:66], v[29:30], -v[65:66]
	v_subrev_co_ci_u32_e64 v0, s0, 0, v0, s0
	s_delay_alu instid0(VALU_DEP_3) | instskip(SKIP_2) | instid1(VALU_DEP_2)
	v_add_f64 v[63:64], v[63:64], 1.0
	s_mov_b32 s0, 0x55555780
	s_waitcnt lgkmcnt(1)
	v_sub_nc_u32_e32 v69, 0, v0
	s_delay_alu instid0(VALU_DEP_1) | instskip(NEXT) | instid1(VALU_DEP_3)
	v_ldexp_f64 v[35:36], v[35:36], v69
	v_add_f64 v[63:64], v[65:66], v[63:64]
	s_delay_alu instid0(VALU_DEP_2) | instskip(SKIP_1) | instid1(VALU_DEP_3)
	v_add_f64 v[67:68], v[35:36], 1.0
	v_add_f64 v[73:74], v[35:36], -1.0
	v_ldexp_f64 v[63:64], v[63:64], v69
	s_delay_alu instid0(VALU_DEP_3) | instskip(NEXT) | instid1(VALU_DEP_3)
	v_add_f64 v[65:66], v[67:68], -1.0
	v_add_f64 v[75:76], v[73:74], 1.0
	s_delay_alu instid0(VALU_DEP_2) | instskip(NEXT) | instid1(VALU_DEP_2)
	v_add_f64 v[65:66], v[35:36], -v[65:66]
	v_add_f64 v[35:36], v[35:36], -v[75:76]
	s_delay_alu instid0(VALU_DEP_2) | instskip(NEXT) | instid1(VALU_DEP_2)
	v_add_f64 v[65:66], v[63:64], v[65:66]
	v_add_f64 v[35:36], v[63:64], v[35:36]
	s_waitcnt lgkmcnt(0)
	s_delay_alu instid0(VALU_DEP_2) | instskip(NEXT) | instid1(VALU_DEP_2)
	v_add_f64 v[69:70], v[67:68], v[65:66]
	v_add_f64 v[75:76], v[73:74], v[35:36]
	s_delay_alu instid0(VALU_DEP_2) | instskip(SKIP_1) | instid1(VALU_DEP_2)
	v_rcp_f64_e32 v[71:72], v[69:70]
	v_add_f64 v[67:68], v[69:70], -v[67:68]
	v_add_f64 v[73:74], v[75:76], -v[73:74]
	s_delay_alu instid0(VALU_DEP_2) | instskip(SKIP_3) | instid1(VALU_DEP_2)
	v_add_f64 v[65:66], v[65:66], -v[67:68]
	s_waitcnt_depctr 0xfff
	v_fma_f64 v[95:96], -v[69:70], v[71:72], 1.0
	v_add_f64 v[35:36], v[35:36], -v[73:74]
	v_fma_f64 v[71:72], v[95:96], v[71:72], v[71:72]
	s_delay_alu instid0(VALU_DEP_1) | instskip(NEXT) | instid1(VALU_DEP_1)
	v_fma_f64 v[63:64], -v[69:70], v[71:72], 1.0
	v_fma_f64 v[63:64], v[63:64], v[71:72], v[71:72]
	s_delay_alu instid0(VALU_DEP_1) | instskip(NEXT) | instid1(VALU_DEP_1)
	v_mul_f64 v[71:72], v[75:76], v[63:64]
	v_mul_f64 v[95:96], v[69:70], v[71:72]
	s_delay_alu instid0(VALU_DEP_1) | instskip(NEXT) | instid1(VALU_DEP_1)
	v_fma_f64 v[67:68], v[71:72], v[69:70], -v[95:96]
	v_fma_f64 v[67:68], v[71:72], v[65:66], v[67:68]
	s_delay_alu instid0(VALU_DEP_1) | instskip(NEXT) | instid1(VALU_DEP_1)
	v_add_f64 v[97:98], v[95:96], v[67:68]
	v_add_f64 v[99:100], v[75:76], -v[97:98]
	v_add_f64 v[73:74], v[97:98], -v[95:96]
	s_delay_alu instid0(VALU_DEP_2) | instskip(NEXT) | instid1(VALU_DEP_2)
	v_add_f64 v[75:76], v[75:76], -v[99:100]
	v_add_f64 v[67:68], v[73:74], -v[67:68]
	s_delay_alu instid0(VALU_DEP_2) | instskip(NEXT) | instid1(VALU_DEP_1)
	v_add_f64 v[75:76], v[75:76], -v[97:98]
	v_add_f64 v[35:36], v[35:36], v[75:76]
	s_delay_alu instid0(VALU_DEP_1) | instskip(NEXT) | instid1(VALU_DEP_1)
	v_add_f64 v[35:36], v[67:68], v[35:36]
	v_add_f64 v[67:68], v[99:100], v[35:36]
	s_delay_alu instid0(VALU_DEP_1) | instskip(SKIP_1) | instid1(VALU_DEP_2)
	v_mul_f64 v[73:74], v[63:64], v[67:68]
	v_add_f64 v[97:98], v[99:100], -v[67:68]
	v_mul_f64 v[75:76], v[69:70], v[73:74]
	s_delay_alu instid0(VALU_DEP_2) | instskip(NEXT) | instid1(VALU_DEP_2)
	v_add_f64 v[35:36], v[35:36], v[97:98]
	v_fma_f64 v[69:70], v[73:74], v[69:70], -v[75:76]
	s_delay_alu instid0(VALU_DEP_1) | instskip(NEXT) | instid1(VALU_DEP_1)
	v_fma_f64 v[65:66], v[73:74], v[65:66], v[69:70]
	v_add_f64 v[69:70], v[75:76], v[65:66]
	s_delay_alu instid0(VALU_DEP_1) | instskip(SKIP_1) | instid1(VALU_DEP_2)
	v_add_f64 v[95:96], v[67:68], -v[69:70]
	v_add_f64 v[75:76], v[69:70], -v[75:76]
	;; [unrolled: 1-line block ×3, first 2 shown]
	s_delay_alu instid0(VALU_DEP_2) | instskip(NEXT) | instid1(VALU_DEP_2)
	v_add_f64 v[65:66], v[75:76], -v[65:66]
	v_add_f64 v[67:68], v[67:68], -v[69:70]
	s_delay_alu instid0(VALU_DEP_1) | instskip(SKIP_1) | instid1(VALU_DEP_2)
	v_add_f64 v[35:36], v[35:36], v[67:68]
	v_add_f64 v[67:68], v[71:72], v[73:74]
	;; [unrolled: 1-line block ×3, first 2 shown]
	s_delay_alu instid0(VALU_DEP_2) | instskip(NEXT) | instid1(VALU_DEP_2)
	v_add_f64 v[65:66], v[67:68], -v[71:72]
	v_add_f64 v[35:36], v[95:96], v[35:36]
	s_delay_alu instid0(VALU_DEP_2) | instskip(NEXT) | instid1(VALU_DEP_2)
	v_add_f64 v[65:66], v[73:74], -v[65:66]
	v_mul_f64 v[35:36], v[63:64], v[35:36]
	s_delay_alu instid0(VALU_DEP_1) | instskip(NEXT) | instid1(VALU_DEP_1)
	v_add_f64 v[35:36], v[65:66], v[35:36]
	v_add_f64 v[63:64], v[67:68], v[35:36]
	s_delay_alu instid0(VALU_DEP_1) | instskip(NEXT) | instid1(VALU_DEP_1)
	v_mul_f64 v[65:66], v[63:64], v[63:64]
	v_fma_f64 v[69:70], v[65:66], s[42:43], s[40:41]
	s_mov_b32 s40, 0xd7f4df2e
	s_mov_b32 s41, 0x3fc7474d
	v_mul_f64 v[71:72], v[63:64], v[65:66]
	s_delay_alu instid0(VALU_DEP_2)
	v_fma_f64 v[69:70], v[65:66], v[69:70], s[40:41]
	s_mov_b32 s40, 0x16291751
	s_mov_b32 s41, 0x3fcc71c0
	s_delay_alu instid0(VALU_DEP_1) | instid1(SALU_CYCLE_1)
	v_fma_f64 v[69:70], v[65:66], v[69:70], s[40:41]
	s_mov_b32 s40, 0x9b27acf1
	s_mov_b32 s41, 0x3fd24924
	s_delay_alu instid0(VALU_DEP_1) | instid1(SALU_CYCLE_1)
	;; [unrolled: 4-line block ×3, first 2 shown]
	v_fma_f64 v[69:70], v[65:66], v[69:70], s[40:41]
	s_delay_alu instid0(VALU_DEP_1) | instskip(SKIP_3) | instid1(VALU_DEP_4)
	v_fma_f64 v[65:66], v[65:66], v[69:70], s[0:1]
	v_ldexp_f64 v[69:70], v[63:64], 1
	v_add_f64 v[63:64], v[63:64], -v[67:68]
	v_cmp_eq_f64_e64 s0, 0x7ff00000, v[29:30]
	v_mul_f64 v[65:66], v[71:72], v[65:66]
	v_cvt_f64_i32_e32 v[71:72], v0
	s_delay_alu instid0(VALU_DEP_4) | instskip(NEXT) | instid1(VALU_DEP_3)
	v_add_f64 v[35:36], v[35:36], -v[63:64]
	v_add_f64 v[67:68], v[69:70], v[65:66]
	s_delay_alu instid0(VALU_DEP_3) | instskip(NEXT) | instid1(VALU_DEP_3)
	v_mul_f64 v[73:74], v[71:72], s[36:37]
	v_ldexp_f64 v[35:36], v[35:36], 1
	s_delay_alu instid0(VALU_DEP_3) | instskip(NEXT) | instid1(VALU_DEP_3)
	v_add_f64 v[63:64], v[67:68], -v[69:70]
	v_fma_f64 v[69:70], v[71:72], s[36:37], -v[73:74]
	s_delay_alu instid0(VALU_DEP_2) | instskip(NEXT) | instid1(VALU_DEP_2)
	v_add_f64 v[63:64], v[65:66], -v[63:64]
	v_fma_f64 v[65:66], v[71:72], s[38:39], v[69:70]
	s_delay_alu instid0(VALU_DEP_2) | instskip(NEXT) | instid1(VALU_DEP_2)
	v_add_f64 v[35:36], v[35:36], v[63:64]
	v_add_f64 v[63:64], v[73:74], v[65:66]
	s_delay_alu instid0(VALU_DEP_2) | instskip(NEXT) | instid1(VALU_DEP_2)
	v_add_f64 v[69:70], v[67:68], v[35:36]
	v_add_f64 v[73:74], v[63:64], -v[73:74]
	s_delay_alu instid0(VALU_DEP_2) | instskip(SKIP_1) | instid1(VALU_DEP_3)
	v_add_f64 v[71:72], v[63:64], v[69:70]
	v_add_f64 v[67:68], v[69:70], -v[67:68]
	v_add_f64 v[65:66], v[65:66], -v[73:74]
	s_delay_alu instid0(VALU_DEP_3) | instskip(NEXT) | instid1(VALU_DEP_3)
	v_add_f64 v[75:76], v[71:72], -v[63:64]
	v_add_f64 v[35:36], v[35:36], -v[67:68]
	s_delay_alu instid0(VALU_DEP_2) | instskip(SKIP_1) | instid1(VALU_DEP_3)
	v_add_f64 v[95:96], v[71:72], -v[75:76]
	v_add_f64 v[67:68], v[69:70], -v[75:76]
	v_add_f64 v[69:70], v[65:66], v[35:36]
	s_delay_alu instid0(VALU_DEP_3) | instskip(NEXT) | instid1(VALU_DEP_1)
	v_add_f64 v[63:64], v[63:64], -v[95:96]
	v_add_f64 v[63:64], v[67:68], v[63:64]
	s_delay_alu instid0(VALU_DEP_3) | instskip(NEXT) | instid1(VALU_DEP_2)
	v_add_f64 v[67:68], v[69:70], -v[65:66]
	v_add_f64 v[63:64], v[69:70], v[63:64]
	s_delay_alu instid0(VALU_DEP_2) | instskip(SKIP_1) | instid1(VALU_DEP_3)
	v_add_f64 v[69:70], v[69:70], -v[67:68]
	v_add_f64 v[35:36], v[35:36], -v[67:68]
	v_add_f64 v[73:74], v[71:72], v[63:64]
	s_delay_alu instid0(VALU_DEP_3) | instskip(NEXT) | instid1(VALU_DEP_2)
	v_add_f64 v[65:66], v[65:66], -v[69:70]
	v_add_f64 v[67:68], v[73:74], -v[71:72]
	s_delay_alu instid0(VALU_DEP_2) | instskip(NEXT) | instid1(VALU_DEP_2)
	v_add_f64 v[35:36], v[35:36], v[65:66]
	v_add_f64 v[63:64], v[63:64], -v[67:68]
	s_delay_alu instid0(VALU_DEP_1) | instskip(NEXT) | instid1(VALU_DEP_1)
	v_add_f64 v[35:36], v[35:36], v[63:64]
	v_add_f64 v[35:36], v[73:74], v[35:36]
	s_delay_alu instid0(VALU_DEP_1) | instskip(NEXT) | instid1(VALU_DEP_2)
	v_cndmask_b32_e64 v0, v35, v29, s0
	v_cndmask_b32_e64 v35, v36, v30, s0
	v_cmp_ngt_f64_e64 s0, -1.0, v[29:30]
	s_delay_alu instid0(VALU_DEP_1) | instskip(SKIP_1) | instid1(VALU_DEP_1)
	v_cndmask_b32_e64 v36, 0x7ff80000, v35, s0
	v_cmp_nge_f64_e64 s0, -1.0, v[29:30]
	v_cndmask_b32_e64 v35, 0, v0, s0
	v_cmp_neq_f64_e64 s0, -1.0, v[29:30]
	s_delay_alu instid0(VALU_DEP_1) | instskip(NEXT) | instid1(VALU_DEP_1)
	v_cndmask_b32_e64 v36, 0xfff00000, v36, s0
	v_add_f64 v[29:30], v[33:34], v[35:36]
.LBB86_110:
	s_or_b32 exec_lo, exec_lo, s17
	s_delay_alu instid0(VALU_DEP_1) | instskip(SKIP_1) | instid1(VALU_DEP_2)
	v_max_f64 v[33:34], v[29:30], v[29:30]
	v_cmp_u_f64_e64 s0, v[29:30], v[29:30]
	v_min_f64 v[35:36], v[33:34], v[37:38]
	v_max_f64 v[33:34], v[33:34], v[37:38]
	s_delay_alu instid0(VALU_DEP_2) | instskip(NEXT) | instid1(VALU_DEP_3)
	v_cndmask_b32_e64 v0, v35, v29, s0
	v_cndmask_b32_e64 v35, v36, v30, s0
	s_delay_alu instid0(VALU_DEP_3) | instskip(NEXT) | instid1(VALU_DEP_4)
	v_cndmask_b32_e64 v34, v34, v30, s0
	v_cndmask_b32_e64 v33, v33, v29, s0
	s_delay_alu instid0(VALU_DEP_3) | instskip(SKIP_1) | instid1(VALU_DEP_4)
	v_cndmask_b32_e64 v36, v35, v32, s19
	v_cndmask_b32_e64 v35, v0, v31, s19
	;; [unrolled: 1-line block ×3, first 2 shown]
	s_delay_alu instid0(VALU_DEP_4) | instskip(SKIP_1) | instid1(VALU_DEP_4)
	v_cndmask_b32_e64 v33, v33, v31, s19
	v_dual_mov_b32 v32, v30 :: v_dual_mov_b32 v31, v29
	v_cmp_class_f64_e64 s1, v[35:36], 0x1f8
	s_delay_alu instid0(VALU_DEP_3) | instskip(NEXT) | instid1(VALU_DEP_1)
	v_cmp_neq_f64_e64 s0, v[35:36], v[33:34]
	s_or_b32 s0, s0, s1
	s_delay_alu instid0(SALU_CYCLE_1)
	s_and_saveexec_b32 s17, s0
	s_cbranch_execz .LBB86_112
; %bb.111:
	v_add_f64 v[31:32], v[35:36], -v[33:34]
	s_mov_b32 s0, 0x652b82fe
	s_mov_b32 s1, 0x3ff71547
	;; [unrolled: 1-line block ×10, first 2 shown]
	s_delay_alu instid0(VALU_DEP_1) | instskip(SKIP_2) | instid1(VALU_DEP_1)
	v_mul_f64 v[35:36], v[31:32], s[0:1]
	s_mov_b32 s0, 0xfca7ab0c
	s_mov_b32 s1, 0x3e928af3
	v_rndne_f64_e32 v[35:36], v[35:36]
	s_delay_alu instid0(VALU_DEP_1) | instskip(SKIP_2) | instid1(VALU_DEP_2)
	v_fma_f64 v[37:38], v[35:36], s[18:19], v[31:32]
	v_cvt_i32_f64_e32 v0, v[35:36]
	s_mov_b32 s19, 0x3fe62e42
	v_fma_f64 v[37:38], v[35:36], s[36:37], v[37:38]
	s_mov_b32 s37, 0x3c7abc9e
	s_delay_alu instid0(VALU_DEP_1) | instskip(SKIP_4) | instid1(VALU_DEP_1)
	v_fma_f64 v[63:64], v[37:38], s[38:39], s[0:1]
	s_mov_b32 s0, 0x623fde64
	s_mov_b32 s1, 0x3ec71dee
	;; [unrolled: 1-line block ×4, first 2 shown]
	v_fma_f64 v[63:64], v[37:38], v[63:64], s[0:1]
	s_mov_b32 s0, 0x7c89e6b0
	s_mov_b32 s1, 0x3efa0199
	s_delay_alu instid0(VALU_DEP_1) | instid1(SALU_CYCLE_1)
	v_fma_f64 v[63:64], v[37:38], v[63:64], s[0:1]
	s_mov_b32 s0, 0x14761f6e
	s_mov_b32 s1, 0x3f2a01a0
	s_delay_alu instid0(VALU_DEP_1) | instid1(SALU_CYCLE_1)
	;; [unrolled: 4-line block ×7, first 2 shown]
	v_fma_f64 v[63:64], v[37:38], v[63:64], s[0:1]
	v_cmp_nlt_f64_e64 s0, 0x40900000, v[31:32]
	v_cmp_ngt_f64_e64 s1, 0xc090cc00, v[31:32]
	s_delay_alu instid0(VALU_DEP_3) | instskip(NEXT) | instid1(VALU_DEP_1)
	v_fma_f64 v[63:64], v[37:38], v[63:64], 1.0
	v_fma_f64 v[35:36], v[37:38], v[63:64], 1.0
	s_delay_alu instid0(VALU_DEP_1) | instskip(NEXT) | instid1(VALU_DEP_1)
	v_ldexp_f64 v[35:36], v[35:36], v0
	v_cndmask_b32_e64 v0, 0x7ff00000, v36, s0
	s_and_b32 s0, s1, s0
	s_delay_alu instid0(VALU_DEP_2) | instid1(SALU_CYCLE_1)
	v_cndmask_b32_e64 v31, 0, v35, s0
	s_mov_b32 s0, 0x55555555
	s_delay_alu instid0(VALU_DEP_2) | instskip(SKIP_1) | instid1(VALU_DEP_1)
	v_cndmask_b32_e64 v32, 0, v0, s1
	s_mov_b32 s1, 0x3fe55555
	v_add_f64 v[35:36], v[31:32], 1.0
	s_delay_alu instid0(VALU_DEP_1) | instskip(SKIP_2) | instid1(VALU_DEP_3)
	v_frexp_mant_f64_e32 v[37:38], v[35:36]
	v_frexp_exp_i32_f64_e32 v0, v[35:36]
	v_add_f64 v[63:64], v[35:36], -1.0
	v_cmp_gt_f64_e64 s0, s[0:1], v[37:38]
	s_delay_alu instid0(VALU_DEP_2) | instskip(SKIP_1) | instid1(VALU_DEP_3)
	v_add_f64 v[37:38], v[63:64], -v[35:36]
	v_add_f64 v[63:64], v[31:32], -v[63:64]
	v_subrev_co_ci_u32_e64 v0, s0, 0, v0, s0
	s_delay_alu instid0(VALU_DEP_3) | instskip(SKIP_1) | instid1(VALU_DEP_2)
	v_add_f64 v[37:38], v[37:38], 1.0
	s_mov_b32 s0, 0x55555780
	v_sub_nc_u32_e32 v67, 0, v0
	s_delay_alu instid0(VALU_DEP_1) | instskip(NEXT) | instid1(VALU_DEP_3)
	v_ldexp_f64 v[35:36], v[35:36], v67
	v_add_f64 v[37:38], v[63:64], v[37:38]
	s_delay_alu instid0(VALU_DEP_2) | instskip(SKIP_1) | instid1(VALU_DEP_3)
	v_add_f64 v[65:66], v[35:36], 1.0
	v_add_f64 v[71:72], v[35:36], -1.0
	v_ldexp_f64 v[37:38], v[37:38], v67
	s_delay_alu instid0(VALU_DEP_3) | instskip(NEXT) | instid1(VALU_DEP_3)
	v_add_f64 v[63:64], v[65:66], -1.0
	v_add_f64 v[73:74], v[71:72], 1.0
	s_delay_alu instid0(VALU_DEP_2) | instskip(NEXT) | instid1(VALU_DEP_2)
	v_add_f64 v[63:64], v[35:36], -v[63:64]
	v_add_f64 v[35:36], v[35:36], -v[73:74]
	s_delay_alu instid0(VALU_DEP_2) | instskip(NEXT) | instid1(VALU_DEP_2)
	v_add_f64 v[63:64], v[37:38], v[63:64]
	v_add_f64 v[35:36], v[37:38], v[35:36]
	s_delay_alu instid0(VALU_DEP_2) | instskip(NEXT) | instid1(VALU_DEP_2)
	v_add_f64 v[67:68], v[65:66], v[63:64]
	v_add_f64 v[73:74], v[71:72], v[35:36]
	s_waitcnt lgkmcnt(0)
	s_delay_alu instid0(VALU_DEP_2) | instskip(SKIP_1) | instid1(VALU_DEP_2)
	v_rcp_f64_e32 v[69:70], v[67:68]
	v_add_f64 v[65:66], v[67:68], -v[65:66]
	v_add_f64 v[71:72], v[73:74], -v[71:72]
	s_delay_alu instid0(VALU_DEP_2) | instskip(SKIP_3) | instid1(VALU_DEP_2)
	v_add_f64 v[63:64], v[63:64], -v[65:66]
	s_waitcnt_depctr 0xfff
	v_fma_f64 v[75:76], -v[67:68], v[69:70], 1.0
	v_add_f64 v[35:36], v[35:36], -v[71:72]
	v_fma_f64 v[69:70], v[75:76], v[69:70], v[69:70]
	s_delay_alu instid0(VALU_DEP_1) | instskip(NEXT) | instid1(VALU_DEP_1)
	v_fma_f64 v[37:38], -v[67:68], v[69:70], 1.0
	v_fma_f64 v[37:38], v[37:38], v[69:70], v[69:70]
	s_delay_alu instid0(VALU_DEP_1) | instskip(NEXT) | instid1(VALU_DEP_1)
	v_mul_f64 v[69:70], v[73:74], v[37:38]
	v_mul_f64 v[75:76], v[67:68], v[69:70]
	s_delay_alu instid0(VALU_DEP_1) | instskip(NEXT) | instid1(VALU_DEP_1)
	v_fma_f64 v[65:66], v[69:70], v[67:68], -v[75:76]
	v_fma_f64 v[65:66], v[69:70], v[63:64], v[65:66]
	s_delay_alu instid0(VALU_DEP_1) | instskip(NEXT) | instid1(VALU_DEP_1)
	v_add_f64 v[95:96], v[75:76], v[65:66]
	v_add_f64 v[97:98], v[73:74], -v[95:96]
	v_add_f64 v[71:72], v[95:96], -v[75:76]
	s_delay_alu instid0(VALU_DEP_2) | instskip(NEXT) | instid1(VALU_DEP_2)
	v_add_f64 v[73:74], v[73:74], -v[97:98]
	v_add_f64 v[65:66], v[71:72], -v[65:66]
	s_delay_alu instid0(VALU_DEP_2) | instskip(NEXT) | instid1(VALU_DEP_1)
	v_add_f64 v[73:74], v[73:74], -v[95:96]
	v_add_f64 v[35:36], v[35:36], v[73:74]
	s_delay_alu instid0(VALU_DEP_1) | instskip(NEXT) | instid1(VALU_DEP_1)
	v_add_f64 v[35:36], v[65:66], v[35:36]
	v_add_f64 v[65:66], v[97:98], v[35:36]
	s_delay_alu instid0(VALU_DEP_1) | instskip(SKIP_1) | instid1(VALU_DEP_2)
	v_mul_f64 v[71:72], v[37:38], v[65:66]
	v_add_f64 v[95:96], v[97:98], -v[65:66]
	v_mul_f64 v[73:74], v[67:68], v[71:72]
	s_delay_alu instid0(VALU_DEP_2) | instskip(NEXT) | instid1(VALU_DEP_2)
	v_add_f64 v[35:36], v[35:36], v[95:96]
	v_fma_f64 v[67:68], v[71:72], v[67:68], -v[73:74]
	s_delay_alu instid0(VALU_DEP_1) | instskip(NEXT) | instid1(VALU_DEP_1)
	v_fma_f64 v[63:64], v[71:72], v[63:64], v[67:68]
	v_add_f64 v[67:68], v[73:74], v[63:64]
	s_delay_alu instid0(VALU_DEP_1) | instskip(SKIP_1) | instid1(VALU_DEP_2)
	v_add_f64 v[75:76], v[65:66], -v[67:68]
	v_add_f64 v[73:74], v[67:68], -v[73:74]
	;; [unrolled: 1-line block ×3, first 2 shown]
	s_delay_alu instid0(VALU_DEP_2) | instskip(NEXT) | instid1(VALU_DEP_2)
	v_add_f64 v[63:64], v[73:74], -v[63:64]
	v_add_f64 v[65:66], v[65:66], -v[67:68]
	s_delay_alu instid0(VALU_DEP_1) | instskip(SKIP_1) | instid1(VALU_DEP_2)
	v_add_f64 v[35:36], v[35:36], v[65:66]
	v_add_f64 v[65:66], v[69:70], v[71:72]
	;; [unrolled: 1-line block ×3, first 2 shown]
	s_delay_alu instid0(VALU_DEP_2) | instskip(NEXT) | instid1(VALU_DEP_2)
	v_add_f64 v[63:64], v[65:66], -v[69:70]
	v_add_f64 v[35:36], v[75:76], v[35:36]
	s_delay_alu instid0(VALU_DEP_2) | instskip(NEXT) | instid1(VALU_DEP_2)
	v_add_f64 v[63:64], v[71:72], -v[63:64]
	v_mul_f64 v[35:36], v[37:38], v[35:36]
	s_delay_alu instid0(VALU_DEP_1) | instskip(NEXT) | instid1(VALU_DEP_1)
	v_add_f64 v[35:36], v[63:64], v[35:36]
	v_add_f64 v[37:38], v[65:66], v[35:36]
	s_delay_alu instid0(VALU_DEP_1) | instskip(NEXT) | instid1(VALU_DEP_1)
	v_mul_f64 v[63:64], v[37:38], v[37:38]
	v_fma_f64 v[67:68], v[63:64], s[40:41], s[38:39]
	s_mov_b32 s38, 0xd7f4df2e
	s_mov_b32 s39, 0x3fc7474d
	v_mul_f64 v[69:70], v[37:38], v[63:64]
	s_delay_alu instid0(VALU_DEP_2)
	v_fma_f64 v[67:68], v[63:64], v[67:68], s[38:39]
	s_mov_b32 s38, 0x16291751
	s_mov_b32 s39, 0x3fcc71c0
	s_delay_alu instid0(VALU_DEP_1) | instid1(SALU_CYCLE_1)
	v_fma_f64 v[67:68], v[63:64], v[67:68], s[38:39]
	s_mov_b32 s38, 0x9b27acf1
	s_mov_b32 s39, 0x3fd24924
	s_delay_alu instid0(VALU_DEP_1) | instid1(SALU_CYCLE_1)
	;; [unrolled: 4-line block ×3, first 2 shown]
	v_fma_f64 v[67:68], v[63:64], v[67:68], s[38:39]
	s_delay_alu instid0(VALU_DEP_1) | instskip(SKIP_3) | instid1(VALU_DEP_4)
	v_fma_f64 v[63:64], v[63:64], v[67:68], s[0:1]
	v_ldexp_f64 v[67:68], v[37:38], 1
	v_add_f64 v[37:38], v[37:38], -v[65:66]
	v_cmp_eq_f64_e64 s0, 0x7ff00000, v[31:32]
	v_mul_f64 v[63:64], v[69:70], v[63:64]
	v_cvt_f64_i32_e32 v[69:70], v0
	s_delay_alu instid0(VALU_DEP_4) | instskip(NEXT) | instid1(VALU_DEP_3)
	v_add_f64 v[35:36], v[35:36], -v[37:38]
	v_add_f64 v[65:66], v[67:68], v[63:64]
	s_delay_alu instid0(VALU_DEP_3) | instskip(NEXT) | instid1(VALU_DEP_3)
	v_mul_f64 v[71:72], v[69:70], s[18:19]
	v_ldexp_f64 v[35:36], v[35:36], 1
	s_delay_alu instid0(VALU_DEP_3) | instskip(NEXT) | instid1(VALU_DEP_3)
	v_add_f64 v[37:38], v[65:66], -v[67:68]
	v_fma_f64 v[67:68], v[69:70], s[18:19], -v[71:72]
	s_delay_alu instid0(VALU_DEP_2) | instskip(NEXT) | instid1(VALU_DEP_2)
	v_add_f64 v[37:38], v[63:64], -v[37:38]
	v_fma_f64 v[63:64], v[69:70], s[36:37], v[67:68]
	s_delay_alu instid0(VALU_DEP_2) | instskip(NEXT) | instid1(VALU_DEP_2)
	v_add_f64 v[35:36], v[35:36], v[37:38]
	v_add_f64 v[37:38], v[71:72], v[63:64]
	s_delay_alu instid0(VALU_DEP_2) | instskip(NEXT) | instid1(VALU_DEP_2)
	v_add_f64 v[67:68], v[65:66], v[35:36]
	v_add_f64 v[71:72], v[37:38], -v[71:72]
	s_delay_alu instid0(VALU_DEP_2) | instskip(SKIP_1) | instid1(VALU_DEP_3)
	v_add_f64 v[69:70], v[37:38], v[67:68]
	v_add_f64 v[65:66], v[67:68], -v[65:66]
	v_add_f64 v[63:64], v[63:64], -v[71:72]
	s_delay_alu instid0(VALU_DEP_3) | instskip(NEXT) | instid1(VALU_DEP_3)
	v_add_f64 v[73:74], v[69:70], -v[37:38]
	v_add_f64 v[35:36], v[35:36], -v[65:66]
	s_delay_alu instid0(VALU_DEP_2) | instskip(SKIP_1) | instid1(VALU_DEP_3)
	v_add_f64 v[75:76], v[69:70], -v[73:74]
	v_add_f64 v[65:66], v[67:68], -v[73:74]
	v_add_f64 v[67:68], v[63:64], v[35:36]
	s_delay_alu instid0(VALU_DEP_3) | instskip(NEXT) | instid1(VALU_DEP_1)
	v_add_f64 v[37:38], v[37:38], -v[75:76]
	v_add_f64 v[37:38], v[65:66], v[37:38]
	s_delay_alu instid0(VALU_DEP_3) | instskip(NEXT) | instid1(VALU_DEP_2)
	v_add_f64 v[65:66], v[67:68], -v[63:64]
	v_add_f64 v[37:38], v[67:68], v[37:38]
	s_delay_alu instid0(VALU_DEP_2) | instskip(SKIP_1) | instid1(VALU_DEP_3)
	v_add_f64 v[67:68], v[67:68], -v[65:66]
	v_add_f64 v[35:36], v[35:36], -v[65:66]
	v_add_f64 v[71:72], v[69:70], v[37:38]
	s_delay_alu instid0(VALU_DEP_3) | instskip(NEXT) | instid1(VALU_DEP_2)
	v_add_f64 v[63:64], v[63:64], -v[67:68]
	v_add_f64 v[65:66], v[71:72], -v[69:70]
	s_delay_alu instid0(VALU_DEP_2) | instskip(NEXT) | instid1(VALU_DEP_2)
	v_add_f64 v[35:36], v[35:36], v[63:64]
	v_add_f64 v[37:38], v[37:38], -v[65:66]
	s_delay_alu instid0(VALU_DEP_1) | instskip(NEXT) | instid1(VALU_DEP_1)
	v_add_f64 v[35:36], v[35:36], v[37:38]
	v_add_f64 v[35:36], v[71:72], v[35:36]
	s_delay_alu instid0(VALU_DEP_1) | instskip(NEXT) | instid1(VALU_DEP_2)
	v_cndmask_b32_e64 v0, v35, v31, s0
	v_cndmask_b32_e64 v35, v36, v32, s0
	v_cmp_ngt_f64_e64 s0, -1.0, v[31:32]
	s_delay_alu instid0(VALU_DEP_1) | instskip(SKIP_1) | instid1(VALU_DEP_1)
	v_cndmask_b32_e64 v36, 0x7ff80000, v35, s0
	v_cmp_nge_f64_e64 s0, -1.0, v[31:32]
	v_cndmask_b32_e64 v35, 0, v0, s0
	v_cmp_neq_f64_e64 s0, -1.0, v[31:32]
	s_delay_alu instid0(VALU_DEP_1) | instskip(NEXT) | instid1(VALU_DEP_1)
	v_cndmask_b32_e64 v36, 0xfff00000, v36, s0
	v_add_f64 v[31:32], v[33:34], v[35:36]
.LBB86_112:
	s_or_b32 exec_lo, exec_lo, s17
	s_delay_alu instid0(VALU_DEP_1) | instskip(SKIP_1) | instid1(VALU_DEP_2)
	v_max_f64 v[33:34], v[31:32], v[31:32]
	v_cmp_u_f64_e64 s0, v[31:32], v[31:32]
	v_min_f64 v[35:36], v[33:34], v[39:40]
	v_max_f64 v[33:34], v[33:34], v[39:40]
	s_delay_alu instid0(VALU_DEP_2) | instskip(NEXT) | instid1(VALU_DEP_3)
	v_cndmask_b32_e64 v0, v35, v31, s0
	v_cndmask_b32_e64 v35, v36, v32, s0
	s_delay_alu instid0(VALU_DEP_3) | instskip(NEXT) | instid1(VALU_DEP_4)
	v_cndmask_b32_e64 v34, v34, v32, s0
	v_cndmask_b32_e64 v33, v33, v31, s0
	s_delay_alu instid0(VALU_DEP_3) | instskip(SKIP_1) | instid1(VALU_DEP_4)
	v_cndmask_b32_e64 v36, v35, v26, s20
	v_cndmask_b32_e64 v35, v0, v25, s20
	;; [unrolled: 1-line block ×3, first 2 shown]
	s_delay_alu instid0(VALU_DEP_4) | instskip(SKIP_1) | instid1(VALU_DEP_4)
	v_cndmask_b32_e64 v33, v33, v25, s20
	v_dual_mov_b32 v25, v31 :: v_dual_mov_b32 v26, v32
	v_cmp_class_f64_e64 s1, v[35:36], 0x1f8
	s_delay_alu instid0(VALU_DEP_3) | instskip(NEXT) | instid1(VALU_DEP_1)
	v_cmp_neq_f64_e64 s0, v[35:36], v[33:34]
	s_or_b32 s0, s0, s1
	s_delay_alu instid0(SALU_CYCLE_1)
	s_and_saveexec_b32 s17, s0
	s_cbranch_execz .LBB86_114
; %bb.113:
	v_add_f64 v[25:26], v[35:36], -v[33:34]
	s_mov_b32 s0, 0x652b82fe
	s_mov_b32 s1, 0x3ff71547
	;; [unrolled: 1-line block ×10, first 2 shown]
	s_delay_alu instid0(VALU_DEP_1) | instskip(SKIP_2) | instid1(VALU_DEP_1)
	v_mul_f64 v[35:36], v[25:26], s[0:1]
	s_mov_b32 s0, 0xfca7ab0c
	s_mov_b32 s1, 0x3e928af3
	v_rndne_f64_e32 v[35:36], v[35:36]
	s_delay_alu instid0(VALU_DEP_1) | instskip(SKIP_2) | instid1(VALU_DEP_2)
	v_fma_f64 v[37:38], v[35:36], s[18:19], v[25:26]
	v_cvt_i32_f64_e32 v0, v[35:36]
	s_mov_b32 s19, 0x3fe62e42
	v_fma_f64 v[37:38], v[35:36], s[36:37], v[37:38]
	s_mov_b32 s37, 0x3c7abc9e
	s_delay_alu instid0(VALU_DEP_1) | instskip(SKIP_4) | instid1(VALU_DEP_1)
	v_fma_f64 v[39:40], v[37:38], s[38:39], s[0:1]
	s_mov_b32 s0, 0x623fde64
	s_mov_b32 s1, 0x3ec71dee
	s_mov_b32 s38, 0x6b47b09a
	s_mov_b32 s39, 0x3fc38538
	v_fma_f64 v[39:40], v[37:38], v[39:40], s[0:1]
	s_mov_b32 s0, 0x7c89e6b0
	s_mov_b32 s1, 0x3efa0199
	s_delay_alu instid0(VALU_DEP_1) | instid1(SALU_CYCLE_1)
	v_fma_f64 v[39:40], v[37:38], v[39:40], s[0:1]
	s_mov_b32 s0, 0x14761f6e
	s_mov_b32 s1, 0x3f2a01a0
	s_delay_alu instid0(VALU_DEP_1) | instid1(SALU_CYCLE_1)
	;; [unrolled: 4-line block ×7, first 2 shown]
	v_fma_f64 v[39:40], v[37:38], v[39:40], s[0:1]
	v_cmp_nlt_f64_e64 s0, 0x40900000, v[25:26]
	v_cmp_ngt_f64_e64 s1, 0xc090cc00, v[25:26]
	s_delay_alu instid0(VALU_DEP_3) | instskip(NEXT) | instid1(VALU_DEP_1)
	v_fma_f64 v[39:40], v[37:38], v[39:40], 1.0
	v_fma_f64 v[35:36], v[37:38], v[39:40], 1.0
	s_delay_alu instid0(VALU_DEP_1) | instskip(NEXT) | instid1(VALU_DEP_1)
	v_ldexp_f64 v[35:36], v[35:36], v0
	v_cndmask_b32_e64 v0, 0x7ff00000, v36, s0
	s_and_b32 s0, s1, s0
	s_delay_alu instid0(VALU_DEP_2) | instid1(SALU_CYCLE_1)
	v_cndmask_b32_e64 v25, 0, v35, s0
	s_mov_b32 s0, 0x55555555
	s_delay_alu instid0(VALU_DEP_2) | instskip(SKIP_1) | instid1(VALU_DEP_1)
	v_cndmask_b32_e64 v26, 0, v0, s1
	s_mov_b32 s1, 0x3fe55555
	v_add_f64 v[35:36], v[25:26], 1.0
	s_delay_alu instid0(VALU_DEP_1) | instskip(SKIP_2) | instid1(VALU_DEP_3)
	v_frexp_mant_f64_e32 v[37:38], v[35:36]
	v_frexp_exp_i32_f64_e32 v0, v[35:36]
	v_add_f64 v[39:40], v[35:36], -1.0
	v_cmp_gt_f64_e64 s0, s[0:1], v[37:38]
	s_delay_alu instid0(VALU_DEP_2) | instskip(SKIP_1) | instid1(VALU_DEP_3)
	v_add_f64 v[37:38], v[39:40], -v[35:36]
	v_add_f64 v[39:40], v[25:26], -v[39:40]
	v_subrev_co_ci_u32_e64 v0, s0, 0, v0, s0
	s_delay_alu instid0(VALU_DEP_3) | instskip(SKIP_1) | instid1(VALU_DEP_2)
	v_add_f64 v[37:38], v[37:38], 1.0
	s_mov_b32 s0, 0x55555780
	v_sub_nc_u32_e32 v65, 0, v0
	s_delay_alu instid0(VALU_DEP_1) | instskip(NEXT) | instid1(VALU_DEP_3)
	v_ldexp_f64 v[35:36], v[35:36], v65
	v_add_f64 v[37:38], v[39:40], v[37:38]
	s_delay_alu instid0(VALU_DEP_2) | instskip(SKIP_2) | instid1(VALU_DEP_3)
	v_add_f64 v[63:64], v[35:36], 1.0
	s_waitcnt lgkmcnt(0)
	v_add_f64 v[69:70], v[35:36], -1.0
	v_ldexp_f64 v[37:38], v[37:38], v65
	s_delay_alu instid0(VALU_DEP_3) | instskip(NEXT) | instid1(VALU_DEP_3)
	v_add_f64 v[39:40], v[63:64], -1.0
	v_add_f64 v[71:72], v[69:70], 1.0
	s_delay_alu instid0(VALU_DEP_2) | instskip(NEXT) | instid1(VALU_DEP_2)
	v_add_f64 v[39:40], v[35:36], -v[39:40]
	v_add_f64 v[35:36], v[35:36], -v[71:72]
	s_delay_alu instid0(VALU_DEP_2) | instskip(NEXT) | instid1(VALU_DEP_2)
	v_add_f64 v[39:40], v[37:38], v[39:40]
	v_add_f64 v[35:36], v[37:38], v[35:36]
	s_delay_alu instid0(VALU_DEP_2) | instskip(NEXT) | instid1(VALU_DEP_2)
	v_add_f64 v[65:66], v[63:64], v[39:40]
	v_add_f64 v[71:72], v[69:70], v[35:36]
	s_delay_alu instid0(VALU_DEP_2) | instskip(SKIP_1) | instid1(VALU_DEP_2)
	v_rcp_f64_e32 v[67:68], v[65:66]
	v_add_f64 v[63:64], v[65:66], -v[63:64]
	v_add_f64 v[69:70], v[71:72], -v[69:70]
	s_delay_alu instid0(VALU_DEP_2) | instskip(SKIP_3) | instid1(VALU_DEP_2)
	v_add_f64 v[39:40], v[39:40], -v[63:64]
	s_waitcnt_depctr 0xfff
	v_fma_f64 v[73:74], -v[65:66], v[67:68], 1.0
	v_add_f64 v[35:36], v[35:36], -v[69:70]
	v_fma_f64 v[67:68], v[73:74], v[67:68], v[67:68]
	s_delay_alu instid0(VALU_DEP_1) | instskip(NEXT) | instid1(VALU_DEP_1)
	v_fma_f64 v[37:38], -v[65:66], v[67:68], 1.0
	v_fma_f64 v[37:38], v[37:38], v[67:68], v[67:68]
	s_delay_alu instid0(VALU_DEP_1) | instskip(NEXT) | instid1(VALU_DEP_1)
	v_mul_f64 v[67:68], v[71:72], v[37:38]
	v_mul_f64 v[73:74], v[65:66], v[67:68]
	s_delay_alu instid0(VALU_DEP_1) | instskip(NEXT) | instid1(VALU_DEP_1)
	v_fma_f64 v[63:64], v[67:68], v[65:66], -v[73:74]
	v_fma_f64 v[63:64], v[67:68], v[39:40], v[63:64]
	s_delay_alu instid0(VALU_DEP_1) | instskip(NEXT) | instid1(VALU_DEP_1)
	v_add_f64 v[75:76], v[73:74], v[63:64]
	v_add_f64 v[95:96], v[71:72], -v[75:76]
	v_add_f64 v[69:70], v[75:76], -v[73:74]
	s_delay_alu instid0(VALU_DEP_2) | instskip(NEXT) | instid1(VALU_DEP_2)
	v_add_f64 v[71:72], v[71:72], -v[95:96]
	v_add_f64 v[63:64], v[69:70], -v[63:64]
	s_delay_alu instid0(VALU_DEP_2) | instskip(NEXT) | instid1(VALU_DEP_1)
	v_add_f64 v[71:72], v[71:72], -v[75:76]
	v_add_f64 v[35:36], v[35:36], v[71:72]
	s_delay_alu instid0(VALU_DEP_1) | instskip(NEXT) | instid1(VALU_DEP_1)
	v_add_f64 v[35:36], v[63:64], v[35:36]
	v_add_f64 v[63:64], v[95:96], v[35:36]
	s_delay_alu instid0(VALU_DEP_1) | instskip(SKIP_1) | instid1(VALU_DEP_2)
	v_mul_f64 v[69:70], v[37:38], v[63:64]
	v_add_f64 v[75:76], v[95:96], -v[63:64]
	v_mul_f64 v[71:72], v[65:66], v[69:70]
	s_delay_alu instid0(VALU_DEP_2) | instskip(NEXT) | instid1(VALU_DEP_2)
	v_add_f64 v[35:36], v[35:36], v[75:76]
	v_fma_f64 v[65:66], v[69:70], v[65:66], -v[71:72]
	s_delay_alu instid0(VALU_DEP_1) | instskip(NEXT) | instid1(VALU_DEP_1)
	v_fma_f64 v[39:40], v[69:70], v[39:40], v[65:66]
	v_add_f64 v[65:66], v[71:72], v[39:40]
	s_delay_alu instid0(VALU_DEP_1) | instskip(SKIP_1) | instid1(VALU_DEP_2)
	v_add_f64 v[73:74], v[63:64], -v[65:66]
	v_add_f64 v[71:72], v[65:66], -v[71:72]
	;; [unrolled: 1-line block ×3, first 2 shown]
	s_delay_alu instid0(VALU_DEP_2) | instskip(NEXT) | instid1(VALU_DEP_2)
	v_add_f64 v[39:40], v[71:72], -v[39:40]
	v_add_f64 v[63:64], v[63:64], -v[65:66]
	s_delay_alu instid0(VALU_DEP_1) | instskip(SKIP_1) | instid1(VALU_DEP_2)
	v_add_f64 v[35:36], v[35:36], v[63:64]
	v_add_f64 v[63:64], v[67:68], v[69:70]
	;; [unrolled: 1-line block ×3, first 2 shown]
	s_delay_alu instid0(VALU_DEP_2) | instskip(NEXT) | instid1(VALU_DEP_2)
	v_add_f64 v[39:40], v[63:64], -v[67:68]
	v_add_f64 v[35:36], v[73:74], v[35:36]
	s_delay_alu instid0(VALU_DEP_2) | instskip(NEXT) | instid1(VALU_DEP_2)
	v_add_f64 v[39:40], v[69:70], -v[39:40]
	v_mul_f64 v[35:36], v[37:38], v[35:36]
	s_delay_alu instid0(VALU_DEP_1) | instskip(NEXT) | instid1(VALU_DEP_1)
	v_add_f64 v[35:36], v[39:40], v[35:36]
	v_add_f64 v[37:38], v[63:64], v[35:36]
	s_delay_alu instid0(VALU_DEP_1) | instskip(NEXT) | instid1(VALU_DEP_1)
	v_mul_f64 v[39:40], v[37:38], v[37:38]
	v_fma_f64 v[65:66], v[39:40], s[40:41], s[38:39]
	s_mov_b32 s38, 0xd7f4df2e
	s_mov_b32 s39, 0x3fc7474d
	v_mul_f64 v[67:68], v[37:38], v[39:40]
	s_delay_alu instid0(VALU_DEP_2)
	v_fma_f64 v[65:66], v[39:40], v[65:66], s[38:39]
	s_mov_b32 s38, 0x16291751
	s_mov_b32 s39, 0x3fcc71c0
	s_delay_alu instid0(VALU_DEP_1) | instid1(SALU_CYCLE_1)
	v_fma_f64 v[65:66], v[39:40], v[65:66], s[38:39]
	s_mov_b32 s38, 0x9b27acf1
	s_mov_b32 s39, 0x3fd24924
	s_delay_alu instid0(VALU_DEP_1) | instid1(SALU_CYCLE_1)
	;; [unrolled: 4-line block ×3, first 2 shown]
	v_fma_f64 v[65:66], v[39:40], v[65:66], s[38:39]
	s_delay_alu instid0(VALU_DEP_1) | instskip(SKIP_3) | instid1(VALU_DEP_4)
	v_fma_f64 v[39:40], v[39:40], v[65:66], s[0:1]
	v_ldexp_f64 v[65:66], v[37:38], 1
	v_add_f64 v[37:38], v[37:38], -v[63:64]
	v_cmp_eq_f64_e64 s0, 0x7ff00000, v[25:26]
	v_mul_f64 v[39:40], v[67:68], v[39:40]
	v_cvt_f64_i32_e32 v[67:68], v0
	s_delay_alu instid0(VALU_DEP_4) | instskip(NEXT) | instid1(VALU_DEP_3)
	v_add_f64 v[35:36], v[35:36], -v[37:38]
	v_add_f64 v[63:64], v[65:66], v[39:40]
	s_delay_alu instid0(VALU_DEP_3) | instskip(NEXT) | instid1(VALU_DEP_3)
	v_mul_f64 v[69:70], v[67:68], s[18:19]
	v_ldexp_f64 v[35:36], v[35:36], 1
	s_delay_alu instid0(VALU_DEP_3) | instskip(NEXT) | instid1(VALU_DEP_3)
	v_add_f64 v[37:38], v[63:64], -v[65:66]
	v_fma_f64 v[65:66], v[67:68], s[18:19], -v[69:70]
	s_delay_alu instid0(VALU_DEP_2) | instskip(NEXT) | instid1(VALU_DEP_2)
	v_add_f64 v[37:38], v[39:40], -v[37:38]
	v_fma_f64 v[39:40], v[67:68], s[36:37], v[65:66]
	s_delay_alu instid0(VALU_DEP_2) | instskip(NEXT) | instid1(VALU_DEP_2)
	v_add_f64 v[35:36], v[35:36], v[37:38]
	v_add_f64 v[37:38], v[69:70], v[39:40]
	s_delay_alu instid0(VALU_DEP_2) | instskip(NEXT) | instid1(VALU_DEP_2)
	v_add_f64 v[65:66], v[63:64], v[35:36]
	v_add_f64 v[69:70], v[37:38], -v[69:70]
	s_delay_alu instid0(VALU_DEP_2) | instskip(SKIP_1) | instid1(VALU_DEP_3)
	v_add_f64 v[67:68], v[37:38], v[65:66]
	v_add_f64 v[63:64], v[65:66], -v[63:64]
	v_add_f64 v[39:40], v[39:40], -v[69:70]
	s_delay_alu instid0(VALU_DEP_3) | instskip(NEXT) | instid1(VALU_DEP_3)
	v_add_f64 v[71:72], v[67:68], -v[37:38]
	v_add_f64 v[35:36], v[35:36], -v[63:64]
	s_delay_alu instid0(VALU_DEP_2) | instskip(SKIP_1) | instid1(VALU_DEP_3)
	v_add_f64 v[73:74], v[67:68], -v[71:72]
	v_add_f64 v[63:64], v[65:66], -v[71:72]
	v_add_f64 v[65:66], v[39:40], v[35:36]
	s_delay_alu instid0(VALU_DEP_3) | instskip(NEXT) | instid1(VALU_DEP_1)
	v_add_f64 v[37:38], v[37:38], -v[73:74]
	v_add_f64 v[37:38], v[63:64], v[37:38]
	s_delay_alu instid0(VALU_DEP_3) | instskip(NEXT) | instid1(VALU_DEP_2)
	v_add_f64 v[63:64], v[65:66], -v[39:40]
	v_add_f64 v[37:38], v[65:66], v[37:38]
	s_delay_alu instid0(VALU_DEP_2) | instskip(SKIP_1) | instid1(VALU_DEP_3)
	v_add_f64 v[65:66], v[65:66], -v[63:64]
	v_add_f64 v[35:36], v[35:36], -v[63:64]
	v_add_f64 v[69:70], v[67:68], v[37:38]
	s_delay_alu instid0(VALU_DEP_3) | instskip(NEXT) | instid1(VALU_DEP_2)
	v_add_f64 v[39:40], v[39:40], -v[65:66]
	v_add_f64 v[63:64], v[69:70], -v[67:68]
	s_delay_alu instid0(VALU_DEP_2) | instskip(NEXT) | instid1(VALU_DEP_2)
	v_add_f64 v[35:36], v[35:36], v[39:40]
	v_add_f64 v[37:38], v[37:38], -v[63:64]
	s_delay_alu instid0(VALU_DEP_1) | instskip(NEXT) | instid1(VALU_DEP_1)
	v_add_f64 v[35:36], v[35:36], v[37:38]
	v_add_f64 v[35:36], v[69:70], v[35:36]
	s_delay_alu instid0(VALU_DEP_1) | instskip(NEXT) | instid1(VALU_DEP_2)
	v_cndmask_b32_e64 v0, v35, v25, s0
	v_cndmask_b32_e64 v35, v36, v26, s0
	v_cmp_ngt_f64_e64 s0, -1.0, v[25:26]
	s_delay_alu instid0(VALU_DEP_1) | instskip(SKIP_1) | instid1(VALU_DEP_1)
	v_cndmask_b32_e64 v36, 0x7ff80000, v35, s0
	v_cmp_nge_f64_e64 s0, -1.0, v[25:26]
	v_cndmask_b32_e64 v35, 0, v0, s0
	v_cmp_neq_f64_e64 s0, -1.0, v[25:26]
	s_delay_alu instid0(VALU_DEP_1) | instskip(NEXT) | instid1(VALU_DEP_1)
	v_cndmask_b32_e64 v36, 0xfff00000, v36, s0
	v_add_f64 v[25:26], v[33:34], v[35:36]
.LBB86_114:
	s_or_b32 exec_lo, exec_lo, s17
	s_delay_alu instid0(VALU_DEP_1) | instskip(SKIP_1) | instid1(VALU_DEP_2)
	v_max_f64 v[33:34], v[25:26], v[25:26]
	v_cmp_u_f64_e64 s0, v[25:26], v[25:26]
	v_min_f64 v[35:36], v[33:34], v[41:42]
	v_max_f64 v[33:34], v[33:34], v[41:42]
	s_delay_alu instid0(VALU_DEP_2) | instskip(NEXT) | instid1(VALU_DEP_3)
	v_cndmask_b32_e64 v0, v35, v25, s0
	v_cndmask_b32_e64 v35, v36, v26, s0
	s_delay_alu instid0(VALU_DEP_3) | instskip(NEXT) | instid1(VALU_DEP_4)
	v_cndmask_b32_e64 v34, v34, v26, s0
	v_cndmask_b32_e64 v33, v33, v25, s0
	s_delay_alu instid0(VALU_DEP_3) | instskip(SKIP_1) | instid1(VALU_DEP_4)
	v_cndmask_b32_e64 v36, v35, v28, s21
	v_cndmask_b32_e64 v35, v0, v27, s21
	;; [unrolled: 1-line block ×3, first 2 shown]
	s_delay_alu instid0(VALU_DEP_4) | instskip(SKIP_1) | instid1(VALU_DEP_4)
	v_cndmask_b32_e64 v33, v33, v27, s21
	v_dual_mov_b32 v28, v26 :: v_dual_mov_b32 v27, v25
	v_cmp_class_f64_e64 s1, v[35:36], 0x1f8
	s_delay_alu instid0(VALU_DEP_3) | instskip(NEXT) | instid1(VALU_DEP_1)
	v_cmp_neq_f64_e64 s0, v[35:36], v[33:34]
	s_or_b32 s0, s0, s1
	s_delay_alu instid0(SALU_CYCLE_1)
	s_and_saveexec_b32 s17, s0
	s_cbranch_execz .LBB86_116
; %bb.115:
	v_add_f64 v[27:28], v[35:36], -v[33:34]
	s_mov_b32 s0, 0x652b82fe
	s_mov_b32 s1, 0x3ff71547
	;; [unrolled: 1-line block ×10, first 2 shown]
	s_delay_alu instid0(VALU_DEP_1) | instskip(SKIP_2) | instid1(VALU_DEP_1)
	v_mul_f64 v[35:36], v[27:28], s[0:1]
	s_mov_b32 s0, 0xfca7ab0c
	s_mov_b32 s1, 0x3e928af3
	v_rndne_f64_e32 v[35:36], v[35:36]
	s_delay_alu instid0(VALU_DEP_1) | instskip(SKIP_2) | instid1(VALU_DEP_2)
	v_fma_f64 v[37:38], v[35:36], s[18:19], v[27:28]
	v_cvt_i32_f64_e32 v0, v[35:36]
	s_mov_b32 s19, 0x3fe62e42
	v_fma_f64 v[37:38], v[35:36], s[20:21], v[37:38]
	s_mov_b32 s21, 0x3c7abc9e
	s_delay_alu instid0(VALU_DEP_1) | instskip(SKIP_4) | instid1(VALU_DEP_1)
	v_fma_f64 v[39:40], v[37:38], s[36:37], s[0:1]
	s_mov_b32 s0, 0x623fde64
	s_mov_b32 s1, 0x3ec71dee
	;; [unrolled: 1-line block ×4, first 2 shown]
	v_fma_f64 v[39:40], v[37:38], v[39:40], s[0:1]
	s_mov_b32 s0, 0x7c89e6b0
	s_mov_b32 s1, 0x3efa0199
	s_delay_alu instid0(VALU_DEP_1) | instid1(SALU_CYCLE_1)
	v_fma_f64 v[39:40], v[37:38], v[39:40], s[0:1]
	s_mov_b32 s0, 0x14761f6e
	s_mov_b32 s1, 0x3f2a01a0
	s_delay_alu instid0(VALU_DEP_1) | instid1(SALU_CYCLE_1)
	;; [unrolled: 4-line block ×7, first 2 shown]
	v_fma_f64 v[39:40], v[37:38], v[39:40], s[0:1]
	v_cmp_nlt_f64_e64 s0, 0x40900000, v[27:28]
	v_cmp_ngt_f64_e64 s1, 0xc090cc00, v[27:28]
	s_delay_alu instid0(VALU_DEP_3) | instskip(NEXT) | instid1(VALU_DEP_1)
	v_fma_f64 v[39:40], v[37:38], v[39:40], 1.0
	v_fma_f64 v[35:36], v[37:38], v[39:40], 1.0
	s_delay_alu instid0(VALU_DEP_1) | instskip(NEXT) | instid1(VALU_DEP_1)
	v_ldexp_f64 v[35:36], v[35:36], v0
	v_cndmask_b32_e64 v0, 0x7ff00000, v36, s0
	s_and_b32 s0, s1, s0
	s_delay_alu instid0(VALU_DEP_2) | instid1(SALU_CYCLE_1)
	v_cndmask_b32_e64 v27, 0, v35, s0
	s_mov_b32 s0, 0x55555555
	s_delay_alu instid0(VALU_DEP_2) | instskip(SKIP_1) | instid1(VALU_DEP_1)
	v_cndmask_b32_e64 v28, 0, v0, s1
	s_mov_b32 s1, 0x3fe55555
	v_add_f64 v[35:36], v[27:28], 1.0
	s_delay_alu instid0(VALU_DEP_1) | instskip(SKIP_2) | instid1(VALU_DEP_3)
	v_frexp_mant_f64_e32 v[37:38], v[35:36]
	v_frexp_exp_i32_f64_e32 v0, v[35:36]
	v_add_f64 v[39:40], v[35:36], -1.0
	v_cmp_gt_f64_e64 s0, s[0:1], v[37:38]
	s_delay_alu instid0(VALU_DEP_2) | instskip(SKIP_1) | instid1(VALU_DEP_3)
	v_add_f64 v[37:38], v[39:40], -v[35:36]
	v_add_f64 v[39:40], v[27:28], -v[39:40]
	v_subrev_co_ci_u32_e64 v0, s0, 0, v0, s0
	s_delay_alu instid0(VALU_DEP_3) | instskip(SKIP_1) | instid1(VALU_DEP_2)
	v_add_f64 v[37:38], v[37:38], 1.0
	s_mov_b32 s0, 0x55555780
	v_sub_nc_u32_e32 v63, 0, v0
	s_delay_alu instid0(VALU_DEP_1) | instskip(NEXT) | instid1(VALU_DEP_3)
	v_ldexp_f64 v[35:36], v[35:36], v63
	v_add_f64 v[37:38], v[39:40], v[37:38]
	s_delay_alu instid0(VALU_DEP_2) | instskip(SKIP_1) | instid1(VALU_DEP_3)
	v_add_f64 v[41:42], v[35:36], 1.0
	v_add_f64 v[67:68], v[35:36], -1.0
	v_ldexp_f64 v[37:38], v[37:38], v63
	s_delay_alu instid0(VALU_DEP_3) | instskip(SKIP_1) | instid1(VALU_DEP_3)
	v_add_f64 v[39:40], v[41:42], -1.0
	s_waitcnt lgkmcnt(0)
	v_add_f64 v[69:70], v[67:68], 1.0
	s_delay_alu instid0(VALU_DEP_2) | instskip(NEXT) | instid1(VALU_DEP_2)
	v_add_f64 v[39:40], v[35:36], -v[39:40]
	v_add_f64 v[35:36], v[35:36], -v[69:70]
	s_delay_alu instid0(VALU_DEP_2) | instskip(NEXT) | instid1(VALU_DEP_2)
	v_add_f64 v[39:40], v[37:38], v[39:40]
	v_add_f64 v[35:36], v[37:38], v[35:36]
	s_delay_alu instid0(VALU_DEP_2) | instskip(NEXT) | instid1(VALU_DEP_2)
	v_add_f64 v[63:64], v[41:42], v[39:40]
	v_add_f64 v[69:70], v[67:68], v[35:36]
	s_delay_alu instid0(VALU_DEP_2) | instskip(SKIP_1) | instid1(VALU_DEP_2)
	v_rcp_f64_e32 v[65:66], v[63:64]
	v_add_f64 v[41:42], v[63:64], -v[41:42]
	v_add_f64 v[67:68], v[69:70], -v[67:68]
	s_delay_alu instid0(VALU_DEP_2) | instskip(SKIP_3) | instid1(VALU_DEP_2)
	v_add_f64 v[39:40], v[39:40], -v[41:42]
	s_waitcnt_depctr 0xfff
	v_fma_f64 v[71:72], -v[63:64], v[65:66], 1.0
	v_add_f64 v[35:36], v[35:36], -v[67:68]
	v_fma_f64 v[65:66], v[71:72], v[65:66], v[65:66]
	s_delay_alu instid0(VALU_DEP_1) | instskip(NEXT) | instid1(VALU_DEP_1)
	v_fma_f64 v[37:38], -v[63:64], v[65:66], 1.0
	v_fma_f64 v[37:38], v[37:38], v[65:66], v[65:66]
	s_delay_alu instid0(VALU_DEP_1) | instskip(NEXT) | instid1(VALU_DEP_1)
	v_mul_f64 v[65:66], v[69:70], v[37:38]
	v_mul_f64 v[71:72], v[63:64], v[65:66]
	s_delay_alu instid0(VALU_DEP_1) | instskip(NEXT) | instid1(VALU_DEP_1)
	v_fma_f64 v[41:42], v[65:66], v[63:64], -v[71:72]
	v_fma_f64 v[41:42], v[65:66], v[39:40], v[41:42]
	s_delay_alu instid0(VALU_DEP_1) | instskip(NEXT) | instid1(VALU_DEP_1)
	v_add_f64 v[73:74], v[71:72], v[41:42]
	v_add_f64 v[75:76], v[69:70], -v[73:74]
	v_add_f64 v[67:68], v[73:74], -v[71:72]
	s_delay_alu instid0(VALU_DEP_2) | instskip(NEXT) | instid1(VALU_DEP_2)
	v_add_f64 v[69:70], v[69:70], -v[75:76]
	v_add_f64 v[41:42], v[67:68], -v[41:42]
	s_delay_alu instid0(VALU_DEP_2) | instskip(NEXT) | instid1(VALU_DEP_1)
	v_add_f64 v[69:70], v[69:70], -v[73:74]
	v_add_f64 v[35:36], v[35:36], v[69:70]
	s_delay_alu instid0(VALU_DEP_1) | instskip(NEXT) | instid1(VALU_DEP_1)
	v_add_f64 v[35:36], v[41:42], v[35:36]
	v_add_f64 v[41:42], v[75:76], v[35:36]
	s_delay_alu instid0(VALU_DEP_1) | instskip(SKIP_1) | instid1(VALU_DEP_2)
	v_mul_f64 v[67:68], v[37:38], v[41:42]
	v_add_f64 v[73:74], v[75:76], -v[41:42]
	v_mul_f64 v[69:70], v[63:64], v[67:68]
	s_delay_alu instid0(VALU_DEP_2) | instskip(NEXT) | instid1(VALU_DEP_2)
	v_add_f64 v[35:36], v[35:36], v[73:74]
	v_fma_f64 v[63:64], v[67:68], v[63:64], -v[69:70]
	s_delay_alu instid0(VALU_DEP_1) | instskip(NEXT) | instid1(VALU_DEP_1)
	v_fma_f64 v[39:40], v[67:68], v[39:40], v[63:64]
	v_add_f64 v[63:64], v[69:70], v[39:40]
	s_delay_alu instid0(VALU_DEP_1) | instskip(SKIP_1) | instid1(VALU_DEP_2)
	v_add_f64 v[71:72], v[41:42], -v[63:64]
	v_add_f64 v[69:70], v[63:64], -v[69:70]
	;; [unrolled: 1-line block ×3, first 2 shown]
	s_delay_alu instid0(VALU_DEP_2) | instskip(NEXT) | instid1(VALU_DEP_2)
	v_add_f64 v[39:40], v[69:70], -v[39:40]
	v_add_f64 v[41:42], v[41:42], -v[63:64]
	s_delay_alu instid0(VALU_DEP_1) | instskip(SKIP_1) | instid1(VALU_DEP_2)
	v_add_f64 v[35:36], v[35:36], v[41:42]
	v_add_f64 v[41:42], v[65:66], v[67:68]
	;; [unrolled: 1-line block ×3, first 2 shown]
	s_delay_alu instid0(VALU_DEP_2) | instskip(NEXT) | instid1(VALU_DEP_2)
	v_add_f64 v[39:40], v[41:42], -v[65:66]
	v_add_f64 v[35:36], v[71:72], v[35:36]
	s_delay_alu instid0(VALU_DEP_2) | instskip(NEXT) | instid1(VALU_DEP_2)
	v_add_f64 v[39:40], v[67:68], -v[39:40]
	v_mul_f64 v[35:36], v[37:38], v[35:36]
	s_delay_alu instid0(VALU_DEP_1) | instskip(NEXT) | instid1(VALU_DEP_1)
	v_add_f64 v[35:36], v[39:40], v[35:36]
	v_add_f64 v[37:38], v[41:42], v[35:36]
	s_delay_alu instid0(VALU_DEP_1) | instskip(NEXT) | instid1(VALU_DEP_1)
	v_mul_f64 v[39:40], v[37:38], v[37:38]
	v_fma_f64 v[63:64], v[39:40], s[38:39], s[36:37]
	s_mov_b32 s36, 0xd7f4df2e
	s_mov_b32 s37, 0x3fc7474d
	v_mul_f64 v[65:66], v[37:38], v[39:40]
	s_delay_alu instid0(VALU_DEP_2)
	v_fma_f64 v[63:64], v[39:40], v[63:64], s[36:37]
	s_mov_b32 s36, 0x16291751
	s_mov_b32 s37, 0x3fcc71c0
	s_delay_alu instid0(VALU_DEP_1) | instid1(SALU_CYCLE_1)
	v_fma_f64 v[63:64], v[39:40], v[63:64], s[36:37]
	s_mov_b32 s36, 0x9b27acf1
	s_mov_b32 s37, 0x3fd24924
	s_delay_alu instid0(VALU_DEP_1) | instid1(SALU_CYCLE_1)
	;; [unrolled: 4-line block ×3, first 2 shown]
	v_fma_f64 v[63:64], v[39:40], v[63:64], s[36:37]
	s_delay_alu instid0(VALU_DEP_1) | instskip(SKIP_3) | instid1(VALU_DEP_4)
	v_fma_f64 v[39:40], v[39:40], v[63:64], s[0:1]
	v_ldexp_f64 v[63:64], v[37:38], 1
	v_add_f64 v[37:38], v[37:38], -v[41:42]
	v_cmp_eq_f64_e64 s0, 0x7ff00000, v[27:28]
	v_mul_f64 v[39:40], v[65:66], v[39:40]
	v_cvt_f64_i32_e32 v[65:66], v0
	s_delay_alu instid0(VALU_DEP_4) | instskip(NEXT) | instid1(VALU_DEP_3)
	v_add_f64 v[35:36], v[35:36], -v[37:38]
	v_add_f64 v[41:42], v[63:64], v[39:40]
	s_delay_alu instid0(VALU_DEP_3) | instskip(NEXT) | instid1(VALU_DEP_3)
	v_mul_f64 v[67:68], v[65:66], s[18:19]
	v_ldexp_f64 v[35:36], v[35:36], 1
	s_delay_alu instid0(VALU_DEP_3) | instskip(NEXT) | instid1(VALU_DEP_3)
	v_add_f64 v[37:38], v[41:42], -v[63:64]
	v_fma_f64 v[63:64], v[65:66], s[18:19], -v[67:68]
	s_delay_alu instid0(VALU_DEP_2) | instskip(NEXT) | instid1(VALU_DEP_2)
	v_add_f64 v[37:38], v[39:40], -v[37:38]
	v_fma_f64 v[39:40], v[65:66], s[20:21], v[63:64]
	s_delay_alu instid0(VALU_DEP_2) | instskip(NEXT) | instid1(VALU_DEP_2)
	v_add_f64 v[35:36], v[35:36], v[37:38]
	v_add_f64 v[37:38], v[67:68], v[39:40]
	s_delay_alu instid0(VALU_DEP_2) | instskip(NEXT) | instid1(VALU_DEP_2)
	v_add_f64 v[63:64], v[41:42], v[35:36]
	v_add_f64 v[67:68], v[37:38], -v[67:68]
	s_delay_alu instid0(VALU_DEP_2) | instskip(SKIP_1) | instid1(VALU_DEP_3)
	v_add_f64 v[65:66], v[37:38], v[63:64]
	v_add_f64 v[41:42], v[63:64], -v[41:42]
	v_add_f64 v[39:40], v[39:40], -v[67:68]
	s_delay_alu instid0(VALU_DEP_3) | instskip(NEXT) | instid1(VALU_DEP_3)
	v_add_f64 v[69:70], v[65:66], -v[37:38]
	v_add_f64 v[35:36], v[35:36], -v[41:42]
	s_delay_alu instid0(VALU_DEP_2) | instskip(SKIP_1) | instid1(VALU_DEP_3)
	v_add_f64 v[71:72], v[65:66], -v[69:70]
	v_add_f64 v[41:42], v[63:64], -v[69:70]
	v_add_f64 v[63:64], v[39:40], v[35:36]
	s_delay_alu instid0(VALU_DEP_3) | instskip(NEXT) | instid1(VALU_DEP_1)
	v_add_f64 v[37:38], v[37:38], -v[71:72]
	v_add_f64 v[37:38], v[41:42], v[37:38]
	s_delay_alu instid0(VALU_DEP_3) | instskip(NEXT) | instid1(VALU_DEP_2)
	v_add_f64 v[41:42], v[63:64], -v[39:40]
	v_add_f64 v[37:38], v[63:64], v[37:38]
	s_delay_alu instid0(VALU_DEP_2) | instskip(SKIP_1) | instid1(VALU_DEP_3)
	v_add_f64 v[63:64], v[63:64], -v[41:42]
	v_add_f64 v[35:36], v[35:36], -v[41:42]
	v_add_f64 v[67:68], v[65:66], v[37:38]
	s_delay_alu instid0(VALU_DEP_3) | instskip(NEXT) | instid1(VALU_DEP_2)
	v_add_f64 v[39:40], v[39:40], -v[63:64]
	v_add_f64 v[41:42], v[67:68], -v[65:66]
	s_delay_alu instid0(VALU_DEP_2) | instskip(NEXT) | instid1(VALU_DEP_2)
	v_add_f64 v[35:36], v[35:36], v[39:40]
	v_add_f64 v[37:38], v[37:38], -v[41:42]
	s_delay_alu instid0(VALU_DEP_1) | instskip(NEXT) | instid1(VALU_DEP_1)
	v_add_f64 v[35:36], v[35:36], v[37:38]
	v_add_f64 v[35:36], v[67:68], v[35:36]
	s_delay_alu instid0(VALU_DEP_1) | instskip(NEXT) | instid1(VALU_DEP_2)
	v_cndmask_b32_e64 v0, v35, v27, s0
	v_cndmask_b32_e64 v35, v36, v28, s0
	v_cmp_ngt_f64_e64 s0, -1.0, v[27:28]
	s_delay_alu instid0(VALU_DEP_1) | instskip(SKIP_1) | instid1(VALU_DEP_1)
	v_cndmask_b32_e64 v36, 0x7ff80000, v35, s0
	v_cmp_nge_f64_e64 s0, -1.0, v[27:28]
	v_cndmask_b32_e64 v35, 0, v0, s0
	v_cmp_neq_f64_e64 s0, -1.0, v[27:28]
	s_delay_alu instid0(VALU_DEP_1) | instskip(NEXT) | instid1(VALU_DEP_1)
	v_cndmask_b32_e64 v36, 0xfff00000, v36, s0
	v_add_f64 v[27:28], v[33:34], v[35:36]
.LBB86_116:
	s_or_b32 exec_lo, exec_lo, s17
	s_delay_alu instid0(VALU_DEP_1) | instskip(SKIP_1) | instid1(VALU_DEP_2)
	v_max_f64 v[33:34], v[27:28], v[27:28]
	v_cmp_u_f64_e64 s0, v[27:28], v[27:28]
	v_min_f64 v[35:36], v[33:34], v[43:44]
	v_max_f64 v[33:34], v[33:34], v[43:44]
	s_delay_alu instid0(VALU_DEP_2) | instskip(NEXT) | instid1(VALU_DEP_3)
	v_cndmask_b32_e64 v0, v35, v27, s0
	v_cndmask_b32_e64 v35, v36, v28, s0
	s_delay_alu instid0(VALU_DEP_3) | instskip(NEXT) | instid1(VALU_DEP_4)
	v_cndmask_b32_e64 v34, v34, v28, s0
	v_cndmask_b32_e64 v33, v33, v27, s0
	s_delay_alu instid0(VALU_DEP_3) | instskip(SKIP_1) | instid1(VALU_DEP_4)
	v_cndmask_b32_e64 v36, v35, v22, s22
	v_cndmask_b32_e64 v35, v0, v21, s22
	;; [unrolled: 1-line block ×3, first 2 shown]
	s_delay_alu instid0(VALU_DEP_4) | instskip(SKIP_1) | instid1(VALU_DEP_4)
	v_cndmask_b32_e64 v33, v33, v21, s22
	v_dual_mov_b32 v21, v27 :: v_dual_mov_b32 v22, v28
	v_cmp_class_f64_e64 s1, v[35:36], 0x1f8
	s_delay_alu instid0(VALU_DEP_3) | instskip(NEXT) | instid1(VALU_DEP_1)
	v_cmp_neq_f64_e64 s0, v[35:36], v[33:34]
	s_or_b32 s0, s0, s1
	s_delay_alu instid0(SALU_CYCLE_1)
	s_and_saveexec_b32 s17, s0
	s_cbranch_execz .LBB86_118
; %bb.117:
	v_add_f64 v[21:22], v[35:36], -v[33:34]
	s_mov_b32 s0, 0x652b82fe
	s_mov_b32 s1, 0x3ff71547
	s_mov_b32 s19, 0xbfe62e42
	s_mov_b32 s18, 0xfefa39ef
	s_mov_b32 s21, 0xbc7abc9e
	s_mov_b32 s20, 0x3b39803f
	s_mov_b32 s36, 0x6a5dcb37
	s_mov_b32 s37, 0x3e5ade15
	s_mov_b32 s38, 0xbf559e2b
	s_mov_b32 s39, 0x3fc3ab76
	s_delay_alu instid0(VALU_DEP_1) | instskip(SKIP_2) | instid1(VALU_DEP_1)
	v_mul_f64 v[35:36], v[21:22], s[0:1]
	s_mov_b32 s0, 0xfca7ab0c
	s_mov_b32 s1, 0x3e928af3
	v_rndne_f64_e32 v[35:36], v[35:36]
	s_delay_alu instid0(VALU_DEP_1) | instskip(SKIP_2) | instid1(VALU_DEP_2)
	v_fma_f64 v[37:38], v[35:36], s[18:19], v[21:22]
	v_cvt_i32_f64_e32 v0, v[35:36]
	s_mov_b32 s19, 0x3fe62e42
	v_fma_f64 v[37:38], v[35:36], s[20:21], v[37:38]
	s_mov_b32 s21, 0x3c7abc9e
	s_delay_alu instid0(VALU_DEP_1) | instskip(SKIP_4) | instid1(VALU_DEP_1)
	v_fma_f64 v[39:40], v[37:38], s[36:37], s[0:1]
	s_mov_b32 s0, 0x623fde64
	s_mov_b32 s1, 0x3ec71dee
	s_mov_b32 s36, 0x6b47b09a
	s_mov_b32 s37, 0x3fc38538
	v_fma_f64 v[39:40], v[37:38], v[39:40], s[0:1]
	s_mov_b32 s0, 0x7c89e6b0
	s_mov_b32 s1, 0x3efa0199
	s_delay_alu instid0(VALU_DEP_1) | instid1(SALU_CYCLE_1)
	v_fma_f64 v[39:40], v[37:38], v[39:40], s[0:1]
	s_mov_b32 s0, 0x14761f6e
	s_mov_b32 s1, 0x3f2a01a0
	s_delay_alu instid0(VALU_DEP_1) | instid1(SALU_CYCLE_1)
	;; [unrolled: 4-line block ×7, first 2 shown]
	v_fma_f64 v[39:40], v[37:38], v[39:40], s[0:1]
	v_cmp_nlt_f64_e64 s0, 0x40900000, v[21:22]
	v_cmp_ngt_f64_e64 s1, 0xc090cc00, v[21:22]
	s_delay_alu instid0(VALU_DEP_3) | instskip(NEXT) | instid1(VALU_DEP_1)
	v_fma_f64 v[39:40], v[37:38], v[39:40], 1.0
	v_fma_f64 v[35:36], v[37:38], v[39:40], 1.0
	s_delay_alu instid0(VALU_DEP_1) | instskip(NEXT) | instid1(VALU_DEP_1)
	v_ldexp_f64 v[35:36], v[35:36], v0
	v_cndmask_b32_e64 v0, 0x7ff00000, v36, s0
	s_and_b32 s0, s1, s0
	s_delay_alu instid0(VALU_DEP_2) | instid1(SALU_CYCLE_1)
	v_cndmask_b32_e64 v21, 0, v35, s0
	s_mov_b32 s0, 0x55555555
	s_delay_alu instid0(VALU_DEP_2) | instskip(SKIP_1) | instid1(VALU_DEP_1)
	v_cndmask_b32_e64 v22, 0, v0, s1
	s_mov_b32 s1, 0x3fe55555
	v_add_f64 v[35:36], v[21:22], 1.0
	s_delay_alu instid0(VALU_DEP_1) | instskip(SKIP_2) | instid1(VALU_DEP_3)
	v_frexp_mant_f64_e32 v[37:38], v[35:36]
	v_frexp_exp_i32_f64_e32 v0, v[35:36]
	v_add_f64 v[39:40], v[35:36], -1.0
	v_cmp_gt_f64_e64 s0, s[0:1], v[37:38]
	s_delay_alu instid0(VALU_DEP_2) | instskip(SKIP_1) | instid1(VALU_DEP_3)
	v_add_f64 v[37:38], v[39:40], -v[35:36]
	v_add_f64 v[39:40], v[21:22], -v[39:40]
	v_subrev_co_ci_u32_e64 v0, s0, 0, v0, s0
	s_delay_alu instid0(VALU_DEP_3) | instskip(SKIP_1) | instid1(VALU_DEP_2)
	v_add_f64 v[37:38], v[37:38], 1.0
	s_mov_b32 s0, 0x55555780
	v_sub_nc_u32_e32 v43, 0, v0
	s_delay_alu instid0(VALU_DEP_1) | instskip(NEXT) | instid1(VALU_DEP_3)
	v_ldexp_f64 v[35:36], v[35:36], v43
	v_add_f64 v[37:38], v[39:40], v[37:38]
	s_delay_alu instid0(VALU_DEP_2) | instskip(SKIP_1) | instid1(VALU_DEP_3)
	v_add_f64 v[41:42], v[35:36], 1.0
	v_add_f64 v[65:66], v[35:36], -1.0
	v_ldexp_f64 v[37:38], v[37:38], v43
	s_delay_alu instid0(VALU_DEP_3) | instskip(NEXT) | instid1(VALU_DEP_3)
	v_add_f64 v[39:40], v[41:42], -1.0
	v_add_f64 v[67:68], v[65:66], 1.0
	s_delay_alu instid0(VALU_DEP_2) | instskip(NEXT) | instid1(VALU_DEP_2)
	v_add_f64 v[39:40], v[35:36], -v[39:40]
	v_add_f64 v[35:36], v[35:36], -v[67:68]
	s_delay_alu instid0(VALU_DEP_2) | instskip(NEXT) | instid1(VALU_DEP_2)
	v_add_f64 v[39:40], v[37:38], v[39:40]
	v_add_f64 v[35:36], v[37:38], v[35:36]
	s_delay_alu instid0(VALU_DEP_2) | instskip(NEXT) | instid1(VALU_DEP_2)
	v_add_f64 v[43:44], v[41:42], v[39:40]
	v_add_f64 v[67:68], v[65:66], v[35:36]
	s_delay_alu instid0(VALU_DEP_2) | instskip(SKIP_1) | instid1(VALU_DEP_2)
	v_rcp_f64_e32 v[63:64], v[43:44]
	v_add_f64 v[41:42], v[43:44], -v[41:42]
	v_add_f64 v[65:66], v[67:68], -v[65:66]
	s_delay_alu instid0(VALU_DEP_2) | instskip(SKIP_4) | instid1(VALU_DEP_2)
	v_add_f64 v[39:40], v[39:40], -v[41:42]
	s_waitcnt lgkmcnt(0)
	s_waitcnt_depctr 0xfff
	v_fma_f64 v[69:70], -v[43:44], v[63:64], 1.0
	v_add_f64 v[35:36], v[35:36], -v[65:66]
	v_fma_f64 v[63:64], v[69:70], v[63:64], v[63:64]
	s_delay_alu instid0(VALU_DEP_1) | instskip(NEXT) | instid1(VALU_DEP_1)
	v_fma_f64 v[37:38], -v[43:44], v[63:64], 1.0
	v_fma_f64 v[37:38], v[37:38], v[63:64], v[63:64]
	s_delay_alu instid0(VALU_DEP_1) | instskip(NEXT) | instid1(VALU_DEP_1)
	v_mul_f64 v[63:64], v[67:68], v[37:38]
	v_mul_f64 v[69:70], v[43:44], v[63:64]
	s_delay_alu instid0(VALU_DEP_1) | instskip(NEXT) | instid1(VALU_DEP_1)
	v_fma_f64 v[41:42], v[63:64], v[43:44], -v[69:70]
	v_fma_f64 v[41:42], v[63:64], v[39:40], v[41:42]
	s_delay_alu instid0(VALU_DEP_1) | instskip(NEXT) | instid1(VALU_DEP_1)
	v_add_f64 v[71:72], v[69:70], v[41:42]
	v_add_f64 v[73:74], v[67:68], -v[71:72]
	v_add_f64 v[65:66], v[71:72], -v[69:70]
	s_delay_alu instid0(VALU_DEP_2) | instskip(NEXT) | instid1(VALU_DEP_2)
	v_add_f64 v[67:68], v[67:68], -v[73:74]
	v_add_f64 v[41:42], v[65:66], -v[41:42]
	s_delay_alu instid0(VALU_DEP_2) | instskip(NEXT) | instid1(VALU_DEP_1)
	v_add_f64 v[67:68], v[67:68], -v[71:72]
	v_add_f64 v[35:36], v[35:36], v[67:68]
	s_delay_alu instid0(VALU_DEP_1) | instskip(NEXT) | instid1(VALU_DEP_1)
	v_add_f64 v[35:36], v[41:42], v[35:36]
	v_add_f64 v[41:42], v[73:74], v[35:36]
	s_delay_alu instid0(VALU_DEP_1) | instskip(SKIP_1) | instid1(VALU_DEP_2)
	v_mul_f64 v[65:66], v[37:38], v[41:42]
	v_add_f64 v[71:72], v[73:74], -v[41:42]
	v_mul_f64 v[67:68], v[43:44], v[65:66]
	s_delay_alu instid0(VALU_DEP_2) | instskip(NEXT) | instid1(VALU_DEP_2)
	v_add_f64 v[35:36], v[35:36], v[71:72]
	v_fma_f64 v[43:44], v[65:66], v[43:44], -v[67:68]
	s_delay_alu instid0(VALU_DEP_1) | instskip(NEXT) | instid1(VALU_DEP_1)
	v_fma_f64 v[39:40], v[65:66], v[39:40], v[43:44]
	v_add_f64 v[43:44], v[67:68], v[39:40]
	s_delay_alu instid0(VALU_DEP_1) | instskip(SKIP_1) | instid1(VALU_DEP_2)
	v_add_f64 v[69:70], v[41:42], -v[43:44]
	v_add_f64 v[67:68], v[43:44], -v[67:68]
	v_add_f64 v[41:42], v[41:42], -v[69:70]
	s_delay_alu instid0(VALU_DEP_2) | instskip(NEXT) | instid1(VALU_DEP_2)
	v_add_f64 v[39:40], v[67:68], -v[39:40]
	v_add_f64 v[41:42], v[41:42], -v[43:44]
	s_delay_alu instid0(VALU_DEP_1) | instskip(SKIP_1) | instid1(VALU_DEP_2)
	v_add_f64 v[35:36], v[35:36], v[41:42]
	v_add_f64 v[41:42], v[63:64], v[65:66]
	;; [unrolled: 1-line block ×3, first 2 shown]
	s_delay_alu instid0(VALU_DEP_2) | instskip(NEXT) | instid1(VALU_DEP_2)
	v_add_f64 v[39:40], v[41:42], -v[63:64]
	v_add_f64 v[35:36], v[69:70], v[35:36]
	s_delay_alu instid0(VALU_DEP_2) | instskip(NEXT) | instid1(VALU_DEP_2)
	v_add_f64 v[39:40], v[65:66], -v[39:40]
	v_mul_f64 v[35:36], v[37:38], v[35:36]
	s_delay_alu instid0(VALU_DEP_1) | instskip(NEXT) | instid1(VALU_DEP_1)
	v_add_f64 v[35:36], v[39:40], v[35:36]
	v_add_f64 v[37:38], v[41:42], v[35:36]
	s_delay_alu instid0(VALU_DEP_1) | instskip(NEXT) | instid1(VALU_DEP_1)
	v_mul_f64 v[39:40], v[37:38], v[37:38]
	v_fma_f64 v[43:44], v[39:40], s[38:39], s[36:37]
	s_mov_b32 s36, 0xd7f4df2e
	s_mov_b32 s37, 0x3fc7474d
	v_mul_f64 v[63:64], v[37:38], v[39:40]
	s_delay_alu instid0(VALU_DEP_2)
	v_fma_f64 v[43:44], v[39:40], v[43:44], s[36:37]
	s_mov_b32 s36, 0x16291751
	s_mov_b32 s37, 0x3fcc71c0
	s_delay_alu instid0(VALU_DEP_1) | instid1(SALU_CYCLE_1)
	v_fma_f64 v[43:44], v[39:40], v[43:44], s[36:37]
	s_mov_b32 s36, 0x9b27acf1
	s_mov_b32 s37, 0x3fd24924
	s_delay_alu instid0(VALU_DEP_1) | instid1(SALU_CYCLE_1)
	;; [unrolled: 4-line block ×3, first 2 shown]
	v_fma_f64 v[43:44], v[39:40], v[43:44], s[36:37]
	s_delay_alu instid0(VALU_DEP_1) | instskip(SKIP_3) | instid1(VALU_DEP_4)
	v_fma_f64 v[39:40], v[39:40], v[43:44], s[0:1]
	v_ldexp_f64 v[43:44], v[37:38], 1
	v_add_f64 v[37:38], v[37:38], -v[41:42]
	v_cmp_eq_f64_e64 s0, 0x7ff00000, v[21:22]
	v_mul_f64 v[39:40], v[63:64], v[39:40]
	v_cvt_f64_i32_e32 v[63:64], v0
	s_delay_alu instid0(VALU_DEP_4) | instskip(NEXT) | instid1(VALU_DEP_3)
	v_add_f64 v[35:36], v[35:36], -v[37:38]
	v_add_f64 v[41:42], v[43:44], v[39:40]
	s_delay_alu instid0(VALU_DEP_3) | instskip(NEXT) | instid1(VALU_DEP_3)
	v_mul_f64 v[65:66], v[63:64], s[18:19]
	v_ldexp_f64 v[35:36], v[35:36], 1
	s_delay_alu instid0(VALU_DEP_3) | instskip(NEXT) | instid1(VALU_DEP_3)
	v_add_f64 v[37:38], v[41:42], -v[43:44]
	v_fma_f64 v[43:44], v[63:64], s[18:19], -v[65:66]
	s_delay_alu instid0(VALU_DEP_2) | instskip(NEXT) | instid1(VALU_DEP_2)
	v_add_f64 v[37:38], v[39:40], -v[37:38]
	v_fma_f64 v[39:40], v[63:64], s[20:21], v[43:44]
	s_delay_alu instid0(VALU_DEP_2) | instskip(NEXT) | instid1(VALU_DEP_2)
	v_add_f64 v[35:36], v[35:36], v[37:38]
	v_add_f64 v[37:38], v[65:66], v[39:40]
	s_delay_alu instid0(VALU_DEP_2) | instskip(NEXT) | instid1(VALU_DEP_2)
	v_add_f64 v[43:44], v[41:42], v[35:36]
	v_add_f64 v[65:66], v[37:38], -v[65:66]
	s_delay_alu instid0(VALU_DEP_2) | instskip(SKIP_1) | instid1(VALU_DEP_3)
	v_add_f64 v[63:64], v[37:38], v[43:44]
	v_add_f64 v[41:42], v[43:44], -v[41:42]
	v_add_f64 v[39:40], v[39:40], -v[65:66]
	s_delay_alu instid0(VALU_DEP_3) | instskip(NEXT) | instid1(VALU_DEP_3)
	v_add_f64 v[67:68], v[63:64], -v[37:38]
	v_add_f64 v[35:36], v[35:36], -v[41:42]
	s_delay_alu instid0(VALU_DEP_2) | instskip(SKIP_1) | instid1(VALU_DEP_3)
	v_add_f64 v[69:70], v[63:64], -v[67:68]
	v_add_f64 v[41:42], v[43:44], -v[67:68]
	v_add_f64 v[43:44], v[39:40], v[35:36]
	s_delay_alu instid0(VALU_DEP_3) | instskip(NEXT) | instid1(VALU_DEP_1)
	v_add_f64 v[37:38], v[37:38], -v[69:70]
	v_add_f64 v[37:38], v[41:42], v[37:38]
	s_delay_alu instid0(VALU_DEP_3) | instskip(NEXT) | instid1(VALU_DEP_2)
	v_add_f64 v[41:42], v[43:44], -v[39:40]
	v_add_f64 v[37:38], v[43:44], v[37:38]
	s_delay_alu instid0(VALU_DEP_2) | instskip(SKIP_1) | instid1(VALU_DEP_3)
	v_add_f64 v[43:44], v[43:44], -v[41:42]
	v_add_f64 v[35:36], v[35:36], -v[41:42]
	v_add_f64 v[65:66], v[63:64], v[37:38]
	s_delay_alu instid0(VALU_DEP_3) | instskip(NEXT) | instid1(VALU_DEP_2)
	v_add_f64 v[39:40], v[39:40], -v[43:44]
	v_add_f64 v[41:42], v[65:66], -v[63:64]
	s_delay_alu instid0(VALU_DEP_2) | instskip(NEXT) | instid1(VALU_DEP_2)
	v_add_f64 v[35:36], v[35:36], v[39:40]
	v_add_f64 v[37:38], v[37:38], -v[41:42]
	s_delay_alu instid0(VALU_DEP_1) | instskip(NEXT) | instid1(VALU_DEP_1)
	v_add_f64 v[35:36], v[35:36], v[37:38]
	v_add_f64 v[35:36], v[65:66], v[35:36]
	s_delay_alu instid0(VALU_DEP_1) | instskip(NEXT) | instid1(VALU_DEP_2)
	v_cndmask_b32_e64 v0, v35, v21, s0
	v_cndmask_b32_e64 v35, v36, v22, s0
	v_cmp_ngt_f64_e64 s0, -1.0, v[21:22]
	s_delay_alu instid0(VALU_DEP_1) | instskip(SKIP_1) | instid1(VALU_DEP_1)
	v_cndmask_b32_e64 v36, 0x7ff80000, v35, s0
	v_cmp_nge_f64_e64 s0, -1.0, v[21:22]
	v_cndmask_b32_e64 v35, 0, v0, s0
	v_cmp_neq_f64_e64 s0, -1.0, v[21:22]
	s_delay_alu instid0(VALU_DEP_1) | instskip(NEXT) | instid1(VALU_DEP_1)
	v_cndmask_b32_e64 v36, 0xfff00000, v36, s0
	v_add_f64 v[21:22], v[33:34], v[35:36]
.LBB86_118:
	s_or_b32 exec_lo, exec_lo, s17
	s_delay_alu instid0(VALU_DEP_1) | instskip(SKIP_1) | instid1(VALU_DEP_2)
	v_max_f64 v[33:34], v[21:22], v[21:22]
	v_cmp_u_f64_e64 s0, v[21:22], v[21:22]
	v_min_f64 v[35:36], v[33:34], v[45:46]
	v_max_f64 v[33:34], v[33:34], v[45:46]
	s_delay_alu instid0(VALU_DEP_2) | instskip(NEXT) | instid1(VALU_DEP_3)
	v_cndmask_b32_e64 v0, v35, v21, s0
	v_cndmask_b32_e64 v35, v36, v22, s0
	s_delay_alu instid0(VALU_DEP_3) | instskip(NEXT) | instid1(VALU_DEP_4)
	v_cndmask_b32_e64 v34, v34, v22, s0
	v_cndmask_b32_e64 v33, v33, v21, s0
	s_delay_alu instid0(VALU_DEP_3) | instskip(SKIP_1) | instid1(VALU_DEP_4)
	v_cndmask_b32_e64 v36, v35, v24, s23
	v_cndmask_b32_e64 v35, v0, v23, s23
	;; [unrolled: 1-line block ×3, first 2 shown]
	s_delay_alu instid0(VALU_DEP_4) | instskip(SKIP_1) | instid1(VALU_DEP_4)
	v_cndmask_b32_e64 v33, v33, v23, s23
	v_dual_mov_b32 v24, v22 :: v_dual_mov_b32 v23, v21
	v_cmp_class_f64_e64 s1, v[35:36], 0x1f8
	s_delay_alu instid0(VALU_DEP_3) | instskip(NEXT) | instid1(VALU_DEP_1)
	v_cmp_neq_f64_e64 s0, v[35:36], v[33:34]
	s_or_b32 s0, s0, s1
	s_delay_alu instid0(SALU_CYCLE_1)
	s_and_saveexec_b32 s17, s0
	s_cbranch_execz .LBB86_120
; %bb.119:
	v_add_f64 v[23:24], v[35:36], -v[33:34]
	s_mov_b32 s0, 0x652b82fe
	s_mov_b32 s1, 0x3ff71547
	;; [unrolled: 1-line block ×10, first 2 shown]
	s_delay_alu instid0(VALU_DEP_1) | instskip(SKIP_2) | instid1(VALU_DEP_1)
	v_mul_f64 v[35:36], v[23:24], s[0:1]
	s_mov_b32 s0, 0xfca7ab0c
	s_mov_b32 s1, 0x3e928af3
	v_rndne_f64_e32 v[35:36], v[35:36]
	s_delay_alu instid0(VALU_DEP_1) | instskip(SKIP_2) | instid1(VALU_DEP_2)
	v_fma_f64 v[37:38], v[35:36], s[18:19], v[23:24]
	v_cvt_i32_f64_e32 v0, v[35:36]
	s_mov_b32 s19, 0x3fe62e42
	v_fma_f64 v[37:38], v[35:36], s[20:21], v[37:38]
	s_mov_b32 s21, 0x3c7abc9e
	s_delay_alu instid0(VALU_DEP_1) | instskip(SKIP_4) | instid1(VALU_DEP_1)
	v_fma_f64 v[39:40], v[37:38], s[22:23], s[0:1]
	s_mov_b32 s0, 0x623fde64
	s_mov_b32 s1, 0x3ec71dee
	;; [unrolled: 1-line block ×4, first 2 shown]
	v_fma_f64 v[39:40], v[37:38], v[39:40], s[0:1]
	s_mov_b32 s0, 0x7c89e6b0
	s_mov_b32 s1, 0x3efa0199
	s_delay_alu instid0(VALU_DEP_1) | instid1(SALU_CYCLE_1)
	v_fma_f64 v[39:40], v[37:38], v[39:40], s[0:1]
	s_mov_b32 s0, 0x14761f6e
	s_mov_b32 s1, 0x3f2a01a0
	s_delay_alu instid0(VALU_DEP_1) | instid1(SALU_CYCLE_1)
	;; [unrolled: 4-line block ×7, first 2 shown]
	v_fma_f64 v[39:40], v[37:38], v[39:40], s[0:1]
	v_cmp_nlt_f64_e64 s0, 0x40900000, v[23:24]
	v_cmp_ngt_f64_e64 s1, 0xc090cc00, v[23:24]
	s_delay_alu instid0(VALU_DEP_3) | instskip(NEXT) | instid1(VALU_DEP_1)
	v_fma_f64 v[39:40], v[37:38], v[39:40], 1.0
	v_fma_f64 v[35:36], v[37:38], v[39:40], 1.0
	s_delay_alu instid0(VALU_DEP_1) | instskip(NEXT) | instid1(VALU_DEP_1)
	v_ldexp_f64 v[35:36], v[35:36], v0
	v_cndmask_b32_e64 v0, 0x7ff00000, v36, s0
	s_and_b32 s0, s1, s0
	s_delay_alu instid0(VALU_DEP_2) | instid1(SALU_CYCLE_1)
	v_cndmask_b32_e64 v23, 0, v35, s0
	s_mov_b32 s0, 0x55555555
	s_delay_alu instid0(VALU_DEP_2) | instskip(SKIP_1) | instid1(VALU_DEP_1)
	v_cndmask_b32_e64 v24, 0, v0, s1
	s_mov_b32 s1, 0x3fe55555
	v_add_f64 v[35:36], v[23:24], 1.0
	s_delay_alu instid0(VALU_DEP_1) | instskip(SKIP_2) | instid1(VALU_DEP_3)
	v_frexp_mant_f64_e32 v[37:38], v[35:36]
	v_frexp_exp_i32_f64_e32 v0, v[35:36]
	v_add_f64 v[39:40], v[35:36], -1.0
	v_cmp_gt_f64_e64 s0, s[0:1], v[37:38]
	s_delay_alu instid0(VALU_DEP_2) | instskip(SKIP_1) | instid1(VALU_DEP_3)
	v_add_f64 v[37:38], v[39:40], -v[35:36]
	v_add_f64 v[39:40], v[23:24], -v[39:40]
	v_subrev_co_ci_u32_e64 v0, s0, 0, v0, s0
	s_delay_alu instid0(VALU_DEP_3) | instskip(SKIP_1) | instid1(VALU_DEP_2)
	v_add_f64 v[37:38], v[37:38], 1.0
	s_mov_b32 s0, 0x55555780
	v_sub_nc_u32_e32 v43, 0, v0
	s_delay_alu instid0(VALU_DEP_1) | instskip(NEXT) | instid1(VALU_DEP_3)
	v_ldexp_f64 v[35:36], v[35:36], v43
	v_add_f64 v[37:38], v[39:40], v[37:38]
	s_delay_alu instid0(VALU_DEP_2) | instskip(SKIP_1) | instid1(VALU_DEP_3)
	v_add_f64 v[41:42], v[35:36], 1.0
	v_add_f64 v[63:64], v[35:36], -1.0
	v_ldexp_f64 v[37:38], v[37:38], v43
	s_delay_alu instid0(VALU_DEP_3) | instskip(NEXT) | instid1(VALU_DEP_3)
	v_add_f64 v[39:40], v[41:42], -1.0
	v_add_f64 v[65:66], v[63:64], 1.0
	s_delay_alu instid0(VALU_DEP_2) | instskip(NEXT) | instid1(VALU_DEP_2)
	v_add_f64 v[39:40], v[35:36], -v[39:40]
	v_add_f64 v[35:36], v[35:36], -v[65:66]
	s_delay_alu instid0(VALU_DEP_2) | instskip(NEXT) | instid1(VALU_DEP_2)
	v_add_f64 v[39:40], v[37:38], v[39:40]
	v_add_f64 v[35:36], v[37:38], v[35:36]
	s_delay_alu instid0(VALU_DEP_2) | instskip(NEXT) | instid1(VALU_DEP_2)
	v_add_f64 v[43:44], v[41:42], v[39:40]
	v_add_f64 v[65:66], v[63:64], v[35:36]
	s_delay_alu instid0(VALU_DEP_2) | instskip(SKIP_1) | instid1(VALU_DEP_2)
	v_rcp_f64_e32 v[45:46], v[43:44]
	v_add_f64 v[41:42], v[43:44], -v[41:42]
	v_add_f64 v[63:64], v[65:66], -v[63:64]
	s_delay_alu instid0(VALU_DEP_2) | instskip(SKIP_3) | instid1(VALU_DEP_2)
	v_add_f64 v[39:40], v[39:40], -v[41:42]
	s_waitcnt_depctr 0xfff
	v_fma_f64 v[67:68], -v[43:44], v[45:46], 1.0
	v_add_f64 v[35:36], v[35:36], -v[63:64]
	v_fma_f64 v[45:46], v[67:68], v[45:46], v[45:46]
	s_delay_alu instid0(VALU_DEP_1) | instskip(NEXT) | instid1(VALU_DEP_1)
	v_fma_f64 v[37:38], -v[43:44], v[45:46], 1.0
	v_fma_f64 v[37:38], v[37:38], v[45:46], v[45:46]
	s_delay_alu instid0(VALU_DEP_1) | instskip(NEXT) | instid1(VALU_DEP_1)
	v_mul_f64 v[45:46], v[65:66], v[37:38]
	v_mul_f64 v[67:68], v[43:44], v[45:46]
	s_delay_alu instid0(VALU_DEP_1) | instskip(NEXT) | instid1(VALU_DEP_1)
	v_fma_f64 v[41:42], v[45:46], v[43:44], -v[67:68]
	v_fma_f64 v[41:42], v[45:46], v[39:40], v[41:42]
	s_waitcnt lgkmcnt(0)
	s_delay_alu instid0(VALU_DEP_1) | instskip(NEXT) | instid1(VALU_DEP_1)
	v_add_f64 v[69:70], v[67:68], v[41:42]
	v_add_f64 v[71:72], v[65:66], -v[69:70]
	v_add_f64 v[63:64], v[69:70], -v[67:68]
	s_delay_alu instid0(VALU_DEP_2) | instskip(NEXT) | instid1(VALU_DEP_2)
	v_add_f64 v[65:66], v[65:66], -v[71:72]
	v_add_f64 v[41:42], v[63:64], -v[41:42]
	s_delay_alu instid0(VALU_DEP_2) | instskip(NEXT) | instid1(VALU_DEP_1)
	v_add_f64 v[65:66], v[65:66], -v[69:70]
	v_add_f64 v[35:36], v[35:36], v[65:66]
	s_delay_alu instid0(VALU_DEP_1) | instskip(NEXT) | instid1(VALU_DEP_1)
	v_add_f64 v[35:36], v[41:42], v[35:36]
	v_add_f64 v[41:42], v[71:72], v[35:36]
	s_delay_alu instid0(VALU_DEP_1) | instskip(SKIP_1) | instid1(VALU_DEP_2)
	v_mul_f64 v[63:64], v[37:38], v[41:42]
	v_add_f64 v[69:70], v[71:72], -v[41:42]
	v_mul_f64 v[65:66], v[43:44], v[63:64]
	s_delay_alu instid0(VALU_DEP_2) | instskip(NEXT) | instid1(VALU_DEP_2)
	v_add_f64 v[35:36], v[35:36], v[69:70]
	v_fma_f64 v[43:44], v[63:64], v[43:44], -v[65:66]
	s_delay_alu instid0(VALU_DEP_1) | instskip(NEXT) | instid1(VALU_DEP_1)
	v_fma_f64 v[39:40], v[63:64], v[39:40], v[43:44]
	v_add_f64 v[43:44], v[65:66], v[39:40]
	s_delay_alu instid0(VALU_DEP_1) | instskip(SKIP_1) | instid1(VALU_DEP_2)
	v_add_f64 v[67:68], v[41:42], -v[43:44]
	v_add_f64 v[65:66], v[43:44], -v[65:66]
	;; [unrolled: 1-line block ×3, first 2 shown]
	s_delay_alu instid0(VALU_DEP_2) | instskip(NEXT) | instid1(VALU_DEP_2)
	v_add_f64 v[39:40], v[65:66], -v[39:40]
	v_add_f64 v[41:42], v[41:42], -v[43:44]
	s_delay_alu instid0(VALU_DEP_1) | instskip(SKIP_1) | instid1(VALU_DEP_2)
	v_add_f64 v[35:36], v[35:36], v[41:42]
	v_add_f64 v[41:42], v[45:46], v[63:64]
	;; [unrolled: 1-line block ×3, first 2 shown]
	s_delay_alu instid0(VALU_DEP_2) | instskip(NEXT) | instid1(VALU_DEP_2)
	v_add_f64 v[39:40], v[41:42], -v[45:46]
	v_add_f64 v[35:36], v[67:68], v[35:36]
	s_delay_alu instid0(VALU_DEP_2) | instskip(NEXT) | instid1(VALU_DEP_2)
	v_add_f64 v[39:40], v[63:64], -v[39:40]
	v_mul_f64 v[35:36], v[37:38], v[35:36]
	s_delay_alu instid0(VALU_DEP_1) | instskip(NEXT) | instid1(VALU_DEP_1)
	v_add_f64 v[35:36], v[39:40], v[35:36]
	v_add_f64 v[37:38], v[41:42], v[35:36]
	s_delay_alu instid0(VALU_DEP_1) | instskip(NEXT) | instid1(VALU_DEP_1)
	v_mul_f64 v[39:40], v[37:38], v[37:38]
	v_fma_f64 v[43:44], v[39:40], s[36:37], s[22:23]
	s_mov_b32 s22, 0xd7f4df2e
	s_mov_b32 s23, 0x3fc7474d
	v_mul_f64 v[45:46], v[37:38], v[39:40]
	s_delay_alu instid0(VALU_DEP_2)
	v_fma_f64 v[43:44], v[39:40], v[43:44], s[22:23]
	s_mov_b32 s22, 0x16291751
	s_mov_b32 s23, 0x3fcc71c0
	s_delay_alu instid0(VALU_DEP_1) | instid1(SALU_CYCLE_1)
	v_fma_f64 v[43:44], v[39:40], v[43:44], s[22:23]
	s_mov_b32 s22, 0x9b27acf1
	s_mov_b32 s23, 0x3fd24924
	s_delay_alu instid0(VALU_DEP_1) | instid1(SALU_CYCLE_1)
	v_fma_f64 v[43:44], v[39:40], v[43:44], s[22:23]
	s_mov_b32 s22, 0x998ef7b6
	s_mov_b32 s23, 0x3fd99999
	s_delay_alu instid0(VALU_DEP_1) | instid1(SALU_CYCLE_1)
	v_fma_f64 v[43:44], v[39:40], v[43:44], s[22:23]
	s_delay_alu instid0(VALU_DEP_1) | instskip(SKIP_3) | instid1(VALU_DEP_4)
	v_fma_f64 v[39:40], v[39:40], v[43:44], s[0:1]
	v_ldexp_f64 v[43:44], v[37:38], 1
	v_add_f64 v[37:38], v[37:38], -v[41:42]
	v_cmp_eq_f64_e64 s0, 0x7ff00000, v[23:24]
	v_mul_f64 v[39:40], v[45:46], v[39:40]
	v_cvt_f64_i32_e32 v[45:46], v0
	s_delay_alu instid0(VALU_DEP_4) | instskip(NEXT) | instid1(VALU_DEP_3)
	v_add_f64 v[35:36], v[35:36], -v[37:38]
	v_add_f64 v[41:42], v[43:44], v[39:40]
	s_delay_alu instid0(VALU_DEP_3) | instskip(NEXT) | instid1(VALU_DEP_3)
	v_mul_f64 v[63:64], v[45:46], s[18:19]
	v_ldexp_f64 v[35:36], v[35:36], 1
	s_delay_alu instid0(VALU_DEP_3) | instskip(NEXT) | instid1(VALU_DEP_3)
	v_add_f64 v[37:38], v[41:42], -v[43:44]
	v_fma_f64 v[43:44], v[45:46], s[18:19], -v[63:64]
	s_delay_alu instid0(VALU_DEP_2) | instskip(NEXT) | instid1(VALU_DEP_2)
	v_add_f64 v[37:38], v[39:40], -v[37:38]
	v_fma_f64 v[39:40], v[45:46], s[20:21], v[43:44]
	s_delay_alu instid0(VALU_DEP_2) | instskip(NEXT) | instid1(VALU_DEP_2)
	v_add_f64 v[35:36], v[35:36], v[37:38]
	v_add_f64 v[37:38], v[63:64], v[39:40]
	s_delay_alu instid0(VALU_DEP_2) | instskip(NEXT) | instid1(VALU_DEP_2)
	v_add_f64 v[43:44], v[41:42], v[35:36]
	v_add_f64 v[63:64], v[37:38], -v[63:64]
	s_delay_alu instid0(VALU_DEP_2) | instskip(SKIP_1) | instid1(VALU_DEP_3)
	v_add_f64 v[45:46], v[37:38], v[43:44]
	v_add_f64 v[41:42], v[43:44], -v[41:42]
	v_add_f64 v[39:40], v[39:40], -v[63:64]
	s_delay_alu instid0(VALU_DEP_3) | instskip(NEXT) | instid1(VALU_DEP_3)
	v_add_f64 v[65:66], v[45:46], -v[37:38]
	v_add_f64 v[35:36], v[35:36], -v[41:42]
	s_delay_alu instid0(VALU_DEP_2) | instskip(SKIP_1) | instid1(VALU_DEP_3)
	v_add_f64 v[67:68], v[45:46], -v[65:66]
	v_add_f64 v[41:42], v[43:44], -v[65:66]
	v_add_f64 v[43:44], v[39:40], v[35:36]
	s_delay_alu instid0(VALU_DEP_3) | instskip(NEXT) | instid1(VALU_DEP_1)
	v_add_f64 v[37:38], v[37:38], -v[67:68]
	v_add_f64 v[37:38], v[41:42], v[37:38]
	s_delay_alu instid0(VALU_DEP_3) | instskip(NEXT) | instid1(VALU_DEP_2)
	v_add_f64 v[41:42], v[43:44], -v[39:40]
	v_add_f64 v[37:38], v[43:44], v[37:38]
	s_delay_alu instid0(VALU_DEP_2) | instskip(SKIP_1) | instid1(VALU_DEP_3)
	v_add_f64 v[43:44], v[43:44], -v[41:42]
	v_add_f64 v[35:36], v[35:36], -v[41:42]
	v_add_f64 v[63:64], v[45:46], v[37:38]
	s_delay_alu instid0(VALU_DEP_3) | instskip(NEXT) | instid1(VALU_DEP_2)
	v_add_f64 v[39:40], v[39:40], -v[43:44]
	v_add_f64 v[41:42], v[63:64], -v[45:46]
	s_delay_alu instid0(VALU_DEP_2) | instskip(NEXT) | instid1(VALU_DEP_2)
	v_add_f64 v[35:36], v[35:36], v[39:40]
	v_add_f64 v[37:38], v[37:38], -v[41:42]
	s_delay_alu instid0(VALU_DEP_1) | instskip(NEXT) | instid1(VALU_DEP_1)
	v_add_f64 v[35:36], v[35:36], v[37:38]
	v_add_f64 v[35:36], v[63:64], v[35:36]
	s_delay_alu instid0(VALU_DEP_1) | instskip(NEXT) | instid1(VALU_DEP_2)
	v_cndmask_b32_e64 v0, v35, v23, s0
	v_cndmask_b32_e64 v35, v36, v24, s0
	v_cmp_ngt_f64_e64 s0, -1.0, v[23:24]
	s_delay_alu instid0(VALU_DEP_1) | instskip(SKIP_1) | instid1(VALU_DEP_1)
	v_cndmask_b32_e64 v36, 0x7ff80000, v35, s0
	v_cmp_nge_f64_e64 s0, -1.0, v[23:24]
	v_cndmask_b32_e64 v35, 0, v0, s0
	v_cmp_neq_f64_e64 s0, -1.0, v[23:24]
	s_delay_alu instid0(VALU_DEP_1) | instskip(NEXT) | instid1(VALU_DEP_1)
	v_cndmask_b32_e64 v36, 0xfff00000, v36, s0
	v_add_f64 v[23:24], v[33:34], v[35:36]
.LBB86_120:
	s_or_b32 exec_lo, exec_lo, s17
	s_delay_alu instid0(VALU_DEP_1) | instskip(SKIP_1) | instid1(VALU_DEP_2)
	v_max_f64 v[33:34], v[23:24], v[23:24]
	v_cmp_u_f64_e64 s0, v[23:24], v[23:24]
	v_min_f64 v[35:36], v[33:34], v[47:48]
	v_max_f64 v[33:34], v[33:34], v[47:48]
	s_delay_alu instid0(VALU_DEP_2) | instskip(NEXT) | instid1(VALU_DEP_3)
	v_cndmask_b32_e64 v0, v35, v23, s0
	v_cndmask_b32_e64 v35, v36, v24, s0
	s_delay_alu instid0(VALU_DEP_3) | instskip(NEXT) | instid1(VALU_DEP_4)
	v_cndmask_b32_e64 v34, v34, v24, s0
	v_cndmask_b32_e64 v33, v33, v23, s0
	s_delay_alu instid0(VALU_DEP_3) | instskip(SKIP_1) | instid1(VALU_DEP_4)
	v_cndmask_b32_e64 v36, v35, v18, s24
	v_cndmask_b32_e64 v35, v0, v17, s24
	;; [unrolled: 1-line block ×3, first 2 shown]
	s_delay_alu instid0(VALU_DEP_4) | instskip(SKIP_1) | instid1(VALU_DEP_4)
	v_cndmask_b32_e64 v33, v33, v17, s24
	v_dual_mov_b32 v17, v23 :: v_dual_mov_b32 v18, v24
	v_cmp_class_f64_e64 s1, v[35:36], 0x1f8
	s_delay_alu instid0(VALU_DEP_3) | instskip(NEXT) | instid1(VALU_DEP_1)
	v_cmp_neq_f64_e64 s0, v[35:36], v[33:34]
	s_or_b32 s0, s0, s1
	s_delay_alu instid0(SALU_CYCLE_1)
	s_and_saveexec_b32 s17, s0
	s_cbranch_execz .LBB86_122
; %bb.121:
	v_add_f64 v[17:18], v[35:36], -v[33:34]
	s_mov_b32 s0, 0x652b82fe
	s_mov_b32 s1, 0x3ff71547
	;; [unrolled: 1-line block ×10, first 2 shown]
	s_delay_alu instid0(VALU_DEP_1) | instskip(SKIP_2) | instid1(VALU_DEP_1)
	v_mul_f64 v[35:36], v[17:18], s[0:1]
	s_mov_b32 s0, 0xfca7ab0c
	s_mov_b32 s1, 0x3e928af3
	v_rndne_f64_e32 v[35:36], v[35:36]
	s_delay_alu instid0(VALU_DEP_1) | instskip(SKIP_2) | instid1(VALU_DEP_2)
	v_fma_f64 v[37:38], v[35:36], s[18:19], v[17:18]
	v_cvt_i32_f64_e32 v0, v[35:36]
	s_mov_b32 s19, 0x3fe62e42
	v_fma_f64 v[37:38], v[35:36], s[20:21], v[37:38]
	s_mov_b32 s21, 0x3c7abc9e
	s_delay_alu instid0(VALU_DEP_1) | instskip(SKIP_4) | instid1(VALU_DEP_1)
	v_fma_f64 v[39:40], v[37:38], s[22:23], s[0:1]
	s_mov_b32 s0, 0x623fde64
	s_mov_b32 s1, 0x3ec71dee
	;; [unrolled: 1-line block ×4, first 2 shown]
	v_fma_f64 v[39:40], v[37:38], v[39:40], s[0:1]
	s_mov_b32 s0, 0x7c89e6b0
	s_mov_b32 s1, 0x3efa0199
	s_delay_alu instid0(VALU_DEP_1) | instid1(SALU_CYCLE_1)
	v_fma_f64 v[39:40], v[37:38], v[39:40], s[0:1]
	s_mov_b32 s0, 0x14761f6e
	s_mov_b32 s1, 0x3f2a01a0
	s_delay_alu instid0(VALU_DEP_1) | instid1(SALU_CYCLE_1)
	;; [unrolled: 4-line block ×7, first 2 shown]
	v_fma_f64 v[39:40], v[37:38], v[39:40], s[0:1]
	v_cmp_nlt_f64_e64 s0, 0x40900000, v[17:18]
	v_cmp_ngt_f64_e64 s1, 0xc090cc00, v[17:18]
	s_delay_alu instid0(VALU_DEP_3) | instskip(NEXT) | instid1(VALU_DEP_1)
	v_fma_f64 v[39:40], v[37:38], v[39:40], 1.0
	v_fma_f64 v[35:36], v[37:38], v[39:40], 1.0
	s_delay_alu instid0(VALU_DEP_1) | instskip(NEXT) | instid1(VALU_DEP_1)
	v_ldexp_f64 v[35:36], v[35:36], v0
	v_cndmask_b32_e64 v0, 0x7ff00000, v36, s0
	s_and_b32 s0, s1, s0
	s_delay_alu instid0(VALU_DEP_2) | instid1(SALU_CYCLE_1)
	v_cndmask_b32_e64 v17, 0, v35, s0
	s_mov_b32 s0, 0x55555555
	s_delay_alu instid0(VALU_DEP_2) | instskip(SKIP_1) | instid1(VALU_DEP_1)
	v_cndmask_b32_e64 v18, 0, v0, s1
	s_mov_b32 s1, 0x3fe55555
	v_add_f64 v[35:36], v[17:18], 1.0
	s_delay_alu instid0(VALU_DEP_1) | instskip(SKIP_2) | instid1(VALU_DEP_3)
	v_frexp_mant_f64_e32 v[37:38], v[35:36]
	v_frexp_exp_i32_f64_e32 v0, v[35:36]
	v_add_f64 v[39:40], v[35:36], -1.0
	v_cmp_gt_f64_e64 s0, s[0:1], v[37:38]
	s_delay_alu instid0(VALU_DEP_2) | instskip(SKIP_1) | instid1(VALU_DEP_3)
	v_add_f64 v[37:38], v[39:40], -v[35:36]
	v_add_f64 v[39:40], v[17:18], -v[39:40]
	v_subrev_co_ci_u32_e64 v0, s0, 0, v0, s0
	s_delay_alu instid0(VALU_DEP_3) | instskip(SKIP_1) | instid1(VALU_DEP_2)
	v_add_f64 v[37:38], v[37:38], 1.0
	s_mov_b32 s0, 0x55555780
	v_sub_nc_u32_e32 v43, 0, v0
	s_delay_alu instid0(VALU_DEP_1) | instskip(NEXT) | instid1(VALU_DEP_3)
	v_ldexp_f64 v[35:36], v[35:36], v43
	v_add_f64 v[37:38], v[39:40], v[37:38]
	s_delay_alu instid0(VALU_DEP_2) | instskip(SKIP_1) | instid1(VALU_DEP_3)
	v_add_f64 v[41:42], v[35:36], 1.0
	v_add_f64 v[47:48], v[35:36], -1.0
	v_ldexp_f64 v[37:38], v[37:38], v43
	s_delay_alu instid0(VALU_DEP_3) | instskip(NEXT) | instid1(VALU_DEP_3)
	v_add_f64 v[39:40], v[41:42], -1.0
	v_add_f64 v[63:64], v[47:48], 1.0
	s_delay_alu instid0(VALU_DEP_2) | instskip(NEXT) | instid1(VALU_DEP_2)
	v_add_f64 v[39:40], v[35:36], -v[39:40]
	v_add_f64 v[35:36], v[35:36], -v[63:64]
	s_delay_alu instid0(VALU_DEP_2) | instskip(NEXT) | instid1(VALU_DEP_2)
	v_add_f64 v[39:40], v[37:38], v[39:40]
	v_add_f64 v[35:36], v[37:38], v[35:36]
	s_delay_alu instid0(VALU_DEP_2) | instskip(NEXT) | instid1(VALU_DEP_2)
	v_add_f64 v[43:44], v[41:42], v[39:40]
	v_add_f64 v[63:64], v[47:48], v[35:36]
	s_delay_alu instid0(VALU_DEP_2) | instskip(SKIP_1) | instid1(VALU_DEP_2)
	v_rcp_f64_e32 v[45:46], v[43:44]
	v_add_f64 v[41:42], v[43:44], -v[41:42]
	v_add_f64 v[47:48], v[63:64], -v[47:48]
	s_delay_alu instid0(VALU_DEP_2) | instskip(SKIP_3) | instid1(VALU_DEP_2)
	v_add_f64 v[39:40], v[39:40], -v[41:42]
	s_waitcnt_depctr 0xfff
	v_fma_f64 v[65:66], -v[43:44], v[45:46], 1.0
	v_add_f64 v[35:36], v[35:36], -v[47:48]
	v_fma_f64 v[45:46], v[65:66], v[45:46], v[45:46]
	s_delay_alu instid0(VALU_DEP_1) | instskip(NEXT) | instid1(VALU_DEP_1)
	v_fma_f64 v[37:38], -v[43:44], v[45:46], 1.0
	v_fma_f64 v[37:38], v[37:38], v[45:46], v[45:46]
	s_delay_alu instid0(VALU_DEP_1) | instskip(NEXT) | instid1(VALU_DEP_1)
	v_mul_f64 v[45:46], v[63:64], v[37:38]
	v_mul_f64 v[65:66], v[43:44], v[45:46]
	s_delay_alu instid0(VALU_DEP_1) | instskip(NEXT) | instid1(VALU_DEP_1)
	v_fma_f64 v[41:42], v[45:46], v[43:44], -v[65:66]
	v_fma_f64 v[41:42], v[45:46], v[39:40], v[41:42]
	s_delay_alu instid0(VALU_DEP_1) | instskip(SKIP_1) | instid1(VALU_DEP_1)
	v_add_f64 v[67:68], v[65:66], v[41:42]
	s_waitcnt lgkmcnt(0)
	v_add_f64 v[69:70], v[63:64], -v[67:68]
	v_add_f64 v[47:48], v[67:68], -v[65:66]
	s_delay_alu instid0(VALU_DEP_2) | instskip(NEXT) | instid1(VALU_DEP_2)
	v_add_f64 v[63:64], v[63:64], -v[69:70]
	v_add_f64 v[41:42], v[47:48], -v[41:42]
	s_delay_alu instid0(VALU_DEP_2) | instskip(NEXT) | instid1(VALU_DEP_1)
	v_add_f64 v[63:64], v[63:64], -v[67:68]
	v_add_f64 v[35:36], v[35:36], v[63:64]
	s_delay_alu instid0(VALU_DEP_1) | instskip(NEXT) | instid1(VALU_DEP_1)
	v_add_f64 v[35:36], v[41:42], v[35:36]
	v_add_f64 v[41:42], v[69:70], v[35:36]
	s_delay_alu instid0(VALU_DEP_1) | instskip(SKIP_1) | instid1(VALU_DEP_2)
	v_mul_f64 v[47:48], v[37:38], v[41:42]
	v_add_f64 v[67:68], v[69:70], -v[41:42]
	v_mul_f64 v[63:64], v[43:44], v[47:48]
	s_delay_alu instid0(VALU_DEP_2) | instskip(NEXT) | instid1(VALU_DEP_2)
	v_add_f64 v[35:36], v[35:36], v[67:68]
	v_fma_f64 v[43:44], v[47:48], v[43:44], -v[63:64]
	s_delay_alu instid0(VALU_DEP_1) | instskip(NEXT) | instid1(VALU_DEP_1)
	v_fma_f64 v[39:40], v[47:48], v[39:40], v[43:44]
	v_add_f64 v[43:44], v[63:64], v[39:40]
	s_delay_alu instid0(VALU_DEP_1) | instskip(SKIP_1) | instid1(VALU_DEP_2)
	v_add_f64 v[65:66], v[41:42], -v[43:44]
	v_add_f64 v[63:64], v[43:44], -v[63:64]
	;; [unrolled: 1-line block ×3, first 2 shown]
	s_delay_alu instid0(VALU_DEP_2) | instskip(NEXT) | instid1(VALU_DEP_2)
	v_add_f64 v[39:40], v[63:64], -v[39:40]
	v_add_f64 v[41:42], v[41:42], -v[43:44]
	s_delay_alu instid0(VALU_DEP_1) | instskip(SKIP_1) | instid1(VALU_DEP_2)
	v_add_f64 v[35:36], v[35:36], v[41:42]
	v_add_f64 v[41:42], v[45:46], v[47:48]
	;; [unrolled: 1-line block ×3, first 2 shown]
	s_delay_alu instid0(VALU_DEP_2) | instskip(NEXT) | instid1(VALU_DEP_2)
	v_add_f64 v[39:40], v[41:42], -v[45:46]
	v_add_f64 v[35:36], v[65:66], v[35:36]
	s_delay_alu instid0(VALU_DEP_2) | instskip(NEXT) | instid1(VALU_DEP_2)
	v_add_f64 v[39:40], v[47:48], -v[39:40]
	v_mul_f64 v[35:36], v[37:38], v[35:36]
	s_delay_alu instid0(VALU_DEP_1) | instskip(NEXT) | instid1(VALU_DEP_1)
	v_add_f64 v[35:36], v[39:40], v[35:36]
	v_add_f64 v[37:38], v[41:42], v[35:36]
	s_delay_alu instid0(VALU_DEP_1) | instskip(NEXT) | instid1(VALU_DEP_1)
	v_mul_f64 v[39:40], v[37:38], v[37:38]
	v_fma_f64 v[43:44], v[39:40], s[36:37], s[22:23]
	s_mov_b32 s22, 0xd7f4df2e
	s_mov_b32 s23, 0x3fc7474d
	v_mul_f64 v[45:46], v[37:38], v[39:40]
	s_delay_alu instid0(VALU_DEP_2)
	v_fma_f64 v[43:44], v[39:40], v[43:44], s[22:23]
	s_mov_b32 s22, 0x16291751
	s_mov_b32 s23, 0x3fcc71c0
	s_delay_alu instid0(VALU_DEP_1) | instid1(SALU_CYCLE_1)
	v_fma_f64 v[43:44], v[39:40], v[43:44], s[22:23]
	s_mov_b32 s22, 0x9b27acf1
	s_mov_b32 s23, 0x3fd24924
	s_delay_alu instid0(VALU_DEP_1) | instid1(SALU_CYCLE_1)
	;; [unrolled: 4-line block ×3, first 2 shown]
	v_fma_f64 v[43:44], v[39:40], v[43:44], s[22:23]
	s_delay_alu instid0(VALU_DEP_1) | instskip(SKIP_3) | instid1(VALU_DEP_4)
	v_fma_f64 v[39:40], v[39:40], v[43:44], s[0:1]
	v_ldexp_f64 v[43:44], v[37:38], 1
	v_add_f64 v[37:38], v[37:38], -v[41:42]
	v_cmp_eq_f64_e64 s0, 0x7ff00000, v[17:18]
	v_mul_f64 v[39:40], v[45:46], v[39:40]
	v_cvt_f64_i32_e32 v[45:46], v0
	s_delay_alu instid0(VALU_DEP_4) | instskip(NEXT) | instid1(VALU_DEP_3)
	v_add_f64 v[35:36], v[35:36], -v[37:38]
	v_add_f64 v[41:42], v[43:44], v[39:40]
	s_delay_alu instid0(VALU_DEP_3) | instskip(NEXT) | instid1(VALU_DEP_3)
	v_mul_f64 v[47:48], v[45:46], s[18:19]
	v_ldexp_f64 v[35:36], v[35:36], 1
	s_delay_alu instid0(VALU_DEP_3) | instskip(NEXT) | instid1(VALU_DEP_3)
	v_add_f64 v[37:38], v[41:42], -v[43:44]
	v_fma_f64 v[43:44], v[45:46], s[18:19], -v[47:48]
	s_delay_alu instid0(VALU_DEP_2) | instskip(NEXT) | instid1(VALU_DEP_2)
	v_add_f64 v[37:38], v[39:40], -v[37:38]
	v_fma_f64 v[39:40], v[45:46], s[20:21], v[43:44]
	s_delay_alu instid0(VALU_DEP_2) | instskip(NEXT) | instid1(VALU_DEP_2)
	v_add_f64 v[35:36], v[35:36], v[37:38]
	v_add_f64 v[37:38], v[47:48], v[39:40]
	s_delay_alu instid0(VALU_DEP_2) | instskip(NEXT) | instid1(VALU_DEP_2)
	v_add_f64 v[43:44], v[41:42], v[35:36]
	v_add_f64 v[47:48], v[37:38], -v[47:48]
	s_delay_alu instid0(VALU_DEP_2) | instskip(SKIP_1) | instid1(VALU_DEP_3)
	v_add_f64 v[45:46], v[37:38], v[43:44]
	v_add_f64 v[41:42], v[43:44], -v[41:42]
	v_add_f64 v[39:40], v[39:40], -v[47:48]
	s_delay_alu instid0(VALU_DEP_3) | instskip(NEXT) | instid1(VALU_DEP_3)
	v_add_f64 v[63:64], v[45:46], -v[37:38]
	v_add_f64 v[35:36], v[35:36], -v[41:42]
	s_delay_alu instid0(VALU_DEP_2) | instskip(SKIP_1) | instid1(VALU_DEP_3)
	v_add_f64 v[65:66], v[45:46], -v[63:64]
	v_add_f64 v[41:42], v[43:44], -v[63:64]
	v_add_f64 v[43:44], v[39:40], v[35:36]
	s_delay_alu instid0(VALU_DEP_3) | instskip(NEXT) | instid1(VALU_DEP_1)
	v_add_f64 v[37:38], v[37:38], -v[65:66]
	v_add_f64 v[37:38], v[41:42], v[37:38]
	s_delay_alu instid0(VALU_DEP_3) | instskip(NEXT) | instid1(VALU_DEP_2)
	v_add_f64 v[41:42], v[43:44], -v[39:40]
	v_add_f64 v[37:38], v[43:44], v[37:38]
	s_delay_alu instid0(VALU_DEP_2) | instskip(SKIP_1) | instid1(VALU_DEP_3)
	v_add_f64 v[43:44], v[43:44], -v[41:42]
	v_add_f64 v[35:36], v[35:36], -v[41:42]
	v_add_f64 v[47:48], v[45:46], v[37:38]
	s_delay_alu instid0(VALU_DEP_3) | instskip(NEXT) | instid1(VALU_DEP_2)
	v_add_f64 v[39:40], v[39:40], -v[43:44]
	v_add_f64 v[41:42], v[47:48], -v[45:46]
	s_delay_alu instid0(VALU_DEP_2) | instskip(NEXT) | instid1(VALU_DEP_2)
	v_add_f64 v[35:36], v[35:36], v[39:40]
	v_add_f64 v[37:38], v[37:38], -v[41:42]
	s_delay_alu instid0(VALU_DEP_1) | instskip(NEXT) | instid1(VALU_DEP_1)
	v_add_f64 v[35:36], v[35:36], v[37:38]
	v_add_f64 v[35:36], v[47:48], v[35:36]
	s_delay_alu instid0(VALU_DEP_1) | instskip(NEXT) | instid1(VALU_DEP_2)
	v_cndmask_b32_e64 v0, v35, v17, s0
	v_cndmask_b32_e64 v35, v36, v18, s0
	v_cmp_ngt_f64_e64 s0, -1.0, v[17:18]
	s_delay_alu instid0(VALU_DEP_1) | instskip(SKIP_1) | instid1(VALU_DEP_1)
	v_cndmask_b32_e64 v36, 0x7ff80000, v35, s0
	v_cmp_nge_f64_e64 s0, -1.0, v[17:18]
	v_cndmask_b32_e64 v35, 0, v0, s0
	v_cmp_neq_f64_e64 s0, -1.0, v[17:18]
	s_delay_alu instid0(VALU_DEP_1) | instskip(NEXT) | instid1(VALU_DEP_1)
	v_cndmask_b32_e64 v36, 0xfff00000, v36, s0
	v_add_f64 v[17:18], v[33:34], v[35:36]
.LBB86_122:
	s_or_b32 exec_lo, exec_lo, s17
	s_delay_alu instid0(VALU_DEP_1) | instskip(SKIP_1) | instid1(VALU_DEP_2)
	v_max_f64 v[33:34], v[17:18], v[17:18]
	v_cmp_u_f64_e64 s0, v[17:18], v[17:18]
	v_min_f64 v[35:36], v[33:34], v[49:50]
	v_max_f64 v[33:34], v[33:34], v[49:50]
	s_delay_alu instid0(VALU_DEP_2) | instskip(NEXT) | instid1(VALU_DEP_3)
	v_cndmask_b32_e64 v0, v35, v17, s0
	v_cndmask_b32_e64 v35, v36, v18, s0
	s_delay_alu instid0(VALU_DEP_3) | instskip(NEXT) | instid1(VALU_DEP_4)
	v_cndmask_b32_e64 v34, v34, v18, s0
	v_cndmask_b32_e64 v33, v33, v17, s0
	s_delay_alu instid0(VALU_DEP_3) | instskip(SKIP_1) | instid1(VALU_DEP_4)
	v_cndmask_b32_e64 v36, v35, v20, s25
	v_cndmask_b32_e64 v35, v0, v19, s25
	;; [unrolled: 1-line block ×3, first 2 shown]
	s_delay_alu instid0(VALU_DEP_4) | instskip(SKIP_1) | instid1(VALU_DEP_4)
	v_cndmask_b32_e64 v33, v33, v19, s25
	v_dual_mov_b32 v20, v18 :: v_dual_mov_b32 v19, v17
	v_cmp_class_f64_e64 s1, v[35:36], 0x1f8
	s_delay_alu instid0(VALU_DEP_3) | instskip(NEXT) | instid1(VALU_DEP_1)
	v_cmp_neq_f64_e64 s0, v[35:36], v[33:34]
	s_or_b32 s0, s0, s1
	s_delay_alu instid0(SALU_CYCLE_1)
	s_and_saveexec_b32 s17, s0
	s_cbranch_execz .LBB86_124
; %bb.123:
	v_add_f64 v[19:20], v[35:36], -v[33:34]
	s_mov_b32 s0, 0x652b82fe
	s_mov_b32 s1, 0x3ff71547
	s_mov_b32 s19, 0xbfe62e42
	s_mov_b32 s18, 0xfefa39ef
	s_mov_b32 s21, 0xbc7abc9e
	s_mov_b32 s20, 0x3b39803f
	s_mov_b32 s22, 0x6a5dcb37
	s_mov_b32 s23, 0x3e5ade15
	s_mov_b32 s24, 0xbf559e2b
	s_mov_b32 s25, 0x3fc3ab76
	s_delay_alu instid0(VALU_DEP_1) | instskip(SKIP_2) | instid1(VALU_DEP_1)
	v_mul_f64 v[35:36], v[19:20], s[0:1]
	s_mov_b32 s0, 0xfca7ab0c
	s_mov_b32 s1, 0x3e928af3
	v_rndne_f64_e32 v[35:36], v[35:36]
	s_delay_alu instid0(VALU_DEP_1) | instskip(SKIP_2) | instid1(VALU_DEP_2)
	v_fma_f64 v[37:38], v[35:36], s[18:19], v[19:20]
	v_cvt_i32_f64_e32 v0, v[35:36]
	s_mov_b32 s19, 0x3fe62e42
	v_fma_f64 v[37:38], v[35:36], s[20:21], v[37:38]
	s_mov_b32 s21, 0x3c7abc9e
	s_delay_alu instid0(VALU_DEP_1) | instskip(SKIP_4) | instid1(VALU_DEP_1)
	v_fma_f64 v[39:40], v[37:38], s[22:23], s[0:1]
	s_mov_b32 s0, 0x623fde64
	s_mov_b32 s1, 0x3ec71dee
	;; [unrolled: 1-line block ×4, first 2 shown]
	v_fma_f64 v[39:40], v[37:38], v[39:40], s[0:1]
	s_mov_b32 s0, 0x7c89e6b0
	s_mov_b32 s1, 0x3efa0199
	s_delay_alu instid0(VALU_DEP_1) | instid1(SALU_CYCLE_1)
	v_fma_f64 v[39:40], v[37:38], v[39:40], s[0:1]
	s_mov_b32 s0, 0x14761f6e
	s_mov_b32 s1, 0x3f2a01a0
	s_delay_alu instid0(VALU_DEP_1) | instid1(SALU_CYCLE_1)
	;; [unrolled: 4-line block ×7, first 2 shown]
	v_fma_f64 v[39:40], v[37:38], v[39:40], s[0:1]
	v_cmp_nlt_f64_e64 s0, 0x40900000, v[19:20]
	v_cmp_ngt_f64_e64 s1, 0xc090cc00, v[19:20]
	s_delay_alu instid0(VALU_DEP_3) | instskip(NEXT) | instid1(VALU_DEP_1)
	v_fma_f64 v[39:40], v[37:38], v[39:40], 1.0
	v_fma_f64 v[35:36], v[37:38], v[39:40], 1.0
	s_delay_alu instid0(VALU_DEP_1) | instskip(NEXT) | instid1(VALU_DEP_1)
	v_ldexp_f64 v[35:36], v[35:36], v0
	v_cndmask_b32_e64 v0, 0x7ff00000, v36, s0
	s_and_b32 s0, s1, s0
	s_delay_alu instid0(VALU_DEP_2) | instid1(SALU_CYCLE_1)
	v_cndmask_b32_e64 v19, 0, v35, s0
	s_mov_b32 s0, 0x55555555
	s_delay_alu instid0(VALU_DEP_2) | instskip(SKIP_1) | instid1(VALU_DEP_1)
	v_cndmask_b32_e64 v20, 0, v0, s1
	s_mov_b32 s1, 0x3fe55555
	v_add_f64 v[35:36], v[19:20], 1.0
	s_delay_alu instid0(VALU_DEP_1) | instskip(SKIP_2) | instid1(VALU_DEP_3)
	v_frexp_mant_f64_e32 v[37:38], v[35:36]
	v_frexp_exp_i32_f64_e32 v0, v[35:36]
	v_add_f64 v[39:40], v[35:36], -1.0
	v_cmp_gt_f64_e64 s0, s[0:1], v[37:38]
	s_delay_alu instid0(VALU_DEP_2) | instskip(SKIP_1) | instid1(VALU_DEP_3)
	v_add_f64 v[37:38], v[39:40], -v[35:36]
	v_add_f64 v[39:40], v[19:20], -v[39:40]
	v_subrev_co_ci_u32_e64 v0, s0, 0, v0, s0
	s_delay_alu instid0(VALU_DEP_3) | instskip(SKIP_1) | instid1(VALU_DEP_2)
	v_add_f64 v[37:38], v[37:38], 1.0
	s_mov_b32 s0, 0x55555780
	v_sub_nc_u32_e32 v43, 0, v0
	s_delay_alu instid0(VALU_DEP_1) | instskip(NEXT) | instid1(VALU_DEP_3)
	v_ldexp_f64 v[35:36], v[35:36], v43
	v_add_f64 v[37:38], v[39:40], v[37:38]
	s_delay_alu instid0(VALU_DEP_2) | instskip(SKIP_1) | instid1(VALU_DEP_3)
	v_add_f64 v[41:42], v[35:36], 1.0
	v_add_f64 v[47:48], v[35:36], -1.0
	v_ldexp_f64 v[37:38], v[37:38], v43
	s_delay_alu instid0(VALU_DEP_3) | instskip(NEXT) | instid1(VALU_DEP_3)
	v_add_f64 v[39:40], v[41:42], -1.0
	v_add_f64 v[49:50], v[47:48], 1.0
	s_delay_alu instid0(VALU_DEP_2) | instskip(NEXT) | instid1(VALU_DEP_2)
	v_add_f64 v[39:40], v[35:36], -v[39:40]
	v_add_f64 v[35:36], v[35:36], -v[49:50]
	s_delay_alu instid0(VALU_DEP_2) | instskip(NEXT) | instid1(VALU_DEP_2)
	v_add_f64 v[39:40], v[37:38], v[39:40]
	v_add_f64 v[35:36], v[37:38], v[35:36]
	s_delay_alu instid0(VALU_DEP_2) | instskip(NEXT) | instid1(VALU_DEP_2)
	v_add_f64 v[43:44], v[41:42], v[39:40]
	v_add_f64 v[49:50], v[47:48], v[35:36]
	s_delay_alu instid0(VALU_DEP_2) | instskip(SKIP_1) | instid1(VALU_DEP_2)
	v_rcp_f64_e32 v[45:46], v[43:44]
	v_add_f64 v[41:42], v[43:44], -v[41:42]
	v_add_f64 v[47:48], v[49:50], -v[47:48]
	s_delay_alu instid0(VALU_DEP_2) | instskip(SKIP_3) | instid1(VALU_DEP_2)
	v_add_f64 v[39:40], v[39:40], -v[41:42]
	s_waitcnt_depctr 0xfff
	v_fma_f64 v[63:64], -v[43:44], v[45:46], 1.0
	v_add_f64 v[35:36], v[35:36], -v[47:48]
	v_fma_f64 v[45:46], v[63:64], v[45:46], v[45:46]
	s_delay_alu instid0(VALU_DEP_1) | instskip(NEXT) | instid1(VALU_DEP_1)
	v_fma_f64 v[37:38], -v[43:44], v[45:46], 1.0
	v_fma_f64 v[37:38], v[37:38], v[45:46], v[45:46]
	s_delay_alu instid0(VALU_DEP_1) | instskip(NEXT) | instid1(VALU_DEP_1)
	v_mul_f64 v[45:46], v[49:50], v[37:38]
	v_mul_f64 v[63:64], v[43:44], v[45:46]
	s_delay_alu instid0(VALU_DEP_1) | instskip(NEXT) | instid1(VALU_DEP_1)
	v_fma_f64 v[41:42], v[45:46], v[43:44], -v[63:64]
	v_fma_f64 v[41:42], v[45:46], v[39:40], v[41:42]
	s_delay_alu instid0(VALU_DEP_1) | instskip(NEXT) | instid1(VALU_DEP_1)
	v_add_f64 v[65:66], v[63:64], v[41:42]
	v_add_f64 v[67:68], v[49:50], -v[65:66]
	v_add_f64 v[47:48], v[65:66], -v[63:64]
	s_delay_alu instid0(VALU_DEP_2) | instskip(NEXT) | instid1(VALU_DEP_2)
	v_add_f64 v[49:50], v[49:50], -v[67:68]
	v_add_f64 v[41:42], v[47:48], -v[41:42]
	s_delay_alu instid0(VALU_DEP_2) | instskip(NEXT) | instid1(VALU_DEP_1)
	v_add_f64 v[49:50], v[49:50], -v[65:66]
	v_add_f64 v[35:36], v[35:36], v[49:50]
	s_delay_alu instid0(VALU_DEP_1) | instskip(NEXT) | instid1(VALU_DEP_1)
	v_add_f64 v[35:36], v[41:42], v[35:36]
	v_add_f64 v[41:42], v[67:68], v[35:36]
	s_delay_alu instid0(VALU_DEP_1) | instskip(SKIP_1) | instid1(VALU_DEP_2)
	v_mul_f64 v[47:48], v[37:38], v[41:42]
	v_add_f64 v[65:66], v[67:68], -v[41:42]
	v_mul_f64 v[49:50], v[43:44], v[47:48]
	s_delay_alu instid0(VALU_DEP_2) | instskip(NEXT) | instid1(VALU_DEP_2)
	v_add_f64 v[35:36], v[35:36], v[65:66]
	v_fma_f64 v[43:44], v[47:48], v[43:44], -v[49:50]
	s_delay_alu instid0(VALU_DEP_1) | instskip(NEXT) | instid1(VALU_DEP_1)
	v_fma_f64 v[39:40], v[47:48], v[39:40], v[43:44]
	v_add_f64 v[43:44], v[49:50], v[39:40]
	s_delay_alu instid0(VALU_DEP_1) | instskip(SKIP_1) | instid1(VALU_DEP_2)
	v_add_f64 v[63:64], v[41:42], -v[43:44]
	v_add_f64 v[49:50], v[43:44], -v[49:50]
	;; [unrolled: 1-line block ×3, first 2 shown]
	s_delay_alu instid0(VALU_DEP_2) | instskip(NEXT) | instid1(VALU_DEP_2)
	v_add_f64 v[39:40], v[49:50], -v[39:40]
	v_add_f64 v[41:42], v[41:42], -v[43:44]
	s_delay_alu instid0(VALU_DEP_1) | instskip(SKIP_1) | instid1(VALU_DEP_2)
	v_add_f64 v[35:36], v[35:36], v[41:42]
	v_add_f64 v[41:42], v[45:46], v[47:48]
	v_add_f64 v[35:36], v[39:40], v[35:36]
	s_delay_alu instid0(VALU_DEP_2) | instskip(NEXT) | instid1(VALU_DEP_2)
	v_add_f64 v[39:40], v[41:42], -v[45:46]
	v_add_f64 v[35:36], v[63:64], v[35:36]
	s_delay_alu instid0(VALU_DEP_2) | instskip(NEXT) | instid1(VALU_DEP_2)
	v_add_f64 v[39:40], v[47:48], -v[39:40]
	v_mul_f64 v[35:36], v[37:38], v[35:36]
	s_delay_alu instid0(VALU_DEP_1) | instskip(NEXT) | instid1(VALU_DEP_1)
	v_add_f64 v[35:36], v[39:40], v[35:36]
	v_add_f64 v[37:38], v[41:42], v[35:36]
	s_delay_alu instid0(VALU_DEP_1) | instskip(NEXT) | instid1(VALU_DEP_1)
	v_mul_f64 v[39:40], v[37:38], v[37:38]
	v_fma_f64 v[43:44], v[39:40], s[24:25], s[22:23]
	s_mov_b32 s22, 0xd7f4df2e
	s_mov_b32 s23, 0x3fc7474d
	v_mul_f64 v[45:46], v[37:38], v[39:40]
	s_delay_alu instid0(VALU_DEP_2)
	v_fma_f64 v[43:44], v[39:40], v[43:44], s[22:23]
	s_mov_b32 s22, 0x16291751
	s_mov_b32 s23, 0x3fcc71c0
	s_delay_alu instid0(VALU_DEP_1) | instid1(SALU_CYCLE_1)
	v_fma_f64 v[43:44], v[39:40], v[43:44], s[22:23]
	s_mov_b32 s22, 0x9b27acf1
	s_mov_b32 s23, 0x3fd24924
	s_delay_alu instid0(VALU_DEP_1) | instid1(SALU_CYCLE_1)
	;; [unrolled: 4-line block ×3, first 2 shown]
	v_fma_f64 v[43:44], v[39:40], v[43:44], s[22:23]
	s_delay_alu instid0(VALU_DEP_1) | instskip(SKIP_3) | instid1(VALU_DEP_4)
	v_fma_f64 v[39:40], v[39:40], v[43:44], s[0:1]
	v_ldexp_f64 v[43:44], v[37:38], 1
	v_add_f64 v[37:38], v[37:38], -v[41:42]
	v_cmp_eq_f64_e64 s0, 0x7ff00000, v[19:20]
	v_mul_f64 v[39:40], v[45:46], v[39:40]
	v_cvt_f64_i32_e32 v[45:46], v0
	s_delay_alu instid0(VALU_DEP_4) | instskip(NEXT) | instid1(VALU_DEP_3)
	v_add_f64 v[35:36], v[35:36], -v[37:38]
	v_add_f64 v[41:42], v[43:44], v[39:40]
	s_delay_alu instid0(VALU_DEP_3) | instskip(NEXT) | instid1(VALU_DEP_3)
	v_mul_f64 v[47:48], v[45:46], s[18:19]
	v_ldexp_f64 v[35:36], v[35:36], 1
	s_delay_alu instid0(VALU_DEP_3) | instskip(NEXT) | instid1(VALU_DEP_3)
	v_add_f64 v[37:38], v[41:42], -v[43:44]
	v_fma_f64 v[43:44], v[45:46], s[18:19], -v[47:48]
	s_delay_alu instid0(VALU_DEP_2) | instskip(NEXT) | instid1(VALU_DEP_2)
	v_add_f64 v[37:38], v[39:40], -v[37:38]
	v_fma_f64 v[39:40], v[45:46], s[20:21], v[43:44]
	s_delay_alu instid0(VALU_DEP_2) | instskip(NEXT) | instid1(VALU_DEP_2)
	v_add_f64 v[35:36], v[35:36], v[37:38]
	v_add_f64 v[37:38], v[47:48], v[39:40]
	s_delay_alu instid0(VALU_DEP_2) | instskip(NEXT) | instid1(VALU_DEP_2)
	v_add_f64 v[43:44], v[41:42], v[35:36]
	v_add_f64 v[47:48], v[37:38], -v[47:48]
	s_delay_alu instid0(VALU_DEP_2) | instskip(SKIP_1) | instid1(VALU_DEP_3)
	v_add_f64 v[45:46], v[37:38], v[43:44]
	v_add_f64 v[41:42], v[43:44], -v[41:42]
	v_add_f64 v[39:40], v[39:40], -v[47:48]
	s_delay_alu instid0(VALU_DEP_3) | instskip(NEXT) | instid1(VALU_DEP_3)
	v_add_f64 v[49:50], v[45:46], -v[37:38]
	v_add_f64 v[35:36], v[35:36], -v[41:42]
	s_delay_alu instid0(VALU_DEP_2) | instskip(SKIP_1) | instid1(VALU_DEP_3)
	v_add_f64 v[63:64], v[45:46], -v[49:50]
	v_add_f64 v[41:42], v[43:44], -v[49:50]
	v_add_f64 v[43:44], v[39:40], v[35:36]
	s_delay_alu instid0(VALU_DEP_3) | instskip(NEXT) | instid1(VALU_DEP_1)
	v_add_f64 v[37:38], v[37:38], -v[63:64]
	v_add_f64 v[37:38], v[41:42], v[37:38]
	s_delay_alu instid0(VALU_DEP_3) | instskip(NEXT) | instid1(VALU_DEP_2)
	v_add_f64 v[41:42], v[43:44], -v[39:40]
	v_add_f64 v[37:38], v[43:44], v[37:38]
	s_delay_alu instid0(VALU_DEP_2) | instskip(SKIP_1) | instid1(VALU_DEP_3)
	v_add_f64 v[43:44], v[43:44], -v[41:42]
	v_add_f64 v[35:36], v[35:36], -v[41:42]
	v_add_f64 v[47:48], v[45:46], v[37:38]
	s_delay_alu instid0(VALU_DEP_3) | instskip(NEXT) | instid1(VALU_DEP_2)
	v_add_f64 v[39:40], v[39:40], -v[43:44]
	v_add_f64 v[41:42], v[47:48], -v[45:46]
	s_delay_alu instid0(VALU_DEP_2) | instskip(NEXT) | instid1(VALU_DEP_2)
	v_add_f64 v[35:36], v[35:36], v[39:40]
	v_add_f64 v[37:38], v[37:38], -v[41:42]
	s_delay_alu instid0(VALU_DEP_1) | instskip(NEXT) | instid1(VALU_DEP_1)
	v_add_f64 v[35:36], v[35:36], v[37:38]
	v_add_f64 v[35:36], v[47:48], v[35:36]
	s_delay_alu instid0(VALU_DEP_1) | instskip(NEXT) | instid1(VALU_DEP_2)
	v_cndmask_b32_e64 v0, v35, v19, s0
	v_cndmask_b32_e64 v35, v36, v20, s0
	v_cmp_ngt_f64_e64 s0, -1.0, v[19:20]
	s_delay_alu instid0(VALU_DEP_1) | instskip(SKIP_1) | instid1(VALU_DEP_1)
	v_cndmask_b32_e64 v36, 0x7ff80000, v35, s0
	v_cmp_nge_f64_e64 s0, -1.0, v[19:20]
	v_cndmask_b32_e64 v35, 0, v0, s0
	v_cmp_neq_f64_e64 s0, -1.0, v[19:20]
	s_delay_alu instid0(VALU_DEP_1) | instskip(NEXT) | instid1(VALU_DEP_1)
	v_cndmask_b32_e64 v36, 0xfff00000, v36, s0
	v_add_f64 v[19:20], v[33:34], v[35:36]
.LBB86_124:
	s_or_b32 exec_lo, exec_lo, s17
	s_delay_alu instid0(VALU_DEP_1) | instskip(SKIP_1) | instid1(VALU_DEP_2)
	v_max_f64 v[33:34], v[19:20], v[19:20]
	v_cmp_u_f64_e64 s0, v[19:20], v[19:20]
	v_min_f64 v[35:36], v[33:34], v[51:52]
	v_max_f64 v[33:34], v[33:34], v[51:52]
	s_delay_alu instid0(VALU_DEP_2) | instskip(NEXT) | instid1(VALU_DEP_3)
	v_cndmask_b32_e64 v0, v35, v19, s0
	v_cndmask_b32_e64 v35, v36, v20, s0
	s_delay_alu instid0(VALU_DEP_3) | instskip(NEXT) | instid1(VALU_DEP_4)
	v_cndmask_b32_e64 v34, v34, v20, s0
	v_cndmask_b32_e64 v33, v33, v19, s0
	s_delay_alu instid0(VALU_DEP_3) | instskip(SKIP_1) | instid1(VALU_DEP_4)
	v_cndmask_b32_e64 v36, v35, v14, s26
	v_cndmask_b32_e64 v35, v0, v13, s26
	;; [unrolled: 1-line block ×3, first 2 shown]
	s_delay_alu instid0(VALU_DEP_4) | instskip(SKIP_1) | instid1(VALU_DEP_4)
	v_cndmask_b32_e64 v33, v33, v13, s26
	v_dual_mov_b32 v13, v19 :: v_dual_mov_b32 v14, v20
	v_cmp_class_f64_e64 s1, v[35:36], 0x1f8
	s_delay_alu instid0(VALU_DEP_3) | instskip(NEXT) | instid1(VALU_DEP_1)
	v_cmp_neq_f64_e64 s0, v[35:36], v[33:34]
	s_or_b32 s0, s0, s1
	s_delay_alu instid0(SALU_CYCLE_1)
	s_and_saveexec_b32 s17, s0
	s_cbranch_execz .LBB86_126
; %bb.125:
	v_add_f64 v[13:14], v[35:36], -v[33:34]
	s_mov_b32 s0, 0x652b82fe
	s_mov_b32 s1, 0x3ff71547
	;; [unrolled: 1-line block ×10, first 2 shown]
	s_delay_alu instid0(VALU_DEP_1) | instskip(SKIP_2) | instid1(VALU_DEP_1)
	v_mul_f64 v[35:36], v[13:14], s[0:1]
	s_mov_b32 s0, 0xfca7ab0c
	s_mov_b32 s1, 0x3e928af3
	v_rndne_f64_e32 v[35:36], v[35:36]
	s_delay_alu instid0(VALU_DEP_1) | instskip(SKIP_2) | instid1(VALU_DEP_2)
	v_fma_f64 v[37:38], v[35:36], s[18:19], v[13:14]
	v_cvt_i32_f64_e32 v0, v[35:36]
	s_mov_b32 s19, 0x3fe62e42
	v_fma_f64 v[37:38], v[35:36], s[20:21], v[37:38]
	s_mov_b32 s21, 0x3c7abc9e
	s_delay_alu instid0(VALU_DEP_1) | instskip(SKIP_4) | instid1(VALU_DEP_1)
	v_fma_f64 v[39:40], v[37:38], s[22:23], s[0:1]
	s_mov_b32 s0, 0x623fde64
	s_mov_b32 s1, 0x3ec71dee
	;; [unrolled: 1-line block ×4, first 2 shown]
	v_fma_f64 v[39:40], v[37:38], v[39:40], s[0:1]
	s_mov_b32 s0, 0x7c89e6b0
	s_mov_b32 s1, 0x3efa0199
	s_delay_alu instid0(VALU_DEP_1) | instid1(SALU_CYCLE_1)
	v_fma_f64 v[39:40], v[37:38], v[39:40], s[0:1]
	s_mov_b32 s0, 0x14761f6e
	s_mov_b32 s1, 0x3f2a01a0
	s_delay_alu instid0(VALU_DEP_1) | instid1(SALU_CYCLE_1)
	;; [unrolled: 4-line block ×7, first 2 shown]
	v_fma_f64 v[39:40], v[37:38], v[39:40], s[0:1]
	v_cmp_nlt_f64_e64 s0, 0x40900000, v[13:14]
	v_cmp_ngt_f64_e64 s1, 0xc090cc00, v[13:14]
	s_delay_alu instid0(VALU_DEP_3) | instskip(NEXT) | instid1(VALU_DEP_1)
	v_fma_f64 v[39:40], v[37:38], v[39:40], 1.0
	v_fma_f64 v[35:36], v[37:38], v[39:40], 1.0
	s_delay_alu instid0(VALU_DEP_1) | instskip(NEXT) | instid1(VALU_DEP_1)
	v_ldexp_f64 v[35:36], v[35:36], v0
	v_cndmask_b32_e64 v0, 0x7ff00000, v36, s0
	s_and_b32 s0, s1, s0
	s_delay_alu instid0(VALU_DEP_2) | instid1(SALU_CYCLE_1)
	v_cndmask_b32_e64 v13, 0, v35, s0
	s_mov_b32 s0, 0x55555555
	s_delay_alu instid0(VALU_DEP_2) | instskip(SKIP_1) | instid1(VALU_DEP_1)
	v_cndmask_b32_e64 v14, 0, v0, s1
	s_mov_b32 s1, 0x3fe55555
	v_add_f64 v[35:36], v[13:14], 1.0
	s_delay_alu instid0(VALU_DEP_1) | instskip(SKIP_2) | instid1(VALU_DEP_3)
	v_frexp_mant_f64_e32 v[37:38], v[35:36]
	v_frexp_exp_i32_f64_e32 v0, v[35:36]
	v_add_f64 v[39:40], v[35:36], -1.0
	v_cmp_gt_f64_e64 s0, s[0:1], v[37:38]
	s_delay_alu instid0(VALU_DEP_2) | instskip(SKIP_1) | instid1(VALU_DEP_3)
	v_add_f64 v[37:38], v[39:40], -v[35:36]
	v_add_f64 v[39:40], v[13:14], -v[39:40]
	v_subrev_co_ci_u32_e64 v0, s0, 0, v0, s0
	s_delay_alu instid0(VALU_DEP_3) | instskip(SKIP_1) | instid1(VALU_DEP_2)
	v_add_f64 v[37:38], v[37:38], 1.0
	s_mov_b32 s0, 0x55555780
	v_sub_nc_u32_e32 v43, 0, v0
	s_delay_alu instid0(VALU_DEP_1) | instskip(NEXT) | instid1(VALU_DEP_3)
	v_ldexp_f64 v[35:36], v[35:36], v43
	v_add_f64 v[37:38], v[39:40], v[37:38]
	s_delay_alu instid0(VALU_DEP_2) | instskip(SKIP_1) | instid1(VALU_DEP_3)
	v_add_f64 v[41:42], v[35:36], 1.0
	v_add_f64 v[47:48], v[35:36], -1.0
	v_ldexp_f64 v[37:38], v[37:38], v43
	s_delay_alu instid0(VALU_DEP_3) | instskip(NEXT) | instid1(VALU_DEP_3)
	v_add_f64 v[39:40], v[41:42], -1.0
	v_add_f64 v[49:50], v[47:48], 1.0
	s_delay_alu instid0(VALU_DEP_2) | instskip(NEXT) | instid1(VALU_DEP_2)
	v_add_f64 v[39:40], v[35:36], -v[39:40]
	v_add_f64 v[35:36], v[35:36], -v[49:50]
	s_delay_alu instid0(VALU_DEP_2) | instskip(NEXT) | instid1(VALU_DEP_2)
	v_add_f64 v[39:40], v[37:38], v[39:40]
	v_add_f64 v[35:36], v[37:38], v[35:36]
	s_delay_alu instid0(VALU_DEP_2) | instskip(NEXT) | instid1(VALU_DEP_2)
	v_add_f64 v[43:44], v[41:42], v[39:40]
	v_add_f64 v[49:50], v[47:48], v[35:36]
	s_delay_alu instid0(VALU_DEP_2) | instskip(SKIP_1) | instid1(VALU_DEP_2)
	v_rcp_f64_e32 v[45:46], v[43:44]
	v_add_f64 v[41:42], v[43:44], -v[41:42]
	v_add_f64 v[47:48], v[49:50], -v[47:48]
	s_delay_alu instid0(VALU_DEP_2) | instskip(SKIP_3) | instid1(VALU_DEP_2)
	v_add_f64 v[39:40], v[39:40], -v[41:42]
	s_waitcnt_depctr 0xfff
	v_fma_f64 v[51:52], -v[43:44], v[45:46], 1.0
	v_add_f64 v[35:36], v[35:36], -v[47:48]
	v_fma_f64 v[45:46], v[51:52], v[45:46], v[45:46]
	s_delay_alu instid0(VALU_DEP_1) | instskip(NEXT) | instid1(VALU_DEP_1)
	v_fma_f64 v[37:38], -v[43:44], v[45:46], 1.0
	v_fma_f64 v[37:38], v[37:38], v[45:46], v[45:46]
	s_delay_alu instid0(VALU_DEP_1) | instskip(NEXT) | instid1(VALU_DEP_1)
	v_mul_f64 v[45:46], v[49:50], v[37:38]
	v_mul_f64 v[51:52], v[43:44], v[45:46]
	s_delay_alu instid0(VALU_DEP_1) | instskip(NEXT) | instid1(VALU_DEP_1)
	v_fma_f64 v[41:42], v[45:46], v[43:44], -v[51:52]
	v_fma_f64 v[41:42], v[45:46], v[39:40], v[41:42]
	s_delay_alu instid0(VALU_DEP_1) | instskip(NEXT) | instid1(VALU_DEP_1)
	v_add_f64 v[63:64], v[51:52], v[41:42]
	v_add_f64 v[65:66], v[49:50], -v[63:64]
	v_add_f64 v[47:48], v[63:64], -v[51:52]
	s_delay_alu instid0(VALU_DEP_2) | instskip(NEXT) | instid1(VALU_DEP_2)
	v_add_f64 v[49:50], v[49:50], -v[65:66]
	v_add_f64 v[41:42], v[47:48], -v[41:42]
	s_delay_alu instid0(VALU_DEP_2) | instskip(NEXT) | instid1(VALU_DEP_1)
	v_add_f64 v[49:50], v[49:50], -v[63:64]
	v_add_f64 v[35:36], v[35:36], v[49:50]
	s_delay_alu instid0(VALU_DEP_1) | instskip(NEXT) | instid1(VALU_DEP_1)
	v_add_f64 v[35:36], v[41:42], v[35:36]
	v_add_f64 v[41:42], v[65:66], v[35:36]
	s_delay_alu instid0(VALU_DEP_1) | instskip(SKIP_1) | instid1(VALU_DEP_2)
	v_mul_f64 v[47:48], v[37:38], v[41:42]
	v_add_f64 v[63:64], v[65:66], -v[41:42]
	v_mul_f64 v[49:50], v[43:44], v[47:48]
	s_delay_alu instid0(VALU_DEP_2) | instskip(NEXT) | instid1(VALU_DEP_2)
	v_add_f64 v[35:36], v[35:36], v[63:64]
	v_fma_f64 v[43:44], v[47:48], v[43:44], -v[49:50]
	s_delay_alu instid0(VALU_DEP_1) | instskip(NEXT) | instid1(VALU_DEP_1)
	v_fma_f64 v[39:40], v[47:48], v[39:40], v[43:44]
	v_add_f64 v[43:44], v[49:50], v[39:40]
	s_delay_alu instid0(VALU_DEP_1) | instskip(SKIP_1) | instid1(VALU_DEP_2)
	v_add_f64 v[51:52], v[41:42], -v[43:44]
	v_add_f64 v[49:50], v[43:44], -v[49:50]
	;; [unrolled: 1-line block ×3, first 2 shown]
	s_delay_alu instid0(VALU_DEP_2) | instskip(NEXT) | instid1(VALU_DEP_2)
	v_add_f64 v[39:40], v[49:50], -v[39:40]
	v_add_f64 v[41:42], v[41:42], -v[43:44]
	s_delay_alu instid0(VALU_DEP_1) | instskip(SKIP_1) | instid1(VALU_DEP_2)
	v_add_f64 v[35:36], v[35:36], v[41:42]
	v_add_f64 v[41:42], v[45:46], v[47:48]
	;; [unrolled: 1-line block ×3, first 2 shown]
	s_delay_alu instid0(VALU_DEP_2) | instskip(NEXT) | instid1(VALU_DEP_2)
	v_add_f64 v[39:40], v[41:42], -v[45:46]
	v_add_f64 v[35:36], v[51:52], v[35:36]
	s_delay_alu instid0(VALU_DEP_2) | instskip(NEXT) | instid1(VALU_DEP_2)
	v_add_f64 v[39:40], v[47:48], -v[39:40]
	v_mul_f64 v[35:36], v[37:38], v[35:36]
	s_delay_alu instid0(VALU_DEP_1) | instskip(NEXT) | instid1(VALU_DEP_1)
	v_add_f64 v[35:36], v[39:40], v[35:36]
	v_add_f64 v[37:38], v[41:42], v[35:36]
	s_delay_alu instid0(VALU_DEP_1) | instskip(NEXT) | instid1(VALU_DEP_1)
	v_mul_f64 v[39:40], v[37:38], v[37:38]
	v_fma_f64 v[43:44], v[39:40], s[24:25], s[22:23]
	s_mov_b32 s22, 0xd7f4df2e
	s_mov_b32 s23, 0x3fc7474d
	v_mul_f64 v[45:46], v[37:38], v[39:40]
	s_delay_alu instid0(VALU_DEP_2)
	v_fma_f64 v[43:44], v[39:40], v[43:44], s[22:23]
	s_mov_b32 s22, 0x16291751
	s_mov_b32 s23, 0x3fcc71c0
	s_delay_alu instid0(VALU_DEP_1) | instid1(SALU_CYCLE_1)
	v_fma_f64 v[43:44], v[39:40], v[43:44], s[22:23]
	s_mov_b32 s22, 0x9b27acf1
	s_mov_b32 s23, 0x3fd24924
	s_delay_alu instid0(VALU_DEP_1) | instid1(SALU_CYCLE_1)
	;; [unrolled: 4-line block ×3, first 2 shown]
	v_fma_f64 v[43:44], v[39:40], v[43:44], s[22:23]
	s_delay_alu instid0(VALU_DEP_1) | instskip(SKIP_3) | instid1(VALU_DEP_4)
	v_fma_f64 v[39:40], v[39:40], v[43:44], s[0:1]
	v_ldexp_f64 v[43:44], v[37:38], 1
	v_add_f64 v[37:38], v[37:38], -v[41:42]
	v_cmp_eq_f64_e64 s0, 0x7ff00000, v[13:14]
	v_mul_f64 v[39:40], v[45:46], v[39:40]
	v_cvt_f64_i32_e32 v[45:46], v0
	s_delay_alu instid0(VALU_DEP_4) | instskip(NEXT) | instid1(VALU_DEP_3)
	v_add_f64 v[35:36], v[35:36], -v[37:38]
	v_add_f64 v[41:42], v[43:44], v[39:40]
	s_delay_alu instid0(VALU_DEP_3) | instskip(NEXT) | instid1(VALU_DEP_3)
	v_mul_f64 v[47:48], v[45:46], s[18:19]
	v_ldexp_f64 v[35:36], v[35:36], 1
	s_delay_alu instid0(VALU_DEP_3) | instskip(NEXT) | instid1(VALU_DEP_3)
	v_add_f64 v[37:38], v[41:42], -v[43:44]
	v_fma_f64 v[43:44], v[45:46], s[18:19], -v[47:48]
	s_delay_alu instid0(VALU_DEP_2) | instskip(NEXT) | instid1(VALU_DEP_2)
	v_add_f64 v[37:38], v[39:40], -v[37:38]
	v_fma_f64 v[39:40], v[45:46], s[20:21], v[43:44]
	s_delay_alu instid0(VALU_DEP_2) | instskip(NEXT) | instid1(VALU_DEP_2)
	v_add_f64 v[35:36], v[35:36], v[37:38]
	v_add_f64 v[37:38], v[47:48], v[39:40]
	s_delay_alu instid0(VALU_DEP_2) | instskip(NEXT) | instid1(VALU_DEP_2)
	v_add_f64 v[43:44], v[41:42], v[35:36]
	v_add_f64 v[47:48], v[37:38], -v[47:48]
	s_delay_alu instid0(VALU_DEP_2) | instskip(SKIP_1) | instid1(VALU_DEP_3)
	v_add_f64 v[45:46], v[37:38], v[43:44]
	v_add_f64 v[41:42], v[43:44], -v[41:42]
	v_add_f64 v[39:40], v[39:40], -v[47:48]
	s_delay_alu instid0(VALU_DEP_3) | instskip(NEXT) | instid1(VALU_DEP_3)
	v_add_f64 v[49:50], v[45:46], -v[37:38]
	v_add_f64 v[35:36], v[35:36], -v[41:42]
	s_delay_alu instid0(VALU_DEP_2) | instskip(SKIP_1) | instid1(VALU_DEP_3)
	v_add_f64 v[51:52], v[45:46], -v[49:50]
	v_add_f64 v[41:42], v[43:44], -v[49:50]
	v_add_f64 v[43:44], v[39:40], v[35:36]
	s_delay_alu instid0(VALU_DEP_3) | instskip(NEXT) | instid1(VALU_DEP_1)
	v_add_f64 v[37:38], v[37:38], -v[51:52]
	v_add_f64 v[37:38], v[41:42], v[37:38]
	s_delay_alu instid0(VALU_DEP_3) | instskip(NEXT) | instid1(VALU_DEP_2)
	v_add_f64 v[41:42], v[43:44], -v[39:40]
	v_add_f64 v[37:38], v[43:44], v[37:38]
	s_delay_alu instid0(VALU_DEP_2) | instskip(SKIP_1) | instid1(VALU_DEP_3)
	v_add_f64 v[43:44], v[43:44], -v[41:42]
	v_add_f64 v[35:36], v[35:36], -v[41:42]
	v_add_f64 v[47:48], v[45:46], v[37:38]
	s_delay_alu instid0(VALU_DEP_3) | instskip(NEXT) | instid1(VALU_DEP_2)
	v_add_f64 v[39:40], v[39:40], -v[43:44]
	v_add_f64 v[41:42], v[47:48], -v[45:46]
	s_delay_alu instid0(VALU_DEP_2) | instskip(NEXT) | instid1(VALU_DEP_2)
	v_add_f64 v[35:36], v[35:36], v[39:40]
	v_add_f64 v[37:38], v[37:38], -v[41:42]
	s_delay_alu instid0(VALU_DEP_1) | instskip(NEXT) | instid1(VALU_DEP_1)
	v_add_f64 v[35:36], v[35:36], v[37:38]
	v_add_f64 v[35:36], v[47:48], v[35:36]
	s_delay_alu instid0(VALU_DEP_1) | instskip(NEXT) | instid1(VALU_DEP_2)
	v_cndmask_b32_e64 v0, v35, v13, s0
	v_cndmask_b32_e64 v35, v36, v14, s0
	v_cmp_ngt_f64_e64 s0, -1.0, v[13:14]
	s_delay_alu instid0(VALU_DEP_1) | instskip(SKIP_1) | instid1(VALU_DEP_1)
	v_cndmask_b32_e64 v36, 0x7ff80000, v35, s0
	v_cmp_nge_f64_e64 s0, -1.0, v[13:14]
	v_cndmask_b32_e64 v35, 0, v0, s0
	v_cmp_neq_f64_e64 s0, -1.0, v[13:14]
	s_delay_alu instid0(VALU_DEP_1) | instskip(NEXT) | instid1(VALU_DEP_1)
	v_cndmask_b32_e64 v36, 0xfff00000, v36, s0
	v_add_f64 v[13:14], v[33:34], v[35:36]
.LBB86_126:
	s_or_b32 exec_lo, exec_lo, s17
	s_delay_alu instid0(VALU_DEP_1) | instskip(SKIP_1) | instid1(VALU_DEP_2)
	v_max_f64 v[33:34], v[13:14], v[13:14]
	v_cmp_u_f64_e64 s0, v[13:14], v[13:14]
	v_min_f64 v[35:36], v[33:34], v[53:54]
	v_max_f64 v[33:34], v[33:34], v[53:54]
	s_delay_alu instid0(VALU_DEP_2) | instskip(NEXT) | instid1(VALU_DEP_3)
	v_cndmask_b32_e64 v0, v35, v13, s0
	v_cndmask_b32_e64 v35, v36, v14, s0
	s_delay_alu instid0(VALU_DEP_3) | instskip(NEXT) | instid1(VALU_DEP_4)
	v_cndmask_b32_e64 v34, v34, v14, s0
	v_cndmask_b32_e64 v33, v33, v13, s0
	s_delay_alu instid0(VALU_DEP_3) | instskip(SKIP_1) | instid1(VALU_DEP_4)
	v_cndmask_b32_e64 v36, v35, v16, s27
	v_cndmask_b32_e64 v35, v0, v15, s27
	v_cndmask_b32_e64 v34, v34, v16, s27
	s_delay_alu instid0(VALU_DEP_4) | instskip(SKIP_1) | instid1(VALU_DEP_4)
	v_cndmask_b32_e64 v33, v33, v15, s27
	v_dual_mov_b32 v16, v14 :: v_dual_mov_b32 v15, v13
	v_cmp_class_f64_e64 s1, v[35:36], 0x1f8
	s_delay_alu instid0(VALU_DEP_3) | instskip(NEXT) | instid1(VALU_DEP_1)
	v_cmp_neq_f64_e64 s0, v[35:36], v[33:34]
	s_or_b32 s0, s0, s1
	s_delay_alu instid0(SALU_CYCLE_1)
	s_and_saveexec_b32 s17, s0
	s_cbranch_execz .LBB86_128
; %bb.127:
	v_add_f64 v[15:16], v[35:36], -v[33:34]
	s_mov_b32 s0, 0x652b82fe
	s_mov_b32 s1, 0x3ff71547
	;; [unrolled: 1-line block ×10, first 2 shown]
	s_delay_alu instid0(VALU_DEP_1) | instskip(SKIP_2) | instid1(VALU_DEP_1)
	v_mul_f64 v[35:36], v[15:16], s[0:1]
	s_mov_b32 s0, 0xfca7ab0c
	s_mov_b32 s1, 0x3e928af3
	v_rndne_f64_e32 v[35:36], v[35:36]
	s_delay_alu instid0(VALU_DEP_1) | instskip(SKIP_2) | instid1(VALU_DEP_2)
	v_fma_f64 v[37:38], v[35:36], s[18:19], v[15:16]
	v_cvt_i32_f64_e32 v0, v[35:36]
	s_mov_b32 s19, 0x3fe62e42
	v_fma_f64 v[37:38], v[35:36], s[20:21], v[37:38]
	s_mov_b32 s21, 0x3c7abc9e
	s_delay_alu instid0(VALU_DEP_1) | instskip(SKIP_4) | instid1(VALU_DEP_1)
	v_fma_f64 v[39:40], v[37:38], s[22:23], s[0:1]
	s_mov_b32 s0, 0x623fde64
	s_mov_b32 s1, 0x3ec71dee
	;; [unrolled: 1-line block ×4, first 2 shown]
	v_fma_f64 v[39:40], v[37:38], v[39:40], s[0:1]
	s_mov_b32 s0, 0x7c89e6b0
	s_mov_b32 s1, 0x3efa0199
	s_delay_alu instid0(VALU_DEP_1) | instid1(SALU_CYCLE_1)
	v_fma_f64 v[39:40], v[37:38], v[39:40], s[0:1]
	s_mov_b32 s0, 0x14761f6e
	s_mov_b32 s1, 0x3f2a01a0
	s_delay_alu instid0(VALU_DEP_1) | instid1(SALU_CYCLE_1)
	;; [unrolled: 4-line block ×7, first 2 shown]
	v_fma_f64 v[39:40], v[37:38], v[39:40], s[0:1]
	v_cmp_nlt_f64_e64 s0, 0x40900000, v[15:16]
	v_cmp_ngt_f64_e64 s1, 0xc090cc00, v[15:16]
	s_delay_alu instid0(VALU_DEP_3) | instskip(NEXT) | instid1(VALU_DEP_1)
	v_fma_f64 v[39:40], v[37:38], v[39:40], 1.0
	v_fma_f64 v[35:36], v[37:38], v[39:40], 1.0
	s_delay_alu instid0(VALU_DEP_1) | instskip(NEXT) | instid1(VALU_DEP_1)
	v_ldexp_f64 v[35:36], v[35:36], v0
	v_cndmask_b32_e64 v0, 0x7ff00000, v36, s0
	s_and_b32 s0, s1, s0
	s_delay_alu instid0(VALU_DEP_2) | instid1(SALU_CYCLE_1)
	v_cndmask_b32_e64 v15, 0, v35, s0
	s_mov_b32 s0, 0x55555555
	s_delay_alu instid0(VALU_DEP_2) | instskip(SKIP_1) | instid1(VALU_DEP_1)
	v_cndmask_b32_e64 v16, 0, v0, s1
	s_mov_b32 s1, 0x3fe55555
	v_add_f64 v[35:36], v[15:16], 1.0
	s_delay_alu instid0(VALU_DEP_1) | instskip(SKIP_2) | instid1(VALU_DEP_3)
	v_frexp_mant_f64_e32 v[37:38], v[35:36]
	v_frexp_exp_i32_f64_e32 v0, v[35:36]
	v_add_f64 v[39:40], v[35:36], -1.0
	v_cmp_gt_f64_e64 s0, s[0:1], v[37:38]
	s_delay_alu instid0(VALU_DEP_2) | instskip(SKIP_1) | instid1(VALU_DEP_3)
	v_add_f64 v[37:38], v[39:40], -v[35:36]
	v_add_f64 v[39:40], v[15:16], -v[39:40]
	v_subrev_co_ci_u32_e64 v0, s0, 0, v0, s0
	s_delay_alu instid0(VALU_DEP_3) | instskip(SKIP_1) | instid1(VALU_DEP_2)
	v_add_f64 v[37:38], v[37:38], 1.0
	s_mov_b32 s0, 0x55555780
	v_sub_nc_u32_e32 v43, 0, v0
	s_delay_alu instid0(VALU_DEP_1) | instskip(NEXT) | instid1(VALU_DEP_3)
	v_ldexp_f64 v[35:36], v[35:36], v43
	v_add_f64 v[37:38], v[39:40], v[37:38]
	s_delay_alu instid0(VALU_DEP_2) | instskip(SKIP_1) | instid1(VALU_DEP_3)
	v_add_f64 v[41:42], v[35:36], 1.0
	v_add_f64 v[47:48], v[35:36], -1.0
	v_ldexp_f64 v[37:38], v[37:38], v43
	s_delay_alu instid0(VALU_DEP_3) | instskip(NEXT) | instid1(VALU_DEP_3)
	v_add_f64 v[39:40], v[41:42], -1.0
	v_add_f64 v[49:50], v[47:48], 1.0
	s_delay_alu instid0(VALU_DEP_2) | instskip(NEXT) | instid1(VALU_DEP_2)
	v_add_f64 v[39:40], v[35:36], -v[39:40]
	v_add_f64 v[35:36], v[35:36], -v[49:50]
	s_delay_alu instid0(VALU_DEP_2) | instskip(NEXT) | instid1(VALU_DEP_2)
	v_add_f64 v[39:40], v[37:38], v[39:40]
	v_add_f64 v[35:36], v[37:38], v[35:36]
	s_delay_alu instid0(VALU_DEP_2) | instskip(NEXT) | instid1(VALU_DEP_2)
	v_add_f64 v[43:44], v[41:42], v[39:40]
	v_add_f64 v[49:50], v[47:48], v[35:36]
	s_delay_alu instid0(VALU_DEP_2) | instskip(SKIP_1) | instid1(VALU_DEP_2)
	v_rcp_f64_e32 v[45:46], v[43:44]
	v_add_f64 v[41:42], v[43:44], -v[41:42]
	v_add_f64 v[47:48], v[49:50], -v[47:48]
	s_delay_alu instid0(VALU_DEP_2) | instskip(SKIP_3) | instid1(VALU_DEP_2)
	v_add_f64 v[39:40], v[39:40], -v[41:42]
	s_waitcnt_depctr 0xfff
	v_fma_f64 v[51:52], -v[43:44], v[45:46], 1.0
	v_add_f64 v[35:36], v[35:36], -v[47:48]
	v_fma_f64 v[45:46], v[51:52], v[45:46], v[45:46]
	s_delay_alu instid0(VALU_DEP_1) | instskip(NEXT) | instid1(VALU_DEP_1)
	v_fma_f64 v[37:38], -v[43:44], v[45:46], 1.0
	v_fma_f64 v[37:38], v[37:38], v[45:46], v[45:46]
	s_delay_alu instid0(VALU_DEP_1) | instskip(NEXT) | instid1(VALU_DEP_1)
	v_mul_f64 v[45:46], v[49:50], v[37:38]
	v_mul_f64 v[51:52], v[43:44], v[45:46]
	s_delay_alu instid0(VALU_DEP_1) | instskip(NEXT) | instid1(VALU_DEP_1)
	v_fma_f64 v[41:42], v[45:46], v[43:44], -v[51:52]
	v_fma_f64 v[41:42], v[45:46], v[39:40], v[41:42]
	s_delay_alu instid0(VALU_DEP_1) | instskip(NEXT) | instid1(VALU_DEP_1)
	v_add_f64 v[53:54], v[51:52], v[41:42]
	v_add_f64 v[63:64], v[49:50], -v[53:54]
	v_add_f64 v[47:48], v[53:54], -v[51:52]
	s_delay_alu instid0(VALU_DEP_2) | instskip(NEXT) | instid1(VALU_DEP_2)
	v_add_f64 v[49:50], v[49:50], -v[63:64]
	v_add_f64 v[41:42], v[47:48], -v[41:42]
	s_delay_alu instid0(VALU_DEP_2) | instskip(NEXT) | instid1(VALU_DEP_1)
	v_add_f64 v[49:50], v[49:50], -v[53:54]
	v_add_f64 v[35:36], v[35:36], v[49:50]
	s_delay_alu instid0(VALU_DEP_1) | instskip(NEXT) | instid1(VALU_DEP_1)
	v_add_f64 v[35:36], v[41:42], v[35:36]
	v_add_f64 v[41:42], v[63:64], v[35:36]
	s_delay_alu instid0(VALU_DEP_1) | instskip(SKIP_1) | instid1(VALU_DEP_2)
	v_mul_f64 v[47:48], v[37:38], v[41:42]
	v_add_f64 v[53:54], v[63:64], -v[41:42]
	v_mul_f64 v[49:50], v[43:44], v[47:48]
	s_delay_alu instid0(VALU_DEP_2) | instskip(NEXT) | instid1(VALU_DEP_2)
	v_add_f64 v[35:36], v[35:36], v[53:54]
	v_fma_f64 v[43:44], v[47:48], v[43:44], -v[49:50]
	s_delay_alu instid0(VALU_DEP_1) | instskip(NEXT) | instid1(VALU_DEP_1)
	v_fma_f64 v[39:40], v[47:48], v[39:40], v[43:44]
	v_add_f64 v[43:44], v[49:50], v[39:40]
	s_delay_alu instid0(VALU_DEP_1) | instskip(SKIP_1) | instid1(VALU_DEP_2)
	v_add_f64 v[51:52], v[41:42], -v[43:44]
	v_add_f64 v[49:50], v[43:44], -v[49:50]
	;; [unrolled: 1-line block ×3, first 2 shown]
	s_delay_alu instid0(VALU_DEP_2) | instskip(NEXT) | instid1(VALU_DEP_2)
	v_add_f64 v[39:40], v[49:50], -v[39:40]
	v_add_f64 v[41:42], v[41:42], -v[43:44]
	s_delay_alu instid0(VALU_DEP_1) | instskip(SKIP_1) | instid1(VALU_DEP_2)
	v_add_f64 v[35:36], v[35:36], v[41:42]
	v_add_f64 v[41:42], v[45:46], v[47:48]
	;; [unrolled: 1-line block ×3, first 2 shown]
	s_delay_alu instid0(VALU_DEP_2) | instskip(NEXT) | instid1(VALU_DEP_2)
	v_add_f64 v[39:40], v[41:42], -v[45:46]
	v_add_f64 v[35:36], v[51:52], v[35:36]
	s_delay_alu instid0(VALU_DEP_2) | instskip(NEXT) | instid1(VALU_DEP_2)
	v_add_f64 v[39:40], v[47:48], -v[39:40]
	v_mul_f64 v[35:36], v[37:38], v[35:36]
	s_delay_alu instid0(VALU_DEP_1) | instskip(NEXT) | instid1(VALU_DEP_1)
	v_add_f64 v[35:36], v[39:40], v[35:36]
	v_add_f64 v[37:38], v[41:42], v[35:36]
	s_delay_alu instid0(VALU_DEP_1) | instskip(NEXT) | instid1(VALU_DEP_1)
	v_mul_f64 v[39:40], v[37:38], v[37:38]
	v_fma_f64 v[43:44], v[39:40], s[24:25], s[22:23]
	s_mov_b32 s22, 0xd7f4df2e
	s_mov_b32 s23, 0x3fc7474d
	v_mul_f64 v[45:46], v[37:38], v[39:40]
	s_delay_alu instid0(VALU_DEP_2)
	v_fma_f64 v[43:44], v[39:40], v[43:44], s[22:23]
	s_mov_b32 s22, 0x16291751
	s_mov_b32 s23, 0x3fcc71c0
	s_delay_alu instid0(VALU_DEP_1) | instid1(SALU_CYCLE_1)
	v_fma_f64 v[43:44], v[39:40], v[43:44], s[22:23]
	s_mov_b32 s22, 0x9b27acf1
	s_mov_b32 s23, 0x3fd24924
	s_delay_alu instid0(VALU_DEP_1) | instid1(SALU_CYCLE_1)
	;; [unrolled: 4-line block ×3, first 2 shown]
	v_fma_f64 v[43:44], v[39:40], v[43:44], s[22:23]
	s_delay_alu instid0(VALU_DEP_1) | instskip(SKIP_3) | instid1(VALU_DEP_4)
	v_fma_f64 v[39:40], v[39:40], v[43:44], s[0:1]
	v_ldexp_f64 v[43:44], v[37:38], 1
	v_add_f64 v[37:38], v[37:38], -v[41:42]
	v_cmp_eq_f64_e64 s0, 0x7ff00000, v[15:16]
	v_mul_f64 v[39:40], v[45:46], v[39:40]
	v_cvt_f64_i32_e32 v[45:46], v0
	s_delay_alu instid0(VALU_DEP_4) | instskip(NEXT) | instid1(VALU_DEP_3)
	v_add_f64 v[35:36], v[35:36], -v[37:38]
	v_add_f64 v[41:42], v[43:44], v[39:40]
	s_delay_alu instid0(VALU_DEP_3) | instskip(NEXT) | instid1(VALU_DEP_3)
	v_mul_f64 v[47:48], v[45:46], s[18:19]
	v_ldexp_f64 v[35:36], v[35:36], 1
	s_delay_alu instid0(VALU_DEP_3) | instskip(NEXT) | instid1(VALU_DEP_3)
	v_add_f64 v[37:38], v[41:42], -v[43:44]
	v_fma_f64 v[43:44], v[45:46], s[18:19], -v[47:48]
	s_delay_alu instid0(VALU_DEP_2) | instskip(NEXT) | instid1(VALU_DEP_2)
	v_add_f64 v[37:38], v[39:40], -v[37:38]
	v_fma_f64 v[39:40], v[45:46], s[20:21], v[43:44]
	s_delay_alu instid0(VALU_DEP_2) | instskip(NEXT) | instid1(VALU_DEP_2)
	v_add_f64 v[35:36], v[35:36], v[37:38]
	v_add_f64 v[37:38], v[47:48], v[39:40]
	s_delay_alu instid0(VALU_DEP_2) | instskip(NEXT) | instid1(VALU_DEP_2)
	v_add_f64 v[43:44], v[41:42], v[35:36]
	v_add_f64 v[47:48], v[37:38], -v[47:48]
	s_delay_alu instid0(VALU_DEP_2) | instskip(SKIP_1) | instid1(VALU_DEP_3)
	v_add_f64 v[45:46], v[37:38], v[43:44]
	v_add_f64 v[41:42], v[43:44], -v[41:42]
	v_add_f64 v[39:40], v[39:40], -v[47:48]
	s_delay_alu instid0(VALU_DEP_3) | instskip(NEXT) | instid1(VALU_DEP_3)
	v_add_f64 v[49:50], v[45:46], -v[37:38]
	v_add_f64 v[35:36], v[35:36], -v[41:42]
	s_delay_alu instid0(VALU_DEP_2) | instskip(SKIP_1) | instid1(VALU_DEP_3)
	v_add_f64 v[51:52], v[45:46], -v[49:50]
	v_add_f64 v[41:42], v[43:44], -v[49:50]
	v_add_f64 v[43:44], v[39:40], v[35:36]
	s_delay_alu instid0(VALU_DEP_3) | instskip(NEXT) | instid1(VALU_DEP_1)
	v_add_f64 v[37:38], v[37:38], -v[51:52]
	v_add_f64 v[37:38], v[41:42], v[37:38]
	s_delay_alu instid0(VALU_DEP_3) | instskip(NEXT) | instid1(VALU_DEP_2)
	v_add_f64 v[41:42], v[43:44], -v[39:40]
	v_add_f64 v[37:38], v[43:44], v[37:38]
	s_delay_alu instid0(VALU_DEP_2) | instskip(SKIP_1) | instid1(VALU_DEP_3)
	v_add_f64 v[43:44], v[43:44], -v[41:42]
	v_add_f64 v[35:36], v[35:36], -v[41:42]
	v_add_f64 v[47:48], v[45:46], v[37:38]
	s_delay_alu instid0(VALU_DEP_3) | instskip(NEXT) | instid1(VALU_DEP_2)
	v_add_f64 v[39:40], v[39:40], -v[43:44]
	v_add_f64 v[41:42], v[47:48], -v[45:46]
	s_delay_alu instid0(VALU_DEP_2) | instskip(NEXT) | instid1(VALU_DEP_2)
	v_add_f64 v[35:36], v[35:36], v[39:40]
	v_add_f64 v[37:38], v[37:38], -v[41:42]
	s_delay_alu instid0(VALU_DEP_1) | instskip(NEXT) | instid1(VALU_DEP_1)
	v_add_f64 v[35:36], v[35:36], v[37:38]
	v_add_f64 v[35:36], v[47:48], v[35:36]
	s_delay_alu instid0(VALU_DEP_1) | instskip(NEXT) | instid1(VALU_DEP_2)
	v_cndmask_b32_e64 v0, v35, v15, s0
	v_cndmask_b32_e64 v35, v36, v16, s0
	v_cmp_ngt_f64_e64 s0, -1.0, v[15:16]
	s_delay_alu instid0(VALU_DEP_1) | instskip(SKIP_1) | instid1(VALU_DEP_1)
	v_cndmask_b32_e64 v36, 0x7ff80000, v35, s0
	v_cmp_nge_f64_e64 s0, -1.0, v[15:16]
	v_cndmask_b32_e64 v35, 0, v0, s0
	v_cmp_neq_f64_e64 s0, -1.0, v[15:16]
	s_delay_alu instid0(VALU_DEP_1) | instskip(NEXT) | instid1(VALU_DEP_1)
	v_cndmask_b32_e64 v36, 0xfff00000, v36, s0
	v_add_f64 v[15:16], v[33:34], v[35:36]
.LBB86_128:
	s_or_b32 exec_lo, exec_lo, s17
	s_delay_alu instid0(VALU_DEP_1) | instskip(SKIP_1) | instid1(VALU_DEP_2)
	v_max_f64 v[33:34], v[15:16], v[15:16]
	v_cmp_u_f64_e64 s0, v[15:16], v[15:16]
	v_min_f64 v[35:36], v[33:34], v[55:56]
	v_max_f64 v[33:34], v[33:34], v[55:56]
	s_delay_alu instid0(VALU_DEP_2) | instskip(NEXT) | instid1(VALU_DEP_3)
	v_cndmask_b32_e64 v0, v35, v15, s0
	v_cndmask_b32_e64 v35, v36, v16, s0
	s_delay_alu instid0(VALU_DEP_3) | instskip(NEXT) | instid1(VALU_DEP_4)
	v_cndmask_b32_e64 v34, v34, v16, s0
	v_cndmask_b32_e64 v33, v33, v15, s0
	s_delay_alu instid0(VALU_DEP_3) | instskip(SKIP_1) | instid1(VALU_DEP_4)
	v_cndmask_b32_e64 v36, v35, v10, s28
	v_cndmask_b32_e64 v35, v0, v9, s28
	;; [unrolled: 1-line block ×3, first 2 shown]
	s_delay_alu instid0(VALU_DEP_4) | instskip(SKIP_1) | instid1(VALU_DEP_4)
	v_cndmask_b32_e64 v33, v33, v9, s28
	v_dual_mov_b32 v9, v15 :: v_dual_mov_b32 v10, v16
	v_cmp_class_f64_e64 s1, v[35:36], 0x1f8
	s_delay_alu instid0(VALU_DEP_3) | instskip(NEXT) | instid1(VALU_DEP_1)
	v_cmp_neq_f64_e64 s0, v[35:36], v[33:34]
	s_or_b32 s0, s0, s1
	s_delay_alu instid0(SALU_CYCLE_1)
	s_and_saveexec_b32 s17, s0
	s_cbranch_execz .LBB86_130
; %bb.129:
	v_add_f64 v[9:10], v[35:36], -v[33:34]
	s_mov_b32 s0, 0x652b82fe
	s_mov_b32 s1, 0x3ff71547
	;; [unrolled: 1-line block ×10, first 2 shown]
	s_delay_alu instid0(VALU_DEP_1) | instskip(SKIP_2) | instid1(VALU_DEP_1)
	v_mul_f64 v[35:36], v[9:10], s[0:1]
	s_mov_b32 s0, 0xfca7ab0c
	s_mov_b32 s1, 0x3e928af3
	v_rndne_f64_e32 v[35:36], v[35:36]
	s_delay_alu instid0(VALU_DEP_1) | instskip(SKIP_2) | instid1(VALU_DEP_2)
	v_fma_f64 v[37:38], v[35:36], s[18:19], v[9:10]
	v_cvt_i32_f64_e32 v0, v[35:36]
	s_mov_b32 s19, 0x3fe62e42
	v_fma_f64 v[37:38], v[35:36], s[20:21], v[37:38]
	s_mov_b32 s21, 0x3c7abc9e
	s_delay_alu instid0(VALU_DEP_1) | instskip(SKIP_4) | instid1(VALU_DEP_1)
	v_fma_f64 v[39:40], v[37:38], s[22:23], s[0:1]
	s_mov_b32 s0, 0x623fde64
	s_mov_b32 s1, 0x3ec71dee
	;; [unrolled: 1-line block ×4, first 2 shown]
	v_fma_f64 v[39:40], v[37:38], v[39:40], s[0:1]
	s_mov_b32 s0, 0x7c89e6b0
	s_mov_b32 s1, 0x3efa0199
	s_delay_alu instid0(VALU_DEP_1) | instid1(SALU_CYCLE_1)
	v_fma_f64 v[39:40], v[37:38], v[39:40], s[0:1]
	s_mov_b32 s0, 0x14761f6e
	s_mov_b32 s1, 0x3f2a01a0
	s_delay_alu instid0(VALU_DEP_1) | instid1(SALU_CYCLE_1)
	;; [unrolled: 4-line block ×7, first 2 shown]
	v_fma_f64 v[39:40], v[37:38], v[39:40], s[0:1]
	v_cmp_nlt_f64_e64 s0, 0x40900000, v[9:10]
	v_cmp_ngt_f64_e64 s1, 0xc090cc00, v[9:10]
	s_delay_alu instid0(VALU_DEP_3) | instskip(NEXT) | instid1(VALU_DEP_1)
	v_fma_f64 v[39:40], v[37:38], v[39:40], 1.0
	v_fma_f64 v[35:36], v[37:38], v[39:40], 1.0
	s_delay_alu instid0(VALU_DEP_1) | instskip(NEXT) | instid1(VALU_DEP_1)
	v_ldexp_f64 v[35:36], v[35:36], v0
	v_cndmask_b32_e64 v0, 0x7ff00000, v36, s0
	s_and_b32 s0, s1, s0
	s_delay_alu instid0(VALU_DEP_2) | instid1(SALU_CYCLE_1)
	v_cndmask_b32_e64 v9, 0, v35, s0
	s_mov_b32 s0, 0x55555555
	s_delay_alu instid0(VALU_DEP_2) | instskip(SKIP_1) | instid1(VALU_DEP_1)
	v_cndmask_b32_e64 v10, 0, v0, s1
	s_mov_b32 s1, 0x3fe55555
	v_add_f64 v[35:36], v[9:10], 1.0
	s_delay_alu instid0(VALU_DEP_1) | instskip(SKIP_2) | instid1(VALU_DEP_3)
	v_frexp_mant_f64_e32 v[37:38], v[35:36]
	v_frexp_exp_i32_f64_e32 v0, v[35:36]
	v_add_f64 v[39:40], v[35:36], -1.0
	v_cmp_gt_f64_e64 s0, s[0:1], v[37:38]
	s_delay_alu instid0(VALU_DEP_2) | instskip(SKIP_1) | instid1(VALU_DEP_3)
	v_add_f64 v[37:38], v[39:40], -v[35:36]
	v_add_f64 v[39:40], v[9:10], -v[39:40]
	v_subrev_co_ci_u32_e64 v0, s0, 0, v0, s0
	s_delay_alu instid0(VALU_DEP_3) | instskip(SKIP_1) | instid1(VALU_DEP_2)
	v_add_f64 v[37:38], v[37:38], 1.0
	s_mov_b32 s0, 0x55555780
	v_sub_nc_u32_e32 v43, 0, v0
	s_delay_alu instid0(VALU_DEP_1) | instskip(NEXT) | instid1(VALU_DEP_3)
	v_ldexp_f64 v[35:36], v[35:36], v43
	v_add_f64 v[37:38], v[39:40], v[37:38]
	s_delay_alu instid0(VALU_DEP_2) | instskip(SKIP_1) | instid1(VALU_DEP_3)
	v_add_f64 v[41:42], v[35:36], 1.0
	v_add_f64 v[47:48], v[35:36], -1.0
	v_ldexp_f64 v[37:38], v[37:38], v43
	s_delay_alu instid0(VALU_DEP_3) | instskip(NEXT) | instid1(VALU_DEP_3)
	v_add_f64 v[39:40], v[41:42], -1.0
	v_add_f64 v[49:50], v[47:48], 1.0
	s_delay_alu instid0(VALU_DEP_2) | instskip(NEXT) | instid1(VALU_DEP_2)
	v_add_f64 v[39:40], v[35:36], -v[39:40]
	v_add_f64 v[35:36], v[35:36], -v[49:50]
	s_delay_alu instid0(VALU_DEP_2) | instskip(NEXT) | instid1(VALU_DEP_2)
	v_add_f64 v[39:40], v[37:38], v[39:40]
	v_add_f64 v[35:36], v[37:38], v[35:36]
	s_delay_alu instid0(VALU_DEP_2) | instskip(NEXT) | instid1(VALU_DEP_2)
	v_add_f64 v[43:44], v[41:42], v[39:40]
	v_add_f64 v[49:50], v[47:48], v[35:36]
	s_delay_alu instid0(VALU_DEP_2) | instskip(SKIP_1) | instid1(VALU_DEP_2)
	v_rcp_f64_e32 v[45:46], v[43:44]
	v_add_f64 v[41:42], v[43:44], -v[41:42]
	v_add_f64 v[47:48], v[49:50], -v[47:48]
	s_delay_alu instid0(VALU_DEP_2) | instskip(SKIP_3) | instid1(VALU_DEP_2)
	v_add_f64 v[39:40], v[39:40], -v[41:42]
	s_waitcnt_depctr 0xfff
	v_fma_f64 v[51:52], -v[43:44], v[45:46], 1.0
	v_add_f64 v[35:36], v[35:36], -v[47:48]
	v_fma_f64 v[45:46], v[51:52], v[45:46], v[45:46]
	s_delay_alu instid0(VALU_DEP_1) | instskip(NEXT) | instid1(VALU_DEP_1)
	v_fma_f64 v[37:38], -v[43:44], v[45:46], 1.0
	v_fma_f64 v[37:38], v[37:38], v[45:46], v[45:46]
	s_delay_alu instid0(VALU_DEP_1) | instskip(NEXT) | instid1(VALU_DEP_1)
	v_mul_f64 v[45:46], v[49:50], v[37:38]
	v_mul_f64 v[51:52], v[43:44], v[45:46]
	s_delay_alu instid0(VALU_DEP_1) | instskip(NEXT) | instid1(VALU_DEP_1)
	v_fma_f64 v[41:42], v[45:46], v[43:44], -v[51:52]
	v_fma_f64 v[41:42], v[45:46], v[39:40], v[41:42]
	s_delay_alu instid0(VALU_DEP_1) | instskip(NEXT) | instid1(VALU_DEP_1)
	v_add_f64 v[53:54], v[51:52], v[41:42]
	v_add_f64 v[55:56], v[49:50], -v[53:54]
	v_add_f64 v[47:48], v[53:54], -v[51:52]
	s_delay_alu instid0(VALU_DEP_2) | instskip(NEXT) | instid1(VALU_DEP_2)
	v_add_f64 v[49:50], v[49:50], -v[55:56]
	v_add_f64 v[41:42], v[47:48], -v[41:42]
	s_delay_alu instid0(VALU_DEP_2) | instskip(NEXT) | instid1(VALU_DEP_1)
	v_add_f64 v[49:50], v[49:50], -v[53:54]
	v_add_f64 v[35:36], v[35:36], v[49:50]
	s_delay_alu instid0(VALU_DEP_1) | instskip(NEXT) | instid1(VALU_DEP_1)
	v_add_f64 v[35:36], v[41:42], v[35:36]
	v_add_f64 v[41:42], v[55:56], v[35:36]
	s_delay_alu instid0(VALU_DEP_1) | instskip(SKIP_1) | instid1(VALU_DEP_2)
	v_mul_f64 v[47:48], v[37:38], v[41:42]
	v_add_f64 v[53:54], v[55:56], -v[41:42]
	v_mul_f64 v[49:50], v[43:44], v[47:48]
	s_delay_alu instid0(VALU_DEP_2) | instskip(NEXT) | instid1(VALU_DEP_2)
	v_add_f64 v[35:36], v[35:36], v[53:54]
	v_fma_f64 v[43:44], v[47:48], v[43:44], -v[49:50]
	s_delay_alu instid0(VALU_DEP_1) | instskip(NEXT) | instid1(VALU_DEP_1)
	v_fma_f64 v[39:40], v[47:48], v[39:40], v[43:44]
	v_add_f64 v[43:44], v[49:50], v[39:40]
	s_delay_alu instid0(VALU_DEP_1) | instskip(SKIP_1) | instid1(VALU_DEP_2)
	v_add_f64 v[51:52], v[41:42], -v[43:44]
	v_add_f64 v[49:50], v[43:44], -v[49:50]
	;; [unrolled: 1-line block ×3, first 2 shown]
	s_delay_alu instid0(VALU_DEP_2) | instskip(NEXT) | instid1(VALU_DEP_2)
	v_add_f64 v[39:40], v[49:50], -v[39:40]
	v_add_f64 v[41:42], v[41:42], -v[43:44]
	s_delay_alu instid0(VALU_DEP_1) | instskip(SKIP_1) | instid1(VALU_DEP_2)
	v_add_f64 v[35:36], v[35:36], v[41:42]
	v_add_f64 v[41:42], v[45:46], v[47:48]
	;; [unrolled: 1-line block ×3, first 2 shown]
	s_delay_alu instid0(VALU_DEP_2) | instskip(NEXT) | instid1(VALU_DEP_2)
	v_add_f64 v[39:40], v[41:42], -v[45:46]
	v_add_f64 v[35:36], v[51:52], v[35:36]
	s_delay_alu instid0(VALU_DEP_2) | instskip(NEXT) | instid1(VALU_DEP_2)
	v_add_f64 v[39:40], v[47:48], -v[39:40]
	v_mul_f64 v[35:36], v[37:38], v[35:36]
	s_delay_alu instid0(VALU_DEP_1) | instskip(NEXT) | instid1(VALU_DEP_1)
	v_add_f64 v[35:36], v[39:40], v[35:36]
	v_add_f64 v[37:38], v[41:42], v[35:36]
	s_delay_alu instid0(VALU_DEP_1) | instskip(NEXT) | instid1(VALU_DEP_1)
	v_mul_f64 v[39:40], v[37:38], v[37:38]
	v_fma_f64 v[43:44], v[39:40], s[24:25], s[22:23]
	s_mov_b32 s22, 0xd7f4df2e
	s_mov_b32 s23, 0x3fc7474d
	v_mul_f64 v[45:46], v[37:38], v[39:40]
	s_delay_alu instid0(VALU_DEP_2)
	v_fma_f64 v[43:44], v[39:40], v[43:44], s[22:23]
	s_mov_b32 s22, 0x16291751
	s_mov_b32 s23, 0x3fcc71c0
	s_delay_alu instid0(VALU_DEP_1) | instid1(SALU_CYCLE_1)
	v_fma_f64 v[43:44], v[39:40], v[43:44], s[22:23]
	s_mov_b32 s22, 0x9b27acf1
	s_mov_b32 s23, 0x3fd24924
	s_delay_alu instid0(VALU_DEP_1) | instid1(SALU_CYCLE_1)
	;; [unrolled: 4-line block ×3, first 2 shown]
	v_fma_f64 v[43:44], v[39:40], v[43:44], s[22:23]
	s_delay_alu instid0(VALU_DEP_1) | instskip(SKIP_3) | instid1(VALU_DEP_4)
	v_fma_f64 v[39:40], v[39:40], v[43:44], s[0:1]
	v_ldexp_f64 v[43:44], v[37:38], 1
	v_add_f64 v[37:38], v[37:38], -v[41:42]
	v_cmp_eq_f64_e64 s0, 0x7ff00000, v[9:10]
	v_mul_f64 v[39:40], v[45:46], v[39:40]
	v_cvt_f64_i32_e32 v[45:46], v0
	s_delay_alu instid0(VALU_DEP_4) | instskip(NEXT) | instid1(VALU_DEP_3)
	v_add_f64 v[35:36], v[35:36], -v[37:38]
	v_add_f64 v[41:42], v[43:44], v[39:40]
	s_delay_alu instid0(VALU_DEP_3) | instskip(NEXT) | instid1(VALU_DEP_3)
	v_mul_f64 v[47:48], v[45:46], s[18:19]
	v_ldexp_f64 v[35:36], v[35:36], 1
	s_delay_alu instid0(VALU_DEP_3) | instskip(NEXT) | instid1(VALU_DEP_3)
	v_add_f64 v[37:38], v[41:42], -v[43:44]
	v_fma_f64 v[43:44], v[45:46], s[18:19], -v[47:48]
	s_delay_alu instid0(VALU_DEP_2) | instskip(NEXT) | instid1(VALU_DEP_2)
	v_add_f64 v[37:38], v[39:40], -v[37:38]
	v_fma_f64 v[39:40], v[45:46], s[20:21], v[43:44]
	s_delay_alu instid0(VALU_DEP_2) | instskip(NEXT) | instid1(VALU_DEP_2)
	v_add_f64 v[35:36], v[35:36], v[37:38]
	v_add_f64 v[37:38], v[47:48], v[39:40]
	s_delay_alu instid0(VALU_DEP_2) | instskip(NEXT) | instid1(VALU_DEP_2)
	v_add_f64 v[43:44], v[41:42], v[35:36]
	v_add_f64 v[47:48], v[37:38], -v[47:48]
	s_delay_alu instid0(VALU_DEP_2) | instskip(SKIP_1) | instid1(VALU_DEP_3)
	v_add_f64 v[45:46], v[37:38], v[43:44]
	v_add_f64 v[41:42], v[43:44], -v[41:42]
	v_add_f64 v[39:40], v[39:40], -v[47:48]
	s_delay_alu instid0(VALU_DEP_3) | instskip(NEXT) | instid1(VALU_DEP_3)
	v_add_f64 v[49:50], v[45:46], -v[37:38]
	v_add_f64 v[35:36], v[35:36], -v[41:42]
	s_delay_alu instid0(VALU_DEP_2) | instskip(SKIP_1) | instid1(VALU_DEP_3)
	v_add_f64 v[51:52], v[45:46], -v[49:50]
	v_add_f64 v[41:42], v[43:44], -v[49:50]
	v_add_f64 v[43:44], v[39:40], v[35:36]
	s_delay_alu instid0(VALU_DEP_3) | instskip(NEXT) | instid1(VALU_DEP_1)
	v_add_f64 v[37:38], v[37:38], -v[51:52]
	v_add_f64 v[37:38], v[41:42], v[37:38]
	s_delay_alu instid0(VALU_DEP_3) | instskip(NEXT) | instid1(VALU_DEP_2)
	v_add_f64 v[41:42], v[43:44], -v[39:40]
	v_add_f64 v[37:38], v[43:44], v[37:38]
	s_delay_alu instid0(VALU_DEP_2) | instskip(SKIP_1) | instid1(VALU_DEP_3)
	v_add_f64 v[43:44], v[43:44], -v[41:42]
	v_add_f64 v[35:36], v[35:36], -v[41:42]
	v_add_f64 v[47:48], v[45:46], v[37:38]
	s_delay_alu instid0(VALU_DEP_3) | instskip(NEXT) | instid1(VALU_DEP_2)
	v_add_f64 v[39:40], v[39:40], -v[43:44]
	v_add_f64 v[41:42], v[47:48], -v[45:46]
	s_delay_alu instid0(VALU_DEP_2) | instskip(NEXT) | instid1(VALU_DEP_2)
	v_add_f64 v[35:36], v[35:36], v[39:40]
	v_add_f64 v[37:38], v[37:38], -v[41:42]
	s_delay_alu instid0(VALU_DEP_1) | instskip(NEXT) | instid1(VALU_DEP_1)
	v_add_f64 v[35:36], v[35:36], v[37:38]
	v_add_f64 v[35:36], v[47:48], v[35:36]
	s_delay_alu instid0(VALU_DEP_1) | instskip(NEXT) | instid1(VALU_DEP_2)
	v_cndmask_b32_e64 v0, v35, v9, s0
	v_cndmask_b32_e64 v35, v36, v10, s0
	v_cmp_ngt_f64_e64 s0, -1.0, v[9:10]
	s_delay_alu instid0(VALU_DEP_1) | instskip(SKIP_1) | instid1(VALU_DEP_1)
	v_cndmask_b32_e64 v36, 0x7ff80000, v35, s0
	v_cmp_nge_f64_e64 s0, -1.0, v[9:10]
	v_cndmask_b32_e64 v35, 0, v0, s0
	v_cmp_neq_f64_e64 s0, -1.0, v[9:10]
	s_delay_alu instid0(VALU_DEP_1) | instskip(NEXT) | instid1(VALU_DEP_1)
	v_cndmask_b32_e64 v36, 0xfff00000, v36, s0
	v_add_f64 v[9:10], v[33:34], v[35:36]
.LBB86_130:
	s_or_b32 exec_lo, exec_lo, s17
	s_delay_alu instid0(VALU_DEP_1) | instskip(SKIP_1) | instid1(VALU_DEP_2)
	v_max_f64 v[33:34], v[9:10], v[9:10]
	v_cmp_u_f64_e64 s0, v[9:10], v[9:10]
	v_min_f64 v[35:36], v[33:34], v[57:58]
	v_max_f64 v[33:34], v[33:34], v[57:58]
	s_delay_alu instid0(VALU_DEP_2) | instskip(NEXT) | instid1(VALU_DEP_3)
	v_cndmask_b32_e64 v0, v35, v9, s0
	v_cndmask_b32_e64 v35, v36, v10, s0
	s_delay_alu instid0(VALU_DEP_3) | instskip(NEXT) | instid1(VALU_DEP_4)
	v_cndmask_b32_e64 v34, v34, v10, s0
	v_cndmask_b32_e64 v33, v33, v9, s0
	s_delay_alu instid0(VALU_DEP_3) | instskip(SKIP_1) | instid1(VALU_DEP_4)
	v_cndmask_b32_e64 v36, v35, v12, s29
	v_cndmask_b32_e64 v35, v0, v11, s29
	;; [unrolled: 1-line block ×3, first 2 shown]
	s_delay_alu instid0(VALU_DEP_4) | instskip(SKIP_1) | instid1(VALU_DEP_4)
	v_cndmask_b32_e64 v33, v33, v11, s29
	v_dual_mov_b32 v12, v10 :: v_dual_mov_b32 v11, v9
	v_cmp_class_f64_e64 s1, v[35:36], 0x1f8
	s_delay_alu instid0(VALU_DEP_3) | instskip(NEXT) | instid1(VALU_DEP_1)
	v_cmp_neq_f64_e64 s0, v[35:36], v[33:34]
	s_or_b32 s0, s0, s1
	s_delay_alu instid0(SALU_CYCLE_1)
	s_and_saveexec_b32 s17, s0
	s_cbranch_execz .LBB86_132
; %bb.131:
	v_add_f64 v[11:12], v[35:36], -v[33:34]
	s_mov_b32 s0, 0x652b82fe
	s_mov_b32 s1, 0x3ff71547
	;; [unrolled: 1-line block ×10, first 2 shown]
	s_delay_alu instid0(VALU_DEP_1) | instskip(SKIP_2) | instid1(VALU_DEP_1)
	v_mul_f64 v[35:36], v[11:12], s[0:1]
	s_mov_b32 s0, 0xfca7ab0c
	s_mov_b32 s1, 0x3e928af3
	v_rndne_f64_e32 v[35:36], v[35:36]
	s_delay_alu instid0(VALU_DEP_1) | instskip(SKIP_2) | instid1(VALU_DEP_2)
	v_fma_f64 v[37:38], v[35:36], s[18:19], v[11:12]
	v_cvt_i32_f64_e32 v0, v[35:36]
	s_mov_b32 s19, 0x3fe62e42
	v_fma_f64 v[37:38], v[35:36], s[20:21], v[37:38]
	s_mov_b32 s21, 0x3c7abc9e
	s_delay_alu instid0(VALU_DEP_1) | instskip(SKIP_4) | instid1(VALU_DEP_1)
	v_fma_f64 v[39:40], v[37:38], s[22:23], s[0:1]
	s_mov_b32 s0, 0x623fde64
	s_mov_b32 s1, 0x3ec71dee
	;; [unrolled: 1-line block ×4, first 2 shown]
	v_fma_f64 v[39:40], v[37:38], v[39:40], s[0:1]
	s_mov_b32 s0, 0x7c89e6b0
	s_mov_b32 s1, 0x3efa0199
	s_delay_alu instid0(VALU_DEP_1) | instid1(SALU_CYCLE_1)
	v_fma_f64 v[39:40], v[37:38], v[39:40], s[0:1]
	s_mov_b32 s0, 0x14761f6e
	s_mov_b32 s1, 0x3f2a01a0
	s_delay_alu instid0(VALU_DEP_1) | instid1(SALU_CYCLE_1)
	v_fma_f64 v[39:40], v[37:38], v[39:40], s[0:1]
	s_mov_b32 s0, 0x1852b7b0
	s_mov_b32 s1, 0x3f56c16c
	s_delay_alu instid0(VALU_DEP_1) | instid1(SALU_CYCLE_1)
	v_fma_f64 v[39:40], v[37:38], v[39:40], s[0:1]
	s_mov_b32 s0, 0x11122322
	s_mov_b32 s1, 0x3f811111
	s_delay_alu instid0(VALU_DEP_1) | instid1(SALU_CYCLE_1)
	v_fma_f64 v[39:40], v[37:38], v[39:40], s[0:1]
	s_mov_b32 s0, 0x555502a1
	s_mov_b32 s1, 0x3fa55555
	s_delay_alu instid0(VALU_DEP_1) | instid1(SALU_CYCLE_1)
	v_fma_f64 v[39:40], v[37:38], v[39:40], s[0:1]
	s_mov_b32 s0, 0x55555511
	s_mov_b32 s1, 0x3fc55555
	s_delay_alu instid0(VALU_DEP_1) | instid1(SALU_CYCLE_1)
	v_fma_f64 v[39:40], v[37:38], v[39:40], s[0:1]
	s_mov_b32 s0, 11
	s_mov_b32 s1, 0x3fe00000
	s_delay_alu instid0(VALU_DEP_1) | instid1(SALU_CYCLE_1)
	v_fma_f64 v[39:40], v[37:38], v[39:40], s[0:1]
	v_cmp_nlt_f64_e64 s0, 0x40900000, v[11:12]
	v_cmp_ngt_f64_e64 s1, 0xc090cc00, v[11:12]
	s_delay_alu instid0(VALU_DEP_3) | instskip(NEXT) | instid1(VALU_DEP_1)
	v_fma_f64 v[39:40], v[37:38], v[39:40], 1.0
	v_fma_f64 v[35:36], v[37:38], v[39:40], 1.0
	s_delay_alu instid0(VALU_DEP_1) | instskip(NEXT) | instid1(VALU_DEP_1)
	v_ldexp_f64 v[35:36], v[35:36], v0
	v_cndmask_b32_e64 v0, 0x7ff00000, v36, s0
	s_and_b32 s0, s1, s0
	s_delay_alu instid0(VALU_DEP_2) | instid1(SALU_CYCLE_1)
	v_cndmask_b32_e64 v11, 0, v35, s0
	s_mov_b32 s0, 0x55555555
	s_delay_alu instid0(VALU_DEP_2) | instskip(SKIP_1) | instid1(VALU_DEP_1)
	v_cndmask_b32_e64 v12, 0, v0, s1
	s_mov_b32 s1, 0x3fe55555
	v_add_f64 v[35:36], v[11:12], 1.0
	s_delay_alu instid0(VALU_DEP_1) | instskip(SKIP_2) | instid1(VALU_DEP_3)
	v_frexp_mant_f64_e32 v[37:38], v[35:36]
	v_frexp_exp_i32_f64_e32 v0, v[35:36]
	v_add_f64 v[39:40], v[35:36], -1.0
	v_cmp_gt_f64_e64 s0, s[0:1], v[37:38]
	s_delay_alu instid0(VALU_DEP_2) | instskip(SKIP_1) | instid1(VALU_DEP_3)
	v_add_f64 v[37:38], v[39:40], -v[35:36]
	v_add_f64 v[39:40], v[11:12], -v[39:40]
	v_subrev_co_ci_u32_e64 v0, s0, 0, v0, s0
	s_delay_alu instid0(VALU_DEP_3) | instskip(SKIP_1) | instid1(VALU_DEP_2)
	v_add_f64 v[37:38], v[37:38], 1.0
	s_mov_b32 s0, 0x55555780
	v_sub_nc_u32_e32 v43, 0, v0
	s_delay_alu instid0(VALU_DEP_1) | instskip(NEXT) | instid1(VALU_DEP_3)
	v_ldexp_f64 v[35:36], v[35:36], v43
	v_add_f64 v[37:38], v[39:40], v[37:38]
	s_delay_alu instid0(VALU_DEP_2) | instskip(SKIP_1) | instid1(VALU_DEP_3)
	v_add_f64 v[41:42], v[35:36], 1.0
	v_add_f64 v[47:48], v[35:36], -1.0
	v_ldexp_f64 v[37:38], v[37:38], v43
	s_delay_alu instid0(VALU_DEP_3) | instskip(NEXT) | instid1(VALU_DEP_3)
	v_add_f64 v[39:40], v[41:42], -1.0
	v_add_f64 v[49:50], v[47:48], 1.0
	s_delay_alu instid0(VALU_DEP_2) | instskip(NEXT) | instid1(VALU_DEP_2)
	v_add_f64 v[39:40], v[35:36], -v[39:40]
	v_add_f64 v[35:36], v[35:36], -v[49:50]
	s_delay_alu instid0(VALU_DEP_2) | instskip(NEXT) | instid1(VALU_DEP_2)
	v_add_f64 v[39:40], v[37:38], v[39:40]
	v_add_f64 v[35:36], v[37:38], v[35:36]
	s_delay_alu instid0(VALU_DEP_2) | instskip(NEXT) | instid1(VALU_DEP_2)
	v_add_f64 v[43:44], v[41:42], v[39:40]
	v_add_f64 v[49:50], v[47:48], v[35:36]
	s_delay_alu instid0(VALU_DEP_2) | instskip(SKIP_1) | instid1(VALU_DEP_2)
	v_rcp_f64_e32 v[45:46], v[43:44]
	v_add_f64 v[41:42], v[43:44], -v[41:42]
	v_add_f64 v[47:48], v[49:50], -v[47:48]
	s_delay_alu instid0(VALU_DEP_2) | instskip(SKIP_3) | instid1(VALU_DEP_2)
	v_add_f64 v[39:40], v[39:40], -v[41:42]
	s_waitcnt_depctr 0xfff
	v_fma_f64 v[51:52], -v[43:44], v[45:46], 1.0
	v_add_f64 v[35:36], v[35:36], -v[47:48]
	v_fma_f64 v[45:46], v[51:52], v[45:46], v[45:46]
	s_delay_alu instid0(VALU_DEP_1) | instskip(NEXT) | instid1(VALU_DEP_1)
	v_fma_f64 v[37:38], -v[43:44], v[45:46], 1.0
	v_fma_f64 v[37:38], v[37:38], v[45:46], v[45:46]
	s_delay_alu instid0(VALU_DEP_1) | instskip(NEXT) | instid1(VALU_DEP_1)
	v_mul_f64 v[45:46], v[49:50], v[37:38]
	v_mul_f64 v[51:52], v[43:44], v[45:46]
	s_delay_alu instid0(VALU_DEP_1) | instskip(NEXT) | instid1(VALU_DEP_1)
	v_fma_f64 v[41:42], v[45:46], v[43:44], -v[51:52]
	v_fma_f64 v[41:42], v[45:46], v[39:40], v[41:42]
	s_delay_alu instid0(VALU_DEP_1) | instskip(NEXT) | instid1(VALU_DEP_1)
	v_add_f64 v[53:54], v[51:52], v[41:42]
	v_add_f64 v[55:56], v[49:50], -v[53:54]
	v_add_f64 v[47:48], v[53:54], -v[51:52]
	s_delay_alu instid0(VALU_DEP_2) | instskip(NEXT) | instid1(VALU_DEP_2)
	v_add_f64 v[49:50], v[49:50], -v[55:56]
	v_add_f64 v[41:42], v[47:48], -v[41:42]
	s_delay_alu instid0(VALU_DEP_2) | instskip(NEXT) | instid1(VALU_DEP_1)
	v_add_f64 v[49:50], v[49:50], -v[53:54]
	v_add_f64 v[35:36], v[35:36], v[49:50]
	s_delay_alu instid0(VALU_DEP_1) | instskip(NEXT) | instid1(VALU_DEP_1)
	v_add_f64 v[35:36], v[41:42], v[35:36]
	v_add_f64 v[41:42], v[55:56], v[35:36]
	s_delay_alu instid0(VALU_DEP_1) | instskip(SKIP_1) | instid1(VALU_DEP_2)
	v_mul_f64 v[47:48], v[37:38], v[41:42]
	v_add_f64 v[53:54], v[55:56], -v[41:42]
	v_mul_f64 v[49:50], v[43:44], v[47:48]
	s_delay_alu instid0(VALU_DEP_2) | instskip(NEXT) | instid1(VALU_DEP_2)
	v_add_f64 v[35:36], v[35:36], v[53:54]
	v_fma_f64 v[43:44], v[47:48], v[43:44], -v[49:50]
	s_delay_alu instid0(VALU_DEP_1) | instskip(NEXT) | instid1(VALU_DEP_1)
	v_fma_f64 v[39:40], v[47:48], v[39:40], v[43:44]
	v_add_f64 v[43:44], v[49:50], v[39:40]
	s_delay_alu instid0(VALU_DEP_1) | instskip(SKIP_1) | instid1(VALU_DEP_2)
	v_add_f64 v[51:52], v[41:42], -v[43:44]
	v_add_f64 v[49:50], v[43:44], -v[49:50]
	;; [unrolled: 1-line block ×3, first 2 shown]
	s_delay_alu instid0(VALU_DEP_2) | instskip(NEXT) | instid1(VALU_DEP_2)
	v_add_f64 v[39:40], v[49:50], -v[39:40]
	v_add_f64 v[41:42], v[41:42], -v[43:44]
	s_delay_alu instid0(VALU_DEP_1) | instskip(SKIP_1) | instid1(VALU_DEP_2)
	v_add_f64 v[35:36], v[35:36], v[41:42]
	v_add_f64 v[41:42], v[45:46], v[47:48]
	;; [unrolled: 1-line block ×3, first 2 shown]
	s_delay_alu instid0(VALU_DEP_2) | instskip(NEXT) | instid1(VALU_DEP_2)
	v_add_f64 v[39:40], v[41:42], -v[45:46]
	v_add_f64 v[35:36], v[51:52], v[35:36]
	s_delay_alu instid0(VALU_DEP_2) | instskip(NEXT) | instid1(VALU_DEP_2)
	v_add_f64 v[39:40], v[47:48], -v[39:40]
	v_mul_f64 v[35:36], v[37:38], v[35:36]
	s_delay_alu instid0(VALU_DEP_1) | instskip(NEXT) | instid1(VALU_DEP_1)
	v_add_f64 v[35:36], v[39:40], v[35:36]
	v_add_f64 v[37:38], v[41:42], v[35:36]
	s_delay_alu instid0(VALU_DEP_1) | instskip(NEXT) | instid1(VALU_DEP_1)
	v_mul_f64 v[39:40], v[37:38], v[37:38]
	v_fma_f64 v[43:44], v[39:40], s[24:25], s[22:23]
	s_mov_b32 s22, 0xd7f4df2e
	s_mov_b32 s23, 0x3fc7474d
	v_mul_f64 v[45:46], v[37:38], v[39:40]
	s_delay_alu instid0(VALU_DEP_2)
	v_fma_f64 v[43:44], v[39:40], v[43:44], s[22:23]
	s_mov_b32 s22, 0x16291751
	s_mov_b32 s23, 0x3fcc71c0
	s_delay_alu instid0(VALU_DEP_1) | instid1(SALU_CYCLE_1)
	v_fma_f64 v[43:44], v[39:40], v[43:44], s[22:23]
	s_mov_b32 s22, 0x9b27acf1
	s_mov_b32 s23, 0x3fd24924
	s_delay_alu instid0(VALU_DEP_1) | instid1(SALU_CYCLE_1)
	;; [unrolled: 4-line block ×3, first 2 shown]
	v_fma_f64 v[43:44], v[39:40], v[43:44], s[22:23]
	s_delay_alu instid0(VALU_DEP_1) | instskip(SKIP_3) | instid1(VALU_DEP_4)
	v_fma_f64 v[39:40], v[39:40], v[43:44], s[0:1]
	v_ldexp_f64 v[43:44], v[37:38], 1
	v_add_f64 v[37:38], v[37:38], -v[41:42]
	v_cmp_eq_f64_e64 s0, 0x7ff00000, v[11:12]
	v_mul_f64 v[39:40], v[45:46], v[39:40]
	v_cvt_f64_i32_e32 v[45:46], v0
	s_delay_alu instid0(VALU_DEP_4) | instskip(NEXT) | instid1(VALU_DEP_3)
	v_add_f64 v[35:36], v[35:36], -v[37:38]
	v_add_f64 v[41:42], v[43:44], v[39:40]
	s_delay_alu instid0(VALU_DEP_3) | instskip(NEXT) | instid1(VALU_DEP_3)
	v_mul_f64 v[47:48], v[45:46], s[18:19]
	v_ldexp_f64 v[35:36], v[35:36], 1
	s_delay_alu instid0(VALU_DEP_3) | instskip(NEXT) | instid1(VALU_DEP_3)
	v_add_f64 v[37:38], v[41:42], -v[43:44]
	v_fma_f64 v[43:44], v[45:46], s[18:19], -v[47:48]
	s_delay_alu instid0(VALU_DEP_2) | instskip(NEXT) | instid1(VALU_DEP_2)
	v_add_f64 v[37:38], v[39:40], -v[37:38]
	v_fma_f64 v[39:40], v[45:46], s[20:21], v[43:44]
	s_delay_alu instid0(VALU_DEP_2) | instskip(NEXT) | instid1(VALU_DEP_2)
	v_add_f64 v[35:36], v[35:36], v[37:38]
	v_add_f64 v[37:38], v[47:48], v[39:40]
	s_delay_alu instid0(VALU_DEP_2) | instskip(NEXT) | instid1(VALU_DEP_2)
	v_add_f64 v[43:44], v[41:42], v[35:36]
	v_add_f64 v[47:48], v[37:38], -v[47:48]
	s_delay_alu instid0(VALU_DEP_2) | instskip(SKIP_1) | instid1(VALU_DEP_3)
	v_add_f64 v[45:46], v[37:38], v[43:44]
	v_add_f64 v[41:42], v[43:44], -v[41:42]
	v_add_f64 v[39:40], v[39:40], -v[47:48]
	s_delay_alu instid0(VALU_DEP_3) | instskip(NEXT) | instid1(VALU_DEP_3)
	v_add_f64 v[49:50], v[45:46], -v[37:38]
	v_add_f64 v[35:36], v[35:36], -v[41:42]
	s_delay_alu instid0(VALU_DEP_2) | instskip(SKIP_1) | instid1(VALU_DEP_3)
	v_add_f64 v[51:52], v[45:46], -v[49:50]
	v_add_f64 v[41:42], v[43:44], -v[49:50]
	v_add_f64 v[43:44], v[39:40], v[35:36]
	s_delay_alu instid0(VALU_DEP_3) | instskip(NEXT) | instid1(VALU_DEP_1)
	v_add_f64 v[37:38], v[37:38], -v[51:52]
	v_add_f64 v[37:38], v[41:42], v[37:38]
	s_delay_alu instid0(VALU_DEP_3) | instskip(NEXT) | instid1(VALU_DEP_2)
	v_add_f64 v[41:42], v[43:44], -v[39:40]
	v_add_f64 v[37:38], v[43:44], v[37:38]
	s_delay_alu instid0(VALU_DEP_2) | instskip(SKIP_1) | instid1(VALU_DEP_3)
	v_add_f64 v[43:44], v[43:44], -v[41:42]
	v_add_f64 v[35:36], v[35:36], -v[41:42]
	v_add_f64 v[47:48], v[45:46], v[37:38]
	s_delay_alu instid0(VALU_DEP_3) | instskip(NEXT) | instid1(VALU_DEP_2)
	v_add_f64 v[39:40], v[39:40], -v[43:44]
	v_add_f64 v[41:42], v[47:48], -v[45:46]
	s_delay_alu instid0(VALU_DEP_2) | instskip(NEXT) | instid1(VALU_DEP_2)
	v_add_f64 v[35:36], v[35:36], v[39:40]
	v_add_f64 v[37:38], v[37:38], -v[41:42]
	s_delay_alu instid0(VALU_DEP_1) | instskip(NEXT) | instid1(VALU_DEP_1)
	v_add_f64 v[35:36], v[35:36], v[37:38]
	v_add_f64 v[35:36], v[47:48], v[35:36]
	s_delay_alu instid0(VALU_DEP_1) | instskip(NEXT) | instid1(VALU_DEP_2)
	v_cndmask_b32_e64 v0, v35, v11, s0
	v_cndmask_b32_e64 v35, v36, v12, s0
	v_cmp_ngt_f64_e64 s0, -1.0, v[11:12]
	s_delay_alu instid0(VALU_DEP_1) | instskip(SKIP_1) | instid1(VALU_DEP_1)
	v_cndmask_b32_e64 v36, 0x7ff80000, v35, s0
	v_cmp_nge_f64_e64 s0, -1.0, v[11:12]
	v_cndmask_b32_e64 v35, 0, v0, s0
	v_cmp_neq_f64_e64 s0, -1.0, v[11:12]
	s_delay_alu instid0(VALU_DEP_1) | instskip(NEXT) | instid1(VALU_DEP_1)
	v_cndmask_b32_e64 v36, 0xfff00000, v36, s0
	v_add_f64 v[11:12], v[33:34], v[35:36]
.LBB86_132:
	s_or_b32 exec_lo, exec_lo, s17
	s_delay_alu instid0(VALU_DEP_1) | instskip(SKIP_1) | instid1(VALU_DEP_2)
	v_max_f64 v[33:34], v[11:12], v[11:12]
	v_cmp_u_f64_e64 s0, v[11:12], v[11:12]
	v_min_f64 v[35:36], v[33:34], v[59:60]
	v_max_f64 v[33:34], v[33:34], v[59:60]
	s_delay_alu instid0(VALU_DEP_2) | instskip(NEXT) | instid1(VALU_DEP_3)
	v_cndmask_b32_e64 v0, v35, v11, s0
	v_cndmask_b32_e64 v35, v36, v12, s0
	s_delay_alu instid0(VALU_DEP_3) | instskip(NEXT) | instid1(VALU_DEP_4)
	v_cndmask_b32_e64 v34, v34, v12, s0
	v_cndmask_b32_e64 v33, v33, v11, s0
	s_delay_alu instid0(VALU_DEP_3) | instskip(SKIP_1) | instid1(VALU_DEP_4)
	v_cndmask_b32_e64 v36, v35, v6, s30
	v_cndmask_b32_e64 v35, v0, v5, s30
	;; [unrolled: 1-line block ×3, first 2 shown]
	s_delay_alu instid0(VALU_DEP_4) | instskip(SKIP_1) | instid1(VALU_DEP_4)
	v_cndmask_b32_e64 v33, v33, v5, s30
	v_dual_mov_b32 v5, v11 :: v_dual_mov_b32 v6, v12
	v_cmp_class_f64_e64 s1, v[35:36], 0x1f8
	s_delay_alu instid0(VALU_DEP_3) | instskip(NEXT) | instid1(VALU_DEP_1)
	v_cmp_neq_f64_e64 s0, v[35:36], v[33:34]
	s_or_b32 s0, s0, s1
	s_delay_alu instid0(SALU_CYCLE_1)
	s_and_saveexec_b32 s17, s0
	s_cbranch_execz .LBB86_134
; %bb.133:
	v_add_f64 v[5:6], v[35:36], -v[33:34]
	s_mov_b32 s0, 0x652b82fe
	s_mov_b32 s1, 0x3ff71547
	;; [unrolled: 1-line block ×10, first 2 shown]
	s_delay_alu instid0(VALU_DEP_1) | instskip(SKIP_2) | instid1(VALU_DEP_1)
	v_mul_f64 v[35:36], v[5:6], s[0:1]
	s_mov_b32 s0, 0xfca7ab0c
	s_mov_b32 s1, 0x3e928af3
	v_rndne_f64_e32 v[35:36], v[35:36]
	s_delay_alu instid0(VALU_DEP_1) | instskip(SKIP_2) | instid1(VALU_DEP_2)
	v_fma_f64 v[37:38], v[35:36], s[18:19], v[5:6]
	v_cvt_i32_f64_e32 v0, v[35:36]
	s_mov_b32 s19, 0x3fe62e42
	v_fma_f64 v[37:38], v[35:36], s[20:21], v[37:38]
	s_mov_b32 s21, 0x3c7abc9e
	s_delay_alu instid0(VALU_DEP_1) | instskip(SKIP_4) | instid1(VALU_DEP_1)
	v_fma_f64 v[39:40], v[37:38], s[22:23], s[0:1]
	s_mov_b32 s0, 0x623fde64
	s_mov_b32 s1, 0x3ec71dee
	;; [unrolled: 1-line block ×4, first 2 shown]
	v_fma_f64 v[39:40], v[37:38], v[39:40], s[0:1]
	s_mov_b32 s0, 0x7c89e6b0
	s_mov_b32 s1, 0x3efa0199
	s_delay_alu instid0(VALU_DEP_1) | instid1(SALU_CYCLE_1)
	v_fma_f64 v[39:40], v[37:38], v[39:40], s[0:1]
	s_mov_b32 s0, 0x14761f6e
	s_mov_b32 s1, 0x3f2a01a0
	s_delay_alu instid0(VALU_DEP_1) | instid1(SALU_CYCLE_1)
	;; [unrolled: 4-line block ×7, first 2 shown]
	v_fma_f64 v[39:40], v[37:38], v[39:40], s[0:1]
	v_cmp_nlt_f64_e64 s0, 0x40900000, v[5:6]
	v_cmp_ngt_f64_e64 s1, 0xc090cc00, v[5:6]
	s_delay_alu instid0(VALU_DEP_3) | instskip(NEXT) | instid1(VALU_DEP_1)
	v_fma_f64 v[39:40], v[37:38], v[39:40], 1.0
	v_fma_f64 v[35:36], v[37:38], v[39:40], 1.0
	s_delay_alu instid0(VALU_DEP_1) | instskip(NEXT) | instid1(VALU_DEP_1)
	v_ldexp_f64 v[35:36], v[35:36], v0
	v_cndmask_b32_e64 v0, 0x7ff00000, v36, s0
	s_and_b32 s0, s1, s0
	s_delay_alu instid0(VALU_DEP_2) | instid1(SALU_CYCLE_1)
	v_cndmask_b32_e64 v5, 0, v35, s0
	s_mov_b32 s0, 0x55555555
	s_delay_alu instid0(VALU_DEP_2) | instskip(SKIP_1) | instid1(VALU_DEP_1)
	v_cndmask_b32_e64 v6, 0, v0, s1
	s_mov_b32 s1, 0x3fe55555
	v_add_f64 v[35:36], v[5:6], 1.0
	s_delay_alu instid0(VALU_DEP_1) | instskip(SKIP_2) | instid1(VALU_DEP_3)
	v_frexp_mant_f64_e32 v[37:38], v[35:36]
	v_frexp_exp_i32_f64_e32 v0, v[35:36]
	v_add_f64 v[39:40], v[35:36], -1.0
	v_cmp_gt_f64_e64 s0, s[0:1], v[37:38]
	s_delay_alu instid0(VALU_DEP_2) | instskip(SKIP_1) | instid1(VALU_DEP_3)
	v_add_f64 v[37:38], v[39:40], -v[35:36]
	v_add_f64 v[39:40], v[5:6], -v[39:40]
	v_subrev_co_ci_u32_e64 v0, s0, 0, v0, s0
	s_delay_alu instid0(VALU_DEP_3) | instskip(SKIP_1) | instid1(VALU_DEP_2)
	v_add_f64 v[37:38], v[37:38], 1.0
	s_mov_b32 s0, 0x55555780
	v_sub_nc_u32_e32 v43, 0, v0
	s_delay_alu instid0(VALU_DEP_1) | instskip(NEXT) | instid1(VALU_DEP_3)
	v_ldexp_f64 v[35:36], v[35:36], v43
	v_add_f64 v[37:38], v[39:40], v[37:38]
	s_delay_alu instid0(VALU_DEP_2) | instskip(SKIP_1) | instid1(VALU_DEP_3)
	v_add_f64 v[41:42], v[35:36], 1.0
	v_add_f64 v[47:48], v[35:36], -1.0
	v_ldexp_f64 v[37:38], v[37:38], v43
	s_delay_alu instid0(VALU_DEP_3) | instskip(NEXT) | instid1(VALU_DEP_3)
	v_add_f64 v[39:40], v[41:42], -1.0
	v_add_f64 v[49:50], v[47:48], 1.0
	s_delay_alu instid0(VALU_DEP_2) | instskip(NEXT) | instid1(VALU_DEP_2)
	v_add_f64 v[39:40], v[35:36], -v[39:40]
	v_add_f64 v[35:36], v[35:36], -v[49:50]
	s_delay_alu instid0(VALU_DEP_2) | instskip(NEXT) | instid1(VALU_DEP_2)
	v_add_f64 v[39:40], v[37:38], v[39:40]
	v_add_f64 v[35:36], v[37:38], v[35:36]
	s_delay_alu instid0(VALU_DEP_2) | instskip(NEXT) | instid1(VALU_DEP_2)
	v_add_f64 v[43:44], v[41:42], v[39:40]
	v_add_f64 v[49:50], v[47:48], v[35:36]
	s_delay_alu instid0(VALU_DEP_2) | instskip(SKIP_1) | instid1(VALU_DEP_2)
	v_rcp_f64_e32 v[45:46], v[43:44]
	v_add_f64 v[41:42], v[43:44], -v[41:42]
	v_add_f64 v[47:48], v[49:50], -v[47:48]
	s_delay_alu instid0(VALU_DEP_2) | instskip(SKIP_3) | instid1(VALU_DEP_2)
	v_add_f64 v[39:40], v[39:40], -v[41:42]
	s_waitcnt_depctr 0xfff
	v_fma_f64 v[51:52], -v[43:44], v[45:46], 1.0
	v_add_f64 v[35:36], v[35:36], -v[47:48]
	v_fma_f64 v[45:46], v[51:52], v[45:46], v[45:46]
	s_delay_alu instid0(VALU_DEP_1) | instskip(NEXT) | instid1(VALU_DEP_1)
	v_fma_f64 v[37:38], -v[43:44], v[45:46], 1.0
	v_fma_f64 v[37:38], v[37:38], v[45:46], v[45:46]
	s_delay_alu instid0(VALU_DEP_1) | instskip(NEXT) | instid1(VALU_DEP_1)
	v_mul_f64 v[45:46], v[49:50], v[37:38]
	v_mul_f64 v[51:52], v[43:44], v[45:46]
	s_delay_alu instid0(VALU_DEP_1) | instskip(NEXT) | instid1(VALU_DEP_1)
	v_fma_f64 v[41:42], v[45:46], v[43:44], -v[51:52]
	v_fma_f64 v[41:42], v[45:46], v[39:40], v[41:42]
	s_delay_alu instid0(VALU_DEP_1) | instskip(NEXT) | instid1(VALU_DEP_1)
	v_add_f64 v[53:54], v[51:52], v[41:42]
	v_add_f64 v[55:56], v[49:50], -v[53:54]
	v_add_f64 v[47:48], v[53:54], -v[51:52]
	s_delay_alu instid0(VALU_DEP_2) | instskip(NEXT) | instid1(VALU_DEP_2)
	v_add_f64 v[49:50], v[49:50], -v[55:56]
	v_add_f64 v[41:42], v[47:48], -v[41:42]
	s_delay_alu instid0(VALU_DEP_2) | instskip(NEXT) | instid1(VALU_DEP_1)
	v_add_f64 v[49:50], v[49:50], -v[53:54]
	v_add_f64 v[35:36], v[35:36], v[49:50]
	s_delay_alu instid0(VALU_DEP_1) | instskip(NEXT) | instid1(VALU_DEP_1)
	v_add_f64 v[35:36], v[41:42], v[35:36]
	v_add_f64 v[41:42], v[55:56], v[35:36]
	s_delay_alu instid0(VALU_DEP_1) | instskip(SKIP_1) | instid1(VALU_DEP_2)
	v_mul_f64 v[47:48], v[37:38], v[41:42]
	v_add_f64 v[53:54], v[55:56], -v[41:42]
	v_mul_f64 v[49:50], v[43:44], v[47:48]
	s_delay_alu instid0(VALU_DEP_2) | instskip(NEXT) | instid1(VALU_DEP_2)
	v_add_f64 v[35:36], v[35:36], v[53:54]
	v_fma_f64 v[43:44], v[47:48], v[43:44], -v[49:50]
	s_delay_alu instid0(VALU_DEP_1) | instskip(NEXT) | instid1(VALU_DEP_1)
	v_fma_f64 v[39:40], v[47:48], v[39:40], v[43:44]
	v_add_f64 v[43:44], v[49:50], v[39:40]
	s_delay_alu instid0(VALU_DEP_1) | instskip(SKIP_1) | instid1(VALU_DEP_2)
	v_add_f64 v[51:52], v[41:42], -v[43:44]
	v_add_f64 v[49:50], v[43:44], -v[49:50]
	;; [unrolled: 1-line block ×3, first 2 shown]
	s_delay_alu instid0(VALU_DEP_2) | instskip(NEXT) | instid1(VALU_DEP_2)
	v_add_f64 v[39:40], v[49:50], -v[39:40]
	v_add_f64 v[41:42], v[41:42], -v[43:44]
	s_delay_alu instid0(VALU_DEP_1) | instskip(SKIP_1) | instid1(VALU_DEP_2)
	v_add_f64 v[35:36], v[35:36], v[41:42]
	v_add_f64 v[41:42], v[45:46], v[47:48]
	v_add_f64 v[35:36], v[39:40], v[35:36]
	s_delay_alu instid0(VALU_DEP_2) | instskip(NEXT) | instid1(VALU_DEP_2)
	v_add_f64 v[39:40], v[41:42], -v[45:46]
	v_add_f64 v[35:36], v[51:52], v[35:36]
	s_delay_alu instid0(VALU_DEP_2) | instskip(NEXT) | instid1(VALU_DEP_2)
	v_add_f64 v[39:40], v[47:48], -v[39:40]
	v_mul_f64 v[35:36], v[37:38], v[35:36]
	s_delay_alu instid0(VALU_DEP_1) | instskip(NEXT) | instid1(VALU_DEP_1)
	v_add_f64 v[35:36], v[39:40], v[35:36]
	v_add_f64 v[37:38], v[41:42], v[35:36]
	s_delay_alu instid0(VALU_DEP_1) | instskip(NEXT) | instid1(VALU_DEP_1)
	v_mul_f64 v[39:40], v[37:38], v[37:38]
	v_fma_f64 v[43:44], v[39:40], s[24:25], s[22:23]
	s_mov_b32 s22, 0xd7f4df2e
	s_mov_b32 s23, 0x3fc7474d
	v_mul_f64 v[45:46], v[37:38], v[39:40]
	s_delay_alu instid0(VALU_DEP_2)
	v_fma_f64 v[43:44], v[39:40], v[43:44], s[22:23]
	s_mov_b32 s22, 0x16291751
	s_mov_b32 s23, 0x3fcc71c0
	s_delay_alu instid0(VALU_DEP_1) | instid1(SALU_CYCLE_1)
	v_fma_f64 v[43:44], v[39:40], v[43:44], s[22:23]
	s_mov_b32 s22, 0x9b27acf1
	s_mov_b32 s23, 0x3fd24924
	s_delay_alu instid0(VALU_DEP_1) | instid1(SALU_CYCLE_1)
	;; [unrolled: 4-line block ×3, first 2 shown]
	v_fma_f64 v[43:44], v[39:40], v[43:44], s[22:23]
	s_delay_alu instid0(VALU_DEP_1) | instskip(SKIP_3) | instid1(VALU_DEP_4)
	v_fma_f64 v[39:40], v[39:40], v[43:44], s[0:1]
	v_ldexp_f64 v[43:44], v[37:38], 1
	v_add_f64 v[37:38], v[37:38], -v[41:42]
	v_cmp_eq_f64_e64 s0, 0x7ff00000, v[5:6]
	v_mul_f64 v[39:40], v[45:46], v[39:40]
	v_cvt_f64_i32_e32 v[45:46], v0
	s_delay_alu instid0(VALU_DEP_4) | instskip(NEXT) | instid1(VALU_DEP_3)
	v_add_f64 v[35:36], v[35:36], -v[37:38]
	v_add_f64 v[41:42], v[43:44], v[39:40]
	s_delay_alu instid0(VALU_DEP_3) | instskip(NEXT) | instid1(VALU_DEP_3)
	v_mul_f64 v[47:48], v[45:46], s[18:19]
	v_ldexp_f64 v[35:36], v[35:36], 1
	s_delay_alu instid0(VALU_DEP_3) | instskip(NEXT) | instid1(VALU_DEP_3)
	v_add_f64 v[37:38], v[41:42], -v[43:44]
	v_fma_f64 v[43:44], v[45:46], s[18:19], -v[47:48]
	s_delay_alu instid0(VALU_DEP_2) | instskip(NEXT) | instid1(VALU_DEP_2)
	v_add_f64 v[37:38], v[39:40], -v[37:38]
	v_fma_f64 v[39:40], v[45:46], s[20:21], v[43:44]
	s_delay_alu instid0(VALU_DEP_2) | instskip(NEXT) | instid1(VALU_DEP_2)
	v_add_f64 v[35:36], v[35:36], v[37:38]
	v_add_f64 v[37:38], v[47:48], v[39:40]
	s_delay_alu instid0(VALU_DEP_2) | instskip(NEXT) | instid1(VALU_DEP_2)
	v_add_f64 v[43:44], v[41:42], v[35:36]
	v_add_f64 v[47:48], v[37:38], -v[47:48]
	s_delay_alu instid0(VALU_DEP_2) | instskip(SKIP_1) | instid1(VALU_DEP_3)
	v_add_f64 v[45:46], v[37:38], v[43:44]
	v_add_f64 v[41:42], v[43:44], -v[41:42]
	v_add_f64 v[39:40], v[39:40], -v[47:48]
	s_delay_alu instid0(VALU_DEP_3) | instskip(NEXT) | instid1(VALU_DEP_3)
	v_add_f64 v[49:50], v[45:46], -v[37:38]
	v_add_f64 v[35:36], v[35:36], -v[41:42]
	s_delay_alu instid0(VALU_DEP_2) | instskip(SKIP_1) | instid1(VALU_DEP_3)
	v_add_f64 v[51:52], v[45:46], -v[49:50]
	v_add_f64 v[41:42], v[43:44], -v[49:50]
	v_add_f64 v[43:44], v[39:40], v[35:36]
	s_delay_alu instid0(VALU_DEP_3) | instskip(NEXT) | instid1(VALU_DEP_1)
	v_add_f64 v[37:38], v[37:38], -v[51:52]
	v_add_f64 v[37:38], v[41:42], v[37:38]
	s_delay_alu instid0(VALU_DEP_3) | instskip(NEXT) | instid1(VALU_DEP_2)
	v_add_f64 v[41:42], v[43:44], -v[39:40]
	v_add_f64 v[37:38], v[43:44], v[37:38]
	s_delay_alu instid0(VALU_DEP_2) | instskip(SKIP_1) | instid1(VALU_DEP_3)
	v_add_f64 v[43:44], v[43:44], -v[41:42]
	v_add_f64 v[35:36], v[35:36], -v[41:42]
	v_add_f64 v[47:48], v[45:46], v[37:38]
	s_delay_alu instid0(VALU_DEP_3) | instskip(NEXT) | instid1(VALU_DEP_2)
	v_add_f64 v[39:40], v[39:40], -v[43:44]
	v_add_f64 v[41:42], v[47:48], -v[45:46]
	s_delay_alu instid0(VALU_DEP_2) | instskip(NEXT) | instid1(VALU_DEP_2)
	v_add_f64 v[35:36], v[35:36], v[39:40]
	v_add_f64 v[37:38], v[37:38], -v[41:42]
	s_delay_alu instid0(VALU_DEP_1) | instskip(NEXT) | instid1(VALU_DEP_1)
	v_add_f64 v[35:36], v[35:36], v[37:38]
	v_add_f64 v[35:36], v[47:48], v[35:36]
	s_delay_alu instid0(VALU_DEP_1) | instskip(NEXT) | instid1(VALU_DEP_2)
	v_cndmask_b32_e64 v0, v35, v5, s0
	v_cndmask_b32_e64 v35, v36, v6, s0
	v_cmp_ngt_f64_e64 s0, -1.0, v[5:6]
	s_delay_alu instid0(VALU_DEP_1) | instskip(SKIP_1) | instid1(VALU_DEP_1)
	v_cndmask_b32_e64 v36, 0x7ff80000, v35, s0
	v_cmp_nge_f64_e64 s0, -1.0, v[5:6]
	v_cndmask_b32_e64 v35, 0, v0, s0
	v_cmp_neq_f64_e64 s0, -1.0, v[5:6]
	s_delay_alu instid0(VALU_DEP_1) | instskip(NEXT) | instid1(VALU_DEP_1)
	v_cndmask_b32_e64 v36, 0xfff00000, v36, s0
	v_add_f64 v[5:6], v[33:34], v[35:36]
.LBB86_134:
	s_or_b32 exec_lo, exec_lo, s17
	s_delay_alu instid0(VALU_DEP_1) | instskip(SKIP_1) | instid1(VALU_DEP_2)
	v_max_f64 v[33:34], v[5:6], v[5:6]
	v_cmp_u_f64_e64 s0, v[5:6], v[5:6]
	v_min_f64 v[35:36], v[33:34], v[61:62]
	v_max_f64 v[33:34], v[33:34], v[61:62]
	s_delay_alu instid0(VALU_DEP_2) | instskip(NEXT) | instid1(VALU_DEP_3)
	v_cndmask_b32_e64 v0, v35, v5, s0
	v_cndmask_b32_e64 v35, v36, v6, s0
	s_delay_alu instid0(VALU_DEP_3) | instskip(NEXT) | instid1(VALU_DEP_4)
	v_cndmask_b32_e64 v34, v34, v6, s0
	v_cndmask_b32_e64 v33, v33, v5, s0
	s_delay_alu instid0(VALU_DEP_3) | instskip(SKIP_1) | instid1(VALU_DEP_4)
	v_cndmask_b32_e64 v36, v35, v8, s31
	v_cndmask_b32_e64 v35, v0, v7, s31
	;; [unrolled: 1-line block ×3, first 2 shown]
	s_delay_alu instid0(VALU_DEP_4) | instskip(SKIP_1) | instid1(VALU_DEP_4)
	v_cndmask_b32_e64 v7, v33, v7, s31
	v_dual_mov_b32 v34, v6 :: v_dual_mov_b32 v33, v5
	v_cmp_class_f64_e64 s1, v[35:36], 0x1f8
	s_delay_alu instid0(VALU_DEP_3) | instskip(NEXT) | instid1(VALU_DEP_1)
	v_cmp_neq_f64_e64 s0, v[35:36], v[7:8]
	s_or_b32 s0, s0, s1
	s_delay_alu instid0(SALU_CYCLE_1)
	s_and_saveexec_b32 s17, s0
	s_cbranch_execz .LBB86_136
; %bb.135:
	v_add_f64 v[33:34], v[35:36], -v[7:8]
	s_mov_b32 s0, 0x652b82fe
	s_mov_b32 s1, 0x3ff71547
	;; [unrolled: 1-line block ×10, first 2 shown]
	s_delay_alu instid0(VALU_DEP_1) | instskip(SKIP_2) | instid1(VALU_DEP_1)
	v_mul_f64 v[35:36], v[33:34], s[0:1]
	s_mov_b32 s0, 0xfca7ab0c
	s_mov_b32 s1, 0x3e928af3
	v_rndne_f64_e32 v[35:36], v[35:36]
	s_delay_alu instid0(VALU_DEP_1) | instskip(SKIP_2) | instid1(VALU_DEP_2)
	v_fma_f64 v[37:38], v[35:36], s[18:19], v[33:34]
	v_cvt_i32_f64_e32 v0, v[35:36]
	s_mov_b32 s19, 0x3fe62e42
	v_fma_f64 v[37:38], v[35:36], s[20:21], v[37:38]
	s_mov_b32 s21, 0x3c7abc9e
	s_delay_alu instid0(VALU_DEP_1) | instskip(SKIP_4) | instid1(VALU_DEP_1)
	v_fma_f64 v[39:40], v[37:38], s[22:23], s[0:1]
	s_mov_b32 s0, 0x623fde64
	s_mov_b32 s1, 0x3ec71dee
	;; [unrolled: 1-line block ×4, first 2 shown]
	v_fma_f64 v[39:40], v[37:38], v[39:40], s[0:1]
	s_mov_b32 s0, 0x7c89e6b0
	s_mov_b32 s1, 0x3efa0199
	s_delay_alu instid0(VALU_DEP_1) | instid1(SALU_CYCLE_1)
	v_fma_f64 v[39:40], v[37:38], v[39:40], s[0:1]
	s_mov_b32 s0, 0x14761f6e
	s_mov_b32 s1, 0x3f2a01a0
	s_delay_alu instid0(VALU_DEP_1) | instid1(SALU_CYCLE_1)
	;; [unrolled: 4-line block ×7, first 2 shown]
	v_fma_f64 v[39:40], v[37:38], v[39:40], s[0:1]
	v_cmp_nlt_f64_e64 s0, 0x40900000, v[33:34]
	v_cmp_ngt_f64_e64 s1, 0xc090cc00, v[33:34]
	s_delay_alu instid0(VALU_DEP_3) | instskip(NEXT) | instid1(VALU_DEP_1)
	v_fma_f64 v[39:40], v[37:38], v[39:40], 1.0
	v_fma_f64 v[35:36], v[37:38], v[39:40], 1.0
	s_delay_alu instid0(VALU_DEP_1) | instskip(NEXT) | instid1(VALU_DEP_1)
	v_ldexp_f64 v[35:36], v[35:36], v0
	v_cndmask_b32_e64 v0, 0x7ff00000, v36, s0
	s_and_b32 s0, s1, s0
	s_delay_alu instid0(VALU_DEP_2) | instid1(SALU_CYCLE_1)
	v_cndmask_b32_e64 v33, 0, v35, s0
	s_mov_b32 s0, 0x55555555
	s_delay_alu instid0(VALU_DEP_2) | instskip(SKIP_1) | instid1(VALU_DEP_1)
	v_cndmask_b32_e64 v34, 0, v0, s1
	s_mov_b32 s1, 0x3fe55555
	v_add_f64 v[35:36], v[33:34], 1.0
	s_delay_alu instid0(VALU_DEP_1) | instskip(SKIP_2) | instid1(VALU_DEP_3)
	v_frexp_mant_f64_e32 v[37:38], v[35:36]
	v_frexp_exp_i32_f64_e32 v0, v[35:36]
	v_add_f64 v[39:40], v[35:36], -1.0
	v_cmp_gt_f64_e64 s0, s[0:1], v[37:38]
	s_delay_alu instid0(VALU_DEP_2) | instskip(SKIP_1) | instid1(VALU_DEP_3)
	v_add_f64 v[37:38], v[39:40], -v[35:36]
	v_add_f64 v[39:40], v[33:34], -v[39:40]
	v_subrev_co_ci_u32_e64 v0, s0, 0, v0, s0
	s_delay_alu instid0(VALU_DEP_3) | instskip(SKIP_1) | instid1(VALU_DEP_2)
	v_add_f64 v[37:38], v[37:38], 1.0
	s_mov_b32 s0, 0x55555780
	v_sub_nc_u32_e32 v43, 0, v0
	s_delay_alu instid0(VALU_DEP_1) | instskip(NEXT) | instid1(VALU_DEP_3)
	v_ldexp_f64 v[35:36], v[35:36], v43
	v_add_f64 v[37:38], v[39:40], v[37:38]
	s_delay_alu instid0(VALU_DEP_2) | instskip(SKIP_1) | instid1(VALU_DEP_3)
	v_add_f64 v[41:42], v[35:36], 1.0
	v_add_f64 v[47:48], v[35:36], -1.0
	v_ldexp_f64 v[37:38], v[37:38], v43
	s_delay_alu instid0(VALU_DEP_3) | instskip(NEXT) | instid1(VALU_DEP_3)
	v_add_f64 v[39:40], v[41:42], -1.0
	v_add_f64 v[49:50], v[47:48], 1.0
	s_delay_alu instid0(VALU_DEP_2) | instskip(NEXT) | instid1(VALU_DEP_2)
	v_add_f64 v[39:40], v[35:36], -v[39:40]
	v_add_f64 v[35:36], v[35:36], -v[49:50]
	s_delay_alu instid0(VALU_DEP_2) | instskip(NEXT) | instid1(VALU_DEP_2)
	v_add_f64 v[39:40], v[37:38], v[39:40]
	v_add_f64 v[35:36], v[37:38], v[35:36]
	s_delay_alu instid0(VALU_DEP_2) | instskip(NEXT) | instid1(VALU_DEP_2)
	v_add_f64 v[43:44], v[41:42], v[39:40]
	v_add_f64 v[49:50], v[47:48], v[35:36]
	s_delay_alu instid0(VALU_DEP_2) | instskip(SKIP_1) | instid1(VALU_DEP_2)
	v_rcp_f64_e32 v[45:46], v[43:44]
	v_add_f64 v[41:42], v[43:44], -v[41:42]
	v_add_f64 v[47:48], v[49:50], -v[47:48]
	s_delay_alu instid0(VALU_DEP_2) | instskip(SKIP_3) | instid1(VALU_DEP_2)
	v_add_f64 v[39:40], v[39:40], -v[41:42]
	s_waitcnt_depctr 0xfff
	v_fma_f64 v[51:52], -v[43:44], v[45:46], 1.0
	v_add_f64 v[35:36], v[35:36], -v[47:48]
	v_fma_f64 v[45:46], v[51:52], v[45:46], v[45:46]
	s_delay_alu instid0(VALU_DEP_1) | instskip(NEXT) | instid1(VALU_DEP_1)
	v_fma_f64 v[37:38], -v[43:44], v[45:46], 1.0
	v_fma_f64 v[37:38], v[37:38], v[45:46], v[45:46]
	s_delay_alu instid0(VALU_DEP_1) | instskip(NEXT) | instid1(VALU_DEP_1)
	v_mul_f64 v[45:46], v[49:50], v[37:38]
	v_mul_f64 v[51:52], v[43:44], v[45:46]
	s_delay_alu instid0(VALU_DEP_1) | instskip(NEXT) | instid1(VALU_DEP_1)
	v_fma_f64 v[41:42], v[45:46], v[43:44], -v[51:52]
	v_fma_f64 v[41:42], v[45:46], v[39:40], v[41:42]
	s_delay_alu instid0(VALU_DEP_1) | instskip(NEXT) | instid1(VALU_DEP_1)
	v_add_f64 v[53:54], v[51:52], v[41:42]
	v_add_f64 v[55:56], v[49:50], -v[53:54]
	v_add_f64 v[47:48], v[53:54], -v[51:52]
	s_delay_alu instid0(VALU_DEP_2) | instskip(NEXT) | instid1(VALU_DEP_2)
	v_add_f64 v[49:50], v[49:50], -v[55:56]
	v_add_f64 v[41:42], v[47:48], -v[41:42]
	s_delay_alu instid0(VALU_DEP_2) | instskip(NEXT) | instid1(VALU_DEP_1)
	v_add_f64 v[49:50], v[49:50], -v[53:54]
	v_add_f64 v[35:36], v[35:36], v[49:50]
	s_delay_alu instid0(VALU_DEP_1) | instskip(NEXT) | instid1(VALU_DEP_1)
	v_add_f64 v[35:36], v[41:42], v[35:36]
	v_add_f64 v[41:42], v[55:56], v[35:36]
	s_delay_alu instid0(VALU_DEP_1) | instskip(SKIP_1) | instid1(VALU_DEP_2)
	v_mul_f64 v[47:48], v[37:38], v[41:42]
	v_add_f64 v[53:54], v[55:56], -v[41:42]
	v_mul_f64 v[49:50], v[43:44], v[47:48]
	s_delay_alu instid0(VALU_DEP_2) | instskip(NEXT) | instid1(VALU_DEP_2)
	v_add_f64 v[35:36], v[35:36], v[53:54]
	v_fma_f64 v[43:44], v[47:48], v[43:44], -v[49:50]
	s_delay_alu instid0(VALU_DEP_1) | instskip(NEXT) | instid1(VALU_DEP_1)
	v_fma_f64 v[39:40], v[47:48], v[39:40], v[43:44]
	v_add_f64 v[43:44], v[49:50], v[39:40]
	s_delay_alu instid0(VALU_DEP_1) | instskip(SKIP_1) | instid1(VALU_DEP_2)
	v_add_f64 v[51:52], v[41:42], -v[43:44]
	v_add_f64 v[49:50], v[43:44], -v[49:50]
	;; [unrolled: 1-line block ×3, first 2 shown]
	s_delay_alu instid0(VALU_DEP_2) | instskip(NEXT) | instid1(VALU_DEP_2)
	v_add_f64 v[39:40], v[49:50], -v[39:40]
	v_add_f64 v[41:42], v[41:42], -v[43:44]
	s_delay_alu instid0(VALU_DEP_1) | instskip(SKIP_1) | instid1(VALU_DEP_2)
	v_add_f64 v[35:36], v[35:36], v[41:42]
	v_add_f64 v[41:42], v[45:46], v[47:48]
	;; [unrolled: 1-line block ×3, first 2 shown]
	s_delay_alu instid0(VALU_DEP_2) | instskip(NEXT) | instid1(VALU_DEP_2)
	v_add_f64 v[39:40], v[41:42], -v[45:46]
	v_add_f64 v[35:36], v[51:52], v[35:36]
	s_delay_alu instid0(VALU_DEP_2) | instskip(NEXT) | instid1(VALU_DEP_2)
	v_add_f64 v[39:40], v[47:48], -v[39:40]
	v_mul_f64 v[35:36], v[37:38], v[35:36]
	s_delay_alu instid0(VALU_DEP_1) | instskip(NEXT) | instid1(VALU_DEP_1)
	v_add_f64 v[35:36], v[39:40], v[35:36]
	v_add_f64 v[37:38], v[41:42], v[35:36]
	s_delay_alu instid0(VALU_DEP_1) | instskip(NEXT) | instid1(VALU_DEP_1)
	v_mul_f64 v[39:40], v[37:38], v[37:38]
	v_fma_f64 v[43:44], v[39:40], s[24:25], s[22:23]
	s_mov_b32 s22, 0xd7f4df2e
	s_mov_b32 s23, 0x3fc7474d
	v_mul_f64 v[45:46], v[37:38], v[39:40]
	s_delay_alu instid0(VALU_DEP_2)
	v_fma_f64 v[43:44], v[39:40], v[43:44], s[22:23]
	s_mov_b32 s22, 0x16291751
	s_mov_b32 s23, 0x3fcc71c0
	s_delay_alu instid0(VALU_DEP_1) | instid1(SALU_CYCLE_1)
	v_fma_f64 v[43:44], v[39:40], v[43:44], s[22:23]
	s_mov_b32 s22, 0x9b27acf1
	s_mov_b32 s23, 0x3fd24924
	s_delay_alu instid0(VALU_DEP_1) | instid1(SALU_CYCLE_1)
	v_fma_f64 v[43:44], v[39:40], v[43:44], s[22:23]
	s_mov_b32 s22, 0x998ef7b6
	s_mov_b32 s23, 0x3fd99999
	s_delay_alu instid0(VALU_DEP_1) | instid1(SALU_CYCLE_1)
	v_fma_f64 v[43:44], v[39:40], v[43:44], s[22:23]
	s_delay_alu instid0(VALU_DEP_1) | instskip(SKIP_3) | instid1(VALU_DEP_4)
	v_fma_f64 v[39:40], v[39:40], v[43:44], s[0:1]
	v_ldexp_f64 v[43:44], v[37:38], 1
	v_add_f64 v[37:38], v[37:38], -v[41:42]
	v_cmp_eq_f64_e64 s0, 0x7ff00000, v[33:34]
	v_mul_f64 v[39:40], v[45:46], v[39:40]
	v_cvt_f64_i32_e32 v[45:46], v0
	s_delay_alu instid0(VALU_DEP_4) | instskip(NEXT) | instid1(VALU_DEP_3)
	v_add_f64 v[35:36], v[35:36], -v[37:38]
	v_add_f64 v[41:42], v[43:44], v[39:40]
	s_delay_alu instid0(VALU_DEP_3) | instskip(NEXT) | instid1(VALU_DEP_3)
	v_mul_f64 v[47:48], v[45:46], s[18:19]
	v_ldexp_f64 v[35:36], v[35:36], 1
	s_delay_alu instid0(VALU_DEP_3) | instskip(NEXT) | instid1(VALU_DEP_3)
	v_add_f64 v[37:38], v[41:42], -v[43:44]
	v_fma_f64 v[43:44], v[45:46], s[18:19], -v[47:48]
	s_delay_alu instid0(VALU_DEP_2) | instskip(NEXT) | instid1(VALU_DEP_2)
	v_add_f64 v[37:38], v[39:40], -v[37:38]
	v_fma_f64 v[39:40], v[45:46], s[20:21], v[43:44]
	s_delay_alu instid0(VALU_DEP_2) | instskip(NEXT) | instid1(VALU_DEP_2)
	v_add_f64 v[35:36], v[35:36], v[37:38]
	v_add_f64 v[37:38], v[47:48], v[39:40]
	s_delay_alu instid0(VALU_DEP_2) | instskip(NEXT) | instid1(VALU_DEP_2)
	v_add_f64 v[43:44], v[41:42], v[35:36]
	v_add_f64 v[47:48], v[37:38], -v[47:48]
	s_delay_alu instid0(VALU_DEP_2) | instskip(SKIP_1) | instid1(VALU_DEP_3)
	v_add_f64 v[45:46], v[37:38], v[43:44]
	v_add_f64 v[41:42], v[43:44], -v[41:42]
	v_add_f64 v[39:40], v[39:40], -v[47:48]
	s_delay_alu instid0(VALU_DEP_3) | instskip(NEXT) | instid1(VALU_DEP_3)
	v_add_f64 v[49:50], v[45:46], -v[37:38]
	v_add_f64 v[35:36], v[35:36], -v[41:42]
	s_delay_alu instid0(VALU_DEP_2) | instskip(SKIP_1) | instid1(VALU_DEP_3)
	v_add_f64 v[51:52], v[45:46], -v[49:50]
	v_add_f64 v[41:42], v[43:44], -v[49:50]
	v_add_f64 v[43:44], v[39:40], v[35:36]
	s_delay_alu instid0(VALU_DEP_3) | instskip(NEXT) | instid1(VALU_DEP_1)
	v_add_f64 v[37:38], v[37:38], -v[51:52]
	v_add_f64 v[37:38], v[41:42], v[37:38]
	s_delay_alu instid0(VALU_DEP_3) | instskip(NEXT) | instid1(VALU_DEP_2)
	v_add_f64 v[41:42], v[43:44], -v[39:40]
	v_add_f64 v[37:38], v[43:44], v[37:38]
	s_delay_alu instid0(VALU_DEP_2) | instskip(SKIP_1) | instid1(VALU_DEP_3)
	v_add_f64 v[43:44], v[43:44], -v[41:42]
	v_add_f64 v[35:36], v[35:36], -v[41:42]
	v_add_f64 v[47:48], v[45:46], v[37:38]
	s_delay_alu instid0(VALU_DEP_3) | instskip(NEXT) | instid1(VALU_DEP_2)
	v_add_f64 v[39:40], v[39:40], -v[43:44]
	v_add_f64 v[41:42], v[47:48], -v[45:46]
	s_delay_alu instid0(VALU_DEP_2) | instskip(NEXT) | instid1(VALU_DEP_2)
	v_add_f64 v[35:36], v[35:36], v[39:40]
	v_add_f64 v[37:38], v[37:38], -v[41:42]
	s_delay_alu instid0(VALU_DEP_1) | instskip(NEXT) | instid1(VALU_DEP_1)
	v_add_f64 v[35:36], v[35:36], v[37:38]
	v_add_f64 v[35:36], v[47:48], v[35:36]
	s_delay_alu instid0(VALU_DEP_1) | instskip(NEXT) | instid1(VALU_DEP_2)
	v_cndmask_b32_e64 v0, v35, v33, s0
	v_cndmask_b32_e64 v35, v36, v34, s0
	v_cmp_ngt_f64_e64 s0, -1.0, v[33:34]
	s_delay_alu instid0(VALU_DEP_1) | instskip(SKIP_1) | instid1(VALU_DEP_1)
	v_cndmask_b32_e64 v36, 0x7ff80000, v35, s0
	v_cmp_nge_f64_e64 s0, -1.0, v[33:34]
	v_cndmask_b32_e64 v35, 0, v0, s0
	v_cmp_neq_f64_e64 s0, -1.0, v[33:34]
	s_delay_alu instid0(VALU_DEP_1) | instskip(NEXT) | instid1(VALU_DEP_1)
	v_cndmask_b32_e64 v36, 0xfff00000, v36, s0
	v_add_f64 v[33:34], v[7:8], v[35:36]
.LBB86_136:
	s_or_b32 exec_lo, exec_lo, s17
	s_waitcnt lgkmcnt(0)
	s_barrier
	buffer_gl0_inv
	ds_store_2addr_b64 v94, v[1:2], v[3:4] offset1:1
	ds_store_2addr_b64 v94, v[29:30], v[31:32] offset0:2 offset1:3
	ds_store_2addr_b64 v94, v[25:26], v[27:28] offset0:4 offset1:5
	;; [unrolled: 1-line block ×7, first 2 shown]
	s_waitcnt lgkmcnt(0)
	s_barrier
	buffer_gl0_inv
	ds_load_b64 v[30:31], v79 offset:2048
	ds_load_b64 v[28:29], v80 offset:4096
	;; [unrolled: 1-line block ×15, first 2 shown]
	v_add_co_u32 v2, s0, s34, v77
	s_delay_alu instid0(VALU_DEP_1)
	v_add_co_ci_u32_e64 v3, null, s35, 0, s0
	s_and_saveexec_b32 s0, vcc_lo
	s_cbranch_execnz .LBB86_153
; %bb.137:
	s_or_b32 exec_lo, exec_lo, s0
	s_and_saveexec_b32 s0, s2
	s_cbranch_execnz .LBB86_154
.LBB86_138:
	s_or_b32 exec_lo, exec_lo, s0
	s_and_saveexec_b32 s0, s3
	s_cbranch_execnz .LBB86_155
.LBB86_139:
	s_or_b32 exec_lo, exec_lo, s0
	s_and_saveexec_b32 s0, s4
	s_cbranch_execnz .LBB86_156
.LBB86_140:
	s_or_b32 exec_lo, exec_lo, s0
	s_and_saveexec_b32 s0, s5
	s_cbranch_execnz .LBB86_157
.LBB86_141:
	s_or_b32 exec_lo, exec_lo, s0
	s_and_saveexec_b32 s0, s6
	s_cbranch_execnz .LBB86_158
.LBB86_142:
	s_or_b32 exec_lo, exec_lo, s0
	s_and_saveexec_b32 s0, s7
	s_cbranch_execnz .LBB86_159
.LBB86_143:
	s_or_b32 exec_lo, exec_lo, s0
	s_and_saveexec_b32 s0, s8
	s_cbranch_execnz .LBB86_160
.LBB86_144:
	s_or_b32 exec_lo, exec_lo, s0
	s_and_saveexec_b32 s0, s9
	s_cbranch_execnz .LBB86_161
.LBB86_145:
	s_or_b32 exec_lo, exec_lo, s0
	s_and_saveexec_b32 s0, s10
	s_cbranch_execnz .LBB86_162
.LBB86_146:
	s_or_b32 exec_lo, exec_lo, s0
	s_and_saveexec_b32 s0, s11
	s_cbranch_execnz .LBB86_163
.LBB86_147:
	s_or_b32 exec_lo, exec_lo, s0
	s_and_saveexec_b32 s0, s12
	s_cbranch_execnz .LBB86_164
.LBB86_148:
	s_or_b32 exec_lo, exec_lo, s0
	s_and_saveexec_b32 s0, s13
	s_cbranch_execnz .LBB86_165
.LBB86_149:
	s_or_b32 exec_lo, exec_lo, s0
	s_and_saveexec_b32 s0, s14
	s_cbranch_execnz .LBB86_166
.LBB86_150:
	s_or_b32 exec_lo, exec_lo, s0
	s_and_saveexec_b32 s0, s15
	s_cbranch_execnz .LBB86_167
.LBB86_151:
	s_or_b32 exec_lo, exec_lo, s0
	s_and_saveexec_b32 s0, s16
	s_cbranch_execnz .LBB86_168
.LBB86_152:
	s_nop 0
	s_sendmsg sendmsg(MSG_DEALLOC_VGPRS)
	s_endpgm
.LBB86_153:
	ds_load_b64 v[32:33], v78
	s_waitcnt lgkmcnt(0)
	global_store_b64 v[2:3], v[32:33], off
	s_or_b32 exec_lo, exec_lo, s0
	s_and_saveexec_b32 s0, s2
	s_cbranch_execz .LBB86_138
.LBB86_154:
	s_waitcnt lgkmcnt(14)
	global_store_b64 v[2:3], v[30:31], off offset:2048
	s_or_b32 exec_lo, exec_lo, s0
	s_and_saveexec_b32 s0, s3
	s_cbranch_execz .LBB86_139
.LBB86_155:
	s_waitcnt lgkmcnt(14)
	v_add_co_u32 v30, vcc_lo, 0x1000, v2
	v_add_co_ci_u32_e32 v31, vcc_lo, 0, v3, vcc_lo
	s_waitcnt lgkmcnt(13)
	global_store_b64 v[30:31], v[28:29], off
	s_or_b32 exec_lo, exec_lo, s0
	s_and_saveexec_b32 s0, s4
	s_cbranch_execz .LBB86_140
.LBB86_156:
	s_waitcnt lgkmcnt(13)
	v_add_co_u32 v28, vcc_lo, 0x1000, v2
	v_add_co_ci_u32_e32 v29, vcc_lo, 0, v3, vcc_lo
	s_waitcnt lgkmcnt(12)
	global_store_b64 v[28:29], v[26:27], off offset:2048
	s_or_b32 exec_lo, exec_lo, s0
	s_and_saveexec_b32 s0, s5
	s_cbranch_execz .LBB86_141
.LBB86_157:
	s_waitcnt lgkmcnt(12)
	v_add_co_u32 v26, vcc_lo, 0x2000, v2
	v_add_co_ci_u32_e32 v27, vcc_lo, 0, v3, vcc_lo
	s_waitcnt lgkmcnt(11)
	global_store_b64 v[26:27], v[24:25], off
	s_or_b32 exec_lo, exec_lo, s0
	s_and_saveexec_b32 s0, s6
	s_cbranch_execz .LBB86_142
.LBB86_158:
	s_waitcnt lgkmcnt(11)
	v_add_co_u32 v24, vcc_lo, 0x2000, v2
	v_add_co_ci_u32_e32 v25, vcc_lo, 0, v3, vcc_lo
	s_waitcnt lgkmcnt(10)
	global_store_b64 v[24:25], v[22:23], off offset:2048
	s_or_b32 exec_lo, exec_lo, s0
	s_and_saveexec_b32 s0, s7
	s_cbranch_execz .LBB86_143
.LBB86_159:
	s_waitcnt lgkmcnt(10)
	v_add_co_u32 v22, vcc_lo, 0x3000, v2
	v_add_co_ci_u32_e32 v23, vcc_lo, 0, v3, vcc_lo
	s_waitcnt lgkmcnt(9)
	global_store_b64 v[22:23], v[20:21], off
	s_or_b32 exec_lo, exec_lo, s0
	s_and_saveexec_b32 s0, s8
	s_cbranch_execz .LBB86_144
.LBB86_160:
	s_waitcnt lgkmcnt(9)
	v_add_co_u32 v20, vcc_lo, 0x3000, v2
	v_add_co_ci_u32_e32 v21, vcc_lo, 0, v3, vcc_lo
	s_waitcnt lgkmcnt(8)
	global_store_b64 v[20:21], v[18:19], off offset:2048
	s_or_b32 exec_lo, exec_lo, s0
	s_and_saveexec_b32 s0, s9
	s_cbranch_execz .LBB86_145
.LBB86_161:
	s_waitcnt lgkmcnt(8)
	v_add_co_u32 v18, vcc_lo, 0x4000, v2
	v_add_co_ci_u32_e32 v19, vcc_lo, 0, v3, vcc_lo
	s_waitcnt lgkmcnt(7)
	global_store_b64 v[18:19], v[16:17], off
	s_or_b32 exec_lo, exec_lo, s0
	s_and_saveexec_b32 s0, s10
	s_cbranch_execz .LBB86_146
.LBB86_162:
	s_waitcnt lgkmcnt(7)
	v_add_co_u32 v16, vcc_lo, 0x4000, v2
	v_add_co_ci_u32_e32 v17, vcc_lo, 0, v3, vcc_lo
	s_waitcnt lgkmcnt(6)
	global_store_b64 v[16:17], v[14:15], off offset:2048
	s_or_b32 exec_lo, exec_lo, s0
	s_and_saveexec_b32 s0, s11
	s_cbranch_execz .LBB86_147
.LBB86_163:
	s_waitcnt lgkmcnt(6)
	v_add_co_u32 v14, vcc_lo, 0x5000, v2
	v_add_co_ci_u32_e32 v15, vcc_lo, 0, v3, vcc_lo
	s_waitcnt lgkmcnt(5)
	global_store_b64 v[14:15], v[12:13], off
	s_or_b32 exec_lo, exec_lo, s0
	s_and_saveexec_b32 s0, s12
	s_cbranch_execz .LBB86_148
.LBB86_164:
	s_waitcnt lgkmcnt(5)
	v_add_co_u32 v12, vcc_lo, 0x5000, v2
	v_add_co_ci_u32_e32 v13, vcc_lo, 0, v3, vcc_lo
	s_waitcnt lgkmcnt(4)
	global_store_b64 v[12:13], v[10:11], off offset:2048
	s_or_b32 exec_lo, exec_lo, s0
	s_and_saveexec_b32 s0, s13
	s_cbranch_execz .LBB86_149
.LBB86_165:
	s_waitcnt lgkmcnt(4)
	v_add_co_u32 v10, vcc_lo, 0x6000, v2
	v_add_co_ci_u32_e32 v11, vcc_lo, 0, v3, vcc_lo
	s_waitcnt lgkmcnt(3)
	global_store_b64 v[10:11], v[8:9], off
	s_or_b32 exec_lo, exec_lo, s0
	s_and_saveexec_b32 s0, s14
	s_cbranch_execz .LBB86_150
.LBB86_166:
	s_waitcnt lgkmcnt(3)
	v_add_co_u32 v8, vcc_lo, 0x6000, v2
	v_add_co_ci_u32_e32 v9, vcc_lo, 0, v3, vcc_lo
	s_waitcnt lgkmcnt(2)
	global_store_b64 v[8:9], v[6:7], off offset:2048
	s_or_b32 exec_lo, exec_lo, s0
	s_and_saveexec_b32 s0, s15
	s_cbranch_execz .LBB86_151
.LBB86_167:
	s_waitcnt lgkmcnt(2)
	v_add_co_u32 v6, vcc_lo, 0x7000, v2
	v_add_co_ci_u32_e32 v7, vcc_lo, 0, v3, vcc_lo
	s_waitcnt lgkmcnt(1)
	global_store_b64 v[6:7], v[4:5], off
	s_or_b32 exec_lo, exec_lo, s0
	s_and_saveexec_b32 s0, s16
	s_cbranch_execz .LBB86_152
.LBB86_168:
	v_add_co_u32 v2, vcc_lo, 0x7000, v2
	v_add_co_ci_u32_e32 v3, vcc_lo, 0, v3, vcc_lo
	s_waitcnt lgkmcnt(0)
	global_store_b64 v[2:3], v[0:1], off offset:2048
	s_nop 0
	s_sendmsg sendmsg(MSG_DEALLOC_VGPRS)
	s_endpgm
	.section	.rodata,"a",@progbits
	.p2align	6, 0x0
	.amdhsa_kernel _ZN7rocprim17ROCPRIM_400000_NS6detail17trampoline_kernelINS0_14default_configENS1_20scan_config_selectorIdEEZZNS1_9scan_implILNS1_25lookback_scan_determinismE0ELb0ELb0ES3_PKdPddZZZN2at6native31launch_logcumsumexp_cuda_kernelERKNSB_10TensorBaseESF_lENKUlvE_clEvENKUlvE_clEvEUlddE_dEEDaPvRmT3_T4_T5_mT6_P12ihipStream_tbENKUlT_T0_E_clISt17integral_constantIbLb0EESV_IbLb1EEEEDaSR_SS_EUlSR_E0_NS1_11comp_targetILNS1_3genE9ELNS1_11target_archE1100ELNS1_3gpuE3ELNS1_3repE0EEENS1_30default_config_static_selectorELNS0_4arch9wavefront6targetE0EEEvT1_
		.amdhsa_group_segment_fixed_size 33792
		.amdhsa_private_segment_fixed_size 0
		.amdhsa_kernarg_size 40
		.amdhsa_user_sgpr_count 15
		.amdhsa_user_sgpr_dispatch_ptr 0
		.amdhsa_user_sgpr_queue_ptr 0
		.amdhsa_user_sgpr_kernarg_segment_ptr 1
		.amdhsa_user_sgpr_dispatch_id 0
		.amdhsa_user_sgpr_private_segment_size 0
		.amdhsa_wavefront_size32 1
		.amdhsa_uses_dynamic_stack 0
		.amdhsa_enable_private_segment 0
		.amdhsa_system_sgpr_workgroup_id_x 1
		.amdhsa_system_sgpr_workgroup_id_y 0
		.amdhsa_system_sgpr_workgroup_id_z 0
		.amdhsa_system_sgpr_workgroup_info 0
		.amdhsa_system_vgpr_workitem_id 0
		.amdhsa_next_free_vgpr 119
		.amdhsa_next_free_sgpr 48
		.amdhsa_reserve_vcc 1
		.amdhsa_float_round_mode_32 0
		.amdhsa_float_round_mode_16_64 0
		.amdhsa_float_denorm_mode_32 3
		.amdhsa_float_denorm_mode_16_64 3
		.amdhsa_dx10_clamp 1
		.amdhsa_ieee_mode 1
		.amdhsa_fp16_overflow 0
		.amdhsa_workgroup_processor_mode 1
		.amdhsa_memory_ordered 1
		.amdhsa_forward_progress 0
		.amdhsa_shared_vgpr_count 0
		.amdhsa_exception_fp_ieee_invalid_op 0
		.amdhsa_exception_fp_denorm_src 0
		.amdhsa_exception_fp_ieee_div_zero 0
		.amdhsa_exception_fp_ieee_overflow 0
		.amdhsa_exception_fp_ieee_underflow 0
		.amdhsa_exception_fp_ieee_inexact 0
		.amdhsa_exception_int_div_zero 0
	.end_amdhsa_kernel
	.section	.text._ZN7rocprim17ROCPRIM_400000_NS6detail17trampoline_kernelINS0_14default_configENS1_20scan_config_selectorIdEEZZNS1_9scan_implILNS1_25lookback_scan_determinismE0ELb0ELb0ES3_PKdPddZZZN2at6native31launch_logcumsumexp_cuda_kernelERKNSB_10TensorBaseESF_lENKUlvE_clEvENKUlvE_clEvEUlddE_dEEDaPvRmT3_T4_T5_mT6_P12ihipStream_tbENKUlT_T0_E_clISt17integral_constantIbLb0EESV_IbLb1EEEEDaSR_SS_EUlSR_E0_NS1_11comp_targetILNS1_3genE9ELNS1_11target_archE1100ELNS1_3gpuE3ELNS1_3repE0EEENS1_30default_config_static_selectorELNS0_4arch9wavefront6targetE0EEEvT1_,"axG",@progbits,_ZN7rocprim17ROCPRIM_400000_NS6detail17trampoline_kernelINS0_14default_configENS1_20scan_config_selectorIdEEZZNS1_9scan_implILNS1_25lookback_scan_determinismE0ELb0ELb0ES3_PKdPddZZZN2at6native31launch_logcumsumexp_cuda_kernelERKNSB_10TensorBaseESF_lENKUlvE_clEvENKUlvE_clEvEUlddE_dEEDaPvRmT3_T4_T5_mT6_P12ihipStream_tbENKUlT_T0_E_clISt17integral_constantIbLb0EESV_IbLb1EEEEDaSR_SS_EUlSR_E0_NS1_11comp_targetILNS1_3genE9ELNS1_11target_archE1100ELNS1_3gpuE3ELNS1_3repE0EEENS1_30default_config_static_selectorELNS0_4arch9wavefront6targetE0EEEvT1_,comdat
.Lfunc_end86:
	.size	_ZN7rocprim17ROCPRIM_400000_NS6detail17trampoline_kernelINS0_14default_configENS1_20scan_config_selectorIdEEZZNS1_9scan_implILNS1_25lookback_scan_determinismE0ELb0ELb0ES3_PKdPddZZZN2at6native31launch_logcumsumexp_cuda_kernelERKNSB_10TensorBaseESF_lENKUlvE_clEvENKUlvE_clEvEUlddE_dEEDaPvRmT3_T4_T5_mT6_P12ihipStream_tbENKUlT_T0_E_clISt17integral_constantIbLb0EESV_IbLb1EEEEDaSR_SS_EUlSR_E0_NS1_11comp_targetILNS1_3genE9ELNS1_11target_archE1100ELNS1_3gpuE3ELNS1_3repE0EEENS1_30default_config_static_selectorELNS0_4arch9wavefront6targetE0EEEvT1_, .Lfunc_end86-_ZN7rocprim17ROCPRIM_400000_NS6detail17trampoline_kernelINS0_14default_configENS1_20scan_config_selectorIdEEZZNS1_9scan_implILNS1_25lookback_scan_determinismE0ELb0ELb0ES3_PKdPddZZZN2at6native31launch_logcumsumexp_cuda_kernelERKNSB_10TensorBaseESF_lENKUlvE_clEvENKUlvE_clEvEUlddE_dEEDaPvRmT3_T4_T5_mT6_P12ihipStream_tbENKUlT_T0_E_clISt17integral_constantIbLb0EESV_IbLb1EEEEDaSR_SS_EUlSR_E0_NS1_11comp_targetILNS1_3genE9ELNS1_11target_archE1100ELNS1_3gpuE3ELNS1_3repE0EEENS1_30default_config_static_selectorELNS0_4arch9wavefront6targetE0EEEvT1_
                                        ; -- End function
	.section	.AMDGPU.csdata,"",@progbits
; Kernel info:
; codeLenInByte = 80364
; NumSgprs: 50
; NumVgprs: 119
; ScratchSize: 0
; MemoryBound: 0
; FloatMode: 240
; IeeeMode: 1
; LDSByteSize: 33792 bytes/workgroup (compile time only)
; SGPRBlocks: 6
; VGPRBlocks: 14
; NumSGPRsForWavesPerEU: 50
; NumVGPRsForWavesPerEU: 119
; Occupancy: 6
; WaveLimiterHint : 0
; COMPUTE_PGM_RSRC2:SCRATCH_EN: 0
; COMPUTE_PGM_RSRC2:USER_SGPR: 15
; COMPUTE_PGM_RSRC2:TRAP_HANDLER: 0
; COMPUTE_PGM_RSRC2:TGID_X_EN: 1
; COMPUTE_PGM_RSRC2:TGID_Y_EN: 0
; COMPUTE_PGM_RSRC2:TGID_Z_EN: 0
; COMPUTE_PGM_RSRC2:TIDIG_COMP_CNT: 0
	.section	.text._ZN7rocprim17ROCPRIM_400000_NS6detail17trampoline_kernelINS0_14default_configENS1_20scan_config_selectorIdEEZZNS1_9scan_implILNS1_25lookback_scan_determinismE0ELb0ELb0ES3_PKdPddZZZN2at6native31launch_logcumsumexp_cuda_kernelERKNSB_10TensorBaseESF_lENKUlvE_clEvENKUlvE_clEvEUlddE_dEEDaPvRmT3_T4_T5_mT6_P12ihipStream_tbENKUlT_T0_E_clISt17integral_constantIbLb0EESV_IbLb1EEEEDaSR_SS_EUlSR_E0_NS1_11comp_targetILNS1_3genE8ELNS1_11target_archE1030ELNS1_3gpuE2ELNS1_3repE0EEENS1_30default_config_static_selectorELNS0_4arch9wavefront6targetE0EEEvT1_,"axG",@progbits,_ZN7rocprim17ROCPRIM_400000_NS6detail17trampoline_kernelINS0_14default_configENS1_20scan_config_selectorIdEEZZNS1_9scan_implILNS1_25lookback_scan_determinismE0ELb0ELb0ES3_PKdPddZZZN2at6native31launch_logcumsumexp_cuda_kernelERKNSB_10TensorBaseESF_lENKUlvE_clEvENKUlvE_clEvEUlddE_dEEDaPvRmT3_T4_T5_mT6_P12ihipStream_tbENKUlT_T0_E_clISt17integral_constantIbLb0EESV_IbLb1EEEEDaSR_SS_EUlSR_E0_NS1_11comp_targetILNS1_3genE8ELNS1_11target_archE1030ELNS1_3gpuE2ELNS1_3repE0EEENS1_30default_config_static_selectorELNS0_4arch9wavefront6targetE0EEEvT1_,comdat
	.globl	_ZN7rocprim17ROCPRIM_400000_NS6detail17trampoline_kernelINS0_14default_configENS1_20scan_config_selectorIdEEZZNS1_9scan_implILNS1_25lookback_scan_determinismE0ELb0ELb0ES3_PKdPddZZZN2at6native31launch_logcumsumexp_cuda_kernelERKNSB_10TensorBaseESF_lENKUlvE_clEvENKUlvE_clEvEUlddE_dEEDaPvRmT3_T4_T5_mT6_P12ihipStream_tbENKUlT_T0_E_clISt17integral_constantIbLb0EESV_IbLb1EEEEDaSR_SS_EUlSR_E0_NS1_11comp_targetILNS1_3genE8ELNS1_11target_archE1030ELNS1_3gpuE2ELNS1_3repE0EEENS1_30default_config_static_selectorELNS0_4arch9wavefront6targetE0EEEvT1_ ; -- Begin function _ZN7rocprim17ROCPRIM_400000_NS6detail17trampoline_kernelINS0_14default_configENS1_20scan_config_selectorIdEEZZNS1_9scan_implILNS1_25lookback_scan_determinismE0ELb0ELb0ES3_PKdPddZZZN2at6native31launch_logcumsumexp_cuda_kernelERKNSB_10TensorBaseESF_lENKUlvE_clEvENKUlvE_clEvEUlddE_dEEDaPvRmT3_T4_T5_mT6_P12ihipStream_tbENKUlT_T0_E_clISt17integral_constantIbLb0EESV_IbLb1EEEEDaSR_SS_EUlSR_E0_NS1_11comp_targetILNS1_3genE8ELNS1_11target_archE1030ELNS1_3gpuE2ELNS1_3repE0EEENS1_30default_config_static_selectorELNS0_4arch9wavefront6targetE0EEEvT1_
	.p2align	8
	.type	_ZN7rocprim17ROCPRIM_400000_NS6detail17trampoline_kernelINS0_14default_configENS1_20scan_config_selectorIdEEZZNS1_9scan_implILNS1_25lookback_scan_determinismE0ELb0ELb0ES3_PKdPddZZZN2at6native31launch_logcumsumexp_cuda_kernelERKNSB_10TensorBaseESF_lENKUlvE_clEvENKUlvE_clEvEUlddE_dEEDaPvRmT3_T4_T5_mT6_P12ihipStream_tbENKUlT_T0_E_clISt17integral_constantIbLb0EESV_IbLb1EEEEDaSR_SS_EUlSR_E0_NS1_11comp_targetILNS1_3genE8ELNS1_11target_archE1030ELNS1_3gpuE2ELNS1_3repE0EEENS1_30default_config_static_selectorELNS0_4arch9wavefront6targetE0EEEvT1_,@function
_ZN7rocprim17ROCPRIM_400000_NS6detail17trampoline_kernelINS0_14default_configENS1_20scan_config_selectorIdEEZZNS1_9scan_implILNS1_25lookback_scan_determinismE0ELb0ELb0ES3_PKdPddZZZN2at6native31launch_logcumsumexp_cuda_kernelERKNSB_10TensorBaseESF_lENKUlvE_clEvENKUlvE_clEvEUlddE_dEEDaPvRmT3_T4_T5_mT6_P12ihipStream_tbENKUlT_T0_E_clISt17integral_constantIbLb0EESV_IbLb1EEEEDaSR_SS_EUlSR_E0_NS1_11comp_targetILNS1_3genE8ELNS1_11target_archE1030ELNS1_3gpuE2ELNS1_3repE0EEENS1_30default_config_static_selectorELNS0_4arch9wavefront6targetE0EEEvT1_: ; @_ZN7rocprim17ROCPRIM_400000_NS6detail17trampoline_kernelINS0_14default_configENS1_20scan_config_selectorIdEEZZNS1_9scan_implILNS1_25lookback_scan_determinismE0ELb0ELb0ES3_PKdPddZZZN2at6native31launch_logcumsumexp_cuda_kernelERKNSB_10TensorBaseESF_lENKUlvE_clEvENKUlvE_clEvEUlddE_dEEDaPvRmT3_T4_T5_mT6_P12ihipStream_tbENKUlT_T0_E_clISt17integral_constantIbLb0EESV_IbLb1EEEEDaSR_SS_EUlSR_E0_NS1_11comp_targetILNS1_3genE8ELNS1_11target_archE1030ELNS1_3gpuE2ELNS1_3repE0EEENS1_30default_config_static_selectorELNS0_4arch9wavefront6targetE0EEEvT1_
; %bb.0:
	.section	.rodata,"a",@progbits
	.p2align	6, 0x0
	.amdhsa_kernel _ZN7rocprim17ROCPRIM_400000_NS6detail17trampoline_kernelINS0_14default_configENS1_20scan_config_selectorIdEEZZNS1_9scan_implILNS1_25lookback_scan_determinismE0ELb0ELb0ES3_PKdPddZZZN2at6native31launch_logcumsumexp_cuda_kernelERKNSB_10TensorBaseESF_lENKUlvE_clEvENKUlvE_clEvEUlddE_dEEDaPvRmT3_T4_T5_mT6_P12ihipStream_tbENKUlT_T0_E_clISt17integral_constantIbLb0EESV_IbLb1EEEEDaSR_SS_EUlSR_E0_NS1_11comp_targetILNS1_3genE8ELNS1_11target_archE1030ELNS1_3gpuE2ELNS1_3repE0EEENS1_30default_config_static_selectorELNS0_4arch9wavefront6targetE0EEEvT1_
		.amdhsa_group_segment_fixed_size 0
		.amdhsa_private_segment_fixed_size 0
		.amdhsa_kernarg_size 40
		.amdhsa_user_sgpr_count 15
		.amdhsa_user_sgpr_dispatch_ptr 0
		.amdhsa_user_sgpr_queue_ptr 0
		.amdhsa_user_sgpr_kernarg_segment_ptr 1
		.amdhsa_user_sgpr_dispatch_id 0
		.amdhsa_user_sgpr_private_segment_size 0
		.amdhsa_wavefront_size32 1
		.amdhsa_uses_dynamic_stack 0
		.amdhsa_enable_private_segment 0
		.amdhsa_system_sgpr_workgroup_id_x 1
		.amdhsa_system_sgpr_workgroup_id_y 0
		.amdhsa_system_sgpr_workgroup_id_z 0
		.amdhsa_system_sgpr_workgroup_info 0
		.amdhsa_system_vgpr_workitem_id 0
		.amdhsa_next_free_vgpr 1
		.amdhsa_next_free_sgpr 1
		.amdhsa_reserve_vcc 0
		.amdhsa_float_round_mode_32 0
		.amdhsa_float_round_mode_16_64 0
		.amdhsa_float_denorm_mode_32 3
		.amdhsa_float_denorm_mode_16_64 3
		.amdhsa_dx10_clamp 1
		.amdhsa_ieee_mode 1
		.amdhsa_fp16_overflow 0
		.amdhsa_workgroup_processor_mode 1
		.amdhsa_memory_ordered 1
		.amdhsa_forward_progress 0
		.amdhsa_shared_vgpr_count 0
		.amdhsa_exception_fp_ieee_invalid_op 0
		.amdhsa_exception_fp_denorm_src 0
		.amdhsa_exception_fp_ieee_div_zero 0
		.amdhsa_exception_fp_ieee_overflow 0
		.amdhsa_exception_fp_ieee_underflow 0
		.amdhsa_exception_fp_ieee_inexact 0
		.amdhsa_exception_int_div_zero 0
	.end_amdhsa_kernel
	.section	.text._ZN7rocprim17ROCPRIM_400000_NS6detail17trampoline_kernelINS0_14default_configENS1_20scan_config_selectorIdEEZZNS1_9scan_implILNS1_25lookback_scan_determinismE0ELb0ELb0ES3_PKdPddZZZN2at6native31launch_logcumsumexp_cuda_kernelERKNSB_10TensorBaseESF_lENKUlvE_clEvENKUlvE_clEvEUlddE_dEEDaPvRmT3_T4_T5_mT6_P12ihipStream_tbENKUlT_T0_E_clISt17integral_constantIbLb0EESV_IbLb1EEEEDaSR_SS_EUlSR_E0_NS1_11comp_targetILNS1_3genE8ELNS1_11target_archE1030ELNS1_3gpuE2ELNS1_3repE0EEENS1_30default_config_static_selectorELNS0_4arch9wavefront6targetE0EEEvT1_,"axG",@progbits,_ZN7rocprim17ROCPRIM_400000_NS6detail17trampoline_kernelINS0_14default_configENS1_20scan_config_selectorIdEEZZNS1_9scan_implILNS1_25lookback_scan_determinismE0ELb0ELb0ES3_PKdPddZZZN2at6native31launch_logcumsumexp_cuda_kernelERKNSB_10TensorBaseESF_lENKUlvE_clEvENKUlvE_clEvEUlddE_dEEDaPvRmT3_T4_T5_mT6_P12ihipStream_tbENKUlT_T0_E_clISt17integral_constantIbLb0EESV_IbLb1EEEEDaSR_SS_EUlSR_E0_NS1_11comp_targetILNS1_3genE8ELNS1_11target_archE1030ELNS1_3gpuE2ELNS1_3repE0EEENS1_30default_config_static_selectorELNS0_4arch9wavefront6targetE0EEEvT1_,comdat
.Lfunc_end87:
	.size	_ZN7rocprim17ROCPRIM_400000_NS6detail17trampoline_kernelINS0_14default_configENS1_20scan_config_selectorIdEEZZNS1_9scan_implILNS1_25lookback_scan_determinismE0ELb0ELb0ES3_PKdPddZZZN2at6native31launch_logcumsumexp_cuda_kernelERKNSB_10TensorBaseESF_lENKUlvE_clEvENKUlvE_clEvEUlddE_dEEDaPvRmT3_T4_T5_mT6_P12ihipStream_tbENKUlT_T0_E_clISt17integral_constantIbLb0EESV_IbLb1EEEEDaSR_SS_EUlSR_E0_NS1_11comp_targetILNS1_3genE8ELNS1_11target_archE1030ELNS1_3gpuE2ELNS1_3repE0EEENS1_30default_config_static_selectorELNS0_4arch9wavefront6targetE0EEEvT1_, .Lfunc_end87-_ZN7rocprim17ROCPRIM_400000_NS6detail17trampoline_kernelINS0_14default_configENS1_20scan_config_selectorIdEEZZNS1_9scan_implILNS1_25lookback_scan_determinismE0ELb0ELb0ES3_PKdPddZZZN2at6native31launch_logcumsumexp_cuda_kernelERKNSB_10TensorBaseESF_lENKUlvE_clEvENKUlvE_clEvEUlddE_dEEDaPvRmT3_T4_T5_mT6_P12ihipStream_tbENKUlT_T0_E_clISt17integral_constantIbLb0EESV_IbLb1EEEEDaSR_SS_EUlSR_E0_NS1_11comp_targetILNS1_3genE8ELNS1_11target_archE1030ELNS1_3gpuE2ELNS1_3repE0EEENS1_30default_config_static_selectorELNS0_4arch9wavefront6targetE0EEEvT1_
                                        ; -- End function
	.section	.AMDGPU.csdata,"",@progbits
; Kernel info:
; codeLenInByte = 0
; NumSgprs: 0
; NumVgprs: 0
; ScratchSize: 0
; MemoryBound: 0
; FloatMode: 240
; IeeeMode: 1
; LDSByteSize: 0 bytes/workgroup (compile time only)
; SGPRBlocks: 0
; VGPRBlocks: 0
; NumSGPRsForWavesPerEU: 1
; NumVGPRsForWavesPerEU: 1
; Occupancy: 16
; WaveLimiterHint : 0
; COMPUTE_PGM_RSRC2:SCRATCH_EN: 0
; COMPUTE_PGM_RSRC2:USER_SGPR: 15
; COMPUTE_PGM_RSRC2:TRAP_HANDLER: 0
; COMPUTE_PGM_RSRC2:TGID_X_EN: 1
; COMPUTE_PGM_RSRC2:TGID_Y_EN: 0
; COMPUTE_PGM_RSRC2:TGID_Z_EN: 0
; COMPUTE_PGM_RSRC2:TIDIG_COMP_CNT: 0
	.section	.text._ZN2at6native32tensor_kernel_scan_innermost_dimIdZZZNS0_31launch_logcumsumexp_cuda_kernelERKNS_10TensorBaseES4_lENKUlvE_clEvENKUlvE_clEvEUlddE_EEvPT_PKS8_jjjS8_T0_,"axG",@progbits,_ZN2at6native32tensor_kernel_scan_innermost_dimIdZZZNS0_31launch_logcumsumexp_cuda_kernelERKNS_10TensorBaseES4_lENKUlvE_clEvENKUlvE_clEvEUlddE_EEvPT_PKS8_jjjS8_T0_,comdat
	.globl	_ZN2at6native32tensor_kernel_scan_innermost_dimIdZZZNS0_31launch_logcumsumexp_cuda_kernelERKNS_10TensorBaseES4_lENKUlvE_clEvENKUlvE_clEvEUlddE_EEvPT_PKS8_jjjS8_T0_ ; -- Begin function _ZN2at6native32tensor_kernel_scan_innermost_dimIdZZZNS0_31launch_logcumsumexp_cuda_kernelERKNS_10TensorBaseES4_lENKUlvE_clEvENKUlvE_clEvEUlddE_EEvPT_PKS8_jjjS8_T0_
	.p2align	8
	.type	_ZN2at6native32tensor_kernel_scan_innermost_dimIdZZZNS0_31launch_logcumsumexp_cuda_kernelERKNS_10TensorBaseES4_lENKUlvE_clEvENKUlvE_clEvEUlddE_EEvPT_PKS8_jjjS8_T0_,@function
_ZN2at6native32tensor_kernel_scan_innermost_dimIdZZZNS0_31launch_logcumsumexp_cuda_kernelERKNS_10TensorBaseES4_lENKUlvE_clEvENKUlvE_clEvEUlddE_EEvPT_PKS8_jjjS8_T0_: ; @_ZN2at6native32tensor_kernel_scan_innermost_dimIdZZZNS0_31launch_logcumsumexp_cuda_kernelERKNS_10TensorBaseES4_lENKUlvE_clEvENKUlvE_clEvEUlddE_EEvPT_PKS8_jjjS8_T0_
; %bb.0:
	s_clause 0x1
	s_load_b256 s[16:23], s[0:1], 0x0
	s_load_b64 s[6:7], s[0:1], 0x20
	v_bfe_u32 v12, v0, 10, 10
	s_waitcnt lgkmcnt(0)
	s_lshl_b32 s9, 2, s22
	s_mul_hi_u32 s2, s20, s21
	s_delay_alu instid0(VALU_DEP_1) | instskip(SKIP_3) | instid1(VALU_DEP_1)
	v_mul_lo_u32 v1, s9, v12
	s_mov_b32 s8, s20
	s_cmp_lg_u32 s2, 0
	s_mov_b32 s2, -1
	v_lshl_add_u32 v13, v1, 3, 0
	s_cbranch_scc1 .LBB88_30
; %bb.1:
	s_load_b32 s4, s[0:1], 0x3c
	s_add_u32 s2, s0, 48
	s_addc_u32 s3, s1, 0
	s_waitcnt lgkmcnt(0)
	s_lshr_b32 s4, s4, 16
	s_delay_alu instid0(SALU_CYCLE_1) | instskip(NEXT) | instid1(SALU_CYCLE_1)
	s_mul_i32 s14, s15, s4
	s_cmp_ge_u32 s14, s20
	s_cbranch_scc1 .LBB88_29
; %bb.2:
	s_load_b32 s69, s[2:3], 0x0
	v_and_b32_e32 v14, 0x3ff, v0
	v_dual_mov_b32 v2, 0 :: v_dual_add_nc_u32 v15, -8, v13
	s_lshl_b32 s23, 1, s22
	s_cmp_lg_u32 s21, 0
	s_delay_alu instid0(VALU_DEP_2)
	v_lshl_add_u32 v16, v14, 3, v13
	v_cmp_eq_u32_e64 s2, 0, v14
	v_lshl_add_u32 v17, s9, 3, v15
	s_mov_b32 s10, 0x652b82fe
	s_mov_b32 s12, 0xfefa39ef
	v_lshl_add_u32 v18, s23, 3, v16
	s_mov_b32 s24, 0x3b39803f
	s_mov_b32 s26, 0xfca7ab0c
	;; [unrolled: 1-line block ×22, first 2 shown]
	s_cselect_b32 s33, -1, 0
	s_add_i32 s68, s22, 1
	s_waitcnt lgkmcnt(0)
	s_mul_i32 s69, s69, s4
	s_mov_b32 s29, 0x3e5ade15
	s_mov_b32 s31, 0x3ec71dee
	;; [unrolled: 1-line block ×19, first 2 shown]
	s_branch .LBB88_4
.LBB88_3:                               ;   in Loop: Header=BB88_4 Depth=1
	s_add_i32 s14, s14, s69
	s_delay_alu instid0(SALU_CYCLE_1)
	s_cmp_ge_u32 s14, s20
	s_cbranch_scc1 .LBB88_29
.LBB88_4:                               ; =>This Loop Header: Depth=1
                                        ;     Child Loop BB88_7 Depth 2
                                        ;       Child Loop BB88_19 Depth 3
	s_and_not1_b32 vcc_lo, exec_lo, s33
	s_cbranch_vccnz .LBB88_3
; %bb.5:                                ;   in Loop: Header=BB88_4 Depth=1
	v_dual_mov_b32 v6, s6 :: v_dual_add_nc_u32 v5, s14, v12
	v_mov_b32_e32 v7, s7
	s_mov_b32 s70, 0
	s_delay_alu instid0(VALU_DEP_2) | instskip(SKIP_2) | instid1(VALU_DEP_3)
	v_mul_lo_u32 v1, v5, s21
	v_cmp_gt_u32_e32 vcc_lo, s20, v5
	v_cmp_le_u32_e64 s3, s20, v5
	v_lshlrev_b64 v[3:4], 3, v[1:2]
	s_delay_alu instid0(VALU_DEP_1) | instskip(NEXT) | instid1(VALU_DEP_1)
	v_add_co_u32 v19, s4, s18, v3
	v_add_co_ci_u32_e64 v20, s4, s19, v4, s4
	v_add_co_u32 v21, s4, s16, v3
	s_delay_alu instid0(VALU_DEP_1)
	v_add_co_ci_u32_e64 v22, s4, s17, v4, s4
	s_branch .LBB88_7
.LBB88_6:                               ;   in Loop: Header=BB88_7 Depth=2
	s_or_b32 exec_lo, exec_lo, s5
	ds_load_b64 v[6:7], v17
	s_add_i32 s70, s70, s9
	s_waitcnt lgkmcnt(0)
	s_waitcnt_vscnt null, 0x0
	s_cmp_ge_u32 s70, s21
	s_barrier
	buffer_gl0_inv
	s_cbranch_scc1 .LBB88_3
.LBB88_7:                               ;   Parent Loop BB88_4 Depth=1
                                        ; =>  This Loop Header: Depth=2
                                        ;       Child Loop BB88_19 Depth 3
	v_add_nc_u32_e32 v1, s70, v14
	s_delay_alu instid0(VALU_DEP_1)
	v_add_nc_u32_e32 v3, s23, v1
	s_and_saveexec_b32 s71, vcc_lo
	s_cbranch_execz .LBB88_16
; %bb.8:                                ;   in Loop: Header=BB88_7 Depth=2
	v_dual_mov_b32 v4, s6 :: v_dual_mov_b32 v5, s7
	s_mov_b32 s5, exec_lo
	v_cmpx_gt_u32_e64 s21, v1
	s_cbranch_execz .LBB88_10
; %bb.9:                                ;   in Loop: Header=BB88_7 Depth=2
	v_lshlrev_b64 v[4:5], 3, v[1:2]
	s_delay_alu instid0(VALU_DEP_1) | instskip(NEXT) | instid1(VALU_DEP_1)
	v_add_co_u32 v4, s4, v19, v4
	v_add_co_ci_u32_e64 v5, s4, v20, v5, s4
	global_load_b64 v[4:5], v[4:5], off
.LBB88_10:                              ;   in Loop: Header=BB88_7 Depth=2
	s_or_b32 exec_lo, exec_lo, s5
	v_dual_mov_b32 v9, s7 :: v_dual_mov_b32 v8, s6
	s_mov_b32 s5, exec_lo
	s_waitcnt vmcnt(0)
	ds_store_b64 v16, v[4:5]
	v_cmpx_gt_u32_e64 s21, v3
	s_cbranch_execz .LBB88_12
; %bb.11:                               ;   in Loop: Header=BB88_7 Depth=2
	v_mov_b32_e32 v4, v2
	s_delay_alu instid0(VALU_DEP_1) | instskip(NEXT) | instid1(VALU_DEP_1)
	v_lshlrev_b64 v[4:5], 3, v[3:4]
	v_add_co_u32 v4, s4, v19, v4
	s_delay_alu instid0(VALU_DEP_1)
	v_add_co_ci_u32_e64 v5, s4, v20, v5, s4
	global_load_b64 v[8:9], v[4:5], off
.LBB88_12:                              ;   in Loop: Header=BB88_7 Depth=2
	s_or_b32 exec_lo, exec_lo, s5
	s_waitcnt vmcnt(0)
	ds_store_b64 v18, v[8:9]
	s_and_b32 exec_lo, exec_lo, s2
	s_cbranch_execz .LBB88_16
; %bb.13:                               ;   in Loop: Header=BB88_7 Depth=2
	ds_load_b64 v[8:9], v13
	v_max_f64 v[4:5], v[6:7], v[6:7]
	v_cmp_u_f64_e64 s5, v[6:7], v[6:7]
	s_waitcnt lgkmcnt(0)
	v_max_f64 v[10:11], v[8:9], v[8:9]
	v_cmp_u_f64_e64 s4, v[8:9], v[8:9]
	s_delay_alu instid0(VALU_DEP_2) | instskip(SKIP_1) | instid1(VALU_DEP_2)
	v_min_f64 v[23:24], v[10:11], v[4:5]
	v_max_f64 v[4:5], v[10:11], v[4:5]
	v_cndmask_b32_e64 v10, v23, v8, s4
	s_delay_alu instid0(VALU_DEP_3) | instskip(NEXT) | instid1(VALU_DEP_3)
	v_cndmask_b32_e64 v11, v24, v9, s4
	v_cndmask_b32_e64 v5, v5, v9, s4
	s_delay_alu instid0(VALU_DEP_4) | instskip(NEXT) | instid1(VALU_DEP_4)
	v_cndmask_b32_e64 v4, v4, v8, s4
	v_cndmask_b32_e64 v10, v10, v6, s5
	s_delay_alu instid0(VALU_DEP_4) | instskip(NEXT) | instid1(VALU_DEP_4)
	v_cndmask_b32_e64 v11, v11, v7, s5
	v_cndmask_b32_e64 v5, v5, v7, s5
	s_delay_alu instid0(VALU_DEP_4) | instskip(NEXT) | instid1(VALU_DEP_3)
	v_cndmask_b32_e64 v4, v4, v6, s5
	v_cmp_class_f64_e64 s5, v[10:11], 0x1f8
	s_delay_alu instid0(VALU_DEP_2) | instskip(NEXT) | instid1(VALU_DEP_1)
	v_cmp_neq_f64_e64 s4, v[10:11], v[4:5]
	s_or_b32 s4, s4, s5
	s_delay_alu instid0(SALU_CYCLE_1)
	s_and_saveexec_b32 s72, s4
	s_cbranch_execz .LBB88_15
; %bb.14:                               ;   in Loop: Header=BB88_7 Depth=2
	v_add_f64 v[6:7], v[10:11], -v[4:5]
	s_mov_b32 s63, s49
	s_mov_b32 s64, s12
	;; [unrolled: 1-line block ×3, first 2 shown]
	s_delay_alu instid0(VALU_DEP_1) | instskip(SKIP_2) | instid1(VALU_DEP_3)
	v_mul_f64 v[8:9], v[6:7], s[10:11]
	v_cmp_nlt_f64_e64 s4, 0x40900000, v[6:7]
	v_cmp_ngt_f64_e64 s5, 0xc090cc00, v[6:7]
	v_rndne_f64_e32 v[8:9], v[8:9]
	s_delay_alu instid0(VALU_DEP_1) | instskip(SKIP_1) | instid1(VALU_DEP_2)
	v_fma_f64 v[10:11], v[8:9], s[12:13], v[6:7]
	v_cvt_i32_f64_e32 v25, v[8:9]
	v_fma_f64 v[10:11], v[8:9], s[24:25], v[10:11]
	s_delay_alu instid0(VALU_DEP_1) | instskip(NEXT) | instid1(VALU_DEP_1)
	v_fma_f64 v[23:24], v[10:11], s[28:29], s[26:27]
	v_fma_f64 v[23:24], v[10:11], v[23:24], s[30:31]
	s_delay_alu instid0(VALU_DEP_1) | instskip(NEXT) | instid1(VALU_DEP_1)
	v_fma_f64 v[23:24], v[10:11], v[23:24], s[34:35]
	;; [unrolled: 3-line block ×5, first 2 shown]
	v_fma_f64 v[23:24], v[10:11], v[23:24], 1.0
	s_delay_alu instid0(VALU_DEP_1) | instskip(NEXT) | instid1(VALU_DEP_1)
	v_fma_f64 v[8:9], v[10:11], v[23:24], 1.0
	v_ldexp_f64 v[8:9], v[8:9], v25
	s_delay_alu instid0(VALU_DEP_1)
	v_cndmask_b32_e64 v9, 0x7ff00000, v9, s4
	s_and_b32 s4, s5, s4
	s_delay_alu instid0(VALU_DEP_2) | instid1(SALU_CYCLE_1)
	v_cndmask_b32_e64 v6, 0, v8, s4
	s_delay_alu instid0(VALU_DEP_2) | instskip(NEXT) | instid1(VALU_DEP_1)
	v_cndmask_b32_e64 v7, 0, v9, s5
	v_add_f64 v[8:9], v[6:7], 1.0
	s_delay_alu instid0(VALU_DEP_1) | instskip(SKIP_2) | instid1(VALU_DEP_3)
	v_frexp_mant_f64_e32 v[10:11], v[8:9]
	v_frexp_exp_i32_f64_e32 v25, v[8:9]
	v_add_f64 v[23:24], v[8:9], -1.0
	v_cmp_gt_f64_e64 s4, s[48:49], v[10:11]
	s_delay_alu instid0(VALU_DEP_2) | instskip(SKIP_1) | instid1(VALU_DEP_3)
	v_add_f64 v[10:11], v[23:24], -v[8:9]
	v_add_f64 v[23:24], v[6:7], -v[23:24]
	v_subrev_co_ci_u32_e64 v41, s4, 0, v25, s4
	s_delay_alu instid0(VALU_DEP_3) | instskip(SKIP_1) | instid1(VALU_DEP_3)
	v_add_f64 v[10:11], v[10:11], 1.0
	v_cmp_eq_f64_e64 s4, 0x7ff00000, v[6:7]
	v_sub_nc_u32_e32 v27, 0, v41
	s_delay_alu instid0(VALU_DEP_1) | instskip(NEXT) | instid1(VALU_DEP_4)
	v_ldexp_f64 v[8:9], v[8:9], v27
	v_add_f64 v[10:11], v[23:24], v[10:11]
	s_delay_alu instid0(VALU_DEP_2) | instskip(SKIP_1) | instid1(VALU_DEP_3)
	v_add_f64 v[25:26], v[8:9], 1.0
	v_add_f64 v[31:32], v[8:9], -1.0
	v_ldexp_f64 v[10:11], v[10:11], v27
	s_delay_alu instid0(VALU_DEP_3) | instskip(NEXT) | instid1(VALU_DEP_3)
	v_add_f64 v[23:24], v[25:26], -1.0
	v_add_f64 v[33:34], v[31:32], 1.0
	s_delay_alu instid0(VALU_DEP_2) | instskip(NEXT) | instid1(VALU_DEP_2)
	v_add_f64 v[23:24], v[8:9], -v[23:24]
	v_add_f64 v[8:9], v[8:9], -v[33:34]
	s_delay_alu instid0(VALU_DEP_2) | instskip(NEXT) | instid1(VALU_DEP_2)
	v_add_f64 v[23:24], v[10:11], v[23:24]
	v_add_f64 v[8:9], v[10:11], v[8:9]
	s_delay_alu instid0(VALU_DEP_2) | instskip(NEXT) | instid1(VALU_DEP_2)
	v_add_f64 v[27:28], v[25:26], v[23:24]
	v_add_f64 v[33:34], v[31:32], v[8:9]
	s_delay_alu instid0(VALU_DEP_2) | instskip(SKIP_1) | instid1(VALU_DEP_2)
	v_rcp_f64_e32 v[29:30], v[27:28]
	v_add_f64 v[25:26], v[27:28], -v[25:26]
	v_add_f64 v[31:32], v[33:34], -v[31:32]
	s_delay_alu instid0(VALU_DEP_2) | instskip(SKIP_3) | instid1(VALU_DEP_2)
	v_add_f64 v[23:24], v[23:24], -v[25:26]
	s_waitcnt_depctr 0xfff
	v_fma_f64 v[35:36], -v[27:28], v[29:30], 1.0
	v_add_f64 v[8:9], v[8:9], -v[31:32]
	v_fma_f64 v[29:30], v[35:36], v[29:30], v[29:30]
	s_delay_alu instid0(VALU_DEP_1) | instskip(NEXT) | instid1(VALU_DEP_1)
	v_fma_f64 v[10:11], -v[27:28], v[29:30], 1.0
	v_fma_f64 v[10:11], v[10:11], v[29:30], v[29:30]
	s_delay_alu instid0(VALU_DEP_1) | instskip(NEXT) | instid1(VALU_DEP_1)
	v_mul_f64 v[29:30], v[33:34], v[10:11]
	v_mul_f64 v[35:36], v[27:28], v[29:30]
	s_delay_alu instid0(VALU_DEP_1) | instskip(NEXT) | instid1(VALU_DEP_1)
	v_fma_f64 v[25:26], v[29:30], v[27:28], -v[35:36]
	v_fma_f64 v[25:26], v[29:30], v[23:24], v[25:26]
	s_delay_alu instid0(VALU_DEP_1) | instskip(NEXT) | instid1(VALU_DEP_1)
	v_add_f64 v[37:38], v[35:36], v[25:26]
	v_add_f64 v[39:40], v[33:34], -v[37:38]
	v_add_f64 v[31:32], v[37:38], -v[35:36]
	s_delay_alu instid0(VALU_DEP_2) | instskip(NEXT) | instid1(VALU_DEP_2)
	v_add_f64 v[33:34], v[33:34], -v[39:40]
	v_add_f64 v[25:26], v[31:32], -v[25:26]
	s_delay_alu instid0(VALU_DEP_2) | instskip(NEXT) | instid1(VALU_DEP_1)
	v_add_f64 v[33:34], v[33:34], -v[37:38]
	v_add_f64 v[8:9], v[8:9], v[33:34]
	s_delay_alu instid0(VALU_DEP_1) | instskip(NEXT) | instid1(VALU_DEP_1)
	v_add_f64 v[8:9], v[25:26], v[8:9]
	v_add_f64 v[25:26], v[39:40], v[8:9]
	s_delay_alu instid0(VALU_DEP_1) | instskip(SKIP_1) | instid1(VALU_DEP_2)
	v_mul_f64 v[31:32], v[10:11], v[25:26]
	v_add_f64 v[37:38], v[39:40], -v[25:26]
	v_mul_f64 v[33:34], v[27:28], v[31:32]
	s_delay_alu instid0(VALU_DEP_2) | instskip(NEXT) | instid1(VALU_DEP_2)
	v_add_f64 v[8:9], v[8:9], v[37:38]
	v_fma_f64 v[27:28], v[31:32], v[27:28], -v[33:34]
	s_delay_alu instid0(VALU_DEP_1) | instskip(NEXT) | instid1(VALU_DEP_1)
	v_fma_f64 v[23:24], v[31:32], v[23:24], v[27:28]
	v_add_f64 v[27:28], v[33:34], v[23:24]
	s_delay_alu instid0(VALU_DEP_1) | instskip(SKIP_1) | instid1(VALU_DEP_2)
	v_add_f64 v[35:36], v[25:26], -v[27:28]
	v_add_f64 v[33:34], v[27:28], -v[33:34]
	v_add_f64 v[25:26], v[25:26], -v[35:36]
	s_delay_alu instid0(VALU_DEP_2) | instskip(NEXT) | instid1(VALU_DEP_2)
	v_add_f64 v[23:24], v[33:34], -v[23:24]
	v_add_f64 v[25:26], v[25:26], -v[27:28]
	s_delay_alu instid0(VALU_DEP_1) | instskip(SKIP_1) | instid1(VALU_DEP_2)
	v_add_f64 v[8:9], v[8:9], v[25:26]
	v_add_f64 v[25:26], v[29:30], v[31:32]
	;; [unrolled: 1-line block ×3, first 2 shown]
	s_delay_alu instid0(VALU_DEP_2) | instskip(NEXT) | instid1(VALU_DEP_2)
	v_add_f64 v[23:24], v[25:26], -v[29:30]
	v_add_f64 v[8:9], v[35:36], v[8:9]
	s_delay_alu instid0(VALU_DEP_2) | instskip(NEXT) | instid1(VALU_DEP_2)
	v_add_f64 v[23:24], v[31:32], -v[23:24]
	v_mul_f64 v[8:9], v[10:11], v[8:9]
	s_delay_alu instid0(VALU_DEP_1) | instskip(NEXT) | instid1(VALU_DEP_1)
	v_add_f64 v[8:9], v[23:24], v[8:9]
	v_add_f64 v[10:11], v[25:26], v[8:9]
	s_delay_alu instid0(VALU_DEP_1) | instskip(NEXT) | instid1(VALU_DEP_1)
	v_mul_f64 v[23:24], v[10:11], v[10:11]
	v_fma_f64 v[27:28], v[23:24], s[52:53], s[50:51]
	v_mul_f64 v[29:30], v[10:11], v[23:24]
	s_delay_alu instid0(VALU_DEP_2) | instskip(NEXT) | instid1(VALU_DEP_1)
	v_fma_f64 v[27:28], v[23:24], v[27:28], s[54:55]
	v_fma_f64 v[27:28], v[23:24], v[27:28], s[56:57]
	s_delay_alu instid0(VALU_DEP_1) | instskip(NEXT) | instid1(VALU_DEP_1)
	v_fma_f64 v[27:28], v[23:24], v[27:28], s[58:59]
	v_fma_f64 v[27:28], v[23:24], v[27:28], s[60:61]
	s_delay_alu instid0(VALU_DEP_1) | instskip(SKIP_2) | instid1(VALU_DEP_3)
	v_fma_f64 v[23:24], v[23:24], v[27:28], s[62:63]
	v_ldexp_f64 v[27:28], v[10:11], 1
	v_add_f64 v[10:11], v[10:11], -v[25:26]
	v_mul_f64 v[23:24], v[29:30], v[23:24]
	v_cvt_f64_i32_e32 v[29:30], v41
	s_delay_alu instid0(VALU_DEP_3) | instskip(NEXT) | instid1(VALU_DEP_3)
	v_add_f64 v[8:9], v[8:9], -v[10:11]
	v_add_f64 v[25:26], v[27:28], v[23:24]
	s_delay_alu instid0(VALU_DEP_3) | instskip(NEXT) | instid1(VALU_DEP_3)
	v_mul_f64 v[31:32], v[29:30], s[64:65]
	v_ldexp_f64 v[8:9], v[8:9], 1
	s_delay_alu instid0(VALU_DEP_3) | instskip(NEXT) | instid1(VALU_DEP_3)
	v_add_f64 v[10:11], v[25:26], -v[27:28]
	v_fma_f64 v[27:28], v[29:30], s[64:65], -v[31:32]
	s_delay_alu instid0(VALU_DEP_2) | instskip(NEXT) | instid1(VALU_DEP_2)
	v_add_f64 v[10:11], v[23:24], -v[10:11]
	v_fma_f64 v[23:24], v[29:30], s[66:67], v[27:28]
	s_delay_alu instid0(VALU_DEP_2) | instskip(NEXT) | instid1(VALU_DEP_2)
	v_add_f64 v[8:9], v[8:9], v[10:11]
	v_add_f64 v[10:11], v[31:32], v[23:24]
	s_delay_alu instid0(VALU_DEP_2) | instskip(NEXT) | instid1(VALU_DEP_2)
	v_add_f64 v[27:28], v[25:26], v[8:9]
	v_add_f64 v[31:32], v[10:11], -v[31:32]
	s_delay_alu instid0(VALU_DEP_2) | instskip(SKIP_1) | instid1(VALU_DEP_3)
	v_add_f64 v[29:30], v[10:11], v[27:28]
	v_add_f64 v[25:26], v[27:28], -v[25:26]
	v_add_f64 v[23:24], v[23:24], -v[31:32]
	s_delay_alu instid0(VALU_DEP_3) | instskip(NEXT) | instid1(VALU_DEP_3)
	v_add_f64 v[33:34], v[29:30], -v[10:11]
	v_add_f64 v[8:9], v[8:9], -v[25:26]
	s_delay_alu instid0(VALU_DEP_2) | instskip(SKIP_1) | instid1(VALU_DEP_3)
	v_add_f64 v[35:36], v[29:30], -v[33:34]
	v_add_f64 v[25:26], v[27:28], -v[33:34]
	v_add_f64 v[27:28], v[23:24], v[8:9]
	s_delay_alu instid0(VALU_DEP_3) | instskip(NEXT) | instid1(VALU_DEP_1)
	v_add_f64 v[10:11], v[10:11], -v[35:36]
	v_add_f64 v[10:11], v[25:26], v[10:11]
	s_delay_alu instid0(VALU_DEP_3) | instskip(NEXT) | instid1(VALU_DEP_2)
	v_add_f64 v[25:26], v[27:28], -v[23:24]
	v_add_f64 v[10:11], v[27:28], v[10:11]
	s_delay_alu instid0(VALU_DEP_2) | instskip(SKIP_1) | instid1(VALU_DEP_3)
	v_add_f64 v[27:28], v[27:28], -v[25:26]
	v_add_f64 v[8:9], v[8:9], -v[25:26]
	v_add_f64 v[31:32], v[29:30], v[10:11]
	s_delay_alu instid0(VALU_DEP_3) | instskip(NEXT) | instid1(VALU_DEP_2)
	v_add_f64 v[23:24], v[23:24], -v[27:28]
	v_add_f64 v[25:26], v[31:32], -v[29:30]
	s_delay_alu instid0(VALU_DEP_2) | instskip(NEXT) | instid1(VALU_DEP_2)
	v_add_f64 v[8:9], v[8:9], v[23:24]
	v_add_f64 v[10:11], v[10:11], -v[25:26]
	s_delay_alu instid0(VALU_DEP_1) | instskip(NEXT) | instid1(VALU_DEP_1)
	v_add_f64 v[8:9], v[8:9], v[10:11]
	v_add_f64 v[8:9], v[31:32], v[8:9]
	s_delay_alu instid0(VALU_DEP_1) | instskip(NEXT) | instid1(VALU_DEP_2)
	v_cndmask_b32_e64 v8, v8, v6, s4
	v_cndmask_b32_e64 v9, v9, v7, s4
	v_cmp_ngt_f64_e64 s4, -1.0, v[6:7]
	s_delay_alu instid0(VALU_DEP_1) | instskip(SKIP_1) | instid1(VALU_DEP_1)
	v_cndmask_b32_e64 v9, 0x7ff80000, v9, s4
	v_cmp_nge_f64_e64 s4, -1.0, v[6:7]
	v_cndmask_b32_e64 v8, 0, v8, s4
	v_cmp_neq_f64_e64 s4, -1.0, v[6:7]
	s_delay_alu instid0(VALU_DEP_1) | instskip(NEXT) | instid1(VALU_DEP_1)
	v_cndmask_b32_e64 v9, 0xfff00000, v9, s4
	v_add_f64 v[8:9], v[4:5], v[8:9]
.LBB88_15:                              ;   in Loop: Header=BB88_7 Depth=2
	s_or_b32 exec_lo, exec_lo, s72
	ds_store_b64 v13, v[8:9]
.LBB88_16:                              ;   in Loop: Header=BB88_7 Depth=2
	s_or_b32 exec_lo, exec_lo, s71
	v_mov_b32_e32 v4, 0
	s_mov_b32 s71, 0
	s_waitcnt lgkmcnt(0)
	s_barrier
	buffer_gl0_inv
	s_branch .LBB88_19
.LBB88_17:                              ;   in Loop: Header=BB88_19 Depth=3
	s_or_b32 exec_lo, exec_lo, s73
	ds_store_b64 v11, v[6:7]
.LBB88_18:                              ;   in Loop: Header=BB88_19 Depth=3
	s_or_b32 exec_lo, exec_lo, s72
	s_delay_alu instid0(VALU_DEP_1)
	v_cmp_eq_u32_e64 s4, s68, v10
	v_mov_b32_e32 v4, v10
	s_waitcnt lgkmcnt(0)
	s_barrier
	buffer_gl0_inv
	s_or_b32 s71, s4, s71
	s_delay_alu instid0(SALU_CYCLE_1)
	s_and_not1_b32 exec_lo, exec_lo, s71
	s_cbranch_execz .LBB88_24
.LBB88_19:                              ;   Parent Loop BB88_4 Depth=1
                                        ;     Parent Loop BB88_7 Depth=2
                                        ; =>    This Inner Loop Header: Depth=3
	v_add_nc_u32_e32 v10, 1, v4
	s_and_saveexec_b32 s4, s3
	s_delay_alu instid0(SALU_CYCLE_1)
	s_xor_b32 s4, exec_lo, s4
; %bb.20:                               ;   in Loop: Header=BB88_19 Depth=3
	v_add_nc_u32_e32 v10, 1, v4
                                        ; implicit-def: $vgpr4
; %bb.21:                               ;   in Loop: Header=BB88_19 Depth=3
	s_and_not1_saveexec_b32 s72, s4
	s_cbranch_execz .LBB88_18
; %bb.22:                               ;   in Loop: Header=BB88_19 Depth=3
	v_lshlrev_b32_e64 v5, v4, 1
	v_lshrrev_b32_e32 v6, v4, v14
	v_bfm_b32 v4, v4, 0
	s_delay_alu instid0(VALU_DEP_2) | instskip(NEXT) | instid1(VALU_DEP_2)
	v_lshl_or_b32 v5, v6, v10, v5
	v_and_b32_e32 v4, v4, v14
	s_delay_alu instid0(VALU_DEP_2) | instskip(NEXT) | instid1(VALU_DEP_2)
	v_lshlrev_b32_e32 v5, 3, v5
	v_lshlrev_b32_e32 v4, 3, v4
	s_delay_alu instid0(VALU_DEP_2) | instskip(NEXT) | instid1(VALU_DEP_2)
	v_add_nc_u32_e32 v6, v15, v5
	v_add3_u32 v11, v13, v5, v4
	ds_load_b64 v[4:5], v6
	ds_load_b64 v[6:7], v11
	s_waitcnt lgkmcnt(1)
	v_max_f64 v[8:9], v[4:5], v[4:5]
	s_waitcnt lgkmcnt(0)
	v_max_f64 v[23:24], v[6:7], v[6:7]
	v_cmp_u_f64_e64 s4, v[6:7], v[6:7]
	v_cmp_u_f64_e64 s5, v[4:5], v[4:5]
	s_delay_alu instid0(VALU_DEP_3) | instskip(SKIP_1) | instid1(VALU_DEP_2)
	v_min_f64 v[25:26], v[23:24], v[8:9]
	v_max_f64 v[8:9], v[23:24], v[8:9]
	v_cndmask_b32_e64 v23, v25, v6, s4
	s_delay_alu instid0(VALU_DEP_3) | instskip(NEXT) | instid1(VALU_DEP_3)
	v_cndmask_b32_e64 v24, v26, v7, s4
	v_cndmask_b32_e64 v25, v9, v7, s4
	s_delay_alu instid0(VALU_DEP_4) | instskip(NEXT) | instid1(VALU_DEP_4)
	v_cndmask_b32_e64 v26, v8, v6, s4
	v_cndmask_b32_e64 v8, v23, v4, s5
	s_delay_alu instid0(VALU_DEP_4) | instskip(NEXT) | instid1(VALU_DEP_4)
	v_cndmask_b32_e64 v9, v24, v5, s5
	v_cndmask_b32_e64 v5, v25, v5, s5
	s_delay_alu instid0(VALU_DEP_4) | instskip(NEXT) | instid1(VALU_DEP_3)
	v_cndmask_b32_e64 v4, v26, v4, s5
	v_cmp_class_f64_e64 s5, v[8:9], 0x1f8
	s_delay_alu instid0(VALU_DEP_2) | instskip(NEXT) | instid1(VALU_DEP_1)
	v_cmp_neq_f64_e64 s4, v[8:9], v[4:5]
	s_or_b32 s4, s4, s5
	s_delay_alu instid0(SALU_CYCLE_1)
	s_and_saveexec_b32 s73, s4
	s_cbranch_execz .LBB88_17
; %bb.23:                               ;   in Loop: Header=BB88_19 Depth=3
	v_add_f64 v[6:7], v[8:9], -v[4:5]
	s_mov_b32 s63, s49
	s_mov_b32 s64, s12
	;; [unrolled: 1-line block ×3, first 2 shown]
	s_delay_alu instid0(VALU_DEP_1) | instskip(SKIP_2) | instid1(VALU_DEP_3)
	v_mul_f64 v[8:9], v[6:7], s[10:11]
	v_cmp_nlt_f64_e64 s4, 0x40900000, v[6:7]
	v_cmp_ngt_f64_e64 s5, 0xc090cc00, v[6:7]
	v_rndne_f64_e32 v[8:9], v[8:9]
	s_delay_alu instid0(VALU_DEP_1) | instskip(SKIP_1) | instid1(VALU_DEP_2)
	v_fma_f64 v[23:24], v[8:9], s[12:13], v[6:7]
	v_cvt_i32_f64_e32 v27, v[8:9]
	v_fma_f64 v[23:24], v[8:9], s[24:25], v[23:24]
	s_delay_alu instid0(VALU_DEP_1) | instskip(NEXT) | instid1(VALU_DEP_1)
	v_fma_f64 v[25:26], v[23:24], s[28:29], s[26:27]
	v_fma_f64 v[25:26], v[23:24], v[25:26], s[30:31]
	s_delay_alu instid0(VALU_DEP_1) | instskip(NEXT) | instid1(VALU_DEP_1)
	v_fma_f64 v[25:26], v[23:24], v[25:26], s[34:35]
	;; [unrolled: 3-line block ×5, first 2 shown]
	v_fma_f64 v[25:26], v[23:24], v[25:26], 1.0
	s_delay_alu instid0(VALU_DEP_1) | instskip(NEXT) | instid1(VALU_DEP_1)
	v_fma_f64 v[8:9], v[23:24], v[25:26], 1.0
	v_ldexp_f64 v[8:9], v[8:9], v27
	s_delay_alu instid0(VALU_DEP_1)
	v_cndmask_b32_e64 v9, 0x7ff00000, v9, s4
	s_and_b32 s4, s5, s4
	s_delay_alu instid0(VALU_DEP_2) | instid1(SALU_CYCLE_1)
	v_cndmask_b32_e64 v6, 0, v8, s4
	s_delay_alu instid0(VALU_DEP_2) | instskip(NEXT) | instid1(VALU_DEP_1)
	v_cndmask_b32_e64 v7, 0, v9, s5
	v_add_f64 v[8:9], v[6:7], 1.0
	s_delay_alu instid0(VALU_DEP_1) | instskip(SKIP_2) | instid1(VALU_DEP_3)
	v_frexp_mant_f64_e32 v[23:24], v[8:9]
	v_frexp_exp_i32_f64_e32 v27, v[8:9]
	v_add_f64 v[25:26], v[8:9], -1.0
	v_cmp_gt_f64_e64 s4, s[48:49], v[23:24]
	s_delay_alu instid0(VALU_DEP_2) | instskip(SKIP_1) | instid1(VALU_DEP_3)
	v_add_f64 v[23:24], v[25:26], -v[8:9]
	v_add_f64 v[25:26], v[6:7], -v[25:26]
	v_subrev_co_ci_u32_e64 v43, s4, 0, v27, s4
	s_delay_alu instid0(VALU_DEP_3) | instskip(SKIP_1) | instid1(VALU_DEP_3)
	v_add_f64 v[23:24], v[23:24], 1.0
	v_cmp_eq_f64_e64 s4, 0x7ff00000, v[6:7]
	v_sub_nc_u32_e32 v29, 0, v43
	s_delay_alu instid0(VALU_DEP_1) | instskip(NEXT) | instid1(VALU_DEP_4)
	v_ldexp_f64 v[8:9], v[8:9], v29
	v_add_f64 v[23:24], v[25:26], v[23:24]
	s_delay_alu instid0(VALU_DEP_2) | instskip(SKIP_1) | instid1(VALU_DEP_3)
	v_add_f64 v[27:28], v[8:9], 1.0
	v_add_f64 v[33:34], v[8:9], -1.0
	v_ldexp_f64 v[23:24], v[23:24], v29
	s_delay_alu instid0(VALU_DEP_3) | instskip(NEXT) | instid1(VALU_DEP_3)
	v_add_f64 v[25:26], v[27:28], -1.0
	v_add_f64 v[35:36], v[33:34], 1.0
	s_delay_alu instid0(VALU_DEP_2) | instskip(NEXT) | instid1(VALU_DEP_2)
	v_add_f64 v[25:26], v[8:9], -v[25:26]
	v_add_f64 v[8:9], v[8:9], -v[35:36]
	s_delay_alu instid0(VALU_DEP_2) | instskip(NEXT) | instid1(VALU_DEP_2)
	v_add_f64 v[25:26], v[23:24], v[25:26]
	v_add_f64 v[8:9], v[23:24], v[8:9]
	s_delay_alu instid0(VALU_DEP_2) | instskip(NEXT) | instid1(VALU_DEP_2)
	v_add_f64 v[29:30], v[27:28], v[25:26]
	v_add_f64 v[35:36], v[33:34], v[8:9]
	s_delay_alu instid0(VALU_DEP_2) | instskip(SKIP_1) | instid1(VALU_DEP_2)
	v_rcp_f64_e32 v[31:32], v[29:30]
	v_add_f64 v[27:28], v[29:30], -v[27:28]
	v_add_f64 v[33:34], v[35:36], -v[33:34]
	s_delay_alu instid0(VALU_DEP_2) | instskip(SKIP_3) | instid1(VALU_DEP_2)
	v_add_f64 v[25:26], v[25:26], -v[27:28]
	s_waitcnt_depctr 0xfff
	v_fma_f64 v[37:38], -v[29:30], v[31:32], 1.0
	v_add_f64 v[8:9], v[8:9], -v[33:34]
	v_fma_f64 v[31:32], v[37:38], v[31:32], v[31:32]
	s_delay_alu instid0(VALU_DEP_1) | instskip(NEXT) | instid1(VALU_DEP_1)
	v_fma_f64 v[23:24], -v[29:30], v[31:32], 1.0
	v_fma_f64 v[23:24], v[23:24], v[31:32], v[31:32]
	s_delay_alu instid0(VALU_DEP_1) | instskip(NEXT) | instid1(VALU_DEP_1)
	v_mul_f64 v[31:32], v[35:36], v[23:24]
	v_mul_f64 v[37:38], v[29:30], v[31:32]
	s_delay_alu instid0(VALU_DEP_1) | instskip(NEXT) | instid1(VALU_DEP_1)
	v_fma_f64 v[27:28], v[31:32], v[29:30], -v[37:38]
	v_fma_f64 v[27:28], v[31:32], v[25:26], v[27:28]
	s_delay_alu instid0(VALU_DEP_1) | instskip(NEXT) | instid1(VALU_DEP_1)
	v_add_f64 v[39:40], v[37:38], v[27:28]
	v_add_f64 v[41:42], v[35:36], -v[39:40]
	v_add_f64 v[33:34], v[39:40], -v[37:38]
	s_delay_alu instid0(VALU_DEP_2) | instskip(NEXT) | instid1(VALU_DEP_2)
	v_add_f64 v[35:36], v[35:36], -v[41:42]
	v_add_f64 v[27:28], v[33:34], -v[27:28]
	s_delay_alu instid0(VALU_DEP_2) | instskip(NEXT) | instid1(VALU_DEP_1)
	v_add_f64 v[35:36], v[35:36], -v[39:40]
	v_add_f64 v[8:9], v[8:9], v[35:36]
	s_delay_alu instid0(VALU_DEP_1) | instskip(NEXT) | instid1(VALU_DEP_1)
	v_add_f64 v[8:9], v[27:28], v[8:9]
	v_add_f64 v[27:28], v[41:42], v[8:9]
	s_delay_alu instid0(VALU_DEP_1) | instskip(SKIP_1) | instid1(VALU_DEP_2)
	v_mul_f64 v[33:34], v[23:24], v[27:28]
	v_add_f64 v[39:40], v[41:42], -v[27:28]
	v_mul_f64 v[35:36], v[29:30], v[33:34]
	s_delay_alu instid0(VALU_DEP_2) | instskip(NEXT) | instid1(VALU_DEP_2)
	v_add_f64 v[8:9], v[8:9], v[39:40]
	v_fma_f64 v[29:30], v[33:34], v[29:30], -v[35:36]
	s_delay_alu instid0(VALU_DEP_1) | instskip(NEXT) | instid1(VALU_DEP_1)
	v_fma_f64 v[25:26], v[33:34], v[25:26], v[29:30]
	v_add_f64 v[29:30], v[35:36], v[25:26]
	s_delay_alu instid0(VALU_DEP_1) | instskip(SKIP_1) | instid1(VALU_DEP_2)
	v_add_f64 v[37:38], v[27:28], -v[29:30]
	v_add_f64 v[35:36], v[29:30], -v[35:36]
	;; [unrolled: 1-line block ×3, first 2 shown]
	s_delay_alu instid0(VALU_DEP_2) | instskip(NEXT) | instid1(VALU_DEP_2)
	v_add_f64 v[25:26], v[35:36], -v[25:26]
	v_add_f64 v[27:28], v[27:28], -v[29:30]
	s_delay_alu instid0(VALU_DEP_1) | instskip(SKIP_1) | instid1(VALU_DEP_2)
	v_add_f64 v[8:9], v[8:9], v[27:28]
	v_add_f64 v[27:28], v[31:32], v[33:34]
	;; [unrolled: 1-line block ×3, first 2 shown]
	s_delay_alu instid0(VALU_DEP_2) | instskip(NEXT) | instid1(VALU_DEP_2)
	v_add_f64 v[25:26], v[27:28], -v[31:32]
	v_add_f64 v[8:9], v[37:38], v[8:9]
	s_delay_alu instid0(VALU_DEP_2) | instskip(NEXT) | instid1(VALU_DEP_2)
	v_add_f64 v[25:26], v[33:34], -v[25:26]
	v_mul_f64 v[8:9], v[23:24], v[8:9]
	s_delay_alu instid0(VALU_DEP_1) | instskip(NEXT) | instid1(VALU_DEP_1)
	v_add_f64 v[8:9], v[25:26], v[8:9]
	v_add_f64 v[23:24], v[27:28], v[8:9]
	s_delay_alu instid0(VALU_DEP_1) | instskip(NEXT) | instid1(VALU_DEP_1)
	v_mul_f64 v[25:26], v[23:24], v[23:24]
	v_fma_f64 v[29:30], v[25:26], s[52:53], s[50:51]
	v_mul_f64 v[31:32], v[23:24], v[25:26]
	s_delay_alu instid0(VALU_DEP_2) | instskip(NEXT) | instid1(VALU_DEP_1)
	v_fma_f64 v[29:30], v[25:26], v[29:30], s[54:55]
	v_fma_f64 v[29:30], v[25:26], v[29:30], s[56:57]
	s_delay_alu instid0(VALU_DEP_1) | instskip(NEXT) | instid1(VALU_DEP_1)
	v_fma_f64 v[29:30], v[25:26], v[29:30], s[58:59]
	v_fma_f64 v[29:30], v[25:26], v[29:30], s[60:61]
	s_delay_alu instid0(VALU_DEP_1) | instskip(SKIP_2) | instid1(VALU_DEP_3)
	v_fma_f64 v[25:26], v[25:26], v[29:30], s[62:63]
	v_ldexp_f64 v[29:30], v[23:24], 1
	v_add_f64 v[23:24], v[23:24], -v[27:28]
	v_mul_f64 v[25:26], v[31:32], v[25:26]
	v_cvt_f64_i32_e32 v[31:32], v43
	s_delay_alu instid0(VALU_DEP_3) | instskip(NEXT) | instid1(VALU_DEP_3)
	v_add_f64 v[8:9], v[8:9], -v[23:24]
	v_add_f64 v[27:28], v[29:30], v[25:26]
	s_delay_alu instid0(VALU_DEP_3) | instskip(NEXT) | instid1(VALU_DEP_3)
	v_mul_f64 v[33:34], v[31:32], s[64:65]
	v_ldexp_f64 v[8:9], v[8:9], 1
	s_delay_alu instid0(VALU_DEP_3) | instskip(NEXT) | instid1(VALU_DEP_3)
	v_add_f64 v[23:24], v[27:28], -v[29:30]
	v_fma_f64 v[29:30], v[31:32], s[64:65], -v[33:34]
	s_delay_alu instid0(VALU_DEP_2) | instskip(NEXT) | instid1(VALU_DEP_2)
	v_add_f64 v[23:24], v[25:26], -v[23:24]
	v_fma_f64 v[25:26], v[31:32], s[66:67], v[29:30]
	s_delay_alu instid0(VALU_DEP_2) | instskip(NEXT) | instid1(VALU_DEP_2)
	v_add_f64 v[8:9], v[8:9], v[23:24]
	v_add_f64 v[23:24], v[33:34], v[25:26]
	s_delay_alu instid0(VALU_DEP_2) | instskip(NEXT) | instid1(VALU_DEP_2)
	v_add_f64 v[29:30], v[27:28], v[8:9]
	v_add_f64 v[33:34], v[23:24], -v[33:34]
	s_delay_alu instid0(VALU_DEP_2) | instskip(SKIP_1) | instid1(VALU_DEP_3)
	v_add_f64 v[31:32], v[23:24], v[29:30]
	v_add_f64 v[27:28], v[29:30], -v[27:28]
	v_add_f64 v[25:26], v[25:26], -v[33:34]
	s_delay_alu instid0(VALU_DEP_3) | instskip(NEXT) | instid1(VALU_DEP_3)
	v_add_f64 v[35:36], v[31:32], -v[23:24]
	v_add_f64 v[8:9], v[8:9], -v[27:28]
	s_delay_alu instid0(VALU_DEP_2) | instskip(SKIP_1) | instid1(VALU_DEP_3)
	v_add_f64 v[37:38], v[31:32], -v[35:36]
	v_add_f64 v[27:28], v[29:30], -v[35:36]
	v_add_f64 v[29:30], v[25:26], v[8:9]
	s_delay_alu instid0(VALU_DEP_3) | instskip(NEXT) | instid1(VALU_DEP_1)
	v_add_f64 v[23:24], v[23:24], -v[37:38]
	v_add_f64 v[23:24], v[27:28], v[23:24]
	s_delay_alu instid0(VALU_DEP_3) | instskip(NEXT) | instid1(VALU_DEP_2)
	v_add_f64 v[27:28], v[29:30], -v[25:26]
	v_add_f64 v[23:24], v[29:30], v[23:24]
	s_delay_alu instid0(VALU_DEP_2) | instskip(SKIP_1) | instid1(VALU_DEP_3)
	v_add_f64 v[29:30], v[29:30], -v[27:28]
	v_add_f64 v[8:9], v[8:9], -v[27:28]
	v_add_f64 v[33:34], v[31:32], v[23:24]
	s_delay_alu instid0(VALU_DEP_3) | instskip(NEXT) | instid1(VALU_DEP_2)
	v_add_f64 v[25:26], v[25:26], -v[29:30]
	v_add_f64 v[27:28], v[33:34], -v[31:32]
	s_delay_alu instid0(VALU_DEP_2) | instskip(NEXT) | instid1(VALU_DEP_2)
	v_add_f64 v[8:9], v[8:9], v[25:26]
	v_add_f64 v[23:24], v[23:24], -v[27:28]
	s_delay_alu instid0(VALU_DEP_1) | instskip(NEXT) | instid1(VALU_DEP_1)
	v_add_f64 v[8:9], v[8:9], v[23:24]
	v_add_f64 v[8:9], v[33:34], v[8:9]
	s_delay_alu instid0(VALU_DEP_1) | instskip(NEXT) | instid1(VALU_DEP_2)
	v_cndmask_b32_e64 v8, v8, v6, s4
	v_cndmask_b32_e64 v9, v9, v7, s4
	v_cmp_ngt_f64_e64 s4, -1.0, v[6:7]
	s_delay_alu instid0(VALU_DEP_1) | instskip(SKIP_1) | instid1(VALU_DEP_1)
	v_cndmask_b32_e64 v9, 0x7ff80000, v9, s4
	v_cmp_nge_f64_e64 s4, -1.0, v[6:7]
	v_cndmask_b32_e64 v8, 0, v8, s4
	v_cmp_neq_f64_e64 s4, -1.0, v[6:7]
	s_delay_alu instid0(VALU_DEP_1) | instskip(NEXT) | instid1(VALU_DEP_1)
	v_cndmask_b32_e64 v9, 0xfff00000, v9, s4
	v_add_f64 v[6:7], v[4:5], v[8:9]
	s_branch .LBB88_17
.LBB88_24:                              ;   in Loop: Header=BB88_7 Depth=2
	s_or_b32 exec_lo, exec_lo, s71
	s_and_saveexec_b32 s5, vcc_lo
	s_cbranch_execz .LBB88_6
; %bb.25:                               ;   in Loop: Header=BB88_7 Depth=2
	s_mov_b32 s63, exec_lo
	v_cmpx_gt_u32_e64 s21, v1
	s_cbranch_execz .LBB88_27
; %bb.26:                               ;   in Loop: Header=BB88_7 Depth=2
	ds_load_b64 v[4:5], v16
	v_lshlrev_b64 v[6:7], 3, v[1:2]
	s_delay_alu instid0(VALU_DEP_1) | instskip(NEXT) | instid1(VALU_DEP_1)
	v_add_co_u32 v6, s4, v21, v6
	v_add_co_ci_u32_e64 v7, s4, v22, v7, s4
	s_waitcnt lgkmcnt(0)
	global_store_b64 v[6:7], v[4:5], off
.LBB88_27:                              ;   in Loop: Header=BB88_7 Depth=2
	s_or_b32 exec_lo, exec_lo, s63
	v_cmp_gt_u32_e64 s4, s21, v3
	s_delay_alu instid0(VALU_DEP_1)
	s_and_b32 exec_lo, exec_lo, s4
	s_cbranch_execz .LBB88_6
; %bb.28:                               ;   in Loop: Header=BB88_7 Depth=2
	ds_load_b64 v[5:6], v18
	v_mov_b32_e32 v4, v2
	s_delay_alu instid0(VALU_DEP_1) | instskip(NEXT) | instid1(VALU_DEP_1)
	v_lshlrev_b64 v[3:4], 3, v[3:4]
	v_add_co_u32 v3, s4, v21, v3
	s_delay_alu instid0(VALU_DEP_1)
	v_add_co_ci_u32_e64 v4, s4, v22, v4, s4
	s_waitcnt lgkmcnt(0)
	global_store_b64 v[3:4], v[5:6], off
	s_branch .LBB88_6
.LBB88_29:
	s_mov_b32 s2, 0
.LBB88_30:
	s_delay_alu instid0(SALU_CYCLE_1)
	s_and_not1_b32 vcc_lo, exec_lo, s2
	s_cbranch_vccnz .LBB88_61
; %bb.31:
	s_load_b32 s2, s[0:1], 0x3c
	s_add_u32 s0, s0, 48
	s_addc_u32 s1, s1, 0
	s_mov_b32 s9, 0
	s_waitcnt lgkmcnt(0)
	s_lshr_b32 s2, s2, 16
	s_delay_alu instid0(SALU_CYCLE_1) | instskip(SKIP_1) | instid1(SALU_CYCLE_1)
	s_mul_hi_u32 s5, s2, s15
	s_mul_i32 s4, s2, s15
	v_cmp_ge_u64_e64 s3, s[4:5], s[8:9]
	s_delay_alu instid0(VALU_DEP_1)
	s_and_b32 vcc_lo, exec_lo, s3
	s_cbranch_vccnz .LBB88_61
; %bb.32:
	s_load_b32 s1, s[0:1], 0x0
	v_dual_mov_b32 v1, 0 :: v_dual_and_b32 v0, 0x3ff, v0
	s_lshl_b32 s10, 1, s22
	s_and_b32 s2, 0xffff, s2
	s_ashr_i32 s11, s10, 31
	s_cmp_lg_u32 s21, 0
	v_lshl_add_u32 v14, v0, 3, v13
	s_mov_b32 s12, s21
	s_cselect_b32 s33, -1, 0
	s_lshl_b64 s[20:21], s[10:11], 1
	v_cmp_eq_u32_e64 s0, 0, v0
	s_lshl_b32 s3, s20, 3
	v_lshl_add_u32 v16, s10, 3, v14
	v_add3_u32 v15, v13, s3, -8
	s_mov_b32 s14, 0x652b82fe
	s_add_i32 s70, s22, 1
	s_mov_b32 s22, 0xfefa39ef
	s_mov_b32 s24, 0x3b39803f
	;; [unrolled: 1-line block ×21, first 2 shown]
	s_waitcnt lgkmcnt(0)
	s_mul_i32 s71, s1, s2
	s_mov_b32 s23, 0xbfe62e42
	s_mov_b32 s25, 0xbc7abc9e
	;; [unrolled: 1-line block ×22, first 2 shown]
	s_branch .LBB88_34
.LBB88_33:                              ;   in Loop: Header=BB88_34 Depth=1
	s_add_u32 s4, s4, s71
	s_addc_u32 s5, s5, 0
	s_delay_alu instid0(SALU_CYCLE_1) | instskip(NEXT) | instid1(VALU_DEP_1)
	v_cmp_ge_u64_e64 s1, s[4:5], s[8:9]
	s_and_b32 vcc_lo, exec_lo, s1
	s_cbranch_vccnz .LBB88_61
.LBB88_34:                              ; =>This Loop Header: Depth=1
                                        ;     Child Loop BB88_37 Depth 2
                                        ;       Child Loop BB88_49 Depth 3
	s_and_not1_b32 vcc_lo, exec_lo, s33
	s_cbranch_vccnz .LBB88_33
; %bb.35:                               ;   in Loop: Header=BB88_34 Depth=1
	v_add_co_u32 v2, s1, s4, v12
	s_delay_alu instid0(VALU_DEP_1) | instskip(SKIP_1) | instid1(VALU_DEP_2)
	v_add_co_ci_u32_e64 v3, null, s5, 0, s1
	s_mov_b64 s[68:69], 0
	v_mad_u64_u32 v[4:5], null, v2, s12, 0
	s_delay_alu instid0(VALU_DEP_2) | instskip(SKIP_1) | instid1(VALU_DEP_3)
	v_cmp_gt_u64_e64 s1, s[8:9], v[2:3]
	v_cmp_le_u64_e64 s2, s[8:9], v[2:3]
	v_mad_u64_u32 v[6:7], null, v3, s12, v[5:6]
	s_delay_alu instid0(VALU_DEP_1) | instskip(SKIP_1) | instid1(VALU_DEP_2)
	v_dual_mov_b32 v5, v6 :: v_dual_mov_b32 v6, s6
	v_mov_b32_e32 v7, s7
	v_lshlrev_b64 v[4:5], 3, v[4:5]
	s_delay_alu instid0(VALU_DEP_1) | instskip(NEXT) | instid1(VALU_DEP_2)
	v_add_co_u32 v17, vcc_lo, s18, v4
	v_add_co_ci_u32_e32 v18, vcc_lo, s19, v5, vcc_lo
	v_add_co_u32 v19, vcc_lo, s16, v4
	v_add_co_ci_u32_e32 v20, vcc_lo, s17, v5, vcc_lo
	s_branch .LBB88_37
.LBB88_36:                              ;   in Loop: Header=BB88_37 Depth=2
	s_or_b32 exec_lo, exec_lo, s3
	ds_load_b64 v[6:7], v15
	s_add_u32 s68, s68, s20
	s_addc_u32 s69, s69, s21
	s_waitcnt lgkmcnt(0)
	s_waitcnt_vscnt null, 0x0
	v_cmp_ge_u64_e64 s3, s[68:69], s[12:13]
	s_barrier
	buffer_gl0_inv
	s_and_b32 vcc_lo, exec_lo, s3
	s_cbranch_vccnz .LBB88_33
.LBB88_37:                              ;   Parent Loop BB88_34 Depth=1
                                        ; =>  This Loop Header: Depth=2
                                        ;       Child Loop BB88_49 Depth 3
	v_add_co_u32 v4, s3, s68, v0
	s_delay_alu instid0(VALU_DEP_1) | instskip(NEXT) | instid1(VALU_DEP_2)
	v_add_co_ci_u32_e64 v5, null, s69, 0, s3
	v_add_co_u32 v2, vcc_lo, v4, s10
	s_delay_alu instid0(VALU_DEP_2)
	v_add_co_ci_u32_e32 v3, vcc_lo, s11, v5, vcc_lo
	s_and_saveexec_b32 s72, s1
	s_cbranch_execz .LBB88_46
; %bb.38:                               ;   in Loop: Header=BB88_37 Depth=2
	v_dual_mov_b32 v9, s7 :: v_dual_mov_b32 v8, s6
	s_mov_b32 s3, exec_lo
	v_cmpx_gt_u64_e64 s[12:13], v[4:5]
	s_cbranch_execz .LBB88_40
; %bb.39:                               ;   in Loop: Header=BB88_37 Depth=2
	v_lshlrev_b64 v[8:9], 3, v[4:5]
	s_delay_alu instid0(VALU_DEP_1) | instskip(NEXT) | instid1(VALU_DEP_2)
	v_add_co_u32 v8, vcc_lo, v17, v8
	v_add_co_ci_u32_e32 v9, vcc_lo, v18, v9, vcc_lo
	global_load_b64 v[8:9], v[8:9], off
.LBB88_40:                              ;   in Loop: Header=BB88_37 Depth=2
	s_or_b32 exec_lo, exec_lo, s3
	v_dual_mov_b32 v11, s7 :: v_dual_mov_b32 v10, s6
	s_mov_b32 s3, exec_lo
	s_waitcnt vmcnt(0)
	ds_store_b64 v14, v[8:9]
	v_cmpx_gt_u64_e64 s[12:13], v[2:3]
	s_cbranch_execz .LBB88_42
; %bb.41:                               ;   in Loop: Header=BB88_37 Depth=2
	v_lshlrev_b64 v[8:9], 3, v[2:3]
	s_delay_alu instid0(VALU_DEP_1) | instskip(NEXT) | instid1(VALU_DEP_2)
	v_add_co_u32 v8, vcc_lo, v17, v8
	v_add_co_ci_u32_e32 v9, vcc_lo, v18, v9, vcc_lo
	global_load_b64 v[10:11], v[8:9], off
.LBB88_42:                              ;   in Loop: Header=BB88_37 Depth=2
	s_or_b32 exec_lo, exec_lo, s3
	s_waitcnt vmcnt(0)
	ds_store_b64 v16, v[10:11]
	s_and_b32 exec_lo, exec_lo, s0
	s_cbranch_execz .LBB88_46
; %bb.43:                               ;   in Loop: Header=BB88_37 Depth=2
	ds_load_b64 v[8:9], v13
	v_max_f64 v[10:11], v[6:7], v[6:7]
	v_cmp_u_f64_e64 s3, v[6:7], v[6:7]
	s_waitcnt lgkmcnt(0)
	v_max_f64 v[21:22], v[8:9], v[8:9]
	v_cmp_u_f64_e32 vcc_lo, v[8:9], v[8:9]
	s_delay_alu instid0(VALU_DEP_2) | instskip(SKIP_1) | instid1(VALU_DEP_2)
	v_min_f64 v[23:24], v[21:22], v[10:11]
	v_max_f64 v[10:11], v[21:22], v[10:11]
	v_dual_cndmask_b32 v21, v23, v8 :: v_dual_cndmask_b32 v22, v24, v9
	s_delay_alu instid0(VALU_DEP_2) | instskip(NEXT) | instid1(VALU_DEP_2)
	v_dual_cndmask_b32 v23, v11, v9 :: v_dual_cndmask_b32 v24, v10, v8
	v_cndmask_b32_e64 v10, v21, v6, s3
	s_delay_alu instid0(VALU_DEP_3) | instskip(NEXT) | instid1(VALU_DEP_3)
	v_cndmask_b32_e64 v11, v22, v7, s3
	v_cndmask_b32_e64 v7, v23, v7, s3
	s_delay_alu instid0(VALU_DEP_4) | instskip(NEXT) | instid1(VALU_DEP_3)
	v_cndmask_b32_e64 v6, v24, v6, s3
	v_cmp_class_f64_e64 s3, v[10:11], 0x1f8
	s_delay_alu instid0(VALU_DEP_2) | instskip(NEXT) | instid1(VALU_DEP_2)
	v_cmp_neq_f64_e32 vcc_lo, v[10:11], v[6:7]
	s_or_b32 s3, vcc_lo, s3
	s_delay_alu instid0(SALU_CYCLE_1)
	s_and_saveexec_b32 s73, s3
	s_cbranch_execz .LBB88_45
; %bb.44:                               ;   in Loop: Header=BB88_37 Depth=2
	v_add_f64 v[8:9], v[10:11], -v[6:7]
	s_mov_b32 s63, s49
	s_mov_b32 s64, s22
	;; [unrolled: 1-line block ×3, first 2 shown]
	s_delay_alu instid0(VALU_DEP_1) | instskip(SKIP_2) | instid1(VALU_DEP_3)
	v_mul_f64 v[10:11], v[8:9], s[14:15]
	v_cmp_nlt_f64_e32 vcc_lo, 0x40900000, v[8:9]
	v_cmp_ngt_f64_e64 s3, 0xc090cc00, v[8:9]
	v_rndne_f64_e32 v[10:11], v[10:11]
	s_delay_alu instid0(VALU_DEP_1) | instskip(SKIP_1) | instid1(VALU_DEP_2)
	v_fma_f64 v[21:22], v[10:11], s[22:23], v[8:9]
	v_cvt_i32_f64_e32 v25, v[10:11]
	v_fma_f64 v[21:22], v[10:11], s[24:25], v[21:22]
	s_delay_alu instid0(VALU_DEP_1) | instskip(NEXT) | instid1(VALU_DEP_1)
	v_fma_f64 v[23:24], v[21:22], s[28:29], s[26:27]
	v_fma_f64 v[23:24], v[21:22], v[23:24], s[30:31]
	s_delay_alu instid0(VALU_DEP_1) | instskip(NEXT) | instid1(VALU_DEP_1)
	v_fma_f64 v[23:24], v[21:22], v[23:24], s[34:35]
	;; [unrolled: 3-line block ×5, first 2 shown]
	v_fma_f64 v[23:24], v[21:22], v[23:24], 1.0
	s_delay_alu instid0(VALU_DEP_1) | instskip(NEXT) | instid1(VALU_DEP_1)
	v_fma_f64 v[10:11], v[21:22], v[23:24], 1.0
	v_ldexp_f64 v[10:11], v[10:11], v25
	s_delay_alu instid0(VALU_DEP_1) | instskip(SKIP_1) | instid1(VALU_DEP_1)
	v_cndmask_b32_e32 v11, 0x7ff00000, v11, vcc_lo
	s_and_b32 vcc_lo, s3, vcc_lo
	v_cndmask_b32_e64 v9, 0, v11, s3
	s_delay_alu instid0(VALU_DEP_3) | instskip(NEXT) | instid1(VALU_DEP_1)
	v_cndmask_b32_e32 v8, 0, v10, vcc_lo
	v_add_f64 v[10:11], v[8:9], 1.0
	s_delay_alu instid0(VALU_DEP_1) | instskip(SKIP_2) | instid1(VALU_DEP_3)
	v_frexp_mant_f64_e32 v[21:22], v[10:11]
	v_frexp_exp_i32_f64_e32 v25, v[10:11]
	v_add_f64 v[23:24], v[10:11], -1.0
	v_cmp_gt_f64_e32 vcc_lo, s[48:49], v[21:22]
	s_delay_alu instid0(VALU_DEP_2) | instskip(SKIP_2) | instid1(VALU_DEP_3)
	v_add_f64 v[21:22], v[23:24], -v[10:11]
	v_add_f64 v[23:24], v[8:9], -v[23:24]
	v_subrev_co_ci_u32_e32 v41, vcc_lo, 0, v25, vcc_lo
	v_add_f64 v[21:22], v[21:22], 1.0
	v_cmp_eq_f64_e32 vcc_lo, 0x7ff00000, v[8:9]
	s_delay_alu instid0(VALU_DEP_3) | instskip(NEXT) | instid1(VALU_DEP_1)
	v_sub_nc_u32_e32 v27, 0, v41
	v_ldexp_f64 v[10:11], v[10:11], v27
	s_delay_alu instid0(VALU_DEP_4) | instskip(NEXT) | instid1(VALU_DEP_2)
	v_add_f64 v[21:22], v[23:24], v[21:22]
	v_add_f64 v[25:26], v[10:11], 1.0
	v_add_f64 v[31:32], v[10:11], -1.0
	s_delay_alu instid0(VALU_DEP_3) | instskip(NEXT) | instid1(VALU_DEP_3)
	v_ldexp_f64 v[21:22], v[21:22], v27
	v_add_f64 v[23:24], v[25:26], -1.0
	s_delay_alu instid0(VALU_DEP_3) | instskip(NEXT) | instid1(VALU_DEP_2)
	v_add_f64 v[33:34], v[31:32], 1.0
	v_add_f64 v[23:24], v[10:11], -v[23:24]
	s_delay_alu instid0(VALU_DEP_2) | instskip(NEXT) | instid1(VALU_DEP_2)
	v_add_f64 v[10:11], v[10:11], -v[33:34]
	v_add_f64 v[23:24], v[21:22], v[23:24]
	s_delay_alu instid0(VALU_DEP_2) | instskip(NEXT) | instid1(VALU_DEP_2)
	v_add_f64 v[10:11], v[21:22], v[10:11]
	v_add_f64 v[27:28], v[25:26], v[23:24]
	s_delay_alu instid0(VALU_DEP_2) | instskip(NEXT) | instid1(VALU_DEP_2)
	v_add_f64 v[33:34], v[31:32], v[10:11]
	v_rcp_f64_e32 v[29:30], v[27:28]
	v_add_f64 v[25:26], v[27:28], -v[25:26]
	s_delay_alu instid0(VALU_DEP_2) | instskip(NEXT) | instid1(VALU_DEP_2)
	v_add_f64 v[31:32], v[33:34], -v[31:32]
	v_add_f64 v[23:24], v[23:24], -v[25:26]
	s_waitcnt_depctr 0xfff
	v_fma_f64 v[35:36], -v[27:28], v[29:30], 1.0
	v_add_f64 v[10:11], v[10:11], -v[31:32]
	s_delay_alu instid0(VALU_DEP_2) | instskip(NEXT) | instid1(VALU_DEP_1)
	v_fma_f64 v[29:30], v[35:36], v[29:30], v[29:30]
	v_fma_f64 v[21:22], -v[27:28], v[29:30], 1.0
	s_delay_alu instid0(VALU_DEP_1) | instskip(NEXT) | instid1(VALU_DEP_1)
	v_fma_f64 v[21:22], v[21:22], v[29:30], v[29:30]
	v_mul_f64 v[29:30], v[33:34], v[21:22]
	s_delay_alu instid0(VALU_DEP_1) | instskip(NEXT) | instid1(VALU_DEP_1)
	v_mul_f64 v[35:36], v[27:28], v[29:30]
	v_fma_f64 v[25:26], v[29:30], v[27:28], -v[35:36]
	s_delay_alu instid0(VALU_DEP_1) | instskip(NEXT) | instid1(VALU_DEP_1)
	v_fma_f64 v[25:26], v[29:30], v[23:24], v[25:26]
	v_add_f64 v[37:38], v[35:36], v[25:26]
	s_delay_alu instid0(VALU_DEP_1) | instskip(SKIP_1) | instid1(VALU_DEP_2)
	v_add_f64 v[39:40], v[33:34], -v[37:38]
	v_add_f64 v[31:32], v[37:38], -v[35:36]
	;; [unrolled: 1-line block ×3, first 2 shown]
	s_delay_alu instid0(VALU_DEP_2) | instskip(NEXT) | instid1(VALU_DEP_2)
	v_add_f64 v[25:26], v[31:32], -v[25:26]
	v_add_f64 v[33:34], v[33:34], -v[37:38]
	s_delay_alu instid0(VALU_DEP_1) | instskip(NEXT) | instid1(VALU_DEP_1)
	v_add_f64 v[10:11], v[10:11], v[33:34]
	v_add_f64 v[10:11], v[25:26], v[10:11]
	s_delay_alu instid0(VALU_DEP_1) | instskip(NEXT) | instid1(VALU_DEP_1)
	v_add_f64 v[25:26], v[39:40], v[10:11]
	v_mul_f64 v[31:32], v[21:22], v[25:26]
	v_add_f64 v[37:38], v[39:40], -v[25:26]
	s_delay_alu instid0(VALU_DEP_2) | instskip(NEXT) | instid1(VALU_DEP_2)
	v_mul_f64 v[33:34], v[27:28], v[31:32]
	v_add_f64 v[10:11], v[10:11], v[37:38]
	s_delay_alu instid0(VALU_DEP_2) | instskip(NEXT) | instid1(VALU_DEP_1)
	v_fma_f64 v[27:28], v[31:32], v[27:28], -v[33:34]
	v_fma_f64 v[23:24], v[31:32], v[23:24], v[27:28]
	s_delay_alu instid0(VALU_DEP_1) | instskip(NEXT) | instid1(VALU_DEP_1)
	v_add_f64 v[27:28], v[33:34], v[23:24]
	v_add_f64 v[35:36], v[25:26], -v[27:28]
	v_add_f64 v[33:34], v[27:28], -v[33:34]
	s_delay_alu instid0(VALU_DEP_2) | instskip(NEXT) | instid1(VALU_DEP_2)
	v_add_f64 v[25:26], v[25:26], -v[35:36]
	v_add_f64 v[23:24], v[33:34], -v[23:24]
	s_delay_alu instid0(VALU_DEP_2) | instskip(NEXT) | instid1(VALU_DEP_1)
	v_add_f64 v[25:26], v[25:26], -v[27:28]
	v_add_f64 v[10:11], v[10:11], v[25:26]
	v_add_f64 v[25:26], v[29:30], v[31:32]
	s_delay_alu instid0(VALU_DEP_2) | instskip(NEXT) | instid1(VALU_DEP_2)
	v_add_f64 v[10:11], v[23:24], v[10:11]
	v_add_f64 v[23:24], v[25:26], -v[29:30]
	s_delay_alu instid0(VALU_DEP_2) | instskip(NEXT) | instid1(VALU_DEP_2)
	v_add_f64 v[10:11], v[35:36], v[10:11]
	v_add_f64 v[23:24], v[31:32], -v[23:24]
	s_delay_alu instid0(VALU_DEP_2) | instskip(NEXT) | instid1(VALU_DEP_1)
	v_mul_f64 v[10:11], v[21:22], v[10:11]
	v_add_f64 v[10:11], v[23:24], v[10:11]
	s_delay_alu instid0(VALU_DEP_1) | instskip(NEXT) | instid1(VALU_DEP_1)
	v_add_f64 v[21:22], v[25:26], v[10:11]
	v_mul_f64 v[23:24], v[21:22], v[21:22]
	s_delay_alu instid0(VALU_DEP_1) | instskip(SKIP_1) | instid1(VALU_DEP_2)
	v_fma_f64 v[27:28], v[23:24], s[52:53], s[50:51]
	v_mul_f64 v[29:30], v[21:22], v[23:24]
	v_fma_f64 v[27:28], v[23:24], v[27:28], s[54:55]
	s_delay_alu instid0(VALU_DEP_1) | instskip(NEXT) | instid1(VALU_DEP_1)
	v_fma_f64 v[27:28], v[23:24], v[27:28], s[56:57]
	v_fma_f64 v[27:28], v[23:24], v[27:28], s[58:59]
	s_delay_alu instid0(VALU_DEP_1) | instskip(NEXT) | instid1(VALU_DEP_1)
	v_fma_f64 v[27:28], v[23:24], v[27:28], s[60:61]
	v_fma_f64 v[23:24], v[23:24], v[27:28], s[62:63]
	v_ldexp_f64 v[27:28], v[21:22], 1
	v_add_f64 v[21:22], v[21:22], -v[25:26]
	s_delay_alu instid0(VALU_DEP_3) | instskip(SKIP_1) | instid1(VALU_DEP_3)
	v_mul_f64 v[23:24], v[29:30], v[23:24]
	v_cvt_f64_i32_e32 v[29:30], v41
	v_add_f64 v[10:11], v[10:11], -v[21:22]
	s_delay_alu instid0(VALU_DEP_3) | instskip(NEXT) | instid1(VALU_DEP_3)
	v_add_f64 v[25:26], v[27:28], v[23:24]
	v_mul_f64 v[31:32], v[29:30], s[64:65]
	s_delay_alu instid0(VALU_DEP_3) | instskip(NEXT) | instid1(VALU_DEP_3)
	v_ldexp_f64 v[10:11], v[10:11], 1
	v_add_f64 v[21:22], v[25:26], -v[27:28]
	s_delay_alu instid0(VALU_DEP_3) | instskip(NEXT) | instid1(VALU_DEP_2)
	v_fma_f64 v[27:28], v[29:30], s[64:65], -v[31:32]
	v_add_f64 v[21:22], v[23:24], -v[21:22]
	s_delay_alu instid0(VALU_DEP_2) | instskip(NEXT) | instid1(VALU_DEP_2)
	v_fma_f64 v[23:24], v[29:30], s[66:67], v[27:28]
	v_add_f64 v[10:11], v[10:11], v[21:22]
	s_delay_alu instid0(VALU_DEP_2) | instskip(NEXT) | instid1(VALU_DEP_2)
	v_add_f64 v[21:22], v[31:32], v[23:24]
	v_add_f64 v[27:28], v[25:26], v[10:11]
	s_delay_alu instid0(VALU_DEP_2) | instskip(NEXT) | instid1(VALU_DEP_2)
	v_add_f64 v[31:32], v[21:22], -v[31:32]
	v_add_f64 v[29:30], v[21:22], v[27:28]
	v_add_f64 v[25:26], v[27:28], -v[25:26]
	s_delay_alu instid0(VALU_DEP_3) | instskip(NEXT) | instid1(VALU_DEP_3)
	v_add_f64 v[23:24], v[23:24], -v[31:32]
	v_add_f64 v[33:34], v[29:30], -v[21:22]
	s_delay_alu instid0(VALU_DEP_3) | instskip(NEXT) | instid1(VALU_DEP_2)
	v_add_f64 v[10:11], v[10:11], -v[25:26]
	v_add_f64 v[35:36], v[29:30], -v[33:34]
	v_add_f64 v[25:26], v[27:28], -v[33:34]
	s_delay_alu instid0(VALU_DEP_3) | instskip(NEXT) | instid1(VALU_DEP_3)
	v_add_f64 v[27:28], v[23:24], v[10:11]
	v_add_f64 v[21:22], v[21:22], -v[35:36]
	s_delay_alu instid0(VALU_DEP_1) | instskip(NEXT) | instid1(VALU_DEP_3)
	v_add_f64 v[21:22], v[25:26], v[21:22]
	v_add_f64 v[25:26], v[27:28], -v[23:24]
	s_delay_alu instid0(VALU_DEP_2) | instskip(NEXT) | instid1(VALU_DEP_2)
	v_add_f64 v[21:22], v[27:28], v[21:22]
	v_add_f64 v[27:28], v[27:28], -v[25:26]
	v_add_f64 v[10:11], v[10:11], -v[25:26]
	s_delay_alu instid0(VALU_DEP_3) | instskip(NEXT) | instid1(VALU_DEP_3)
	v_add_f64 v[31:32], v[29:30], v[21:22]
	v_add_f64 v[23:24], v[23:24], -v[27:28]
	s_delay_alu instid0(VALU_DEP_2) | instskip(NEXT) | instid1(VALU_DEP_2)
	v_add_f64 v[25:26], v[31:32], -v[29:30]
	v_add_f64 v[10:11], v[10:11], v[23:24]
	s_delay_alu instid0(VALU_DEP_2) | instskip(NEXT) | instid1(VALU_DEP_1)
	v_add_f64 v[21:22], v[21:22], -v[25:26]
	v_add_f64 v[10:11], v[10:11], v[21:22]
	s_delay_alu instid0(VALU_DEP_1) | instskip(NEXT) | instid1(VALU_DEP_1)
	v_add_f64 v[10:11], v[31:32], v[10:11]
	v_dual_cndmask_b32 v11, v11, v9 :: v_dual_cndmask_b32 v10, v10, v8
	v_cmp_ngt_f64_e32 vcc_lo, -1.0, v[8:9]
	s_delay_alu instid0(VALU_DEP_2) | instskip(SKIP_1) | instid1(VALU_DEP_4)
	v_cndmask_b32_e32 v11, 0x7ff80000, v11, vcc_lo
	v_cmp_nge_f64_e32 vcc_lo, -1.0, v[8:9]
	v_cndmask_b32_e32 v10, 0, v10, vcc_lo
	v_cmp_neq_f64_e32 vcc_lo, -1.0, v[8:9]
	s_delay_alu instid0(VALU_DEP_4) | instskip(NEXT) | instid1(VALU_DEP_1)
	v_cndmask_b32_e32 v11, 0xfff00000, v11, vcc_lo
	v_add_f64 v[8:9], v[6:7], v[10:11]
.LBB88_45:                              ;   in Loop: Header=BB88_37 Depth=2
	s_or_b32 exec_lo, exec_lo, s73
	ds_store_b64 v13, v[8:9]
.LBB88_46:                              ;   in Loop: Header=BB88_37 Depth=2
	s_or_b32 exec_lo, exec_lo, s72
	v_mov_b32_e32 v9, 0
	s_mov_b32 s72, 0
	s_waitcnt lgkmcnt(0)
	s_barrier
	buffer_gl0_inv
	s_branch .LBB88_49
.LBB88_47:                              ;   in Loop: Header=BB88_49 Depth=3
	s_or_b32 exec_lo, exec_lo, s74
	ds_store_b64 v22, v[8:9]
.LBB88_48:                              ;   in Loop: Header=BB88_49 Depth=3
	s_or_b32 exec_lo, exec_lo, s73
	s_delay_alu instid0(VALU_DEP_1)
	v_cmp_eq_u32_e32 vcc_lo, s70, v21
	v_mov_b32_e32 v9, v21
	s_waitcnt lgkmcnt(0)
	s_barrier
	buffer_gl0_inv
	s_or_b32 s72, vcc_lo, s72
	s_delay_alu instid0(SALU_CYCLE_1)
	s_and_not1_b32 exec_lo, exec_lo, s72
	s_cbranch_execz .LBB88_56
.LBB88_49:                              ;   Parent Loop BB88_34 Depth=1
                                        ;     Parent Loop BB88_37 Depth=2
                                        ; =>    This Inner Loop Header: Depth=3
	v_add_nc_u32_e32 v21, 1, v9
	s_and_saveexec_b32 s3, s2
	s_delay_alu instid0(SALU_CYCLE_1)
	s_xor_b32 s3, exec_lo, s3
; %bb.50:                               ;   in Loop: Header=BB88_49 Depth=3
	v_add_nc_u32_e32 v21, 1, v9
                                        ; implicit-def: $vgpr9
; %bb.51:                               ;   in Loop: Header=BB88_49 Depth=3
	s_and_not1_saveexec_b32 s73, s3
	s_cbranch_execz .LBB88_48
; %bb.52:                               ;   in Loop: Header=BB88_49 Depth=3
	v_lshlrev_b32_e64 v6, v9, 1
	s_delay_alu instid0(VALU_DEP_1) | instskip(NEXT) | instid1(VALU_DEP_1)
	v_ashrrev_i32_e32 v7, 31, v6
	v_cmp_ge_u64_e32 vcc_lo, v[0:1], v[6:7]
	v_dual_mov_b32 v8, v1 :: v_dual_mov_b32 v7, v0
	s_and_saveexec_b32 s3, vcc_lo
	s_cbranch_execz .LBB88_54
; %bb.53:                               ;   in Loop: Header=BB88_49 Depth=3
	v_cvt_f32_u32_e32 v7, v6
	v_sub_nc_u32_e32 v8, 0, v6
	s_delay_alu instid0(VALU_DEP_2) | instskip(SKIP_2) | instid1(VALU_DEP_1)
	v_rcp_iflag_f32_e32 v7, v7
	s_waitcnt_depctr 0xfff
	v_mul_f32_e32 v7, 0x4f7ffffe, v7
	v_cvt_u32_f32_e32 v7, v7
	s_delay_alu instid0(VALU_DEP_1) | instskip(NEXT) | instid1(VALU_DEP_1)
	v_mul_lo_u32 v8, v8, v7
	v_mul_hi_u32 v8, v7, v8
	s_delay_alu instid0(VALU_DEP_1) | instskip(NEXT) | instid1(VALU_DEP_1)
	v_add_nc_u32_e32 v7, v7, v8
	v_mul_hi_u32 v7, v0, v7
	s_delay_alu instid0(VALU_DEP_1) | instskip(NEXT) | instid1(VALU_DEP_1)
	v_mul_lo_u32 v7, v7, v6
	v_sub_nc_u32_e32 v7, v0, v7
	s_delay_alu instid0(VALU_DEP_1) | instskip(SKIP_1) | instid1(VALU_DEP_2)
	v_sub_nc_u32_e32 v8, v7, v6
	v_cmp_ge_u32_e32 vcc_lo, v7, v6
	v_cndmask_b32_e32 v7, v7, v8, vcc_lo
	s_delay_alu instid0(VALU_DEP_1) | instskip(SKIP_1) | instid1(VALU_DEP_2)
	v_sub_nc_u32_e32 v8, v7, v6
	v_cmp_ge_u32_e32 vcc_lo, v7, v6
	v_cndmask_b32_e32 v7, v7, v8, vcc_lo
.LBB88_54:                              ;   in Loop: Header=BB88_49 Depth=3
	s_or_b32 exec_lo, exec_lo, s3
	v_lshrrev_b32_e32 v8, v9, v0
	s_delay_alu instid0(VALU_DEP_1) | instskip(NEXT) | instid1(VALU_DEP_1)
	v_lshl_or_b32 v6, v8, v21, v6
	v_lshl_add_u32 v6, v6, 3, v13
	s_delay_alu instid0(VALU_DEP_1)
	v_add_nc_u32_e32 v8, -8, v6
	v_lshl_add_u32 v22, v7, 3, v6
	ds_load_b64 v[6:7], v8
	ds_load_b64 v[8:9], v22
	s_waitcnt lgkmcnt(1)
	v_max_f64 v[10:11], v[6:7], v[6:7]
	s_waitcnt lgkmcnt(0)
	v_max_f64 v[23:24], v[8:9], v[8:9]
	v_cmp_u_f64_e32 vcc_lo, v[8:9], v[8:9]
	v_cmp_u_f64_e64 s3, v[6:7], v[6:7]
	s_delay_alu instid0(VALU_DEP_3) | instskip(SKIP_1) | instid1(VALU_DEP_2)
	v_min_f64 v[25:26], v[23:24], v[10:11]
	v_max_f64 v[10:11], v[23:24], v[10:11]
	v_dual_cndmask_b32 v23, v25, v8 :: v_dual_cndmask_b32 v24, v26, v9
	s_delay_alu instid0(VALU_DEP_2) | instskip(NEXT) | instid1(VALU_DEP_2)
	v_dual_cndmask_b32 v25, v11, v9 :: v_dual_cndmask_b32 v26, v10, v8
	v_cndmask_b32_e64 v10, v23, v6, s3
	s_delay_alu instid0(VALU_DEP_3) | instskip(NEXT) | instid1(VALU_DEP_3)
	v_cndmask_b32_e64 v11, v24, v7, s3
	v_cndmask_b32_e64 v7, v25, v7, s3
	s_delay_alu instid0(VALU_DEP_4) | instskip(NEXT) | instid1(VALU_DEP_3)
	v_cndmask_b32_e64 v6, v26, v6, s3
	v_cmp_class_f64_e64 s3, v[10:11], 0x1f8
	s_delay_alu instid0(VALU_DEP_2) | instskip(NEXT) | instid1(VALU_DEP_2)
	v_cmp_neq_f64_e32 vcc_lo, v[10:11], v[6:7]
	s_or_b32 s3, vcc_lo, s3
	s_delay_alu instid0(SALU_CYCLE_1)
	s_and_saveexec_b32 s74, s3
	s_cbranch_execz .LBB88_47
; %bb.55:                               ;   in Loop: Header=BB88_49 Depth=3
	v_add_f64 v[8:9], v[10:11], -v[6:7]
	s_mov_b32 s63, s49
	s_mov_b32 s64, s22
	;; [unrolled: 1-line block ×3, first 2 shown]
	s_delay_alu instid0(VALU_DEP_1) | instskip(SKIP_2) | instid1(VALU_DEP_3)
	v_mul_f64 v[10:11], v[8:9], s[14:15]
	v_cmp_nlt_f64_e32 vcc_lo, 0x40900000, v[8:9]
	v_cmp_ngt_f64_e64 s3, 0xc090cc00, v[8:9]
	v_rndne_f64_e32 v[10:11], v[10:11]
	s_delay_alu instid0(VALU_DEP_1) | instskip(SKIP_1) | instid1(VALU_DEP_2)
	v_fma_f64 v[23:24], v[10:11], s[22:23], v[8:9]
	v_cvt_i32_f64_e32 v27, v[10:11]
	v_fma_f64 v[23:24], v[10:11], s[24:25], v[23:24]
	s_delay_alu instid0(VALU_DEP_1) | instskip(NEXT) | instid1(VALU_DEP_1)
	v_fma_f64 v[25:26], v[23:24], s[28:29], s[26:27]
	v_fma_f64 v[25:26], v[23:24], v[25:26], s[30:31]
	s_delay_alu instid0(VALU_DEP_1) | instskip(NEXT) | instid1(VALU_DEP_1)
	v_fma_f64 v[25:26], v[23:24], v[25:26], s[34:35]
	;; [unrolled: 3-line block ×5, first 2 shown]
	v_fma_f64 v[25:26], v[23:24], v[25:26], 1.0
	s_delay_alu instid0(VALU_DEP_1) | instskip(NEXT) | instid1(VALU_DEP_1)
	v_fma_f64 v[10:11], v[23:24], v[25:26], 1.0
	v_ldexp_f64 v[10:11], v[10:11], v27
	s_delay_alu instid0(VALU_DEP_1) | instskip(SKIP_1) | instid1(VALU_DEP_1)
	v_cndmask_b32_e32 v11, 0x7ff00000, v11, vcc_lo
	s_and_b32 vcc_lo, s3, vcc_lo
	v_cndmask_b32_e64 v9, 0, v11, s3
	s_delay_alu instid0(VALU_DEP_3) | instskip(NEXT) | instid1(VALU_DEP_1)
	v_cndmask_b32_e32 v8, 0, v10, vcc_lo
	v_add_f64 v[10:11], v[8:9], 1.0
	s_delay_alu instid0(VALU_DEP_1) | instskip(SKIP_2) | instid1(VALU_DEP_3)
	v_frexp_mant_f64_e32 v[23:24], v[10:11]
	v_frexp_exp_i32_f64_e32 v27, v[10:11]
	v_add_f64 v[25:26], v[10:11], -1.0
	v_cmp_gt_f64_e32 vcc_lo, s[48:49], v[23:24]
	s_delay_alu instid0(VALU_DEP_2) | instskip(SKIP_2) | instid1(VALU_DEP_3)
	v_add_f64 v[23:24], v[25:26], -v[10:11]
	v_add_f64 v[25:26], v[8:9], -v[25:26]
	v_subrev_co_ci_u32_e32 v43, vcc_lo, 0, v27, vcc_lo
	v_add_f64 v[23:24], v[23:24], 1.0
	v_cmp_eq_f64_e32 vcc_lo, 0x7ff00000, v[8:9]
	s_delay_alu instid0(VALU_DEP_3) | instskip(NEXT) | instid1(VALU_DEP_1)
	v_sub_nc_u32_e32 v29, 0, v43
	v_ldexp_f64 v[10:11], v[10:11], v29
	s_delay_alu instid0(VALU_DEP_4) | instskip(NEXT) | instid1(VALU_DEP_2)
	v_add_f64 v[23:24], v[25:26], v[23:24]
	v_add_f64 v[27:28], v[10:11], 1.0
	v_add_f64 v[33:34], v[10:11], -1.0
	s_delay_alu instid0(VALU_DEP_3) | instskip(NEXT) | instid1(VALU_DEP_3)
	v_ldexp_f64 v[23:24], v[23:24], v29
	v_add_f64 v[25:26], v[27:28], -1.0
	s_delay_alu instid0(VALU_DEP_3) | instskip(NEXT) | instid1(VALU_DEP_2)
	v_add_f64 v[35:36], v[33:34], 1.0
	v_add_f64 v[25:26], v[10:11], -v[25:26]
	s_delay_alu instid0(VALU_DEP_2) | instskip(NEXT) | instid1(VALU_DEP_2)
	v_add_f64 v[10:11], v[10:11], -v[35:36]
	v_add_f64 v[25:26], v[23:24], v[25:26]
	s_delay_alu instid0(VALU_DEP_2) | instskip(NEXT) | instid1(VALU_DEP_2)
	v_add_f64 v[10:11], v[23:24], v[10:11]
	v_add_f64 v[29:30], v[27:28], v[25:26]
	s_delay_alu instid0(VALU_DEP_2) | instskip(NEXT) | instid1(VALU_DEP_2)
	v_add_f64 v[35:36], v[33:34], v[10:11]
	v_rcp_f64_e32 v[31:32], v[29:30]
	v_add_f64 v[27:28], v[29:30], -v[27:28]
	s_delay_alu instid0(VALU_DEP_2) | instskip(NEXT) | instid1(VALU_DEP_2)
	v_add_f64 v[33:34], v[35:36], -v[33:34]
	v_add_f64 v[25:26], v[25:26], -v[27:28]
	s_waitcnt_depctr 0xfff
	v_fma_f64 v[37:38], -v[29:30], v[31:32], 1.0
	v_add_f64 v[10:11], v[10:11], -v[33:34]
	s_delay_alu instid0(VALU_DEP_2) | instskip(NEXT) | instid1(VALU_DEP_1)
	v_fma_f64 v[31:32], v[37:38], v[31:32], v[31:32]
	v_fma_f64 v[23:24], -v[29:30], v[31:32], 1.0
	s_delay_alu instid0(VALU_DEP_1) | instskip(NEXT) | instid1(VALU_DEP_1)
	v_fma_f64 v[23:24], v[23:24], v[31:32], v[31:32]
	v_mul_f64 v[31:32], v[35:36], v[23:24]
	s_delay_alu instid0(VALU_DEP_1) | instskip(NEXT) | instid1(VALU_DEP_1)
	v_mul_f64 v[37:38], v[29:30], v[31:32]
	v_fma_f64 v[27:28], v[31:32], v[29:30], -v[37:38]
	s_delay_alu instid0(VALU_DEP_1) | instskip(NEXT) | instid1(VALU_DEP_1)
	v_fma_f64 v[27:28], v[31:32], v[25:26], v[27:28]
	v_add_f64 v[39:40], v[37:38], v[27:28]
	s_delay_alu instid0(VALU_DEP_1) | instskip(SKIP_1) | instid1(VALU_DEP_2)
	v_add_f64 v[41:42], v[35:36], -v[39:40]
	v_add_f64 v[33:34], v[39:40], -v[37:38]
	;; [unrolled: 1-line block ×3, first 2 shown]
	s_delay_alu instid0(VALU_DEP_2) | instskip(NEXT) | instid1(VALU_DEP_2)
	v_add_f64 v[27:28], v[33:34], -v[27:28]
	v_add_f64 v[35:36], v[35:36], -v[39:40]
	s_delay_alu instid0(VALU_DEP_1) | instskip(NEXT) | instid1(VALU_DEP_1)
	v_add_f64 v[10:11], v[10:11], v[35:36]
	v_add_f64 v[10:11], v[27:28], v[10:11]
	s_delay_alu instid0(VALU_DEP_1) | instskip(NEXT) | instid1(VALU_DEP_1)
	v_add_f64 v[27:28], v[41:42], v[10:11]
	v_mul_f64 v[33:34], v[23:24], v[27:28]
	v_add_f64 v[39:40], v[41:42], -v[27:28]
	s_delay_alu instid0(VALU_DEP_2) | instskip(NEXT) | instid1(VALU_DEP_2)
	v_mul_f64 v[35:36], v[29:30], v[33:34]
	v_add_f64 v[10:11], v[10:11], v[39:40]
	s_delay_alu instid0(VALU_DEP_2) | instskip(NEXT) | instid1(VALU_DEP_1)
	v_fma_f64 v[29:30], v[33:34], v[29:30], -v[35:36]
	v_fma_f64 v[25:26], v[33:34], v[25:26], v[29:30]
	s_delay_alu instid0(VALU_DEP_1) | instskip(NEXT) | instid1(VALU_DEP_1)
	v_add_f64 v[29:30], v[35:36], v[25:26]
	v_add_f64 v[37:38], v[27:28], -v[29:30]
	v_add_f64 v[35:36], v[29:30], -v[35:36]
	s_delay_alu instid0(VALU_DEP_2) | instskip(NEXT) | instid1(VALU_DEP_2)
	v_add_f64 v[27:28], v[27:28], -v[37:38]
	v_add_f64 v[25:26], v[35:36], -v[25:26]
	s_delay_alu instid0(VALU_DEP_2) | instskip(NEXT) | instid1(VALU_DEP_1)
	v_add_f64 v[27:28], v[27:28], -v[29:30]
	v_add_f64 v[10:11], v[10:11], v[27:28]
	v_add_f64 v[27:28], v[31:32], v[33:34]
	s_delay_alu instid0(VALU_DEP_2) | instskip(NEXT) | instid1(VALU_DEP_2)
	v_add_f64 v[10:11], v[25:26], v[10:11]
	v_add_f64 v[25:26], v[27:28], -v[31:32]
	s_delay_alu instid0(VALU_DEP_2) | instskip(NEXT) | instid1(VALU_DEP_2)
	v_add_f64 v[10:11], v[37:38], v[10:11]
	v_add_f64 v[25:26], v[33:34], -v[25:26]
	s_delay_alu instid0(VALU_DEP_2) | instskip(NEXT) | instid1(VALU_DEP_1)
	v_mul_f64 v[10:11], v[23:24], v[10:11]
	v_add_f64 v[10:11], v[25:26], v[10:11]
	s_delay_alu instid0(VALU_DEP_1) | instskip(NEXT) | instid1(VALU_DEP_1)
	v_add_f64 v[23:24], v[27:28], v[10:11]
	v_mul_f64 v[25:26], v[23:24], v[23:24]
	s_delay_alu instid0(VALU_DEP_1) | instskip(SKIP_1) | instid1(VALU_DEP_2)
	v_fma_f64 v[29:30], v[25:26], s[52:53], s[50:51]
	v_mul_f64 v[31:32], v[23:24], v[25:26]
	v_fma_f64 v[29:30], v[25:26], v[29:30], s[54:55]
	s_delay_alu instid0(VALU_DEP_1) | instskip(NEXT) | instid1(VALU_DEP_1)
	v_fma_f64 v[29:30], v[25:26], v[29:30], s[56:57]
	v_fma_f64 v[29:30], v[25:26], v[29:30], s[58:59]
	s_delay_alu instid0(VALU_DEP_1) | instskip(NEXT) | instid1(VALU_DEP_1)
	v_fma_f64 v[29:30], v[25:26], v[29:30], s[60:61]
	v_fma_f64 v[25:26], v[25:26], v[29:30], s[62:63]
	v_ldexp_f64 v[29:30], v[23:24], 1
	v_add_f64 v[23:24], v[23:24], -v[27:28]
	s_delay_alu instid0(VALU_DEP_3) | instskip(SKIP_1) | instid1(VALU_DEP_3)
	v_mul_f64 v[25:26], v[31:32], v[25:26]
	v_cvt_f64_i32_e32 v[31:32], v43
	v_add_f64 v[10:11], v[10:11], -v[23:24]
	s_delay_alu instid0(VALU_DEP_3) | instskip(NEXT) | instid1(VALU_DEP_3)
	v_add_f64 v[27:28], v[29:30], v[25:26]
	v_mul_f64 v[33:34], v[31:32], s[64:65]
	s_delay_alu instid0(VALU_DEP_3) | instskip(NEXT) | instid1(VALU_DEP_3)
	v_ldexp_f64 v[10:11], v[10:11], 1
	v_add_f64 v[23:24], v[27:28], -v[29:30]
	s_delay_alu instid0(VALU_DEP_3) | instskip(NEXT) | instid1(VALU_DEP_2)
	v_fma_f64 v[29:30], v[31:32], s[64:65], -v[33:34]
	v_add_f64 v[23:24], v[25:26], -v[23:24]
	s_delay_alu instid0(VALU_DEP_2) | instskip(NEXT) | instid1(VALU_DEP_2)
	v_fma_f64 v[25:26], v[31:32], s[66:67], v[29:30]
	v_add_f64 v[10:11], v[10:11], v[23:24]
	s_delay_alu instid0(VALU_DEP_2) | instskip(NEXT) | instid1(VALU_DEP_2)
	v_add_f64 v[23:24], v[33:34], v[25:26]
	v_add_f64 v[29:30], v[27:28], v[10:11]
	s_delay_alu instid0(VALU_DEP_2) | instskip(NEXT) | instid1(VALU_DEP_2)
	v_add_f64 v[33:34], v[23:24], -v[33:34]
	v_add_f64 v[31:32], v[23:24], v[29:30]
	v_add_f64 v[27:28], v[29:30], -v[27:28]
	s_delay_alu instid0(VALU_DEP_3) | instskip(NEXT) | instid1(VALU_DEP_3)
	v_add_f64 v[25:26], v[25:26], -v[33:34]
	v_add_f64 v[35:36], v[31:32], -v[23:24]
	s_delay_alu instid0(VALU_DEP_3) | instskip(NEXT) | instid1(VALU_DEP_2)
	v_add_f64 v[10:11], v[10:11], -v[27:28]
	v_add_f64 v[37:38], v[31:32], -v[35:36]
	;; [unrolled: 1-line block ×3, first 2 shown]
	s_delay_alu instid0(VALU_DEP_3) | instskip(NEXT) | instid1(VALU_DEP_3)
	v_add_f64 v[29:30], v[25:26], v[10:11]
	v_add_f64 v[23:24], v[23:24], -v[37:38]
	s_delay_alu instid0(VALU_DEP_1) | instskip(NEXT) | instid1(VALU_DEP_3)
	v_add_f64 v[23:24], v[27:28], v[23:24]
	v_add_f64 v[27:28], v[29:30], -v[25:26]
	s_delay_alu instid0(VALU_DEP_2) | instskip(NEXT) | instid1(VALU_DEP_2)
	v_add_f64 v[23:24], v[29:30], v[23:24]
	v_add_f64 v[29:30], v[29:30], -v[27:28]
	v_add_f64 v[10:11], v[10:11], -v[27:28]
	s_delay_alu instid0(VALU_DEP_3) | instskip(NEXT) | instid1(VALU_DEP_3)
	v_add_f64 v[33:34], v[31:32], v[23:24]
	v_add_f64 v[25:26], v[25:26], -v[29:30]
	s_delay_alu instid0(VALU_DEP_2) | instskip(NEXT) | instid1(VALU_DEP_2)
	v_add_f64 v[27:28], v[33:34], -v[31:32]
	v_add_f64 v[10:11], v[10:11], v[25:26]
	s_delay_alu instid0(VALU_DEP_2) | instskip(NEXT) | instid1(VALU_DEP_1)
	v_add_f64 v[23:24], v[23:24], -v[27:28]
	v_add_f64 v[10:11], v[10:11], v[23:24]
	s_delay_alu instid0(VALU_DEP_1) | instskip(NEXT) | instid1(VALU_DEP_1)
	v_add_f64 v[10:11], v[33:34], v[10:11]
	v_dual_cndmask_b32 v11, v11, v9 :: v_dual_cndmask_b32 v10, v10, v8
	v_cmp_ngt_f64_e32 vcc_lo, -1.0, v[8:9]
	s_delay_alu instid0(VALU_DEP_2) | instskip(SKIP_1) | instid1(VALU_DEP_4)
	v_cndmask_b32_e32 v11, 0x7ff80000, v11, vcc_lo
	v_cmp_nge_f64_e32 vcc_lo, -1.0, v[8:9]
	v_cndmask_b32_e32 v10, 0, v10, vcc_lo
	v_cmp_neq_f64_e32 vcc_lo, -1.0, v[8:9]
	s_delay_alu instid0(VALU_DEP_4) | instskip(NEXT) | instid1(VALU_DEP_1)
	v_cndmask_b32_e32 v11, 0xfff00000, v11, vcc_lo
	v_add_f64 v[8:9], v[6:7], v[10:11]
	s_branch .LBB88_47
.LBB88_56:                              ;   in Loop: Header=BB88_37 Depth=2
	s_or_b32 exec_lo, exec_lo, s72
	s_and_saveexec_b32 s3, s1
	s_cbranch_execz .LBB88_36
; %bb.57:                               ;   in Loop: Header=BB88_37 Depth=2
	s_mov_b32 s63, exec_lo
	v_cmpx_gt_u64_e64 s[12:13], v[4:5]
	s_cbranch_execz .LBB88_59
; %bb.58:                               ;   in Loop: Header=BB88_37 Depth=2
	ds_load_b64 v[6:7], v14
	v_lshlrev_b64 v[4:5], 3, v[4:5]
	s_delay_alu instid0(VALU_DEP_1) | instskip(NEXT) | instid1(VALU_DEP_2)
	v_add_co_u32 v4, vcc_lo, v19, v4
	v_add_co_ci_u32_e32 v5, vcc_lo, v20, v5, vcc_lo
	s_waitcnt lgkmcnt(0)
	global_store_b64 v[4:5], v[6:7], off
.LBB88_59:                              ;   in Loop: Header=BB88_37 Depth=2
	s_or_b32 exec_lo, exec_lo, s63
	v_cmp_gt_u64_e32 vcc_lo, s[12:13], v[2:3]
	s_and_b32 exec_lo, exec_lo, vcc_lo
	s_cbranch_execz .LBB88_36
; %bb.60:                               ;   in Loop: Header=BB88_37 Depth=2
	ds_load_b64 v[4:5], v16
	v_lshlrev_b64 v[2:3], 3, v[2:3]
	s_delay_alu instid0(VALU_DEP_1) | instskip(NEXT) | instid1(VALU_DEP_2)
	v_add_co_u32 v2, vcc_lo, v19, v2
	v_add_co_ci_u32_e32 v3, vcc_lo, v20, v3, vcc_lo
	s_waitcnt lgkmcnt(0)
	global_store_b64 v[2:3], v[4:5], off
	s_branch .LBB88_36
.LBB88_61:
	s_endpgm
	.section	.rodata,"a",@progbits
	.p2align	6, 0x0
	.amdhsa_kernel _ZN2at6native32tensor_kernel_scan_innermost_dimIdZZZNS0_31launch_logcumsumexp_cuda_kernelERKNS_10TensorBaseES4_lENKUlvE_clEvENKUlvE_clEvEUlddE_EEvPT_PKS8_jjjS8_T0_
		.amdhsa_group_segment_fixed_size 0
		.amdhsa_private_segment_fixed_size 0
		.amdhsa_kernarg_size 304
		.amdhsa_user_sgpr_count 15
		.amdhsa_user_sgpr_dispatch_ptr 0
		.amdhsa_user_sgpr_queue_ptr 0
		.amdhsa_user_sgpr_kernarg_segment_ptr 1
		.amdhsa_user_sgpr_dispatch_id 0
		.amdhsa_user_sgpr_private_segment_size 0
		.amdhsa_wavefront_size32 1
		.amdhsa_uses_dynamic_stack 0
		.amdhsa_enable_private_segment 0
		.amdhsa_system_sgpr_workgroup_id_x 1
		.amdhsa_system_sgpr_workgroup_id_y 0
		.amdhsa_system_sgpr_workgroup_id_z 0
		.amdhsa_system_sgpr_workgroup_info 0
		.amdhsa_system_vgpr_workitem_id 1
		.amdhsa_next_free_vgpr 44
		.amdhsa_next_free_sgpr 75
		.amdhsa_reserve_vcc 1
		.amdhsa_float_round_mode_32 0
		.amdhsa_float_round_mode_16_64 0
		.amdhsa_float_denorm_mode_32 3
		.amdhsa_float_denorm_mode_16_64 3
		.amdhsa_dx10_clamp 1
		.amdhsa_ieee_mode 1
		.amdhsa_fp16_overflow 0
		.amdhsa_workgroup_processor_mode 1
		.amdhsa_memory_ordered 1
		.amdhsa_forward_progress 0
		.amdhsa_shared_vgpr_count 0
		.amdhsa_exception_fp_ieee_invalid_op 0
		.amdhsa_exception_fp_denorm_src 0
		.amdhsa_exception_fp_ieee_div_zero 0
		.amdhsa_exception_fp_ieee_overflow 0
		.amdhsa_exception_fp_ieee_underflow 0
		.amdhsa_exception_fp_ieee_inexact 0
		.amdhsa_exception_int_div_zero 0
	.end_amdhsa_kernel
	.section	.text._ZN2at6native32tensor_kernel_scan_innermost_dimIdZZZNS0_31launch_logcumsumexp_cuda_kernelERKNS_10TensorBaseES4_lENKUlvE_clEvENKUlvE_clEvEUlddE_EEvPT_PKS8_jjjS8_T0_,"axG",@progbits,_ZN2at6native32tensor_kernel_scan_innermost_dimIdZZZNS0_31launch_logcumsumexp_cuda_kernelERKNS_10TensorBaseES4_lENKUlvE_clEvENKUlvE_clEvEUlddE_EEvPT_PKS8_jjjS8_T0_,comdat
.Lfunc_end88:
	.size	_ZN2at6native32tensor_kernel_scan_innermost_dimIdZZZNS0_31launch_logcumsumexp_cuda_kernelERKNS_10TensorBaseES4_lENKUlvE_clEvENKUlvE_clEvEUlddE_EEvPT_PKS8_jjjS8_T0_, .Lfunc_end88-_ZN2at6native32tensor_kernel_scan_innermost_dimIdZZZNS0_31launch_logcumsumexp_cuda_kernelERKNS_10TensorBaseES4_lENKUlvE_clEvENKUlvE_clEvEUlddE_EEvPT_PKS8_jjjS8_T0_
                                        ; -- End function
	.section	.AMDGPU.csdata,"",@progbits
; Kernel info:
; codeLenInByte = 8864
; NumSgprs: 77
; NumVgprs: 44
; ScratchSize: 0
; MemoryBound: 0
; FloatMode: 240
; IeeeMode: 1
; LDSByteSize: 0 bytes/workgroup (compile time only)
; SGPRBlocks: 9
; VGPRBlocks: 5
; NumSGPRsForWavesPerEU: 77
; NumVGPRsForWavesPerEU: 44
; Occupancy: 16
; WaveLimiterHint : 0
; COMPUTE_PGM_RSRC2:SCRATCH_EN: 0
; COMPUTE_PGM_RSRC2:USER_SGPR: 15
; COMPUTE_PGM_RSRC2:TRAP_HANDLER: 0
; COMPUTE_PGM_RSRC2:TGID_X_EN: 1
; COMPUTE_PGM_RSRC2:TGID_Y_EN: 0
; COMPUTE_PGM_RSRC2:TGID_Z_EN: 0
; COMPUTE_PGM_RSRC2:TIDIG_COMP_CNT: 1
	.section	.text._ZN2at6native28tensor_kernel_scan_outer_dimIdjZZZNS0_31launch_logcumsumexp_cuda_kernelERKNS_10TensorBaseES4_lENKUlvE_clEvENKUlvE_clEvEUlddE_EEvPT_PKS8_jjjS8_T1_,"axG",@progbits,_ZN2at6native28tensor_kernel_scan_outer_dimIdjZZZNS0_31launch_logcumsumexp_cuda_kernelERKNS_10TensorBaseES4_lENKUlvE_clEvENKUlvE_clEvEUlddE_EEvPT_PKS8_jjjS8_T1_,comdat
	.globl	_ZN2at6native28tensor_kernel_scan_outer_dimIdjZZZNS0_31launch_logcumsumexp_cuda_kernelERKNS_10TensorBaseES4_lENKUlvE_clEvENKUlvE_clEvEUlddE_EEvPT_PKS8_jjjS8_T1_ ; -- Begin function _ZN2at6native28tensor_kernel_scan_outer_dimIdjZZZNS0_31launch_logcumsumexp_cuda_kernelERKNS_10TensorBaseES4_lENKUlvE_clEvENKUlvE_clEvEUlddE_EEvPT_PKS8_jjjS8_T1_
	.p2align	8
	.type	_ZN2at6native28tensor_kernel_scan_outer_dimIdjZZZNS0_31launch_logcumsumexp_cuda_kernelERKNS_10TensorBaseES4_lENKUlvE_clEvENKUlvE_clEvEUlddE_EEvPT_PKS8_jjjS8_T1_,@function
_ZN2at6native28tensor_kernel_scan_outer_dimIdjZZZNS0_31launch_logcumsumexp_cuda_kernelERKNS_10TensorBaseES4_lENKUlvE_clEvENKUlvE_clEvEUlddE_EEvPT_PKS8_jjjS8_T1_: ; @_ZN2at6native28tensor_kernel_scan_outer_dimIdjZZZNS0_31launch_logcumsumexp_cuda_kernelERKNS_10TensorBaseES4_lENKUlvE_clEvENKUlvE_clEvEUlddE_EEvPT_PKS8_jjjS8_T1_
; %bb.0:
	s_load_b128 s[4:7], s[0:1], 0x10
	s_waitcnt lgkmcnt(0)
	s_cmp_ge_u32 s14, s4
	s_cbranch_scc1 .LBB89_11
; %bb.1:
	s_clause 0x3
	s_load_b32 s28, s[0:1], 0x3c
	s_load_b32 s7, s[0:1], 0x30
	s_load_b128 s[8:11], s[0:1], 0x0
	s_load_b64 s[2:3], s[0:1], 0x20
	v_mov_b32_e32 v1, 0
	s_add_u32 s12, s0, 48
	s_addc_u32 s13, s1, 0
	s_mul_i32 s0, s14, s6
	s_mov_b32 s17, 0
	s_mul_i32 s1, s0, s5
	s_mov_b32 s16, s5
	s_mov_b32 s18, 0x652b82fe
	;; [unrolled: 1-line block ×10, first 2 shown]
	s_waitcnt lgkmcnt(0)
	s_and_b32 s33, s28, 0xffff
	s_cmp_lg_u32 s6, 0
	v_mad_u64_u32 v[2:3], null, s15, s33, v[0:1]
	s_mul_i32 s15, s7, s6
	s_mov_b32 s40, 0x11122322
	s_mov_b32 s42, 0x555502a1
	;; [unrolled: 1-line block ×5, first 2 shown]
	s_delay_alu instid0(VALU_DEP_1)
	v_cmp_gt_u32_e64 s0, s5, v2
	s_mov_b32 s50, 0x6b47b09a
	s_mov_b32 s52, 0xbf559e2b
	;; [unrolled: 1-line block ×11, first 2 shown]
	s_mul_i32 s15, s15, s5
	s_cselect_b32 s70, -1, 0
	s_lshl_b64 s[28:29], s[16:17], 3
	s_mov_b32 s31, 0x3ec71dee
	s_mov_b32 s35, 0x3efa0199
	;; [unrolled: 1-line block ×19, first 2 shown]
	s_branch .LBB89_3
.LBB89_2:                               ;   in Loop: Header=BB89_3 Depth=1
	s_or_b32 exec_lo, exec_lo, s71
	s_add_i32 s14, s7, s14
	s_add_i32 s16, s16, s15
	s_cmp_ge_u32 s14, s4
	s_cbranch_scc1 .LBB89_11
.LBB89_3:                               ; =>This Loop Header: Depth=1
                                        ;     Child Loop BB89_6 Depth 2
                                        ;       Child Loop BB89_9 Depth 3
	s_and_saveexec_b32 s71, s0
	s_cbranch_execz .LBB89_2
; %bb.4:                                ;   in Loop: Header=BB89_3 Depth=1
	s_load_b32 s72, s[12:13], 0x4
	v_mov_b32_e32 v0, v2
	s_lshl_b64 s[68:69], s[16:17], 3
	s_mov_b32 s73, 0
	s_waitcnt lgkmcnt(0)
	s_mul_i32 s72, s72, s33
	s_branch .LBB89_6
.LBB89_5:                               ;   in Loop: Header=BB89_6 Depth=2
	v_add_nc_u32_e32 v0, s72, v0
	s_delay_alu instid0(VALU_DEP_1) | instskip(SKIP_1) | instid1(SALU_CYCLE_1)
	v_cmp_le_u32_e32 vcc_lo, s5, v0
	s_or_b32 s73, vcc_lo, s73
	s_and_not1_b32 exec_lo, exec_lo, s73
	s_cbranch_execz .LBB89_2
.LBB89_6:                               ;   Parent Loop BB89_3 Depth=1
                                        ; =>  This Loop Header: Depth=2
                                        ;       Child Loop BB89_9 Depth 3
	s_and_not1_b32 vcc_lo, exec_lo, s70
	s_cbranch_vccnz .LBB89_5
; %bb.7:                                ;   in Loop: Header=BB89_6 Depth=2
	v_lshlrev_b64 v[3:4], 3, v[0:1]
	v_dual_mov_b32 v6, s3 :: v_dual_mov_b32 v5, s2
	s_mov_b32 s74, s6
	s_delay_alu instid0(VALU_DEP_2) | instskip(NEXT) | instid1(VALU_DEP_3)
	v_add_co_u32 v9, vcc_lo, s68, v3
	v_add_co_ci_u32_e32 v10, vcc_lo, s69, v4, vcc_lo
	s_branch .LBB89_9
.LBB89_8:                               ;   in Loop: Header=BB89_9 Depth=3
	s_or_b32 exec_lo, exec_lo, s75
	v_add_co_u32 v3, vcc_lo, s8, v9
	v_add_co_ci_u32_e32 v4, vcc_lo, s9, v10, vcc_lo
	v_add_co_u32 v9, vcc_lo, v9, s28
	v_add_co_ci_u32_e32 v10, vcc_lo, s29, v10, vcc_lo
	s_add_i32 s74, s74, -1
	global_store_b64 v[3:4], v[5:6], off
	s_cmp_eq_u32 s74, 0
	s_cbranch_scc1 .LBB89_5
.LBB89_9:                               ;   Parent Loop BB89_3 Depth=1
                                        ;     Parent Loop BB89_6 Depth=2
                                        ; =>    This Inner Loop Header: Depth=3
	s_delay_alu instid0(VALU_DEP_2) | instskip(NEXT) | instid1(VALU_DEP_2)
	v_add_co_u32 v3, vcc_lo, s10, v9
	v_add_co_ci_u32_e32 v4, vcc_lo, s11, v10, vcc_lo
	v_max_f64 v[7:8], v[5:6], v[5:6]
	v_cmp_u_f64_e32 vcc_lo, v[5:6], v[5:6]
	global_load_b64 v[3:4], v[3:4], off
	s_waitcnt vmcnt(0)
	v_max_f64 v[11:12], v[3:4], v[3:4]
	v_cmp_u_f64_e64 s1, v[3:4], v[3:4]
	s_delay_alu instid0(VALU_DEP_2) | instskip(SKIP_1) | instid1(VALU_DEP_2)
	v_min_f64 v[13:14], v[7:8], v[11:12]
	v_max_f64 v[7:8], v[7:8], v[11:12]
	v_dual_cndmask_b32 v11, v13, v5 :: v_dual_cndmask_b32 v12, v14, v6
	s_delay_alu instid0(VALU_DEP_2) | instskip(NEXT) | instid1(VALU_DEP_2)
	v_dual_cndmask_b32 v13, v8, v6 :: v_dual_cndmask_b32 v14, v7, v5
	v_cndmask_b32_e64 v7, v11, v3, s1
	s_delay_alu instid0(VALU_DEP_3) | instskip(NEXT) | instid1(VALU_DEP_3)
	v_cndmask_b32_e64 v8, v12, v4, s1
	v_cndmask_b32_e64 v4, v13, v4, s1
	s_delay_alu instid0(VALU_DEP_4) | instskip(NEXT) | instid1(VALU_DEP_3)
	v_cndmask_b32_e64 v3, v14, v3, s1
	v_cmp_class_f64_e64 s1, v[7:8], 0x1f8
	s_delay_alu instid0(VALU_DEP_2) | instskip(NEXT) | instid1(VALU_DEP_2)
	v_cmp_neq_f64_e32 vcc_lo, v[7:8], v[3:4]
	s_or_b32 s1, vcc_lo, s1
	s_delay_alu instid0(SALU_CYCLE_1)
	s_and_saveexec_b32 s75, s1
	s_cbranch_execz .LBB89_8
; %bb.10:                               ;   in Loop: Header=BB89_9 Depth=3
	v_add_f64 v[5:6], v[7:8], -v[3:4]
	s_mov_b32 s63, s49
	s_mov_b32 s64, s20
	;; [unrolled: 1-line block ×3, first 2 shown]
	s_delay_alu instid0(VALU_DEP_1) | instskip(SKIP_2) | instid1(VALU_DEP_3)
	v_mul_f64 v[7:8], v[5:6], s[18:19]
	v_cmp_nlt_f64_e32 vcc_lo, 0x40900000, v[5:6]
	v_cmp_ngt_f64_e64 s1, 0xc090cc00, v[5:6]
	v_rndne_f64_e32 v[7:8], v[7:8]
	s_delay_alu instid0(VALU_DEP_1) | instskip(SKIP_1) | instid1(VALU_DEP_2)
	v_fma_f64 v[11:12], v[7:8], s[20:21], v[5:6]
	v_cvt_i32_f64_e32 v15, v[7:8]
	v_fma_f64 v[11:12], v[7:8], s[22:23], v[11:12]
	s_delay_alu instid0(VALU_DEP_1) | instskip(NEXT) | instid1(VALU_DEP_1)
	v_fma_f64 v[13:14], v[11:12], s[26:27], s[24:25]
	v_fma_f64 v[13:14], v[11:12], v[13:14], s[30:31]
	s_delay_alu instid0(VALU_DEP_1) | instskip(NEXT) | instid1(VALU_DEP_1)
	v_fma_f64 v[13:14], v[11:12], v[13:14], s[34:35]
	;; [unrolled: 3-line block ×5, first 2 shown]
	v_fma_f64 v[13:14], v[11:12], v[13:14], 1.0
	s_delay_alu instid0(VALU_DEP_1) | instskip(NEXT) | instid1(VALU_DEP_1)
	v_fma_f64 v[7:8], v[11:12], v[13:14], 1.0
	v_ldexp_f64 v[7:8], v[7:8], v15
	s_delay_alu instid0(VALU_DEP_1) | instskip(SKIP_1) | instid1(VALU_DEP_1)
	v_cndmask_b32_e32 v8, 0x7ff00000, v8, vcc_lo
	s_and_b32 vcc_lo, s1, vcc_lo
	v_cndmask_b32_e64 v6, 0, v8, s1
	s_delay_alu instid0(VALU_DEP_3) | instskip(NEXT) | instid1(VALU_DEP_1)
	v_cndmask_b32_e32 v5, 0, v7, vcc_lo
	v_add_f64 v[7:8], v[5:6], 1.0
	s_delay_alu instid0(VALU_DEP_1) | instskip(SKIP_2) | instid1(VALU_DEP_3)
	v_frexp_mant_f64_e32 v[11:12], v[7:8]
	v_frexp_exp_i32_f64_e32 v15, v[7:8]
	v_add_f64 v[13:14], v[7:8], -1.0
	v_cmp_gt_f64_e32 vcc_lo, s[48:49], v[11:12]
	s_delay_alu instid0(VALU_DEP_2) | instskip(SKIP_2) | instid1(VALU_DEP_3)
	v_add_f64 v[11:12], v[13:14], -v[7:8]
	v_add_f64 v[13:14], v[5:6], -v[13:14]
	v_subrev_co_ci_u32_e32 v31, vcc_lo, 0, v15, vcc_lo
	v_add_f64 v[11:12], v[11:12], 1.0
	v_cmp_eq_f64_e32 vcc_lo, 0x7ff00000, v[5:6]
	s_delay_alu instid0(VALU_DEP_3) | instskip(NEXT) | instid1(VALU_DEP_1)
	v_sub_nc_u32_e32 v17, 0, v31
	v_ldexp_f64 v[7:8], v[7:8], v17
	s_delay_alu instid0(VALU_DEP_4) | instskip(NEXT) | instid1(VALU_DEP_2)
	v_add_f64 v[11:12], v[13:14], v[11:12]
	v_add_f64 v[15:16], v[7:8], 1.0
	v_add_f64 v[21:22], v[7:8], -1.0
	s_delay_alu instid0(VALU_DEP_3) | instskip(NEXT) | instid1(VALU_DEP_3)
	v_ldexp_f64 v[11:12], v[11:12], v17
	v_add_f64 v[13:14], v[15:16], -1.0
	s_delay_alu instid0(VALU_DEP_3) | instskip(NEXT) | instid1(VALU_DEP_2)
	v_add_f64 v[23:24], v[21:22], 1.0
	v_add_f64 v[13:14], v[7:8], -v[13:14]
	s_delay_alu instid0(VALU_DEP_2) | instskip(NEXT) | instid1(VALU_DEP_2)
	v_add_f64 v[7:8], v[7:8], -v[23:24]
	v_add_f64 v[13:14], v[11:12], v[13:14]
	s_delay_alu instid0(VALU_DEP_2) | instskip(NEXT) | instid1(VALU_DEP_2)
	v_add_f64 v[7:8], v[11:12], v[7:8]
	v_add_f64 v[17:18], v[15:16], v[13:14]
	s_delay_alu instid0(VALU_DEP_2) | instskip(NEXT) | instid1(VALU_DEP_2)
	v_add_f64 v[23:24], v[21:22], v[7:8]
	v_rcp_f64_e32 v[19:20], v[17:18]
	v_add_f64 v[15:16], v[17:18], -v[15:16]
	s_delay_alu instid0(VALU_DEP_2) | instskip(NEXT) | instid1(VALU_DEP_2)
	v_add_f64 v[21:22], v[23:24], -v[21:22]
	v_add_f64 v[13:14], v[13:14], -v[15:16]
	s_waitcnt_depctr 0xfff
	v_fma_f64 v[25:26], -v[17:18], v[19:20], 1.0
	v_add_f64 v[7:8], v[7:8], -v[21:22]
	s_delay_alu instid0(VALU_DEP_2) | instskip(NEXT) | instid1(VALU_DEP_1)
	v_fma_f64 v[19:20], v[25:26], v[19:20], v[19:20]
	v_fma_f64 v[11:12], -v[17:18], v[19:20], 1.0
	s_delay_alu instid0(VALU_DEP_1) | instskip(NEXT) | instid1(VALU_DEP_1)
	v_fma_f64 v[11:12], v[11:12], v[19:20], v[19:20]
	v_mul_f64 v[19:20], v[23:24], v[11:12]
	s_delay_alu instid0(VALU_DEP_1) | instskip(NEXT) | instid1(VALU_DEP_1)
	v_mul_f64 v[25:26], v[17:18], v[19:20]
	v_fma_f64 v[15:16], v[19:20], v[17:18], -v[25:26]
	s_delay_alu instid0(VALU_DEP_1) | instskip(NEXT) | instid1(VALU_DEP_1)
	v_fma_f64 v[15:16], v[19:20], v[13:14], v[15:16]
	v_add_f64 v[27:28], v[25:26], v[15:16]
	s_delay_alu instid0(VALU_DEP_1) | instskip(SKIP_1) | instid1(VALU_DEP_2)
	v_add_f64 v[29:30], v[23:24], -v[27:28]
	v_add_f64 v[21:22], v[27:28], -v[25:26]
	;; [unrolled: 1-line block ×3, first 2 shown]
	s_delay_alu instid0(VALU_DEP_2) | instskip(NEXT) | instid1(VALU_DEP_2)
	v_add_f64 v[15:16], v[21:22], -v[15:16]
	v_add_f64 v[23:24], v[23:24], -v[27:28]
	s_delay_alu instid0(VALU_DEP_1) | instskip(NEXT) | instid1(VALU_DEP_1)
	v_add_f64 v[7:8], v[7:8], v[23:24]
	v_add_f64 v[7:8], v[15:16], v[7:8]
	s_delay_alu instid0(VALU_DEP_1) | instskip(NEXT) | instid1(VALU_DEP_1)
	v_add_f64 v[15:16], v[29:30], v[7:8]
	v_mul_f64 v[21:22], v[11:12], v[15:16]
	v_add_f64 v[27:28], v[29:30], -v[15:16]
	s_delay_alu instid0(VALU_DEP_2) | instskip(NEXT) | instid1(VALU_DEP_2)
	v_mul_f64 v[23:24], v[17:18], v[21:22]
	v_add_f64 v[7:8], v[7:8], v[27:28]
	s_delay_alu instid0(VALU_DEP_2) | instskip(NEXT) | instid1(VALU_DEP_1)
	v_fma_f64 v[17:18], v[21:22], v[17:18], -v[23:24]
	v_fma_f64 v[13:14], v[21:22], v[13:14], v[17:18]
	s_delay_alu instid0(VALU_DEP_1) | instskip(NEXT) | instid1(VALU_DEP_1)
	v_add_f64 v[17:18], v[23:24], v[13:14]
	v_add_f64 v[25:26], v[15:16], -v[17:18]
	v_add_f64 v[23:24], v[17:18], -v[23:24]
	s_delay_alu instid0(VALU_DEP_2) | instskip(NEXT) | instid1(VALU_DEP_2)
	v_add_f64 v[15:16], v[15:16], -v[25:26]
	v_add_f64 v[13:14], v[23:24], -v[13:14]
	s_delay_alu instid0(VALU_DEP_2) | instskip(NEXT) | instid1(VALU_DEP_1)
	v_add_f64 v[15:16], v[15:16], -v[17:18]
	v_add_f64 v[7:8], v[7:8], v[15:16]
	v_add_f64 v[15:16], v[19:20], v[21:22]
	s_delay_alu instid0(VALU_DEP_2) | instskip(NEXT) | instid1(VALU_DEP_2)
	v_add_f64 v[7:8], v[13:14], v[7:8]
	v_add_f64 v[13:14], v[15:16], -v[19:20]
	s_delay_alu instid0(VALU_DEP_2) | instskip(NEXT) | instid1(VALU_DEP_2)
	v_add_f64 v[7:8], v[25:26], v[7:8]
	v_add_f64 v[13:14], v[21:22], -v[13:14]
	s_delay_alu instid0(VALU_DEP_2) | instskip(NEXT) | instid1(VALU_DEP_1)
	v_mul_f64 v[7:8], v[11:12], v[7:8]
	v_add_f64 v[7:8], v[13:14], v[7:8]
	s_delay_alu instid0(VALU_DEP_1) | instskip(NEXT) | instid1(VALU_DEP_1)
	v_add_f64 v[11:12], v[15:16], v[7:8]
	v_mul_f64 v[13:14], v[11:12], v[11:12]
	s_delay_alu instid0(VALU_DEP_1) | instskip(SKIP_1) | instid1(VALU_DEP_2)
	v_fma_f64 v[17:18], v[13:14], s[52:53], s[50:51]
	v_mul_f64 v[19:20], v[11:12], v[13:14]
	v_fma_f64 v[17:18], v[13:14], v[17:18], s[54:55]
	s_delay_alu instid0(VALU_DEP_1) | instskip(NEXT) | instid1(VALU_DEP_1)
	v_fma_f64 v[17:18], v[13:14], v[17:18], s[56:57]
	v_fma_f64 v[17:18], v[13:14], v[17:18], s[58:59]
	s_delay_alu instid0(VALU_DEP_1) | instskip(NEXT) | instid1(VALU_DEP_1)
	v_fma_f64 v[17:18], v[13:14], v[17:18], s[60:61]
	v_fma_f64 v[13:14], v[13:14], v[17:18], s[62:63]
	v_ldexp_f64 v[17:18], v[11:12], 1
	v_add_f64 v[11:12], v[11:12], -v[15:16]
	s_delay_alu instid0(VALU_DEP_3) | instskip(SKIP_1) | instid1(VALU_DEP_3)
	v_mul_f64 v[13:14], v[19:20], v[13:14]
	v_cvt_f64_i32_e32 v[19:20], v31
	v_add_f64 v[7:8], v[7:8], -v[11:12]
	s_delay_alu instid0(VALU_DEP_3) | instskip(NEXT) | instid1(VALU_DEP_3)
	v_add_f64 v[15:16], v[17:18], v[13:14]
	v_mul_f64 v[21:22], v[19:20], s[64:65]
	s_delay_alu instid0(VALU_DEP_3) | instskip(NEXT) | instid1(VALU_DEP_3)
	v_ldexp_f64 v[7:8], v[7:8], 1
	v_add_f64 v[11:12], v[15:16], -v[17:18]
	s_delay_alu instid0(VALU_DEP_3) | instskip(NEXT) | instid1(VALU_DEP_2)
	v_fma_f64 v[17:18], v[19:20], s[64:65], -v[21:22]
	v_add_f64 v[11:12], v[13:14], -v[11:12]
	s_delay_alu instid0(VALU_DEP_2) | instskip(NEXT) | instid1(VALU_DEP_2)
	v_fma_f64 v[13:14], v[19:20], s[66:67], v[17:18]
	v_add_f64 v[7:8], v[7:8], v[11:12]
	s_delay_alu instid0(VALU_DEP_2) | instskip(NEXT) | instid1(VALU_DEP_2)
	v_add_f64 v[11:12], v[21:22], v[13:14]
	v_add_f64 v[17:18], v[15:16], v[7:8]
	s_delay_alu instid0(VALU_DEP_2) | instskip(NEXT) | instid1(VALU_DEP_2)
	v_add_f64 v[21:22], v[11:12], -v[21:22]
	v_add_f64 v[19:20], v[11:12], v[17:18]
	v_add_f64 v[15:16], v[17:18], -v[15:16]
	s_delay_alu instid0(VALU_DEP_3) | instskip(NEXT) | instid1(VALU_DEP_3)
	v_add_f64 v[13:14], v[13:14], -v[21:22]
	v_add_f64 v[23:24], v[19:20], -v[11:12]
	s_delay_alu instid0(VALU_DEP_3) | instskip(NEXT) | instid1(VALU_DEP_2)
	v_add_f64 v[7:8], v[7:8], -v[15:16]
	v_add_f64 v[25:26], v[19:20], -v[23:24]
	;; [unrolled: 1-line block ×3, first 2 shown]
	s_delay_alu instid0(VALU_DEP_3) | instskip(NEXT) | instid1(VALU_DEP_3)
	v_add_f64 v[17:18], v[13:14], v[7:8]
	v_add_f64 v[11:12], v[11:12], -v[25:26]
	s_delay_alu instid0(VALU_DEP_1) | instskip(NEXT) | instid1(VALU_DEP_3)
	v_add_f64 v[11:12], v[15:16], v[11:12]
	v_add_f64 v[15:16], v[17:18], -v[13:14]
	s_delay_alu instid0(VALU_DEP_2) | instskip(NEXT) | instid1(VALU_DEP_2)
	v_add_f64 v[11:12], v[17:18], v[11:12]
	v_add_f64 v[17:18], v[17:18], -v[15:16]
	v_add_f64 v[7:8], v[7:8], -v[15:16]
	s_delay_alu instid0(VALU_DEP_3) | instskip(NEXT) | instid1(VALU_DEP_3)
	v_add_f64 v[21:22], v[19:20], v[11:12]
	v_add_f64 v[13:14], v[13:14], -v[17:18]
	s_delay_alu instid0(VALU_DEP_2) | instskip(NEXT) | instid1(VALU_DEP_2)
	v_add_f64 v[15:16], v[21:22], -v[19:20]
	v_add_f64 v[7:8], v[7:8], v[13:14]
	s_delay_alu instid0(VALU_DEP_2) | instskip(NEXT) | instid1(VALU_DEP_1)
	v_add_f64 v[11:12], v[11:12], -v[15:16]
	v_add_f64 v[7:8], v[7:8], v[11:12]
	s_delay_alu instid0(VALU_DEP_1) | instskip(NEXT) | instid1(VALU_DEP_1)
	v_add_f64 v[7:8], v[21:22], v[7:8]
	v_dual_cndmask_b32 v8, v8, v6 :: v_dual_cndmask_b32 v7, v7, v5
	v_cmp_ngt_f64_e32 vcc_lo, -1.0, v[5:6]
	s_delay_alu instid0(VALU_DEP_2) | instskip(SKIP_1) | instid1(VALU_DEP_4)
	v_cndmask_b32_e32 v8, 0x7ff80000, v8, vcc_lo
	v_cmp_nge_f64_e32 vcc_lo, -1.0, v[5:6]
	v_cndmask_b32_e32 v7, 0, v7, vcc_lo
	v_cmp_neq_f64_e32 vcc_lo, -1.0, v[5:6]
	s_delay_alu instid0(VALU_DEP_4) | instskip(NEXT) | instid1(VALU_DEP_1)
	v_cndmask_b32_e32 v8, 0xfff00000, v8, vcc_lo
	v_add_f64 v[5:6], v[3:4], v[7:8]
	s_branch .LBB89_8
.LBB89_11:
	s_nop 0
	s_sendmsg sendmsg(MSG_DEALLOC_VGPRS)
	s_endpgm
	.section	.rodata,"a",@progbits
	.p2align	6, 0x0
	.amdhsa_kernel _ZN2at6native28tensor_kernel_scan_outer_dimIdjZZZNS0_31launch_logcumsumexp_cuda_kernelERKNS_10TensorBaseES4_lENKUlvE_clEvENKUlvE_clEvEUlddE_EEvPT_PKS8_jjjS8_T1_
		.amdhsa_group_segment_fixed_size 0
		.amdhsa_private_segment_fixed_size 0
		.amdhsa_kernarg_size 304
		.amdhsa_user_sgpr_count 14
		.amdhsa_user_sgpr_dispatch_ptr 0
		.amdhsa_user_sgpr_queue_ptr 0
		.amdhsa_user_sgpr_kernarg_segment_ptr 1
		.amdhsa_user_sgpr_dispatch_id 0
		.amdhsa_user_sgpr_private_segment_size 0
		.amdhsa_wavefront_size32 1
		.amdhsa_uses_dynamic_stack 0
		.amdhsa_enable_private_segment 0
		.amdhsa_system_sgpr_workgroup_id_x 1
		.amdhsa_system_sgpr_workgroup_id_y 1
		.amdhsa_system_sgpr_workgroup_id_z 0
		.amdhsa_system_sgpr_workgroup_info 0
		.amdhsa_system_vgpr_workitem_id 0
		.amdhsa_next_free_vgpr 32
		.amdhsa_next_free_sgpr 76
		.amdhsa_reserve_vcc 1
		.amdhsa_float_round_mode_32 0
		.amdhsa_float_round_mode_16_64 0
		.amdhsa_float_denorm_mode_32 3
		.amdhsa_float_denorm_mode_16_64 3
		.amdhsa_dx10_clamp 1
		.amdhsa_ieee_mode 1
		.amdhsa_fp16_overflow 0
		.amdhsa_workgroup_processor_mode 1
		.amdhsa_memory_ordered 1
		.amdhsa_forward_progress 0
		.amdhsa_shared_vgpr_count 0
		.amdhsa_exception_fp_ieee_invalid_op 0
		.amdhsa_exception_fp_denorm_src 0
		.amdhsa_exception_fp_ieee_div_zero 0
		.amdhsa_exception_fp_ieee_overflow 0
		.amdhsa_exception_fp_ieee_underflow 0
		.amdhsa_exception_fp_ieee_inexact 0
		.amdhsa_exception_int_div_zero 0
	.end_amdhsa_kernel
	.section	.text._ZN2at6native28tensor_kernel_scan_outer_dimIdjZZZNS0_31launch_logcumsumexp_cuda_kernelERKNS_10TensorBaseES4_lENKUlvE_clEvENKUlvE_clEvEUlddE_EEvPT_PKS8_jjjS8_T1_,"axG",@progbits,_ZN2at6native28tensor_kernel_scan_outer_dimIdjZZZNS0_31launch_logcumsumexp_cuda_kernelERKNS_10TensorBaseES4_lENKUlvE_clEvENKUlvE_clEvEUlddE_EEvPT_PKS8_jjjS8_T1_,comdat
.Lfunc_end89:
	.size	_ZN2at6native28tensor_kernel_scan_outer_dimIdjZZZNS0_31launch_logcumsumexp_cuda_kernelERKNS_10TensorBaseES4_lENKUlvE_clEvENKUlvE_clEvEUlddE_EEvPT_PKS8_jjjS8_T1_, .Lfunc_end89-_ZN2at6native28tensor_kernel_scan_outer_dimIdjZZZNS0_31launch_logcumsumexp_cuda_kernelERKNS_10TensorBaseES4_lENKUlvE_clEvENKUlvE_clEvEUlddE_EEvPT_PKS8_jjjS8_T1_
                                        ; -- End function
	.section	.AMDGPU.csdata,"",@progbits
; Kernel info:
; codeLenInByte = 2196
; NumSgprs: 78
; NumVgprs: 32
; ScratchSize: 0
; MemoryBound: 0
; FloatMode: 240
; IeeeMode: 1
; LDSByteSize: 0 bytes/workgroup (compile time only)
; SGPRBlocks: 9
; VGPRBlocks: 3
; NumSGPRsForWavesPerEU: 78
; NumVGPRsForWavesPerEU: 32
; Occupancy: 16
; WaveLimiterHint : 0
; COMPUTE_PGM_RSRC2:SCRATCH_EN: 0
; COMPUTE_PGM_RSRC2:USER_SGPR: 14
; COMPUTE_PGM_RSRC2:TRAP_HANDLER: 0
; COMPUTE_PGM_RSRC2:TGID_X_EN: 1
; COMPUTE_PGM_RSRC2:TGID_Y_EN: 1
; COMPUTE_PGM_RSRC2:TGID_Z_EN: 0
; COMPUTE_PGM_RSRC2:TIDIG_COMP_CNT: 0
	.section	.text._ZN2at6native28tensor_kernel_scan_outer_dimIdmZZZNS0_31launch_logcumsumexp_cuda_kernelERKNS_10TensorBaseES4_lENKUlvE_clEvENKUlvE_clEvEUlddE_EEvPT_PKS8_jjjS8_T1_,"axG",@progbits,_ZN2at6native28tensor_kernel_scan_outer_dimIdmZZZNS0_31launch_logcumsumexp_cuda_kernelERKNS_10TensorBaseES4_lENKUlvE_clEvENKUlvE_clEvEUlddE_EEvPT_PKS8_jjjS8_T1_,comdat
	.globl	_ZN2at6native28tensor_kernel_scan_outer_dimIdmZZZNS0_31launch_logcumsumexp_cuda_kernelERKNS_10TensorBaseES4_lENKUlvE_clEvENKUlvE_clEvEUlddE_EEvPT_PKS8_jjjS8_T1_ ; -- Begin function _ZN2at6native28tensor_kernel_scan_outer_dimIdmZZZNS0_31launch_logcumsumexp_cuda_kernelERKNS_10TensorBaseES4_lENKUlvE_clEvENKUlvE_clEvEUlddE_EEvPT_PKS8_jjjS8_T1_
	.p2align	8
	.type	_ZN2at6native28tensor_kernel_scan_outer_dimIdmZZZNS0_31launch_logcumsumexp_cuda_kernelERKNS_10TensorBaseES4_lENKUlvE_clEvENKUlvE_clEvEUlddE_EEvPT_PKS8_jjjS8_T1_,@function
_ZN2at6native28tensor_kernel_scan_outer_dimIdmZZZNS0_31launch_logcumsumexp_cuda_kernelERKNS_10TensorBaseES4_lENKUlvE_clEvENKUlvE_clEvEUlddE_EEvPT_PKS8_jjjS8_T1_: ; @_ZN2at6native28tensor_kernel_scan_outer_dimIdmZZZNS0_31launch_logcumsumexp_cuda_kernelERKNS_10TensorBaseES4_lENKUlvE_clEvENKUlvE_clEvEUlddE_EEvPT_PKS8_jjjS8_T1_
; %bb.0:
	s_load_b128 s[4:7], s[0:1], 0x10
	s_waitcnt lgkmcnt(0)
	s_cmp_ge_u32 s14, s4
	s_cbranch_scc1 .LBB90_11
; %bb.1:
	s_clause 0x3
	s_load_b32 s26, s[0:1], 0x3c
	s_load_b32 s7, s[0:1], 0x30
	s_load_b128 s[8:11], s[0:1], 0x0
	s_load_b64 s[2:3], s[0:1], 0x20
	s_add_u32 s12, s0, 48
	s_addc_u32 s13, s1, 0
	v_mov_b32_e32 v3, 0
	s_mov_b32 s31, 0
	s_mov_b32 s30, s5
	s_mul_hi_u32 s29, s6, s5
	s_mul_i32 s28, s6, s5
	s_mov_b32 s16, 0x652b82fe
	s_mov_b32 s18, 0xfefa39ef
	;; [unrolled: 1-line block ×9, first 2 shown]
	s_waitcnt lgkmcnt(0)
	s_and_b32 s33, s26, 0xffff
	s_cmp_lg_u32 s6, 0
	v_mad_u64_u32 v[1:2], null, s15, s33, v[0:1]
	s_mov_b32 s26, 0x623fde64
	s_mov_b32 s42, 0x555502a1
	;; [unrolled: 1-line block ×6, first 2 shown]
	s_delay_alu instid0(VALU_DEP_1)
	v_cmp_gt_u32_e64 s0, s5, v1
	s_mov_b32 s52, 0xbf559e2b
	s_mov_b32 s54, 0xd7f4df2e
	;; [unrolled: 1-line block ×11, first 2 shown]
	s_cselect_b32 s15, -1, 0
	s_lshl_b64 s[28:29], s[28:29], 3
	s_lshl_b64 s[30:31], s[30:31], 3
	s_mov_b32 s35, 0x3efa0199
	s_mov_b32 s37, 0x3f2a01a0
	;; [unrolled: 1-line block ×17, first 2 shown]
	s_branch .LBB90_3
.LBB90_2:                               ;   in Loop: Header=BB90_3 Depth=1
	s_or_b32 exec_lo, exec_lo, s68
	s_add_i32 s14, s14, s7
	s_delay_alu instid0(SALU_CYCLE_1)
	s_cmp_ge_u32 s14, s4
	s_cbranch_scc1 .LBB90_11
.LBB90_3:                               ; =>This Loop Header: Depth=1
                                        ;     Child Loop BB90_6 Depth 2
                                        ;       Child Loop BB90_9 Depth 3
	s_and_saveexec_b32 s68, s0
	s_cbranch_execz .LBB90_2
; %bb.4:                                ;   in Loop: Header=BB90_3 Depth=1
	s_load_b32 s71, s[12:13], 0x4
	v_mov_b32_e32 v2, v1
	s_mul_i32 s1, s29, s14
	s_mul_hi_u32 s63, s28, s14
	s_mul_i32 s69, s28, s14
	s_add_i32 s70, s63, s1
	s_mov_b32 s72, 0
	s_waitcnt lgkmcnt(0)
	s_mul_i32 s71, s71, s33
	s_branch .LBB90_6
.LBB90_5:                               ;   in Loop: Header=BB90_6 Depth=2
	v_add_nc_u32_e32 v2, s71, v2
	s_delay_alu instid0(VALU_DEP_1) | instskip(SKIP_1) | instid1(SALU_CYCLE_1)
	v_cmp_le_u32_e32 vcc_lo, s5, v2
	s_or_b32 s72, vcc_lo, s72
	s_and_not1_b32 exec_lo, exec_lo, s72
	s_cbranch_execz .LBB90_2
.LBB90_6:                               ;   Parent Loop BB90_3 Depth=1
                                        ; =>  This Loop Header: Depth=2
                                        ;       Child Loop BB90_9 Depth 3
	s_and_not1_b32 vcc_lo, exec_lo, s15
	s_cbranch_vccnz .LBB90_5
; %bb.7:                                ;   in Loop: Header=BB90_6 Depth=2
	v_lshlrev_b64 v[4:5], 3, v[2:3]
	v_dual_mov_b32 v7, s3 :: v_dual_mov_b32 v6, s2
	s_mov_b32 s73, s6
	s_delay_alu instid0(VALU_DEP_2) | instskip(NEXT) | instid1(VALU_DEP_3)
	v_add_co_u32 v0, vcc_lo, s69, v4
	v_add_co_ci_u32_e32 v10, vcc_lo, s70, v5, vcc_lo
	s_branch .LBB90_9
.LBB90_8:                               ;   in Loop: Header=BB90_9 Depth=3
	s_or_b32 exec_lo, exec_lo, s74
	v_add_co_u32 v4, vcc_lo, s8, v0
	v_add_co_ci_u32_e32 v5, vcc_lo, s9, v10, vcc_lo
	v_add_co_u32 v0, vcc_lo, v0, s30
	v_add_co_ci_u32_e32 v10, vcc_lo, s31, v10, vcc_lo
	s_add_i32 s73, s73, -1
	global_store_b64 v[4:5], v[6:7], off
	s_cmp_eq_u32 s73, 0
	s_cbranch_scc1 .LBB90_5
.LBB90_9:                               ;   Parent Loop BB90_3 Depth=1
                                        ;     Parent Loop BB90_6 Depth=2
                                        ; =>    This Inner Loop Header: Depth=3
	s_delay_alu instid0(VALU_DEP_2) | instskip(NEXT) | instid1(VALU_DEP_2)
	v_add_co_u32 v4, vcc_lo, s10, v0
	v_add_co_ci_u32_e32 v5, vcc_lo, s11, v10, vcc_lo
	v_max_f64 v[8:9], v[6:7], v[6:7]
	v_cmp_u_f64_e32 vcc_lo, v[6:7], v[6:7]
	global_load_b64 v[4:5], v[4:5], off
	s_waitcnt vmcnt(0)
	v_max_f64 v[11:12], v[4:5], v[4:5]
	v_cmp_u_f64_e64 s1, v[4:5], v[4:5]
	s_delay_alu instid0(VALU_DEP_2) | instskip(SKIP_1) | instid1(VALU_DEP_2)
	v_min_f64 v[13:14], v[8:9], v[11:12]
	v_max_f64 v[8:9], v[8:9], v[11:12]
	v_dual_cndmask_b32 v11, v13, v6 :: v_dual_cndmask_b32 v12, v14, v7
	s_delay_alu instid0(VALU_DEP_2) | instskip(NEXT) | instid1(VALU_DEP_2)
	v_dual_cndmask_b32 v13, v9, v7 :: v_dual_cndmask_b32 v14, v8, v6
	v_cndmask_b32_e64 v8, v11, v4, s1
	s_delay_alu instid0(VALU_DEP_3) | instskip(NEXT) | instid1(VALU_DEP_3)
	v_cndmask_b32_e64 v9, v12, v5, s1
	v_cndmask_b32_e64 v5, v13, v5, s1
	s_delay_alu instid0(VALU_DEP_4) | instskip(NEXT) | instid1(VALU_DEP_3)
	v_cndmask_b32_e64 v4, v14, v4, s1
	v_cmp_class_f64_e64 s1, v[8:9], 0x1f8
	s_delay_alu instid0(VALU_DEP_2) | instskip(NEXT) | instid1(VALU_DEP_2)
	v_cmp_neq_f64_e32 vcc_lo, v[8:9], v[4:5]
	s_or_b32 s1, vcc_lo, s1
	s_delay_alu instid0(SALU_CYCLE_1)
	s_and_saveexec_b32 s74, s1
	s_cbranch_execz .LBB90_8
; %bb.10:                               ;   in Loop: Header=BB90_9 Depth=3
	v_add_f64 v[6:7], v[8:9], -v[4:5]
	s_mov_b32 s63, s49
	s_mov_b32 s64, s18
	;; [unrolled: 1-line block ×3, first 2 shown]
	s_delay_alu instid0(VALU_DEP_1) | instskip(SKIP_2) | instid1(VALU_DEP_3)
	v_mul_f64 v[8:9], v[6:7], s[16:17]
	v_cmp_nlt_f64_e32 vcc_lo, 0x40900000, v[6:7]
	v_cmp_ngt_f64_e64 s1, 0xc090cc00, v[6:7]
	v_rndne_f64_e32 v[8:9], v[8:9]
	s_delay_alu instid0(VALU_DEP_1) | instskip(SKIP_1) | instid1(VALU_DEP_2)
	v_fma_f64 v[11:12], v[8:9], s[18:19], v[6:7]
	v_cvt_i32_f64_e32 v15, v[8:9]
	v_fma_f64 v[11:12], v[8:9], s[20:21], v[11:12]
	s_delay_alu instid0(VALU_DEP_1) | instskip(NEXT) | instid1(VALU_DEP_1)
	v_fma_f64 v[13:14], v[11:12], s[24:25], s[22:23]
	v_fma_f64 v[13:14], v[11:12], v[13:14], s[26:27]
	s_delay_alu instid0(VALU_DEP_1) | instskip(NEXT) | instid1(VALU_DEP_1)
	v_fma_f64 v[13:14], v[11:12], v[13:14], s[34:35]
	;; [unrolled: 3-line block ×5, first 2 shown]
	v_fma_f64 v[13:14], v[11:12], v[13:14], 1.0
	s_delay_alu instid0(VALU_DEP_1) | instskip(NEXT) | instid1(VALU_DEP_1)
	v_fma_f64 v[8:9], v[11:12], v[13:14], 1.0
	v_ldexp_f64 v[8:9], v[8:9], v15
	s_delay_alu instid0(VALU_DEP_1) | instskip(SKIP_1) | instid1(VALU_DEP_1)
	v_cndmask_b32_e32 v9, 0x7ff00000, v9, vcc_lo
	s_and_b32 vcc_lo, s1, vcc_lo
	v_cndmask_b32_e64 v7, 0, v9, s1
	s_delay_alu instid0(VALU_DEP_3) | instskip(NEXT) | instid1(VALU_DEP_1)
	v_cndmask_b32_e32 v6, 0, v8, vcc_lo
	v_add_f64 v[8:9], v[6:7], 1.0
	s_delay_alu instid0(VALU_DEP_1) | instskip(SKIP_2) | instid1(VALU_DEP_3)
	v_frexp_mant_f64_e32 v[11:12], v[8:9]
	v_frexp_exp_i32_f64_e32 v15, v[8:9]
	v_add_f64 v[13:14], v[8:9], -1.0
	v_cmp_gt_f64_e32 vcc_lo, s[48:49], v[11:12]
	s_delay_alu instid0(VALU_DEP_2) | instskip(SKIP_2) | instid1(VALU_DEP_3)
	v_add_f64 v[11:12], v[13:14], -v[8:9]
	v_add_f64 v[13:14], v[6:7], -v[13:14]
	v_subrev_co_ci_u32_e32 v31, vcc_lo, 0, v15, vcc_lo
	v_add_f64 v[11:12], v[11:12], 1.0
	v_cmp_eq_f64_e32 vcc_lo, 0x7ff00000, v[6:7]
	s_delay_alu instid0(VALU_DEP_3) | instskip(NEXT) | instid1(VALU_DEP_1)
	v_sub_nc_u32_e32 v17, 0, v31
	v_ldexp_f64 v[8:9], v[8:9], v17
	s_delay_alu instid0(VALU_DEP_4) | instskip(NEXT) | instid1(VALU_DEP_2)
	v_add_f64 v[11:12], v[13:14], v[11:12]
	v_add_f64 v[15:16], v[8:9], 1.0
	v_add_f64 v[21:22], v[8:9], -1.0
	s_delay_alu instid0(VALU_DEP_3) | instskip(NEXT) | instid1(VALU_DEP_3)
	v_ldexp_f64 v[11:12], v[11:12], v17
	v_add_f64 v[13:14], v[15:16], -1.0
	s_delay_alu instid0(VALU_DEP_3) | instskip(NEXT) | instid1(VALU_DEP_2)
	v_add_f64 v[23:24], v[21:22], 1.0
	v_add_f64 v[13:14], v[8:9], -v[13:14]
	s_delay_alu instid0(VALU_DEP_2) | instskip(NEXT) | instid1(VALU_DEP_2)
	v_add_f64 v[8:9], v[8:9], -v[23:24]
	v_add_f64 v[13:14], v[11:12], v[13:14]
	s_delay_alu instid0(VALU_DEP_2) | instskip(NEXT) | instid1(VALU_DEP_2)
	v_add_f64 v[8:9], v[11:12], v[8:9]
	v_add_f64 v[17:18], v[15:16], v[13:14]
	s_delay_alu instid0(VALU_DEP_2) | instskip(NEXT) | instid1(VALU_DEP_2)
	v_add_f64 v[23:24], v[21:22], v[8:9]
	v_rcp_f64_e32 v[19:20], v[17:18]
	v_add_f64 v[15:16], v[17:18], -v[15:16]
	s_delay_alu instid0(VALU_DEP_2) | instskip(NEXT) | instid1(VALU_DEP_2)
	v_add_f64 v[21:22], v[23:24], -v[21:22]
	v_add_f64 v[13:14], v[13:14], -v[15:16]
	s_waitcnt_depctr 0xfff
	v_fma_f64 v[25:26], -v[17:18], v[19:20], 1.0
	v_add_f64 v[8:9], v[8:9], -v[21:22]
	s_delay_alu instid0(VALU_DEP_2) | instskip(NEXT) | instid1(VALU_DEP_1)
	v_fma_f64 v[19:20], v[25:26], v[19:20], v[19:20]
	v_fma_f64 v[11:12], -v[17:18], v[19:20], 1.0
	s_delay_alu instid0(VALU_DEP_1) | instskip(NEXT) | instid1(VALU_DEP_1)
	v_fma_f64 v[11:12], v[11:12], v[19:20], v[19:20]
	v_mul_f64 v[19:20], v[23:24], v[11:12]
	s_delay_alu instid0(VALU_DEP_1) | instskip(NEXT) | instid1(VALU_DEP_1)
	v_mul_f64 v[25:26], v[17:18], v[19:20]
	v_fma_f64 v[15:16], v[19:20], v[17:18], -v[25:26]
	s_delay_alu instid0(VALU_DEP_1) | instskip(NEXT) | instid1(VALU_DEP_1)
	v_fma_f64 v[15:16], v[19:20], v[13:14], v[15:16]
	v_add_f64 v[27:28], v[25:26], v[15:16]
	s_delay_alu instid0(VALU_DEP_1) | instskip(SKIP_1) | instid1(VALU_DEP_2)
	v_add_f64 v[29:30], v[23:24], -v[27:28]
	v_add_f64 v[21:22], v[27:28], -v[25:26]
	;; [unrolled: 1-line block ×3, first 2 shown]
	s_delay_alu instid0(VALU_DEP_2) | instskip(NEXT) | instid1(VALU_DEP_2)
	v_add_f64 v[15:16], v[21:22], -v[15:16]
	v_add_f64 v[23:24], v[23:24], -v[27:28]
	s_delay_alu instid0(VALU_DEP_1) | instskip(NEXT) | instid1(VALU_DEP_1)
	v_add_f64 v[8:9], v[8:9], v[23:24]
	v_add_f64 v[8:9], v[15:16], v[8:9]
	s_delay_alu instid0(VALU_DEP_1) | instskip(NEXT) | instid1(VALU_DEP_1)
	v_add_f64 v[15:16], v[29:30], v[8:9]
	v_mul_f64 v[21:22], v[11:12], v[15:16]
	v_add_f64 v[27:28], v[29:30], -v[15:16]
	s_delay_alu instid0(VALU_DEP_2) | instskip(NEXT) | instid1(VALU_DEP_2)
	v_mul_f64 v[23:24], v[17:18], v[21:22]
	v_add_f64 v[8:9], v[8:9], v[27:28]
	s_delay_alu instid0(VALU_DEP_2) | instskip(NEXT) | instid1(VALU_DEP_1)
	v_fma_f64 v[17:18], v[21:22], v[17:18], -v[23:24]
	v_fma_f64 v[13:14], v[21:22], v[13:14], v[17:18]
	s_delay_alu instid0(VALU_DEP_1) | instskip(NEXT) | instid1(VALU_DEP_1)
	v_add_f64 v[17:18], v[23:24], v[13:14]
	v_add_f64 v[25:26], v[15:16], -v[17:18]
	v_add_f64 v[23:24], v[17:18], -v[23:24]
	s_delay_alu instid0(VALU_DEP_2) | instskip(NEXT) | instid1(VALU_DEP_2)
	v_add_f64 v[15:16], v[15:16], -v[25:26]
	v_add_f64 v[13:14], v[23:24], -v[13:14]
	s_delay_alu instid0(VALU_DEP_2) | instskip(NEXT) | instid1(VALU_DEP_1)
	v_add_f64 v[15:16], v[15:16], -v[17:18]
	v_add_f64 v[8:9], v[8:9], v[15:16]
	v_add_f64 v[15:16], v[19:20], v[21:22]
	s_delay_alu instid0(VALU_DEP_2) | instskip(NEXT) | instid1(VALU_DEP_2)
	v_add_f64 v[8:9], v[13:14], v[8:9]
	v_add_f64 v[13:14], v[15:16], -v[19:20]
	s_delay_alu instid0(VALU_DEP_2) | instskip(NEXT) | instid1(VALU_DEP_2)
	v_add_f64 v[8:9], v[25:26], v[8:9]
	v_add_f64 v[13:14], v[21:22], -v[13:14]
	s_delay_alu instid0(VALU_DEP_2) | instskip(NEXT) | instid1(VALU_DEP_1)
	v_mul_f64 v[8:9], v[11:12], v[8:9]
	v_add_f64 v[8:9], v[13:14], v[8:9]
	s_delay_alu instid0(VALU_DEP_1) | instskip(NEXT) | instid1(VALU_DEP_1)
	v_add_f64 v[11:12], v[15:16], v[8:9]
	v_mul_f64 v[13:14], v[11:12], v[11:12]
	s_delay_alu instid0(VALU_DEP_1) | instskip(SKIP_1) | instid1(VALU_DEP_2)
	v_fma_f64 v[17:18], v[13:14], s[52:53], s[50:51]
	v_mul_f64 v[19:20], v[11:12], v[13:14]
	v_fma_f64 v[17:18], v[13:14], v[17:18], s[54:55]
	s_delay_alu instid0(VALU_DEP_1) | instskip(NEXT) | instid1(VALU_DEP_1)
	v_fma_f64 v[17:18], v[13:14], v[17:18], s[56:57]
	v_fma_f64 v[17:18], v[13:14], v[17:18], s[58:59]
	s_delay_alu instid0(VALU_DEP_1) | instskip(NEXT) | instid1(VALU_DEP_1)
	v_fma_f64 v[17:18], v[13:14], v[17:18], s[60:61]
	v_fma_f64 v[13:14], v[13:14], v[17:18], s[62:63]
	v_ldexp_f64 v[17:18], v[11:12], 1
	v_add_f64 v[11:12], v[11:12], -v[15:16]
	s_delay_alu instid0(VALU_DEP_3) | instskip(SKIP_1) | instid1(VALU_DEP_3)
	v_mul_f64 v[13:14], v[19:20], v[13:14]
	v_cvt_f64_i32_e32 v[19:20], v31
	v_add_f64 v[8:9], v[8:9], -v[11:12]
	s_delay_alu instid0(VALU_DEP_3) | instskip(NEXT) | instid1(VALU_DEP_3)
	v_add_f64 v[15:16], v[17:18], v[13:14]
	v_mul_f64 v[21:22], v[19:20], s[64:65]
	s_delay_alu instid0(VALU_DEP_3) | instskip(NEXT) | instid1(VALU_DEP_3)
	v_ldexp_f64 v[8:9], v[8:9], 1
	v_add_f64 v[11:12], v[15:16], -v[17:18]
	s_delay_alu instid0(VALU_DEP_3) | instskip(NEXT) | instid1(VALU_DEP_2)
	v_fma_f64 v[17:18], v[19:20], s[64:65], -v[21:22]
	v_add_f64 v[11:12], v[13:14], -v[11:12]
	s_delay_alu instid0(VALU_DEP_2) | instskip(NEXT) | instid1(VALU_DEP_2)
	v_fma_f64 v[13:14], v[19:20], s[66:67], v[17:18]
	v_add_f64 v[8:9], v[8:9], v[11:12]
	s_delay_alu instid0(VALU_DEP_2) | instskip(NEXT) | instid1(VALU_DEP_2)
	v_add_f64 v[11:12], v[21:22], v[13:14]
	v_add_f64 v[17:18], v[15:16], v[8:9]
	s_delay_alu instid0(VALU_DEP_2) | instskip(NEXT) | instid1(VALU_DEP_2)
	v_add_f64 v[21:22], v[11:12], -v[21:22]
	v_add_f64 v[19:20], v[11:12], v[17:18]
	v_add_f64 v[15:16], v[17:18], -v[15:16]
	s_delay_alu instid0(VALU_DEP_3) | instskip(NEXT) | instid1(VALU_DEP_3)
	v_add_f64 v[13:14], v[13:14], -v[21:22]
	v_add_f64 v[23:24], v[19:20], -v[11:12]
	s_delay_alu instid0(VALU_DEP_3) | instskip(NEXT) | instid1(VALU_DEP_2)
	v_add_f64 v[8:9], v[8:9], -v[15:16]
	v_add_f64 v[25:26], v[19:20], -v[23:24]
	;; [unrolled: 1-line block ×3, first 2 shown]
	s_delay_alu instid0(VALU_DEP_3) | instskip(NEXT) | instid1(VALU_DEP_3)
	v_add_f64 v[17:18], v[13:14], v[8:9]
	v_add_f64 v[11:12], v[11:12], -v[25:26]
	s_delay_alu instid0(VALU_DEP_1) | instskip(NEXT) | instid1(VALU_DEP_3)
	v_add_f64 v[11:12], v[15:16], v[11:12]
	v_add_f64 v[15:16], v[17:18], -v[13:14]
	s_delay_alu instid0(VALU_DEP_2) | instskip(NEXT) | instid1(VALU_DEP_2)
	v_add_f64 v[11:12], v[17:18], v[11:12]
	v_add_f64 v[17:18], v[17:18], -v[15:16]
	v_add_f64 v[8:9], v[8:9], -v[15:16]
	s_delay_alu instid0(VALU_DEP_3) | instskip(NEXT) | instid1(VALU_DEP_3)
	v_add_f64 v[21:22], v[19:20], v[11:12]
	v_add_f64 v[13:14], v[13:14], -v[17:18]
	s_delay_alu instid0(VALU_DEP_2) | instskip(NEXT) | instid1(VALU_DEP_2)
	v_add_f64 v[15:16], v[21:22], -v[19:20]
	v_add_f64 v[8:9], v[8:9], v[13:14]
	s_delay_alu instid0(VALU_DEP_2) | instskip(NEXT) | instid1(VALU_DEP_1)
	v_add_f64 v[11:12], v[11:12], -v[15:16]
	v_add_f64 v[8:9], v[8:9], v[11:12]
	s_delay_alu instid0(VALU_DEP_1) | instskip(NEXT) | instid1(VALU_DEP_1)
	v_add_f64 v[8:9], v[21:22], v[8:9]
	v_dual_cndmask_b32 v9, v9, v7 :: v_dual_cndmask_b32 v8, v8, v6
	v_cmp_ngt_f64_e32 vcc_lo, -1.0, v[6:7]
	s_delay_alu instid0(VALU_DEP_2) | instskip(SKIP_1) | instid1(VALU_DEP_4)
	v_cndmask_b32_e32 v9, 0x7ff80000, v9, vcc_lo
	v_cmp_nge_f64_e32 vcc_lo, -1.0, v[6:7]
	v_cndmask_b32_e32 v8, 0, v8, vcc_lo
	v_cmp_neq_f64_e32 vcc_lo, -1.0, v[6:7]
	s_delay_alu instid0(VALU_DEP_4) | instskip(NEXT) | instid1(VALU_DEP_1)
	v_cndmask_b32_e32 v9, 0xfff00000, v9, vcc_lo
	v_add_f64 v[6:7], v[4:5], v[8:9]
	s_branch .LBB90_8
.LBB90_11:
	s_nop 0
	s_sendmsg sendmsg(MSG_DEALLOC_VGPRS)
	s_endpgm
	.section	.rodata,"a",@progbits
	.p2align	6, 0x0
	.amdhsa_kernel _ZN2at6native28tensor_kernel_scan_outer_dimIdmZZZNS0_31launch_logcumsumexp_cuda_kernelERKNS_10TensorBaseES4_lENKUlvE_clEvENKUlvE_clEvEUlddE_EEvPT_PKS8_jjjS8_T1_
		.amdhsa_group_segment_fixed_size 0
		.amdhsa_private_segment_fixed_size 0
		.amdhsa_kernarg_size 304
		.amdhsa_user_sgpr_count 14
		.amdhsa_user_sgpr_dispatch_ptr 0
		.amdhsa_user_sgpr_queue_ptr 0
		.amdhsa_user_sgpr_kernarg_segment_ptr 1
		.amdhsa_user_sgpr_dispatch_id 0
		.amdhsa_user_sgpr_private_segment_size 0
		.amdhsa_wavefront_size32 1
		.amdhsa_uses_dynamic_stack 0
		.amdhsa_enable_private_segment 0
		.amdhsa_system_sgpr_workgroup_id_x 1
		.amdhsa_system_sgpr_workgroup_id_y 1
		.amdhsa_system_sgpr_workgroup_id_z 0
		.amdhsa_system_sgpr_workgroup_info 0
		.amdhsa_system_vgpr_workitem_id 0
		.amdhsa_next_free_vgpr 32
		.amdhsa_next_free_sgpr 75
		.amdhsa_reserve_vcc 1
		.amdhsa_float_round_mode_32 0
		.amdhsa_float_round_mode_16_64 0
		.amdhsa_float_denorm_mode_32 3
		.amdhsa_float_denorm_mode_16_64 3
		.amdhsa_dx10_clamp 1
		.amdhsa_ieee_mode 1
		.amdhsa_fp16_overflow 0
		.amdhsa_workgroup_processor_mode 1
		.amdhsa_memory_ordered 1
		.amdhsa_forward_progress 0
		.amdhsa_shared_vgpr_count 0
		.amdhsa_exception_fp_ieee_invalid_op 0
		.amdhsa_exception_fp_denorm_src 0
		.amdhsa_exception_fp_ieee_div_zero 0
		.amdhsa_exception_fp_ieee_overflow 0
		.amdhsa_exception_fp_ieee_underflow 0
		.amdhsa_exception_fp_ieee_inexact 0
		.amdhsa_exception_int_div_zero 0
	.end_amdhsa_kernel
	.section	.text._ZN2at6native28tensor_kernel_scan_outer_dimIdmZZZNS0_31launch_logcumsumexp_cuda_kernelERKNS_10TensorBaseES4_lENKUlvE_clEvENKUlvE_clEvEUlddE_EEvPT_PKS8_jjjS8_T1_,"axG",@progbits,_ZN2at6native28tensor_kernel_scan_outer_dimIdmZZZNS0_31launch_logcumsumexp_cuda_kernelERKNS_10TensorBaseES4_lENKUlvE_clEvENKUlvE_clEvEUlddE_EEvPT_PKS8_jjjS8_T1_,comdat
.Lfunc_end90:
	.size	_ZN2at6native28tensor_kernel_scan_outer_dimIdmZZZNS0_31launch_logcumsumexp_cuda_kernelERKNS_10TensorBaseES4_lENKUlvE_clEvENKUlvE_clEvEUlddE_EEvPT_PKS8_jjjS8_T1_, .Lfunc_end90-_ZN2at6native28tensor_kernel_scan_outer_dimIdmZZZNS0_31launch_logcumsumexp_cuda_kernelERKNS_10TensorBaseES4_lENKUlvE_clEvENKUlvE_clEvEUlddE_EEvPT_PKS8_jjjS8_T1_
                                        ; -- End function
	.section	.AMDGPU.csdata,"",@progbits
; Kernel info:
; codeLenInByte = 2200
; NumSgprs: 77
; NumVgprs: 32
; ScratchSize: 0
; MemoryBound: 0
; FloatMode: 240
; IeeeMode: 1
; LDSByteSize: 0 bytes/workgroup (compile time only)
; SGPRBlocks: 9
; VGPRBlocks: 3
; NumSGPRsForWavesPerEU: 77
; NumVGPRsForWavesPerEU: 32
; Occupancy: 16
; WaveLimiterHint : 0
; COMPUTE_PGM_RSRC2:SCRATCH_EN: 0
; COMPUTE_PGM_RSRC2:USER_SGPR: 14
; COMPUTE_PGM_RSRC2:TRAP_HANDLER: 0
; COMPUTE_PGM_RSRC2:TGID_X_EN: 1
; COMPUTE_PGM_RSRC2:TGID_Y_EN: 1
; COMPUTE_PGM_RSRC2:TGID_Z_EN: 0
; COMPUTE_PGM_RSRC2:TIDIG_COMP_CNT: 0
	.section	.text._ZN7rocprim17ROCPRIM_400000_NS6detail31init_lookback_scan_state_kernelINS1_19lookback_scan_stateIfLb0ELb1EEENS1_16block_id_wrapperIjLb0EEEEEvT_jT0_jPNS7_10value_typeE,"axG",@progbits,_ZN7rocprim17ROCPRIM_400000_NS6detail31init_lookback_scan_state_kernelINS1_19lookback_scan_stateIfLb0ELb1EEENS1_16block_id_wrapperIjLb0EEEEEvT_jT0_jPNS7_10value_typeE,comdat
	.protected	_ZN7rocprim17ROCPRIM_400000_NS6detail31init_lookback_scan_state_kernelINS1_19lookback_scan_stateIfLb0ELb1EEENS1_16block_id_wrapperIjLb0EEEEEvT_jT0_jPNS7_10value_typeE ; -- Begin function _ZN7rocprim17ROCPRIM_400000_NS6detail31init_lookback_scan_state_kernelINS1_19lookback_scan_stateIfLb0ELb1EEENS1_16block_id_wrapperIjLb0EEEEEvT_jT0_jPNS7_10value_typeE
	.globl	_ZN7rocprim17ROCPRIM_400000_NS6detail31init_lookback_scan_state_kernelINS1_19lookback_scan_stateIfLb0ELb1EEENS1_16block_id_wrapperIjLb0EEEEEvT_jT0_jPNS7_10value_typeE
	.p2align	8
	.type	_ZN7rocprim17ROCPRIM_400000_NS6detail31init_lookback_scan_state_kernelINS1_19lookback_scan_stateIfLb0ELb1EEENS1_16block_id_wrapperIjLb0EEEEEvT_jT0_jPNS7_10value_typeE,@function
_ZN7rocprim17ROCPRIM_400000_NS6detail31init_lookback_scan_state_kernelINS1_19lookback_scan_stateIfLb0ELb1EEENS1_16block_id_wrapperIjLb0EEEEEvT_jT0_jPNS7_10value_typeE: ; @_ZN7rocprim17ROCPRIM_400000_NS6detail31init_lookback_scan_state_kernelINS1_19lookback_scan_stateIfLb0ELb1EEENS1_16block_id_wrapperIjLb0EEEEEvT_jT0_jPNS7_10value_typeE
; %bb.0:
	s_clause 0x3
	s_load_b32 s7, s[0:1], 0x2c
	s_load_b64 s[4:5], s[0:1], 0x18
	s_load_b64 s[2:3], s[0:1], 0x0
	s_load_b32 s6, s[0:1], 0x8
	s_waitcnt lgkmcnt(0)
	s_and_b32 s7, s7, 0xffff
	s_cmp_eq_u64 s[4:5], 0
	v_mad_u64_u32 v[1:2], null, s15, s7, v[0:1]
	s_cbranch_scc1 .LBB91_6
; %bb.1:
	s_load_b32 s0, s[0:1], 0x10
	s_waitcnt lgkmcnt(0)
	s_cmp_lt_u32 s0, s6
	s_cselect_b32 s1, s0, 0
	s_delay_alu instid0(VALU_DEP_1) | instid1(SALU_CYCLE_1)
	v_cmp_eq_u32_e32 vcc_lo, s1, v1
	s_mov_b32 s1, 0
	s_and_saveexec_b32 s7, vcc_lo
	s_cbranch_execz .LBB91_5
; %bb.2:
	s_add_i32 s0, s0, 32
	v_mov_b32_e32 v4, 0
	s_lshl_b64 s[0:1], s[0:1], 3
	s_delay_alu instid0(SALU_CYCLE_1) | instskip(SKIP_4) | instid1(VALU_DEP_1)
	s_add_u32 s0, s2, s0
	s_addc_u32 s1, s3, s1
	global_load_b64 v[2:3], v4, s[0:1] glc
	s_waitcnt vmcnt(0)
	v_and_b32_e32 v5, 0xff, v3
	v_cmp_ne_u64_e32 vcc_lo, 0, v[4:5]
	s_cbranch_vccnz .LBB91_4
.LBB91_3:                               ; =>This Inner Loop Header: Depth=1
	global_load_b64 v[2:3], v4, s[0:1] glc
	s_waitcnt vmcnt(0)
	v_and_b32_e32 v5, 0xff, v3
	s_delay_alu instid0(VALU_DEP_1)
	v_cmp_eq_u64_e32 vcc_lo, 0, v[4:5]
	s_cbranch_vccnz .LBB91_3
.LBB91_4:
	v_mov_b32_e32 v0, 0
	global_store_b32 v0, v2, s[4:5]
.LBB91_5:
	s_or_b32 exec_lo, exec_lo, s7
.LBB91_6:
	s_delay_alu instid0(SALU_CYCLE_1) | instskip(NEXT) | instid1(VALU_DEP_1)
	s_mov_b32 s0, exec_lo
	v_cmpx_gt_u32_e64 s6, v1
	s_cbranch_execz .LBB91_8
; %bb.7:
	v_dual_mov_b32 v3, 0 :: v_dual_add_nc_u32 v2, 32, v1
	s_delay_alu instid0(VALU_DEP_1) | instskip(SKIP_1) | instid1(VALU_DEP_2)
	v_lshlrev_b64 v[4:5], 3, v[2:3]
	v_mov_b32_e32 v2, v3
	v_add_co_u32 v4, vcc_lo, s2, v4
	s_delay_alu instid0(VALU_DEP_3)
	v_add_co_ci_u32_e32 v5, vcc_lo, s3, v5, vcc_lo
	global_store_b64 v[4:5], v[2:3], off
.LBB91_8:
	s_or_b32 exec_lo, exec_lo, s0
	s_delay_alu instid0(SALU_CYCLE_1)
	s_mov_b32 s0, exec_lo
	v_cmpx_gt_u32_e32 32, v1
	s_cbranch_execz .LBB91_10
; %bb.9:
	v_dual_mov_b32 v2, 0 :: v_dual_mov_b32 v3, 0xff
	s_delay_alu instid0(VALU_DEP_1) | instskip(NEXT) | instid1(VALU_DEP_1)
	v_lshlrev_b64 v[0:1], 3, v[1:2]
	v_add_co_u32 v0, vcc_lo, s2, v0
	s_delay_alu instid0(VALU_DEP_2)
	v_add_co_ci_u32_e32 v1, vcc_lo, s3, v1, vcc_lo
	global_store_b64 v[0:1], v[2:3], off
.LBB91_10:
	s_nop 0
	s_sendmsg sendmsg(MSG_DEALLOC_VGPRS)
	s_endpgm
	.section	.rodata,"a",@progbits
	.p2align	6, 0x0
	.amdhsa_kernel _ZN7rocprim17ROCPRIM_400000_NS6detail31init_lookback_scan_state_kernelINS1_19lookback_scan_stateIfLb0ELb1EEENS1_16block_id_wrapperIjLb0EEEEEvT_jT0_jPNS7_10value_typeE
		.amdhsa_group_segment_fixed_size 0
		.amdhsa_private_segment_fixed_size 0
		.amdhsa_kernarg_size 288
		.amdhsa_user_sgpr_count 15
		.amdhsa_user_sgpr_dispatch_ptr 0
		.amdhsa_user_sgpr_queue_ptr 0
		.amdhsa_user_sgpr_kernarg_segment_ptr 1
		.amdhsa_user_sgpr_dispatch_id 0
		.amdhsa_user_sgpr_private_segment_size 0
		.amdhsa_wavefront_size32 1
		.amdhsa_uses_dynamic_stack 0
		.amdhsa_enable_private_segment 0
		.amdhsa_system_sgpr_workgroup_id_x 1
		.amdhsa_system_sgpr_workgroup_id_y 0
		.amdhsa_system_sgpr_workgroup_id_z 0
		.amdhsa_system_sgpr_workgroup_info 0
		.amdhsa_system_vgpr_workitem_id 0
		.amdhsa_next_free_vgpr 6
		.amdhsa_next_free_sgpr 16
		.amdhsa_reserve_vcc 1
		.amdhsa_float_round_mode_32 0
		.amdhsa_float_round_mode_16_64 0
		.amdhsa_float_denorm_mode_32 3
		.amdhsa_float_denorm_mode_16_64 3
		.amdhsa_dx10_clamp 1
		.amdhsa_ieee_mode 1
		.amdhsa_fp16_overflow 0
		.amdhsa_workgroup_processor_mode 1
		.amdhsa_memory_ordered 1
		.amdhsa_forward_progress 0
		.amdhsa_shared_vgpr_count 0
		.amdhsa_exception_fp_ieee_invalid_op 0
		.amdhsa_exception_fp_denorm_src 0
		.amdhsa_exception_fp_ieee_div_zero 0
		.amdhsa_exception_fp_ieee_overflow 0
		.amdhsa_exception_fp_ieee_underflow 0
		.amdhsa_exception_fp_ieee_inexact 0
		.amdhsa_exception_int_div_zero 0
	.end_amdhsa_kernel
	.section	.text._ZN7rocprim17ROCPRIM_400000_NS6detail31init_lookback_scan_state_kernelINS1_19lookback_scan_stateIfLb0ELb1EEENS1_16block_id_wrapperIjLb0EEEEEvT_jT0_jPNS7_10value_typeE,"axG",@progbits,_ZN7rocprim17ROCPRIM_400000_NS6detail31init_lookback_scan_state_kernelINS1_19lookback_scan_stateIfLb0ELb1EEENS1_16block_id_wrapperIjLb0EEEEEvT_jT0_jPNS7_10value_typeE,comdat
.Lfunc_end91:
	.size	_ZN7rocprim17ROCPRIM_400000_NS6detail31init_lookback_scan_state_kernelINS1_19lookback_scan_stateIfLb0ELb1EEENS1_16block_id_wrapperIjLb0EEEEEvT_jT0_jPNS7_10value_typeE, .Lfunc_end91-_ZN7rocprim17ROCPRIM_400000_NS6detail31init_lookback_scan_state_kernelINS1_19lookback_scan_stateIfLb0ELb1EEENS1_16block_id_wrapperIjLb0EEEEEvT_jT0_jPNS7_10value_typeE
                                        ; -- End function
	.section	.AMDGPU.csdata,"",@progbits
; Kernel info:
; codeLenInByte = 352
; NumSgprs: 18
; NumVgprs: 6
; ScratchSize: 0
; MemoryBound: 0
; FloatMode: 240
; IeeeMode: 1
; LDSByteSize: 0 bytes/workgroup (compile time only)
; SGPRBlocks: 2
; VGPRBlocks: 0
; NumSGPRsForWavesPerEU: 18
; NumVGPRsForWavesPerEU: 6
; Occupancy: 16
; WaveLimiterHint : 0
; COMPUTE_PGM_RSRC2:SCRATCH_EN: 0
; COMPUTE_PGM_RSRC2:USER_SGPR: 15
; COMPUTE_PGM_RSRC2:TRAP_HANDLER: 0
; COMPUTE_PGM_RSRC2:TGID_X_EN: 1
; COMPUTE_PGM_RSRC2:TGID_Y_EN: 0
; COMPUTE_PGM_RSRC2:TGID_Z_EN: 0
; COMPUTE_PGM_RSRC2:TIDIG_COMP_CNT: 0
	.section	.text._ZN7rocprim17ROCPRIM_400000_NS6detail17trampoline_kernelINS0_14default_configENS1_20scan_config_selectorIfEEZZNS1_9scan_implILNS1_25lookback_scan_determinismE0ELb0ELb0ES3_PKfPffZZZN2at6native31launch_logcumsumexp_cuda_kernelERKNSB_10TensorBaseESF_lENKUlvE_clEvENKUlvE0_clEvEUlffE_fEEDaPvRmT3_T4_T5_mT6_P12ihipStream_tbENKUlT_T0_E_clISt17integral_constantIbLb0EESW_EEDaSR_SS_EUlSR_E_NS1_11comp_targetILNS1_3genE0ELNS1_11target_archE4294967295ELNS1_3gpuE0ELNS1_3repE0EEENS1_30default_config_static_selectorELNS0_4arch9wavefront6targetE0EEEvT1_,"axG",@progbits,_ZN7rocprim17ROCPRIM_400000_NS6detail17trampoline_kernelINS0_14default_configENS1_20scan_config_selectorIfEEZZNS1_9scan_implILNS1_25lookback_scan_determinismE0ELb0ELb0ES3_PKfPffZZZN2at6native31launch_logcumsumexp_cuda_kernelERKNSB_10TensorBaseESF_lENKUlvE_clEvENKUlvE0_clEvEUlffE_fEEDaPvRmT3_T4_T5_mT6_P12ihipStream_tbENKUlT_T0_E_clISt17integral_constantIbLb0EESW_EEDaSR_SS_EUlSR_E_NS1_11comp_targetILNS1_3genE0ELNS1_11target_archE4294967295ELNS1_3gpuE0ELNS1_3repE0EEENS1_30default_config_static_selectorELNS0_4arch9wavefront6targetE0EEEvT1_,comdat
	.globl	_ZN7rocprim17ROCPRIM_400000_NS6detail17trampoline_kernelINS0_14default_configENS1_20scan_config_selectorIfEEZZNS1_9scan_implILNS1_25lookback_scan_determinismE0ELb0ELb0ES3_PKfPffZZZN2at6native31launch_logcumsumexp_cuda_kernelERKNSB_10TensorBaseESF_lENKUlvE_clEvENKUlvE0_clEvEUlffE_fEEDaPvRmT3_T4_T5_mT6_P12ihipStream_tbENKUlT_T0_E_clISt17integral_constantIbLb0EESW_EEDaSR_SS_EUlSR_E_NS1_11comp_targetILNS1_3genE0ELNS1_11target_archE4294967295ELNS1_3gpuE0ELNS1_3repE0EEENS1_30default_config_static_selectorELNS0_4arch9wavefront6targetE0EEEvT1_ ; -- Begin function _ZN7rocprim17ROCPRIM_400000_NS6detail17trampoline_kernelINS0_14default_configENS1_20scan_config_selectorIfEEZZNS1_9scan_implILNS1_25lookback_scan_determinismE0ELb0ELb0ES3_PKfPffZZZN2at6native31launch_logcumsumexp_cuda_kernelERKNSB_10TensorBaseESF_lENKUlvE_clEvENKUlvE0_clEvEUlffE_fEEDaPvRmT3_T4_T5_mT6_P12ihipStream_tbENKUlT_T0_E_clISt17integral_constantIbLb0EESW_EEDaSR_SS_EUlSR_E_NS1_11comp_targetILNS1_3genE0ELNS1_11target_archE4294967295ELNS1_3gpuE0ELNS1_3repE0EEENS1_30default_config_static_selectorELNS0_4arch9wavefront6targetE0EEEvT1_
	.p2align	8
	.type	_ZN7rocprim17ROCPRIM_400000_NS6detail17trampoline_kernelINS0_14default_configENS1_20scan_config_selectorIfEEZZNS1_9scan_implILNS1_25lookback_scan_determinismE0ELb0ELb0ES3_PKfPffZZZN2at6native31launch_logcumsumexp_cuda_kernelERKNSB_10TensorBaseESF_lENKUlvE_clEvENKUlvE0_clEvEUlffE_fEEDaPvRmT3_T4_T5_mT6_P12ihipStream_tbENKUlT_T0_E_clISt17integral_constantIbLb0EESW_EEDaSR_SS_EUlSR_E_NS1_11comp_targetILNS1_3genE0ELNS1_11target_archE4294967295ELNS1_3gpuE0ELNS1_3repE0EEENS1_30default_config_static_selectorELNS0_4arch9wavefront6targetE0EEEvT1_,@function
_ZN7rocprim17ROCPRIM_400000_NS6detail17trampoline_kernelINS0_14default_configENS1_20scan_config_selectorIfEEZZNS1_9scan_implILNS1_25lookback_scan_determinismE0ELb0ELb0ES3_PKfPffZZZN2at6native31launch_logcumsumexp_cuda_kernelERKNSB_10TensorBaseESF_lENKUlvE_clEvENKUlvE0_clEvEUlffE_fEEDaPvRmT3_T4_T5_mT6_P12ihipStream_tbENKUlT_T0_E_clISt17integral_constantIbLb0EESW_EEDaSR_SS_EUlSR_E_NS1_11comp_targetILNS1_3genE0ELNS1_11target_archE4294967295ELNS1_3gpuE0ELNS1_3repE0EEENS1_30default_config_static_selectorELNS0_4arch9wavefront6targetE0EEEvT1_: ; @_ZN7rocprim17ROCPRIM_400000_NS6detail17trampoline_kernelINS0_14default_configENS1_20scan_config_selectorIfEEZZNS1_9scan_implILNS1_25lookback_scan_determinismE0ELb0ELb0ES3_PKfPffZZZN2at6native31launch_logcumsumexp_cuda_kernelERKNSB_10TensorBaseESF_lENKUlvE_clEvENKUlvE0_clEvEUlffE_fEEDaPvRmT3_T4_T5_mT6_P12ihipStream_tbENKUlT_T0_E_clISt17integral_constantIbLb0EESW_EEDaSR_SS_EUlSR_E_NS1_11comp_targetILNS1_3genE0ELNS1_11target_archE4294967295ELNS1_3gpuE0ELNS1_3repE0EEENS1_30default_config_static_selectorELNS0_4arch9wavefront6targetE0EEEvT1_
; %bb.0:
	.section	.rodata,"a",@progbits
	.p2align	6, 0x0
	.amdhsa_kernel _ZN7rocprim17ROCPRIM_400000_NS6detail17trampoline_kernelINS0_14default_configENS1_20scan_config_selectorIfEEZZNS1_9scan_implILNS1_25lookback_scan_determinismE0ELb0ELb0ES3_PKfPffZZZN2at6native31launch_logcumsumexp_cuda_kernelERKNSB_10TensorBaseESF_lENKUlvE_clEvENKUlvE0_clEvEUlffE_fEEDaPvRmT3_T4_T5_mT6_P12ihipStream_tbENKUlT_T0_E_clISt17integral_constantIbLb0EESW_EEDaSR_SS_EUlSR_E_NS1_11comp_targetILNS1_3genE0ELNS1_11target_archE4294967295ELNS1_3gpuE0ELNS1_3repE0EEENS1_30default_config_static_selectorELNS0_4arch9wavefront6targetE0EEEvT1_
		.amdhsa_group_segment_fixed_size 0
		.amdhsa_private_segment_fixed_size 0
		.amdhsa_kernarg_size 96
		.amdhsa_user_sgpr_count 15
		.amdhsa_user_sgpr_dispatch_ptr 0
		.amdhsa_user_sgpr_queue_ptr 0
		.amdhsa_user_sgpr_kernarg_segment_ptr 1
		.amdhsa_user_sgpr_dispatch_id 0
		.amdhsa_user_sgpr_private_segment_size 0
		.amdhsa_wavefront_size32 1
		.amdhsa_uses_dynamic_stack 0
		.amdhsa_enable_private_segment 0
		.amdhsa_system_sgpr_workgroup_id_x 1
		.amdhsa_system_sgpr_workgroup_id_y 0
		.amdhsa_system_sgpr_workgroup_id_z 0
		.amdhsa_system_sgpr_workgroup_info 0
		.amdhsa_system_vgpr_workitem_id 0
		.amdhsa_next_free_vgpr 1
		.amdhsa_next_free_sgpr 1
		.amdhsa_reserve_vcc 0
		.amdhsa_float_round_mode_32 0
		.amdhsa_float_round_mode_16_64 0
		.amdhsa_float_denorm_mode_32 3
		.amdhsa_float_denorm_mode_16_64 3
		.amdhsa_dx10_clamp 1
		.amdhsa_ieee_mode 1
		.amdhsa_fp16_overflow 0
		.amdhsa_workgroup_processor_mode 1
		.amdhsa_memory_ordered 1
		.amdhsa_forward_progress 0
		.amdhsa_shared_vgpr_count 0
		.amdhsa_exception_fp_ieee_invalid_op 0
		.amdhsa_exception_fp_denorm_src 0
		.amdhsa_exception_fp_ieee_div_zero 0
		.amdhsa_exception_fp_ieee_overflow 0
		.amdhsa_exception_fp_ieee_underflow 0
		.amdhsa_exception_fp_ieee_inexact 0
		.amdhsa_exception_int_div_zero 0
	.end_amdhsa_kernel
	.section	.text._ZN7rocprim17ROCPRIM_400000_NS6detail17trampoline_kernelINS0_14default_configENS1_20scan_config_selectorIfEEZZNS1_9scan_implILNS1_25lookback_scan_determinismE0ELb0ELb0ES3_PKfPffZZZN2at6native31launch_logcumsumexp_cuda_kernelERKNSB_10TensorBaseESF_lENKUlvE_clEvENKUlvE0_clEvEUlffE_fEEDaPvRmT3_T4_T5_mT6_P12ihipStream_tbENKUlT_T0_E_clISt17integral_constantIbLb0EESW_EEDaSR_SS_EUlSR_E_NS1_11comp_targetILNS1_3genE0ELNS1_11target_archE4294967295ELNS1_3gpuE0ELNS1_3repE0EEENS1_30default_config_static_selectorELNS0_4arch9wavefront6targetE0EEEvT1_,"axG",@progbits,_ZN7rocprim17ROCPRIM_400000_NS6detail17trampoline_kernelINS0_14default_configENS1_20scan_config_selectorIfEEZZNS1_9scan_implILNS1_25lookback_scan_determinismE0ELb0ELb0ES3_PKfPffZZZN2at6native31launch_logcumsumexp_cuda_kernelERKNSB_10TensorBaseESF_lENKUlvE_clEvENKUlvE0_clEvEUlffE_fEEDaPvRmT3_T4_T5_mT6_P12ihipStream_tbENKUlT_T0_E_clISt17integral_constantIbLb0EESW_EEDaSR_SS_EUlSR_E_NS1_11comp_targetILNS1_3genE0ELNS1_11target_archE4294967295ELNS1_3gpuE0ELNS1_3repE0EEENS1_30default_config_static_selectorELNS0_4arch9wavefront6targetE0EEEvT1_,comdat
.Lfunc_end92:
	.size	_ZN7rocprim17ROCPRIM_400000_NS6detail17trampoline_kernelINS0_14default_configENS1_20scan_config_selectorIfEEZZNS1_9scan_implILNS1_25lookback_scan_determinismE0ELb0ELb0ES3_PKfPffZZZN2at6native31launch_logcumsumexp_cuda_kernelERKNSB_10TensorBaseESF_lENKUlvE_clEvENKUlvE0_clEvEUlffE_fEEDaPvRmT3_T4_T5_mT6_P12ihipStream_tbENKUlT_T0_E_clISt17integral_constantIbLb0EESW_EEDaSR_SS_EUlSR_E_NS1_11comp_targetILNS1_3genE0ELNS1_11target_archE4294967295ELNS1_3gpuE0ELNS1_3repE0EEENS1_30default_config_static_selectorELNS0_4arch9wavefront6targetE0EEEvT1_, .Lfunc_end92-_ZN7rocprim17ROCPRIM_400000_NS6detail17trampoline_kernelINS0_14default_configENS1_20scan_config_selectorIfEEZZNS1_9scan_implILNS1_25lookback_scan_determinismE0ELb0ELb0ES3_PKfPffZZZN2at6native31launch_logcumsumexp_cuda_kernelERKNSB_10TensorBaseESF_lENKUlvE_clEvENKUlvE0_clEvEUlffE_fEEDaPvRmT3_T4_T5_mT6_P12ihipStream_tbENKUlT_T0_E_clISt17integral_constantIbLb0EESW_EEDaSR_SS_EUlSR_E_NS1_11comp_targetILNS1_3genE0ELNS1_11target_archE4294967295ELNS1_3gpuE0ELNS1_3repE0EEENS1_30default_config_static_selectorELNS0_4arch9wavefront6targetE0EEEvT1_
                                        ; -- End function
	.section	.AMDGPU.csdata,"",@progbits
; Kernel info:
; codeLenInByte = 0
; NumSgprs: 0
; NumVgprs: 0
; ScratchSize: 0
; MemoryBound: 0
; FloatMode: 240
; IeeeMode: 1
; LDSByteSize: 0 bytes/workgroup (compile time only)
; SGPRBlocks: 0
; VGPRBlocks: 0
; NumSGPRsForWavesPerEU: 1
; NumVGPRsForWavesPerEU: 1
; Occupancy: 16
; WaveLimiterHint : 0
; COMPUTE_PGM_RSRC2:SCRATCH_EN: 0
; COMPUTE_PGM_RSRC2:USER_SGPR: 15
; COMPUTE_PGM_RSRC2:TRAP_HANDLER: 0
; COMPUTE_PGM_RSRC2:TGID_X_EN: 1
; COMPUTE_PGM_RSRC2:TGID_Y_EN: 0
; COMPUTE_PGM_RSRC2:TGID_Z_EN: 0
; COMPUTE_PGM_RSRC2:TIDIG_COMP_CNT: 0
	.section	.text._ZN7rocprim17ROCPRIM_400000_NS6detail17trampoline_kernelINS0_14default_configENS1_20scan_config_selectorIfEEZZNS1_9scan_implILNS1_25lookback_scan_determinismE0ELb0ELb0ES3_PKfPffZZZN2at6native31launch_logcumsumexp_cuda_kernelERKNSB_10TensorBaseESF_lENKUlvE_clEvENKUlvE0_clEvEUlffE_fEEDaPvRmT3_T4_T5_mT6_P12ihipStream_tbENKUlT_T0_E_clISt17integral_constantIbLb0EESW_EEDaSR_SS_EUlSR_E_NS1_11comp_targetILNS1_3genE5ELNS1_11target_archE942ELNS1_3gpuE9ELNS1_3repE0EEENS1_30default_config_static_selectorELNS0_4arch9wavefront6targetE0EEEvT1_,"axG",@progbits,_ZN7rocprim17ROCPRIM_400000_NS6detail17trampoline_kernelINS0_14default_configENS1_20scan_config_selectorIfEEZZNS1_9scan_implILNS1_25lookback_scan_determinismE0ELb0ELb0ES3_PKfPffZZZN2at6native31launch_logcumsumexp_cuda_kernelERKNSB_10TensorBaseESF_lENKUlvE_clEvENKUlvE0_clEvEUlffE_fEEDaPvRmT3_T4_T5_mT6_P12ihipStream_tbENKUlT_T0_E_clISt17integral_constantIbLb0EESW_EEDaSR_SS_EUlSR_E_NS1_11comp_targetILNS1_3genE5ELNS1_11target_archE942ELNS1_3gpuE9ELNS1_3repE0EEENS1_30default_config_static_selectorELNS0_4arch9wavefront6targetE0EEEvT1_,comdat
	.globl	_ZN7rocprim17ROCPRIM_400000_NS6detail17trampoline_kernelINS0_14default_configENS1_20scan_config_selectorIfEEZZNS1_9scan_implILNS1_25lookback_scan_determinismE0ELb0ELb0ES3_PKfPffZZZN2at6native31launch_logcumsumexp_cuda_kernelERKNSB_10TensorBaseESF_lENKUlvE_clEvENKUlvE0_clEvEUlffE_fEEDaPvRmT3_T4_T5_mT6_P12ihipStream_tbENKUlT_T0_E_clISt17integral_constantIbLb0EESW_EEDaSR_SS_EUlSR_E_NS1_11comp_targetILNS1_3genE5ELNS1_11target_archE942ELNS1_3gpuE9ELNS1_3repE0EEENS1_30default_config_static_selectorELNS0_4arch9wavefront6targetE0EEEvT1_ ; -- Begin function _ZN7rocprim17ROCPRIM_400000_NS6detail17trampoline_kernelINS0_14default_configENS1_20scan_config_selectorIfEEZZNS1_9scan_implILNS1_25lookback_scan_determinismE0ELb0ELb0ES3_PKfPffZZZN2at6native31launch_logcumsumexp_cuda_kernelERKNSB_10TensorBaseESF_lENKUlvE_clEvENKUlvE0_clEvEUlffE_fEEDaPvRmT3_T4_T5_mT6_P12ihipStream_tbENKUlT_T0_E_clISt17integral_constantIbLb0EESW_EEDaSR_SS_EUlSR_E_NS1_11comp_targetILNS1_3genE5ELNS1_11target_archE942ELNS1_3gpuE9ELNS1_3repE0EEENS1_30default_config_static_selectorELNS0_4arch9wavefront6targetE0EEEvT1_
	.p2align	8
	.type	_ZN7rocprim17ROCPRIM_400000_NS6detail17trampoline_kernelINS0_14default_configENS1_20scan_config_selectorIfEEZZNS1_9scan_implILNS1_25lookback_scan_determinismE0ELb0ELb0ES3_PKfPffZZZN2at6native31launch_logcumsumexp_cuda_kernelERKNSB_10TensorBaseESF_lENKUlvE_clEvENKUlvE0_clEvEUlffE_fEEDaPvRmT3_T4_T5_mT6_P12ihipStream_tbENKUlT_T0_E_clISt17integral_constantIbLb0EESW_EEDaSR_SS_EUlSR_E_NS1_11comp_targetILNS1_3genE5ELNS1_11target_archE942ELNS1_3gpuE9ELNS1_3repE0EEENS1_30default_config_static_selectorELNS0_4arch9wavefront6targetE0EEEvT1_,@function
_ZN7rocprim17ROCPRIM_400000_NS6detail17trampoline_kernelINS0_14default_configENS1_20scan_config_selectorIfEEZZNS1_9scan_implILNS1_25lookback_scan_determinismE0ELb0ELb0ES3_PKfPffZZZN2at6native31launch_logcumsumexp_cuda_kernelERKNSB_10TensorBaseESF_lENKUlvE_clEvENKUlvE0_clEvEUlffE_fEEDaPvRmT3_T4_T5_mT6_P12ihipStream_tbENKUlT_T0_E_clISt17integral_constantIbLb0EESW_EEDaSR_SS_EUlSR_E_NS1_11comp_targetILNS1_3genE5ELNS1_11target_archE942ELNS1_3gpuE9ELNS1_3repE0EEENS1_30default_config_static_selectorELNS0_4arch9wavefront6targetE0EEEvT1_: ; @_ZN7rocprim17ROCPRIM_400000_NS6detail17trampoline_kernelINS0_14default_configENS1_20scan_config_selectorIfEEZZNS1_9scan_implILNS1_25lookback_scan_determinismE0ELb0ELb0ES3_PKfPffZZZN2at6native31launch_logcumsumexp_cuda_kernelERKNSB_10TensorBaseESF_lENKUlvE_clEvENKUlvE0_clEvEUlffE_fEEDaPvRmT3_T4_T5_mT6_P12ihipStream_tbENKUlT_T0_E_clISt17integral_constantIbLb0EESW_EEDaSR_SS_EUlSR_E_NS1_11comp_targetILNS1_3genE5ELNS1_11target_archE942ELNS1_3gpuE9ELNS1_3repE0EEENS1_30default_config_static_selectorELNS0_4arch9wavefront6targetE0EEEvT1_
; %bb.0:
	.section	.rodata,"a",@progbits
	.p2align	6, 0x0
	.amdhsa_kernel _ZN7rocprim17ROCPRIM_400000_NS6detail17trampoline_kernelINS0_14default_configENS1_20scan_config_selectorIfEEZZNS1_9scan_implILNS1_25lookback_scan_determinismE0ELb0ELb0ES3_PKfPffZZZN2at6native31launch_logcumsumexp_cuda_kernelERKNSB_10TensorBaseESF_lENKUlvE_clEvENKUlvE0_clEvEUlffE_fEEDaPvRmT3_T4_T5_mT6_P12ihipStream_tbENKUlT_T0_E_clISt17integral_constantIbLb0EESW_EEDaSR_SS_EUlSR_E_NS1_11comp_targetILNS1_3genE5ELNS1_11target_archE942ELNS1_3gpuE9ELNS1_3repE0EEENS1_30default_config_static_selectorELNS0_4arch9wavefront6targetE0EEEvT1_
		.amdhsa_group_segment_fixed_size 0
		.amdhsa_private_segment_fixed_size 0
		.amdhsa_kernarg_size 96
		.amdhsa_user_sgpr_count 15
		.amdhsa_user_sgpr_dispatch_ptr 0
		.amdhsa_user_sgpr_queue_ptr 0
		.amdhsa_user_sgpr_kernarg_segment_ptr 1
		.amdhsa_user_sgpr_dispatch_id 0
		.amdhsa_user_sgpr_private_segment_size 0
		.amdhsa_wavefront_size32 1
		.amdhsa_uses_dynamic_stack 0
		.amdhsa_enable_private_segment 0
		.amdhsa_system_sgpr_workgroup_id_x 1
		.amdhsa_system_sgpr_workgroup_id_y 0
		.amdhsa_system_sgpr_workgroup_id_z 0
		.amdhsa_system_sgpr_workgroup_info 0
		.amdhsa_system_vgpr_workitem_id 0
		.amdhsa_next_free_vgpr 1
		.amdhsa_next_free_sgpr 1
		.amdhsa_reserve_vcc 0
		.amdhsa_float_round_mode_32 0
		.amdhsa_float_round_mode_16_64 0
		.amdhsa_float_denorm_mode_32 3
		.amdhsa_float_denorm_mode_16_64 3
		.amdhsa_dx10_clamp 1
		.amdhsa_ieee_mode 1
		.amdhsa_fp16_overflow 0
		.amdhsa_workgroup_processor_mode 1
		.amdhsa_memory_ordered 1
		.amdhsa_forward_progress 0
		.amdhsa_shared_vgpr_count 0
		.amdhsa_exception_fp_ieee_invalid_op 0
		.amdhsa_exception_fp_denorm_src 0
		.amdhsa_exception_fp_ieee_div_zero 0
		.amdhsa_exception_fp_ieee_overflow 0
		.amdhsa_exception_fp_ieee_underflow 0
		.amdhsa_exception_fp_ieee_inexact 0
		.amdhsa_exception_int_div_zero 0
	.end_amdhsa_kernel
	.section	.text._ZN7rocprim17ROCPRIM_400000_NS6detail17trampoline_kernelINS0_14default_configENS1_20scan_config_selectorIfEEZZNS1_9scan_implILNS1_25lookback_scan_determinismE0ELb0ELb0ES3_PKfPffZZZN2at6native31launch_logcumsumexp_cuda_kernelERKNSB_10TensorBaseESF_lENKUlvE_clEvENKUlvE0_clEvEUlffE_fEEDaPvRmT3_T4_T5_mT6_P12ihipStream_tbENKUlT_T0_E_clISt17integral_constantIbLb0EESW_EEDaSR_SS_EUlSR_E_NS1_11comp_targetILNS1_3genE5ELNS1_11target_archE942ELNS1_3gpuE9ELNS1_3repE0EEENS1_30default_config_static_selectorELNS0_4arch9wavefront6targetE0EEEvT1_,"axG",@progbits,_ZN7rocprim17ROCPRIM_400000_NS6detail17trampoline_kernelINS0_14default_configENS1_20scan_config_selectorIfEEZZNS1_9scan_implILNS1_25lookback_scan_determinismE0ELb0ELb0ES3_PKfPffZZZN2at6native31launch_logcumsumexp_cuda_kernelERKNSB_10TensorBaseESF_lENKUlvE_clEvENKUlvE0_clEvEUlffE_fEEDaPvRmT3_T4_T5_mT6_P12ihipStream_tbENKUlT_T0_E_clISt17integral_constantIbLb0EESW_EEDaSR_SS_EUlSR_E_NS1_11comp_targetILNS1_3genE5ELNS1_11target_archE942ELNS1_3gpuE9ELNS1_3repE0EEENS1_30default_config_static_selectorELNS0_4arch9wavefront6targetE0EEEvT1_,comdat
.Lfunc_end93:
	.size	_ZN7rocprim17ROCPRIM_400000_NS6detail17trampoline_kernelINS0_14default_configENS1_20scan_config_selectorIfEEZZNS1_9scan_implILNS1_25lookback_scan_determinismE0ELb0ELb0ES3_PKfPffZZZN2at6native31launch_logcumsumexp_cuda_kernelERKNSB_10TensorBaseESF_lENKUlvE_clEvENKUlvE0_clEvEUlffE_fEEDaPvRmT3_T4_T5_mT6_P12ihipStream_tbENKUlT_T0_E_clISt17integral_constantIbLb0EESW_EEDaSR_SS_EUlSR_E_NS1_11comp_targetILNS1_3genE5ELNS1_11target_archE942ELNS1_3gpuE9ELNS1_3repE0EEENS1_30default_config_static_selectorELNS0_4arch9wavefront6targetE0EEEvT1_, .Lfunc_end93-_ZN7rocprim17ROCPRIM_400000_NS6detail17trampoline_kernelINS0_14default_configENS1_20scan_config_selectorIfEEZZNS1_9scan_implILNS1_25lookback_scan_determinismE0ELb0ELb0ES3_PKfPffZZZN2at6native31launch_logcumsumexp_cuda_kernelERKNSB_10TensorBaseESF_lENKUlvE_clEvENKUlvE0_clEvEUlffE_fEEDaPvRmT3_T4_T5_mT6_P12ihipStream_tbENKUlT_T0_E_clISt17integral_constantIbLb0EESW_EEDaSR_SS_EUlSR_E_NS1_11comp_targetILNS1_3genE5ELNS1_11target_archE942ELNS1_3gpuE9ELNS1_3repE0EEENS1_30default_config_static_selectorELNS0_4arch9wavefront6targetE0EEEvT1_
                                        ; -- End function
	.section	.AMDGPU.csdata,"",@progbits
; Kernel info:
; codeLenInByte = 0
; NumSgprs: 0
; NumVgprs: 0
; ScratchSize: 0
; MemoryBound: 0
; FloatMode: 240
; IeeeMode: 1
; LDSByteSize: 0 bytes/workgroup (compile time only)
; SGPRBlocks: 0
; VGPRBlocks: 0
; NumSGPRsForWavesPerEU: 1
; NumVGPRsForWavesPerEU: 1
; Occupancy: 16
; WaveLimiterHint : 0
; COMPUTE_PGM_RSRC2:SCRATCH_EN: 0
; COMPUTE_PGM_RSRC2:USER_SGPR: 15
; COMPUTE_PGM_RSRC2:TRAP_HANDLER: 0
; COMPUTE_PGM_RSRC2:TGID_X_EN: 1
; COMPUTE_PGM_RSRC2:TGID_Y_EN: 0
; COMPUTE_PGM_RSRC2:TGID_Z_EN: 0
; COMPUTE_PGM_RSRC2:TIDIG_COMP_CNT: 0
	.section	.text._ZN7rocprim17ROCPRIM_400000_NS6detail17trampoline_kernelINS0_14default_configENS1_20scan_config_selectorIfEEZZNS1_9scan_implILNS1_25lookback_scan_determinismE0ELb0ELb0ES3_PKfPffZZZN2at6native31launch_logcumsumexp_cuda_kernelERKNSB_10TensorBaseESF_lENKUlvE_clEvENKUlvE0_clEvEUlffE_fEEDaPvRmT3_T4_T5_mT6_P12ihipStream_tbENKUlT_T0_E_clISt17integral_constantIbLb0EESW_EEDaSR_SS_EUlSR_E_NS1_11comp_targetILNS1_3genE4ELNS1_11target_archE910ELNS1_3gpuE8ELNS1_3repE0EEENS1_30default_config_static_selectorELNS0_4arch9wavefront6targetE0EEEvT1_,"axG",@progbits,_ZN7rocprim17ROCPRIM_400000_NS6detail17trampoline_kernelINS0_14default_configENS1_20scan_config_selectorIfEEZZNS1_9scan_implILNS1_25lookback_scan_determinismE0ELb0ELb0ES3_PKfPffZZZN2at6native31launch_logcumsumexp_cuda_kernelERKNSB_10TensorBaseESF_lENKUlvE_clEvENKUlvE0_clEvEUlffE_fEEDaPvRmT3_T4_T5_mT6_P12ihipStream_tbENKUlT_T0_E_clISt17integral_constantIbLb0EESW_EEDaSR_SS_EUlSR_E_NS1_11comp_targetILNS1_3genE4ELNS1_11target_archE910ELNS1_3gpuE8ELNS1_3repE0EEENS1_30default_config_static_selectorELNS0_4arch9wavefront6targetE0EEEvT1_,comdat
	.globl	_ZN7rocprim17ROCPRIM_400000_NS6detail17trampoline_kernelINS0_14default_configENS1_20scan_config_selectorIfEEZZNS1_9scan_implILNS1_25lookback_scan_determinismE0ELb0ELb0ES3_PKfPffZZZN2at6native31launch_logcumsumexp_cuda_kernelERKNSB_10TensorBaseESF_lENKUlvE_clEvENKUlvE0_clEvEUlffE_fEEDaPvRmT3_T4_T5_mT6_P12ihipStream_tbENKUlT_T0_E_clISt17integral_constantIbLb0EESW_EEDaSR_SS_EUlSR_E_NS1_11comp_targetILNS1_3genE4ELNS1_11target_archE910ELNS1_3gpuE8ELNS1_3repE0EEENS1_30default_config_static_selectorELNS0_4arch9wavefront6targetE0EEEvT1_ ; -- Begin function _ZN7rocprim17ROCPRIM_400000_NS6detail17trampoline_kernelINS0_14default_configENS1_20scan_config_selectorIfEEZZNS1_9scan_implILNS1_25lookback_scan_determinismE0ELb0ELb0ES3_PKfPffZZZN2at6native31launch_logcumsumexp_cuda_kernelERKNSB_10TensorBaseESF_lENKUlvE_clEvENKUlvE0_clEvEUlffE_fEEDaPvRmT3_T4_T5_mT6_P12ihipStream_tbENKUlT_T0_E_clISt17integral_constantIbLb0EESW_EEDaSR_SS_EUlSR_E_NS1_11comp_targetILNS1_3genE4ELNS1_11target_archE910ELNS1_3gpuE8ELNS1_3repE0EEENS1_30default_config_static_selectorELNS0_4arch9wavefront6targetE0EEEvT1_
	.p2align	8
	.type	_ZN7rocprim17ROCPRIM_400000_NS6detail17trampoline_kernelINS0_14default_configENS1_20scan_config_selectorIfEEZZNS1_9scan_implILNS1_25lookback_scan_determinismE0ELb0ELb0ES3_PKfPffZZZN2at6native31launch_logcumsumexp_cuda_kernelERKNSB_10TensorBaseESF_lENKUlvE_clEvENKUlvE0_clEvEUlffE_fEEDaPvRmT3_T4_T5_mT6_P12ihipStream_tbENKUlT_T0_E_clISt17integral_constantIbLb0EESW_EEDaSR_SS_EUlSR_E_NS1_11comp_targetILNS1_3genE4ELNS1_11target_archE910ELNS1_3gpuE8ELNS1_3repE0EEENS1_30default_config_static_selectorELNS0_4arch9wavefront6targetE0EEEvT1_,@function
_ZN7rocprim17ROCPRIM_400000_NS6detail17trampoline_kernelINS0_14default_configENS1_20scan_config_selectorIfEEZZNS1_9scan_implILNS1_25lookback_scan_determinismE0ELb0ELb0ES3_PKfPffZZZN2at6native31launch_logcumsumexp_cuda_kernelERKNSB_10TensorBaseESF_lENKUlvE_clEvENKUlvE0_clEvEUlffE_fEEDaPvRmT3_T4_T5_mT6_P12ihipStream_tbENKUlT_T0_E_clISt17integral_constantIbLb0EESW_EEDaSR_SS_EUlSR_E_NS1_11comp_targetILNS1_3genE4ELNS1_11target_archE910ELNS1_3gpuE8ELNS1_3repE0EEENS1_30default_config_static_selectorELNS0_4arch9wavefront6targetE0EEEvT1_: ; @_ZN7rocprim17ROCPRIM_400000_NS6detail17trampoline_kernelINS0_14default_configENS1_20scan_config_selectorIfEEZZNS1_9scan_implILNS1_25lookback_scan_determinismE0ELb0ELb0ES3_PKfPffZZZN2at6native31launch_logcumsumexp_cuda_kernelERKNSB_10TensorBaseESF_lENKUlvE_clEvENKUlvE0_clEvEUlffE_fEEDaPvRmT3_T4_T5_mT6_P12ihipStream_tbENKUlT_T0_E_clISt17integral_constantIbLb0EESW_EEDaSR_SS_EUlSR_E_NS1_11comp_targetILNS1_3genE4ELNS1_11target_archE910ELNS1_3gpuE8ELNS1_3repE0EEENS1_30default_config_static_selectorELNS0_4arch9wavefront6targetE0EEEvT1_
; %bb.0:
	.section	.rodata,"a",@progbits
	.p2align	6, 0x0
	.amdhsa_kernel _ZN7rocprim17ROCPRIM_400000_NS6detail17trampoline_kernelINS0_14default_configENS1_20scan_config_selectorIfEEZZNS1_9scan_implILNS1_25lookback_scan_determinismE0ELb0ELb0ES3_PKfPffZZZN2at6native31launch_logcumsumexp_cuda_kernelERKNSB_10TensorBaseESF_lENKUlvE_clEvENKUlvE0_clEvEUlffE_fEEDaPvRmT3_T4_T5_mT6_P12ihipStream_tbENKUlT_T0_E_clISt17integral_constantIbLb0EESW_EEDaSR_SS_EUlSR_E_NS1_11comp_targetILNS1_3genE4ELNS1_11target_archE910ELNS1_3gpuE8ELNS1_3repE0EEENS1_30default_config_static_selectorELNS0_4arch9wavefront6targetE0EEEvT1_
		.amdhsa_group_segment_fixed_size 0
		.amdhsa_private_segment_fixed_size 0
		.amdhsa_kernarg_size 96
		.amdhsa_user_sgpr_count 15
		.amdhsa_user_sgpr_dispatch_ptr 0
		.amdhsa_user_sgpr_queue_ptr 0
		.amdhsa_user_sgpr_kernarg_segment_ptr 1
		.amdhsa_user_sgpr_dispatch_id 0
		.amdhsa_user_sgpr_private_segment_size 0
		.amdhsa_wavefront_size32 1
		.amdhsa_uses_dynamic_stack 0
		.amdhsa_enable_private_segment 0
		.amdhsa_system_sgpr_workgroup_id_x 1
		.amdhsa_system_sgpr_workgroup_id_y 0
		.amdhsa_system_sgpr_workgroup_id_z 0
		.amdhsa_system_sgpr_workgroup_info 0
		.amdhsa_system_vgpr_workitem_id 0
		.amdhsa_next_free_vgpr 1
		.amdhsa_next_free_sgpr 1
		.amdhsa_reserve_vcc 0
		.amdhsa_float_round_mode_32 0
		.amdhsa_float_round_mode_16_64 0
		.amdhsa_float_denorm_mode_32 3
		.amdhsa_float_denorm_mode_16_64 3
		.amdhsa_dx10_clamp 1
		.amdhsa_ieee_mode 1
		.amdhsa_fp16_overflow 0
		.amdhsa_workgroup_processor_mode 1
		.amdhsa_memory_ordered 1
		.amdhsa_forward_progress 0
		.amdhsa_shared_vgpr_count 0
		.amdhsa_exception_fp_ieee_invalid_op 0
		.amdhsa_exception_fp_denorm_src 0
		.amdhsa_exception_fp_ieee_div_zero 0
		.amdhsa_exception_fp_ieee_overflow 0
		.amdhsa_exception_fp_ieee_underflow 0
		.amdhsa_exception_fp_ieee_inexact 0
		.amdhsa_exception_int_div_zero 0
	.end_amdhsa_kernel
	.section	.text._ZN7rocprim17ROCPRIM_400000_NS6detail17trampoline_kernelINS0_14default_configENS1_20scan_config_selectorIfEEZZNS1_9scan_implILNS1_25lookback_scan_determinismE0ELb0ELb0ES3_PKfPffZZZN2at6native31launch_logcumsumexp_cuda_kernelERKNSB_10TensorBaseESF_lENKUlvE_clEvENKUlvE0_clEvEUlffE_fEEDaPvRmT3_T4_T5_mT6_P12ihipStream_tbENKUlT_T0_E_clISt17integral_constantIbLb0EESW_EEDaSR_SS_EUlSR_E_NS1_11comp_targetILNS1_3genE4ELNS1_11target_archE910ELNS1_3gpuE8ELNS1_3repE0EEENS1_30default_config_static_selectorELNS0_4arch9wavefront6targetE0EEEvT1_,"axG",@progbits,_ZN7rocprim17ROCPRIM_400000_NS6detail17trampoline_kernelINS0_14default_configENS1_20scan_config_selectorIfEEZZNS1_9scan_implILNS1_25lookback_scan_determinismE0ELb0ELb0ES3_PKfPffZZZN2at6native31launch_logcumsumexp_cuda_kernelERKNSB_10TensorBaseESF_lENKUlvE_clEvENKUlvE0_clEvEUlffE_fEEDaPvRmT3_T4_T5_mT6_P12ihipStream_tbENKUlT_T0_E_clISt17integral_constantIbLb0EESW_EEDaSR_SS_EUlSR_E_NS1_11comp_targetILNS1_3genE4ELNS1_11target_archE910ELNS1_3gpuE8ELNS1_3repE0EEENS1_30default_config_static_selectorELNS0_4arch9wavefront6targetE0EEEvT1_,comdat
.Lfunc_end94:
	.size	_ZN7rocprim17ROCPRIM_400000_NS6detail17trampoline_kernelINS0_14default_configENS1_20scan_config_selectorIfEEZZNS1_9scan_implILNS1_25lookback_scan_determinismE0ELb0ELb0ES3_PKfPffZZZN2at6native31launch_logcumsumexp_cuda_kernelERKNSB_10TensorBaseESF_lENKUlvE_clEvENKUlvE0_clEvEUlffE_fEEDaPvRmT3_T4_T5_mT6_P12ihipStream_tbENKUlT_T0_E_clISt17integral_constantIbLb0EESW_EEDaSR_SS_EUlSR_E_NS1_11comp_targetILNS1_3genE4ELNS1_11target_archE910ELNS1_3gpuE8ELNS1_3repE0EEENS1_30default_config_static_selectorELNS0_4arch9wavefront6targetE0EEEvT1_, .Lfunc_end94-_ZN7rocprim17ROCPRIM_400000_NS6detail17trampoline_kernelINS0_14default_configENS1_20scan_config_selectorIfEEZZNS1_9scan_implILNS1_25lookback_scan_determinismE0ELb0ELb0ES3_PKfPffZZZN2at6native31launch_logcumsumexp_cuda_kernelERKNSB_10TensorBaseESF_lENKUlvE_clEvENKUlvE0_clEvEUlffE_fEEDaPvRmT3_T4_T5_mT6_P12ihipStream_tbENKUlT_T0_E_clISt17integral_constantIbLb0EESW_EEDaSR_SS_EUlSR_E_NS1_11comp_targetILNS1_3genE4ELNS1_11target_archE910ELNS1_3gpuE8ELNS1_3repE0EEENS1_30default_config_static_selectorELNS0_4arch9wavefront6targetE0EEEvT1_
                                        ; -- End function
	.section	.AMDGPU.csdata,"",@progbits
; Kernel info:
; codeLenInByte = 0
; NumSgprs: 0
; NumVgprs: 0
; ScratchSize: 0
; MemoryBound: 0
; FloatMode: 240
; IeeeMode: 1
; LDSByteSize: 0 bytes/workgroup (compile time only)
; SGPRBlocks: 0
; VGPRBlocks: 0
; NumSGPRsForWavesPerEU: 1
; NumVGPRsForWavesPerEU: 1
; Occupancy: 16
; WaveLimiterHint : 0
; COMPUTE_PGM_RSRC2:SCRATCH_EN: 0
; COMPUTE_PGM_RSRC2:USER_SGPR: 15
; COMPUTE_PGM_RSRC2:TRAP_HANDLER: 0
; COMPUTE_PGM_RSRC2:TGID_X_EN: 1
; COMPUTE_PGM_RSRC2:TGID_Y_EN: 0
; COMPUTE_PGM_RSRC2:TGID_Z_EN: 0
; COMPUTE_PGM_RSRC2:TIDIG_COMP_CNT: 0
	.section	.text._ZN7rocprim17ROCPRIM_400000_NS6detail17trampoline_kernelINS0_14default_configENS1_20scan_config_selectorIfEEZZNS1_9scan_implILNS1_25lookback_scan_determinismE0ELb0ELb0ES3_PKfPffZZZN2at6native31launch_logcumsumexp_cuda_kernelERKNSB_10TensorBaseESF_lENKUlvE_clEvENKUlvE0_clEvEUlffE_fEEDaPvRmT3_T4_T5_mT6_P12ihipStream_tbENKUlT_T0_E_clISt17integral_constantIbLb0EESW_EEDaSR_SS_EUlSR_E_NS1_11comp_targetILNS1_3genE3ELNS1_11target_archE908ELNS1_3gpuE7ELNS1_3repE0EEENS1_30default_config_static_selectorELNS0_4arch9wavefront6targetE0EEEvT1_,"axG",@progbits,_ZN7rocprim17ROCPRIM_400000_NS6detail17trampoline_kernelINS0_14default_configENS1_20scan_config_selectorIfEEZZNS1_9scan_implILNS1_25lookback_scan_determinismE0ELb0ELb0ES3_PKfPffZZZN2at6native31launch_logcumsumexp_cuda_kernelERKNSB_10TensorBaseESF_lENKUlvE_clEvENKUlvE0_clEvEUlffE_fEEDaPvRmT3_T4_T5_mT6_P12ihipStream_tbENKUlT_T0_E_clISt17integral_constantIbLb0EESW_EEDaSR_SS_EUlSR_E_NS1_11comp_targetILNS1_3genE3ELNS1_11target_archE908ELNS1_3gpuE7ELNS1_3repE0EEENS1_30default_config_static_selectorELNS0_4arch9wavefront6targetE0EEEvT1_,comdat
	.globl	_ZN7rocprim17ROCPRIM_400000_NS6detail17trampoline_kernelINS0_14default_configENS1_20scan_config_selectorIfEEZZNS1_9scan_implILNS1_25lookback_scan_determinismE0ELb0ELb0ES3_PKfPffZZZN2at6native31launch_logcumsumexp_cuda_kernelERKNSB_10TensorBaseESF_lENKUlvE_clEvENKUlvE0_clEvEUlffE_fEEDaPvRmT3_T4_T5_mT6_P12ihipStream_tbENKUlT_T0_E_clISt17integral_constantIbLb0EESW_EEDaSR_SS_EUlSR_E_NS1_11comp_targetILNS1_3genE3ELNS1_11target_archE908ELNS1_3gpuE7ELNS1_3repE0EEENS1_30default_config_static_selectorELNS0_4arch9wavefront6targetE0EEEvT1_ ; -- Begin function _ZN7rocprim17ROCPRIM_400000_NS6detail17trampoline_kernelINS0_14default_configENS1_20scan_config_selectorIfEEZZNS1_9scan_implILNS1_25lookback_scan_determinismE0ELb0ELb0ES3_PKfPffZZZN2at6native31launch_logcumsumexp_cuda_kernelERKNSB_10TensorBaseESF_lENKUlvE_clEvENKUlvE0_clEvEUlffE_fEEDaPvRmT3_T4_T5_mT6_P12ihipStream_tbENKUlT_T0_E_clISt17integral_constantIbLb0EESW_EEDaSR_SS_EUlSR_E_NS1_11comp_targetILNS1_3genE3ELNS1_11target_archE908ELNS1_3gpuE7ELNS1_3repE0EEENS1_30default_config_static_selectorELNS0_4arch9wavefront6targetE0EEEvT1_
	.p2align	8
	.type	_ZN7rocprim17ROCPRIM_400000_NS6detail17trampoline_kernelINS0_14default_configENS1_20scan_config_selectorIfEEZZNS1_9scan_implILNS1_25lookback_scan_determinismE0ELb0ELb0ES3_PKfPffZZZN2at6native31launch_logcumsumexp_cuda_kernelERKNSB_10TensorBaseESF_lENKUlvE_clEvENKUlvE0_clEvEUlffE_fEEDaPvRmT3_T4_T5_mT6_P12ihipStream_tbENKUlT_T0_E_clISt17integral_constantIbLb0EESW_EEDaSR_SS_EUlSR_E_NS1_11comp_targetILNS1_3genE3ELNS1_11target_archE908ELNS1_3gpuE7ELNS1_3repE0EEENS1_30default_config_static_selectorELNS0_4arch9wavefront6targetE0EEEvT1_,@function
_ZN7rocprim17ROCPRIM_400000_NS6detail17trampoline_kernelINS0_14default_configENS1_20scan_config_selectorIfEEZZNS1_9scan_implILNS1_25lookback_scan_determinismE0ELb0ELb0ES3_PKfPffZZZN2at6native31launch_logcumsumexp_cuda_kernelERKNSB_10TensorBaseESF_lENKUlvE_clEvENKUlvE0_clEvEUlffE_fEEDaPvRmT3_T4_T5_mT6_P12ihipStream_tbENKUlT_T0_E_clISt17integral_constantIbLb0EESW_EEDaSR_SS_EUlSR_E_NS1_11comp_targetILNS1_3genE3ELNS1_11target_archE908ELNS1_3gpuE7ELNS1_3repE0EEENS1_30default_config_static_selectorELNS0_4arch9wavefront6targetE0EEEvT1_: ; @_ZN7rocprim17ROCPRIM_400000_NS6detail17trampoline_kernelINS0_14default_configENS1_20scan_config_selectorIfEEZZNS1_9scan_implILNS1_25lookback_scan_determinismE0ELb0ELb0ES3_PKfPffZZZN2at6native31launch_logcumsumexp_cuda_kernelERKNSB_10TensorBaseESF_lENKUlvE_clEvENKUlvE0_clEvEUlffE_fEEDaPvRmT3_T4_T5_mT6_P12ihipStream_tbENKUlT_T0_E_clISt17integral_constantIbLb0EESW_EEDaSR_SS_EUlSR_E_NS1_11comp_targetILNS1_3genE3ELNS1_11target_archE908ELNS1_3gpuE7ELNS1_3repE0EEENS1_30default_config_static_selectorELNS0_4arch9wavefront6targetE0EEEvT1_
; %bb.0:
	.section	.rodata,"a",@progbits
	.p2align	6, 0x0
	.amdhsa_kernel _ZN7rocprim17ROCPRIM_400000_NS6detail17trampoline_kernelINS0_14default_configENS1_20scan_config_selectorIfEEZZNS1_9scan_implILNS1_25lookback_scan_determinismE0ELb0ELb0ES3_PKfPffZZZN2at6native31launch_logcumsumexp_cuda_kernelERKNSB_10TensorBaseESF_lENKUlvE_clEvENKUlvE0_clEvEUlffE_fEEDaPvRmT3_T4_T5_mT6_P12ihipStream_tbENKUlT_T0_E_clISt17integral_constantIbLb0EESW_EEDaSR_SS_EUlSR_E_NS1_11comp_targetILNS1_3genE3ELNS1_11target_archE908ELNS1_3gpuE7ELNS1_3repE0EEENS1_30default_config_static_selectorELNS0_4arch9wavefront6targetE0EEEvT1_
		.amdhsa_group_segment_fixed_size 0
		.amdhsa_private_segment_fixed_size 0
		.amdhsa_kernarg_size 96
		.amdhsa_user_sgpr_count 15
		.amdhsa_user_sgpr_dispatch_ptr 0
		.amdhsa_user_sgpr_queue_ptr 0
		.amdhsa_user_sgpr_kernarg_segment_ptr 1
		.amdhsa_user_sgpr_dispatch_id 0
		.amdhsa_user_sgpr_private_segment_size 0
		.amdhsa_wavefront_size32 1
		.amdhsa_uses_dynamic_stack 0
		.amdhsa_enable_private_segment 0
		.amdhsa_system_sgpr_workgroup_id_x 1
		.amdhsa_system_sgpr_workgroup_id_y 0
		.amdhsa_system_sgpr_workgroup_id_z 0
		.amdhsa_system_sgpr_workgroup_info 0
		.amdhsa_system_vgpr_workitem_id 0
		.amdhsa_next_free_vgpr 1
		.amdhsa_next_free_sgpr 1
		.amdhsa_reserve_vcc 0
		.amdhsa_float_round_mode_32 0
		.amdhsa_float_round_mode_16_64 0
		.amdhsa_float_denorm_mode_32 3
		.amdhsa_float_denorm_mode_16_64 3
		.amdhsa_dx10_clamp 1
		.amdhsa_ieee_mode 1
		.amdhsa_fp16_overflow 0
		.amdhsa_workgroup_processor_mode 1
		.amdhsa_memory_ordered 1
		.amdhsa_forward_progress 0
		.amdhsa_shared_vgpr_count 0
		.amdhsa_exception_fp_ieee_invalid_op 0
		.amdhsa_exception_fp_denorm_src 0
		.amdhsa_exception_fp_ieee_div_zero 0
		.amdhsa_exception_fp_ieee_overflow 0
		.amdhsa_exception_fp_ieee_underflow 0
		.amdhsa_exception_fp_ieee_inexact 0
		.amdhsa_exception_int_div_zero 0
	.end_amdhsa_kernel
	.section	.text._ZN7rocprim17ROCPRIM_400000_NS6detail17trampoline_kernelINS0_14default_configENS1_20scan_config_selectorIfEEZZNS1_9scan_implILNS1_25lookback_scan_determinismE0ELb0ELb0ES3_PKfPffZZZN2at6native31launch_logcumsumexp_cuda_kernelERKNSB_10TensorBaseESF_lENKUlvE_clEvENKUlvE0_clEvEUlffE_fEEDaPvRmT3_T4_T5_mT6_P12ihipStream_tbENKUlT_T0_E_clISt17integral_constantIbLb0EESW_EEDaSR_SS_EUlSR_E_NS1_11comp_targetILNS1_3genE3ELNS1_11target_archE908ELNS1_3gpuE7ELNS1_3repE0EEENS1_30default_config_static_selectorELNS0_4arch9wavefront6targetE0EEEvT1_,"axG",@progbits,_ZN7rocprim17ROCPRIM_400000_NS6detail17trampoline_kernelINS0_14default_configENS1_20scan_config_selectorIfEEZZNS1_9scan_implILNS1_25lookback_scan_determinismE0ELb0ELb0ES3_PKfPffZZZN2at6native31launch_logcumsumexp_cuda_kernelERKNSB_10TensorBaseESF_lENKUlvE_clEvENKUlvE0_clEvEUlffE_fEEDaPvRmT3_T4_T5_mT6_P12ihipStream_tbENKUlT_T0_E_clISt17integral_constantIbLb0EESW_EEDaSR_SS_EUlSR_E_NS1_11comp_targetILNS1_3genE3ELNS1_11target_archE908ELNS1_3gpuE7ELNS1_3repE0EEENS1_30default_config_static_selectorELNS0_4arch9wavefront6targetE0EEEvT1_,comdat
.Lfunc_end95:
	.size	_ZN7rocprim17ROCPRIM_400000_NS6detail17trampoline_kernelINS0_14default_configENS1_20scan_config_selectorIfEEZZNS1_9scan_implILNS1_25lookback_scan_determinismE0ELb0ELb0ES3_PKfPffZZZN2at6native31launch_logcumsumexp_cuda_kernelERKNSB_10TensorBaseESF_lENKUlvE_clEvENKUlvE0_clEvEUlffE_fEEDaPvRmT3_T4_T5_mT6_P12ihipStream_tbENKUlT_T0_E_clISt17integral_constantIbLb0EESW_EEDaSR_SS_EUlSR_E_NS1_11comp_targetILNS1_3genE3ELNS1_11target_archE908ELNS1_3gpuE7ELNS1_3repE0EEENS1_30default_config_static_selectorELNS0_4arch9wavefront6targetE0EEEvT1_, .Lfunc_end95-_ZN7rocprim17ROCPRIM_400000_NS6detail17trampoline_kernelINS0_14default_configENS1_20scan_config_selectorIfEEZZNS1_9scan_implILNS1_25lookback_scan_determinismE0ELb0ELb0ES3_PKfPffZZZN2at6native31launch_logcumsumexp_cuda_kernelERKNSB_10TensorBaseESF_lENKUlvE_clEvENKUlvE0_clEvEUlffE_fEEDaPvRmT3_T4_T5_mT6_P12ihipStream_tbENKUlT_T0_E_clISt17integral_constantIbLb0EESW_EEDaSR_SS_EUlSR_E_NS1_11comp_targetILNS1_3genE3ELNS1_11target_archE908ELNS1_3gpuE7ELNS1_3repE0EEENS1_30default_config_static_selectorELNS0_4arch9wavefront6targetE0EEEvT1_
                                        ; -- End function
	.section	.AMDGPU.csdata,"",@progbits
; Kernel info:
; codeLenInByte = 0
; NumSgprs: 0
; NumVgprs: 0
; ScratchSize: 0
; MemoryBound: 0
; FloatMode: 240
; IeeeMode: 1
; LDSByteSize: 0 bytes/workgroup (compile time only)
; SGPRBlocks: 0
; VGPRBlocks: 0
; NumSGPRsForWavesPerEU: 1
; NumVGPRsForWavesPerEU: 1
; Occupancy: 16
; WaveLimiterHint : 0
; COMPUTE_PGM_RSRC2:SCRATCH_EN: 0
; COMPUTE_PGM_RSRC2:USER_SGPR: 15
; COMPUTE_PGM_RSRC2:TRAP_HANDLER: 0
; COMPUTE_PGM_RSRC2:TGID_X_EN: 1
; COMPUTE_PGM_RSRC2:TGID_Y_EN: 0
; COMPUTE_PGM_RSRC2:TGID_Z_EN: 0
; COMPUTE_PGM_RSRC2:TIDIG_COMP_CNT: 0
	.section	.text._ZN7rocprim17ROCPRIM_400000_NS6detail17trampoline_kernelINS0_14default_configENS1_20scan_config_selectorIfEEZZNS1_9scan_implILNS1_25lookback_scan_determinismE0ELb0ELb0ES3_PKfPffZZZN2at6native31launch_logcumsumexp_cuda_kernelERKNSB_10TensorBaseESF_lENKUlvE_clEvENKUlvE0_clEvEUlffE_fEEDaPvRmT3_T4_T5_mT6_P12ihipStream_tbENKUlT_T0_E_clISt17integral_constantIbLb0EESW_EEDaSR_SS_EUlSR_E_NS1_11comp_targetILNS1_3genE2ELNS1_11target_archE906ELNS1_3gpuE6ELNS1_3repE0EEENS1_30default_config_static_selectorELNS0_4arch9wavefront6targetE0EEEvT1_,"axG",@progbits,_ZN7rocprim17ROCPRIM_400000_NS6detail17trampoline_kernelINS0_14default_configENS1_20scan_config_selectorIfEEZZNS1_9scan_implILNS1_25lookback_scan_determinismE0ELb0ELb0ES3_PKfPffZZZN2at6native31launch_logcumsumexp_cuda_kernelERKNSB_10TensorBaseESF_lENKUlvE_clEvENKUlvE0_clEvEUlffE_fEEDaPvRmT3_T4_T5_mT6_P12ihipStream_tbENKUlT_T0_E_clISt17integral_constantIbLb0EESW_EEDaSR_SS_EUlSR_E_NS1_11comp_targetILNS1_3genE2ELNS1_11target_archE906ELNS1_3gpuE6ELNS1_3repE0EEENS1_30default_config_static_selectorELNS0_4arch9wavefront6targetE0EEEvT1_,comdat
	.globl	_ZN7rocprim17ROCPRIM_400000_NS6detail17trampoline_kernelINS0_14default_configENS1_20scan_config_selectorIfEEZZNS1_9scan_implILNS1_25lookback_scan_determinismE0ELb0ELb0ES3_PKfPffZZZN2at6native31launch_logcumsumexp_cuda_kernelERKNSB_10TensorBaseESF_lENKUlvE_clEvENKUlvE0_clEvEUlffE_fEEDaPvRmT3_T4_T5_mT6_P12ihipStream_tbENKUlT_T0_E_clISt17integral_constantIbLb0EESW_EEDaSR_SS_EUlSR_E_NS1_11comp_targetILNS1_3genE2ELNS1_11target_archE906ELNS1_3gpuE6ELNS1_3repE0EEENS1_30default_config_static_selectorELNS0_4arch9wavefront6targetE0EEEvT1_ ; -- Begin function _ZN7rocprim17ROCPRIM_400000_NS6detail17trampoline_kernelINS0_14default_configENS1_20scan_config_selectorIfEEZZNS1_9scan_implILNS1_25lookback_scan_determinismE0ELb0ELb0ES3_PKfPffZZZN2at6native31launch_logcumsumexp_cuda_kernelERKNSB_10TensorBaseESF_lENKUlvE_clEvENKUlvE0_clEvEUlffE_fEEDaPvRmT3_T4_T5_mT6_P12ihipStream_tbENKUlT_T0_E_clISt17integral_constantIbLb0EESW_EEDaSR_SS_EUlSR_E_NS1_11comp_targetILNS1_3genE2ELNS1_11target_archE906ELNS1_3gpuE6ELNS1_3repE0EEENS1_30default_config_static_selectorELNS0_4arch9wavefront6targetE0EEEvT1_
	.p2align	8
	.type	_ZN7rocprim17ROCPRIM_400000_NS6detail17trampoline_kernelINS0_14default_configENS1_20scan_config_selectorIfEEZZNS1_9scan_implILNS1_25lookback_scan_determinismE0ELb0ELb0ES3_PKfPffZZZN2at6native31launch_logcumsumexp_cuda_kernelERKNSB_10TensorBaseESF_lENKUlvE_clEvENKUlvE0_clEvEUlffE_fEEDaPvRmT3_T4_T5_mT6_P12ihipStream_tbENKUlT_T0_E_clISt17integral_constantIbLb0EESW_EEDaSR_SS_EUlSR_E_NS1_11comp_targetILNS1_3genE2ELNS1_11target_archE906ELNS1_3gpuE6ELNS1_3repE0EEENS1_30default_config_static_selectorELNS0_4arch9wavefront6targetE0EEEvT1_,@function
_ZN7rocprim17ROCPRIM_400000_NS6detail17trampoline_kernelINS0_14default_configENS1_20scan_config_selectorIfEEZZNS1_9scan_implILNS1_25lookback_scan_determinismE0ELb0ELb0ES3_PKfPffZZZN2at6native31launch_logcumsumexp_cuda_kernelERKNSB_10TensorBaseESF_lENKUlvE_clEvENKUlvE0_clEvEUlffE_fEEDaPvRmT3_T4_T5_mT6_P12ihipStream_tbENKUlT_T0_E_clISt17integral_constantIbLb0EESW_EEDaSR_SS_EUlSR_E_NS1_11comp_targetILNS1_3genE2ELNS1_11target_archE906ELNS1_3gpuE6ELNS1_3repE0EEENS1_30default_config_static_selectorELNS0_4arch9wavefront6targetE0EEEvT1_: ; @_ZN7rocprim17ROCPRIM_400000_NS6detail17trampoline_kernelINS0_14default_configENS1_20scan_config_selectorIfEEZZNS1_9scan_implILNS1_25lookback_scan_determinismE0ELb0ELb0ES3_PKfPffZZZN2at6native31launch_logcumsumexp_cuda_kernelERKNSB_10TensorBaseESF_lENKUlvE_clEvENKUlvE0_clEvEUlffE_fEEDaPvRmT3_T4_T5_mT6_P12ihipStream_tbENKUlT_T0_E_clISt17integral_constantIbLb0EESW_EEDaSR_SS_EUlSR_E_NS1_11comp_targetILNS1_3genE2ELNS1_11target_archE906ELNS1_3gpuE6ELNS1_3repE0EEENS1_30default_config_static_selectorELNS0_4arch9wavefront6targetE0EEEvT1_
; %bb.0:
	.section	.rodata,"a",@progbits
	.p2align	6, 0x0
	.amdhsa_kernel _ZN7rocprim17ROCPRIM_400000_NS6detail17trampoline_kernelINS0_14default_configENS1_20scan_config_selectorIfEEZZNS1_9scan_implILNS1_25lookback_scan_determinismE0ELb0ELb0ES3_PKfPffZZZN2at6native31launch_logcumsumexp_cuda_kernelERKNSB_10TensorBaseESF_lENKUlvE_clEvENKUlvE0_clEvEUlffE_fEEDaPvRmT3_T4_T5_mT6_P12ihipStream_tbENKUlT_T0_E_clISt17integral_constantIbLb0EESW_EEDaSR_SS_EUlSR_E_NS1_11comp_targetILNS1_3genE2ELNS1_11target_archE906ELNS1_3gpuE6ELNS1_3repE0EEENS1_30default_config_static_selectorELNS0_4arch9wavefront6targetE0EEEvT1_
		.amdhsa_group_segment_fixed_size 0
		.amdhsa_private_segment_fixed_size 0
		.amdhsa_kernarg_size 96
		.amdhsa_user_sgpr_count 15
		.amdhsa_user_sgpr_dispatch_ptr 0
		.amdhsa_user_sgpr_queue_ptr 0
		.amdhsa_user_sgpr_kernarg_segment_ptr 1
		.amdhsa_user_sgpr_dispatch_id 0
		.amdhsa_user_sgpr_private_segment_size 0
		.amdhsa_wavefront_size32 1
		.amdhsa_uses_dynamic_stack 0
		.amdhsa_enable_private_segment 0
		.amdhsa_system_sgpr_workgroup_id_x 1
		.amdhsa_system_sgpr_workgroup_id_y 0
		.amdhsa_system_sgpr_workgroup_id_z 0
		.amdhsa_system_sgpr_workgroup_info 0
		.amdhsa_system_vgpr_workitem_id 0
		.amdhsa_next_free_vgpr 1
		.amdhsa_next_free_sgpr 1
		.amdhsa_reserve_vcc 0
		.amdhsa_float_round_mode_32 0
		.amdhsa_float_round_mode_16_64 0
		.amdhsa_float_denorm_mode_32 3
		.amdhsa_float_denorm_mode_16_64 3
		.amdhsa_dx10_clamp 1
		.amdhsa_ieee_mode 1
		.amdhsa_fp16_overflow 0
		.amdhsa_workgroup_processor_mode 1
		.amdhsa_memory_ordered 1
		.amdhsa_forward_progress 0
		.amdhsa_shared_vgpr_count 0
		.amdhsa_exception_fp_ieee_invalid_op 0
		.amdhsa_exception_fp_denorm_src 0
		.amdhsa_exception_fp_ieee_div_zero 0
		.amdhsa_exception_fp_ieee_overflow 0
		.amdhsa_exception_fp_ieee_underflow 0
		.amdhsa_exception_fp_ieee_inexact 0
		.amdhsa_exception_int_div_zero 0
	.end_amdhsa_kernel
	.section	.text._ZN7rocprim17ROCPRIM_400000_NS6detail17trampoline_kernelINS0_14default_configENS1_20scan_config_selectorIfEEZZNS1_9scan_implILNS1_25lookback_scan_determinismE0ELb0ELb0ES3_PKfPffZZZN2at6native31launch_logcumsumexp_cuda_kernelERKNSB_10TensorBaseESF_lENKUlvE_clEvENKUlvE0_clEvEUlffE_fEEDaPvRmT3_T4_T5_mT6_P12ihipStream_tbENKUlT_T0_E_clISt17integral_constantIbLb0EESW_EEDaSR_SS_EUlSR_E_NS1_11comp_targetILNS1_3genE2ELNS1_11target_archE906ELNS1_3gpuE6ELNS1_3repE0EEENS1_30default_config_static_selectorELNS0_4arch9wavefront6targetE0EEEvT1_,"axG",@progbits,_ZN7rocprim17ROCPRIM_400000_NS6detail17trampoline_kernelINS0_14default_configENS1_20scan_config_selectorIfEEZZNS1_9scan_implILNS1_25lookback_scan_determinismE0ELb0ELb0ES3_PKfPffZZZN2at6native31launch_logcumsumexp_cuda_kernelERKNSB_10TensorBaseESF_lENKUlvE_clEvENKUlvE0_clEvEUlffE_fEEDaPvRmT3_T4_T5_mT6_P12ihipStream_tbENKUlT_T0_E_clISt17integral_constantIbLb0EESW_EEDaSR_SS_EUlSR_E_NS1_11comp_targetILNS1_3genE2ELNS1_11target_archE906ELNS1_3gpuE6ELNS1_3repE0EEENS1_30default_config_static_selectorELNS0_4arch9wavefront6targetE0EEEvT1_,comdat
.Lfunc_end96:
	.size	_ZN7rocprim17ROCPRIM_400000_NS6detail17trampoline_kernelINS0_14default_configENS1_20scan_config_selectorIfEEZZNS1_9scan_implILNS1_25lookback_scan_determinismE0ELb0ELb0ES3_PKfPffZZZN2at6native31launch_logcumsumexp_cuda_kernelERKNSB_10TensorBaseESF_lENKUlvE_clEvENKUlvE0_clEvEUlffE_fEEDaPvRmT3_T4_T5_mT6_P12ihipStream_tbENKUlT_T0_E_clISt17integral_constantIbLb0EESW_EEDaSR_SS_EUlSR_E_NS1_11comp_targetILNS1_3genE2ELNS1_11target_archE906ELNS1_3gpuE6ELNS1_3repE0EEENS1_30default_config_static_selectorELNS0_4arch9wavefront6targetE0EEEvT1_, .Lfunc_end96-_ZN7rocprim17ROCPRIM_400000_NS6detail17trampoline_kernelINS0_14default_configENS1_20scan_config_selectorIfEEZZNS1_9scan_implILNS1_25lookback_scan_determinismE0ELb0ELb0ES3_PKfPffZZZN2at6native31launch_logcumsumexp_cuda_kernelERKNSB_10TensorBaseESF_lENKUlvE_clEvENKUlvE0_clEvEUlffE_fEEDaPvRmT3_T4_T5_mT6_P12ihipStream_tbENKUlT_T0_E_clISt17integral_constantIbLb0EESW_EEDaSR_SS_EUlSR_E_NS1_11comp_targetILNS1_3genE2ELNS1_11target_archE906ELNS1_3gpuE6ELNS1_3repE0EEENS1_30default_config_static_selectorELNS0_4arch9wavefront6targetE0EEEvT1_
                                        ; -- End function
	.section	.AMDGPU.csdata,"",@progbits
; Kernel info:
; codeLenInByte = 0
; NumSgprs: 0
; NumVgprs: 0
; ScratchSize: 0
; MemoryBound: 0
; FloatMode: 240
; IeeeMode: 1
; LDSByteSize: 0 bytes/workgroup (compile time only)
; SGPRBlocks: 0
; VGPRBlocks: 0
; NumSGPRsForWavesPerEU: 1
; NumVGPRsForWavesPerEU: 1
; Occupancy: 16
; WaveLimiterHint : 0
; COMPUTE_PGM_RSRC2:SCRATCH_EN: 0
; COMPUTE_PGM_RSRC2:USER_SGPR: 15
; COMPUTE_PGM_RSRC2:TRAP_HANDLER: 0
; COMPUTE_PGM_RSRC2:TGID_X_EN: 1
; COMPUTE_PGM_RSRC2:TGID_Y_EN: 0
; COMPUTE_PGM_RSRC2:TGID_Z_EN: 0
; COMPUTE_PGM_RSRC2:TIDIG_COMP_CNT: 0
	.section	.text._ZN7rocprim17ROCPRIM_400000_NS6detail17trampoline_kernelINS0_14default_configENS1_20scan_config_selectorIfEEZZNS1_9scan_implILNS1_25lookback_scan_determinismE0ELb0ELb0ES3_PKfPffZZZN2at6native31launch_logcumsumexp_cuda_kernelERKNSB_10TensorBaseESF_lENKUlvE_clEvENKUlvE0_clEvEUlffE_fEEDaPvRmT3_T4_T5_mT6_P12ihipStream_tbENKUlT_T0_E_clISt17integral_constantIbLb0EESW_EEDaSR_SS_EUlSR_E_NS1_11comp_targetILNS1_3genE10ELNS1_11target_archE1201ELNS1_3gpuE5ELNS1_3repE0EEENS1_30default_config_static_selectorELNS0_4arch9wavefront6targetE0EEEvT1_,"axG",@progbits,_ZN7rocprim17ROCPRIM_400000_NS6detail17trampoline_kernelINS0_14default_configENS1_20scan_config_selectorIfEEZZNS1_9scan_implILNS1_25lookback_scan_determinismE0ELb0ELb0ES3_PKfPffZZZN2at6native31launch_logcumsumexp_cuda_kernelERKNSB_10TensorBaseESF_lENKUlvE_clEvENKUlvE0_clEvEUlffE_fEEDaPvRmT3_T4_T5_mT6_P12ihipStream_tbENKUlT_T0_E_clISt17integral_constantIbLb0EESW_EEDaSR_SS_EUlSR_E_NS1_11comp_targetILNS1_3genE10ELNS1_11target_archE1201ELNS1_3gpuE5ELNS1_3repE0EEENS1_30default_config_static_selectorELNS0_4arch9wavefront6targetE0EEEvT1_,comdat
	.globl	_ZN7rocprim17ROCPRIM_400000_NS6detail17trampoline_kernelINS0_14default_configENS1_20scan_config_selectorIfEEZZNS1_9scan_implILNS1_25lookback_scan_determinismE0ELb0ELb0ES3_PKfPffZZZN2at6native31launch_logcumsumexp_cuda_kernelERKNSB_10TensorBaseESF_lENKUlvE_clEvENKUlvE0_clEvEUlffE_fEEDaPvRmT3_T4_T5_mT6_P12ihipStream_tbENKUlT_T0_E_clISt17integral_constantIbLb0EESW_EEDaSR_SS_EUlSR_E_NS1_11comp_targetILNS1_3genE10ELNS1_11target_archE1201ELNS1_3gpuE5ELNS1_3repE0EEENS1_30default_config_static_selectorELNS0_4arch9wavefront6targetE0EEEvT1_ ; -- Begin function _ZN7rocprim17ROCPRIM_400000_NS6detail17trampoline_kernelINS0_14default_configENS1_20scan_config_selectorIfEEZZNS1_9scan_implILNS1_25lookback_scan_determinismE0ELb0ELb0ES3_PKfPffZZZN2at6native31launch_logcumsumexp_cuda_kernelERKNSB_10TensorBaseESF_lENKUlvE_clEvENKUlvE0_clEvEUlffE_fEEDaPvRmT3_T4_T5_mT6_P12ihipStream_tbENKUlT_T0_E_clISt17integral_constantIbLb0EESW_EEDaSR_SS_EUlSR_E_NS1_11comp_targetILNS1_3genE10ELNS1_11target_archE1201ELNS1_3gpuE5ELNS1_3repE0EEENS1_30default_config_static_selectorELNS0_4arch9wavefront6targetE0EEEvT1_
	.p2align	8
	.type	_ZN7rocprim17ROCPRIM_400000_NS6detail17trampoline_kernelINS0_14default_configENS1_20scan_config_selectorIfEEZZNS1_9scan_implILNS1_25lookback_scan_determinismE0ELb0ELb0ES3_PKfPffZZZN2at6native31launch_logcumsumexp_cuda_kernelERKNSB_10TensorBaseESF_lENKUlvE_clEvENKUlvE0_clEvEUlffE_fEEDaPvRmT3_T4_T5_mT6_P12ihipStream_tbENKUlT_T0_E_clISt17integral_constantIbLb0EESW_EEDaSR_SS_EUlSR_E_NS1_11comp_targetILNS1_3genE10ELNS1_11target_archE1201ELNS1_3gpuE5ELNS1_3repE0EEENS1_30default_config_static_selectorELNS0_4arch9wavefront6targetE0EEEvT1_,@function
_ZN7rocprim17ROCPRIM_400000_NS6detail17trampoline_kernelINS0_14default_configENS1_20scan_config_selectorIfEEZZNS1_9scan_implILNS1_25lookback_scan_determinismE0ELb0ELb0ES3_PKfPffZZZN2at6native31launch_logcumsumexp_cuda_kernelERKNSB_10TensorBaseESF_lENKUlvE_clEvENKUlvE0_clEvEUlffE_fEEDaPvRmT3_T4_T5_mT6_P12ihipStream_tbENKUlT_T0_E_clISt17integral_constantIbLb0EESW_EEDaSR_SS_EUlSR_E_NS1_11comp_targetILNS1_3genE10ELNS1_11target_archE1201ELNS1_3gpuE5ELNS1_3repE0EEENS1_30default_config_static_selectorELNS0_4arch9wavefront6targetE0EEEvT1_: ; @_ZN7rocprim17ROCPRIM_400000_NS6detail17trampoline_kernelINS0_14default_configENS1_20scan_config_selectorIfEEZZNS1_9scan_implILNS1_25lookback_scan_determinismE0ELb0ELb0ES3_PKfPffZZZN2at6native31launch_logcumsumexp_cuda_kernelERKNSB_10TensorBaseESF_lENKUlvE_clEvENKUlvE0_clEvEUlffE_fEEDaPvRmT3_T4_T5_mT6_P12ihipStream_tbENKUlT_T0_E_clISt17integral_constantIbLb0EESW_EEDaSR_SS_EUlSR_E_NS1_11comp_targetILNS1_3genE10ELNS1_11target_archE1201ELNS1_3gpuE5ELNS1_3repE0EEENS1_30default_config_static_selectorELNS0_4arch9wavefront6targetE0EEEvT1_
; %bb.0:
	.section	.rodata,"a",@progbits
	.p2align	6, 0x0
	.amdhsa_kernel _ZN7rocprim17ROCPRIM_400000_NS6detail17trampoline_kernelINS0_14default_configENS1_20scan_config_selectorIfEEZZNS1_9scan_implILNS1_25lookback_scan_determinismE0ELb0ELb0ES3_PKfPffZZZN2at6native31launch_logcumsumexp_cuda_kernelERKNSB_10TensorBaseESF_lENKUlvE_clEvENKUlvE0_clEvEUlffE_fEEDaPvRmT3_T4_T5_mT6_P12ihipStream_tbENKUlT_T0_E_clISt17integral_constantIbLb0EESW_EEDaSR_SS_EUlSR_E_NS1_11comp_targetILNS1_3genE10ELNS1_11target_archE1201ELNS1_3gpuE5ELNS1_3repE0EEENS1_30default_config_static_selectorELNS0_4arch9wavefront6targetE0EEEvT1_
		.amdhsa_group_segment_fixed_size 0
		.amdhsa_private_segment_fixed_size 0
		.amdhsa_kernarg_size 96
		.amdhsa_user_sgpr_count 15
		.amdhsa_user_sgpr_dispatch_ptr 0
		.amdhsa_user_sgpr_queue_ptr 0
		.amdhsa_user_sgpr_kernarg_segment_ptr 1
		.amdhsa_user_sgpr_dispatch_id 0
		.amdhsa_user_sgpr_private_segment_size 0
		.amdhsa_wavefront_size32 1
		.amdhsa_uses_dynamic_stack 0
		.amdhsa_enable_private_segment 0
		.amdhsa_system_sgpr_workgroup_id_x 1
		.amdhsa_system_sgpr_workgroup_id_y 0
		.amdhsa_system_sgpr_workgroup_id_z 0
		.amdhsa_system_sgpr_workgroup_info 0
		.amdhsa_system_vgpr_workitem_id 0
		.amdhsa_next_free_vgpr 1
		.amdhsa_next_free_sgpr 1
		.amdhsa_reserve_vcc 0
		.amdhsa_float_round_mode_32 0
		.amdhsa_float_round_mode_16_64 0
		.amdhsa_float_denorm_mode_32 3
		.amdhsa_float_denorm_mode_16_64 3
		.amdhsa_dx10_clamp 1
		.amdhsa_ieee_mode 1
		.amdhsa_fp16_overflow 0
		.amdhsa_workgroup_processor_mode 1
		.amdhsa_memory_ordered 1
		.amdhsa_forward_progress 0
		.amdhsa_shared_vgpr_count 0
		.amdhsa_exception_fp_ieee_invalid_op 0
		.amdhsa_exception_fp_denorm_src 0
		.amdhsa_exception_fp_ieee_div_zero 0
		.amdhsa_exception_fp_ieee_overflow 0
		.amdhsa_exception_fp_ieee_underflow 0
		.amdhsa_exception_fp_ieee_inexact 0
		.amdhsa_exception_int_div_zero 0
	.end_amdhsa_kernel
	.section	.text._ZN7rocprim17ROCPRIM_400000_NS6detail17trampoline_kernelINS0_14default_configENS1_20scan_config_selectorIfEEZZNS1_9scan_implILNS1_25lookback_scan_determinismE0ELb0ELb0ES3_PKfPffZZZN2at6native31launch_logcumsumexp_cuda_kernelERKNSB_10TensorBaseESF_lENKUlvE_clEvENKUlvE0_clEvEUlffE_fEEDaPvRmT3_T4_T5_mT6_P12ihipStream_tbENKUlT_T0_E_clISt17integral_constantIbLb0EESW_EEDaSR_SS_EUlSR_E_NS1_11comp_targetILNS1_3genE10ELNS1_11target_archE1201ELNS1_3gpuE5ELNS1_3repE0EEENS1_30default_config_static_selectorELNS0_4arch9wavefront6targetE0EEEvT1_,"axG",@progbits,_ZN7rocprim17ROCPRIM_400000_NS6detail17trampoline_kernelINS0_14default_configENS1_20scan_config_selectorIfEEZZNS1_9scan_implILNS1_25lookback_scan_determinismE0ELb0ELb0ES3_PKfPffZZZN2at6native31launch_logcumsumexp_cuda_kernelERKNSB_10TensorBaseESF_lENKUlvE_clEvENKUlvE0_clEvEUlffE_fEEDaPvRmT3_T4_T5_mT6_P12ihipStream_tbENKUlT_T0_E_clISt17integral_constantIbLb0EESW_EEDaSR_SS_EUlSR_E_NS1_11comp_targetILNS1_3genE10ELNS1_11target_archE1201ELNS1_3gpuE5ELNS1_3repE0EEENS1_30default_config_static_selectorELNS0_4arch9wavefront6targetE0EEEvT1_,comdat
.Lfunc_end97:
	.size	_ZN7rocprim17ROCPRIM_400000_NS6detail17trampoline_kernelINS0_14default_configENS1_20scan_config_selectorIfEEZZNS1_9scan_implILNS1_25lookback_scan_determinismE0ELb0ELb0ES3_PKfPffZZZN2at6native31launch_logcumsumexp_cuda_kernelERKNSB_10TensorBaseESF_lENKUlvE_clEvENKUlvE0_clEvEUlffE_fEEDaPvRmT3_T4_T5_mT6_P12ihipStream_tbENKUlT_T0_E_clISt17integral_constantIbLb0EESW_EEDaSR_SS_EUlSR_E_NS1_11comp_targetILNS1_3genE10ELNS1_11target_archE1201ELNS1_3gpuE5ELNS1_3repE0EEENS1_30default_config_static_selectorELNS0_4arch9wavefront6targetE0EEEvT1_, .Lfunc_end97-_ZN7rocprim17ROCPRIM_400000_NS6detail17trampoline_kernelINS0_14default_configENS1_20scan_config_selectorIfEEZZNS1_9scan_implILNS1_25lookback_scan_determinismE0ELb0ELb0ES3_PKfPffZZZN2at6native31launch_logcumsumexp_cuda_kernelERKNSB_10TensorBaseESF_lENKUlvE_clEvENKUlvE0_clEvEUlffE_fEEDaPvRmT3_T4_T5_mT6_P12ihipStream_tbENKUlT_T0_E_clISt17integral_constantIbLb0EESW_EEDaSR_SS_EUlSR_E_NS1_11comp_targetILNS1_3genE10ELNS1_11target_archE1201ELNS1_3gpuE5ELNS1_3repE0EEENS1_30default_config_static_selectorELNS0_4arch9wavefront6targetE0EEEvT1_
                                        ; -- End function
	.section	.AMDGPU.csdata,"",@progbits
; Kernel info:
; codeLenInByte = 0
; NumSgprs: 0
; NumVgprs: 0
; ScratchSize: 0
; MemoryBound: 0
; FloatMode: 240
; IeeeMode: 1
; LDSByteSize: 0 bytes/workgroup (compile time only)
; SGPRBlocks: 0
; VGPRBlocks: 0
; NumSGPRsForWavesPerEU: 1
; NumVGPRsForWavesPerEU: 1
; Occupancy: 16
; WaveLimiterHint : 0
; COMPUTE_PGM_RSRC2:SCRATCH_EN: 0
; COMPUTE_PGM_RSRC2:USER_SGPR: 15
; COMPUTE_PGM_RSRC2:TRAP_HANDLER: 0
; COMPUTE_PGM_RSRC2:TGID_X_EN: 1
; COMPUTE_PGM_RSRC2:TGID_Y_EN: 0
; COMPUTE_PGM_RSRC2:TGID_Z_EN: 0
; COMPUTE_PGM_RSRC2:TIDIG_COMP_CNT: 0
	.section	.text._ZN7rocprim17ROCPRIM_400000_NS6detail17trampoline_kernelINS0_14default_configENS1_20scan_config_selectorIfEEZZNS1_9scan_implILNS1_25lookback_scan_determinismE0ELb0ELb0ES3_PKfPffZZZN2at6native31launch_logcumsumexp_cuda_kernelERKNSB_10TensorBaseESF_lENKUlvE_clEvENKUlvE0_clEvEUlffE_fEEDaPvRmT3_T4_T5_mT6_P12ihipStream_tbENKUlT_T0_E_clISt17integral_constantIbLb0EESW_EEDaSR_SS_EUlSR_E_NS1_11comp_targetILNS1_3genE10ELNS1_11target_archE1200ELNS1_3gpuE4ELNS1_3repE0EEENS1_30default_config_static_selectorELNS0_4arch9wavefront6targetE0EEEvT1_,"axG",@progbits,_ZN7rocprim17ROCPRIM_400000_NS6detail17trampoline_kernelINS0_14default_configENS1_20scan_config_selectorIfEEZZNS1_9scan_implILNS1_25lookback_scan_determinismE0ELb0ELb0ES3_PKfPffZZZN2at6native31launch_logcumsumexp_cuda_kernelERKNSB_10TensorBaseESF_lENKUlvE_clEvENKUlvE0_clEvEUlffE_fEEDaPvRmT3_T4_T5_mT6_P12ihipStream_tbENKUlT_T0_E_clISt17integral_constantIbLb0EESW_EEDaSR_SS_EUlSR_E_NS1_11comp_targetILNS1_3genE10ELNS1_11target_archE1200ELNS1_3gpuE4ELNS1_3repE0EEENS1_30default_config_static_selectorELNS0_4arch9wavefront6targetE0EEEvT1_,comdat
	.globl	_ZN7rocprim17ROCPRIM_400000_NS6detail17trampoline_kernelINS0_14default_configENS1_20scan_config_selectorIfEEZZNS1_9scan_implILNS1_25lookback_scan_determinismE0ELb0ELb0ES3_PKfPffZZZN2at6native31launch_logcumsumexp_cuda_kernelERKNSB_10TensorBaseESF_lENKUlvE_clEvENKUlvE0_clEvEUlffE_fEEDaPvRmT3_T4_T5_mT6_P12ihipStream_tbENKUlT_T0_E_clISt17integral_constantIbLb0EESW_EEDaSR_SS_EUlSR_E_NS1_11comp_targetILNS1_3genE10ELNS1_11target_archE1200ELNS1_3gpuE4ELNS1_3repE0EEENS1_30default_config_static_selectorELNS0_4arch9wavefront6targetE0EEEvT1_ ; -- Begin function _ZN7rocprim17ROCPRIM_400000_NS6detail17trampoline_kernelINS0_14default_configENS1_20scan_config_selectorIfEEZZNS1_9scan_implILNS1_25lookback_scan_determinismE0ELb0ELb0ES3_PKfPffZZZN2at6native31launch_logcumsumexp_cuda_kernelERKNSB_10TensorBaseESF_lENKUlvE_clEvENKUlvE0_clEvEUlffE_fEEDaPvRmT3_T4_T5_mT6_P12ihipStream_tbENKUlT_T0_E_clISt17integral_constantIbLb0EESW_EEDaSR_SS_EUlSR_E_NS1_11comp_targetILNS1_3genE10ELNS1_11target_archE1200ELNS1_3gpuE4ELNS1_3repE0EEENS1_30default_config_static_selectorELNS0_4arch9wavefront6targetE0EEEvT1_
	.p2align	8
	.type	_ZN7rocprim17ROCPRIM_400000_NS6detail17trampoline_kernelINS0_14default_configENS1_20scan_config_selectorIfEEZZNS1_9scan_implILNS1_25lookback_scan_determinismE0ELb0ELb0ES3_PKfPffZZZN2at6native31launch_logcumsumexp_cuda_kernelERKNSB_10TensorBaseESF_lENKUlvE_clEvENKUlvE0_clEvEUlffE_fEEDaPvRmT3_T4_T5_mT6_P12ihipStream_tbENKUlT_T0_E_clISt17integral_constantIbLb0EESW_EEDaSR_SS_EUlSR_E_NS1_11comp_targetILNS1_3genE10ELNS1_11target_archE1200ELNS1_3gpuE4ELNS1_3repE0EEENS1_30default_config_static_selectorELNS0_4arch9wavefront6targetE0EEEvT1_,@function
_ZN7rocprim17ROCPRIM_400000_NS6detail17trampoline_kernelINS0_14default_configENS1_20scan_config_selectorIfEEZZNS1_9scan_implILNS1_25lookback_scan_determinismE0ELb0ELb0ES3_PKfPffZZZN2at6native31launch_logcumsumexp_cuda_kernelERKNSB_10TensorBaseESF_lENKUlvE_clEvENKUlvE0_clEvEUlffE_fEEDaPvRmT3_T4_T5_mT6_P12ihipStream_tbENKUlT_T0_E_clISt17integral_constantIbLb0EESW_EEDaSR_SS_EUlSR_E_NS1_11comp_targetILNS1_3genE10ELNS1_11target_archE1200ELNS1_3gpuE4ELNS1_3repE0EEENS1_30default_config_static_selectorELNS0_4arch9wavefront6targetE0EEEvT1_: ; @_ZN7rocprim17ROCPRIM_400000_NS6detail17trampoline_kernelINS0_14default_configENS1_20scan_config_selectorIfEEZZNS1_9scan_implILNS1_25lookback_scan_determinismE0ELb0ELb0ES3_PKfPffZZZN2at6native31launch_logcumsumexp_cuda_kernelERKNSB_10TensorBaseESF_lENKUlvE_clEvENKUlvE0_clEvEUlffE_fEEDaPvRmT3_T4_T5_mT6_P12ihipStream_tbENKUlT_T0_E_clISt17integral_constantIbLb0EESW_EEDaSR_SS_EUlSR_E_NS1_11comp_targetILNS1_3genE10ELNS1_11target_archE1200ELNS1_3gpuE4ELNS1_3repE0EEENS1_30default_config_static_selectorELNS0_4arch9wavefront6targetE0EEEvT1_
; %bb.0:
	.section	.rodata,"a",@progbits
	.p2align	6, 0x0
	.amdhsa_kernel _ZN7rocprim17ROCPRIM_400000_NS6detail17trampoline_kernelINS0_14default_configENS1_20scan_config_selectorIfEEZZNS1_9scan_implILNS1_25lookback_scan_determinismE0ELb0ELb0ES3_PKfPffZZZN2at6native31launch_logcumsumexp_cuda_kernelERKNSB_10TensorBaseESF_lENKUlvE_clEvENKUlvE0_clEvEUlffE_fEEDaPvRmT3_T4_T5_mT6_P12ihipStream_tbENKUlT_T0_E_clISt17integral_constantIbLb0EESW_EEDaSR_SS_EUlSR_E_NS1_11comp_targetILNS1_3genE10ELNS1_11target_archE1200ELNS1_3gpuE4ELNS1_3repE0EEENS1_30default_config_static_selectorELNS0_4arch9wavefront6targetE0EEEvT1_
		.amdhsa_group_segment_fixed_size 0
		.amdhsa_private_segment_fixed_size 0
		.amdhsa_kernarg_size 96
		.amdhsa_user_sgpr_count 15
		.amdhsa_user_sgpr_dispatch_ptr 0
		.amdhsa_user_sgpr_queue_ptr 0
		.amdhsa_user_sgpr_kernarg_segment_ptr 1
		.amdhsa_user_sgpr_dispatch_id 0
		.amdhsa_user_sgpr_private_segment_size 0
		.amdhsa_wavefront_size32 1
		.amdhsa_uses_dynamic_stack 0
		.amdhsa_enable_private_segment 0
		.amdhsa_system_sgpr_workgroup_id_x 1
		.amdhsa_system_sgpr_workgroup_id_y 0
		.amdhsa_system_sgpr_workgroup_id_z 0
		.amdhsa_system_sgpr_workgroup_info 0
		.amdhsa_system_vgpr_workitem_id 0
		.amdhsa_next_free_vgpr 1
		.amdhsa_next_free_sgpr 1
		.amdhsa_reserve_vcc 0
		.amdhsa_float_round_mode_32 0
		.amdhsa_float_round_mode_16_64 0
		.amdhsa_float_denorm_mode_32 3
		.amdhsa_float_denorm_mode_16_64 3
		.amdhsa_dx10_clamp 1
		.amdhsa_ieee_mode 1
		.amdhsa_fp16_overflow 0
		.amdhsa_workgroup_processor_mode 1
		.amdhsa_memory_ordered 1
		.amdhsa_forward_progress 0
		.amdhsa_shared_vgpr_count 0
		.amdhsa_exception_fp_ieee_invalid_op 0
		.amdhsa_exception_fp_denorm_src 0
		.amdhsa_exception_fp_ieee_div_zero 0
		.amdhsa_exception_fp_ieee_overflow 0
		.amdhsa_exception_fp_ieee_underflow 0
		.amdhsa_exception_fp_ieee_inexact 0
		.amdhsa_exception_int_div_zero 0
	.end_amdhsa_kernel
	.section	.text._ZN7rocprim17ROCPRIM_400000_NS6detail17trampoline_kernelINS0_14default_configENS1_20scan_config_selectorIfEEZZNS1_9scan_implILNS1_25lookback_scan_determinismE0ELb0ELb0ES3_PKfPffZZZN2at6native31launch_logcumsumexp_cuda_kernelERKNSB_10TensorBaseESF_lENKUlvE_clEvENKUlvE0_clEvEUlffE_fEEDaPvRmT3_T4_T5_mT6_P12ihipStream_tbENKUlT_T0_E_clISt17integral_constantIbLb0EESW_EEDaSR_SS_EUlSR_E_NS1_11comp_targetILNS1_3genE10ELNS1_11target_archE1200ELNS1_3gpuE4ELNS1_3repE0EEENS1_30default_config_static_selectorELNS0_4arch9wavefront6targetE0EEEvT1_,"axG",@progbits,_ZN7rocprim17ROCPRIM_400000_NS6detail17trampoline_kernelINS0_14default_configENS1_20scan_config_selectorIfEEZZNS1_9scan_implILNS1_25lookback_scan_determinismE0ELb0ELb0ES3_PKfPffZZZN2at6native31launch_logcumsumexp_cuda_kernelERKNSB_10TensorBaseESF_lENKUlvE_clEvENKUlvE0_clEvEUlffE_fEEDaPvRmT3_T4_T5_mT6_P12ihipStream_tbENKUlT_T0_E_clISt17integral_constantIbLb0EESW_EEDaSR_SS_EUlSR_E_NS1_11comp_targetILNS1_3genE10ELNS1_11target_archE1200ELNS1_3gpuE4ELNS1_3repE0EEENS1_30default_config_static_selectorELNS0_4arch9wavefront6targetE0EEEvT1_,comdat
.Lfunc_end98:
	.size	_ZN7rocprim17ROCPRIM_400000_NS6detail17trampoline_kernelINS0_14default_configENS1_20scan_config_selectorIfEEZZNS1_9scan_implILNS1_25lookback_scan_determinismE0ELb0ELb0ES3_PKfPffZZZN2at6native31launch_logcumsumexp_cuda_kernelERKNSB_10TensorBaseESF_lENKUlvE_clEvENKUlvE0_clEvEUlffE_fEEDaPvRmT3_T4_T5_mT6_P12ihipStream_tbENKUlT_T0_E_clISt17integral_constantIbLb0EESW_EEDaSR_SS_EUlSR_E_NS1_11comp_targetILNS1_3genE10ELNS1_11target_archE1200ELNS1_3gpuE4ELNS1_3repE0EEENS1_30default_config_static_selectorELNS0_4arch9wavefront6targetE0EEEvT1_, .Lfunc_end98-_ZN7rocprim17ROCPRIM_400000_NS6detail17trampoline_kernelINS0_14default_configENS1_20scan_config_selectorIfEEZZNS1_9scan_implILNS1_25lookback_scan_determinismE0ELb0ELb0ES3_PKfPffZZZN2at6native31launch_logcumsumexp_cuda_kernelERKNSB_10TensorBaseESF_lENKUlvE_clEvENKUlvE0_clEvEUlffE_fEEDaPvRmT3_T4_T5_mT6_P12ihipStream_tbENKUlT_T0_E_clISt17integral_constantIbLb0EESW_EEDaSR_SS_EUlSR_E_NS1_11comp_targetILNS1_3genE10ELNS1_11target_archE1200ELNS1_3gpuE4ELNS1_3repE0EEENS1_30default_config_static_selectorELNS0_4arch9wavefront6targetE0EEEvT1_
                                        ; -- End function
	.section	.AMDGPU.csdata,"",@progbits
; Kernel info:
; codeLenInByte = 0
; NumSgprs: 0
; NumVgprs: 0
; ScratchSize: 0
; MemoryBound: 0
; FloatMode: 240
; IeeeMode: 1
; LDSByteSize: 0 bytes/workgroup (compile time only)
; SGPRBlocks: 0
; VGPRBlocks: 0
; NumSGPRsForWavesPerEU: 1
; NumVGPRsForWavesPerEU: 1
; Occupancy: 16
; WaveLimiterHint : 0
; COMPUTE_PGM_RSRC2:SCRATCH_EN: 0
; COMPUTE_PGM_RSRC2:USER_SGPR: 15
; COMPUTE_PGM_RSRC2:TRAP_HANDLER: 0
; COMPUTE_PGM_RSRC2:TGID_X_EN: 1
; COMPUTE_PGM_RSRC2:TGID_Y_EN: 0
; COMPUTE_PGM_RSRC2:TGID_Z_EN: 0
; COMPUTE_PGM_RSRC2:TIDIG_COMP_CNT: 0
	.section	.text._ZN7rocprim17ROCPRIM_400000_NS6detail17trampoline_kernelINS0_14default_configENS1_20scan_config_selectorIfEEZZNS1_9scan_implILNS1_25lookback_scan_determinismE0ELb0ELb0ES3_PKfPffZZZN2at6native31launch_logcumsumexp_cuda_kernelERKNSB_10TensorBaseESF_lENKUlvE_clEvENKUlvE0_clEvEUlffE_fEEDaPvRmT3_T4_T5_mT6_P12ihipStream_tbENKUlT_T0_E_clISt17integral_constantIbLb0EESW_EEDaSR_SS_EUlSR_E_NS1_11comp_targetILNS1_3genE9ELNS1_11target_archE1100ELNS1_3gpuE3ELNS1_3repE0EEENS1_30default_config_static_selectorELNS0_4arch9wavefront6targetE0EEEvT1_,"axG",@progbits,_ZN7rocprim17ROCPRIM_400000_NS6detail17trampoline_kernelINS0_14default_configENS1_20scan_config_selectorIfEEZZNS1_9scan_implILNS1_25lookback_scan_determinismE0ELb0ELb0ES3_PKfPffZZZN2at6native31launch_logcumsumexp_cuda_kernelERKNSB_10TensorBaseESF_lENKUlvE_clEvENKUlvE0_clEvEUlffE_fEEDaPvRmT3_T4_T5_mT6_P12ihipStream_tbENKUlT_T0_E_clISt17integral_constantIbLb0EESW_EEDaSR_SS_EUlSR_E_NS1_11comp_targetILNS1_3genE9ELNS1_11target_archE1100ELNS1_3gpuE3ELNS1_3repE0EEENS1_30default_config_static_selectorELNS0_4arch9wavefront6targetE0EEEvT1_,comdat
	.globl	_ZN7rocprim17ROCPRIM_400000_NS6detail17trampoline_kernelINS0_14default_configENS1_20scan_config_selectorIfEEZZNS1_9scan_implILNS1_25lookback_scan_determinismE0ELb0ELb0ES3_PKfPffZZZN2at6native31launch_logcumsumexp_cuda_kernelERKNSB_10TensorBaseESF_lENKUlvE_clEvENKUlvE0_clEvEUlffE_fEEDaPvRmT3_T4_T5_mT6_P12ihipStream_tbENKUlT_T0_E_clISt17integral_constantIbLb0EESW_EEDaSR_SS_EUlSR_E_NS1_11comp_targetILNS1_3genE9ELNS1_11target_archE1100ELNS1_3gpuE3ELNS1_3repE0EEENS1_30default_config_static_selectorELNS0_4arch9wavefront6targetE0EEEvT1_ ; -- Begin function _ZN7rocprim17ROCPRIM_400000_NS6detail17trampoline_kernelINS0_14default_configENS1_20scan_config_selectorIfEEZZNS1_9scan_implILNS1_25lookback_scan_determinismE0ELb0ELb0ES3_PKfPffZZZN2at6native31launch_logcumsumexp_cuda_kernelERKNSB_10TensorBaseESF_lENKUlvE_clEvENKUlvE0_clEvEUlffE_fEEDaPvRmT3_T4_T5_mT6_P12ihipStream_tbENKUlT_T0_E_clISt17integral_constantIbLb0EESW_EEDaSR_SS_EUlSR_E_NS1_11comp_targetILNS1_3genE9ELNS1_11target_archE1100ELNS1_3gpuE3ELNS1_3repE0EEENS1_30default_config_static_selectorELNS0_4arch9wavefront6targetE0EEEvT1_
	.p2align	8
	.type	_ZN7rocprim17ROCPRIM_400000_NS6detail17trampoline_kernelINS0_14default_configENS1_20scan_config_selectorIfEEZZNS1_9scan_implILNS1_25lookback_scan_determinismE0ELb0ELb0ES3_PKfPffZZZN2at6native31launch_logcumsumexp_cuda_kernelERKNSB_10TensorBaseESF_lENKUlvE_clEvENKUlvE0_clEvEUlffE_fEEDaPvRmT3_T4_T5_mT6_P12ihipStream_tbENKUlT_T0_E_clISt17integral_constantIbLb0EESW_EEDaSR_SS_EUlSR_E_NS1_11comp_targetILNS1_3genE9ELNS1_11target_archE1100ELNS1_3gpuE3ELNS1_3repE0EEENS1_30default_config_static_selectorELNS0_4arch9wavefront6targetE0EEEvT1_,@function
_ZN7rocprim17ROCPRIM_400000_NS6detail17trampoline_kernelINS0_14default_configENS1_20scan_config_selectorIfEEZZNS1_9scan_implILNS1_25lookback_scan_determinismE0ELb0ELb0ES3_PKfPffZZZN2at6native31launch_logcumsumexp_cuda_kernelERKNSB_10TensorBaseESF_lENKUlvE_clEvENKUlvE0_clEvEUlffE_fEEDaPvRmT3_T4_T5_mT6_P12ihipStream_tbENKUlT_T0_E_clISt17integral_constantIbLb0EESW_EEDaSR_SS_EUlSR_E_NS1_11comp_targetILNS1_3genE9ELNS1_11target_archE1100ELNS1_3gpuE3ELNS1_3repE0EEENS1_30default_config_static_selectorELNS0_4arch9wavefront6targetE0EEEvT1_: ; @_ZN7rocprim17ROCPRIM_400000_NS6detail17trampoline_kernelINS0_14default_configENS1_20scan_config_selectorIfEEZZNS1_9scan_implILNS1_25lookback_scan_determinismE0ELb0ELb0ES3_PKfPffZZZN2at6native31launch_logcumsumexp_cuda_kernelERKNSB_10TensorBaseESF_lENKUlvE_clEvENKUlvE0_clEvEUlffE_fEEDaPvRmT3_T4_T5_mT6_P12ihipStream_tbENKUlT_T0_E_clISt17integral_constantIbLb0EESW_EEDaSR_SS_EUlSR_E_NS1_11comp_targetILNS1_3genE9ELNS1_11target_archE1100ELNS1_3gpuE3ELNS1_3repE0EEENS1_30default_config_static_selectorELNS0_4arch9wavefront6targetE0EEEvT1_
; %bb.0:
	s_clause 0x1
	s_load_b256 s[16:23], s[0:1], 0x0
	s_load_b32 s2, s[0:1], 0x30
	s_mov_b32 s3, 0
	v_lshlrev_b32_e32 v16, 2, v0
	v_lshrrev_b32_e32 v17, 3, v0
	v_or_b32_e32 v15, 0x100, v0
	v_or_b32_e32 v14, 0x200, v0
	;; [unrolled: 1-line block ×3, first 2 shown]
	s_waitcnt lgkmcnt(0)
	s_lshl_b64 s[18:19], s[18:19], 2
	s_delay_alu instid0(SALU_CYCLE_1) | instskip(SKIP_4) | instid1(SALU_CYCLE_1)
	s_add_u32 s4, s16, s18
	s_addc_u32 s5, s17, s19
	s_add_i32 s6, s2, -1
	s_lshl_b32 s2, s15, 10
	s_lshl_b32 s7, s6, 10
	s_sub_u32 s24, s22, s7
	s_subb_u32 s25, s23, 0
	s_cmp_lg_u32 s15, s6
	s_cselect_b32 s26, -1, 0
	s_lshl_b64 s[16:17], s[2:3], 2
	s_mov_b32 s3, -1
	s_add_u32 s8, s4, s16
	s_addc_u32 s9, s5, s17
	s_and_b32 vcc_lo, exec_lo, s26
	s_cbranch_vccz .LBB99_2
; %bb.1:
	s_clause 0x3
	global_load_b32 v1, v16, s[8:9]
	global_load_b32 v2, v16, s[8:9] offset:1024
	global_load_b32 v3, v16, s[8:9] offset:2048
	;; [unrolled: 1-line block ×3, first 2 shown]
	v_lshrrev_b32_e32 v5, 3, v15
	v_lshrrev_b32_e32 v6, 3, v14
	;; [unrolled: 1-line block ×3, first 2 shown]
	v_and_b32_e32 v8, 28, v17
	s_mov_b32 s3, 0
	v_and_b32_e32 v5, 60, v5
	v_and_b32_e32 v6, 0x5c, v6
	;; [unrolled: 1-line block ×3, first 2 shown]
	v_add_nc_u32_e32 v8, v8, v16
	s_delay_alu instid0(VALU_DEP_4) | instskip(NEXT) | instid1(VALU_DEP_4)
	v_add_nc_u32_e32 v5, v5, v16
	v_add_nc_u32_e32 v6, v6, v16
	s_delay_alu instid0(VALU_DEP_4)
	v_add_nc_u32_e32 v7, v7, v16
	s_waitcnt vmcnt(3)
	ds_store_b32 v8, v1
	s_waitcnt vmcnt(2)
	ds_store_b32 v5, v2 offset:1024
	s_waitcnt vmcnt(1)
	ds_store_b32 v6, v3 offset:2048
	;; [unrolled: 2-line block ×3, first 2 shown]
	s_waitcnt lgkmcnt(0)
	s_barrier
.LBB99_2:
	s_load_b64 s[22:23], s[0:1], 0x28
	v_cmp_gt_u32_e64 s2, s24, v0
	s_and_not1_b32 vcc_lo, exec_lo, s3
	s_cbranch_vccnz .LBB99_9
; %bb.3:
	s_load_b32 s4, s[8:9], 0x0
	s_waitcnt lgkmcnt(0)
	s_mov_b32 s5, s4
	s_mov_b32 s6, s4
	s_mov_b32 s7, s4
	v_dual_mov_b32 v1, s4 :: v_dual_mov_b32 v2, s5
	v_dual_mov_b32 v3, s6 :: v_dual_mov_b32 v4, s7
	v_mov_b32_e32 v5, s4
	s_and_saveexec_b32 s3, s2
	s_cbranch_execnz .LBB99_233
; %bb.4:
	s_or_b32 exec_lo, exec_lo, s3
	s_delay_alu instid0(SALU_CYCLE_1)
	s_mov_b32 s2, exec_lo
	v_cmpx_gt_u32_e64 s24, v15
	s_cbranch_execnz .LBB99_234
.LBB99_5:
	s_or_b32 exec_lo, exec_lo, s2
	s_delay_alu instid0(SALU_CYCLE_1)
	s_mov_b32 s2, exec_lo
	v_cmpx_gt_u32_e64 s24, v14
	s_cbranch_execnz .LBB99_235
.LBB99_6:
	s_or_b32 exec_lo, exec_lo, s2
	s_delay_alu instid0(SALU_CYCLE_1)
	s_mov_b32 s2, exec_lo
	v_cmpx_gt_u32_e64 s24, v13
	s_cbranch_execz .LBB99_8
.LBB99_7:
	global_load_b32 v4, v16, s[8:9] offset:3072
.LBB99_8:
	s_or_b32 exec_lo, exec_lo, s2
	v_lshrrev_b32_e32 v1, 3, v15
	v_lshrrev_b32_e32 v6, 3, v14
	;; [unrolled: 1-line block ×3, first 2 shown]
	v_and_b32_e32 v8, 28, v17
	s_delay_alu instid0(VALU_DEP_4) | instskip(NEXT) | instid1(VALU_DEP_4)
	v_and_b32_e32 v1, 60, v1
	v_and_b32_e32 v6, 0x7c, v6
	s_delay_alu instid0(VALU_DEP_4) | instskip(NEXT) | instid1(VALU_DEP_4)
	v_and_b32_e32 v7, 0x7c, v7
	v_add_nc_u32_e32 v8, v8, v16
	s_delay_alu instid0(VALU_DEP_4) | instskip(NEXT) | instid1(VALU_DEP_4)
	v_add_nc_u32_e32 v1, v1, v16
	v_add_nc_u32_e32 v6, v6, v16
	s_delay_alu instid0(VALU_DEP_4)
	v_add_nc_u32_e32 v7, v7, v16
	s_waitcnt vmcnt(0)
	ds_store_b32 v8, v5
	ds_store_b32 v1, v2 offset:1024
	ds_store_b32 v6, v3 offset:2048
	;; [unrolled: 1-line block ×3, first 2 shown]
	s_waitcnt lgkmcnt(0)
	s_barrier
.LBB99_9:
	v_add_lshl_u32 v3, v17, v16, 2
	s_waitcnt lgkmcnt(0)
	buffer_gl0_inv
	s_cmp_lg_u32 s15, 0
	ds_load_2addr_b32 v[1:2], v3 offset1:1
	ds_load_2addr_b32 v[7:8], v3 offset0:2 offset1:3
	s_waitcnt lgkmcnt(0)
	s_barrier
	buffer_gl0_inv
	v_cmp_u_f32_e64 s2, v2, v2
	v_max_f32_e32 v18, v2, v2
	s_cbranch_scc0 .LBB99_146
; %bb.10:
	v_max_f32_e32 v21, v1, v1
	v_cmp_u_f32_e64 s5, v1, v1
	v_mov_b32_e32 v22, v1
	s_delay_alu instid0(VALU_DEP_3) | instskip(SKIP_1) | instid1(VALU_DEP_2)
	v_min_f32_e32 v3, v21, v18
	v_max_f32_e32 v4, v21, v18
	v_cndmask_b32_e64 v3, v3, v1, s5
	s_delay_alu instid0(VALU_DEP_2) | instskip(NEXT) | instid1(VALU_DEP_2)
	v_cndmask_b32_e64 v5, v4, v1, s5
	v_cndmask_b32_e64 v4, v3, v2, s2
	s_delay_alu instid0(VALU_DEP_2) | instskip(NEXT) | instid1(VALU_DEP_2)
	v_cndmask_b32_e64 v3, v5, v2, s2
	v_cmp_class_f32_e64 s3, v4, 0x1f8
	s_delay_alu instid0(VALU_DEP_2) | instskip(NEXT) | instid1(VALU_DEP_2)
	v_cmp_neq_f32_e32 vcc_lo, v4, v3
	s_or_b32 s4, vcc_lo, s3
	s_delay_alu instid0(SALU_CYCLE_1)
	s_and_saveexec_b32 s3, s4
	s_cbranch_execz .LBB99_12
; %bb.11:
	v_sub_f32_e32 v4, v4, v3
	s_mov_b32 s4, 0x3e9b6dac
	s_delay_alu instid0(VALU_DEP_1) | instskip(NEXT) | instid1(VALU_DEP_1)
	v_mul_f32_e32 v5, 0x3fb8aa3b, v4
	v_fma_f32 v6, 0x3fb8aa3b, v4, -v5
	v_rndne_f32_e32 v9, v5
	s_delay_alu instid0(VALU_DEP_1) | instskip(SKIP_1) | instid1(VALU_DEP_4)
	v_sub_f32_e32 v5, v5, v9
	v_cmp_ngt_f32_e32 vcc_lo, 0xc2ce8ed0, v4
	v_fmamk_f32 v6, v4, 0x32a5705f, v6
	s_delay_alu instid0(VALU_DEP_1) | instskip(SKIP_1) | instid1(VALU_DEP_2)
	v_add_f32_e32 v5, v5, v6
	v_cvt_i32_f32_e32 v6, v9
	v_exp_f32_e32 v5, v5
	s_waitcnt_depctr 0xfff
	v_ldexp_f32 v5, v5, v6
	s_delay_alu instid0(VALU_DEP_1) | instskip(SKIP_1) | instid1(VALU_DEP_2)
	v_cndmask_b32_e32 v5, 0, v5, vcc_lo
	v_cmp_nlt_f32_e32 vcc_lo, 0x42b17218, v4
	v_cndmask_b32_e32 v6, 0x7f800000, v5, vcc_lo
	s_delay_alu instid0(VALU_DEP_1) | instskip(NEXT) | instid1(VALU_DEP_1)
	v_add_f32_e32 v9, 1.0, v6
	v_cvt_f64_f32_e32 v[4:5], v9
	s_delay_alu instid0(VALU_DEP_1) | instskip(SKIP_1) | instid1(VALU_DEP_1)
	v_frexp_exp_i32_f64_e32 v4, v[4:5]
	v_frexp_mant_f32_e32 v5, v9
	v_cmp_gt_f32_e32 vcc_lo, 0x3f2aaaab, v5
	v_add_f32_e32 v5, -1.0, v9
	s_delay_alu instid0(VALU_DEP_1) | instskip(NEXT) | instid1(VALU_DEP_1)
	v_sub_f32_e32 v11, v5, v9
	v_add_f32_e32 v11, 1.0, v11
	v_sub_f32_e32 v5, v6, v5
	s_delay_alu instid0(VALU_DEP_1) | instskip(SKIP_2) | instid1(VALU_DEP_2)
	v_add_f32_e32 v5, v5, v11
	v_subrev_co_ci_u32_e32 v4, vcc_lo, 0, v4, vcc_lo
	v_cmp_eq_f32_e32 vcc_lo, 0x7f800000, v6
	v_sub_nc_u32_e32 v10, 0, v4
	v_cvt_f32_i32_e32 v4, v4
	s_delay_alu instid0(VALU_DEP_2) | instskip(SKIP_1) | instid1(VALU_DEP_2)
	v_ldexp_f32 v9, v9, v10
	v_ldexp_f32 v5, v5, v10
	v_add_f32_e32 v12, 1.0, v9
	s_delay_alu instid0(VALU_DEP_1) | instskip(NEXT) | instid1(VALU_DEP_1)
	v_dual_add_f32 v10, -1.0, v9 :: v_dual_add_f32 v11, -1.0, v12
	v_add_f32_e32 v19, 1.0, v10
	s_delay_alu instid0(VALU_DEP_2) | instskip(NEXT) | instid1(VALU_DEP_2)
	v_sub_f32_e32 v11, v9, v11
	v_sub_f32_e32 v9, v9, v19
	s_delay_alu instid0(VALU_DEP_2) | instskip(NEXT) | instid1(VALU_DEP_1)
	v_add_f32_e32 v11, v5, v11
	v_add_f32_e32 v19, v12, v11
	s_delay_alu instid0(VALU_DEP_3) | instskip(NEXT) | instid1(VALU_DEP_2)
	v_add_f32_e32 v5, v5, v9
	v_rcp_f32_e32 v9, v19
	s_delay_alu instid0(VALU_DEP_1) | instskip(SKIP_1) | instid1(VALU_DEP_2)
	v_add_f32_e32 v20, v10, v5
	v_sub_f32_e32 v12, v12, v19
	v_sub_f32_e32 v10, v10, v20
	s_waitcnt_depctr 0xfff
	v_dual_add_f32 v11, v11, v12 :: v_dual_mul_f32 v22, v20, v9
	v_add_f32_e32 v5, v5, v10
	s_delay_alu instid0(VALU_DEP_2) | instskip(NEXT) | instid1(VALU_DEP_1)
	v_mul_f32_e32 v23, v19, v22
	v_fma_f32 v12, v22, v19, -v23
	s_delay_alu instid0(VALU_DEP_1) | instskip(NEXT) | instid1(VALU_DEP_1)
	v_fmac_f32_e32 v12, v22, v11
	v_add_f32_e32 v24, v23, v12
	s_delay_alu instid0(VALU_DEP_1) | instskip(SKIP_1) | instid1(VALU_DEP_2)
	v_sub_f32_e32 v25, v20, v24
	v_sub_f32_e32 v10, v24, v23
	v_sub_f32_e32 v20, v20, v25
	s_delay_alu instid0(VALU_DEP_2) | instskip(NEXT) | instid1(VALU_DEP_2)
	v_sub_f32_e32 v10, v10, v12
	v_sub_f32_e32 v20, v20, v24
	s_delay_alu instid0(VALU_DEP_1) | instskip(NEXT) | instid1(VALU_DEP_1)
	v_add_f32_e32 v5, v5, v20
	v_add_f32_e32 v5, v10, v5
	s_delay_alu instid0(VALU_DEP_1) | instskip(NEXT) | instid1(VALU_DEP_1)
	v_add_f32_e32 v10, v25, v5
	v_sub_f32_e32 v24, v25, v10
	v_mul_f32_e32 v12, v9, v10
	s_delay_alu instid0(VALU_DEP_2) | instskip(NEXT) | instid1(VALU_DEP_2)
	v_add_f32_e32 v5, v5, v24
	v_mul_f32_e32 v20, v19, v12
	s_delay_alu instid0(VALU_DEP_1) | instskip(NEXT) | instid1(VALU_DEP_1)
	v_fma_f32 v19, v12, v19, -v20
	v_fmac_f32_e32 v19, v12, v11
	s_delay_alu instid0(VALU_DEP_1) | instskip(NEXT) | instid1(VALU_DEP_1)
	v_add_f32_e32 v11, v20, v19
	v_dual_sub_f32 v23, v10, v11 :: v_dual_sub_f32 v20, v11, v20
	s_delay_alu instid0(VALU_DEP_1) | instskip(NEXT) | instid1(VALU_DEP_1)
	v_sub_f32_e32 v10, v10, v23
	v_sub_f32_e32 v10, v10, v11
	s_delay_alu instid0(VALU_DEP_1) | instskip(NEXT) | instid1(VALU_DEP_4)
	v_dual_add_f32 v5, v5, v10 :: v_dual_add_f32 v10, v22, v12
	v_sub_f32_e32 v11, v20, v19
	s_delay_alu instid0(VALU_DEP_1) | instskip(NEXT) | instid1(VALU_DEP_3)
	v_add_f32_e32 v5, v11, v5
	v_sub_f32_e32 v11, v10, v22
	s_delay_alu instid0(VALU_DEP_2) | instskip(NEXT) | instid1(VALU_DEP_2)
	v_add_f32_e32 v5, v23, v5
	v_sub_f32_e32 v11, v12, v11
	s_delay_alu instid0(VALU_DEP_2) | instskip(NEXT) | instid1(VALU_DEP_1)
	v_mul_f32_e32 v5, v9, v5
	v_add_f32_e32 v5, v11, v5
	s_delay_alu instid0(VALU_DEP_1) | instskip(NEXT) | instid1(VALU_DEP_1)
	v_add_f32_e32 v9, v10, v5
	v_mul_f32_e32 v11, v9, v9
	s_delay_alu instid0(VALU_DEP_1) | instskip(SKIP_2) | instid1(VALU_DEP_3)
	v_fmaak_f32 v12, s4, v11, 0x3ecc95a3
	v_mul_f32_e32 v19, v9, v11
	v_cmp_gt_f32_e64 s4, 0x33800000, |v6|
	v_fmaak_f32 v11, v11, v12, 0x3f2aaada
	v_ldexp_f32 v12, v9, 1
	v_sub_f32_e32 v9, v9, v10
	s_delay_alu instid0(VALU_DEP_4) | instskip(NEXT) | instid1(VALU_DEP_3)
	s_or_b32 vcc_lo, vcc_lo, s4
	v_mul_f32_e32 v11, v19, v11
	v_mul_f32_e32 v19, 0x3f317218, v4
	s_delay_alu instid0(VALU_DEP_2) | instskip(NEXT) | instid1(VALU_DEP_1)
	v_dual_sub_f32 v5, v5, v9 :: v_dual_add_f32 v10, v12, v11
	v_ldexp_f32 v5, v5, 1
	s_delay_alu instid0(VALU_DEP_2) | instskip(NEXT) | instid1(VALU_DEP_4)
	v_sub_f32_e32 v9, v10, v12
	v_fma_f32 v12, 0x3f317218, v4, -v19
	s_delay_alu instid0(VALU_DEP_1) | instskip(NEXT) | instid1(VALU_DEP_1)
	v_dual_sub_f32 v9, v11, v9 :: v_dual_fmamk_f32 v4, v4, 0xb102e308, v12
	v_add_f32_e32 v5, v5, v9
	s_delay_alu instid0(VALU_DEP_2) | instskip(NEXT) | instid1(VALU_DEP_2)
	v_add_f32_e32 v9, v19, v4
	v_add_f32_e32 v11, v10, v5
	s_delay_alu instid0(VALU_DEP_2) | instskip(NEXT) | instid1(VALU_DEP_2)
	v_sub_f32_e32 v19, v9, v19
	v_add_f32_e32 v12, v9, v11
	v_sub_f32_e32 v10, v11, v10
	s_delay_alu instid0(VALU_DEP_3) | instskip(NEXT) | instid1(VALU_DEP_2)
	v_sub_f32_e32 v4, v4, v19
	v_dual_sub_f32 v20, v12, v9 :: v_dual_sub_f32 v5, v5, v10
	s_delay_alu instid0(VALU_DEP_1) | instskip(NEXT) | instid1(VALU_DEP_2)
	v_sub_f32_e32 v22, v12, v20
	v_dual_sub_f32 v10, v11, v20 :: v_dual_add_f32 v11, v4, v5
	s_delay_alu instid0(VALU_DEP_2) | instskip(NEXT) | instid1(VALU_DEP_1)
	v_sub_f32_e32 v9, v9, v22
	v_dual_add_f32 v9, v10, v9 :: v_dual_sub_f32 v10, v11, v4
	s_delay_alu instid0(VALU_DEP_1) | instskip(NEXT) | instid1(VALU_DEP_2)
	v_add_f32_e32 v9, v11, v9
	v_sub_f32_e32 v11, v11, v10
	v_sub_f32_e32 v5, v5, v10
	s_delay_alu instid0(VALU_DEP_3) | instskip(NEXT) | instid1(VALU_DEP_3)
	v_add_f32_e32 v19, v12, v9
	v_sub_f32_e32 v4, v4, v11
	s_delay_alu instid0(VALU_DEP_2) | instskip(NEXT) | instid1(VALU_DEP_2)
	v_sub_f32_e32 v10, v19, v12
	v_add_f32_e32 v4, v5, v4
	s_delay_alu instid0(VALU_DEP_2) | instskip(NEXT) | instid1(VALU_DEP_1)
	v_sub_f32_e32 v5, v9, v10
	v_add_f32_e32 v4, v4, v5
	s_delay_alu instid0(VALU_DEP_1) | instskip(NEXT) | instid1(VALU_DEP_1)
	v_add_f32_e32 v4, v19, v4
	v_cndmask_b32_e32 v4, v4, v6, vcc_lo
	s_delay_alu instid0(VALU_DEP_1)
	v_add_f32_e32 v22, v3, v4
.LBB99_12:
	s_or_b32 exec_lo, exec_lo, s3
	s_delay_alu instid0(VALU_DEP_1) | instskip(SKIP_3) | instid1(VALU_DEP_2)
	v_max_f32_e32 v3, v22, v22
	v_cmp_u_f32_e32 vcc_lo, v22, v22
	v_max_f32_e32 v19, v7, v7
	v_cmp_u_f32_e64 s3, v7, v7
	v_min_f32_e32 v4, v3, v19
	s_delay_alu instid0(VALU_DEP_1) | instskip(NEXT) | instid1(VALU_DEP_1)
	v_dual_cndmask_b32 v4, v4, v22 :: v_dual_max_f32 v3, v3, v19
	v_cndmask_b32_e64 v4, v4, v7, s3
	s_delay_alu instid0(VALU_DEP_2) | instskip(NEXT) | instid1(VALU_DEP_2)
	v_cndmask_b32_e32 v3, v3, v22, vcc_lo
	v_cmp_class_f32_e64 s4, v4, 0x1f8
	s_delay_alu instid0(VALU_DEP_2) | instskip(NEXT) | instid1(VALU_DEP_1)
	v_cndmask_b32_e64 v3, v3, v7, s3
	v_cmp_neq_f32_e32 vcc_lo, v4, v3
	s_delay_alu instid0(VALU_DEP_3) | instskip(NEXT) | instid1(SALU_CYCLE_1)
	s_or_b32 s6, vcc_lo, s4
	s_and_saveexec_b32 s4, s6
	s_cbranch_execz .LBB99_14
; %bb.13:
	v_sub_f32_e32 v4, v4, v3
	s_mov_b32 s6, 0x3e9b6dac
	s_delay_alu instid0(VALU_DEP_1) | instskip(NEXT) | instid1(VALU_DEP_1)
	v_mul_f32_e32 v5, 0x3fb8aa3b, v4
	v_fma_f32 v6, 0x3fb8aa3b, v4, -v5
	v_rndne_f32_e32 v9, v5
	s_delay_alu instid0(VALU_DEP_1) | instskip(SKIP_1) | instid1(VALU_DEP_4)
	v_sub_f32_e32 v5, v5, v9
	v_cmp_ngt_f32_e32 vcc_lo, 0xc2ce8ed0, v4
	v_fmamk_f32 v6, v4, 0x32a5705f, v6
	s_delay_alu instid0(VALU_DEP_1) | instskip(SKIP_1) | instid1(VALU_DEP_2)
	v_add_f32_e32 v5, v5, v6
	v_cvt_i32_f32_e32 v6, v9
	v_exp_f32_e32 v5, v5
	s_waitcnt_depctr 0xfff
	v_ldexp_f32 v5, v5, v6
	s_delay_alu instid0(VALU_DEP_1) | instskip(SKIP_1) | instid1(VALU_DEP_2)
	v_cndmask_b32_e32 v5, 0, v5, vcc_lo
	v_cmp_nlt_f32_e32 vcc_lo, 0x42b17218, v4
	v_cndmask_b32_e32 v6, 0x7f800000, v5, vcc_lo
	s_delay_alu instid0(VALU_DEP_1) | instskip(NEXT) | instid1(VALU_DEP_1)
	v_add_f32_e32 v9, 1.0, v6
	v_cvt_f64_f32_e32 v[4:5], v9
	s_delay_alu instid0(VALU_DEP_1) | instskip(SKIP_1) | instid1(VALU_DEP_1)
	v_frexp_exp_i32_f64_e32 v4, v[4:5]
	v_frexp_mant_f32_e32 v5, v9
	v_cmp_gt_f32_e32 vcc_lo, 0x3f2aaaab, v5
	v_add_f32_e32 v5, -1.0, v9
	s_delay_alu instid0(VALU_DEP_1) | instskip(NEXT) | instid1(VALU_DEP_1)
	v_sub_f32_e32 v11, v5, v9
	v_add_f32_e32 v11, 1.0, v11
	v_sub_f32_e32 v5, v6, v5
	s_delay_alu instid0(VALU_DEP_1) | instskip(SKIP_2) | instid1(VALU_DEP_2)
	v_add_f32_e32 v5, v5, v11
	v_subrev_co_ci_u32_e32 v4, vcc_lo, 0, v4, vcc_lo
	v_cmp_eq_f32_e32 vcc_lo, 0x7f800000, v6
	v_sub_nc_u32_e32 v10, 0, v4
	v_cvt_f32_i32_e32 v4, v4
	s_delay_alu instid0(VALU_DEP_2) | instskip(SKIP_1) | instid1(VALU_DEP_2)
	v_ldexp_f32 v9, v9, v10
	v_ldexp_f32 v5, v5, v10
	v_add_f32_e32 v12, 1.0, v9
	s_delay_alu instid0(VALU_DEP_1) | instskip(NEXT) | instid1(VALU_DEP_1)
	v_dual_add_f32 v10, -1.0, v9 :: v_dual_add_f32 v11, -1.0, v12
	v_dual_add_f32 v20, 1.0, v10 :: v_dual_sub_f32 v11, v9, v11
	s_delay_alu instid0(VALU_DEP_1) | instskip(NEXT) | instid1(VALU_DEP_2)
	v_sub_f32_e32 v9, v9, v20
	v_add_f32_e32 v11, v5, v11
	s_delay_alu instid0(VALU_DEP_1) | instskip(NEXT) | instid1(VALU_DEP_1)
	v_dual_add_f32 v5, v5, v9 :: v_dual_add_f32 v20, v12, v11
	v_add_f32_e32 v22, v10, v5
	s_delay_alu instid0(VALU_DEP_2) | instskip(SKIP_1) | instid1(VALU_DEP_1)
	v_rcp_f32_e32 v9, v20
	v_sub_f32_e32 v12, v12, v20
	v_dual_sub_f32 v10, v10, v22 :: v_dual_add_f32 v11, v11, v12
	s_delay_alu instid0(VALU_DEP_1) | instskip(SKIP_2) | instid1(VALU_DEP_1)
	v_add_f32_e32 v5, v5, v10
	s_waitcnt_depctr 0xfff
	v_mul_f32_e32 v23, v22, v9
	v_mul_f32_e32 v24, v20, v23
	s_delay_alu instid0(VALU_DEP_1) | instskip(NEXT) | instid1(VALU_DEP_1)
	v_fma_f32 v12, v23, v20, -v24
	v_fmac_f32_e32 v12, v23, v11
	s_delay_alu instid0(VALU_DEP_1) | instskip(NEXT) | instid1(VALU_DEP_1)
	v_add_f32_e32 v25, v24, v12
	v_sub_f32_e32 v26, v22, v25
	v_sub_f32_e32 v10, v25, v24
	s_delay_alu instid0(VALU_DEP_2) | instskip(NEXT) | instid1(VALU_DEP_2)
	v_sub_f32_e32 v22, v22, v26
	v_sub_f32_e32 v10, v10, v12
	s_delay_alu instid0(VALU_DEP_2) | instskip(NEXT) | instid1(VALU_DEP_1)
	v_sub_f32_e32 v22, v22, v25
	v_add_f32_e32 v5, v5, v22
	s_delay_alu instid0(VALU_DEP_1) | instskip(NEXT) | instid1(VALU_DEP_1)
	v_add_f32_e32 v5, v10, v5
	v_add_f32_e32 v10, v26, v5
	s_delay_alu instid0(VALU_DEP_1) | instskip(NEXT) | instid1(VALU_DEP_1)
	v_mul_f32_e32 v12, v9, v10
	v_dual_sub_f32 v25, v26, v10 :: v_dual_mul_f32 v22, v20, v12
	s_delay_alu instid0(VALU_DEP_1) | instskip(NEXT) | instid1(VALU_DEP_2)
	v_add_f32_e32 v5, v5, v25
	v_fma_f32 v20, v12, v20, -v22
	s_delay_alu instid0(VALU_DEP_1) | instskip(NEXT) | instid1(VALU_DEP_1)
	v_fmac_f32_e32 v20, v12, v11
	v_add_f32_e32 v11, v22, v20
	s_delay_alu instid0(VALU_DEP_1) | instskip(NEXT) | instid1(VALU_DEP_1)
	v_sub_f32_e32 v24, v10, v11
	v_sub_f32_e32 v10, v10, v24
	s_delay_alu instid0(VALU_DEP_1) | instskip(NEXT) | instid1(VALU_DEP_1)
	v_sub_f32_e32 v10, v10, v11
	v_dual_add_f32 v5, v5, v10 :: v_dual_add_f32 v10, v23, v12
	v_sub_f32_e32 v22, v11, v22
	s_delay_alu instid0(VALU_DEP_1) | instskip(NEXT) | instid1(VALU_DEP_1)
	v_sub_f32_e32 v11, v22, v20
	v_add_f32_e32 v5, v11, v5
	s_delay_alu instid0(VALU_DEP_4) | instskip(NEXT) | instid1(VALU_DEP_2)
	v_sub_f32_e32 v11, v10, v23
	v_add_f32_e32 v5, v24, v5
	s_delay_alu instid0(VALU_DEP_2) | instskip(NEXT) | instid1(VALU_DEP_2)
	v_sub_f32_e32 v11, v12, v11
	v_mul_f32_e32 v5, v9, v5
	s_delay_alu instid0(VALU_DEP_1) | instskip(NEXT) | instid1(VALU_DEP_1)
	v_add_f32_e32 v5, v11, v5
	v_add_f32_e32 v9, v10, v5
	s_delay_alu instid0(VALU_DEP_1) | instskip(NEXT) | instid1(VALU_DEP_1)
	v_mul_f32_e32 v11, v9, v9
	v_fmaak_f32 v12, s6, v11, 0x3ecc95a3
	v_mul_f32_e32 v20, v9, v11
	v_cmp_gt_f32_e64 s6, 0x33800000, |v6|
	s_delay_alu instid0(VALU_DEP_3) | instskip(SKIP_2) | instid1(VALU_DEP_4)
	v_fmaak_f32 v11, v11, v12, 0x3f2aaada
	v_ldexp_f32 v12, v9, 1
	v_sub_f32_e32 v9, v9, v10
	s_or_b32 vcc_lo, vcc_lo, s6
	s_delay_alu instid0(VALU_DEP_3) | instskip(NEXT) | instid1(VALU_DEP_1)
	v_dual_mul_f32 v11, v20, v11 :: v_dual_mul_f32 v20, 0x3f317218, v4
	v_dual_sub_f32 v5, v5, v9 :: v_dual_add_f32 v10, v12, v11
	s_delay_alu instid0(VALU_DEP_1) | instskip(NEXT) | instid1(VALU_DEP_2)
	v_ldexp_f32 v5, v5, 1
	v_sub_f32_e32 v9, v10, v12
	s_delay_alu instid0(VALU_DEP_4) | instskip(NEXT) | instid1(VALU_DEP_1)
	v_fma_f32 v12, 0x3f317218, v4, -v20
	v_dual_sub_f32 v9, v11, v9 :: v_dual_fmamk_f32 v4, v4, 0xb102e308, v12
	s_delay_alu instid0(VALU_DEP_1) | instskip(NEXT) | instid1(VALU_DEP_2)
	v_add_f32_e32 v5, v5, v9
	v_add_f32_e32 v9, v20, v4
	s_delay_alu instid0(VALU_DEP_1) | instskip(NEXT) | instid1(VALU_DEP_1)
	v_dual_add_f32 v11, v10, v5 :: v_dual_sub_f32 v20, v9, v20
	v_sub_f32_e32 v10, v11, v10
	s_delay_alu instid0(VALU_DEP_1) | instskip(SKIP_1) | instid1(VALU_DEP_1)
	v_dual_sub_f32 v4, v4, v20 :: v_dual_sub_f32 v5, v5, v10
	v_add_f32_e32 v12, v9, v11
	v_sub_f32_e32 v22, v12, v9
	s_delay_alu instid0(VALU_DEP_1) | instskip(SKIP_1) | instid1(VALU_DEP_1)
	v_dual_sub_f32 v10, v11, v22 :: v_dual_add_f32 v11, v4, v5
	v_sub_f32_e32 v23, v12, v22
	v_sub_f32_e32 v9, v9, v23
	s_delay_alu instid0(VALU_DEP_1) | instskip(NEXT) | instid1(VALU_DEP_1)
	v_dual_add_f32 v9, v10, v9 :: v_dual_sub_f32 v10, v11, v4
	v_add_f32_e32 v9, v11, v9
	s_delay_alu instid0(VALU_DEP_2) | instskip(NEXT) | instid1(VALU_DEP_2)
	v_sub_f32_e32 v11, v11, v10
	v_dual_sub_f32 v5, v5, v10 :: v_dual_add_f32 v20, v12, v9
	s_delay_alu instid0(VALU_DEP_2) | instskip(NEXT) | instid1(VALU_DEP_2)
	v_sub_f32_e32 v4, v4, v11
	v_sub_f32_e32 v10, v20, v12
	s_delay_alu instid0(VALU_DEP_2) | instskip(NEXT) | instid1(VALU_DEP_2)
	v_add_f32_e32 v4, v5, v4
	v_sub_f32_e32 v5, v9, v10
	s_delay_alu instid0(VALU_DEP_1) | instskip(NEXT) | instid1(VALU_DEP_1)
	v_add_f32_e32 v4, v4, v5
	v_add_f32_e32 v4, v20, v4
	s_delay_alu instid0(VALU_DEP_1) | instskip(NEXT) | instid1(VALU_DEP_1)
	v_cndmask_b32_e32 v4, v4, v6, vcc_lo
	v_add_f32_e32 v22, v3, v4
.LBB99_14:
	s_or_b32 exec_lo, exec_lo, s4
	s_delay_alu instid0(VALU_DEP_1) | instskip(SKIP_2) | instid1(VALU_DEP_3)
	v_dual_max_f32 v20, v8, v8 :: v_dual_max_f32 v3, v22, v22
	v_cmp_u_f32_e32 vcc_lo, v22, v22
	v_cmp_u_f32_e64 s4, v8, v8
	v_min_f32_e32 v4, v3, v20
	s_delay_alu instid0(VALU_DEP_1) | instskip(NEXT) | instid1(VALU_DEP_1)
	v_dual_max_f32 v3, v3, v20 :: v_dual_cndmask_b32 v4, v4, v22
	v_cndmask_b32_e32 v3, v3, v22, vcc_lo
	s_delay_alu instid0(VALU_DEP_2) | instskip(NEXT) | instid1(VALU_DEP_2)
	v_cndmask_b32_e64 v4, v4, v8, s4
	v_cndmask_b32_e64 v3, v3, v8, s4
	s_delay_alu instid0(VALU_DEP_2) | instskip(NEXT) | instid1(VALU_DEP_2)
	v_cmp_class_f32_e64 s6, v4, 0x1f8
	v_cmp_neq_f32_e32 vcc_lo, v4, v3
	s_delay_alu instid0(VALU_DEP_2) | instskip(NEXT) | instid1(SALU_CYCLE_1)
	s_or_b32 s7, vcc_lo, s6
	s_and_saveexec_b32 s6, s7
	s_cbranch_execz .LBB99_16
; %bb.15:
	v_sub_f32_e32 v4, v4, v3
	s_mov_b32 s7, 0x3e9b6dac
	s_delay_alu instid0(VALU_DEP_1) | instskip(NEXT) | instid1(VALU_DEP_1)
	v_mul_f32_e32 v5, 0x3fb8aa3b, v4
	v_fma_f32 v6, 0x3fb8aa3b, v4, -v5
	v_rndne_f32_e32 v9, v5
	s_delay_alu instid0(VALU_DEP_1) | instskip(SKIP_1) | instid1(VALU_DEP_4)
	v_sub_f32_e32 v5, v5, v9
	v_cmp_ngt_f32_e32 vcc_lo, 0xc2ce8ed0, v4
	v_fmamk_f32 v6, v4, 0x32a5705f, v6
	s_delay_alu instid0(VALU_DEP_1) | instskip(SKIP_1) | instid1(VALU_DEP_2)
	v_add_f32_e32 v5, v5, v6
	v_cvt_i32_f32_e32 v6, v9
	v_exp_f32_e32 v5, v5
	s_waitcnt_depctr 0xfff
	v_ldexp_f32 v5, v5, v6
	s_delay_alu instid0(VALU_DEP_1) | instskip(SKIP_1) | instid1(VALU_DEP_2)
	v_cndmask_b32_e32 v5, 0, v5, vcc_lo
	v_cmp_nlt_f32_e32 vcc_lo, 0x42b17218, v4
	v_cndmask_b32_e32 v6, 0x7f800000, v5, vcc_lo
	s_delay_alu instid0(VALU_DEP_1) | instskip(NEXT) | instid1(VALU_DEP_1)
	v_add_f32_e32 v9, 1.0, v6
	v_cvt_f64_f32_e32 v[4:5], v9
	s_delay_alu instid0(VALU_DEP_1) | instskip(SKIP_1) | instid1(VALU_DEP_1)
	v_frexp_exp_i32_f64_e32 v4, v[4:5]
	v_frexp_mant_f32_e32 v5, v9
	v_cmp_gt_f32_e32 vcc_lo, 0x3f2aaaab, v5
	v_add_f32_e32 v5, -1.0, v9
	s_delay_alu instid0(VALU_DEP_1) | instskip(NEXT) | instid1(VALU_DEP_1)
	v_sub_f32_e32 v11, v5, v9
	v_add_f32_e32 v11, 1.0, v11
	v_sub_f32_e32 v5, v6, v5
	s_delay_alu instid0(VALU_DEP_1) | instskip(SKIP_2) | instid1(VALU_DEP_2)
	v_add_f32_e32 v5, v5, v11
	v_subrev_co_ci_u32_e32 v4, vcc_lo, 0, v4, vcc_lo
	v_cmp_eq_f32_e32 vcc_lo, 0x7f800000, v6
	v_sub_nc_u32_e32 v10, 0, v4
	v_cvt_f32_i32_e32 v4, v4
	s_delay_alu instid0(VALU_DEP_2) | instskip(SKIP_1) | instid1(VALU_DEP_2)
	v_ldexp_f32 v9, v9, v10
	v_ldexp_f32 v5, v5, v10
	v_add_f32_e32 v12, 1.0, v9
	s_delay_alu instid0(VALU_DEP_1) | instskip(NEXT) | instid1(VALU_DEP_1)
	v_dual_add_f32 v10, -1.0, v9 :: v_dual_add_f32 v11, -1.0, v12
	v_dual_add_f32 v22, 1.0, v10 :: v_dual_sub_f32 v11, v9, v11
	s_delay_alu instid0(VALU_DEP_1) | instskip(NEXT) | instid1(VALU_DEP_2)
	v_sub_f32_e32 v9, v9, v22
	v_add_f32_e32 v11, v5, v11
	s_delay_alu instid0(VALU_DEP_1) | instskip(NEXT) | instid1(VALU_DEP_1)
	v_add_f32_e32 v22, v12, v11
	v_sub_f32_e32 v12, v12, v22
	s_delay_alu instid0(VALU_DEP_1) | instskip(SKIP_2) | instid1(VALU_DEP_1)
	v_add_f32_e32 v11, v11, v12
	v_add_f32_e32 v5, v5, v9
	v_rcp_f32_e32 v9, v22
	v_add_f32_e32 v23, v10, v5
	s_waitcnt_depctr 0xfff
	v_mul_f32_e32 v24, v23, v9
	s_delay_alu instid0(VALU_DEP_1) | instskip(NEXT) | instid1(VALU_DEP_1)
	v_mul_f32_e32 v25, v22, v24
	v_fma_f32 v12, v24, v22, -v25
	s_delay_alu instid0(VALU_DEP_1) | instskip(NEXT) | instid1(VALU_DEP_1)
	v_fmac_f32_e32 v12, v24, v11
	v_add_f32_e32 v26, v25, v12
	s_delay_alu instid0(VALU_DEP_1) | instskip(NEXT) | instid1(VALU_DEP_1)
	v_dual_sub_f32 v10, v10, v23 :: v_dual_sub_f32 v27, v23, v26
	v_dual_add_f32 v5, v5, v10 :: v_dual_sub_f32 v10, v26, v25
	s_delay_alu instid0(VALU_DEP_1) | instskip(NEXT) | instid1(VALU_DEP_1)
	v_dual_sub_f32 v23, v23, v27 :: v_dual_sub_f32 v10, v10, v12
	v_sub_f32_e32 v23, v23, v26
	s_delay_alu instid0(VALU_DEP_1) | instskip(NEXT) | instid1(VALU_DEP_1)
	v_add_f32_e32 v5, v5, v23
	v_add_f32_e32 v5, v10, v5
	s_delay_alu instid0(VALU_DEP_1) | instskip(NEXT) | instid1(VALU_DEP_1)
	v_add_f32_e32 v10, v27, v5
	v_mul_f32_e32 v12, v9, v10
	s_delay_alu instid0(VALU_DEP_1) | instskip(NEXT) | instid1(VALU_DEP_1)
	v_dual_sub_f32 v26, v27, v10 :: v_dual_mul_f32 v23, v22, v12
	v_add_f32_e32 v5, v5, v26
	s_delay_alu instid0(VALU_DEP_2) | instskip(NEXT) | instid1(VALU_DEP_1)
	v_fma_f32 v22, v12, v22, -v23
	v_fmac_f32_e32 v22, v12, v11
	s_delay_alu instid0(VALU_DEP_1) | instskip(NEXT) | instid1(VALU_DEP_1)
	v_add_f32_e32 v11, v23, v22
	v_sub_f32_e32 v25, v10, v11
	s_delay_alu instid0(VALU_DEP_1) | instskip(NEXT) | instid1(VALU_DEP_1)
	v_dual_sub_f32 v23, v11, v23 :: v_dual_sub_f32 v10, v10, v25
	v_dual_sub_f32 v10, v10, v11 :: v_dual_sub_f32 v11, v23, v22
	s_delay_alu instid0(VALU_DEP_1) | instskip(NEXT) | instid1(VALU_DEP_1)
	v_dual_add_f32 v5, v5, v10 :: v_dual_add_f32 v10, v24, v12
	v_add_f32_e32 v5, v11, v5
	s_delay_alu instid0(VALU_DEP_2) | instskip(NEXT) | instid1(VALU_DEP_2)
	v_sub_f32_e32 v11, v10, v24
	v_add_f32_e32 v5, v25, v5
	s_delay_alu instid0(VALU_DEP_2) | instskip(NEXT) | instid1(VALU_DEP_2)
	v_sub_f32_e32 v11, v12, v11
	v_mul_f32_e32 v5, v9, v5
	s_delay_alu instid0(VALU_DEP_1) | instskip(NEXT) | instid1(VALU_DEP_1)
	v_add_f32_e32 v5, v11, v5
	v_add_f32_e32 v9, v10, v5
	s_delay_alu instid0(VALU_DEP_1) | instskip(NEXT) | instid1(VALU_DEP_1)
	v_mul_f32_e32 v11, v9, v9
	v_fmaak_f32 v12, s7, v11, 0x3ecc95a3
	v_cmp_gt_f32_e64 s7, 0x33800000, |v6|
	v_mul_f32_e32 v22, v9, v11
	s_delay_alu instid0(VALU_DEP_2) | instskip(NEXT) | instid1(VALU_DEP_3)
	s_or_b32 vcc_lo, vcc_lo, s7
	v_fmaak_f32 v11, v11, v12, 0x3f2aaada
	v_ldexp_f32 v12, v9, 1
	v_sub_f32_e32 v9, v9, v10
	s_delay_alu instid0(VALU_DEP_3) | instskip(NEXT) | instid1(VALU_DEP_1)
	v_dual_mul_f32 v11, v22, v11 :: v_dual_mul_f32 v22, 0x3f317218, v4
	v_dual_sub_f32 v5, v5, v9 :: v_dual_add_f32 v10, v12, v11
	s_delay_alu instid0(VALU_DEP_1) | instskip(NEXT) | instid1(VALU_DEP_2)
	v_ldexp_f32 v5, v5, 1
	v_sub_f32_e32 v9, v10, v12
	s_delay_alu instid0(VALU_DEP_4) | instskip(NEXT) | instid1(VALU_DEP_1)
	v_fma_f32 v12, 0x3f317218, v4, -v22
	v_dual_sub_f32 v9, v11, v9 :: v_dual_fmamk_f32 v4, v4, 0xb102e308, v12
	s_delay_alu instid0(VALU_DEP_1) | instskip(NEXT) | instid1(VALU_DEP_2)
	v_add_f32_e32 v5, v5, v9
	v_add_f32_e32 v9, v22, v4
	s_delay_alu instid0(VALU_DEP_1) | instskip(NEXT) | instid1(VALU_DEP_1)
	v_dual_add_f32 v11, v10, v5 :: v_dual_sub_f32 v22, v9, v22
	v_add_f32_e32 v12, v9, v11
	v_sub_f32_e32 v10, v11, v10
	s_delay_alu instid0(VALU_DEP_3) | instskip(NEXT) | instid1(VALU_DEP_3)
	v_sub_f32_e32 v4, v4, v22
	v_sub_f32_e32 v23, v12, v9
	s_delay_alu instid0(VALU_DEP_1) | instskip(NEXT) | instid1(VALU_DEP_1)
	v_dual_sub_f32 v5, v5, v10 :: v_dual_sub_f32 v24, v12, v23
	v_dual_sub_f32 v10, v11, v23 :: v_dual_add_f32 v11, v4, v5
	s_delay_alu instid0(VALU_DEP_2) | instskip(NEXT) | instid1(VALU_DEP_1)
	v_sub_f32_e32 v9, v9, v24
	v_dual_add_f32 v9, v10, v9 :: v_dual_sub_f32 v10, v11, v4
	s_delay_alu instid0(VALU_DEP_1) | instskip(NEXT) | instid1(VALU_DEP_2)
	v_add_f32_e32 v9, v11, v9
	v_sub_f32_e32 v11, v11, v10
	s_delay_alu instid0(VALU_DEP_2) | instskip(NEXT) | instid1(VALU_DEP_2)
	v_dual_sub_f32 v5, v5, v10 :: v_dual_add_f32 v22, v12, v9
	v_sub_f32_e32 v4, v4, v11
	s_delay_alu instid0(VALU_DEP_2) | instskip(NEXT) | instid1(VALU_DEP_2)
	v_sub_f32_e32 v10, v22, v12
	v_add_f32_e32 v4, v5, v4
	s_delay_alu instid0(VALU_DEP_2) | instskip(NEXT) | instid1(VALU_DEP_1)
	v_sub_f32_e32 v5, v9, v10
	v_add_f32_e32 v4, v4, v5
	s_delay_alu instid0(VALU_DEP_1) | instskip(NEXT) | instid1(VALU_DEP_1)
	v_add_f32_e32 v4, v22, v4
	v_cndmask_b32_e32 v4, v4, v6, vcc_lo
	s_delay_alu instid0(VALU_DEP_1)
	v_add_f32_e32 v22, v3, v4
.LBB99_16:
	s_or_b32 exec_lo, exec_lo, s6
	v_lshrrev_b32_e32 v3, 5, v0
	v_cmp_gt_u32_e32 vcc_lo, 32, v0
	s_delay_alu instid0(VALU_DEP_2)
	v_add_lshl_u32 v3, v3, v0, 2
	ds_store_b32 v3, v22
	s_waitcnt lgkmcnt(0)
	s_barrier
	buffer_gl0_inv
	s_and_saveexec_b32 s8, vcc_lo
	s_cbranch_execz .LBB99_68
; %bb.17:
	v_and_b32_e32 v3, 0xfc, v0
	s_delay_alu instid0(VALU_DEP_1)
	v_lshl_or_b32 v5, v0, 5, v3
	ds_load_2addr_b32 v[3:4], v5 offset1:1
	s_waitcnt lgkmcnt(0)
	v_dual_max_f32 v9, v4, v4 :: v_dual_max_f32 v6, v3, v3
	v_cmp_u_f32_e64 s6, v3, v3
	v_cmp_u_f32_e64 s7, v4, v4
	s_delay_alu instid0(VALU_DEP_3) | instskip(SKIP_1) | instid1(VALU_DEP_2)
	v_min_f32_e32 v10, v6, v9
	v_max_f32_e32 v9, v6, v9
	v_cndmask_b32_e64 v10, v10, v3, s6
	s_delay_alu instid0(VALU_DEP_2) | instskip(NEXT) | instid1(VALU_DEP_2)
	v_cndmask_b32_e64 v11, v9, v3, s6
	v_cndmask_b32_e64 v9, v10, v4, s7
	v_mov_b32_e32 v10, v3
	s_delay_alu instid0(VALU_DEP_3) | instskip(NEXT) | instid1(VALU_DEP_3)
	v_cndmask_b32_e64 v4, v11, v4, s7
	v_cmp_class_f32_e64 s9, v9, 0x1f8
	s_delay_alu instid0(VALU_DEP_2) | instskip(NEXT) | instid1(VALU_DEP_1)
	v_cmp_neq_f32_e64 s7, v9, v4
	s_or_b32 s7, s7, s9
	s_delay_alu instid0(SALU_CYCLE_1)
	s_and_saveexec_b32 s9, s7
	s_cbranch_execz .LBB99_19
; %bb.18:
	v_sub_f32_e32 v9, v9, v4
	s_delay_alu instid0(VALU_DEP_1) | instskip(NEXT) | instid1(VALU_DEP_1)
	v_mul_f32_e32 v10, 0x3fb8aa3b, v9
	v_fma_f32 v11, 0x3fb8aa3b, v9, -v10
	v_rndne_f32_e32 v12, v10
	s_delay_alu instid0(VALU_DEP_1) | instskip(NEXT) | instid1(VALU_DEP_1)
	v_dual_fmamk_f32 v11, v9, 0x32a5705f, v11 :: v_dual_sub_f32 v10, v10, v12
	v_add_f32_e32 v10, v10, v11
	v_cvt_i32_f32_e32 v11, v12
	v_cmp_ngt_f32_e64 s7, 0xc2ce8ed0, v9
	s_delay_alu instid0(VALU_DEP_3) | instskip(SKIP_2) | instid1(VALU_DEP_1)
	v_exp_f32_e32 v10, v10
	s_waitcnt_depctr 0xfff
	v_ldexp_f32 v10, v10, v11
	v_cndmask_b32_e64 v10, 0, v10, s7
	v_cmp_nlt_f32_e64 s7, 0x42b17218, v9
	s_delay_alu instid0(VALU_DEP_1) | instskip(NEXT) | instid1(VALU_DEP_1)
	v_cndmask_b32_e64 v11, 0x7f800000, v10, s7
	v_add_f32_e32 v12, 1.0, v11
	v_cmp_gt_f32_e64 s10, 0x33800000, |v11|
	s_delay_alu instid0(VALU_DEP_2) | instskip(NEXT) | instid1(VALU_DEP_1)
	v_cvt_f64_f32_e32 v[9:10], v12
	v_frexp_exp_i32_f64_e32 v9, v[9:10]
	v_frexp_mant_f32_e32 v10, v12
	s_delay_alu instid0(VALU_DEP_1) | instskip(SKIP_1) | instid1(VALU_DEP_1)
	v_cmp_gt_f32_e64 s7, 0x3f2aaaab, v10
	v_add_f32_e32 v10, -1.0, v12
	v_sub_f32_e32 v24, v10, v12
	s_delay_alu instid0(VALU_DEP_1) | instskip(NEXT) | instid1(VALU_DEP_4)
	v_add_f32_e32 v24, 1.0, v24
	v_subrev_co_ci_u32_e64 v9, s7, 0, v9, s7
	s_mov_b32 s7, 0x3e9b6dac
	s_delay_alu instid0(VALU_DEP_1) | instskip(SKIP_1) | instid1(VALU_DEP_2)
	v_sub_nc_u32_e32 v23, 0, v9
	v_cvt_f32_i32_e32 v9, v9
	v_ldexp_f32 v12, v12, v23
	s_delay_alu instid0(VALU_DEP_1) | instskip(NEXT) | instid1(VALU_DEP_1)
	v_dual_sub_f32 v10, v11, v10 :: v_dual_add_f32 v25, 1.0, v12
	v_add_f32_e32 v10, v10, v24
	s_delay_alu instid0(VALU_DEP_2) | instskip(NEXT) | instid1(VALU_DEP_2)
	v_add_f32_e32 v24, -1.0, v25
	v_ldexp_f32 v10, v10, v23
	v_add_f32_e32 v23, -1.0, v12
	s_delay_alu instid0(VALU_DEP_3) | instskip(NEXT) | instid1(VALU_DEP_2)
	v_sub_f32_e32 v24, v12, v24
	v_add_f32_e32 v26, 1.0, v23
	s_delay_alu instid0(VALU_DEP_2) | instskip(NEXT) | instid1(VALU_DEP_2)
	v_add_f32_e32 v24, v10, v24
	v_sub_f32_e32 v12, v12, v26
	s_delay_alu instid0(VALU_DEP_2) | instskip(NEXT) | instid1(VALU_DEP_2)
	v_add_f32_e32 v26, v25, v24
	v_add_f32_e32 v10, v10, v12
	s_delay_alu instid0(VALU_DEP_2) | instskip(SKIP_1) | instid1(VALU_DEP_1)
	v_rcp_f32_e32 v12, v26
	v_sub_f32_e32 v25, v25, v26
	v_dual_add_f32 v27, v23, v10 :: v_dual_add_f32 v24, v24, v25
	s_delay_alu instid0(VALU_DEP_1) | instskip(SKIP_3) | instid1(VALU_DEP_2)
	v_sub_f32_e32 v23, v23, v27
	s_waitcnt_depctr 0xfff
	v_mul_f32_e32 v28, v27, v12
	v_add_f32_e32 v10, v10, v23
	v_mul_f32_e32 v29, v26, v28
	s_delay_alu instid0(VALU_DEP_1) | instskip(NEXT) | instid1(VALU_DEP_1)
	v_fma_f32 v25, v28, v26, -v29
	v_fmac_f32_e32 v25, v28, v24
	s_delay_alu instid0(VALU_DEP_1) | instskip(NEXT) | instid1(VALU_DEP_1)
	v_add_f32_e32 v30, v29, v25
	v_sub_f32_e32 v31, v27, v30
	v_sub_f32_e32 v23, v30, v29
	s_delay_alu instid0(VALU_DEP_2) | instskip(NEXT) | instid1(VALU_DEP_2)
	v_sub_f32_e32 v27, v27, v31
	v_sub_f32_e32 v23, v23, v25
	s_delay_alu instid0(VALU_DEP_2) | instskip(NEXT) | instid1(VALU_DEP_1)
	v_sub_f32_e32 v27, v27, v30
	v_add_f32_e32 v10, v10, v27
	s_delay_alu instid0(VALU_DEP_1) | instskip(NEXT) | instid1(VALU_DEP_1)
	v_add_f32_e32 v10, v23, v10
	v_add_f32_e32 v23, v31, v10
	s_delay_alu instid0(VALU_DEP_1) | instskip(NEXT) | instid1(VALU_DEP_1)
	v_mul_f32_e32 v25, v12, v23
	v_dual_sub_f32 v30, v31, v23 :: v_dual_mul_f32 v27, v26, v25
	s_delay_alu instid0(VALU_DEP_1) | instskip(NEXT) | instid1(VALU_DEP_1)
	v_fma_f32 v26, v25, v26, -v27
	v_fmac_f32_e32 v26, v25, v24
	s_delay_alu instid0(VALU_DEP_1) | instskip(NEXT) | instid1(VALU_DEP_1)
	v_add_f32_e32 v24, v27, v26
	v_sub_f32_e32 v29, v23, v24
	v_dual_sub_f32 v27, v24, v27 :: v_dual_add_f32 v10, v10, v30
	s_delay_alu instid0(VALU_DEP_2) | instskip(NEXT) | instid1(VALU_DEP_1)
	v_sub_f32_e32 v23, v23, v29
	v_sub_f32_e32 v23, v23, v24
	s_delay_alu instid0(VALU_DEP_1) | instskip(NEXT) | instid1(VALU_DEP_4)
	v_dual_add_f32 v10, v10, v23 :: v_dual_add_f32 v23, v28, v25
	v_sub_f32_e32 v24, v27, v26
	s_delay_alu instid0(VALU_DEP_1) | instskip(NEXT) | instid1(VALU_DEP_3)
	v_add_f32_e32 v10, v24, v10
	v_sub_f32_e32 v24, v23, v28
	s_delay_alu instid0(VALU_DEP_2) | instskip(NEXT) | instid1(VALU_DEP_2)
	v_add_f32_e32 v10, v29, v10
	v_sub_f32_e32 v24, v25, v24
	s_delay_alu instid0(VALU_DEP_2) | instskip(NEXT) | instid1(VALU_DEP_1)
	v_mul_f32_e32 v10, v12, v10
	v_add_f32_e32 v10, v24, v10
	s_delay_alu instid0(VALU_DEP_1) | instskip(NEXT) | instid1(VALU_DEP_1)
	v_add_f32_e32 v12, v23, v10
	v_mul_f32_e32 v24, v12, v12
	s_delay_alu instid0(VALU_DEP_1) | instskip(SKIP_2) | instid1(VALU_DEP_3)
	v_fmaak_f32 v25, s7, v24, 0x3ecc95a3
	v_mul_f32_e32 v26, v12, v24
	v_cmp_eq_f32_e64 s7, 0x7f800000, v11
	v_fmaak_f32 v24, v24, v25, 0x3f2aaada
	v_ldexp_f32 v25, v12, 1
	v_sub_f32_e32 v12, v12, v23
	s_delay_alu instid0(VALU_DEP_4) | instskip(NEXT) | instid1(VALU_DEP_3)
	s_or_b32 s7, s7, s10
	v_mul_f32_e32 v24, v26, v24
	v_mul_f32_e32 v26, 0x3f317218, v9
	s_delay_alu instid0(VALU_DEP_3) | instskip(NEXT) | instid1(VALU_DEP_3)
	v_sub_f32_e32 v10, v10, v12
	v_add_f32_e32 v23, v25, v24
	s_delay_alu instid0(VALU_DEP_2) | instskip(NEXT) | instid1(VALU_DEP_2)
	v_ldexp_f32 v10, v10, 1
	v_sub_f32_e32 v12, v23, v25
	v_fma_f32 v25, 0x3f317218, v9, -v26
	s_delay_alu instid0(VALU_DEP_1) | instskip(NEXT) | instid1(VALU_DEP_1)
	v_dual_sub_f32 v12, v24, v12 :: v_dual_fmamk_f32 v9, v9, 0xb102e308, v25
	v_add_f32_e32 v10, v10, v12
	s_delay_alu instid0(VALU_DEP_2) | instskip(NEXT) | instid1(VALU_DEP_2)
	v_add_f32_e32 v12, v26, v9
	v_add_f32_e32 v24, v23, v10
	s_delay_alu instid0(VALU_DEP_2) | instskip(NEXT) | instid1(VALU_DEP_2)
	v_sub_f32_e32 v26, v12, v26
	v_add_f32_e32 v25, v12, v24
	v_sub_f32_e32 v23, v24, v23
	s_delay_alu instid0(VALU_DEP_3) | instskip(NEXT) | instid1(VALU_DEP_2)
	v_sub_f32_e32 v9, v9, v26
	v_dual_sub_f32 v27, v25, v12 :: v_dual_sub_f32 v10, v10, v23
	s_delay_alu instid0(VALU_DEP_1) | instskip(NEXT) | instid1(VALU_DEP_2)
	v_sub_f32_e32 v28, v25, v27
	v_dual_sub_f32 v23, v24, v27 :: v_dual_add_f32 v24, v9, v10
	s_delay_alu instid0(VALU_DEP_2) | instskip(NEXT) | instid1(VALU_DEP_1)
	v_sub_f32_e32 v12, v12, v28
	v_dual_add_f32 v12, v23, v12 :: v_dual_sub_f32 v23, v24, v9
	s_delay_alu instid0(VALU_DEP_1) | instskip(NEXT) | instid1(VALU_DEP_2)
	v_add_f32_e32 v12, v24, v12
	v_sub_f32_e32 v24, v24, v23
	v_sub_f32_e32 v10, v10, v23
	s_delay_alu instid0(VALU_DEP_3) | instskip(NEXT) | instid1(VALU_DEP_3)
	v_add_f32_e32 v26, v25, v12
	v_sub_f32_e32 v9, v9, v24
	s_delay_alu instid0(VALU_DEP_2) | instskip(NEXT) | instid1(VALU_DEP_1)
	v_sub_f32_e32 v23, v26, v25
	v_dual_add_f32 v9, v10, v9 :: v_dual_sub_f32 v10, v12, v23
	s_delay_alu instid0(VALU_DEP_1) | instskip(NEXT) | instid1(VALU_DEP_1)
	v_add_f32_e32 v9, v9, v10
	v_add_f32_e32 v9, v26, v9
	s_delay_alu instid0(VALU_DEP_1) | instskip(NEXT) | instid1(VALU_DEP_1)
	v_cndmask_b32_e64 v9, v9, v11, s7
	v_add_f32_e32 v10, v4, v9
.LBB99_19:
	s_or_b32 exec_lo, exec_lo, s9
	ds_load_b32 v4, v5 offset:8
	v_max_f32_e32 v9, v10, v10
	v_cmp_u_f32_e64 s7, v10, v10
	s_waitcnt lgkmcnt(0)
	v_max_f32_e32 v11, v4, v4
	s_delay_alu instid0(VALU_DEP_1) | instskip(SKIP_1) | instid1(VALU_DEP_2)
	v_min_f32_e32 v12, v9, v11
	v_max_f32_e32 v9, v9, v11
	v_cndmask_b32_e64 v11, v12, v10, s7
	s_delay_alu instid0(VALU_DEP_2) | instskip(SKIP_1) | instid1(VALU_DEP_1)
	v_cndmask_b32_e64 v12, v9, v10, s7
	v_cmp_u_f32_e64 s7, v4, v4
	v_cndmask_b32_e64 v9, v11, v4, s7
	s_delay_alu instid0(VALU_DEP_3) | instskip(NEXT) | instid1(VALU_DEP_2)
	v_cndmask_b32_e64 v4, v12, v4, s7
	v_cmp_class_f32_e64 s9, v9, 0x1f8
	s_delay_alu instid0(VALU_DEP_2) | instskip(NEXT) | instid1(VALU_DEP_1)
	v_cmp_neq_f32_e64 s7, v9, v4
	s_or_b32 s7, s7, s9
	s_delay_alu instid0(SALU_CYCLE_1)
	s_and_saveexec_b32 s9, s7
	s_cbranch_execz .LBB99_21
; %bb.20:
	v_sub_f32_e32 v9, v9, v4
	s_delay_alu instid0(VALU_DEP_1) | instskip(NEXT) | instid1(VALU_DEP_1)
	v_mul_f32_e32 v10, 0x3fb8aa3b, v9
	v_fma_f32 v11, 0x3fb8aa3b, v9, -v10
	v_rndne_f32_e32 v12, v10
	s_delay_alu instid0(VALU_DEP_1) | instskip(NEXT) | instid1(VALU_DEP_1)
	v_dual_fmamk_f32 v11, v9, 0x32a5705f, v11 :: v_dual_sub_f32 v10, v10, v12
	v_add_f32_e32 v10, v10, v11
	v_cvt_i32_f32_e32 v11, v12
	v_cmp_ngt_f32_e64 s7, 0xc2ce8ed0, v9
	s_delay_alu instid0(VALU_DEP_3) | instskip(SKIP_2) | instid1(VALU_DEP_1)
	v_exp_f32_e32 v10, v10
	s_waitcnt_depctr 0xfff
	v_ldexp_f32 v10, v10, v11
	v_cndmask_b32_e64 v10, 0, v10, s7
	v_cmp_nlt_f32_e64 s7, 0x42b17218, v9
	s_delay_alu instid0(VALU_DEP_1) | instskip(NEXT) | instid1(VALU_DEP_1)
	v_cndmask_b32_e64 v11, 0x7f800000, v10, s7
	v_add_f32_e32 v12, 1.0, v11
	v_cmp_gt_f32_e64 s10, 0x33800000, |v11|
	s_delay_alu instid0(VALU_DEP_2) | instskip(NEXT) | instid1(VALU_DEP_1)
	v_cvt_f64_f32_e32 v[9:10], v12
	v_frexp_exp_i32_f64_e32 v9, v[9:10]
	v_frexp_mant_f32_e32 v10, v12
	s_delay_alu instid0(VALU_DEP_1) | instskip(SKIP_1) | instid1(VALU_DEP_1)
	v_cmp_gt_f32_e64 s7, 0x3f2aaaab, v10
	v_add_f32_e32 v10, -1.0, v12
	v_sub_f32_e32 v24, v10, v12
	s_delay_alu instid0(VALU_DEP_1) | instskip(NEXT) | instid1(VALU_DEP_4)
	v_add_f32_e32 v24, 1.0, v24
	v_subrev_co_ci_u32_e64 v9, s7, 0, v9, s7
	s_mov_b32 s7, 0x3e9b6dac
	s_delay_alu instid0(VALU_DEP_1) | instskip(SKIP_1) | instid1(VALU_DEP_2)
	v_sub_nc_u32_e32 v23, 0, v9
	v_cvt_f32_i32_e32 v9, v9
	v_ldexp_f32 v12, v12, v23
	s_delay_alu instid0(VALU_DEP_1) | instskip(NEXT) | instid1(VALU_DEP_1)
	v_dual_sub_f32 v10, v11, v10 :: v_dual_add_f32 v25, 1.0, v12
	v_add_f32_e32 v10, v10, v24
	s_delay_alu instid0(VALU_DEP_2) | instskip(NEXT) | instid1(VALU_DEP_2)
	v_add_f32_e32 v24, -1.0, v25
	v_ldexp_f32 v10, v10, v23
	v_add_f32_e32 v23, -1.0, v12
	s_delay_alu instid0(VALU_DEP_3) | instskip(NEXT) | instid1(VALU_DEP_2)
	v_sub_f32_e32 v24, v12, v24
	v_add_f32_e32 v26, 1.0, v23
	s_delay_alu instid0(VALU_DEP_2) | instskip(NEXT) | instid1(VALU_DEP_2)
	v_add_f32_e32 v24, v10, v24
	v_sub_f32_e32 v12, v12, v26
	s_delay_alu instid0(VALU_DEP_2) | instskip(NEXT) | instid1(VALU_DEP_2)
	v_add_f32_e32 v26, v25, v24
	v_add_f32_e32 v10, v10, v12
	s_delay_alu instid0(VALU_DEP_2) | instskip(SKIP_1) | instid1(VALU_DEP_1)
	v_rcp_f32_e32 v12, v26
	v_sub_f32_e32 v25, v25, v26
	v_dual_add_f32 v27, v23, v10 :: v_dual_add_f32 v24, v24, v25
	s_delay_alu instid0(VALU_DEP_1) | instskip(SKIP_3) | instid1(VALU_DEP_2)
	v_sub_f32_e32 v23, v23, v27
	s_waitcnt_depctr 0xfff
	v_mul_f32_e32 v28, v27, v12
	v_add_f32_e32 v10, v10, v23
	v_mul_f32_e32 v29, v26, v28
	s_delay_alu instid0(VALU_DEP_1) | instskip(NEXT) | instid1(VALU_DEP_1)
	v_fma_f32 v25, v28, v26, -v29
	v_fmac_f32_e32 v25, v28, v24
	s_delay_alu instid0(VALU_DEP_1) | instskip(NEXT) | instid1(VALU_DEP_1)
	v_add_f32_e32 v30, v29, v25
	v_sub_f32_e32 v31, v27, v30
	v_sub_f32_e32 v23, v30, v29
	s_delay_alu instid0(VALU_DEP_2) | instskip(NEXT) | instid1(VALU_DEP_2)
	v_sub_f32_e32 v27, v27, v31
	v_sub_f32_e32 v23, v23, v25
	s_delay_alu instid0(VALU_DEP_2) | instskip(NEXT) | instid1(VALU_DEP_1)
	v_sub_f32_e32 v27, v27, v30
	v_add_f32_e32 v10, v10, v27
	s_delay_alu instid0(VALU_DEP_1) | instskip(NEXT) | instid1(VALU_DEP_1)
	v_add_f32_e32 v10, v23, v10
	v_add_f32_e32 v23, v31, v10
	s_delay_alu instid0(VALU_DEP_1) | instskip(NEXT) | instid1(VALU_DEP_1)
	v_mul_f32_e32 v25, v12, v23
	v_dual_sub_f32 v30, v31, v23 :: v_dual_mul_f32 v27, v26, v25
	s_delay_alu instid0(VALU_DEP_1) | instskip(NEXT) | instid1(VALU_DEP_1)
	v_fma_f32 v26, v25, v26, -v27
	v_fmac_f32_e32 v26, v25, v24
	s_delay_alu instid0(VALU_DEP_1) | instskip(NEXT) | instid1(VALU_DEP_1)
	v_add_f32_e32 v24, v27, v26
	v_sub_f32_e32 v29, v23, v24
	v_dual_sub_f32 v27, v24, v27 :: v_dual_add_f32 v10, v10, v30
	s_delay_alu instid0(VALU_DEP_2) | instskip(NEXT) | instid1(VALU_DEP_1)
	v_sub_f32_e32 v23, v23, v29
	v_sub_f32_e32 v23, v23, v24
	s_delay_alu instid0(VALU_DEP_1) | instskip(NEXT) | instid1(VALU_DEP_4)
	v_dual_add_f32 v10, v10, v23 :: v_dual_add_f32 v23, v28, v25
	v_sub_f32_e32 v24, v27, v26
	s_delay_alu instid0(VALU_DEP_1) | instskip(NEXT) | instid1(VALU_DEP_3)
	v_add_f32_e32 v10, v24, v10
	v_sub_f32_e32 v24, v23, v28
	s_delay_alu instid0(VALU_DEP_2) | instskip(NEXT) | instid1(VALU_DEP_2)
	v_add_f32_e32 v10, v29, v10
	v_sub_f32_e32 v24, v25, v24
	s_delay_alu instid0(VALU_DEP_2) | instskip(NEXT) | instid1(VALU_DEP_1)
	v_mul_f32_e32 v10, v12, v10
	v_add_f32_e32 v10, v24, v10
	s_delay_alu instid0(VALU_DEP_1) | instskip(NEXT) | instid1(VALU_DEP_1)
	v_add_f32_e32 v12, v23, v10
	v_mul_f32_e32 v24, v12, v12
	s_delay_alu instid0(VALU_DEP_1) | instskip(SKIP_2) | instid1(VALU_DEP_3)
	v_fmaak_f32 v25, s7, v24, 0x3ecc95a3
	v_mul_f32_e32 v26, v12, v24
	v_cmp_eq_f32_e64 s7, 0x7f800000, v11
	v_fmaak_f32 v24, v24, v25, 0x3f2aaada
	v_ldexp_f32 v25, v12, 1
	v_sub_f32_e32 v12, v12, v23
	s_delay_alu instid0(VALU_DEP_4) | instskip(NEXT) | instid1(VALU_DEP_3)
	s_or_b32 s7, s7, s10
	v_mul_f32_e32 v24, v26, v24
	v_mul_f32_e32 v26, 0x3f317218, v9
	s_delay_alu instid0(VALU_DEP_3) | instskip(NEXT) | instid1(VALU_DEP_3)
	v_sub_f32_e32 v10, v10, v12
	v_add_f32_e32 v23, v25, v24
	s_delay_alu instid0(VALU_DEP_2) | instskip(NEXT) | instid1(VALU_DEP_2)
	v_ldexp_f32 v10, v10, 1
	v_sub_f32_e32 v12, v23, v25
	v_fma_f32 v25, 0x3f317218, v9, -v26
	s_delay_alu instid0(VALU_DEP_1) | instskip(NEXT) | instid1(VALU_DEP_1)
	v_dual_sub_f32 v12, v24, v12 :: v_dual_fmamk_f32 v9, v9, 0xb102e308, v25
	v_add_f32_e32 v10, v10, v12
	s_delay_alu instid0(VALU_DEP_2) | instskip(NEXT) | instid1(VALU_DEP_2)
	v_add_f32_e32 v12, v26, v9
	v_add_f32_e32 v24, v23, v10
	s_delay_alu instid0(VALU_DEP_2) | instskip(NEXT) | instid1(VALU_DEP_2)
	v_sub_f32_e32 v26, v12, v26
	v_add_f32_e32 v25, v12, v24
	v_sub_f32_e32 v23, v24, v23
	s_delay_alu instid0(VALU_DEP_3) | instskip(NEXT) | instid1(VALU_DEP_2)
	v_sub_f32_e32 v9, v9, v26
	v_dual_sub_f32 v27, v25, v12 :: v_dual_sub_f32 v10, v10, v23
	s_delay_alu instid0(VALU_DEP_1) | instskip(NEXT) | instid1(VALU_DEP_2)
	v_sub_f32_e32 v28, v25, v27
	v_dual_sub_f32 v23, v24, v27 :: v_dual_add_f32 v24, v9, v10
	s_delay_alu instid0(VALU_DEP_2) | instskip(NEXT) | instid1(VALU_DEP_1)
	v_sub_f32_e32 v12, v12, v28
	v_dual_add_f32 v12, v23, v12 :: v_dual_sub_f32 v23, v24, v9
	s_delay_alu instid0(VALU_DEP_1) | instskip(NEXT) | instid1(VALU_DEP_2)
	v_add_f32_e32 v12, v24, v12
	v_sub_f32_e32 v24, v24, v23
	v_sub_f32_e32 v10, v10, v23
	s_delay_alu instid0(VALU_DEP_3) | instskip(NEXT) | instid1(VALU_DEP_3)
	v_add_f32_e32 v26, v25, v12
	v_sub_f32_e32 v9, v9, v24
	s_delay_alu instid0(VALU_DEP_2) | instskip(NEXT) | instid1(VALU_DEP_1)
	v_sub_f32_e32 v23, v26, v25
	v_dual_add_f32 v9, v10, v9 :: v_dual_sub_f32 v10, v12, v23
	s_delay_alu instid0(VALU_DEP_1) | instskip(NEXT) | instid1(VALU_DEP_1)
	v_add_f32_e32 v9, v9, v10
	v_add_f32_e32 v9, v26, v9
	s_delay_alu instid0(VALU_DEP_1) | instskip(NEXT) | instid1(VALU_DEP_1)
	v_cndmask_b32_e64 v9, v9, v11, s7
	v_add_f32_e32 v10, v4, v9
.LBB99_21:
	s_or_b32 exec_lo, exec_lo, s9
	ds_load_b32 v4, v5 offset:12
	v_max_f32_e32 v9, v10, v10
	v_cmp_u_f32_e64 s7, v10, v10
	s_waitcnt lgkmcnt(0)
	v_max_f32_e32 v11, v4, v4
	s_delay_alu instid0(VALU_DEP_1) | instskip(SKIP_1) | instid1(VALU_DEP_2)
	v_min_f32_e32 v12, v9, v11
	v_max_f32_e32 v9, v9, v11
	v_cndmask_b32_e64 v11, v12, v10, s7
	s_delay_alu instid0(VALU_DEP_2) | instskip(SKIP_1) | instid1(VALU_DEP_1)
	v_cndmask_b32_e64 v12, v9, v10, s7
	v_cmp_u_f32_e64 s7, v4, v4
	v_cndmask_b32_e64 v9, v11, v4, s7
	s_delay_alu instid0(VALU_DEP_3) | instskip(NEXT) | instid1(VALU_DEP_2)
	v_cndmask_b32_e64 v4, v12, v4, s7
	v_cmp_class_f32_e64 s9, v9, 0x1f8
	s_delay_alu instid0(VALU_DEP_2) | instskip(NEXT) | instid1(VALU_DEP_1)
	v_cmp_neq_f32_e64 s7, v9, v4
	s_or_b32 s7, s7, s9
	s_delay_alu instid0(SALU_CYCLE_1)
	s_and_saveexec_b32 s9, s7
	s_cbranch_execz .LBB99_23
; %bb.22:
	v_sub_f32_e32 v9, v9, v4
	s_delay_alu instid0(VALU_DEP_1) | instskip(NEXT) | instid1(VALU_DEP_1)
	v_mul_f32_e32 v10, 0x3fb8aa3b, v9
	v_fma_f32 v11, 0x3fb8aa3b, v9, -v10
	v_rndne_f32_e32 v12, v10
	s_delay_alu instid0(VALU_DEP_1) | instskip(NEXT) | instid1(VALU_DEP_1)
	v_dual_fmamk_f32 v11, v9, 0x32a5705f, v11 :: v_dual_sub_f32 v10, v10, v12
	v_add_f32_e32 v10, v10, v11
	v_cvt_i32_f32_e32 v11, v12
	v_cmp_ngt_f32_e64 s7, 0xc2ce8ed0, v9
	s_delay_alu instid0(VALU_DEP_3) | instskip(SKIP_2) | instid1(VALU_DEP_1)
	v_exp_f32_e32 v10, v10
	s_waitcnt_depctr 0xfff
	v_ldexp_f32 v10, v10, v11
	v_cndmask_b32_e64 v10, 0, v10, s7
	v_cmp_nlt_f32_e64 s7, 0x42b17218, v9
	s_delay_alu instid0(VALU_DEP_1) | instskip(NEXT) | instid1(VALU_DEP_1)
	v_cndmask_b32_e64 v11, 0x7f800000, v10, s7
	v_add_f32_e32 v12, 1.0, v11
	v_cmp_gt_f32_e64 s10, 0x33800000, |v11|
	s_delay_alu instid0(VALU_DEP_2) | instskip(NEXT) | instid1(VALU_DEP_1)
	v_cvt_f64_f32_e32 v[9:10], v12
	v_frexp_exp_i32_f64_e32 v9, v[9:10]
	v_frexp_mant_f32_e32 v10, v12
	s_delay_alu instid0(VALU_DEP_1) | instskip(SKIP_1) | instid1(VALU_DEP_1)
	v_cmp_gt_f32_e64 s7, 0x3f2aaaab, v10
	v_add_f32_e32 v10, -1.0, v12
	v_sub_f32_e32 v24, v10, v12
	s_delay_alu instid0(VALU_DEP_1) | instskip(NEXT) | instid1(VALU_DEP_4)
	v_add_f32_e32 v24, 1.0, v24
	v_subrev_co_ci_u32_e64 v9, s7, 0, v9, s7
	s_mov_b32 s7, 0x3e9b6dac
	s_delay_alu instid0(VALU_DEP_1) | instskip(SKIP_1) | instid1(VALU_DEP_2)
	v_sub_nc_u32_e32 v23, 0, v9
	v_cvt_f32_i32_e32 v9, v9
	v_ldexp_f32 v12, v12, v23
	s_delay_alu instid0(VALU_DEP_1) | instskip(NEXT) | instid1(VALU_DEP_1)
	v_dual_sub_f32 v10, v11, v10 :: v_dual_add_f32 v25, 1.0, v12
	v_add_f32_e32 v10, v10, v24
	s_delay_alu instid0(VALU_DEP_2) | instskip(NEXT) | instid1(VALU_DEP_2)
	v_add_f32_e32 v24, -1.0, v25
	v_ldexp_f32 v10, v10, v23
	v_add_f32_e32 v23, -1.0, v12
	s_delay_alu instid0(VALU_DEP_3) | instskip(NEXT) | instid1(VALU_DEP_2)
	v_sub_f32_e32 v24, v12, v24
	v_add_f32_e32 v26, 1.0, v23
	s_delay_alu instid0(VALU_DEP_2) | instskip(NEXT) | instid1(VALU_DEP_2)
	v_add_f32_e32 v24, v10, v24
	v_sub_f32_e32 v12, v12, v26
	s_delay_alu instid0(VALU_DEP_2) | instskip(NEXT) | instid1(VALU_DEP_2)
	v_add_f32_e32 v26, v25, v24
	v_add_f32_e32 v10, v10, v12
	s_delay_alu instid0(VALU_DEP_2) | instskip(SKIP_1) | instid1(VALU_DEP_1)
	v_rcp_f32_e32 v12, v26
	v_sub_f32_e32 v25, v25, v26
	v_dual_add_f32 v27, v23, v10 :: v_dual_add_f32 v24, v24, v25
	s_delay_alu instid0(VALU_DEP_1) | instskip(SKIP_3) | instid1(VALU_DEP_2)
	v_sub_f32_e32 v23, v23, v27
	s_waitcnt_depctr 0xfff
	v_mul_f32_e32 v28, v27, v12
	v_add_f32_e32 v10, v10, v23
	v_mul_f32_e32 v29, v26, v28
	s_delay_alu instid0(VALU_DEP_1) | instskip(NEXT) | instid1(VALU_DEP_1)
	v_fma_f32 v25, v28, v26, -v29
	v_fmac_f32_e32 v25, v28, v24
	s_delay_alu instid0(VALU_DEP_1) | instskip(NEXT) | instid1(VALU_DEP_1)
	v_add_f32_e32 v30, v29, v25
	v_sub_f32_e32 v31, v27, v30
	v_sub_f32_e32 v23, v30, v29
	s_delay_alu instid0(VALU_DEP_2) | instskip(NEXT) | instid1(VALU_DEP_2)
	v_sub_f32_e32 v27, v27, v31
	v_sub_f32_e32 v23, v23, v25
	s_delay_alu instid0(VALU_DEP_2) | instskip(NEXT) | instid1(VALU_DEP_1)
	v_sub_f32_e32 v27, v27, v30
	v_add_f32_e32 v10, v10, v27
	s_delay_alu instid0(VALU_DEP_1) | instskip(NEXT) | instid1(VALU_DEP_1)
	v_add_f32_e32 v10, v23, v10
	v_add_f32_e32 v23, v31, v10
	s_delay_alu instid0(VALU_DEP_1) | instskip(NEXT) | instid1(VALU_DEP_1)
	v_mul_f32_e32 v25, v12, v23
	v_dual_sub_f32 v30, v31, v23 :: v_dual_mul_f32 v27, v26, v25
	s_delay_alu instid0(VALU_DEP_1) | instskip(NEXT) | instid1(VALU_DEP_1)
	v_fma_f32 v26, v25, v26, -v27
	v_fmac_f32_e32 v26, v25, v24
	s_delay_alu instid0(VALU_DEP_1) | instskip(NEXT) | instid1(VALU_DEP_1)
	v_add_f32_e32 v24, v27, v26
	v_sub_f32_e32 v29, v23, v24
	v_dual_sub_f32 v27, v24, v27 :: v_dual_add_f32 v10, v10, v30
	s_delay_alu instid0(VALU_DEP_2) | instskip(NEXT) | instid1(VALU_DEP_1)
	v_sub_f32_e32 v23, v23, v29
	v_sub_f32_e32 v23, v23, v24
	s_delay_alu instid0(VALU_DEP_1) | instskip(NEXT) | instid1(VALU_DEP_4)
	v_dual_add_f32 v10, v10, v23 :: v_dual_add_f32 v23, v28, v25
	v_sub_f32_e32 v24, v27, v26
	s_delay_alu instid0(VALU_DEP_1) | instskip(NEXT) | instid1(VALU_DEP_3)
	v_add_f32_e32 v10, v24, v10
	v_sub_f32_e32 v24, v23, v28
	s_delay_alu instid0(VALU_DEP_2) | instskip(NEXT) | instid1(VALU_DEP_2)
	v_add_f32_e32 v10, v29, v10
	v_sub_f32_e32 v24, v25, v24
	s_delay_alu instid0(VALU_DEP_2) | instskip(NEXT) | instid1(VALU_DEP_1)
	v_mul_f32_e32 v10, v12, v10
	v_add_f32_e32 v10, v24, v10
	s_delay_alu instid0(VALU_DEP_1) | instskip(NEXT) | instid1(VALU_DEP_1)
	v_add_f32_e32 v12, v23, v10
	v_mul_f32_e32 v24, v12, v12
	s_delay_alu instid0(VALU_DEP_1) | instskip(SKIP_2) | instid1(VALU_DEP_3)
	v_fmaak_f32 v25, s7, v24, 0x3ecc95a3
	v_mul_f32_e32 v26, v12, v24
	v_cmp_eq_f32_e64 s7, 0x7f800000, v11
	v_fmaak_f32 v24, v24, v25, 0x3f2aaada
	v_ldexp_f32 v25, v12, 1
	v_sub_f32_e32 v12, v12, v23
	s_delay_alu instid0(VALU_DEP_4) | instskip(NEXT) | instid1(VALU_DEP_3)
	s_or_b32 s7, s7, s10
	v_mul_f32_e32 v24, v26, v24
	v_mul_f32_e32 v26, 0x3f317218, v9
	s_delay_alu instid0(VALU_DEP_3) | instskip(NEXT) | instid1(VALU_DEP_3)
	v_sub_f32_e32 v10, v10, v12
	v_add_f32_e32 v23, v25, v24
	s_delay_alu instid0(VALU_DEP_2) | instskip(NEXT) | instid1(VALU_DEP_2)
	v_ldexp_f32 v10, v10, 1
	v_sub_f32_e32 v12, v23, v25
	v_fma_f32 v25, 0x3f317218, v9, -v26
	s_delay_alu instid0(VALU_DEP_1) | instskip(NEXT) | instid1(VALU_DEP_1)
	v_dual_sub_f32 v12, v24, v12 :: v_dual_fmamk_f32 v9, v9, 0xb102e308, v25
	v_add_f32_e32 v10, v10, v12
	s_delay_alu instid0(VALU_DEP_2) | instskip(NEXT) | instid1(VALU_DEP_2)
	v_add_f32_e32 v12, v26, v9
	v_add_f32_e32 v24, v23, v10
	s_delay_alu instid0(VALU_DEP_2) | instskip(NEXT) | instid1(VALU_DEP_2)
	v_sub_f32_e32 v26, v12, v26
	v_add_f32_e32 v25, v12, v24
	v_sub_f32_e32 v23, v24, v23
	s_delay_alu instid0(VALU_DEP_3) | instskip(NEXT) | instid1(VALU_DEP_2)
	v_sub_f32_e32 v9, v9, v26
	v_dual_sub_f32 v27, v25, v12 :: v_dual_sub_f32 v10, v10, v23
	s_delay_alu instid0(VALU_DEP_1) | instskip(NEXT) | instid1(VALU_DEP_2)
	v_sub_f32_e32 v28, v25, v27
	v_dual_sub_f32 v23, v24, v27 :: v_dual_add_f32 v24, v9, v10
	s_delay_alu instid0(VALU_DEP_2) | instskip(NEXT) | instid1(VALU_DEP_1)
	v_sub_f32_e32 v12, v12, v28
	v_dual_add_f32 v12, v23, v12 :: v_dual_sub_f32 v23, v24, v9
	s_delay_alu instid0(VALU_DEP_1) | instskip(NEXT) | instid1(VALU_DEP_2)
	v_add_f32_e32 v12, v24, v12
	v_sub_f32_e32 v24, v24, v23
	v_sub_f32_e32 v10, v10, v23
	s_delay_alu instid0(VALU_DEP_3) | instskip(NEXT) | instid1(VALU_DEP_3)
	v_add_f32_e32 v26, v25, v12
	v_sub_f32_e32 v9, v9, v24
	s_delay_alu instid0(VALU_DEP_2) | instskip(NEXT) | instid1(VALU_DEP_1)
	v_sub_f32_e32 v23, v26, v25
	v_dual_add_f32 v9, v10, v9 :: v_dual_sub_f32 v10, v12, v23
	s_delay_alu instid0(VALU_DEP_1) | instskip(NEXT) | instid1(VALU_DEP_1)
	v_add_f32_e32 v9, v9, v10
	v_add_f32_e32 v9, v26, v9
	s_delay_alu instid0(VALU_DEP_1) | instskip(NEXT) | instid1(VALU_DEP_1)
	v_cndmask_b32_e64 v9, v9, v11, s7
	v_add_f32_e32 v10, v4, v9
.LBB99_23:
	s_or_b32 exec_lo, exec_lo, s9
	ds_load_b32 v4, v5 offset:16
	v_max_f32_e32 v9, v10, v10
	v_cmp_u_f32_e64 s7, v10, v10
	s_waitcnt lgkmcnt(0)
	v_max_f32_e32 v11, v4, v4
	s_delay_alu instid0(VALU_DEP_1) | instskip(SKIP_1) | instid1(VALU_DEP_2)
	v_min_f32_e32 v12, v9, v11
	v_max_f32_e32 v9, v9, v11
	v_cndmask_b32_e64 v11, v12, v10, s7
	s_delay_alu instid0(VALU_DEP_2) | instskip(SKIP_1) | instid1(VALU_DEP_1)
	v_cndmask_b32_e64 v12, v9, v10, s7
	v_cmp_u_f32_e64 s7, v4, v4
	v_cndmask_b32_e64 v9, v11, v4, s7
	s_delay_alu instid0(VALU_DEP_3) | instskip(NEXT) | instid1(VALU_DEP_2)
	v_cndmask_b32_e64 v4, v12, v4, s7
	v_cmp_class_f32_e64 s9, v9, 0x1f8
	s_delay_alu instid0(VALU_DEP_2) | instskip(NEXT) | instid1(VALU_DEP_1)
	v_cmp_neq_f32_e64 s7, v9, v4
	s_or_b32 s7, s7, s9
	s_delay_alu instid0(SALU_CYCLE_1)
	s_and_saveexec_b32 s9, s7
	s_cbranch_execz .LBB99_25
; %bb.24:
	v_sub_f32_e32 v9, v9, v4
	s_delay_alu instid0(VALU_DEP_1) | instskip(NEXT) | instid1(VALU_DEP_1)
	v_mul_f32_e32 v10, 0x3fb8aa3b, v9
	v_fma_f32 v11, 0x3fb8aa3b, v9, -v10
	v_rndne_f32_e32 v12, v10
	s_delay_alu instid0(VALU_DEP_1) | instskip(NEXT) | instid1(VALU_DEP_1)
	v_dual_fmamk_f32 v11, v9, 0x32a5705f, v11 :: v_dual_sub_f32 v10, v10, v12
	v_add_f32_e32 v10, v10, v11
	v_cvt_i32_f32_e32 v11, v12
	v_cmp_ngt_f32_e64 s7, 0xc2ce8ed0, v9
	s_delay_alu instid0(VALU_DEP_3) | instskip(SKIP_2) | instid1(VALU_DEP_1)
	v_exp_f32_e32 v10, v10
	s_waitcnt_depctr 0xfff
	v_ldexp_f32 v10, v10, v11
	v_cndmask_b32_e64 v10, 0, v10, s7
	v_cmp_nlt_f32_e64 s7, 0x42b17218, v9
	s_delay_alu instid0(VALU_DEP_1) | instskip(NEXT) | instid1(VALU_DEP_1)
	v_cndmask_b32_e64 v11, 0x7f800000, v10, s7
	v_add_f32_e32 v12, 1.0, v11
	v_cmp_gt_f32_e64 s10, 0x33800000, |v11|
	s_delay_alu instid0(VALU_DEP_2) | instskip(NEXT) | instid1(VALU_DEP_1)
	v_cvt_f64_f32_e32 v[9:10], v12
	v_frexp_exp_i32_f64_e32 v9, v[9:10]
	v_frexp_mant_f32_e32 v10, v12
	s_delay_alu instid0(VALU_DEP_1) | instskip(SKIP_1) | instid1(VALU_DEP_1)
	v_cmp_gt_f32_e64 s7, 0x3f2aaaab, v10
	v_add_f32_e32 v10, -1.0, v12
	v_sub_f32_e32 v24, v10, v12
	s_delay_alu instid0(VALU_DEP_1) | instskip(NEXT) | instid1(VALU_DEP_4)
	v_add_f32_e32 v24, 1.0, v24
	v_subrev_co_ci_u32_e64 v9, s7, 0, v9, s7
	s_mov_b32 s7, 0x3e9b6dac
	s_delay_alu instid0(VALU_DEP_1) | instskip(SKIP_1) | instid1(VALU_DEP_2)
	v_sub_nc_u32_e32 v23, 0, v9
	v_cvt_f32_i32_e32 v9, v9
	v_ldexp_f32 v12, v12, v23
	s_delay_alu instid0(VALU_DEP_1) | instskip(NEXT) | instid1(VALU_DEP_1)
	v_dual_sub_f32 v10, v11, v10 :: v_dual_add_f32 v25, 1.0, v12
	v_add_f32_e32 v10, v10, v24
	s_delay_alu instid0(VALU_DEP_2) | instskip(NEXT) | instid1(VALU_DEP_2)
	v_add_f32_e32 v24, -1.0, v25
	v_ldexp_f32 v10, v10, v23
	v_add_f32_e32 v23, -1.0, v12
	s_delay_alu instid0(VALU_DEP_3) | instskip(NEXT) | instid1(VALU_DEP_2)
	v_sub_f32_e32 v24, v12, v24
	v_add_f32_e32 v26, 1.0, v23
	s_delay_alu instid0(VALU_DEP_2) | instskip(NEXT) | instid1(VALU_DEP_2)
	v_add_f32_e32 v24, v10, v24
	v_sub_f32_e32 v12, v12, v26
	s_delay_alu instid0(VALU_DEP_2) | instskip(NEXT) | instid1(VALU_DEP_2)
	v_add_f32_e32 v26, v25, v24
	v_add_f32_e32 v10, v10, v12
	s_delay_alu instid0(VALU_DEP_2) | instskip(SKIP_1) | instid1(VALU_DEP_1)
	v_rcp_f32_e32 v12, v26
	v_sub_f32_e32 v25, v25, v26
	v_dual_add_f32 v27, v23, v10 :: v_dual_add_f32 v24, v24, v25
	s_delay_alu instid0(VALU_DEP_1) | instskip(SKIP_3) | instid1(VALU_DEP_2)
	v_sub_f32_e32 v23, v23, v27
	s_waitcnt_depctr 0xfff
	v_mul_f32_e32 v28, v27, v12
	v_add_f32_e32 v10, v10, v23
	v_mul_f32_e32 v29, v26, v28
	s_delay_alu instid0(VALU_DEP_1) | instskip(NEXT) | instid1(VALU_DEP_1)
	v_fma_f32 v25, v28, v26, -v29
	v_fmac_f32_e32 v25, v28, v24
	s_delay_alu instid0(VALU_DEP_1) | instskip(NEXT) | instid1(VALU_DEP_1)
	v_add_f32_e32 v30, v29, v25
	v_sub_f32_e32 v31, v27, v30
	v_sub_f32_e32 v23, v30, v29
	s_delay_alu instid0(VALU_DEP_2) | instskip(NEXT) | instid1(VALU_DEP_2)
	v_sub_f32_e32 v27, v27, v31
	v_sub_f32_e32 v23, v23, v25
	s_delay_alu instid0(VALU_DEP_2) | instskip(NEXT) | instid1(VALU_DEP_1)
	v_sub_f32_e32 v27, v27, v30
	v_add_f32_e32 v10, v10, v27
	s_delay_alu instid0(VALU_DEP_1) | instskip(NEXT) | instid1(VALU_DEP_1)
	v_add_f32_e32 v10, v23, v10
	v_add_f32_e32 v23, v31, v10
	s_delay_alu instid0(VALU_DEP_1) | instskip(NEXT) | instid1(VALU_DEP_1)
	v_mul_f32_e32 v25, v12, v23
	v_dual_sub_f32 v30, v31, v23 :: v_dual_mul_f32 v27, v26, v25
	s_delay_alu instid0(VALU_DEP_1) | instskip(NEXT) | instid1(VALU_DEP_1)
	v_fma_f32 v26, v25, v26, -v27
	v_fmac_f32_e32 v26, v25, v24
	s_delay_alu instid0(VALU_DEP_1) | instskip(NEXT) | instid1(VALU_DEP_1)
	v_add_f32_e32 v24, v27, v26
	v_sub_f32_e32 v29, v23, v24
	v_dual_sub_f32 v27, v24, v27 :: v_dual_add_f32 v10, v10, v30
	s_delay_alu instid0(VALU_DEP_2) | instskip(NEXT) | instid1(VALU_DEP_1)
	v_sub_f32_e32 v23, v23, v29
	v_sub_f32_e32 v23, v23, v24
	s_delay_alu instid0(VALU_DEP_1) | instskip(NEXT) | instid1(VALU_DEP_4)
	v_dual_add_f32 v10, v10, v23 :: v_dual_add_f32 v23, v28, v25
	v_sub_f32_e32 v24, v27, v26
	s_delay_alu instid0(VALU_DEP_1) | instskip(NEXT) | instid1(VALU_DEP_3)
	v_add_f32_e32 v10, v24, v10
	v_sub_f32_e32 v24, v23, v28
	s_delay_alu instid0(VALU_DEP_2) | instskip(NEXT) | instid1(VALU_DEP_2)
	v_add_f32_e32 v10, v29, v10
	v_sub_f32_e32 v24, v25, v24
	s_delay_alu instid0(VALU_DEP_2) | instskip(NEXT) | instid1(VALU_DEP_1)
	v_mul_f32_e32 v10, v12, v10
	v_add_f32_e32 v10, v24, v10
	s_delay_alu instid0(VALU_DEP_1) | instskip(NEXT) | instid1(VALU_DEP_1)
	v_add_f32_e32 v12, v23, v10
	v_mul_f32_e32 v24, v12, v12
	s_delay_alu instid0(VALU_DEP_1) | instskip(SKIP_2) | instid1(VALU_DEP_3)
	v_fmaak_f32 v25, s7, v24, 0x3ecc95a3
	v_mul_f32_e32 v26, v12, v24
	v_cmp_eq_f32_e64 s7, 0x7f800000, v11
	v_fmaak_f32 v24, v24, v25, 0x3f2aaada
	v_ldexp_f32 v25, v12, 1
	v_sub_f32_e32 v12, v12, v23
	s_delay_alu instid0(VALU_DEP_4) | instskip(NEXT) | instid1(VALU_DEP_3)
	s_or_b32 s7, s7, s10
	v_mul_f32_e32 v24, v26, v24
	v_mul_f32_e32 v26, 0x3f317218, v9
	s_delay_alu instid0(VALU_DEP_3) | instskip(NEXT) | instid1(VALU_DEP_3)
	v_sub_f32_e32 v10, v10, v12
	v_add_f32_e32 v23, v25, v24
	s_delay_alu instid0(VALU_DEP_2) | instskip(NEXT) | instid1(VALU_DEP_2)
	v_ldexp_f32 v10, v10, 1
	v_sub_f32_e32 v12, v23, v25
	v_fma_f32 v25, 0x3f317218, v9, -v26
	s_delay_alu instid0(VALU_DEP_1) | instskip(NEXT) | instid1(VALU_DEP_1)
	v_dual_sub_f32 v12, v24, v12 :: v_dual_fmamk_f32 v9, v9, 0xb102e308, v25
	v_add_f32_e32 v10, v10, v12
	s_delay_alu instid0(VALU_DEP_2) | instskip(NEXT) | instid1(VALU_DEP_2)
	v_add_f32_e32 v12, v26, v9
	v_add_f32_e32 v24, v23, v10
	s_delay_alu instid0(VALU_DEP_2) | instskip(NEXT) | instid1(VALU_DEP_2)
	v_sub_f32_e32 v26, v12, v26
	v_add_f32_e32 v25, v12, v24
	v_sub_f32_e32 v23, v24, v23
	s_delay_alu instid0(VALU_DEP_3) | instskip(NEXT) | instid1(VALU_DEP_2)
	v_sub_f32_e32 v9, v9, v26
	v_dual_sub_f32 v27, v25, v12 :: v_dual_sub_f32 v10, v10, v23
	s_delay_alu instid0(VALU_DEP_1) | instskip(NEXT) | instid1(VALU_DEP_2)
	v_sub_f32_e32 v28, v25, v27
	v_dual_sub_f32 v23, v24, v27 :: v_dual_add_f32 v24, v9, v10
	s_delay_alu instid0(VALU_DEP_2) | instskip(NEXT) | instid1(VALU_DEP_1)
	v_sub_f32_e32 v12, v12, v28
	v_dual_add_f32 v12, v23, v12 :: v_dual_sub_f32 v23, v24, v9
	s_delay_alu instid0(VALU_DEP_1) | instskip(NEXT) | instid1(VALU_DEP_2)
	v_add_f32_e32 v12, v24, v12
	v_sub_f32_e32 v24, v24, v23
	v_sub_f32_e32 v10, v10, v23
	s_delay_alu instid0(VALU_DEP_3) | instskip(NEXT) | instid1(VALU_DEP_3)
	v_add_f32_e32 v26, v25, v12
	v_sub_f32_e32 v9, v9, v24
	s_delay_alu instid0(VALU_DEP_2) | instskip(NEXT) | instid1(VALU_DEP_1)
	v_sub_f32_e32 v23, v26, v25
	v_dual_add_f32 v9, v10, v9 :: v_dual_sub_f32 v10, v12, v23
	s_delay_alu instid0(VALU_DEP_1) | instskip(NEXT) | instid1(VALU_DEP_1)
	v_add_f32_e32 v9, v9, v10
	v_add_f32_e32 v9, v26, v9
	s_delay_alu instid0(VALU_DEP_1) | instskip(NEXT) | instid1(VALU_DEP_1)
	v_cndmask_b32_e64 v9, v9, v11, s7
	v_add_f32_e32 v10, v4, v9
.LBB99_25:
	s_or_b32 exec_lo, exec_lo, s9
	ds_load_b32 v4, v5 offset:20
	v_max_f32_e32 v9, v10, v10
	v_cmp_u_f32_e64 s7, v10, v10
	s_waitcnt lgkmcnt(0)
	v_max_f32_e32 v11, v4, v4
	s_delay_alu instid0(VALU_DEP_1) | instskip(SKIP_1) | instid1(VALU_DEP_2)
	v_min_f32_e32 v12, v9, v11
	v_max_f32_e32 v9, v9, v11
	v_cndmask_b32_e64 v11, v12, v10, s7
	s_delay_alu instid0(VALU_DEP_2) | instskip(SKIP_1) | instid1(VALU_DEP_1)
	v_cndmask_b32_e64 v12, v9, v10, s7
	v_cmp_u_f32_e64 s7, v4, v4
	v_cndmask_b32_e64 v9, v11, v4, s7
	s_delay_alu instid0(VALU_DEP_3) | instskip(NEXT) | instid1(VALU_DEP_2)
	v_cndmask_b32_e64 v4, v12, v4, s7
	v_cmp_class_f32_e64 s9, v9, 0x1f8
	s_delay_alu instid0(VALU_DEP_2) | instskip(NEXT) | instid1(VALU_DEP_1)
	v_cmp_neq_f32_e64 s7, v9, v4
	s_or_b32 s7, s7, s9
	s_delay_alu instid0(SALU_CYCLE_1)
	s_and_saveexec_b32 s9, s7
	s_cbranch_execz .LBB99_27
; %bb.26:
	v_sub_f32_e32 v9, v9, v4
	s_delay_alu instid0(VALU_DEP_1) | instskip(NEXT) | instid1(VALU_DEP_1)
	v_mul_f32_e32 v10, 0x3fb8aa3b, v9
	v_fma_f32 v11, 0x3fb8aa3b, v9, -v10
	v_rndne_f32_e32 v12, v10
	s_delay_alu instid0(VALU_DEP_1) | instskip(NEXT) | instid1(VALU_DEP_1)
	v_dual_fmamk_f32 v11, v9, 0x32a5705f, v11 :: v_dual_sub_f32 v10, v10, v12
	v_add_f32_e32 v10, v10, v11
	v_cvt_i32_f32_e32 v11, v12
	v_cmp_ngt_f32_e64 s7, 0xc2ce8ed0, v9
	s_delay_alu instid0(VALU_DEP_3) | instskip(SKIP_2) | instid1(VALU_DEP_1)
	v_exp_f32_e32 v10, v10
	s_waitcnt_depctr 0xfff
	v_ldexp_f32 v10, v10, v11
	v_cndmask_b32_e64 v10, 0, v10, s7
	v_cmp_nlt_f32_e64 s7, 0x42b17218, v9
	s_delay_alu instid0(VALU_DEP_1) | instskip(NEXT) | instid1(VALU_DEP_1)
	v_cndmask_b32_e64 v11, 0x7f800000, v10, s7
	v_add_f32_e32 v12, 1.0, v11
	v_cmp_gt_f32_e64 s10, 0x33800000, |v11|
	s_delay_alu instid0(VALU_DEP_2) | instskip(NEXT) | instid1(VALU_DEP_1)
	v_cvt_f64_f32_e32 v[9:10], v12
	v_frexp_exp_i32_f64_e32 v9, v[9:10]
	v_frexp_mant_f32_e32 v10, v12
	s_delay_alu instid0(VALU_DEP_1) | instskip(SKIP_1) | instid1(VALU_DEP_1)
	v_cmp_gt_f32_e64 s7, 0x3f2aaaab, v10
	v_add_f32_e32 v10, -1.0, v12
	v_sub_f32_e32 v24, v10, v12
	s_delay_alu instid0(VALU_DEP_1) | instskip(NEXT) | instid1(VALU_DEP_4)
	v_add_f32_e32 v24, 1.0, v24
	v_subrev_co_ci_u32_e64 v9, s7, 0, v9, s7
	s_mov_b32 s7, 0x3e9b6dac
	s_delay_alu instid0(VALU_DEP_1) | instskip(SKIP_1) | instid1(VALU_DEP_2)
	v_sub_nc_u32_e32 v23, 0, v9
	v_cvt_f32_i32_e32 v9, v9
	v_ldexp_f32 v12, v12, v23
	s_delay_alu instid0(VALU_DEP_1) | instskip(NEXT) | instid1(VALU_DEP_1)
	v_dual_sub_f32 v10, v11, v10 :: v_dual_add_f32 v25, 1.0, v12
	v_add_f32_e32 v10, v10, v24
	s_delay_alu instid0(VALU_DEP_2) | instskip(NEXT) | instid1(VALU_DEP_2)
	v_add_f32_e32 v24, -1.0, v25
	v_ldexp_f32 v10, v10, v23
	v_add_f32_e32 v23, -1.0, v12
	s_delay_alu instid0(VALU_DEP_3) | instskip(NEXT) | instid1(VALU_DEP_2)
	v_sub_f32_e32 v24, v12, v24
	v_add_f32_e32 v26, 1.0, v23
	s_delay_alu instid0(VALU_DEP_2) | instskip(NEXT) | instid1(VALU_DEP_2)
	v_add_f32_e32 v24, v10, v24
	v_sub_f32_e32 v12, v12, v26
	s_delay_alu instid0(VALU_DEP_2) | instskip(NEXT) | instid1(VALU_DEP_2)
	v_add_f32_e32 v26, v25, v24
	v_add_f32_e32 v10, v10, v12
	s_delay_alu instid0(VALU_DEP_2) | instskip(SKIP_1) | instid1(VALU_DEP_1)
	v_rcp_f32_e32 v12, v26
	v_sub_f32_e32 v25, v25, v26
	v_dual_add_f32 v27, v23, v10 :: v_dual_add_f32 v24, v24, v25
	s_delay_alu instid0(VALU_DEP_1) | instskip(SKIP_3) | instid1(VALU_DEP_2)
	v_sub_f32_e32 v23, v23, v27
	s_waitcnt_depctr 0xfff
	v_mul_f32_e32 v28, v27, v12
	v_add_f32_e32 v10, v10, v23
	v_mul_f32_e32 v29, v26, v28
	s_delay_alu instid0(VALU_DEP_1) | instskip(NEXT) | instid1(VALU_DEP_1)
	v_fma_f32 v25, v28, v26, -v29
	v_fmac_f32_e32 v25, v28, v24
	s_delay_alu instid0(VALU_DEP_1) | instskip(NEXT) | instid1(VALU_DEP_1)
	v_add_f32_e32 v30, v29, v25
	v_sub_f32_e32 v31, v27, v30
	v_sub_f32_e32 v23, v30, v29
	s_delay_alu instid0(VALU_DEP_2) | instskip(NEXT) | instid1(VALU_DEP_2)
	v_sub_f32_e32 v27, v27, v31
	v_sub_f32_e32 v23, v23, v25
	s_delay_alu instid0(VALU_DEP_2) | instskip(NEXT) | instid1(VALU_DEP_1)
	v_sub_f32_e32 v27, v27, v30
	v_add_f32_e32 v10, v10, v27
	s_delay_alu instid0(VALU_DEP_1) | instskip(NEXT) | instid1(VALU_DEP_1)
	v_add_f32_e32 v10, v23, v10
	v_add_f32_e32 v23, v31, v10
	s_delay_alu instid0(VALU_DEP_1) | instskip(NEXT) | instid1(VALU_DEP_1)
	v_mul_f32_e32 v25, v12, v23
	v_dual_sub_f32 v30, v31, v23 :: v_dual_mul_f32 v27, v26, v25
	s_delay_alu instid0(VALU_DEP_1) | instskip(NEXT) | instid1(VALU_DEP_1)
	v_fma_f32 v26, v25, v26, -v27
	v_fmac_f32_e32 v26, v25, v24
	s_delay_alu instid0(VALU_DEP_1) | instskip(NEXT) | instid1(VALU_DEP_1)
	v_add_f32_e32 v24, v27, v26
	v_sub_f32_e32 v29, v23, v24
	v_dual_sub_f32 v27, v24, v27 :: v_dual_add_f32 v10, v10, v30
	s_delay_alu instid0(VALU_DEP_2) | instskip(NEXT) | instid1(VALU_DEP_1)
	v_sub_f32_e32 v23, v23, v29
	v_sub_f32_e32 v23, v23, v24
	s_delay_alu instid0(VALU_DEP_1) | instskip(NEXT) | instid1(VALU_DEP_4)
	v_dual_add_f32 v10, v10, v23 :: v_dual_add_f32 v23, v28, v25
	v_sub_f32_e32 v24, v27, v26
	s_delay_alu instid0(VALU_DEP_1) | instskip(NEXT) | instid1(VALU_DEP_3)
	v_add_f32_e32 v10, v24, v10
	v_sub_f32_e32 v24, v23, v28
	s_delay_alu instid0(VALU_DEP_2) | instskip(NEXT) | instid1(VALU_DEP_2)
	v_add_f32_e32 v10, v29, v10
	v_sub_f32_e32 v24, v25, v24
	s_delay_alu instid0(VALU_DEP_2) | instskip(NEXT) | instid1(VALU_DEP_1)
	v_mul_f32_e32 v10, v12, v10
	v_add_f32_e32 v10, v24, v10
	s_delay_alu instid0(VALU_DEP_1) | instskip(NEXT) | instid1(VALU_DEP_1)
	v_add_f32_e32 v12, v23, v10
	v_mul_f32_e32 v24, v12, v12
	s_delay_alu instid0(VALU_DEP_1) | instskip(SKIP_2) | instid1(VALU_DEP_3)
	v_fmaak_f32 v25, s7, v24, 0x3ecc95a3
	v_mul_f32_e32 v26, v12, v24
	v_cmp_eq_f32_e64 s7, 0x7f800000, v11
	v_fmaak_f32 v24, v24, v25, 0x3f2aaada
	v_ldexp_f32 v25, v12, 1
	v_sub_f32_e32 v12, v12, v23
	s_delay_alu instid0(VALU_DEP_4) | instskip(NEXT) | instid1(VALU_DEP_3)
	s_or_b32 s7, s7, s10
	v_mul_f32_e32 v24, v26, v24
	v_mul_f32_e32 v26, 0x3f317218, v9
	s_delay_alu instid0(VALU_DEP_3) | instskip(NEXT) | instid1(VALU_DEP_3)
	v_sub_f32_e32 v10, v10, v12
	v_add_f32_e32 v23, v25, v24
	s_delay_alu instid0(VALU_DEP_2) | instskip(NEXT) | instid1(VALU_DEP_2)
	v_ldexp_f32 v10, v10, 1
	v_sub_f32_e32 v12, v23, v25
	v_fma_f32 v25, 0x3f317218, v9, -v26
	s_delay_alu instid0(VALU_DEP_1) | instskip(NEXT) | instid1(VALU_DEP_1)
	v_dual_sub_f32 v12, v24, v12 :: v_dual_fmamk_f32 v9, v9, 0xb102e308, v25
	v_add_f32_e32 v10, v10, v12
	s_delay_alu instid0(VALU_DEP_2) | instskip(NEXT) | instid1(VALU_DEP_2)
	v_add_f32_e32 v12, v26, v9
	v_add_f32_e32 v24, v23, v10
	s_delay_alu instid0(VALU_DEP_2) | instskip(NEXT) | instid1(VALU_DEP_2)
	v_sub_f32_e32 v26, v12, v26
	v_add_f32_e32 v25, v12, v24
	v_sub_f32_e32 v23, v24, v23
	s_delay_alu instid0(VALU_DEP_3) | instskip(NEXT) | instid1(VALU_DEP_2)
	v_sub_f32_e32 v9, v9, v26
	v_dual_sub_f32 v27, v25, v12 :: v_dual_sub_f32 v10, v10, v23
	s_delay_alu instid0(VALU_DEP_1) | instskip(NEXT) | instid1(VALU_DEP_2)
	v_sub_f32_e32 v28, v25, v27
	v_dual_sub_f32 v23, v24, v27 :: v_dual_add_f32 v24, v9, v10
	s_delay_alu instid0(VALU_DEP_2) | instskip(NEXT) | instid1(VALU_DEP_1)
	v_sub_f32_e32 v12, v12, v28
	v_dual_add_f32 v12, v23, v12 :: v_dual_sub_f32 v23, v24, v9
	s_delay_alu instid0(VALU_DEP_1) | instskip(NEXT) | instid1(VALU_DEP_2)
	v_add_f32_e32 v12, v24, v12
	v_sub_f32_e32 v24, v24, v23
	v_sub_f32_e32 v10, v10, v23
	s_delay_alu instid0(VALU_DEP_3) | instskip(NEXT) | instid1(VALU_DEP_3)
	v_add_f32_e32 v26, v25, v12
	v_sub_f32_e32 v9, v9, v24
	s_delay_alu instid0(VALU_DEP_2) | instskip(NEXT) | instid1(VALU_DEP_1)
	v_sub_f32_e32 v23, v26, v25
	v_dual_add_f32 v9, v10, v9 :: v_dual_sub_f32 v10, v12, v23
	s_delay_alu instid0(VALU_DEP_1) | instskip(NEXT) | instid1(VALU_DEP_1)
	v_add_f32_e32 v9, v9, v10
	v_add_f32_e32 v9, v26, v9
	s_delay_alu instid0(VALU_DEP_1) | instskip(NEXT) | instid1(VALU_DEP_1)
	v_cndmask_b32_e64 v9, v9, v11, s7
	v_add_f32_e32 v10, v4, v9
.LBB99_27:
	s_or_b32 exec_lo, exec_lo, s9
	ds_load_b32 v4, v5 offset:24
	v_max_f32_e32 v9, v10, v10
	v_cmp_u_f32_e64 s7, v10, v10
	s_waitcnt lgkmcnt(0)
	v_max_f32_e32 v11, v4, v4
	s_delay_alu instid0(VALU_DEP_1) | instskip(SKIP_1) | instid1(VALU_DEP_2)
	v_min_f32_e32 v12, v9, v11
	v_max_f32_e32 v9, v9, v11
	v_cndmask_b32_e64 v11, v12, v10, s7
	s_delay_alu instid0(VALU_DEP_2) | instskip(SKIP_1) | instid1(VALU_DEP_1)
	v_cndmask_b32_e64 v12, v9, v10, s7
	v_cmp_u_f32_e64 s7, v4, v4
	v_cndmask_b32_e64 v9, v11, v4, s7
	s_delay_alu instid0(VALU_DEP_3) | instskip(NEXT) | instid1(VALU_DEP_2)
	v_cndmask_b32_e64 v4, v12, v4, s7
	v_cmp_class_f32_e64 s9, v9, 0x1f8
	s_delay_alu instid0(VALU_DEP_2) | instskip(NEXT) | instid1(VALU_DEP_1)
	v_cmp_neq_f32_e64 s7, v9, v4
	s_or_b32 s7, s7, s9
	s_delay_alu instid0(SALU_CYCLE_1)
	s_and_saveexec_b32 s9, s7
	s_cbranch_execz .LBB99_29
; %bb.28:
	v_sub_f32_e32 v9, v9, v4
	s_delay_alu instid0(VALU_DEP_1) | instskip(NEXT) | instid1(VALU_DEP_1)
	v_mul_f32_e32 v10, 0x3fb8aa3b, v9
	v_fma_f32 v11, 0x3fb8aa3b, v9, -v10
	v_rndne_f32_e32 v12, v10
	s_delay_alu instid0(VALU_DEP_1) | instskip(NEXT) | instid1(VALU_DEP_1)
	v_dual_fmamk_f32 v11, v9, 0x32a5705f, v11 :: v_dual_sub_f32 v10, v10, v12
	v_add_f32_e32 v10, v10, v11
	v_cvt_i32_f32_e32 v11, v12
	v_cmp_ngt_f32_e64 s7, 0xc2ce8ed0, v9
	s_delay_alu instid0(VALU_DEP_3) | instskip(SKIP_2) | instid1(VALU_DEP_1)
	v_exp_f32_e32 v10, v10
	s_waitcnt_depctr 0xfff
	v_ldexp_f32 v10, v10, v11
	v_cndmask_b32_e64 v10, 0, v10, s7
	v_cmp_nlt_f32_e64 s7, 0x42b17218, v9
	s_delay_alu instid0(VALU_DEP_1) | instskip(NEXT) | instid1(VALU_DEP_1)
	v_cndmask_b32_e64 v11, 0x7f800000, v10, s7
	v_add_f32_e32 v12, 1.0, v11
	v_cmp_gt_f32_e64 s10, 0x33800000, |v11|
	s_delay_alu instid0(VALU_DEP_2) | instskip(NEXT) | instid1(VALU_DEP_1)
	v_cvt_f64_f32_e32 v[9:10], v12
	v_frexp_exp_i32_f64_e32 v9, v[9:10]
	v_frexp_mant_f32_e32 v10, v12
	s_delay_alu instid0(VALU_DEP_1) | instskip(SKIP_1) | instid1(VALU_DEP_1)
	v_cmp_gt_f32_e64 s7, 0x3f2aaaab, v10
	v_add_f32_e32 v10, -1.0, v12
	v_sub_f32_e32 v24, v10, v12
	s_delay_alu instid0(VALU_DEP_1) | instskip(NEXT) | instid1(VALU_DEP_4)
	v_add_f32_e32 v24, 1.0, v24
	v_subrev_co_ci_u32_e64 v9, s7, 0, v9, s7
	s_mov_b32 s7, 0x3e9b6dac
	s_delay_alu instid0(VALU_DEP_1) | instskip(SKIP_1) | instid1(VALU_DEP_2)
	v_sub_nc_u32_e32 v23, 0, v9
	v_cvt_f32_i32_e32 v9, v9
	v_ldexp_f32 v12, v12, v23
	s_delay_alu instid0(VALU_DEP_1) | instskip(NEXT) | instid1(VALU_DEP_1)
	v_dual_sub_f32 v10, v11, v10 :: v_dual_add_f32 v25, 1.0, v12
	v_add_f32_e32 v10, v10, v24
	s_delay_alu instid0(VALU_DEP_2) | instskip(NEXT) | instid1(VALU_DEP_2)
	v_add_f32_e32 v24, -1.0, v25
	v_ldexp_f32 v10, v10, v23
	v_add_f32_e32 v23, -1.0, v12
	s_delay_alu instid0(VALU_DEP_3) | instskip(NEXT) | instid1(VALU_DEP_2)
	v_sub_f32_e32 v24, v12, v24
	v_add_f32_e32 v26, 1.0, v23
	s_delay_alu instid0(VALU_DEP_2) | instskip(NEXT) | instid1(VALU_DEP_2)
	v_add_f32_e32 v24, v10, v24
	v_sub_f32_e32 v12, v12, v26
	s_delay_alu instid0(VALU_DEP_2) | instskip(NEXT) | instid1(VALU_DEP_2)
	v_add_f32_e32 v26, v25, v24
	v_add_f32_e32 v10, v10, v12
	s_delay_alu instid0(VALU_DEP_2) | instskip(SKIP_1) | instid1(VALU_DEP_1)
	v_rcp_f32_e32 v12, v26
	v_sub_f32_e32 v25, v25, v26
	v_dual_add_f32 v27, v23, v10 :: v_dual_add_f32 v24, v24, v25
	s_delay_alu instid0(VALU_DEP_1) | instskip(SKIP_3) | instid1(VALU_DEP_2)
	v_sub_f32_e32 v23, v23, v27
	s_waitcnt_depctr 0xfff
	v_mul_f32_e32 v28, v27, v12
	v_add_f32_e32 v10, v10, v23
	v_mul_f32_e32 v29, v26, v28
	s_delay_alu instid0(VALU_DEP_1) | instskip(NEXT) | instid1(VALU_DEP_1)
	v_fma_f32 v25, v28, v26, -v29
	v_fmac_f32_e32 v25, v28, v24
	s_delay_alu instid0(VALU_DEP_1) | instskip(NEXT) | instid1(VALU_DEP_1)
	v_add_f32_e32 v30, v29, v25
	v_sub_f32_e32 v31, v27, v30
	v_sub_f32_e32 v23, v30, v29
	s_delay_alu instid0(VALU_DEP_2) | instskip(NEXT) | instid1(VALU_DEP_2)
	v_sub_f32_e32 v27, v27, v31
	v_sub_f32_e32 v23, v23, v25
	s_delay_alu instid0(VALU_DEP_2) | instskip(NEXT) | instid1(VALU_DEP_1)
	v_sub_f32_e32 v27, v27, v30
	v_add_f32_e32 v10, v10, v27
	s_delay_alu instid0(VALU_DEP_1) | instskip(NEXT) | instid1(VALU_DEP_1)
	v_add_f32_e32 v10, v23, v10
	v_add_f32_e32 v23, v31, v10
	s_delay_alu instid0(VALU_DEP_1) | instskip(NEXT) | instid1(VALU_DEP_1)
	v_mul_f32_e32 v25, v12, v23
	v_dual_sub_f32 v30, v31, v23 :: v_dual_mul_f32 v27, v26, v25
	s_delay_alu instid0(VALU_DEP_1) | instskip(NEXT) | instid1(VALU_DEP_1)
	v_fma_f32 v26, v25, v26, -v27
	v_fmac_f32_e32 v26, v25, v24
	s_delay_alu instid0(VALU_DEP_1) | instskip(NEXT) | instid1(VALU_DEP_1)
	v_add_f32_e32 v24, v27, v26
	v_sub_f32_e32 v29, v23, v24
	v_dual_sub_f32 v27, v24, v27 :: v_dual_add_f32 v10, v10, v30
	s_delay_alu instid0(VALU_DEP_2) | instskip(NEXT) | instid1(VALU_DEP_1)
	v_sub_f32_e32 v23, v23, v29
	v_sub_f32_e32 v23, v23, v24
	s_delay_alu instid0(VALU_DEP_1) | instskip(NEXT) | instid1(VALU_DEP_4)
	v_dual_add_f32 v10, v10, v23 :: v_dual_add_f32 v23, v28, v25
	v_sub_f32_e32 v24, v27, v26
	s_delay_alu instid0(VALU_DEP_1) | instskip(NEXT) | instid1(VALU_DEP_3)
	v_add_f32_e32 v10, v24, v10
	v_sub_f32_e32 v24, v23, v28
	s_delay_alu instid0(VALU_DEP_2) | instskip(NEXT) | instid1(VALU_DEP_2)
	v_add_f32_e32 v10, v29, v10
	v_sub_f32_e32 v24, v25, v24
	s_delay_alu instid0(VALU_DEP_2) | instskip(NEXT) | instid1(VALU_DEP_1)
	v_mul_f32_e32 v10, v12, v10
	v_add_f32_e32 v10, v24, v10
	s_delay_alu instid0(VALU_DEP_1) | instskip(NEXT) | instid1(VALU_DEP_1)
	v_add_f32_e32 v12, v23, v10
	v_mul_f32_e32 v24, v12, v12
	s_delay_alu instid0(VALU_DEP_1) | instskip(SKIP_2) | instid1(VALU_DEP_3)
	v_fmaak_f32 v25, s7, v24, 0x3ecc95a3
	v_mul_f32_e32 v26, v12, v24
	v_cmp_eq_f32_e64 s7, 0x7f800000, v11
	v_fmaak_f32 v24, v24, v25, 0x3f2aaada
	v_ldexp_f32 v25, v12, 1
	v_sub_f32_e32 v12, v12, v23
	s_delay_alu instid0(VALU_DEP_4) | instskip(NEXT) | instid1(VALU_DEP_3)
	s_or_b32 s7, s7, s10
	v_mul_f32_e32 v24, v26, v24
	v_mul_f32_e32 v26, 0x3f317218, v9
	s_delay_alu instid0(VALU_DEP_3) | instskip(NEXT) | instid1(VALU_DEP_3)
	v_sub_f32_e32 v10, v10, v12
	v_add_f32_e32 v23, v25, v24
	s_delay_alu instid0(VALU_DEP_2) | instskip(NEXT) | instid1(VALU_DEP_2)
	v_ldexp_f32 v10, v10, 1
	v_sub_f32_e32 v12, v23, v25
	v_fma_f32 v25, 0x3f317218, v9, -v26
	s_delay_alu instid0(VALU_DEP_1) | instskip(NEXT) | instid1(VALU_DEP_1)
	v_dual_sub_f32 v12, v24, v12 :: v_dual_fmamk_f32 v9, v9, 0xb102e308, v25
	v_add_f32_e32 v10, v10, v12
	s_delay_alu instid0(VALU_DEP_2) | instskip(NEXT) | instid1(VALU_DEP_2)
	v_add_f32_e32 v12, v26, v9
	v_add_f32_e32 v24, v23, v10
	s_delay_alu instid0(VALU_DEP_2) | instskip(NEXT) | instid1(VALU_DEP_2)
	v_sub_f32_e32 v26, v12, v26
	v_add_f32_e32 v25, v12, v24
	v_sub_f32_e32 v23, v24, v23
	s_delay_alu instid0(VALU_DEP_3) | instskip(NEXT) | instid1(VALU_DEP_2)
	v_sub_f32_e32 v9, v9, v26
	v_dual_sub_f32 v27, v25, v12 :: v_dual_sub_f32 v10, v10, v23
	s_delay_alu instid0(VALU_DEP_1) | instskip(NEXT) | instid1(VALU_DEP_2)
	v_sub_f32_e32 v28, v25, v27
	v_dual_sub_f32 v23, v24, v27 :: v_dual_add_f32 v24, v9, v10
	s_delay_alu instid0(VALU_DEP_2) | instskip(NEXT) | instid1(VALU_DEP_1)
	v_sub_f32_e32 v12, v12, v28
	v_dual_add_f32 v12, v23, v12 :: v_dual_sub_f32 v23, v24, v9
	s_delay_alu instid0(VALU_DEP_1) | instskip(NEXT) | instid1(VALU_DEP_2)
	v_add_f32_e32 v12, v24, v12
	v_sub_f32_e32 v24, v24, v23
	v_sub_f32_e32 v10, v10, v23
	s_delay_alu instid0(VALU_DEP_3) | instskip(NEXT) | instid1(VALU_DEP_3)
	v_add_f32_e32 v26, v25, v12
	v_sub_f32_e32 v9, v9, v24
	s_delay_alu instid0(VALU_DEP_2) | instskip(NEXT) | instid1(VALU_DEP_1)
	v_sub_f32_e32 v23, v26, v25
	v_dual_add_f32 v9, v10, v9 :: v_dual_sub_f32 v10, v12, v23
	s_delay_alu instid0(VALU_DEP_1) | instskip(NEXT) | instid1(VALU_DEP_1)
	v_add_f32_e32 v9, v9, v10
	v_add_f32_e32 v9, v26, v9
	s_delay_alu instid0(VALU_DEP_1) | instskip(NEXT) | instid1(VALU_DEP_1)
	v_cndmask_b32_e64 v9, v9, v11, s7
	v_add_f32_e32 v10, v4, v9
.LBB99_29:
	s_or_b32 exec_lo, exec_lo, s9
	ds_load_b32 v4, v5 offset:28
	v_max_f32_e32 v9, v10, v10
	v_cmp_u_f32_e64 s7, v10, v10
	s_waitcnt lgkmcnt(0)
	v_max_f32_e32 v11, v4, v4
	s_delay_alu instid0(VALU_DEP_1) | instskip(SKIP_1) | instid1(VALU_DEP_2)
	v_min_f32_e32 v12, v9, v11
	v_max_f32_e32 v9, v9, v11
	v_cndmask_b32_e64 v11, v12, v10, s7
	s_delay_alu instid0(VALU_DEP_2) | instskip(SKIP_1) | instid1(VALU_DEP_1)
	v_cndmask_b32_e64 v12, v9, v10, s7
	v_cmp_u_f32_e64 s7, v4, v4
	v_cndmask_b32_e64 v9, v11, v4, s7
	s_delay_alu instid0(VALU_DEP_3) | instskip(NEXT) | instid1(VALU_DEP_2)
	v_cndmask_b32_e64 v4, v12, v4, s7
	v_cmp_class_f32_e64 s9, v9, 0x1f8
	s_delay_alu instid0(VALU_DEP_2) | instskip(NEXT) | instid1(VALU_DEP_1)
	v_cmp_neq_f32_e64 s7, v9, v4
	s_or_b32 s7, s7, s9
	s_delay_alu instid0(SALU_CYCLE_1)
	s_and_saveexec_b32 s9, s7
	s_cbranch_execz .LBB99_31
; %bb.30:
	v_sub_f32_e32 v9, v9, v4
	s_delay_alu instid0(VALU_DEP_1) | instskip(NEXT) | instid1(VALU_DEP_1)
	v_mul_f32_e32 v10, 0x3fb8aa3b, v9
	v_fma_f32 v11, 0x3fb8aa3b, v9, -v10
	v_rndne_f32_e32 v12, v10
	s_delay_alu instid0(VALU_DEP_1) | instskip(NEXT) | instid1(VALU_DEP_1)
	v_dual_fmamk_f32 v11, v9, 0x32a5705f, v11 :: v_dual_sub_f32 v10, v10, v12
	v_add_f32_e32 v10, v10, v11
	v_cvt_i32_f32_e32 v11, v12
	v_cmp_ngt_f32_e64 s7, 0xc2ce8ed0, v9
	s_delay_alu instid0(VALU_DEP_3) | instskip(SKIP_2) | instid1(VALU_DEP_1)
	v_exp_f32_e32 v10, v10
	s_waitcnt_depctr 0xfff
	v_ldexp_f32 v10, v10, v11
	v_cndmask_b32_e64 v10, 0, v10, s7
	v_cmp_nlt_f32_e64 s7, 0x42b17218, v9
	s_delay_alu instid0(VALU_DEP_1) | instskip(NEXT) | instid1(VALU_DEP_1)
	v_cndmask_b32_e64 v11, 0x7f800000, v10, s7
	v_add_f32_e32 v12, 1.0, v11
	v_cmp_gt_f32_e64 s10, 0x33800000, |v11|
	s_delay_alu instid0(VALU_DEP_2) | instskip(NEXT) | instid1(VALU_DEP_1)
	v_cvt_f64_f32_e32 v[9:10], v12
	v_frexp_exp_i32_f64_e32 v9, v[9:10]
	v_frexp_mant_f32_e32 v10, v12
	s_delay_alu instid0(VALU_DEP_1) | instskip(SKIP_1) | instid1(VALU_DEP_1)
	v_cmp_gt_f32_e64 s7, 0x3f2aaaab, v10
	v_add_f32_e32 v10, -1.0, v12
	v_sub_f32_e32 v24, v10, v12
	s_delay_alu instid0(VALU_DEP_1) | instskip(NEXT) | instid1(VALU_DEP_4)
	v_add_f32_e32 v24, 1.0, v24
	v_subrev_co_ci_u32_e64 v9, s7, 0, v9, s7
	s_mov_b32 s7, 0x3e9b6dac
	s_delay_alu instid0(VALU_DEP_1) | instskip(SKIP_1) | instid1(VALU_DEP_2)
	v_sub_nc_u32_e32 v23, 0, v9
	v_cvt_f32_i32_e32 v9, v9
	v_ldexp_f32 v12, v12, v23
	s_delay_alu instid0(VALU_DEP_1) | instskip(NEXT) | instid1(VALU_DEP_1)
	v_dual_sub_f32 v10, v11, v10 :: v_dual_add_f32 v25, 1.0, v12
	v_add_f32_e32 v10, v10, v24
	s_delay_alu instid0(VALU_DEP_2) | instskip(NEXT) | instid1(VALU_DEP_2)
	v_add_f32_e32 v24, -1.0, v25
	v_ldexp_f32 v10, v10, v23
	v_add_f32_e32 v23, -1.0, v12
	s_delay_alu instid0(VALU_DEP_3) | instskip(NEXT) | instid1(VALU_DEP_2)
	v_sub_f32_e32 v24, v12, v24
	v_add_f32_e32 v26, 1.0, v23
	s_delay_alu instid0(VALU_DEP_2) | instskip(NEXT) | instid1(VALU_DEP_2)
	v_add_f32_e32 v24, v10, v24
	v_sub_f32_e32 v12, v12, v26
	s_delay_alu instid0(VALU_DEP_2) | instskip(NEXT) | instid1(VALU_DEP_2)
	v_add_f32_e32 v26, v25, v24
	v_add_f32_e32 v10, v10, v12
	s_delay_alu instid0(VALU_DEP_2) | instskip(SKIP_1) | instid1(VALU_DEP_1)
	v_rcp_f32_e32 v12, v26
	v_sub_f32_e32 v25, v25, v26
	v_dual_add_f32 v27, v23, v10 :: v_dual_add_f32 v24, v24, v25
	s_delay_alu instid0(VALU_DEP_1) | instskip(SKIP_3) | instid1(VALU_DEP_2)
	v_sub_f32_e32 v23, v23, v27
	s_waitcnt_depctr 0xfff
	v_mul_f32_e32 v28, v27, v12
	v_add_f32_e32 v10, v10, v23
	v_mul_f32_e32 v29, v26, v28
	s_delay_alu instid0(VALU_DEP_1) | instskip(NEXT) | instid1(VALU_DEP_1)
	v_fma_f32 v25, v28, v26, -v29
	v_fmac_f32_e32 v25, v28, v24
	s_delay_alu instid0(VALU_DEP_1) | instskip(NEXT) | instid1(VALU_DEP_1)
	v_add_f32_e32 v30, v29, v25
	v_sub_f32_e32 v31, v27, v30
	v_sub_f32_e32 v23, v30, v29
	s_delay_alu instid0(VALU_DEP_2) | instskip(NEXT) | instid1(VALU_DEP_2)
	v_sub_f32_e32 v27, v27, v31
	v_sub_f32_e32 v23, v23, v25
	s_delay_alu instid0(VALU_DEP_2) | instskip(NEXT) | instid1(VALU_DEP_1)
	v_sub_f32_e32 v27, v27, v30
	v_add_f32_e32 v10, v10, v27
	s_delay_alu instid0(VALU_DEP_1) | instskip(NEXT) | instid1(VALU_DEP_1)
	v_add_f32_e32 v10, v23, v10
	v_add_f32_e32 v23, v31, v10
	s_delay_alu instid0(VALU_DEP_1) | instskip(NEXT) | instid1(VALU_DEP_1)
	v_mul_f32_e32 v25, v12, v23
	v_dual_sub_f32 v30, v31, v23 :: v_dual_mul_f32 v27, v26, v25
	s_delay_alu instid0(VALU_DEP_1) | instskip(NEXT) | instid1(VALU_DEP_1)
	v_fma_f32 v26, v25, v26, -v27
	v_fmac_f32_e32 v26, v25, v24
	s_delay_alu instid0(VALU_DEP_1) | instskip(NEXT) | instid1(VALU_DEP_1)
	v_add_f32_e32 v24, v27, v26
	v_sub_f32_e32 v29, v23, v24
	v_dual_sub_f32 v27, v24, v27 :: v_dual_add_f32 v10, v10, v30
	s_delay_alu instid0(VALU_DEP_2) | instskip(NEXT) | instid1(VALU_DEP_1)
	v_sub_f32_e32 v23, v23, v29
	v_sub_f32_e32 v23, v23, v24
	s_delay_alu instid0(VALU_DEP_1) | instskip(NEXT) | instid1(VALU_DEP_4)
	v_dual_add_f32 v10, v10, v23 :: v_dual_add_f32 v23, v28, v25
	v_sub_f32_e32 v24, v27, v26
	s_delay_alu instid0(VALU_DEP_1) | instskip(NEXT) | instid1(VALU_DEP_3)
	v_add_f32_e32 v10, v24, v10
	v_sub_f32_e32 v24, v23, v28
	s_delay_alu instid0(VALU_DEP_2) | instskip(NEXT) | instid1(VALU_DEP_2)
	v_add_f32_e32 v10, v29, v10
	v_sub_f32_e32 v24, v25, v24
	s_delay_alu instid0(VALU_DEP_2) | instskip(NEXT) | instid1(VALU_DEP_1)
	v_mul_f32_e32 v10, v12, v10
	v_add_f32_e32 v10, v24, v10
	s_delay_alu instid0(VALU_DEP_1) | instskip(NEXT) | instid1(VALU_DEP_1)
	v_add_f32_e32 v12, v23, v10
	v_mul_f32_e32 v24, v12, v12
	s_delay_alu instid0(VALU_DEP_1) | instskip(SKIP_2) | instid1(VALU_DEP_3)
	v_fmaak_f32 v25, s7, v24, 0x3ecc95a3
	v_mul_f32_e32 v26, v12, v24
	v_cmp_eq_f32_e64 s7, 0x7f800000, v11
	v_fmaak_f32 v24, v24, v25, 0x3f2aaada
	v_ldexp_f32 v25, v12, 1
	v_sub_f32_e32 v12, v12, v23
	s_delay_alu instid0(VALU_DEP_4) | instskip(NEXT) | instid1(VALU_DEP_3)
	s_or_b32 s7, s7, s10
	v_mul_f32_e32 v24, v26, v24
	v_mul_f32_e32 v26, 0x3f317218, v9
	s_delay_alu instid0(VALU_DEP_3) | instskip(NEXT) | instid1(VALU_DEP_3)
	v_sub_f32_e32 v10, v10, v12
	v_add_f32_e32 v23, v25, v24
	s_delay_alu instid0(VALU_DEP_2) | instskip(NEXT) | instid1(VALU_DEP_2)
	v_ldexp_f32 v10, v10, 1
	v_sub_f32_e32 v12, v23, v25
	v_fma_f32 v25, 0x3f317218, v9, -v26
	s_delay_alu instid0(VALU_DEP_1) | instskip(NEXT) | instid1(VALU_DEP_1)
	v_dual_sub_f32 v12, v24, v12 :: v_dual_fmamk_f32 v9, v9, 0xb102e308, v25
	v_add_f32_e32 v10, v10, v12
	s_delay_alu instid0(VALU_DEP_2) | instskip(NEXT) | instid1(VALU_DEP_2)
	v_add_f32_e32 v12, v26, v9
	v_add_f32_e32 v24, v23, v10
	s_delay_alu instid0(VALU_DEP_2) | instskip(NEXT) | instid1(VALU_DEP_2)
	v_sub_f32_e32 v26, v12, v26
	v_add_f32_e32 v25, v12, v24
	v_sub_f32_e32 v23, v24, v23
	s_delay_alu instid0(VALU_DEP_3) | instskip(NEXT) | instid1(VALU_DEP_2)
	v_sub_f32_e32 v9, v9, v26
	v_dual_sub_f32 v27, v25, v12 :: v_dual_sub_f32 v10, v10, v23
	s_delay_alu instid0(VALU_DEP_1) | instskip(NEXT) | instid1(VALU_DEP_2)
	v_sub_f32_e32 v28, v25, v27
	v_dual_sub_f32 v23, v24, v27 :: v_dual_add_f32 v24, v9, v10
	s_delay_alu instid0(VALU_DEP_2) | instskip(NEXT) | instid1(VALU_DEP_1)
	v_sub_f32_e32 v12, v12, v28
	v_dual_add_f32 v12, v23, v12 :: v_dual_sub_f32 v23, v24, v9
	s_delay_alu instid0(VALU_DEP_1) | instskip(NEXT) | instid1(VALU_DEP_2)
	v_add_f32_e32 v12, v24, v12
	v_sub_f32_e32 v24, v24, v23
	v_sub_f32_e32 v10, v10, v23
	s_delay_alu instid0(VALU_DEP_3) | instskip(NEXT) | instid1(VALU_DEP_3)
	v_add_f32_e32 v26, v25, v12
	v_sub_f32_e32 v9, v9, v24
	s_delay_alu instid0(VALU_DEP_2) | instskip(NEXT) | instid1(VALU_DEP_1)
	v_sub_f32_e32 v23, v26, v25
	v_dual_add_f32 v9, v10, v9 :: v_dual_sub_f32 v10, v12, v23
	s_delay_alu instid0(VALU_DEP_1) | instskip(NEXT) | instid1(VALU_DEP_1)
	v_add_f32_e32 v9, v9, v10
	v_add_f32_e32 v9, v26, v9
	s_delay_alu instid0(VALU_DEP_1) | instskip(NEXT) | instid1(VALU_DEP_1)
	v_cndmask_b32_e64 v9, v9, v11, s7
	v_add_f32_e32 v10, v4, v9
.LBB99_31:
	s_or_b32 exec_lo, exec_lo, s9
	v_mbcnt_lo_u32_b32 v4, -1, 0
	s_delay_alu instid0(VALU_DEP_2) | instskip(SKIP_1) | instid1(VALU_DEP_2)
	v_mov_b32_dpp v11, v10 row_shr:1 row_mask:0xf bank_mask:0xf
	s_mov_b32 s9, exec_lo
	v_and_b32_e32 v9, 15, v4
	s_delay_alu instid0(VALU_DEP_1)
	v_cmpx_ne_u32_e32 0, v9
	s_xor_b32 s9, exec_lo, s9
	s_cbranch_execz .LBB99_35
; %bb.32:
	v_dual_max_f32 v12, v10, v10 :: v_dual_max_f32 v23, v11, v11
	v_cmp_u_f32_e64 s7, v11, v11
	s_delay_alu instid0(VALU_DEP_2) | instskip(SKIP_1) | instid1(VALU_DEP_2)
	v_min_f32_e32 v24, v23, v12
	v_max_f32_e32 v12, v23, v12
	v_cndmask_b32_e64 v23, v24, v11, s7
	s_delay_alu instid0(VALU_DEP_2) | instskip(SKIP_1) | instid1(VALU_DEP_1)
	v_cndmask_b32_e64 v24, v12, v11, s7
	v_cmp_u_f32_e64 s7, v10, v10
	v_cndmask_b32_e64 v12, v23, v10, s7
	s_delay_alu instid0(VALU_DEP_3) | instskip(NEXT) | instid1(VALU_DEP_2)
	v_cndmask_b32_e64 v10, v24, v10, s7
	v_cmp_class_f32_e64 s10, v12, 0x1f8
	s_delay_alu instid0(VALU_DEP_2) | instskip(NEXT) | instid1(VALU_DEP_1)
	v_cmp_neq_f32_e64 s7, v12, v10
	s_or_b32 s7, s7, s10
	s_delay_alu instid0(SALU_CYCLE_1)
	s_and_saveexec_b32 s10, s7
	s_cbranch_execz .LBB99_34
; %bb.33:
	v_sub_f32_e32 v11, v12, v10
	s_delay_alu instid0(VALU_DEP_1) | instskip(SKIP_1) | instid1(VALU_DEP_2)
	v_mul_f32_e32 v12, 0x3fb8aa3b, v11
	v_cmp_ngt_f32_e64 s7, 0xc2ce8ed0, v11
	v_fma_f32 v23, 0x3fb8aa3b, v11, -v12
	v_rndne_f32_e32 v24, v12
	s_delay_alu instid0(VALU_DEP_1) | instskip(NEXT) | instid1(VALU_DEP_1)
	v_dual_fmamk_f32 v23, v11, 0x32a5705f, v23 :: v_dual_sub_f32 v12, v12, v24
	v_add_f32_e32 v12, v12, v23
	v_cvt_i32_f32_e32 v23, v24
	s_delay_alu instid0(VALU_DEP_2) | instskip(SKIP_2) | instid1(VALU_DEP_1)
	v_exp_f32_e32 v12, v12
	s_waitcnt_depctr 0xfff
	v_ldexp_f32 v12, v12, v23
	v_cndmask_b32_e64 v12, 0, v12, s7
	v_cmp_nlt_f32_e64 s7, 0x42b17218, v11
	s_delay_alu instid0(VALU_DEP_1) | instskip(NEXT) | instid1(VALU_DEP_1)
	v_cndmask_b32_e64 v23, 0x7f800000, v12, s7
	v_add_f32_e32 v24, 1.0, v23
	v_cmp_gt_f32_e64 s11, 0x33800000, |v23|
	s_delay_alu instid0(VALU_DEP_2) | instskip(NEXT) | instid1(VALU_DEP_1)
	v_cvt_f64_f32_e32 v[11:12], v24
	v_frexp_exp_i32_f64_e32 v11, v[11:12]
	v_frexp_mant_f32_e32 v12, v24
	s_delay_alu instid0(VALU_DEP_1) | instskip(SKIP_1) | instid1(VALU_DEP_1)
	v_cmp_gt_f32_e64 s7, 0x3f2aaaab, v12
	v_add_f32_e32 v12, -1.0, v24
	v_sub_f32_e32 v26, v12, v24
	v_sub_f32_e32 v12, v23, v12
	s_delay_alu instid0(VALU_DEP_2) | instskip(SKIP_2) | instid1(VALU_DEP_1)
	v_add_f32_e32 v26, 1.0, v26
	v_subrev_co_ci_u32_e64 v11, s7, 0, v11, s7
	s_mov_b32 s7, 0x3e9b6dac
	v_sub_nc_u32_e32 v25, 0, v11
	v_cvt_f32_i32_e32 v11, v11
	s_delay_alu instid0(VALU_DEP_2) | instskip(NEXT) | instid1(VALU_DEP_1)
	v_ldexp_f32 v24, v24, v25
	v_dual_add_f32 v27, 1.0, v24 :: v_dual_add_f32 v12, v12, v26
	s_delay_alu instid0(VALU_DEP_1) | instskip(NEXT) | instid1(VALU_DEP_2)
	v_add_f32_e32 v26, -1.0, v27
	v_ldexp_f32 v12, v12, v25
	s_delay_alu instid0(VALU_DEP_2) | instskip(NEXT) | instid1(VALU_DEP_1)
	v_dual_add_f32 v25, -1.0, v24 :: v_dual_sub_f32 v26, v24, v26
	v_add_f32_e32 v28, 1.0, v25
	s_delay_alu instid0(VALU_DEP_2) | instskip(NEXT) | instid1(VALU_DEP_2)
	v_add_f32_e32 v26, v12, v26
	v_sub_f32_e32 v24, v24, v28
	s_delay_alu instid0(VALU_DEP_2) | instskip(NEXT) | instid1(VALU_DEP_2)
	v_add_f32_e32 v28, v27, v26
	v_add_f32_e32 v12, v12, v24
	s_delay_alu instid0(VALU_DEP_2) | instskip(SKIP_1) | instid1(VALU_DEP_1)
	v_rcp_f32_e32 v24, v28
	v_sub_f32_e32 v27, v27, v28
	v_dual_add_f32 v29, v25, v12 :: v_dual_add_f32 v26, v26, v27
	s_delay_alu instid0(VALU_DEP_1) | instskip(SKIP_3) | instid1(VALU_DEP_2)
	v_sub_f32_e32 v25, v25, v29
	s_waitcnt_depctr 0xfff
	v_mul_f32_e32 v30, v29, v24
	v_add_f32_e32 v12, v12, v25
	v_mul_f32_e32 v31, v28, v30
	s_delay_alu instid0(VALU_DEP_1) | instskip(NEXT) | instid1(VALU_DEP_1)
	v_fma_f32 v27, v30, v28, -v31
	v_fmac_f32_e32 v27, v30, v26
	s_delay_alu instid0(VALU_DEP_1) | instskip(NEXT) | instid1(VALU_DEP_1)
	v_add_f32_e32 v32, v31, v27
	v_sub_f32_e32 v33, v29, v32
	v_sub_f32_e32 v25, v32, v31
	s_delay_alu instid0(VALU_DEP_2) | instskip(NEXT) | instid1(VALU_DEP_2)
	v_sub_f32_e32 v29, v29, v33
	v_sub_f32_e32 v25, v25, v27
	s_delay_alu instid0(VALU_DEP_2) | instskip(NEXT) | instid1(VALU_DEP_1)
	v_sub_f32_e32 v29, v29, v32
	v_add_f32_e32 v12, v12, v29
	s_delay_alu instid0(VALU_DEP_1) | instskip(NEXT) | instid1(VALU_DEP_1)
	v_add_f32_e32 v12, v25, v12
	v_add_f32_e32 v25, v33, v12
	s_delay_alu instid0(VALU_DEP_1) | instskip(NEXT) | instid1(VALU_DEP_1)
	v_mul_f32_e32 v27, v24, v25
	v_dual_sub_f32 v32, v33, v25 :: v_dual_mul_f32 v29, v28, v27
	s_delay_alu instid0(VALU_DEP_1) | instskip(NEXT) | instid1(VALU_DEP_2)
	v_add_f32_e32 v12, v12, v32
	v_fma_f32 v28, v27, v28, -v29
	s_delay_alu instid0(VALU_DEP_1) | instskip(NEXT) | instid1(VALU_DEP_1)
	v_fmac_f32_e32 v28, v27, v26
	v_add_f32_e32 v26, v29, v28
	s_delay_alu instid0(VALU_DEP_1) | instskip(SKIP_1) | instid1(VALU_DEP_2)
	v_sub_f32_e32 v31, v25, v26
	v_sub_f32_e32 v29, v26, v29
	;; [unrolled: 1-line block ×3, first 2 shown]
	s_delay_alu instid0(VALU_DEP_1) | instskip(NEXT) | instid1(VALU_DEP_1)
	v_sub_f32_e32 v25, v25, v26
	v_dual_add_f32 v12, v12, v25 :: v_dual_add_f32 v25, v30, v27
	s_delay_alu instid0(VALU_DEP_4) | instskip(NEXT) | instid1(VALU_DEP_1)
	v_sub_f32_e32 v26, v29, v28
	v_add_f32_e32 v12, v26, v12
	s_delay_alu instid0(VALU_DEP_3) | instskip(NEXT) | instid1(VALU_DEP_2)
	v_sub_f32_e32 v26, v25, v30
	v_add_f32_e32 v12, v31, v12
	s_delay_alu instid0(VALU_DEP_2) | instskip(NEXT) | instid1(VALU_DEP_2)
	v_sub_f32_e32 v26, v27, v26
	v_mul_f32_e32 v12, v24, v12
	s_delay_alu instid0(VALU_DEP_1) | instskip(NEXT) | instid1(VALU_DEP_1)
	v_add_f32_e32 v12, v26, v12
	v_add_f32_e32 v24, v25, v12
	s_delay_alu instid0(VALU_DEP_1) | instskip(NEXT) | instid1(VALU_DEP_1)
	v_mul_f32_e32 v26, v24, v24
	v_fmaak_f32 v27, s7, v26, 0x3ecc95a3
	v_mul_f32_e32 v28, v24, v26
	v_cmp_eq_f32_e64 s7, 0x7f800000, v23
	s_delay_alu instid0(VALU_DEP_3) | instskip(SKIP_2) | instid1(VALU_DEP_4)
	v_fmaak_f32 v26, v26, v27, 0x3f2aaada
	v_ldexp_f32 v27, v24, 1
	v_sub_f32_e32 v24, v24, v25
	s_or_b32 s7, s7, s11
	s_delay_alu instid0(VALU_DEP_3) | instskip(SKIP_1) | instid1(VALU_DEP_2)
	v_mul_f32_e32 v26, v28, v26
	v_mul_f32_e32 v28, 0x3f317218, v11
	v_dual_sub_f32 v12, v12, v24 :: v_dual_add_f32 v25, v27, v26
	s_delay_alu instid0(VALU_DEP_1) | instskip(NEXT) | instid1(VALU_DEP_2)
	v_ldexp_f32 v12, v12, 1
	v_sub_f32_e32 v24, v25, v27
	s_delay_alu instid0(VALU_DEP_4) | instskip(NEXT) | instid1(VALU_DEP_1)
	v_fma_f32 v27, 0x3f317218, v11, -v28
	v_dual_sub_f32 v24, v26, v24 :: v_dual_fmamk_f32 v11, v11, 0xb102e308, v27
	s_delay_alu instid0(VALU_DEP_1) | instskip(NEXT) | instid1(VALU_DEP_2)
	v_add_f32_e32 v12, v12, v24
	v_add_f32_e32 v24, v28, v11
	s_delay_alu instid0(VALU_DEP_2) | instskip(NEXT) | instid1(VALU_DEP_2)
	v_add_f32_e32 v26, v25, v12
	v_sub_f32_e32 v28, v24, v28
	s_delay_alu instid0(VALU_DEP_2) | instskip(SKIP_1) | instid1(VALU_DEP_3)
	v_add_f32_e32 v27, v24, v26
	v_sub_f32_e32 v25, v26, v25
	v_sub_f32_e32 v11, v11, v28
	s_delay_alu instid0(VALU_DEP_2) | instskip(NEXT) | instid1(VALU_DEP_1)
	v_dual_sub_f32 v29, v27, v24 :: v_dual_sub_f32 v12, v12, v25
	v_sub_f32_e32 v30, v27, v29
	s_delay_alu instid0(VALU_DEP_2) | instskip(NEXT) | instid1(VALU_DEP_2)
	v_dual_sub_f32 v25, v26, v29 :: v_dual_add_f32 v26, v11, v12
	v_sub_f32_e32 v24, v24, v30
	s_delay_alu instid0(VALU_DEP_1) | instskip(NEXT) | instid1(VALU_DEP_1)
	v_dual_add_f32 v24, v25, v24 :: v_dual_sub_f32 v25, v26, v11
	v_add_f32_e32 v24, v26, v24
	s_delay_alu instid0(VALU_DEP_2) | instskip(SKIP_1) | instid1(VALU_DEP_3)
	v_sub_f32_e32 v26, v26, v25
	v_sub_f32_e32 v12, v12, v25
	v_add_f32_e32 v28, v27, v24
	s_delay_alu instid0(VALU_DEP_3) | instskip(NEXT) | instid1(VALU_DEP_2)
	v_sub_f32_e32 v11, v11, v26
	v_sub_f32_e32 v25, v28, v27
	s_delay_alu instid0(VALU_DEP_2) | instskip(NEXT) | instid1(VALU_DEP_2)
	v_add_f32_e32 v11, v12, v11
	v_sub_f32_e32 v12, v24, v25
	s_delay_alu instid0(VALU_DEP_1) | instskip(NEXT) | instid1(VALU_DEP_1)
	v_add_f32_e32 v11, v11, v12
	v_add_f32_e32 v11, v28, v11
	s_delay_alu instid0(VALU_DEP_1) | instskip(NEXT) | instid1(VALU_DEP_1)
	v_cndmask_b32_e64 v11, v11, v23, s7
	v_add_f32_e32 v11, v10, v11
.LBB99_34:
	s_or_b32 exec_lo, exec_lo, s10
	s_delay_alu instid0(VALU_DEP_1)
	v_mov_b32_e32 v10, v11
.LBB99_35:
	s_or_b32 exec_lo, exec_lo, s9
	s_delay_alu instid0(VALU_DEP_1)
	v_mov_b32_dpp v11, v10 row_shr:2 row_mask:0xf bank_mask:0xf
	s_mov_b32 s9, exec_lo
	v_cmpx_lt_u32_e32 1, v9
	s_cbranch_execz .LBB99_39
; %bb.36:
	s_delay_alu instid0(VALU_DEP_2) | instskip(SKIP_1) | instid1(VALU_DEP_2)
	v_dual_max_f32 v12, v10, v10 :: v_dual_max_f32 v23, v11, v11
	v_cmp_u_f32_e64 s7, v11, v11
	v_min_f32_e32 v24, v23, v12
	v_max_f32_e32 v12, v23, v12
	s_delay_alu instid0(VALU_DEP_2) | instskip(NEXT) | instid1(VALU_DEP_2)
	v_cndmask_b32_e64 v23, v24, v11, s7
	v_cndmask_b32_e64 v24, v12, v11, s7
	v_cmp_u_f32_e64 s7, v10, v10
	s_delay_alu instid0(VALU_DEP_1) | instskip(NEXT) | instid1(VALU_DEP_3)
	v_cndmask_b32_e64 v12, v23, v10, s7
	v_cndmask_b32_e64 v10, v24, v10, s7
	s_delay_alu instid0(VALU_DEP_2) | instskip(NEXT) | instid1(VALU_DEP_2)
	v_cmp_class_f32_e64 s10, v12, 0x1f8
	v_cmp_neq_f32_e64 s7, v12, v10
	s_delay_alu instid0(VALU_DEP_1) | instskip(NEXT) | instid1(SALU_CYCLE_1)
	s_or_b32 s7, s7, s10
	s_and_saveexec_b32 s10, s7
	s_cbranch_execz .LBB99_38
; %bb.37:
	v_sub_f32_e32 v11, v12, v10
	s_delay_alu instid0(VALU_DEP_1) | instskip(SKIP_1) | instid1(VALU_DEP_2)
	v_mul_f32_e32 v12, 0x3fb8aa3b, v11
	v_cmp_ngt_f32_e64 s7, 0xc2ce8ed0, v11
	v_fma_f32 v23, 0x3fb8aa3b, v11, -v12
	v_rndne_f32_e32 v24, v12
	s_delay_alu instid0(VALU_DEP_1) | instskip(NEXT) | instid1(VALU_DEP_1)
	v_dual_fmamk_f32 v23, v11, 0x32a5705f, v23 :: v_dual_sub_f32 v12, v12, v24
	v_add_f32_e32 v12, v12, v23
	v_cvt_i32_f32_e32 v23, v24
	s_delay_alu instid0(VALU_DEP_2) | instskip(SKIP_2) | instid1(VALU_DEP_1)
	v_exp_f32_e32 v12, v12
	s_waitcnt_depctr 0xfff
	v_ldexp_f32 v12, v12, v23
	v_cndmask_b32_e64 v12, 0, v12, s7
	v_cmp_nlt_f32_e64 s7, 0x42b17218, v11
	s_delay_alu instid0(VALU_DEP_1) | instskip(NEXT) | instid1(VALU_DEP_1)
	v_cndmask_b32_e64 v23, 0x7f800000, v12, s7
	v_add_f32_e32 v24, 1.0, v23
	v_cmp_gt_f32_e64 s11, 0x33800000, |v23|
	s_delay_alu instid0(VALU_DEP_2) | instskip(NEXT) | instid1(VALU_DEP_1)
	v_cvt_f64_f32_e32 v[11:12], v24
	v_frexp_exp_i32_f64_e32 v11, v[11:12]
	v_frexp_mant_f32_e32 v12, v24
	s_delay_alu instid0(VALU_DEP_1) | instskip(SKIP_1) | instid1(VALU_DEP_1)
	v_cmp_gt_f32_e64 s7, 0x3f2aaaab, v12
	v_add_f32_e32 v12, -1.0, v24
	v_sub_f32_e32 v26, v12, v24
	v_sub_f32_e32 v12, v23, v12
	s_delay_alu instid0(VALU_DEP_2) | instskip(SKIP_2) | instid1(VALU_DEP_1)
	v_add_f32_e32 v26, 1.0, v26
	v_subrev_co_ci_u32_e64 v11, s7, 0, v11, s7
	s_mov_b32 s7, 0x3e9b6dac
	v_sub_nc_u32_e32 v25, 0, v11
	v_cvt_f32_i32_e32 v11, v11
	s_delay_alu instid0(VALU_DEP_2) | instskip(NEXT) | instid1(VALU_DEP_1)
	v_ldexp_f32 v24, v24, v25
	v_dual_add_f32 v27, 1.0, v24 :: v_dual_add_f32 v12, v12, v26
	s_delay_alu instid0(VALU_DEP_1) | instskip(NEXT) | instid1(VALU_DEP_2)
	v_add_f32_e32 v26, -1.0, v27
	v_ldexp_f32 v12, v12, v25
	s_delay_alu instid0(VALU_DEP_2) | instskip(NEXT) | instid1(VALU_DEP_1)
	v_dual_add_f32 v25, -1.0, v24 :: v_dual_sub_f32 v26, v24, v26
	v_add_f32_e32 v28, 1.0, v25
	s_delay_alu instid0(VALU_DEP_2) | instskip(NEXT) | instid1(VALU_DEP_2)
	v_add_f32_e32 v26, v12, v26
	v_sub_f32_e32 v24, v24, v28
	s_delay_alu instid0(VALU_DEP_2) | instskip(NEXT) | instid1(VALU_DEP_2)
	v_add_f32_e32 v28, v27, v26
	v_add_f32_e32 v12, v12, v24
	s_delay_alu instid0(VALU_DEP_2) | instskip(SKIP_1) | instid1(VALU_DEP_1)
	v_rcp_f32_e32 v24, v28
	v_sub_f32_e32 v27, v27, v28
	v_dual_add_f32 v29, v25, v12 :: v_dual_add_f32 v26, v26, v27
	s_delay_alu instid0(VALU_DEP_1) | instskip(SKIP_3) | instid1(VALU_DEP_2)
	v_sub_f32_e32 v25, v25, v29
	s_waitcnt_depctr 0xfff
	v_mul_f32_e32 v30, v29, v24
	v_add_f32_e32 v12, v12, v25
	v_mul_f32_e32 v31, v28, v30
	s_delay_alu instid0(VALU_DEP_1) | instskip(NEXT) | instid1(VALU_DEP_1)
	v_fma_f32 v27, v30, v28, -v31
	v_fmac_f32_e32 v27, v30, v26
	s_delay_alu instid0(VALU_DEP_1) | instskip(NEXT) | instid1(VALU_DEP_1)
	v_add_f32_e32 v32, v31, v27
	v_sub_f32_e32 v33, v29, v32
	v_sub_f32_e32 v25, v32, v31
	s_delay_alu instid0(VALU_DEP_2) | instskip(NEXT) | instid1(VALU_DEP_2)
	v_sub_f32_e32 v29, v29, v33
	v_sub_f32_e32 v25, v25, v27
	s_delay_alu instid0(VALU_DEP_2) | instskip(NEXT) | instid1(VALU_DEP_1)
	v_sub_f32_e32 v29, v29, v32
	v_add_f32_e32 v12, v12, v29
	s_delay_alu instid0(VALU_DEP_1) | instskip(NEXT) | instid1(VALU_DEP_1)
	v_add_f32_e32 v12, v25, v12
	v_add_f32_e32 v25, v33, v12
	s_delay_alu instid0(VALU_DEP_1) | instskip(NEXT) | instid1(VALU_DEP_1)
	v_mul_f32_e32 v27, v24, v25
	v_dual_sub_f32 v32, v33, v25 :: v_dual_mul_f32 v29, v28, v27
	s_delay_alu instid0(VALU_DEP_1) | instskip(NEXT) | instid1(VALU_DEP_2)
	v_add_f32_e32 v12, v12, v32
	v_fma_f32 v28, v27, v28, -v29
	s_delay_alu instid0(VALU_DEP_1) | instskip(NEXT) | instid1(VALU_DEP_1)
	v_fmac_f32_e32 v28, v27, v26
	v_add_f32_e32 v26, v29, v28
	s_delay_alu instid0(VALU_DEP_1) | instskip(SKIP_1) | instid1(VALU_DEP_2)
	v_sub_f32_e32 v31, v25, v26
	v_sub_f32_e32 v29, v26, v29
	v_sub_f32_e32 v25, v25, v31
	s_delay_alu instid0(VALU_DEP_1) | instskip(NEXT) | instid1(VALU_DEP_1)
	v_sub_f32_e32 v25, v25, v26
	v_dual_add_f32 v12, v12, v25 :: v_dual_add_f32 v25, v30, v27
	s_delay_alu instid0(VALU_DEP_4) | instskip(NEXT) | instid1(VALU_DEP_1)
	v_sub_f32_e32 v26, v29, v28
	v_add_f32_e32 v12, v26, v12
	s_delay_alu instid0(VALU_DEP_3) | instskip(NEXT) | instid1(VALU_DEP_2)
	v_sub_f32_e32 v26, v25, v30
	v_add_f32_e32 v12, v31, v12
	s_delay_alu instid0(VALU_DEP_2) | instskip(NEXT) | instid1(VALU_DEP_2)
	v_sub_f32_e32 v26, v27, v26
	v_mul_f32_e32 v12, v24, v12
	s_delay_alu instid0(VALU_DEP_1) | instskip(NEXT) | instid1(VALU_DEP_1)
	v_add_f32_e32 v12, v26, v12
	v_add_f32_e32 v24, v25, v12
	s_delay_alu instid0(VALU_DEP_1) | instskip(NEXT) | instid1(VALU_DEP_1)
	v_mul_f32_e32 v26, v24, v24
	v_fmaak_f32 v27, s7, v26, 0x3ecc95a3
	v_mul_f32_e32 v28, v24, v26
	v_cmp_eq_f32_e64 s7, 0x7f800000, v23
	s_delay_alu instid0(VALU_DEP_3) | instskip(SKIP_2) | instid1(VALU_DEP_4)
	v_fmaak_f32 v26, v26, v27, 0x3f2aaada
	v_ldexp_f32 v27, v24, 1
	v_sub_f32_e32 v24, v24, v25
	s_or_b32 s7, s7, s11
	s_delay_alu instid0(VALU_DEP_3) | instskip(SKIP_1) | instid1(VALU_DEP_2)
	v_mul_f32_e32 v26, v28, v26
	v_mul_f32_e32 v28, 0x3f317218, v11
	v_dual_sub_f32 v12, v12, v24 :: v_dual_add_f32 v25, v27, v26
	s_delay_alu instid0(VALU_DEP_1) | instskip(NEXT) | instid1(VALU_DEP_2)
	v_ldexp_f32 v12, v12, 1
	v_sub_f32_e32 v24, v25, v27
	s_delay_alu instid0(VALU_DEP_4) | instskip(NEXT) | instid1(VALU_DEP_1)
	v_fma_f32 v27, 0x3f317218, v11, -v28
	v_dual_sub_f32 v24, v26, v24 :: v_dual_fmamk_f32 v11, v11, 0xb102e308, v27
	s_delay_alu instid0(VALU_DEP_1) | instskip(NEXT) | instid1(VALU_DEP_2)
	v_add_f32_e32 v12, v12, v24
	v_add_f32_e32 v24, v28, v11
	s_delay_alu instid0(VALU_DEP_2) | instskip(NEXT) | instid1(VALU_DEP_2)
	v_add_f32_e32 v26, v25, v12
	v_sub_f32_e32 v28, v24, v28
	s_delay_alu instid0(VALU_DEP_2) | instskip(SKIP_1) | instid1(VALU_DEP_3)
	v_add_f32_e32 v27, v24, v26
	v_sub_f32_e32 v25, v26, v25
	v_sub_f32_e32 v11, v11, v28
	s_delay_alu instid0(VALU_DEP_2) | instskip(NEXT) | instid1(VALU_DEP_1)
	v_dual_sub_f32 v29, v27, v24 :: v_dual_sub_f32 v12, v12, v25
	v_sub_f32_e32 v30, v27, v29
	s_delay_alu instid0(VALU_DEP_2) | instskip(NEXT) | instid1(VALU_DEP_2)
	v_dual_sub_f32 v25, v26, v29 :: v_dual_add_f32 v26, v11, v12
	v_sub_f32_e32 v24, v24, v30
	s_delay_alu instid0(VALU_DEP_1) | instskip(NEXT) | instid1(VALU_DEP_1)
	v_dual_add_f32 v24, v25, v24 :: v_dual_sub_f32 v25, v26, v11
	v_add_f32_e32 v24, v26, v24
	s_delay_alu instid0(VALU_DEP_2) | instskip(SKIP_1) | instid1(VALU_DEP_3)
	v_sub_f32_e32 v26, v26, v25
	v_sub_f32_e32 v12, v12, v25
	v_add_f32_e32 v28, v27, v24
	s_delay_alu instid0(VALU_DEP_3) | instskip(NEXT) | instid1(VALU_DEP_2)
	v_sub_f32_e32 v11, v11, v26
	v_sub_f32_e32 v25, v28, v27
	s_delay_alu instid0(VALU_DEP_2) | instskip(NEXT) | instid1(VALU_DEP_2)
	v_add_f32_e32 v11, v12, v11
	v_sub_f32_e32 v12, v24, v25
	s_delay_alu instid0(VALU_DEP_1) | instskip(NEXT) | instid1(VALU_DEP_1)
	v_add_f32_e32 v11, v11, v12
	v_add_f32_e32 v11, v28, v11
	s_delay_alu instid0(VALU_DEP_1) | instskip(NEXT) | instid1(VALU_DEP_1)
	v_cndmask_b32_e64 v11, v11, v23, s7
	v_add_f32_e32 v11, v10, v11
.LBB99_38:
	s_or_b32 exec_lo, exec_lo, s10
	s_delay_alu instid0(VALU_DEP_1)
	v_mov_b32_e32 v10, v11
.LBB99_39:
	s_or_b32 exec_lo, exec_lo, s9
	s_delay_alu instid0(VALU_DEP_1)
	v_mov_b32_dpp v11, v10 row_shr:4 row_mask:0xf bank_mask:0xf
	s_mov_b32 s9, exec_lo
	v_cmpx_lt_u32_e32 3, v9
	s_cbranch_execz .LBB99_43
; %bb.40:
	s_delay_alu instid0(VALU_DEP_2) | instskip(SKIP_1) | instid1(VALU_DEP_2)
	v_dual_max_f32 v12, v10, v10 :: v_dual_max_f32 v23, v11, v11
	v_cmp_u_f32_e64 s7, v11, v11
	v_min_f32_e32 v24, v23, v12
	v_max_f32_e32 v12, v23, v12
	s_delay_alu instid0(VALU_DEP_2) | instskip(NEXT) | instid1(VALU_DEP_2)
	v_cndmask_b32_e64 v23, v24, v11, s7
	v_cndmask_b32_e64 v24, v12, v11, s7
	v_cmp_u_f32_e64 s7, v10, v10
	s_delay_alu instid0(VALU_DEP_1) | instskip(NEXT) | instid1(VALU_DEP_3)
	v_cndmask_b32_e64 v12, v23, v10, s7
	v_cndmask_b32_e64 v10, v24, v10, s7
	s_delay_alu instid0(VALU_DEP_2) | instskip(NEXT) | instid1(VALU_DEP_2)
	v_cmp_class_f32_e64 s10, v12, 0x1f8
	v_cmp_neq_f32_e64 s7, v12, v10
	s_delay_alu instid0(VALU_DEP_1) | instskip(NEXT) | instid1(SALU_CYCLE_1)
	s_or_b32 s7, s7, s10
	s_and_saveexec_b32 s10, s7
	s_cbranch_execz .LBB99_42
; %bb.41:
	v_sub_f32_e32 v11, v12, v10
	s_delay_alu instid0(VALU_DEP_1) | instskip(SKIP_1) | instid1(VALU_DEP_2)
	v_mul_f32_e32 v12, 0x3fb8aa3b, v11
	v_cmp_ngt_f32_e64 s7, 0xc2ce8ed0, v11
	v_fma_f32 v23, 0x3fb8aa3b, v11, -v12
	v_rndne_f32_e32 v24, v12
	s_delay_alu instid0(VALU_DEP_1) | instskip(NEXT) | instid1(VALU_DEP_1)
	v_dual_fmamk_f32 v23, v11, 0x32a5705f, v23 :: v_dual_sub_f32 v12, v12, v24
	v_add_f32_e32 v12, v12, v23
	v_cvt_i32_f32_e32 v23, v24
	s_delay_alu instid0(VALU_DEP_2) | instskip(SKIP_2) | instid1(VALU_DEP_1)
	v_exp_f32_e32 v12, v12
	s_waitcnt_depctr 0xfff
	v_ldexp_f32 v12, v12, v23
	v_cndmask_b32_e64 v12, 0, v12, s7
	v_cmp_nlt_f32_e64 s7, 0x42b17218, v11
	s_delay_alu instid0(VALU_DEP_1) | instskip(NEXT) | instid1(VALU_DEP_1)
	v_cndmask_b32_e64 v23, 0x7f800000, v12, s7
	v_add_f32_e32 v24, 1.0, v23
	v_cmp_gt_f32_e64 s11, 0x33800000, |v23|
	s_delay_alu instid0(VALU_DEP_2) | instskip(NEXT) | instid1(VALU_DEP_1)
	v_cvt_f64_f32_e32 v[11:12], v24
	v_frexp_exp_i32_f64_e32 v11, v[11:12]
	v_frexp_mant_f32_e32 v12, v24
	s_delay_alu instid0(VALU_DEP_1) | instskip(SKIP_1) | instid1(VALU_DEP_1)
	v_cmp_gt_f32_e64 s7, 0x3f2aaaab, v12
	v_add_f32_e32 v12, -1.0, v24
	v_sub_f32_e32 v26, v12, v24
	v_sub_f32_e32 v12, v23, v12
	s_delay_alu instid0(VALU_DEP_2) | instskip(SKIP_2) | instid1(VALU_DEP_1)
	v_add_f32_e32 v26, 1.0, v26
	v_subrev_co_ci_u32_e64 v11, s7, 0, v11, s7
	s_mov_b32 s7, 0x3e9b6dac
	v_sub_nc_u32_e32 v25, 0, v11
	v_cvt_f32_i32_e32 v11, v11
	s_delay_alu instid0(VALU_DEP_2) | instskip(NEXT) | instid1(VALU_DEP_1)
	v_ldexp_f32 v24, v24, v25
	v_dual_add_f32 v27, 1.0, v24 :: v_dual_add_f32 v12, v12, v26
	s_delay_alu instid0(VALU_DEP_1) | instskip(NEXT) | instid1(VALU_DEP_2)
	v_add_f32_e32 v26, -1.0, v27
	v_ldexp_f32 v12, v12, v25
	s_delay_alu instid0(VALU_DEP_2) | instskip(NEXT) | instid1(VALU_DEP_1)
	v_dual_add_f32 v25, -1.0, v24 :: v_dual_sub_f32 v26, v24, v26
	v_add_f32_e32 v28, 1.0, v25
	s_delay_alu instid0(VALU_DEP_2) | instskip(NEXT) | instid1(VALU_DEP_2)
	v_add_f32_e32 v26, v12, v26
	v_sub_f32_e32 v24, v24, v28
	s_delay_alu instid0(VALU_DEP_2) | instskip(NEXT) | instid1(VALU_DEP_2)
	v_add_f32_e32 v28, v27, v26
	v_add_f32_e32 v12, v12, v24
	s_delay_alu instid0(VALU_DEP_2) | instskip(SKIP_1) | instid1(VALU_DEP_1)
	v_rcp_f32_e32 v24, v28
	v_sub_f32_e32 v27, v27, v28
	v_dual_add_f32 v29, v25, v12 :: v_dual_add_f32 v26, v26, v27
	s_delay_alu instid0(VALU_DEP_1) | instskip(SKIP_3) | instid1(VALU_DEP_2)
	v_sub_f32_e32 v25, v25, v29
	s_waitcnt_depctr 0xfff
	v_mul_f32_e32 v30, v29, v24
	v_add_f32_e32 v12, v12, v25
	v_mul_f32_e32 v31, v28, v30
	s_delay_alu instid0(VALU_DEP_1) | instskip(NEXT) | instid1(VALU_DEP_1)
	v_fma_f32 v27, v30, v28, -v31
	v_fmac_f32_e32 v27, v30, v26
	s_delay_alu instid0(VALU_DEP_1) | instskip(NEXT) | instid1(VALU_DEP_1)
	v_add_f32_e32 v32, v31, v27
	v_sub_f32_e32 v33, v29, v32
	v_sub_f32_e32 v25, v32, v31
	s_delay_alu instid0(VALU_DEP_2) | instskip(NEXT) | instid1(VALU_DEP_2)
	v_sub_f32_e32 v29, v29, v33
	v_sub_f32_e32 v25, v25, v27
	s_delay_alu instid0(VALU_DEP_2) | instskip(NEXT) | instid1(VALU_DEP_1)
	v_sub_f32_e32 v29, v29, v32
	v_add_f32_e32 v12, v12, v29
	s_delay_alu instid0(VALU_DEP_1) | instskip(NEXT) | instid1(VALU_DEP_1)
	v_add_f32_e32 v12, v25, v12
	v_add_f32_e32 v25, v33, v12
	s_delay_alu instid0(VALU_DEP_1) | instskip(NEXT) | instid1(VALU_DEP_1)
	v_mul_f32_e32 v27, v24, v25
	v_dual_sub_f32 v32, v33, v25 :: v_dual_mul_f32 v29, v28, v27
	s_delay_alu instid0(VALU_DEP_1) | instskip(NEXT) | instid1(VALU_DEP_2)
	v_add_f32_e32 v12, v12, v32
	v_fma_f32 v28, v27, v28, -v29
	s_delay_alu instid0(VALU_DEP_1) | instskip(NEXT) | instid1(VALU_DEP_1)
	v_fmac_f32_e32 v28, v27, v26
	v_add_f32_e32 v26, v29, v28
	s_delay_alu instid0(VALU_DEP_1) | instskip(SKIP_1) | instid1(VALU_DEP_2)
	v_sub_f32_e32 v31, v25, v26
	v_sub_f32_e32 v29, v26, v29
	;; [unrolled: 1-line block ×3, first 2 shown]
	s_delay_alu instid0(VALU_DEP_1) | instskip(NEXT) | instid1(VALU_DEP_1)
	v_sub_f32_e32 v25, v25, v26
	v_dual_add_f32 v12, v12, v25 :: v_dual_add_f32 v25, v30, v27
	s_delay_alu instid0(VALU_DEP_4) | instskip(NEXT) | instid1(VALU_DEP_1)
	v_sub_f32_e32 v26, v29, v28
	v_add_f32_e32 v12, v26, v12
	s_delay_alu instid0(VALU_DEP_3) | instskip(NEXT) | instid1(VALU_DEP_2)
	v_sub_f32_e32 v26, v25, v30
	v_add_f32_e32 v12, v31, v12
	s_delay_alu instid0(VALU_DEP_2) | instskip(NEXT) | instid1(VALU_DEP_2)
	v_sub_f32_e32 v26, v27, v26
	v_mul_f32_e32 v12, v24, v12
	s_delay_alu instid0(VALU_DEP_1) | instskip(NEXT) | instid1(VALU_DEP_1)
	v_add_f32_e32 v12, v26, v12
	v_add_f32_e32 v24, v25, v12
	s_delay_alu instid0(VALU_DEP_1) | instskip(NEXT) | instid1(VALU_DEP_1)
	v_mul_f32_e32 v26, v24, v24
	v_fmaak_f32 v27, s7, v26, 0x3ecc95a3
	v_mul_f32_e32 v28, v24, v26
	v_cmp_eq_f32_e64 s7, 0x7f800000, v23
	s_delay_alu instid0(VALU_DEP_3) | instskip(SKIP_2) | instid1(VALU_DEP_4)
	v_fmaak_f32 v26, v26, v27, 0x3f2aaada
	v_ldexp_f32 v27, v24, 1
	v_sub_f32_e32 v24, v24, v25
	s_or_b32 s7, s7, s11
	s_delay_alu instid0(VALU_DEP_3) | instskip(SKIP_1) | instid1(VALU_DEP_2)
	v_mul_f32_e32 v26, v28, v26
	v_mul_f32_e32 v28, 0x3f317218, v11
	v_dual_sub_f32 v12, v12, v24 :: v_dual_add_f32 v25, v27, v26
	s_delay_alu instid0(VALU_DEP_1) | instskip(NEXT) | instid1(VALU_DEP_2)
	v_ldexp_f32 v12, v12, 1
	v_sub_f32_e32 v24, v25, v27
	s_delay_alu instid0(VALU_DEP_4) | instskip(NEXT) | instid1(VALU_DEP_1)
	v_fma_f32 v27, 0x3f317218, v11, -v28
	v_dual_sub_f32 v24, v26, v24 :: v_dual_fmamk_f32 v11, v11, 0xb102e308, v27
	s_delay_alu instid0(VALU_DEP_1) | instskip(NEXT) | instid1(VALU_DEP_2)
	v_add_f32_e32 v12, v12, v24
	v_add_f32_e32 v24, v28, v11
	s_delay_alu instid0(VALU_DEP_2) | instskip(NEXT) | instid1(VALU_DEP_2)
	v_add_f32_e32 v26, v25, v12
	v_sub_f32_e32 v28, v24, v28
	s_delay_alu instid0(VALU_DEP_2) | instskip(SKIP_1) | instid1(VALU_DEP_3)
	v_add_f32_e32 v27, v24, v26
	v_sub_f32_e32 v25, v26, v25
	v_sub_f32_e32 v11, v11, v28
	s_delay_alu instid0(VALU_DEP_2) | instskip(NEXT) | instid1(VALU_DEP_1)
	v_dual_sub_f32 v29, v27, v24 :: v_dual_sub_f32 v12, v12, v25
	v_sub_f32_e32 v30, v27, v29
	s_delay_alu instid0(VALU_DEP_2) | instskip(NEXT) | instid1(VALU_DEP_2)
	v_dual_sub_f32 v25, v26, v29 :: v_dual_add_f32 v26, v11, v12
	v_sub_f32_e32 v24, v24, v30
	s_delay_alu instid0(VALU_DEP_1) | instskip(NEXT) | instid1(VALU_DEP_1)
	v_dual_add_f32 v24, v25, v24 :: v_dual_sub_f32 v25, v26, v11
	v_add_f32_e32 v24, v26, v24
	s_delay_alu instid0(VALU_DEP_2) | instskip(SKIP_1) | instid1(VALU_DEP_3)
	v_sub_f32_e32 v26, v26, v25
	v_sub_f32_e32 v12, v12, v25
	v_add_f32_e32 v28, v27, v24
	s_delay_alu instid0(VALU_DEP_3) | instskip(NEXT) | instid1(VALU_DEP_2)
	v_sub_f32_e32 v11, v11, v26
	v_sub_f32_e32 v25, v28, v27
	s_delay_alu instid0(VALU_DEP_2) | instskip(NEXT) | instid1(VALU_DEP_2)
	v_add_f32_e32 v11, v12, v11
	v_sub_f32_e32 v12, v24, v25
	s_delay_alu instid0(VALU_DEP_1) | instskip(NEXT) | instid1(VALU_DEP_1)
	v_add_f32_e32 v11, v11, v12
	v_add_f32_e32 v11, v28, v11
	s_delay_alu instid0(VALU_DEP_1) | instskip(NEXT) | instid1(VALU_DEP_1)
	v_cndmask_b32_e64 v11, v11, v23, s7
	v_add_f32_e32 v11, v10, v11
.LBB99_42:
	s_or_b32 exec_lo, exec_lo, s10
	s_delay_alu instid0(VALU_DEP_1)
	v_mov_b32_e32 v10, v11
.LBB99_43:
	s_or_b32 exec_lo, exec_lo, s9
	s_delay_alu instid0(VALU_DEP_1)
	v_mov_b32_dpp v11, v10 row_shr:8 row_mask:0xf bank_mask:0xf
	s_mov_b32 s9, exec_lo
	v_cmpx_lt_u32_e32 7, v9
	s_cbranch_execz .LBB99_47
; %bb.44:
	s_delay_alu instid0(VALU_DEP_2) | instskip(SKIP_1) | instid1(VALU_DEP_2)
	v_dual_max_f32 v9, v10, v10 :: v_dual_max_f32 v12, v11, v11
	v_cmp_u_f32_e64 s7, v11, v11
	v_min_f32_e32 v23, v12, v9
	v_max_f32_e32 v9, v12, v9
	s_delay_alu instid0(VALU_DEP_2) | instskip(NEXT) | instid1(VALU_DEP_2)
	v_cndmask_b32_e64 v12, v23, v11, s7
	v_cndmask_b32_e64 v9, v9, v11, s7
	v_cmp_u_f32_e64 s7, v10, v10
	s_delay_alu instid0(VALU_DEP_1) | instskip(NEXT) | instid1(VALU_DEP_3)
	v_cndmask_b32_e64 v12, v12, v10, s7
	v_cndmask_b32_e64 v9, v9, v10, s7
	s_delay_alu instid0(VALU_DEP_2) | instskip(NEXT) | instid1(VALU_DEP_2)
	v_cmp_class_f32_e64 s10, v12, 0x1f8
	v_cmp_neq_f32_e64 s7, v12, v9
	s_delay_alu instid0(VALU_DEP_1) | instskip(NEXT) | instid1(SALU_CYCLE_1)
	s_or_b32 s7, s7, s10
	s_and_saveexec_b32 s10, s7
	s_cbranch_execz .LBB99_46
; %bb.45:
	v_sub_f32_e32 v10, v12, v9
	s_delay_alu instid0(VALU_DEP_1) | instskip(NEXT) | instid1(VALU_DEP_1)
	v_mul_f32_e32 v11, 0x3fb8aa3b, v10
	v_fma_f32 v12, 0x3fb8aa3b, v10, -v11
	v_rndne_f32_e32 v23, v11
	s_delay_alu instid0(VALU_DEP_1) | instskip(SKIP_1) | instid1(VALU_DEP_2)
	v_dual_sub_f32 v11, v11, v23 :: v_dual_fmamk_f32 v12, v10, 0x32a5705f, v12
	v_cmp_ngt_f32_e64 s7, 0xc2ce8ed0, v10
	v_add_f32_e32 v11, v11, v12
	v_cvt_i32_f32_e32 v12, v23
	s_delay_alu instid0(VALU_DEP_2) | instskip(SKIP_2) | instid1(VALU_DEP_1)
	v_exp_f32_e32 v11, v11
	s_waitcnt_depctr 0xfff
	v_ldexp_f32 v11, v11, v12
	v_cndmask_b32_e64 v11, 0, v11, s7
	v_cmp_nlt_f32_e64 s7, 0x42b17218, v10
	s_delay_alu instid0(VALU_DEP_1) | instskip(NEXT) | instid1(VALU_DEP_1)
	v_cndmask_b32_e64 v12, 0x7f800000, v11, s7
	v_add_f32_e32 v23, 1.0, v12
	v_cmp_gt_f32_e64 s11, 0x33800000, |v12|
	s_delay_alu instid0(VALU_DEP_2) | instskip(NEXT) | instid1(VALU_DEP_1)
	v_cvt_f64_f32_e32 v[10:11], v23
	v_frexp_exp_i32_f64_e32 v10, v[10:11]
	v_frexp_mant_f32_e32 v11, v23
	s_delay_alu instid0(VALU_DEP_1) | instskip(SKIP_1) | instid1(VALU_DEP_1)
	v_cmp_gt_f32_e64 s7, 0x3f2aaaab, v11
	v_add_f32_e32 v11, -1.0, v23
	v_sub_f32_e32 v25, v11, v23
	v_sub_f32_e32 v11, v12, v11
	s_delay_alu instid0(VALU_DEP_4) | instskip(SKIP_1) | instid1(VALU_DEP_1)
	v_subrev_co_ci_u32_e64 v10, s7, 0, v10, s7
	s_mov_b32 s7, 0x3e9b6dac
	v_sub_nc_u32_e32 v24, 0, v10
	v_cvt_f32_i32_e32 v10, v10
	s_delay_alu instid0(VALU_DEP_2) | instskip(NEXT) | instid1(VALU_DEP_1)
	v_ldexp_f32 v23, v23, v24
	v_dual_add_f32 v26, 1.0, v23 :: v_dual_add_f32 v25, 1.0, v25
	s_delay_alu instid0(VALU_DEP_1) | instskip(NEXT) | instid1(VALU_DEP_2)
	v_add_f32_e32 v11, v11, v25
	v_add_f32_e32 v25, -1.0, v26
	s_delay_alu instid0(VALU_DEP_2) | instskip(NEXT) | instid1(VALU_DEP_2)
	v_ldexp_f32 v11, v11, v24
	v_dual_add_f32 v24, -1.0, v23 :: v_dual_sub_f32 v25, v23, v25
	s_delay_alu instid0(VALU_DEP_1) | instskip(NEXT) | instid1(VALU_DEP_2)
	v_add_f32_e32 v27, 1.0, v24
	v_add_f32_e32 v25, v11, v25
	s_delay_alu instid0(VALU_DEP_2) | instskip(NEXT) | instid1(VALU_DEP_2)
	v_sub_f32_e32 v23, v23, v27
	v_add_f32_e32 v27, v26, v25
	s_delay_alu instid0(VALU_DEP_2) | instskip(NEXT) | instid1(VALU_DEP_2)
	v_add_f32_e32 v11, v11, v23
	v_rcp_f32_e32 v23, v27
	v_sub_f32_e32 v26, v26, v27
	s_delay_alu instid0(VALU_DEP_1) | instskip(NEXT) | instid1(VALU_DEP_1)
	v_dual_add_f32 v28, v24, v11 :: v_dual_add_f32 v25, v25, v26
	v_sub_f32_e32 v24, v24, v28
	s_waitcnt_depctr 0xfff
	v_mul_f32_e32 v29, v28, v23
	v_add_f32_e32 v11, v11, v24
	s_delay_alu instid0(VALU_DEP_2) | instskip(NEXT) | instid1(VALU_DEP_1)
	v_mul_f32_e32 v30, v27, v29
	v_fma_f32 v26, v29, v27, -v30
	s_delay_alu instid0(VALU_DEP_1) | instskip(NEXT) | instid1(VALU_DEP_1)
	v_fmac_f32_e32 v26, v29, v25
	v_add_f32_e32 v31, v30, v26
	s_delay_alu instid0(VALU_DEP_1) | instskip(SKIP_1) | instid1(VALU_DEP_2)
	v_sub_f32_e32 v32, v28, v31
	v_sub_f32_e32 v24, v31, v30
	;; [unrolled: 1-line block ×3, first 2 shown]
	s_delay_alu instid0(VALU_DEP_2) | instskip(NEXT) | instid1(VALU_DEP_2)
	v_sub_f32_e32 v24, v24, v26
	v_sub_f32_e32 v28, v28, v31
	s_delay_alu instid0(VALU_DEP_1) | instskip(NEXT) | instid1(VALU_DEP_1)
	v_add_f32_e32 v11, v11, v28
	v_add_f32_e32 v11, v24, v11
	s_delay_alu instid0(VALU_DEP_1) | instskip(NEXT) | instid1(VALU_DEP_1)
	v_add_f32_e32 v24, v32, v11
	v_mul_f32_e32 v26, v23, v24
	s_delay_alu instid0(VALU_DEP_1) | instskip(NEXT) | instid1(VALU_DEP_1)
	v_dual_sub_f32 v31, v32, v24 :: v_dual_mul_f32 v28, v27, v26
	v_add_f32_e32 v11, v11, v31
	s_delay_alu instid0(VALU_DEP_2) | instskip(NEXT) | instid1(VALU_DEP_1)
	v_fma_f32 v27, v26, v27, -v28
	v_fmac_f32_e32 v27, v26, v25
	s_delay_alu instid0(VALU_DEP_1) | instskip(NEXT) | instid1(VALU_DEP_1)
	v_add_f32_e32 v25, v28, v27
	v_sub_f32_e32 v30, v24, v25
	v_sub_f32_e32 v28, v25, v28
	s_delay_alu instid0(VALU_DEP_2) | instskip(NEXT) | instid1(VALU_DEP_1)
	v_sub_f32_e32 v24, v24, v30
	v_sub_f32_e32 v24, v24, v25
	s_delay_alu instid0(VALU_DEP_3) | instskip(NEXT) | instid1(VALU_DEP_2)
	v_sub_f32_e32 v25, v28, v27
	v_dual_add_f32 v11, v11, v24 :: v_dual_add_f32 v24, v29, v26
	s_delay_alu instid0(VALU_DEP_1) | instskip(NEXT) | instid1(VALU_DEP_2)
	v_add_f32_e32 v11, v25, v11
	v_sub_f32_e32 v25, v24, v29
	s_delay_alu instid0(VALU_DEP_2) | instskip(NEXT) | instid1(VALU_DEP_2)
	v_add_f32_e32 v11, v30, v11
	v_sub_f32_e32 v25, v26, v25
	s_delay_alu instid0(VALU_DEP_2) | instskip(NEXT) | instid1(VALU_DEP_1)
	v_mul_f32_e32 v11, v23, v11
	v_add_f32_e32 v11, v25, v11
	s_delay_alu instid0(VALU_DEP_1) | instskip(NEXT) | instid1(VALU_DEP_1)
	v_add_f32_e32 v23, v24, v11
	v_mul_f32_e32 v25, v23, v23
	s_delay_alu instid0(VALU_DEP_1) | instskip(SKIP_2) | instid1(VALU_DEP_3)
	v_fmaak_f32 v26, s7, v25, 0x3ecc95a3
	v_mul_f32_e32 v27, v23, v25
	v_cmp_eq_f32_e64 s7, 0x7f800000, v12
	v_fmaak_f32 v25, v25, v26, 0x3f2aaada
	v_ldexp_f32 v26, v23, 1
	v_sub_f32_e32 v23, v23, v24
	s_delay_alu instid0(VALU_DEP_4) | instskip(NEXT) | instid1(VALU_DEP_3)
	s_or_b32 s7, s7, s11
	v_mul_f32_e32 v25, v27, v25
	v_mul_f32_e32 v27, 0x3f317218, v10
	s_delay_alu instid0(VALU_DEP_2) | instskip(NEXT) | instid1(VALU_DEP_1)
	v_dual_sub_f32 v11, v11, v23 :: v_dual_add_f32 v24, v26, v25
	v_ldexp_f32 v11, v11, 1
	s_delay_alu instid0(VALU_DEP_2) | instskip(NEXT) | instid1(VALU_DEP_4)
	v_sub_f32_e32 v23, v24, v26
	v_fma_f32 v26, 0x3f317218, v10, -v27
	s_delay_alu instid0(VALU_DEP_1) | instskip(NEXT) | instid1(VALU_DEP_1)
	v_dual_sub_f32 v23, v25, v23 :: v_dual_fmamk_f32 v10, v10, 0xb102e308, v26
	v_add_f32_e32 v11, v11, v23
	s_delay_alu instid0(VALU_DEP_2) | instskip(NEXT) | instid1(VALU_DEP_2)
	v_add_f32_e32 v23, v27, v10
	v_add_f32_e32 v25, v24, v11
	s_delay_alu instid0(VALU_DEP_2) | instskip(NEXT) | instid1(VALU_DEP_2)
	v_sub_f32_e32 v27, v23, v27
	v_add_f32_e32 v26, v23, v25
	v_sub_f32_e32 v24, v25, v24
	s_delay_alu instid0(VALU_DEP_3) | instskip(NEXT) | instid1(VALU_DEP_2)
	v_sub_f32_e32 v10, v10, v27
	v_dual_sub_f32 v28, v26, v23 :: v_dual_sub_f32 v11, v11, v24
	s_delay_alu instid0(VALU_DEP_1) | instskip(NEXT) | instid1(VALU_DEP_2)
	v_sub_f32_e32 v29, v26, v28
	v_dual_sub_f32 v24, v25, v28 :: v_dual_add_f32 v25, v10, v11
	s_delay_alu instid0(VALU_DEP_2) | instskip(NEXT) | instid1(VALU_DEP_1)
	v_sub_f32_e32 v23, v23, v29
	v_dual_add_f32 v23, v24, v23 :: v_dual_sub_f32 v24, v25, v10
	s_delay_alu instid0(VALU_DEP_1) | instskip(NEXT) | instid1(VALU_DEP_2)
	v_add_f32_e32 v23, v25, v23
	v_sub_f32_e32 v25, v25, v24
	v_sub_f32_e32 v11, v11, v24
	s_delay_alu instid0(VALU_DEP_3) | instskip(NEXT) | instid1(VALU_DEP_3)
	v_add_f32_e32 v27, v26, v23
	v_sub_f32_e32 v10, v10, v25
	s_delay_alu instid0(VALU_DEP_2) | instskip(NEXT) | instid1(VALU_DEP_2)
	v_sub_f32_e32 v24, v27, v26
	v_add_f32_e32 v10, v11, v10
	s_delay_alu instid0(VALU_DEP_2) | instskip(NEXT) | instid1(VALU_DEP_1)
	v_sub_f32_e32 v11, v23, v24
	v_add_f32_e32 v10, v10, v11
	s_delay_alu instid0(VALU_DEP_1) | instskip(NEXT) | instid1(VALU_DEP_1)
	v_add_f32_e32 v10, v27, v10
	v_cndmask_b32_e64 v10, v10, v12, s7
	s_delay_alu instid0(VALU_DEP_1)
	v_add_f32_e32 v11, v9, v10
.LBB99_46:
	s_or_b32 exec_lo, exec_lo, s10
	s_delay_alu instid0(VALU_DEP_1)
	v_mov_b32_e32 v10, v11
.LBB99_47:
	s_or_b32 exec_lo, exec_lo, s9
	ds_swizzle_b32 v11, v10 offset:swizzle(BROADCAST,32,15)
	v_and_b32_e32 v9, 16, v4
	s_mov_b32 s9, exec_lo
	s_delay_alu instid0(VALU_DEP_1)
	v_cmpx_ne_u32_e32 0, v9
	s_cbranch_execz .LBB99_51
; %bb.48:
	s_waitcnt lgkmcnt(0)
	v_dual_max_f32 v9, v10, v10 :: v_dual_max_f32 v12, v11, v11
	v_cmp_u_f32_e64 s7, v11, v11
	s_delay_alu instid0(VALU_DEP_2) | instskip(SKIP_1) | instid1(VALU_DEP_2)
	v_min_f32_e32 v23, v12, v9
	v_max_f32_e32 v9, v12, v9
	v_cndmask_b32_e64 v12, v23, v11, s7
	s_delay_alu instid0(VALU_DEP_2) | instskip(SKIP_1) | instid1(VALU_DEP_1)
	v_cndmask_b32_e64 v9, v9, v11, s7
	v_cmp_u_f32_e64 s7, v10, v10
	v_cndmask_b32_e64 v12, v12, v10, s7
	s_delay_alu instid0(VALU_DEP_3) | instskip(NEXT) | instid1(VALU_DEP_2)
	v_cndmask_b32_e64 v9, v9, v10, s7
	v_cmp_class_f32_e64 s10, v12, 0x1f8
	s_delay_alu instid0(VALU_DEP_2) | instskip(NEXT) | instid1(VALU_DEP_1)
	v_cmp_neq_f32_e64 s7, v12, v9
	s_or_b32 s7, s7, s10
	s_delay_alu instid0(SALU_CYCLE_1)
	s_and_saveexec_b32 s10, s7
	s_cbranch_execz .LBB99_50
; %bb.49:
	v_sub_f32_e32 v10, v12, v9
	s_delay_alu instid0(VALU_DEP_1) | instskip(NEXT) | instid1(VALU_DEP_1)
	v_mul_f32_e32 v11, 0x3fb8aa3b, v10
	v_fma_f32 v12, 0x3fb8aa3b, v10, -v11
	v_rndne_f32_e32 v23, v11
	s_delay_alu instid0(VALU_DEP_1) | instskip(SKIP_1) | instid1(VALU_DEP_2)
	v_dual_sub_f32 v11, v11, v23 :: v_dual_fmamk_f32 v12, v10, 0x32a5705f, v12
	v_cmp_ngt_f32_e64 s7, 0xc2ce8ed0, v10
	v_add_f32_e32 v11, v11, v12
	v_cvt_i32_f32_e32 v12, v23
	s_delay_alu instid0(VALU_DEP_2) | instskip(SKIP_2) | instid1(VALU_DEP_1)
	v_exp_f32_e32 v11, v11
	s_waitcnt_depctr 0xfff
	v_ldexp_f32 v11, v11, v12
	v_cndmask_b32_e64 v11, 0, v11, s7
	v_cmp_nlt_f32_e64 s7, 0x42b17218, v10
	s_delay_alu instid0(VALU_DEP_1) | instskip(NEXT) | instid1(VALU_DEP_1)
	v_cndmask_b32_e64 v12, 0x7f800000, v11, s7
	v_add_f32_e32 v23, 1.0, v12
	v_cmp_gt_f32_e64 s11, 0x33800000, |v12|
	s_delay_alu instid0(VALU_DEP_2) | instskip(NEXT) | instid1(VALU_DEP_1)
	v_cvt_f64_f32_e32 v[10:11], v23
	v_frexp_exp_i32_f64_e32 v10, v[10:11]
	v_frexp_mant_f32_e32 v11, v23
	s_delay_alu instid0(VALU_DEP_1) | instskip(SKIP_1) | instid1(VALU_DEP_1)
	v_cmp_gt_f32_e64 s7, 0x3f2aaaab, v11
	v_add_f32_e32 v11, -1.0, v23
	v_sub_f32_e32 v25, v11, v23
	v_sub_f32_e32 v11, v12, v11
	s_delay_alu instid0(VALU_DEP_4) | instskip(SKIP_1) | instid1(VALU_DEP_1)
	v_subrev_co_ci_u32_e64 v10, s7, 0, v10, s7
	s_mov_b32 s7, 0x3e9b6dac
	v_sub_nc_u32_e32 v24, 0, v10
	v_cvt_f32_i32_e32 v10, v10
	s_delay_alu instid0(VALU_DEP_2) | instskip(NEXT) | instid1(VALU_DEP_1)
	v_ldexp_f32 v23, v23, v24
	v_dual_add_f32 v26, 1.0, v23 :: v_dual_add_f32 v25, 1.0, v25
	s_delay_alu instid0(VALU_DEP_1) | instskip(NEXT) | instid1(VALU_DEP_2)
	v_add_f32_e32 v11, v11, v25
	v_add_f32_e32 v25, -1.0, v26
	s_delay_alu instid0(VALU_DEP_2) | instskip(NEXT) | instid1(VALU_DEP_2)
	v_ldexp_f32 v11, v11, v24
	v_dual_add_f32 v24, -1.0, v23 :: v_dual_sub_f32 v25, v23, v25
	s_delay_alu instid0(VALU_DEP_1) | instskip(NEXT) | instid1(VALU_DEP_2)
	v_add_f32_e32 v27, 1.0, v24
	v_add_f32_e32 v25, v11, v25
	s_delay_alu instid0(VALU_DEP_2) | instskip(NEXT) | instid1(VALU_DEP_2)
	v_sub_f32_e32 v23, v23, v27
	v_add_f32_e32 v27, v26, v25
	s_delay_alu instid0(VALU_DEP_2) | instskip(NEXT) | instid1(VALU_DEP_2)
	v_add_f32_e32 v11, v11, v23
	v_rcp_f32_e32 v23, v27
	v_sub_f32_e32 v26, v26, v27
	s_delay_alu instid0(VALU_DEP_1) | instskip(NEXT) | instid1(VALU_DEP_1)
	v_dual_add_f32 v28, v24, v11 :: v_dual_add_f32 v25, v25, v26
	v_sub_f32_e32 v24, v24, v28
	s_waitcnt_depctr 0xfff
	v_mul_f32_e32 v29, v28, v23
	v_add_f32_e32 v11, v11, v24
	s_delay_alu instid0(VALU_DEP_2) | instskip(NEXT) | instid1(VALU_DEP_1)
	v_mul_f32_e32 v30, v27, v29
	v_fma_f32 v26, v29, v27, -v30
	s_delay_alu instid0(VALU_DEP_1) | instskip(NEXT) | instid1(VALU_DEP_1)
	v_fmac_f32_e32 v26, v29, v25
	v_add_f32_e32 v31, v30, v26
	s_delay_alu instid0(VALU_DEP_1) | instskip(SKIP_1) | instid1(VALU_DEP_2)
	v_sub_f32_e32 v32, v28, v31
	v_sub_f32_e32 v24, v31, v30
	;; [unrolled: 1-line block ×3, first 2 shown]
	s_delay_alu instid0(VALU_DEP_2) | instskip(NEXT) | instid1(VALU_DEP_2)
	v_sub_f32_e32 v24, v24, v26
	v_sub_f32_e32 v28, v28, v31
	s_delay_alu instid0(VALU_DEP_1) | instskip(NEXT) | instid1(VALU_DEP_1)
	v_add_f32_e32 v11, v11, v28
	v_add_f32_e32 v11, v24, v11
	s_delay_alu instid0(VALU_DEP_1) | instskip(NEXT) | instid1(VALU_DEP_1)
	v_add_f32_e32 v24, v32, v11
	v_mul_f32_e32 v26, v23, v24
	s_delay_alu instid0(VALU_DEP_1) | instskip(NEXT) | instid1(VALU_DEP_1)
	v_dual_sub_f32 v31, v32, v24 :: v_dual_mul_f32 v28, v27, v26
	v_add_f32_e32 v11, v11, v31
	s_delay_alu instid0(VALU_DEP_2) | instskip(NEXT) | instid1(VALU_DEP_1)
	v_fma_f32 v27, v26, v27, -v28
	v_fmac_f32_e32 v27, v26, v25
	s_delay_alu instid0(VALU_DEP_1) | instskip(NEXT) | instid1(VALU_DEP_1)
	v_add_f32_e32 v25, v28, v27
	v_sub_f32_e32 v30, v24, v25
	v_sub_f32_e32 v28, v25, v28
	s_delay_alu instid0(VALU_DEP_2) | instskip(NEXT) | instid1(VALU_DEP_1)
	v_sub_f32_e32 v24, v24, v30
	v_sub_f32_e32 v24, v24, v25
	s_delay_alu instid0(VALU_DEP_3) | instskip(NEXT) | instid1(VALU_DEP_2)
	v_sub_f32_e32 v25, v28, v27
	v_dual_add_f32 v11, v11, v24 :: v_dual_add_f32 v24, v29, v26
	s_delay_alu instid0(VALU_DEP_1) | instskip(NEXT) | instid1(VALU_DEP_2)
	v_add_f32_e32 v11, v25, v11
	v_sub_f32_e32 v25, v24, v29
	s_delay_alu instid0(VALU_DEP_2) | instskip(NEXT) | instid1(VALU_DEP_2)
	v_add_f32_e32 v11, v30, v11
	v_sub_f32_e32 v25, v26, v25
	s_delay_alu instid0(VALU_DEP_2) | instskip(NEXT) | instid1(VALU_DEP_1)
	v_mul_f32_e32 v11, v23, v11
	v_add_f32_e32 v11, v25, v11
	s_delay_alu instid0(VALU_DEP_1) | instskip(NEXT) | instid1(VALU_DEP_1)
	v_add_f32_e32 v23, v24, v11
	v_mul_f32_e32 v25, v23, v23
	s_delay_alu instid0(VALU_DEP_1) | instskip(SKIP_2) | instid1(VALU_DEP_3)
	v_fmaak_f32 v26, s7, v25, 0x3ecc95a3
	v_mul_f32_e32 v27, v23, v25
	v_cmp_eq_f32_e64 s7, 0x7f800000, v12
	v_fmaak_f32 v25, v25, v26, 0x3f2aaada
	v_ldexp_f32 v26, v23, 1
	v_sub_f32_e32 v23, v23, v24
	s_delay_alu instid0(VALU_DEP_4) | instskip(NEXT) | instid1(VALU_DEP_3)
	s_or_b32 s7, s7, s11
	v_mul_f32_e32 v25, v27, v25
	v_mul_f32_e32 v27, 0x3f317218, v10
	s_delay_alu instid0(VALU_DEP_2) | instskip(NEXT) | instid1(VALU_DEP_1)
	v_dual_sub_f32 v11, v11, v23 :: v_dual_add_f32 v24, v26, v25
	v_ldexp_f32 v11, v11, 1
	s_delay_alu instid0(VALU_DEP_2) | instskip(NEXT) | instid1(VALU_DEP_4)
	v_sub_f32_e32 v23, v24, v26
	v_fma_f32 v26, 0x3f317218, v10, -v27
	s_delay_alu instid0(VALU_DEP_1) | instskip(NEXT) | instid1(VALU_DEP_1)
	v_dual_sub_f32 v23, v25, v23 :: v_dual_fmamk_f32 v10, v10, 0xb102e308, v26
	v_add_f32_e32 v11, v11, v23
	s_delay_alu instid0(VALU_DEP_2) | instskip(NEXT) | instid1(VALU_DEP_2)
	v_add_f32_e32 v23, v27, v10
	v_add_f32_e32 v25, v24, v11
	s_delay_alu instid0(VALU_DEP_2) | instskip(NEXT) | instid1(VALU_DEP_2)
	v_sub_f32_e32 v27, v23, v27
	v_add_f32_e32 v26, v23, v25
	v_sub_f32_e32 v24, v25, v24
	s_delay_alu instid0(VALU_DEP_3) | instskip(NEXT) | instid1(VALU_DEP_2)
	v_sub_f32_e32 v10, v10, v27
	v_dual_sub_f32 v28, v26, v23 :: v_dual_sub_f32 v11, v11, v24
	s_delay_alu instid0(VALU_DEP_1) | instskip(NEXT) | instid1(VALU_DEP_2)
	v_sub_f32_e32 v29, v26, v28
	v_dual_sub_f32 v24, v25, v28 :: v_dual_add_f32 v25, v10, v11
	s_delay_alu instid0(VALU_DEP_2) | instskip(NEXT) | instid1(VALU_DEP_1)
	v_sub_f32_e32 v23, v23, v29
	v_dual_add_f32 v23, v24, v23 :: v_dual_sub_f32 v24, v25, v10
	s_delay_alu instid0(VALU_DEP_1) | instskip(NEXT) | instid1(VALU_DEP_2)
	v_add_f32_e32 v23, v25, v23
	v_sub_f32_e32 v25, v25, v24
	v_sub_f32_e32 v11, v11, v24
	s_delay_alu instid0(VALU_DEP_3) | instskip(NEXT) | instid1(VALU_DEP_3)
	v_add_f32_e32 v27, v26, v23
	v_sub_f32_e32 v10, v10, v25
	s_delay_alu instid0(VALU_DEP_2) | instskip(NEXT) | instid1(VALU_DEP_2)
	v_sub_f32_e32 v24, v27, v26
	v_add_f32_e32 v10, v11, v10
	s_delay_alu instid0(VALU_DEP_2) | instskip(NEXT) | instid1(VALU_DEP_1)
	v_sub_f32_e32 v11, v23, v24
	v_add_f32_e32 v10, v10, v11
	s_delay_alu instid0(VALU_DEP_1) | instskip(NEXT) | instid1(VALU_DEP_1)
	v_add_f32_e32 v10, v27, v10
	v_cndmask_b32_e64 v10, v10, v12, s7
	s_delay_alu instid0(VALU_DEP_1)
	v_add_f32_e32 v11, v9, v10
.LBB99_50:
	s_or_b32 exec_lo, exec_lo, s10
	s_delay_alu instid0(VALU_DEP_1)
	v_mov_b32_e32 v10, v11
.LBB99_51:
	s_or_b32 exec_lo, exec_lo, s9
	v_add_nc_u32_e32 v9, -1, v4
	s_delay_alu instid0(VALU_DEP_1) | instskip(NEXT) | instid1(VALU_DEP_1)
	v_cmp_gt_i32_e64 s7, 0, v9
	v_cndmask_b32_e64 v4, v9, v4, s7
	s_delay_alu instid0(VALU_DEP_1) | instskip(SKIP_4) | instid1(VALU_DEP_2)
	v_lshlrev_b32_e32 v4, 2, v4
	ds_bpermute_b32 v4, v4, v10
	s_waitcnt lgkmcnt(0)
	v_max_f32_e32 v9, v4, v4
	v_cmp_u_f32_e64 s7, v4, v4
	v_min_f32_e32 v10, v9, v6
	v_max_f32_e32 v6, v9, v6
	s_delay_alu instid0(VALU_DEP_2) | instskip(NEXT) | instid1(VALU_DEP_2)
	v_cndmask_b32_e64 v9, v10, v4, s7
	v_cndmask_b32_e64 v10, v6, v4, s7
	s_delay_alu instid0(VALU_DEP_2) | instskip(NEXT) | instid1(VALU_DEP_2)
	v_cndmask_b32_e64 v6, v9, v3, s6
	v_cndmask_b32_e64 v3, v10, v3, s6
	s_delay_alu instid0(VALU_DEP_2) | instskip(NEXT) | instid1(VALU_DEP_2)
	v_cmp_class_f32_e64 s7, v6, 0x1f8
	v_cmp_neq_f32_e64 s6, v6, v3
	s_delay_alu instid0(VALU_DEP_1) | instskip(NEXT) | instid1(SALU_CYCLE_1)
	s_or_b32 s6, s6, s7
	s_and_saveexec_b32 s7, s6
	s_cbranch_execz .LBB99_53
; %bb.52:
	v_sub_f32_e32 v4, v6, v3
	s_delay_alu instid0(VALU_DEP_1) | instskip(SKIP_1) | instid1(VALU_DEP_2)
	v_mul_f32_e32 v6, 0x3fb8aa3b, v4
	v_cmp_ngt_f32_e64 s6, 0xc2ce8ed0, v4
	v_fma_f32 v9, 0x3fb8aa3b, v4, -v6
	v_rndne_f32_e32 v10, v6
	s_delay_alu instid0(VALU_DEP_1) | instskip(NEXT) | instid1(VALU_DEP_1)
	v_dual_fmamk_f32 v9, v4, 0x32a5705f, v9 :: v_dual_sub_f32 v6, v6, v10
	v_add_f32_e32 v6, v6, v9
	v_cvt_i32_f32_e32 v9, v10
	s_delay_alu instid0(VALU_DEP_2) | instskip(SKIP_2) | instid1(VALU_DEP_1)
	v_exp_f32_e32 v6, v6
	s_waitcnt_depctr 0xfff
	v_ldexp_f32 v6, v6, v9
	v_cndmask_b32_e64 v6, 0, v6, s6
	v_cmp_nlt_f32_e64 s6, 0x42b17218, v4
	s_delay_alu instid0(VALU_DEP_1) | instskip(NEXT) | instid1(VALU_DEP_1)
	v_cndmask_b32_e64 v4, 0x7f800000, v6, s6
	v_add_f32_e32 v6, 1.0, v4
	v_cmp_gt_f32_e64 s9, 0x33800000, |v4|
	s_delay_alu instid0(VALU_DEP_2) | instskip(NEXT) | instid1(VALU_DEP_1)
	v_cvt_f64_f32_e32 v[9:10], v6
	v_frexp_exp_i32_f64_e32 v9, v[9:10]
	v_frexp_mant_f32_e32 v10, v6
	s_delay_alu instid0(VALU_DEP_1) | instskip(SKIP_1) | instid1(VALU_DEP_1)
	v_cmp_gt_f32_e64 s6, 0x3f2aaaab, v10
	v_add_f32_e32 v10, -1.0, v6
	v_sub_f32_e32 v12, v10, v6
	v_sub_f32_e32 v10, v4, v10
	s_delay_alu instid0(VALU_DEP_4) | instskip(SKIP_1) | instid1(VALU_DEP_1)
	v_subrev_co_ci_u32_e64 v9, s6, 0, v9, s6
	s_mov_b32 s6, 0x3e9b6dac
	v_sub_nc_u32_e32 v11, 0, v9
	v_cvt_f32_i32_e32 v9, v9
	s_delay_alu instid0(VALU_DEP_2) | instskip(NEXT) | instid1(VALU_DEP_1)
	v_ldexp_f32 v6, v6, v11
	v_dual_add_f32 v12, 1.0, v12 :: v_dual_add_f32 v23, 1.0, v6
	s_delay_alu instid0(VALU_DEP_1) | instskip(NEXT) | instid1(VALU_DEP_2)
	v_add_f32_e32 v10, v10, v12
	v_add_f32_e32 v12, -1.0, v23
	s_delay_alu instid0(VALU_DEP_2) | instskip(NEXT) | instid1(VALU_DEP_2)
	v_ldexp_f32 v10, v10, v11
	v_dual_add_f32 v11, -1.0, v6 :: v_dual_sub_f32 v12, v6, v12
	s_delay_alu instid0(VALU_DEP_1) | instskip(NEXT) | instid1(VALU_DEP_2)
	v_add_f32_e32 v24, 1.0, v11
	v_add_f32_e32 v12, v10, v12
	s_delay_alu instid0(VALU_DEP_2) | instskip(NEXT) | instid1(VALU_DEP_2)
	v_sub_f32_e32 v6, v6, v24
	v_add_f32_e32 v24, v23, v12
	s_delay_alu instid0(VALU_DEP_2) | instskip(NEXT) | instid1(VALU_DEP_2)
	v_add_f32_e32 v6, v10, v6
	v_rcp_f32_e32 v10, v24
	v_sub_f32_e32 v23, v23, v24
	s_delay_alu instid0(VALU_DEP_1) | instskip(SKIP_2) | instid1(VALU_DEP_1)
	v_dual_add_f32 v25, v11, v6 :: v_dual_add_f32 v12, v12, v23
	s_waitcnt_depctr 0xfff
	v_dual_sub_f32 v11, v11, v25 :: v_dual_mul_f32 v26, v25, v10
	v_dual_add_f32 v6, v6, v11 :: v_dual_mul_f32 v27, v24, v26
	s_delay_alu instid0(VALU_DEP_1) | instskip(NEXT) | instid1(VALU_DEP_1)
	v_fma_f32 v23, v26, v24, -v27
	v_fmac_f32_e32 v23, v26, v12
	s_delay_alu instid0(VALU_DEP_1) | instskip(NEXT) | instid1(VALU_DEP_1)
	v_add_f32_e32 v28, v27, v23
	v_sub_f32_e32 v29, v25, v28
	v_sub_f32_e32 v11, v28, v27
	s_delay_alu instid0(VALU_DEP_2) | instskip(NEXT) | instid1(VALU_DEP_2)
	v_sub_f32_e32 v25, v25, v29
	v_sub_f32_e32 v11, v11, v23
	s_delay_alu instid0(VALU_DEP_2) | instskip(NEXT) | instid1(VALU_DEP_1)
	v_sub_f32_e32 v25, v25, v28
	v_add_f32_e32 v6, v6, v25
	s_delay_alu instid0(VALU_DEP_1) | instskip(NEXT) | instid1(VALU_DEP_1)
	v_add_f32_e32 v6, v11, v6
	v_add_f32_e32 v11, v29, v6
	s_delay_alu instid0(VALU_DEP_1) | instskip(SKIP_1) | instid1(VALU_DEP_1)
	v_mul_f32_e32 v23, v10, v11
	v_sub_f32_e32 v28, v29, v11
	v_dual_mul_f32 v25, v24, v23 :: v_dual_add_f32 v6, v6, v28
	s_delay_alu instid0(VALU_DEP_1) | instskip(NEXT) | instid1(VALU_DEP_1)
	v_fma_f32 v24, v23, v24, -v25
	v_fmac_f32_e32 v24, v23, v12
	s_delay_alu instid0(VALU_DEP_1) | instskip(NEXT) | instid1(VALU_DEP_1)
	v_add_f32_e32 v12, v25, v24
	v_sub_f32_e32 v27, v11, v12
	v_sub_f32_e32 v25, v12, v25
	s_delay_alu instid0(VALU_DEP_2) | instskip(NEXT) | instid1(VALU_DEP_1)
	v_sub_f32_e32 v11, v11, v27
	v_sub_f32_e32 v11, v11, v12
	s_delay_alu instid0(VALU_DEP_3) | instskip(NEXT) | instid1(VALU_DEP_2)
	v_sub_f32_e32 v12, v25, v24
	v_add_f32_e32 v6, v6, v11
	s_delay_alu instid0(VALU_DEP_1) | instskip(NEXT) | instid1(VALU_DEP_1)
	v_dual_add_f32 v11, v26, v23 :: v_dual_add_f32 v6, v12, v6
	v_sub_f32_e32 v12, v11, v26
	s_delay_alu instid0(VALU_DEP_2) | instskip(NEXT) | instid1(VALU_DEP_2)
	v_add_f32_e32 v6, v27, v6
	v_sub_f32_e32 v12, v23, v12
	s_delay_alu instid0(VALU_DEP_2) | instskip(NEXT) | instid1(VALU_DEP_1)
	v_mul_f32_e32 v6, v10, v6
	v_add_f32_e32 v6, v12, v6
	s_delay_alu instid0(VALU_DEP_1) | instskip(NEXT) | instid1(VALU_DEP_1)
	v_add_f32_e32 v10, v11, v6
	v_mul_f32_e32 v12, v10, v10
	s_delay_alu instid0(VALU_DEP_1) | instskip(SKIP_2) | instid1(VALU_DEP_3)
	v_fmaak_f32 v23, s6, v12, 0x3ecc95a3
	v_mul_f32_e32 v24, v10, v12
	v_cmp_eq_f32_e64 s6, 0x7f800000, v4
	v_fmaak_f32 v12, v12, v23, 0x3f2aaada
	v_ldexp_f32 v23, v10, 1
	v_sub_f32_e32 v10, v10, v11
	s_delay_alu instid0(VALU_DEP_4) | instskip(NEXT) | instid1(VALU_DEP_3)
	s_or_b32 s6, s6, s9
	v_mul_f32_e32 v12, v24, v12
	v_mul_f32_e32 v24, 0x3f317218, v9
	s_delay_alu instid0(VALU_DEP_2) | instskip(NEXT) | instid1(VALU_DEP_1)
	v_dual_sub_f32 v6, v6, v10 :: v_dual_add_f32 v11, v23, v12
	v_ldexp_f32 v6, v6, 1
	s_delay_alu instid0(VALU_DEP_2) | instskip(NEXT) | instid1(VALU_DEP_4)
	v_sub_f32_e32 v10, v11, v23
	v_fma_f32 v23, 0x3f317218, v9, -v24
	s_delay_alu instid0(VALU_DEP_1) | instskip(NEXT) | instid1(VALU_DEP_1)
	v_dual_sub_f32 v10, v12, v10 :: v_dual_fmamk_f32 v9, v9, 0xb102e308, v23
	v_add_f32_e32 v6, v6, v10
	s_delay_alu instid0(VALU_DEP_2) | instskip(NEXT) | instid1(VALU_DEP_2)
	v_add_f32_e32 v10, v24, v9
	v_add_f32_e32 v12, v11, v6
	s_delay_alu instid0(VALU_DEP_2) | instskip(NEXT) | instid1(VALU_DEP_2)
	v_sub_f32_e32 v24, v10, v24
	v_add_f32_e32 v23, v10, v12
	v_sub_f32_e32 v11, v12, v11
	s_delay_alu instid0(VALU_DEP_3) | instskip(NEXT) | instid1(VALU_DEP_2)
	v_sub_f32_e32 v9, v9, v24
	v_dual_sub_f32 v25, v23, v10 :: v_dual_sub_f32 v6, v6, v11
	s_delay_alu instid0(VALU_DEP_1) | instskip(NEXT) | instid1(VALU_DEP_2)
	v_sub_f32_e32 v26, v23, v25
	v_dual_sub_f32 v11, v12, v25 :: v_dual_add_f32 v12, v9, v6
	s_delay_alu instid0(VALU_DEP_2) | instskip(NEXT) | instid1(VALU_DEP_1)
	v_sub_f32_e32 v10, v10, v26
	v_dual_add_f32 v10, v11, v10 :: v_dual_sub_f32 v11, v12, v9
	s_delay_alu instid0(VALU_DEP_1) | instskip(NEXT) | instid1(VALU_DEP_2)
	v_add_f32_e32 v10, v12, v10
	v_sub_f32_e32 v12, v12, v11
	v_sub_f32_e32 v6, v6, v11
	s_delay_alu instid0(VALU_DEP_2) | instskip(NEXT) | instid1(VALU_DEP_1)
	v_dual_add_f32 v24, v23, v10 :: v_dual_sub_f32 v9, v9, v12
	v_dual_sub_f32 v11, v24, v23 :: v_dual_add_f32 v6, v6, v9
	s_delay_alu instid0(VALU_DEP_1) | instskip(NEXT) | instid1(VALU_DEP_1)
	v_sub_f32_e32 v9, v10, v11
	v_add_f32_e32 v6, v6, v9
	s_delay_alu instid0(VALU_DEP_1) | instskip(NEXT) | instid1(VALU_DEP_1)
	v_add_f32_e32 v6, v24, v6
	v_cndmask_b32_e64 v4, v6, v4, s6
	s_delay_alu instid0(VALU_DEP_1)
	v_add_f32_e32 v4, v3, v4
.LBB99_53:
	s_or_b32 exec_lo, exec_lo, s7
	v_cmp_eq_u32_e64 s6, 0, v0
	; wave barrier
	s_delay_alu instid0(VALU_DEP_1)
	v_cndmask_b32_e64 v3, v4, v22, s6
	ds_store_b32 v5, v3
	; wave barrier
	ds_load_b32 v4, v5 offset:4
	v_max_f32_e32 v6, v3, v3
	v_cmp_u_f32_e64 s6, v3, v3
	s_waitcnt lgkmcnt(0)
	v_max_f32_e32 v9, v4, v4
	s_delay_alu instid0(VALU_DEP_1) | instskip(SKIP_1) | instid1(VALU_DEP_2)
	v_min_f32_e32 v10, v6, v9
	v_max_f32_e32 v6, v6, v9
	v_cndmask_b32_e64 v9, v10, v3, s6
	s_delay_alu instid0(VALU_DEP_2) | instskip(SKIP_1) | instid1(VALU_DEP_1)
	v_cndmask_b32_e64 v10, v6, v3, s6
	v_cmp_u_f32_e64 s6, v4, v4
	v_cndmask_b32_e64 v6, v9, v4, s6
	s_delay_alu instid0(VALU_DEP_3) | instskip(NEXT) | instid1(VALU_DEP_2)
	v_cndmask_b32_e64 v4, v10, v4, s6
	v_cmp_class_f32_e64 s7, v6, 0x1f8
	s_delay_alu instid0(VALU_DEP_2) | instskip(NEXT) | instid1(VALU_DEP_1)
	v_cmp_neq_f32_e64 s6, v6, v4
	s_or_b32 s6, s6, s7
	s_delay_alu instid0(SALU_CYCLE_1)
	s_and_saveexec_b32 s7, s6
	s_cbranch_execz .LBB99_55
; %bb.54:
	v_sub_f32_e32 v3, v6, v4
	s_delay_alu instid0(VALU_DEP_1) | instskip(SKIP_1) | instid1(VALU_DEP_2)
	v_mul_f32_e32 v6, 0x3fb8aa3b, v3
	v_cmp_ngt_f32_e64 s6, 0xc2ce8ed0, v3
	v_fma_f32 v9, 0x3fb8aa3b, v3, -v6
	v_rndne_f32_e32 v10, v6
	s_delay_alu instid0(VALU_DEP_1) | instskip(NEXT) | instid1(VALU_DEP_1)
	v_dual_fmamk_f32 v9, v3, 0x32a5705f, v9 :: v_dual_sub_f32 v6, v6, v10
	v_add_f32_e32 v6, v6, v9
	v_cvt_i32_f32_e32 v9, v10
	s_delay_alu instid0(VALU_DEP_2) | instskip(SKIP_2) | instid1(VALU_DEP_1)
	v_exp_f32_e32 v6, v6
	s_waitcnt_depctr 0xfff
	v_ldexp_f32 v6, v6, v9
	v_cndmask_b32_e64 v6, 0, v6, s6
	v_cmp_nlt_f32_e64 s6, 0x42b17218, v3
	s_delay_alu instid0(VALU_DEP_1) | instskip(NEXT) | instid1(VALU_DEP_1)
	v_cndmask_b32_e64 v3, 0x7f800000, v6, s6
	v_add_f32_e32 v6, 1.0, v3
	v_cmp_gt_f32_e64 s9, 0x33800000, |v3|
	s_delay_alu instid0(VALU_DEP_2) | instskip(NEXT) | instid1(VALU_DEP_1)
	v_cvt_f64_f32_e32 v[9:10], v6
	v_frexp_exp_i32_f64_e32 v9, v[9:10]
	v_frexp_mant_f32_e32 v10, v6
	s_delay_alu instid0(VALU_DEP_1) | instskip(SKIP_1) | instid1(VALU_DEP_1)
	v_cmp_gt_f32_e64 s6, 0x3f2aaaab, v10
	v_add_f32_e32 v10, -1.0, v6
	v_sub_f32_e32 v12, v10, v6
	v_sub_f32_e32 v10, v3, v10
	s_delay_alu instid0(VALU_DEP_4) | instskip(SKIP_1) | instid1(VALU_DEP_1)
	v_subrev_co_ci_u32_e64 v9, s6, 0, v9, s6
	s_mov_b32 s6, 0x3e9b6dac
	v_sub_nc_u32_e32 v11, 0, v9
	v_cvt_f32_i32_e32 v9, v9
	s_delay_alu instid0(VALU_DEP_2) | instskip(NEXT) | instid1(VALU_DEP_1)
	v_ldexp_f32 v6, v6, v11
	v_dual_add_f32 v12, 1.0, v12 :: v_dual_add_f32 v23, 1.0, v6
	s_delay_alu instid0(VALU_DEP_1) | instskip(NEXT) | instid1(VALU_DEP_1)
	v_add_f32_e32 v10, v10, v12
	v_ldexp_f32 v10, v10, v11
	s_delay_alu instid0(VALU_DEP_3) | instskip(NEXT) | instid1(VALU_DEP_1)
	v_dual_add_f32 v11, -1.0, v6 :: v_dual_add_f32 v12, -1.0, v23
	v_add_f32_e32 v24, 1.0, v11
	s_delay_alu instid0(VALU_DEP_2) | instskip(NEXT) | instid1(VALU_DEP_2)
	v_sub_f32_e32 v12, v6, v12
	v_sub_f32_e32 v6, v6, v24
	s_delay_alu instid0(VALU_DEP_1) | instskip(NEXT) | instid1(VALU_DEP_1)
	v_add_f32_e32 v6, v10, v6
	v_add_f32_e32 v25, v11, v6
	s_delay_alu instid0(VALU_DEP_1) | instskip(NEXT) | instid1(VALU_DEP_1)
	v_dual_sub_f32 v11, v11, v25 :: v_dual_add_f32 v12, v10, v12
	v_add_f32_e32 v6, v6, v11
	s_delay_alu instid0(VALU_DEP_2) | instskip(NEXT) | instid1(VALU_DEP_1)
	v_add_f32_e32 v24, v23, v12
	v_rcp_f32_e32 v10, v24
	v_sub_f32_e32 v23, v23, v24
	s_delay_alu instid0(VALU_DEP_1) | instskip(SKIP_2) | instid1(VALU_DEP_1)
	v_add_f32_e32 v12, v12, v23
	s_waitcnt_depctr 0xfff
	v_mul_f32_e32 v26, v25, v10
	v_mul_f32_e32 v27, v24, v26
	s_delay_alu instid0(VALU_DEP_1) | instskip(NEXT) | instid1(VALU_DEP_1)
	v_fma_f32 v23, v26, v24, -v27
	v_fmac_f32_e32 v23, v26, v12
	s_delay_alu instid0(VALU_DEP_1) | instskip(NEXT) | instid1(VALU_DEP_1)
	v_add_f32_e32 v28, v27, v23
	v_sub_f32_e32 v29, v25, v28
	v_sub_f32_e32 v11, v28, v27
	s_delay_alu instid0(VALU_DEP_2) | instskip(NEXT) | instid1(VALU_DEP_2)
	v_sub_f32_e32 v25, v25, v29
	v_sub_f32_e32 v11, v11, v23
	s_delay_alu instid0(VALU_DEP_2) | instskip(NEXT) | instid1(VALU_DEP_1)
	v_sub_f32_e32 v25, v25, v28
	v_add_f32_e32 v6, v6, v25
	s_delay_alu instid0(VALU_DEP_1) | instskip(NEXT) | instid1(VALU_DEP_1)
	v_add_f32_e32 v6, v11, v6
	v_add_f32_e32 v11, v29, v6
	s_delay_alu instid0(VALU_DEP_1) | instskip(NEXT) | instid1(VALU_DEP_1)
	v_mul_f32_e32 v23, v10, v11
	v_mul_f32_e32 v25, v24, v23
	s_delay_alu instid0(VALU_DEP_1) | instskip(NEXT) | instid1(VALU_DEP_1)
	v_fma_f32 v24, v23, v24, -v25
	v_fmac_f32_e32 v24, v23, v12
	s_delay_alu instid0(VALU_DEP_1) | instskip(NEXT) | instid1(VALU_DEP_1)
	v_add_f32_e32 v12, v25, v24
	v_dual_sub_f32 v28, v29, v11 :: v_dual_sub_f32 v27, v11, v12
	v_sub_f32_e32 v25, v12, v25
	s_delay_alu instid0(VALU_DEP_2) | instskip(NEXT) | instid1(VALU_DEP_1)
	v_sub_f32_e32 v11, v11, v27
	v_sub_f32_e32 v11, v11, v12
	s_delay_alu instid0(VALU_DEP_4) | instskip(NEXT) | instid1(VALU_DEP_4)
	v_add_f32_e32 v6, v6, v28
	v_sub_f32_e32 v12, v25, v24
	s_delay_alu instid0(VALU_DEP_2) | instskip(NEXT) | instid1(VALU_DEP_1)
	v_add_f32_e32 v6, v6, v11
	v_dual_add_f32 v11, v26, v23 :: v_dual_add_f32 v6, v12, v6
	s_delay_alu instid0(VALU_DEP_1) | instskip(NEXT) | instid1(VALU_DEP_2)
	v_sub_f32_e32 v12, v11, v26
	v_add_f32_e32 v6, v27, v6
	s_delay_alu instid0(VALU_DEP_2) | instskip(NEXT) | instid1(VALU_DEP_2)
	v_sub_f32_e32 v12, v23, v12
	v_mul_f32_e32 v6, v10, v6
	s_delay_alu instid0(VALU_DEP_1) | instskip(NEXT) | instid1(VALU_DEP_1)
	v_add_f32_e32 v6, v12, v6
	v_add_f32_e32 v10, v11, v6
	s_delay_alu instid0(VALU_DEP_1) | instskip(NEXT) | instid1(VALU_DEP_1)
	v_mul_f32_e32 v12, v10, v10
	v_fmaak_f32 v23, s6, v12, 0x3ecc95a3
	v_mul_f32_e32 v24, v10, v12
	v_cmp_eq_f32_e64 s6, 0x7f800000, v3
	s_delay_alu instid0(VALU_DEP_3) | instskip(SKIP_2) | instid1(VALU_DEP_4)
	v_fmaak_f32 v12, v12, v23, 0x3f2aaada
	v_ldexp_f32 v23, v10, 1
	v_sub_f32_e32 v10, v10, v11
	s_or_b32 s6, s6, s9
	s_delay_alu instid0(VALU_DEP_3) | instskip(SKIP_1) | instid1(VALU_DEP_2)
	v_mul_f32_e32 v12, v24, v12
	v_mul_f32_e32 v24, 0x3f317218, v9
	v_dual_sub_f32 v6, v6, v10 :: v_dual_add_f32 v11, v23, v12
	s_delay_alu instid0(VALU_DEP_1) | instskip(NEXT) | instid1(VALU_DEP_2)
	v_ldexp_f32 v6, v6, 1
	v_sub_f32_e32 v10, v11, v23
	s_delay_alu instid0(VALU_DEP_4) | instskip(NEXT) | instid1(VALU_DEP_1)
	v_fma_f32 v23, 0x3f317218, v9, -v24
	v_dual_sub_f32 v10, v12, v10 :: v_dual_fmamk_f32 v9, v9, 0xb102e308, v23
	s_delay_alu instid0(VALU_DEP_1) | instskip(NEXT) | instid1(VALU_DEP_2)
	v_add_f32_e32 v6, v6, v10
	v_add_f32_e32 v10, v24, v9
	s_delay_alu instid0(VALU_DEP_2) | instskip(NEXT) | instid1(VALU_DEP_2)
	v_add_f32_e32 v12, v11, v6
	v_sub_f32_e32 v24, v10, v24
	s_delay_alu instid0(VALU_DEP_2) | instskip(SKIP_1) | instid1(VALU_DEP_3)
	v_add_f32_e32 v23, v10, v12
	v_sub_f32_e32 v11, v12, v11
	v_sub_f32_e32 v9, v9, v24
	s_delay_alu instid0(VALU_DEP_2) | instskip(NEXT) | instid1(VALU_DEP_1)
	v_dual_sub_f32 v25, v23, v10 :: v_dual_sub_f32 v6, v6, v11
	v_sub_f32_e32 v26, v23, v25
	s_delay_alu instid0(VALU_DEP_2) | instskip(NEXT) | instid1(VALU_DEP_2)
	v_dual_sub_f32 v11, v12, v25 :: v_dual_add_f32 v12, v9, v6
	v_sub_f32_e32 v10, v10, v26
	s_delay_alu instid0(VALU_DEP_1) | instskip(NEXT) | instid1(VALU_DEP_1)
	v_dual_add_f32 v10, v11, v10 :: v_dual_sub_f32 v11, v12, v9
	v_add_f32_e32 v10, v12, v10
	s_delay_alu instid0(VALU_DEP_2) | instskip(SKIP_1) | instid1(VALU_DEP_2)
	v_sub_f32_e32 v12, v12, v11
	v_sub_f32_e32 v6, v6, v11
	v_dual_add_f32 v24, v23, v10 :: v_dual_sub_f32 v9, v9, v12
	s_delay_alu instid0(VALU_DEP_1) | instskip(NEXT) | instid1(VALU_DEP_1)
	v_dual_sub_f32 v11, v24, v23 :: v_dual_add_f32 v6, v6, v9
	v_sub_f32_e32 v9, v10, v11
	s_delay_alu instid0(VALU_DEP_1) | instskip(NEXT) | instid1(VALU_DEP_1)
	v_add_f32_e32 v6, v6, v9
	v_add_f32_e32 v6, v24, v6
	s_delay_alu instid0(VALU_DEP_1) | instskip(NEXT) | instid1(VALU_DEP_1)
	v_cndmask_b32_e64 v3, v6, v3, s6
	v_add_f32_e32 v3, v4, v3
.LBB99_55:
	s_or_b32 exec_lo, exec_lo, s7
	ds_load_b32 v4, v5 offset:8
	v_max_f32_e32 v6, v3, v3
	v_cmp_u_f32_e64 s6, v3, v3
	ds_store_b32 v5, v3 offset:4
	s_waitcnt lgkmcnt(1)
	v_max_f32_e32 v9, v4, v4
	s_delay_alu instid0(VALU_DEP_1) | instskip(SKIP_1) | instid1(VALU_DEP_2)
	v_min_f32_e32 v10, v6, v9
	v_max_f32_e32 v6, v6, v9
	v_cndmask_b32_e64 v9, v10, v3, s6
	s_delay_alu instid0(VALU_DEP_2) | instskip(SKIP_1) | instid1(VALU_DEP_1)
	v_cndmask_b32_e64 v10, v6, v3, s6
	v_cmp_u_f32_e64 s6, v4, v4
	v_cndmask_b32_e64 v6, v9, v4, s6
	s_delay_alu instid0(VALU_DEP_3) | instskip(NEXT) | instid1(VALU_DEP_2)
	v_cndmask_b32_e64 v4, v10, v4, s6
	v_cmp_class_f32_e64 s7, v6, 0x1f8
	s_delay_alu instid0(VALU_DEP_2) | instskip(NEXT) | instid1(VALU_DEP_1)
	v_cmp_neq_f32_e64 s6, v6, v4
	s_or_b32 s6, s6, s7
	s_delay_alu instid0(SALU_CYCLE_1)
	s_and_saveexec_b32 s7, s6
	s_cbranch_execz .LBB99_57
; %bb.56:
	v_sub_f32_e32 v3, v6, v4
	s_delay_alu instid0(VALU_DEP_1) | instskip(SKIP_1) | instid1(VALU_DEP_2)
	v_mul_f32_e32 v6, 0x3fb8aa3b, v3
	v_cmp_ngt_f32_e64 s6, 0xc2ce8ed0, v3
	v_fma_f32 v9, 0x3fb8aa3b, v3, -v6
	v_rndne_f32_e32 v10, v6
	s_delay_alu instid0(VALU_DEP_1) | instskip(NEXT) | instid1(VALU_DEP_1)
	v_dual_fmamk_f32 v9, v3, 0x32a5705f, v9 :: v_dual_sub_f32 v6, v6, v10
	v_add_f32_e32 v6, v6, v9
	v_cvt_i32_f32_e32 v9, v10
	s_delay_alu instid0(VALU_DEP_2) | instskip(SKIP_2) | instid1(VALU_DEP_1)
	v_exp_f32_e32 v6, v6
	s_waitcnt_depctr 0xfff
	v_ldexp_f32 v6, v6, v9
	v_cndmask_b32_e64 v6, 0, v6, s6
	v_cmp_nlt_f32_e64 s6, 0x42b17218, v3
	s_delay_alu instid0(VALU_DEP_1) | instskip(NEXT) | instid1(VALU_DEP_1)
	v_cndmask_b32_e64 v3, 0x7f800000, v6, s6
	v_add_f32_e32 v6, 1.0, v3
	v_cmp_gt_f32_e64 s9, 0x33800000, |v3|
	s_delay_alu instid0(VALU_DEP_2) | instskip(NEXT) | instid1(VALU_DEP_1)
	v_cvt_f64_f32_e32 v[9:10], v6
	v_frexp_exp_i32_f64_e32 v9, v[9:10]
	v_frexp_mant_f32_e32 v10, v6
	s_delay_alu instid0(VALU_DEP_1) | instskip(SKIP_1) | instid1(VALU_DEP_1)
	v_cmp_gt_f32_e64 s6, 0x3f2aaaab, v10
	v_add_f32_e32 v10, -1.0, v6
	v_sub_f32_e32 v12, v10, v6
	v_sub_f32_e32 v10, v3, v10
	s_delay_alu instid0(VALU_DEP_4) | instskip(SKIP_1) | instid1(VALU_DEP_1)
	v_subrev_co_ci_u32_e64 v9, s6, 0, v9, s6
	s_mov_b32 s6, 0x3e9b6dac
	v_sub_nc_u32_e32 v11, 0, v9
	v_cvt_f32_i32_e32 v9, v9
	s_delay_alu instid0(VALU_DEP_2) | instskip(NEXT) | instid1(VALU_DEP_1)
	v_ldexp_f32 v6, v6, v11
	v_dual_add_f32 v12, 1.0, v12 :: v_dual_add_f32 v23, 1.0, v6
	s_delay_alu instid0(VALU_DEP_1) | instskip(NEXT) | instid1(VALU_DEP_1)
	v_add_f32_e32 v10, v10, v12
	v_ldexp_f32 v10, v10, v11
	s_delay_alu instid0(VALU_DEP_3) | instskip(NEXT) | instid1(VALU_DEP_1)
	v_dual_add_f32 v11, -1.0, v6 :: v_dual_add_f32 v12, -1.0, v23
	v_add_f32_e32 v24, 1.0, v11
	s_delay_alu instid0(VALU_DEP_2) | instskip(NEXT) | instid1(VALU_DEP_2)
	v_sub_f32_e32 v12, v6, v12
	v_sub_f32_e32 v6, v6, v24
	s_delay_alu instid0(VALU_DEP_1) | instskip(NEXT) | instid1(VALU_DEP_1)
	v_add_f32_e32 v6, v10, v6
	v_add_f32_e32 v25, v11, v6
	s_delay_alu instid0(VALU_DEP_1) | instskip(NEXT) | instid1(VALU_DEP_1)
	v_dual_sub_f32 v11, v11, v25 :: v_dual_add_f32 v12, v10, v12
	v_add_f32_e32 v6, v6, v11
	s_delay_alu instid0(VALU_DEP_2) | instskip(NEXT) | instid1(VALU_DEP_1)
	v_add_f32_e32 v24, v23, v12
	v_rcp_f32_e32 v10, v24
	v_sub_f32_e32 v23, v23, v24
	s_delay_alu instid0(VALU_DEP_1) | instskip(SKIP_2) | instid1(VALU_DEP_1)
	v_add_f32_e32 v12, v12, v23
	s_waitcnt_depctr 0xfff
	v_mul_f32_e32 v26, v25, v10
	v_mul_f32_e32 v27, v24, v26
	s_delay_alu instid0(VALU_DEP_1) | instskip(NEXT) | instid1(VALU_DEP_1)
	v_fma_f32 v23, v26, v24, -v27
	v_fmac_f32_e32 v23, v26, v12
	s_delay_alu instid0(VALU_DEP_1) | instskip(NEXT) | instid1(VALU_DEP_1)
	v_add_f32_e32 v28, v27, v23
	v_sub_f32_e32 v29, v25, v28
	v_sub_f32_e32 v11, v28, v27
	s_delay_alu instid0(VALU_DEP_2) | instskip(NEXT) | instid1(VALU_DEP_2)
	v_sub_f32_e32 v25, v25, v29
	v_sub_f32_e32 v11, v11, v23
	s_delay_alu instid0(VALU_DEP_2) | instskip(NEXT) | instid1(VALU_DEP_1)
	v_sub_f32_e32 v25, v25, v28
	v_add_f32_e32 v6, v6, v25
	s_delay_alu instid0(VALU_DEP_1) | instskip(NEXT) | instid1(VALU_DEP_1)
	v_add_f32_e32 v6, v11, v6
	v_add_f32_e32 v11, v29, v6
	s_delay_alu instid0(VALU_DEP_1) | instskip(NEXT) | instid1(VALU_DEP_1)
	v_mul_f32_e32 v23, v10, v11
	v_mul_f32_e32 v25, v24, v23
	s_delay_alu instid0(VALU_DEP_1) | instskip(NEXT) | instid1(VALU_DEP_1)
	v_fma_f32 v24, v23, v24, -v25
	v_fmac_f32_e32 v24, v23, v12
	s_delay_alu instid0(VALU_DEP_1) | instskip(NEXT) | instid1(VALU_DEP_1)
	v_add_f32_e32 v12, v25, v24
	v_dual_sub_f32 v28, v29, v11 :: v_dual_sub_f32 v27, v11, v12
	v_sub_f32_e32 v25, v12, v25
	s_delay_alu instid0(VALU_DEP_2) | instskip(NEXT) | instid1(VALU_DEP_1)
	v_sub_f32_e32 v11, v11, v27
	v_sub_f32_e32 v11, v11, v12
	s_delay_alu instid0(VALU_DEP_4) | instskip(NEXT) | instid1(VALU_DEP_4)
	v_add_f32_e32 v6, v6, v28
	v_sub_f32_e32 v12, v25, v24
	s_delay_alu instid0(VALU_DEP_2) | instskip(NEXT) | instid1(VALU_DEP_1)
	v_add_f32_e32 v6, v6, v11
	v_dual_add_f32 v11, v26, v23 :: v_dual_add_f32 v6, v12, v6
	s_delay_alu instid0(VALU_DEP_1) | instskip(NEXT) | instid1(VALU_DEP_2)
	v_sub_f32_e32 v12, v11, v26
	v_add_f32_e32 v6, v27, v6
	s_delay_alu instid0(VALU_DEP_2) | instskip(NEXT) | instid1(VALU_DEP_2)
	v_sub_f32_e32 v12, v23, v12
	v_mul_f32_e32 v6, v10, v6
	s_delay_alu instid0(VALU_DEP_1) | instskip(NEXT) | instid1(VALU_DEP_1)
	v_add_f32_e32 v6, v12, v6
	v_add_f32_e32 v10, v11, v6
	s_delay_alu instid0(VALU_DEP_1) | instskip(NEXT) | instid1(VALU_DEP_1)
	v_mul_f32_e32 v12, v10, v10
	v_fmaak_f32 v23, s6, v12, 0x3ecc95a3
	v_mul_f32_e32 v24, v10, v12
	v_cmp_eq_f32_e64 s6, 0x7f800000, v3
	s_delay_alu instid0(VALU_DEP_3) | instskip(SKIP_2) | instid1(VALU_DEP_4)
	v_fmaak_f32 v12, v12, v23, 0x3f2aaada
	v_ldexp_f32 v23, v10, 1
	v_sub_f32_e32 v10, v10, v11
	s_or_b32 s6, s6, s9
	s_delay_alu instid0(VALU_DEP_3) | instskip(SKIP_1) | instid1(VALU_DEP_2)
	v_mul_f32_e32 v12, v24, v12
	v_mul_f32_e32 v24, 0x3f317218, v9
	v_dual_sub_f32 v6, v6, v10 :: v_dual_add_f32 v11, v23, v12
	s_delay_alu instid0(VALU_DEP_1) | instskip(NEXT) | instid1(VALU_DEP_2)
	v_ldexp_f32 v6, v6, 1
	v_sub_f32_e32 v10, v11, v23
	s_delay_alu instid0(VALU_DEP_4) | instskip(NEXT) | instid1(VALU_DEP_1)
	v_fma_f32 v23, 0x3f317218, v9, -v24
	v_dual_sub_f32 v10, v12, v10 :: v_dual_fmamk_f32 v9, v9, 0xb102e308, v23
	s_delay_alu instid0(VALU_DEP_1) | instskip(NEXT) | instid1(VALU_DEP_2)
	v_add_f32_e32 v6, v6, v10
	v_add_f32_e32 v10, v24, v9
	s_delay_alu instid0(VALU_DEP_2) | instskip(NEXT) | instid1(VALU_DEP_2)
	v_add_f32_e32 v12, v11, v6
	v_sub_f32_e32 v24, v10, v24
	s_delay_alu instid0(VALU_DEP_2) | instskip(SKIP_1) | instid1(VALU_DEP_3)
	v_add_f32_e32 v23, v10, v12
	v_sub_f32_e32 v11, v12, v11
	v_sub_f32_e32 v9, v9, v24
	s_delay_alu instid0(VALU_DEP_2) | instskip(NEXT) | instid1(VALU_DEP_1)
	v_dual_sub_f32 v25, v23, v10 :: v_dual_sub_f32 v6, v6, v11
	v_sub_f32_e32 v26, v23, v25
	s_delay_alu instid0(VALU_DEP_2) | instskip(NEXT) | instid1(VALU_DEP_2)
	v_dual_sub_f32 v11, v12, v25 :: v_dual_add_f32 v12, v9, v6
	v_sub_f32_e32 v10, v10, v26
	s_delay_alu instid0(VALU_DEP_1) | instskip(NEXT) | instid1(VALU_DEP_1)
	v_dual_add_f32 v10, v11, v10 :: v_dual_sub_f32 v11, v12, v9
	v_add_f32_e32 v10, v12, v10
	s_delay_alu instid0(VALU_DEP_2) | instskip(SKIP_1) | instid1(VALU_DEP_2)
	v_sub_f32_e32 v12, v12, v11
	v_sub_f32_e32 v6, v6, v11
	v_dual_add_f32 v24, v23, v10 :: v_dual_sub_f32 v9, v9, v12
	s_delay_alu instid0(VALU_DEP_1) | instskip(NEXT) | instid1(VALU_DEP_1)
	v_dual_sub_f32 v11, v24, v23 :: v_dual_add_f32 v6, v6, v9
	v_sub_f32_e32 v9, v10, v11
	s_delay_alu instid0(VALU_DEP_1) | instskip(NEXT) | instid1(VALU_DEP_1)
	v_add_f32_e32 v6, v6, v9
	v_add_f32_e32 v6, v24, v6
	s_delay_alu instid0(VALU_DEP_1) | instskip(NEXT) | instid1(VALU_DEP_1)
	v_cndmask_b32_e64 v3, v6, v3, s6
	v_add_f32_e32 v3, v4, v3
.LBB99_57:
	s_or_b32 exec_lo, exec_lo, s7
	ds_load_b32 v4, v5 offset:12
	v_max_f32_e32 v6, v3, v3
	v_cmp_u_f32_e64 s6, v3, v3
	ds_store_b32 v5, v3 offset:8
	s_waitcnt lgkmcnt(1)
	v_max_f32_e32 v9, v4, v4
	s_delay_alu instid0(VALU_DEP_1) | instskip(SKIP_1) | instid1(VALU_DEP_2)
	v_min_f32_e32 v10, v6, v9
	v_max_f32_e32 v6, v6, v9
	v_cndmask_b32_e64 v9, v10, v3, s6
	s_delay_alu instid0(VALU_DEP_2) | instskip(SKIP_1) | instid1(VALU_DEP_1)
	v_cndmask_b32_e64 v10, v6, v3, s6
	v_cmp_u_f32_e64 s6, v4, v4
	v_cndmask_b32_e64 v6, v9, v4, s6
	s_delay_alu instid0(VALU_DEP_3) | instskip(NEXT) | instid1(VALU_DEP_2)
	v_cndmask_b32_e64 v4, v10, v4, s6
	v_cmp_class_f32_e64 s7, v6, 0x1f8
	s_delay_alu instid0(VALU_DEP_2) | instskip(NEXT) | instid1(VALU_DEP_1)
	v_cmp_neq_f32_e64 s6, v6, v4
	s_or_b32 s6, s6, s7
	s_delay_alu instid0(SALU_CYCLE_1)
	s_and_saveexec_b32 s7, s6
	s_cbranch_execz .LBB99_59
; %bb.58:
	v_sub_f32_e32 v3, v6, v4
	s_delay_alu instid0(VALU_DEP_1) | instskip(SKIP_1) | instid1(VALU_DEP_2)
	v_mul_f32_e32 v6, 0x3fb8aa3b, v3
	v_cmp_ngt_f32_e64 s6, 0xc2ce8ed0, v3
	v_fma_f32 v9, 0x3fb8aa3b, v3, -v6
	v_rndne_f32_e32 v10, v6
	s_delay_alu instid0(VALU_DEP_1) | instskip(NEXT) | instid1(VALU_DEP_1)
	v_dual_fmamk_f32 v9, v3, 0x32a5705f, v9 :: v_dual_sub_f32 v6, v6, v10
	v_add_f32_e32 v6, v6, v9
	v_cvt_i32_f32_e32 v9, v10
	s_delay_alu instid0(VALU_DEP_2) | instskip(SKIP_2) | instid1(VALU_DEP_1)
	v_exp_f32_e32 v6, v6
	s_waitcnt_depctr 0xfff
	v_ldexp_f32 v6, v6, v9
	v_cndmask_b32_e64 v6, 0, v6, s6
	v_cmp_nlt_f32_e64 s6, 0x42b17218, v3
	s_delay_alu instid0(VALU_DEP_1) | instskip(NEXT) | instid1(VALU_DEP_1)
	v_cndmask_b32_e64 v3, 0x7f800000, v6, s6
	v_add_f32_e32 v6, 1.0, v3
	v_cmp_gt_f32_e64 s9, 0x33800000, |v3|
	s_delay_alu instid0(VALU_DEP_2) | instskip(NEXT) | instid1(VALU_DEP_1)
	v_cvt_f64_f32_e32 v[9:10], v6
	v_frexp_exp_i32_f64_e32 v9, v[9:10]
	v_frexp_mant_f32_e32 v10, v6
	s_delay_alu instid0(VALU_DEP_1) | instskip(SKIP_1) | instid1(VALU_DEP_1)
	v_cmp_gt_f32_e64 s6, 0x3f2aaaab, v10
	v_add_f32_e32 v10, -1.0, v6
	v_sub_f32_e32 v12, v10, v6
	v_sub_f32_e32 v10, v3, v10
	s_delay_alu instid0(VALU_DEP_4) | instskip(SKIP_1) | instid1(VALU_DEP_1)
	v_subrev_co_ci_u32_e64 v9, s6, 0, v9, s6
	s_mov_b32 s6, 0x3e9b6dac
	v_sub_nc_u32_e32 v11, 0, v9
	v_cvt_f32_i32_e32 v9, v9
	s_delay_alu instid0(VALU_DEP_2) | instskip(NEXT) | instid1(VALU_DEP_1)
	v_ldexp_f32 v6, v6, v11
	v_dual_add_f32 v12, 1.0, v12 :: v_dual_add_f32 v23, 1.0, v6
	s_delay_alu instid0(VALU_DEP_1) | instskip(NEXT) | instid1(VALU_DEP_1)
	v_add_f32_e32 v10, v10, v12
	v_ldexp_f32 v10, v10, v11
	s_delay_alu instid0(VALU_DEP_3) | instskip(NEXT) | instid1(VALU_DEP_1)
	v_dual_add_f32 v11, -1.0, v6 :: v_dual_add_f32 v12, -1.0, v23
	v_add_f32_e32 v24, 1.0, v11
	s_delay_alu instid0(VALU_DEP_2) | instskip(NEXT) | instid1(VALU_DEP_2)
	v_sub_f32_e32 v12, v6, v12
	v_sub_f32_e32 v6, v6, v24
	s_delay_alu instid0(VALU_DEP_1) | instskip(NEXT) | instid1(VALU_DEP_1)
	v_add_f32_e32 v6, v10, v6
	v_add_f32_e32 v25, v11, v6
	s_delay_alu instid0(VALU_DEP_1) | instskip(NEXT) | instid1(VALU_DEP_1)
	v_dual_sub_f32 v11, v11, v25 :: v_dual_add_f32 v12, v10, v12
	v_add_f32_e32 v6, v6, v11
	s_delay_alu instid0(VALU_DEP_2) | instskip(NEXT) | instid1(VALU_DEP_1)
	v_add_f32_e32 v24, v23, v12
	v_rcp_f32_e32 v10, v24
	v_sub_f32_e32 v23, v23, v24
	s_delay_alu instid0(VALU_DEP_1) | instskip(SKIP_2) | instid1(VALU_DEP_1)
	v_add_f32_e32 v12, v12, v23
	s_waitcnt_depctr 0xfff
	v_mul_f32_e32 v26, v25, v10
	v_mul_f32_e32 v27, v24, v26
	s_delay_alu instid0(VALU_DEP_1) | instskip(NEXT) | instid1(VALU_DEP_1)
	v_fma_f32 v23, v26, v24, -v27
	v_fmac_f32_e32 v23, v26, v12
	s_delay_alu instid0(VALU_DEP_1) | instskip(NEXT) | instid1(VALU_DEP_1)
	v_add_f32_e32 v28, v27, v23
	v_sub_f32_e32 v29, v25, v28
	v_sub_f32_e32 v11, v28, v27
	s_delay_alu instid0(VALU_DEP_2) | instskip(NEXT) | instid1(VALU_DEP_2)
	v_sub_f32_e32 v25, v25, v29
	v_sub_f32_e32 v11, v11, v23
	s_delay_alu instid0(VALU_DEP_2) | instskip(NEXT) | instid1(VALU_DEP_1)
	v_sub_f32_e32 v25, v25, v28
	v_add_f32_e32 v6, v6, v25
	s_delay_alu instid0(VALU_DEP_1) | instskip(NEXT) | instid1(VALU_DEP_1)
	v_add_f32_e32 v6, v11, v6
	v_add_f32_e32 v11, v29, v6
	s_delay_alu instid0(VALU_DEP_1) | instskip(NEXT) | instid1(VALU_DEP_1)
	v_mul_f32_e32 v23, v10, v11
	v_mul_f32_e32 v25, v24, v23
	s_delay_alu instid0(VALU_DEP_1) | instskip(NEXT) | instid1(VALU_DEP_1)
	v_fma_f32 v24, v23, v24, -v25
	v_fmac_f32_e32 v24, v23, v12
	s_delay_alu instid0(VALU_DEP_1) | instskip(NEXT) | instid1(VALU_DEP_1)
	v_add_f32_e32 v12, v25, v24
	v_dual_sub_f32 v28, v29, v11 :: v_dual_sub_f32 v27, v11, v12
	v_sub_f32_e32 v25, v12, v25
	s_delay_alu instid0(VALU_DEP_2) | instskip(NEXT) | instid1(VALU_DEP_1)
	v_sub_f32_e32 v11, v11, v27
	v_sub_f32_e32 v11, v11, v12
	s_delay_alu instid0(VALU_DEP_4) | instskip(NEXT) | instid1(VALU_DEP_4)
	v_add_f32_e32 v6, v6, v28
	v_sub_f32_e32 v12, v25, v24
	s_delay_alu instid0(VALU_DEP_2) | instskip(NEXT) | instid1(VALU_DEP_1)
	v_add_f32_e32 v6, v6, v11
	v_dual_add_f32 v11, v26, v23 :: v_dual_add_f32 v6, v12, v6
	s_delay_alu instid0(VALU_DEP_1) | instskip(NEXT) | instid1(VALU_DEP_2)
	v_sub_f32_e32 v12, v11, v26
	v_add_f32_e32 v6, v27, v6
	s_delay_alu instid0(VALU_DEP_2) | instskip(NEXT) | instid1(VALU_DEP_2)
	v_sub_f32_e32 v12, v23, v12
	v_mul_f32_e32 v6, v10, v6
	s_delay_alu instid0(VALU_DEP_1) | instskip(NEXT) | instid1(VALU_DEP_1)
	v_add_f32_e32 v6, v12, v6
	v_add_f32_e32 v10, v11, v6
	s_delay_alu instid0(VALU_DEP_1) | instskip(NEXT) | instid1(VALU_DEP_1)
	v_mul_f32_e32 v12, v10, v10
	v_fmaak_f32 v23, s6, v12, 0x3ecc95a3
	v_mul_f32_e32 v24, v10, v12
	v_cmp_eq_f32_e64 s6, 0x7f800000, v3
	s_delay_alu instid0(VALU_DEP_3) | instskip(SKIP_2) | instid1(VALU_DEP_4)
	v_fmaak_f32 v12, v12, v23, 0x3f2aaada
	v_ldexp_f32 v23, v10, 1
	v_sub_f32_e32 v10, v10, v11
	s_or_b32 s6, s6, s9
	s_delay_alu instid0(VALU_DEP_3) | instskip(SKIP_1) | instid1(VALU_DEP_2)
	v_mul_f32_e32 v12, v24, v12
	v_mul_f32_e32 v24, 0x3f317218, v9
	v_dual_sub_f32 v6, v6, v10 :: v_dual_add_f32 v11, v23, v12
	s_delay_alu instid0(VALU_DEP_1) | instskip(NEXT) | instid1(VALU_DEP_2)
	v_ldexp_f32 v6, v6, 1
	v_sub_f32_e32 v10, v11, v23
	s_delay_alu instid0(VALU_DEP_4) | instskip(NEXT) | instid1(VALU_DEP_1)
	v_fma_f32 v23, 0x3f317218, v9, -v24
	v_dual_sub_f32 v10, v12, v10 :: v_dual_fmamk_f32 v9, v9, 0xb102e308, v23
	s_delay_alu instid0(VALU_DEP_1) | instskip(NEXT) | instid1(VALU_DEP_2)
	v_add_f32_e32 v6, v6, v10
	v_add_f32_e32 v10, v24, v9
	s_delay_alu instid0(VALU_DEP_2) | instskip(NEXT) | instid1(VALU_DEP_2)
	v_add_f32_e32 v12, v11, v6
	v_sub_f32_e32 v24, v10, v24
	s_delay_alu instid0(VALU_DEP_2) | instskip(SKIP_1) | instid1(VALU_DEP_3)
	v_add_f32_e32 v23, v10, v12
	v_sub_f32_e32 v11, v12, v11
	v_sub_f32_e32 v9, v9, v24
	s_delay_alu instid0(VALU_DEP_2) | instskip(NEXT) | instid1(VALU_DEP_1)
	v_dual_sub_f32 v25, v23, v10 :: v_dual_sub_f32 v6, v6, v11
	v_sub_f32_e32 v26, v23, v25
	s_delay_alu instid0(VALU_DEP_2) | instskip(NEXT) | instid1(VALU_DEP_2)
	v_dual_sub_f32 v11, v12, v25 :: v_dual_add_f32 v12, v9, v6
	v_sub_f32_e32 v10, v10, v26
	s_delay_alu instid0(VALU_DEP_1) | instskip(NEXT) | instid1(VALU_DEP_1)
	v_dual_add_f32 v10, v11, v10 :: v_dual_sub_f32 v11, v12, v9
	v_add_f32_e32 v10, v12, v10
	s_delay_alu instid0(VALU_DEP_2) | instskip(SKIP_1) | instid1(VALU_DEP_2)
	v_sub_f32_e32 v12, v12, v11
	v_sub_f32_e32 v6, v6, v11
	v_dual_add_f32 v24, v23, v10 :: v_dual_sub_f32 v9, v9, v12
	s_delay_alu instid0(VALU_DEP_1) | instskip(NEXT) | instid1(VALU_DEP_1)
	v_dual_sub_f32 v11, v24, v23 :: v_dual_add_f32 v6, v6, v9
	v_sub_f32_e32 v9, v10, v11
	s_delay_alu instid0(VALU_DEP_1) | instskip(NEXT) | instid1(VALU_DEP_1)
	v_add_f32_e32 v6, v6, v9
	v_add_f32_e32 v6, v24, v6
	s_delay_alu instid0(VALU_DEP_1) | instskip(NEXT) | instid1(VALU_DEP_1)
	v_cndmask_b32_e64 v3, v6, v3, s6
	v_add_f32_e32 v3, v4, v3
.LBB99_59:
	s_or_b32 exec_lo, exec_lo, s7
	ds_load_b32 v4, v5 offset:16
	v_max_f32_e32 v6, v3, v3
	v_cmp_u_f32_e64 s6, v3, v3
	ds_store_b32 v5, v3 offset:12
	s_waitcnt lgkmcnt(1)
	v_max_f32_e32 v9, v4, v4
	s_delay_alu instid0(VALU_DEP_1) | instskip(SKIP_1) | instid1(VALU_DEP_2)
	v_min_f32_e32 v10, v6, v9
	v_max_f32_e32 v6, v6, v9
	v_cndmask_b32_e64 v9, v10, v3, s6
	s_delay_alu instid0(VALU_DEP_2) | instskip(SKIP_1) | instid1(VALU_DEP_1)
	v_cndmask_b32_e64 v10, v6, v3, s6
	v_cmp_u_f32_e64 s6, v4, v4
	v_cndmask_b32_e64 v6, v9, v4, s6
	s_delay_alu instid0(VALU_DEP_3) | instskip(NEXT) | instid1(VALU_DEP_2)
	v_cndmask_b32_e64 v4, v10, v4, s6
	v_cmp_class_f32_e64 s7, v6, 0x1f8
	s_delay_alu instid0(VALU_DEP_2) | instskip(NEXT) | instid1(VALU_DEP_1)
	v_cmp_neq_f32_e64 s6, v6, v4
	s_or_b32 s6, s6, s7
	s_delay_alu instid0(SALU_CYCLE_1)
	s_and_saveexec_b32 s7, s6
	s_cbranch_execz .LBB99_61
; %bb.60:
	v_sub_f32_e32 v3, v6, v4
	s_delay_alu instid0(VALU_DEP_1) | instskip(SKIP_1) | instid1(VALU_DEP_2)
	v_mul_f32_e32 v6, 0x3fb8aa3b, v3
	v_cmp_ngt_f32_e64 s6, 0xc2ce8ed0, v3
	v_fma_f32 v9, 0x3fb8aa3b, v3, -v6
	v_rndne_f32_e32 v10, v6
	s_delay_alu instid0(VALU_DEP_1) | instskip(NEXT) | instid1(VALU_DEP_1)
	v_dual_fmamk_f32 v9, v3, 0x32a5705f, v9 :: v_dual_sub_f32 v6, v6, v10
	v_add_f32_e32 v6, v6, v9
	v_cvt_i32_f32_e32 v9, v10
	s_delay_alu instid0(VALU_DEP_2) | instskip(SKIP_2) | instid1(VALU_DEP_1)
	v_exp_f32_e32 v6, v6
	s_waitcnt_depctr 0xfff
	v_ldexp_f32 v6, v6, v9
	v_cndmask_b32_e64 v6, 0, v6, s6
	v_cmp_nlt_f32_e64 s6, 0x42b17218, v3
	s_delay_alu instid0(VALU_DEP_1) | instskip(NEXT) | instid1(VALU_DEP_1)
	v_cndmask_b32_e64 v3, 0x7f800000, v6, s6
	v_add_f32_e32 v6, 1.0, v3
	v_cmp_gt_f32_e64 s9, 0x33800000, |v3|
	s_delay_alu instid0(VALU_DEP_2) | instskip(NEXT) | instid1(VALU_DEP_1)
	v_cvt_f64_f32_e32 v[9:10], v6
	v_frexp_exp_i32_f64_e32 v9, v[9:10]
	v_frexp_mant_f32_e32 v10, v6
	s_delay_alu instid0(VALU_DEP_1) | instskip(SKIP_1) | instid1(VALU_DEP_1)
	v_cmp_gt_f32_e64 s6, 0x3f2aaaab, v10
	v_add_f32_e32 v10, -1.0, v6
	v_sub_f32_e32 v12, v10, v6
	v_sub_f32_e32 v10, v3, v10
	s_delay_alu instid0(VALU_DEP_4) | instskip(SKIP_1) | instid1(VALU_DEP_1)
	v_subrev_co_ci_u32_e64 v9, s6, 0, v9, s6
	s_mov_b32 s6, 0x3e9b6dac
	v_sub_nc_u32_e32 v11, 0, v9
	v_cvt_f32_i32_e32 v9, v9
	s_delay_alu instid0(VALU_DEP_2) | instskip(NEXT) | instid1(VALU_DEP_1)
	v_ldexp_f32 v6, v6, v11
	v_dual_add_f32 v12, 1.0, v12 :: v_dual_add_f32 v23, 1.0, v6
	s_delay_alu instid0(VALU_DEP_1) | instskip(NEXT) | instid1(VALU_DEP_1)
	v_add_f32_e32 v10, v10, v12
	v_ldexp_f32 v10, v10, v11
	s_delay_alu instid0(VALU_DEP_3) | instskip(NEXT) | instid1(VALU_DEP_1)
	v_dual_add_f32 v11, -1.0, v6 :: v_dual_add_f32 v12, -1.0, v23
	v_add_f32_e32 v24, 1.0, v11
	s_delay_alu instid0(VALU_DEP_2) | instskip(NEXT) | instid1(VALU_DEP_2)
	v_sub_f32_e32 v12, v6, v12
	v_sub_f32_e32 v6, v6, v24
	s_delay_alu instid0(VALU_DEP_1) | instskip(NEXT) | instid1(VALU_DEP_1)
	v_add_f32_e32 v6, v10, v6
	v_add_f32_e32 v25, v11, v6
	s_delay_alu instid0(VALU_DEP_1) | instskip(NEXT) | instid1(VALU_DEP_1)
	v_dual_sub_f32 v11, v11, v25 :: v_dual_add_f32 v12, v10, v12
	v_add_f32_e32 v6, v6, v11
	s_delay_alu instid0(VALU_DEP_2) | instskip(NEXT) | instid1(VALU_DEP_1)
	v_add_f32_e32 v24, v23, v12
	v_rcp_f32_e32 v10, v24
	v_sub_f32_e32 v23, v23, v24
	s_delay_alu instid0(VALU_DEP_1) | instskip(SKIP_2) | instid1(VALU_DEP_1)
	v_add_f32_e32 v12, v12, v23
	s_waitcnt_depctr 0xfff
	v_mul_f32_e32 v26, v25, v10
	v_mul_f32_e32 v27, v24, v26
	s_delay_alu instid0(VALU_DEP_1) | instskip(NEXT) | instid1(VALU_DEP_1)
	v_fma_f32 v23, v26, v24, -v27
	v_fmac_f32_e32 v23, v26, v12
	s_delay_alu instid0(VALU_DEP_1) | instskip(NEXT) | instid1(VALU_DEP_1)
	v_add_f32_e32 v28, v27, v23
	v_sub_f32_e32 v29, v25, v28
	v_sub_f32_e32 v11, v28, v27
	s_delay_alu instid0(VALU_DEP_2) | instskip(NEXT) | instid1(VALU_DEP_2)
	v_sub_f32_e32 v25, v25, v29
	v_sub_f32_e32 v11, v11, v23
	s_delay_alu instid0(VALU_DEP_2) | instskip(NEXT) | instid1(VALU_DEP_1)
	v_sub_f32_e32 v25, v25, v28
	v_add_f32_e32 v6, v6, v25
	s_delay_alu instid0(VALU_DEP_1) | instskip(NEXT) | instid1(VALU_DEP_1)
	v_add_f32_e32 v6, v11, v6
	v_add_f32_e32 v11, v29, v6
	s_delay_alu instid0(VALU_DEP_1) | instskip(NEXT) | instid1(VALU_DEP_1)
	v_mul_f32_e32 v23, v10, v11
	v_mul_f32_e32 v25, v24, v23
	s_delay_alu instid0(VALU_DEP_1) | instskip(NEXT) | instid1(VALU_DEP_1)
	v_fma_f32 v24, v23, v24, -v25
	v_fmac_f32_e32 v24, v23, v12
	s_delay_alu instid0(VALU_DEP_1) | instskip(NEXT) | instid1(VALU_DEP_1)
	v_add_f32_e32 v12, v25, v24
	v_dual_sub_f32 v28, v29, v11 :: v_dual_sub_f32 v27, v11, v12
	v_sub_f32_e32 v25, v12, v25
	s_delay_alu instid0(VALU_DEP_2) | instskip(NEXT) | instid1(VALU_DEP_1)
	v_sub_f32_e32 v11, v11, v27
	v_sub_f32_e32 v11, v11, v12
	s_delay_alu instid0(VALU_DEP_4) | instskip(NEXT) | instid1(VALU_DEP_4)
	v_add_f32_e32 v6, v6, v28
	v_sub_f32_e32 v12, v25, v24
	s_delay_alu instid0(VALU_DEP_2) | instskip(NEXT) | instid1(VALU_DEP_1)
	v_add_f32_e32 v6, v6, v11
	v_dual_add_f32 v11, v26, v23 :: v_dual_add_f32 v6, v12, v6
	s_delay_alu instid0(VALU_DEP_1) | instskip(NEXT) | instid1(VALU_DEP_2)
	v_sub_f32_e32 v12, v11, v26
	v_add_f32_e32 v6, v27, v6
	s_delay_alu instid0(VALU_DEP_2) | instskip(NEXT) | instid1(VALU_DEP_2)
	v_sub_f32_e32 v12, v23, v12
	v_mul_f32_e32 v6, v10, v6
	s_delay_alu instid0(VALU_DEP_1) | instskip(NEXT) | instid1(VALU_DEP_1)
	v_add_f32_e32 v6, v12, v6
	v_add_f32_e32 v10, v11, v6
	s_delay_alu instid0(VALU_DEP_1) | instskip(NEXT) | instid1(VALU_DEP_1)
	v_mul_f32_e32 v12, v10, v10
	v_fmaak_f32 v23, s6, v12, 0x3ecc95a3
	v_mul_f32_e32 v24, v10, v12
	v_cmp_eq_f32_e64 s6, 0x7f800000, v3
	s_delay_alu instid0(VALU_DEP_3) | instskip(SKIP_2) | instid1(VALU_DEP_4)
	v_fmaak_f32 v12, v12, v23, 0x3f2aaada
	v_ldexp_f32 v23, v10, 1
	v_sub_f32_e32 v10, v10, v11
	s_or_b32 s6, s6, s9
	s_delay_alu instid0(VALU_DEP_3) | instskip(SKIP_1) | instid1(VALU_DEP_2)
	v_mul_f32_e32 v12, v24, v12
	v_mul_f32_e32 v24, 0x3f317218, v9
	v_dual_sub_f32 v6, v6, v10 :: v_dual_add_f32 v11, v23, v12
	s_delay_alu instid0(VALU_DEP_1) | instskip(NEXT) | instid1(VALU_DEP_2)
	v_ldexp_f32 v6, v6, 1
	v_sub_f32_e32 v10, v11, v23
	s_delay_alu instid0(VALU_DEP_4) | instskip(NEXT) | instid1(VALU_DEP_1)
	v_fma_f32 v23, 0x3f317218, v9, -v24
	v_dual_sub_f32 v10, v12, v10 :: v_dual_fmamk_f32 v9, v9, 0xb102e308, v23
	s_delay_alu instid0(VALU_DEP_1) | instskip(NEXT) | instid1(VALU_DEP_2)
	v_add_f32_e32 v6, v6, v10
	v_add_f32_e32 v10, v24, v9
	s_delay_alu instid0(VALU_DEP_2) | instskip(NEXT) | instid1(VALU_DEP_2)
	v_add_f32_e32 v12, v11, v6
	v_sub_f32_e32 v24, v10, v24
	s_delay_alu instid0(VALU_DEP_2) | instskip(SKIP_1) | instid1(VALU_DEP_3)
	v_add_f32_e32 v23, v10, v12
	v_sub_f32_e32 v11, v12, v11
	v_sub_f32_e32 v9, v9, v24
	s_delay_alu instid0(VALU_DEP_2) | instskip(NEXT) | instid1(VALU_DEP_1)
	v_dual_sub_f32 v25, v23, v10 :: v_dual_sub_f32 v6, v6, v11
	v_sub_f32_e32 v26, v23, v25
	s_delay_alu instid0(VALU_DEP_2) | instskip(NEXT) | instid1(VALU_DEP_2)
	v_dual_sub_f32 v11, v12, v25 :: v_dual_add_f32 v12, v9, v6
	v_sub_f32_e32 v10, v10, v26
	s_delay_alu instid0(VALU_DEP_1) | instskip(NEXT) | instid1(VALU_DEP_1)
	v_dual_add_f32 v10, v11, v10 :: v_dual_sub_f32 v11, v12, v9
	v_add_f32_e32 v10, v12, v10
	s_delay_alu instid0(VALU_DEP_2) | instskip(SKIP_1) | instid1(VALU_DEP_2)
	v_sub_f32_e32 v12, v12, v11
	v_sub_f32_e32 v6, v6, v11
	v_dual_add_f32 v24, v23, v10 :: v_dual_sub_f32 v9, v9, v12
	s_delay_alu instid0(VALU_DEP_1) | instskip(NEXT) | instid1(VALU_DEP_1)
	v_dual_sub_f32 v11, v24, v23 :: v_dual_add_f32 v6, v6, v9
	v_sub_f32_e32 v9, v10, v11
	s_delay_alu instid0(VALU_DEP_1) | instskip(NEXT) | instid1(VALU_DEP_1)
	v_add_f32_e32 v6, v6, v9
	v_add_f32_e32 v6, v24, v6
	s_delay_alu instid0(VALU_DEP_1) | instskip(NEXT) | instid1(VALU_DEP_1)
	v_cndmask_b32_e64 v3, v6, v3, s6
	v_add_f32_e32 v3, v4, v3
.LBB99_61:
	s_or_b32 exec_lo, exec_lo, s7
	ds_load_b32 v4, v5 offset:20
	v_max_f32_e32 v6, v3, v3
	v_cmp_u_f32_e64 s6, v3, v3
	ds_store_b32 v5, v3 offset:16
	s_waitcnt lgkmcnt(1)
	v_max_f32_e32 v9, v4, v4
	s_delay_alu instid0(VALU_DEP_1) | instskip(SKIP_1) | instid1(VALU_DEP_2)
	v_min_f32_e32 v10, v6, v9
	v_max_f32_e32 v6, v6, v9
	v_cndmask_b32_e64 v9, v10, v3, s6
	s_delay_alu instid0(VALU_DEP_2) | instskip(SKIP_1) | instid1(VALU_DEP_1)
	v_cndmask_b32_e64 v10, v6, v3, s6
	v_cmp_u_f32_e64 s6, v4, v4
	v_cndmask_b32_e64 v6, v9, v4, s6
	s_delay_alu instid0(VALU_DEP_3) | instskip(NEXT) | instid1(VALU_DEP_2)
	v_cndmask_b32_e64 v4, v10, v4, s6
	v_cmp_class_f32_e64 s7, v6, 0x1f8
	s_delay_alu instid0(VALU_DEP_2) | instskip(NEXT) | instid1(VALU_DEP_1)
	v_cmp_neq_f32_e64 s6, v6, v4
	s_or_b32 s6, s6, s7
	s_delay_alu instid0(SALU_CYCLE_1)
	s_and_saveexec_b32 s7, s6
	s_cbranch_execz .LBB99_63
; %bb.62:
	v_sub_f32_e32 v3, v6, v4
	s_delay_alu instid0(VALU_DEP_1) | instskip(SKIP_1) | instid1(VALU_DEP_2)
	v_mul_f32_e32 v6, 0x3fb8aa3b, v3
	v_cmp_ngt_f32_e64 s6, 0xc2ce8ed0, v3
	v_fma_f32 v9, 0x3fb8aa3b, v3, -v6
	v_rndne_f32_e32 v10, v6
	s_delay_alu instid0(VALU_DEP_1) | instskip(NEXT) | instid1(VALU_DEP_1)
	v_dual_fmamk_f32 v9, v3, 0x32a5705f, v9 :: v_dual_sub_f32 v6, v6, v10
	v_add_f32_e32 v6, v6, v9
	v_cvt_i32_f32_e32 v9, v10
	s_delay_alu instid0(VALU_DEP_2) | instskip(SKIP_2) | instid1(VALU_DEP_1)
	v_exp_f32_e32 v6, v6
	s_waitcnt_depctr 0xfff
	v_ldexp_f32 v6, v6, v9
	v_cndmask_b32_e64 v6, 0, v6, s6
	v_cmp_nlt_f32_e64 s6, 0x42b17218, v3
	s_delay_alu instid0(VALU_DEP_1) | instskip(NEXT) | instid1(VALU_DEP_1)
	v_cndmask_b32_e64 v3, 0x7f800000, v6, s6
	v_add_f32_e32 v6, 1.0, v3
	v_cmp_gt_f32_e64 s9, 0x33800000, |v3|
	s_delay_alu instid0(VALU_DEP_2) | instskip(NEXT) | instid1(VALU_DEP_1)
	v_cvt_f64_f32_e32 v[9:10], v6
	v_frexp_exp_i32_f64_e32 v9, v[9:10]
	v_frexp_mant_f32_e32 v10, v6
	s_delay_alu instid0(VALU_DEP_1) | instskip(SKIP_1) | instid1(VALU_DEP_1)
	v_cmp_gt_f32_e64 s6, 0x3f2aaaab, v10
	v_add_f32_e32 v10, -1.0, v6
	v_sub_f32_e32 v12, v10, v6
	v_sub_f32_e32 v10, v3, v10
	s_delay_alu instid0(VALU_DEP_4) | instskip(SKIP_1) | instid1(VALU_DEP_1)
	v_subrev_co_ci_u32_e64 v9, s6, 0, v9, s6
	s_mov_b32 s6, 0x3e9b6dac
	v_sub_nc_u32_e32 v11, 0, v9
	v_cvt_f32_i32_e32 v9, v9
	s_delay_alu instid0(VALU_DEP_2) | instskip(NEXT) | instid1(VALU_DEP_1)
	v_ldexp_f32 v6, v6, v11
	v_dual_add_f32 v12, 1.0, v12 :: v_dual_add_f32 v23, 1.0, v6
	s_delay_alu instid0(VALU_DEP_1) | instskip(NEXT) | instid1(VALU_DEP_1)
	v_add_f32_e32 v10, v10, v12
	v_ldexp_f32 v10, v10, v11
	s_delay_alu instid0(VALU_DEP_3) | instskip(NEXT) | instid1(VALU_DEP_1)
	v_dual_add_f32 v11, -1.0, v6 :: v_dual_add_f32 v12, -1.0, v23
	v_add_f32_e32 v24, 1.0, v11
	s_delay_alu instid0(VALU_DEP_2) | instskip(NEXT) | instid1(VALU_DEP_2)
	v_sub_f32_e32 v12, v6, v12
	v_sub_f32_e32 v6, v6, v24
	s_delay_alu instid0(VALU_DEP_1) | instskip(NEXT) | instid1(VALU_DEP_1)
	v_add_f32_e32 v6, v10, v6
	v_add_f32_e32 v25, v11, v6
	s_delay_alu instid0(VALU_DEP_1) | instskip(NEXT) | instid1(VALU_DEP_1)
	v_dual_sub_f32 v11, v11, v25 :: v_dual_add_f32 v12, v10, v12
	v_add_f32_e32 v6, v6, v11
	s_delay_alu instid0(VALU_DEP_2) | instskip(NEXT) | instid1(VALU_DEP_1)
	v_add_f32_e32 v24, v23, v12
	v_rcp_f32_e32 v10, v24
	v_sub_f32_e32 v23, v23, v24
	s_delay_alu instid0(VALU_DEP_1) | instskip(SKIP_2) | instid1(VALU_DEP_1)
	v_add_f32_e32 v12, v12, v23
	s_waitcnt_depctr 0xfff
	v_mul_f32_e32 v26, v25, v10
	v_mul_f32_e32 v27, v24, v26
	s_delay_alu instid0(VALU_DEP_1) | instskip(NEXT) | instid1(VALU_DEP_1)
	v_fma_f32 v23, v26, v24, -v27
	v_fmac_f32_e32 v23, v26, v12
	s_delay_alu instid0(VALU_DEP_1) | instskip(NEXT) | instid1(VALU_DEP_1)
	v_add_f32_e32 v28, v27, v23
	v_sub_f32_e32 v29, v25, v28
	v_sub_f32_e32 v11, v28, v27
	s_delay_alu instid0(VALU_DEP_2) | instskip(NEXT) | instid1(VALU_DEP_2)
	v_sub_f32_e32 v25, v25, v29
	v_sub_f32_e32 v11, v11, v23
	s_delay_alu instid0(VALU_DEP_2) | instskip(NEXT) | instid1(VALU_DEP_1)
	v_sub_f32_e32 v25, v25, v28
	v_add_f32_e32 v6, v6, v25
	s_delay_alu instid0(VALU_DEP_1) | instskip(NEXT) | instid1(VALU_DEP_1)
	v_add_f32_e32 v6, v11, v6
	v_add_f32_e32 v11, v29, v6
	s_delay_alu instid0(VALU_DEP_1) | instskip(NEXT) | instid1(VALU_DEP_1)
	v_mul_f32_e32 v23, v10, v11
	v_mul_f32_e32 v25, v24, v23
	s_delay_alu instid0(VALU_DEP_1) | instskip(NEXT) | instid1(VALU_DEP_1)
	v_fma_f32 v24, v23, v24, -v25
	v_fmac_f32_e32 v24, v23, v12
	s_delay_alu instid0(VALU_DEP_1) | instskip(NEXT) | instid1(VALU_DEP_1)
	v_add_f32_e32 v12, v25, v24
	v_dual_sub_f32 v28, v29, v11 :: v_dual_sub_f32 v27, v11, v12
	v_sub_f32_e32 v25, v12, v25
	s_delay_alu instid0(VALU_DEP_2) | instskip(NEXT) | instid1(VALU_DEP_1)
	v_sub_f32_e32 v11, v11, v27
	v_sub_f32_e32 v11, v11, v12
	s_delay_alu instid0(VALU_DEP_4) | instskip(NEXT) | instid1(VALU_DEP_4)
	v_add_f32_e32 v6, v6, v28
	v_sub_f32_e32 v12, v25, v24
	s_delay_alu instid0(VALU_DEP_2) | instskip(NEXT) | instid1(VALU_DEP_1)
	v_add_f32_e32 v6, v6, v11
	v_dual_add_f32 v11, v26, v23 :: v_dual_add_f32 v6, v12, v6
	s_delay_alu instid0(VALU_DEP_1) | instskip(NEXT) | instid1(VALU_DEP_2)
	v_sub_f32_e32 v12, v11, v26
	v_add_f32_e32 v6, v27, v6
	s_delay_alu instid0(VALU_DEP_2) | instskip(NEXT) | instid1(VALU_DEP_2)
	v_sub_f32_e32 v12, v23, v12
	v_mul_f32_e32 v6, v10, v6
	s_delay_alu instid0(VALU_DEP_1) | instskip(NEXT) | instid1(VALU_DEP_1)
	v_add_f32_e32 v6, v12, v6
	v_add_f32_e32 v10, v11, v6
	s_delay_alu instid0(VALU_DEP_1) | instskip(NEXT) | instid1(VALU_DEP_1)
	v_mul_f32_e32 v12, v10, v10
	v_fmaak_f32 v23, s6, v12, 0x3ecc95a3
	v_mul_f32_e32 v24, v10, v12
	v_cmp_eq_f32_e64 s6, 0x7f800000, v3
	s_delay_alu instid0(VALU_DEP_3) | instskip(SKIP_2) | instid1(VALU_DEP_4)
	v_fmaak_f32 v12, v12, v23, 0x3f2aaada
	v_ldexp_f32 v23, v10, 1
	v_sub_f32_e32 v10, v10, v11
	s_or_b32 s6, s6, s9
	s_delay_alu instid0(VALU_DEP_3) | instskip(SKIP_1) | instid1(VALU_DEP_2)
	v_mul_f32_e32 v12, v24, v12
	v_mul_f32_e32 v24, 0x3f317218, v9
	v_dual_sub_f32 v6, v6, v10 :: v_dual_add_f32 v11, v23, v12
	s_delay_alu instid0(VALU_DEP_1) | instskip(NEXT) | instid1(VALU_DEP_2)
	v_ldexp_f32 v6, v6, 1
	v_sub_f32_e32 v10, v11, v23
	s_delay_alu instid0(VALU_DEP_4) | instskip(NEXT) | instid1(VALU_DEP_1)
	v_fma_f32 v23, 0x3f317218, v9, -v24
	v_dual_sub_f32 v10, v12, v10 :: v_dual_fmamk_f32 v9, v9, 0xb102e308, v23
	s_delay_alu instid0(VALU_DEP_1) | instskip(NEXT) | instid1(VALU_DEP_2)
	v_add_f32_e32 v6, v6, v10
	v_add_f32_e32 v10, v24, v9
	s_delay_alu instid0(VALU_DEP_2) | instskip(NEXT) | instid1(VALU_DEP_2)
	v_add_f32_e32 v12, v11, v6
	v_sub_f32_e32 v24, v10, v24
	s_delay_alu instid0(VALU_DEP_2) | instskip(SKIP_1) | instid1(VALU_DEP_3)
	v_add_f32_e32 v23, v10, v12
	v_sub_f32_e32 v11, v12, v11
	v_sub_f32_e32 v9, v9, v24
	s_delay_alu instid0(VALU_DEP_2) | instskip(NEXT) | instid1(VALU_DEP_1)
	v_dual_sub_f32 v25, v23, v10 :: v_dual_sub_f32 v6, v6, v11
	v_sub_f32_e32 v26, v23, v25
	s_delay_alu instid0(VALU_DEP_2) | instskip(NEXT) | instid1(VALU_DEP_2)
	v_dual_sub_f32 v11, v12, v25 :: v_dual_add_f32 v12, v9, v6
	v_sub_f32_e32 v10, v10, v26
	s_delay_alu instid0(VALU_DEP_1) | instskip(NEXT) | instid1(VALU_DEP_1)
	v_dual_add_f32 v10, v11, v10 :: v_dual_sub_f32 v11, v12, v9
	v_add_f32_e32 v10, v12, v10
	s_delay_alu instid0(VALU_DEP_2) | instskip(SKIP_1) | instid1(VALU_DEP_2)
	v_sub_f32_e32 v12, v12, v11
	v_sub_f32_e32 v6, v6, v11
	v_dual_add_f32 v24, v23, v10 :: v_dual_sub_f32 v9, v9, v12
	s_delay_alu instid0(VALU_DEP_1) | instskip(NEXT) | instid1(VALU_DEP_1)
	v_dual_sub_f32 v11, v24, v23 :: v_dual_add_f32 v6, v6, v9
	v_sub_f32_e32 v9, v10, v11
	s_delay_alu instid0(VALU_DEP_1) | instskip(NEXT) | instid1(VALU_DEP_1)
	v_add_f32_e32 v6, v6, v9
	v_add_f32_e32 v6, v24, v6
	s_delay_alu instid0(VALU_DEP_1) | instskip(NEXT) | instid1(VALU_DEP_1)
	v_cndmask_b32_e64 v3, v6, v3, s6
	v_add_f32_e32 v3, v4, v3
.LBB99_63:
	s_or_b32 exec_lo, exec_lo, s7
	ds_load_b32 v4, v5 offset:24
	v_max_f32_e32 v6, v3, v3
	v_cmp_u_f32_e64 s6, v3, v3
	ds_store_b32 v5, v3 offset:20
	s_waitcnt lgkmcnt(1)
	v_max_f32_e32 v9, v4, v4
	s_delay_alu instid0(VALU_DEP_1) | instskip(SKIP_1) | instid1(VALU_DEP_2)
	v_min_f32_e32 v10, v6, v9
	v_max_f32_e32 v6, v6, v9
	v_cndmask_b32_e64 v9, v10, v3, s6
	s_delay_alu instid0(VALU_DEP_2) | instskip(SKIP_1) | instid1(VALU_DEP_1)
	v_cndmask_b32_e64 v10, v6, v3, s6
	v_cmp_u_f32_e64 s6, v4, v4
	v_cndmask_b32_e64 v6, v9, v4, s6
	s_delay_alu instid0(VALU_DEP_3) | instskip(NEXT) | instid1(VALU_DEP_2)
	v_cndmask_b32_e64 v4, v10, v4, s6
	v_cmp_class_f32_e64 s7, v6, 0x1f8
	s_delay_alu instid0(VALU_DEP_2) | instskip(NEXT) | instid1(VALU_DEP_1)
	v_cmp_neq_f32_e64 s6, v6, v4
	s_or_b32 s6, s6, s7
	s_delay_alu instid0(SALU_CYCLE_1)
	s_and_saveexec_b32 s7, s6
	s_cbranch_execz .LBB99_65
; %bb.64:
	v_sub_f32_e32 v3, v6, v4
	s_delay_alu instid0(VALU_DEP_1) | instskip(SKIP_1) | instid1(VALU_DEP_2)
	v_mul_f32_e32 v6, 0x3fb8aa3b, v3
	v_cmp_ngt_f32_e64 s6, 0xc2ce8ed0, v3
	v_fma_f32 v9, 0x3fb8aa3b, v3, -v6
	v_rndne_f32_e32 v10, v6
	s_delay_alu instid0(VALU_DEP_1) | instskip(NEXT) | instid1(VALU_DEP_1)
	v_dual_fmamk_f32 v9, v3, 0x32a5705f, v9 :: v_dual_sub_f32 v6, v6, v10
	v_add_f32_e32 v6, v6, v9
	v_cvt_i32_f32_e32 v9, v10
	s_delay_alu instid0(VALU_DEP_2) | instskip(SKIP_2) | instid1(VALU_DEP_1)
	v_exp_f32_e32 v6, v6
	s_waitcnt_depctr 0xfff
	v_ldexp_f32 v6, v6, v9
	v_cndmask_b32_e64 v6, 0, v6, s6
	v_cmp_nlt_f32_e64 s6, 0x42b17218, v3
	s_delay_alu instid0(VALU_DEP_1) | instskip(NEXT) | instid1(VALU_DEP_1)
	v_cndmask_b32_e64 v3, 0x7f800000, v6, s6
	v_add_f32_e32 v6, 1.0, v3
	v_cmp_gt_f32_e64 s9, 0x33800000, |v3|
	s_delay_alu instid0(VALU_DEP_2) | instskip(NEXT) | instid1(VALU_DEP_1)
	v_cvt_f64_f32_e32 v[9:10], v6
	v_frexp_exp_i32_f64_e32 v9, v[9:10]
	v_frexp_mant_f32_e32 v10, v6
	s_delay_alu instid0(VALU_DEP_1) | instskip(SKIP_1) | instid1(VALU_DEP_1)
	v_cmp_gt_f32_e64 s6, 0x3f2aaaab, v10
	v_add_f32_e32 v10, -1.0, v6
	v_sub_f32_e32 v12, v10, v6
	v_sub_f32_e32 v10, v3, v10
	s_delay_alu instid0(VALU_DEP_4) | instskip(SKIP_1) | instid1(VALU_DEP_1)
	v_subrev_co_ci_u32_e64 v9, s6, 0, v9, s6
	s_mov_b32 s6, 0x3e9b6dac
	v_sub_nc_u32_e32 v11, 0, v9
	v_cvt_f32_i32_e32 v9, v9
	s_delay_alu instid0(VALU_DEP_2) | instskip(NEXT) | instid1(VALU_DEP_1)
	v_ldexp_f32 v6, v6, v11
	v_dual_add_f32 v12, 1.0, v12 :: v_dual_add_f32 v23, 1.0, v6
	s_delay_alu instid0(VALU_DEP_1) | instskip(NEXT) | instid1(VALU_DEP_1)
	v_add_f32_e32 v10, v10, v12
	v_ldexp_f32 v10, v10, v11
	s_delay_alu instid0(VALU_DEP_3) | instskip(NEXT) | instid1(VALU_DEP_1)
	v_dual_add_f32 v11, -1.0, v6 :: v_dual_add_f32 v12, -1.0, v23
	v_add_f32_e32 v24, 1.0, v11
	s_delay_alu instid0(VALU_DEP_2) | instskip(NEXT) | instid1(VALU_DEP_2)
	v_sub_f32_e32 v12, v6, v12
	v_sub_f32_e32 v6, v6, v24
	s_delay_alu instid0(VALU_DEP_1) | instskip(NEXT) | instid1(VALU_DEP_1)
	v_add_f32_e32 v6, v10, v6
	v_add_f32_e32 v25, v11, v6
	s_delay_alu instid0(VALU_DEP_1) | instskip(NEXT) | instid1(VALU_DEP_1)
	v_dual_sub_f32 v11, v11, v25 :: v_dual_add_f32 v12, v10, v12
	v_add_f32_e32 v6, v6, v11
	s_delay_alu instid0(VALU_DEP_2) | instskip(NEXT) | instid1(VALU_DEP_1)
	v_add_f32_e32 v24, v23, v12
	v_rcp_f32_e32 v10, v24
	v_sub_f32_e32 v23, v23, v24
	s_delay_alu instid0(VALU_DEP_1) | instskip(SKIP_2) | instid1(VALU_DEP_1)
	v_add_f32_e32 v12, v12, v23
	s_waitcnt_depctr 0xfff
	v_mul_f32_e32 v26, v25, v10
	v_mul_f32_e32 v27, v24, v26
	s_delay_alu instid0(VALU_DEP_1) | instskip(NEXT) | instid1(VALU_DEP_1)
	v_fma_f32 v23, v26, v24, -v27
	v_fmac_f32_e32 v23, v26, v12
	s_delay_alu instid0(VALU_DEP_1) | instskip(NEXT) | instid1(VALU_DEP_1)
	v_add_f32_e32 v28, v27, v23
	v_sub_f32_e32 v29, v25, v28
	v_sub_f32_e32 v11, v28, v27
	s_delay_alu instid0(VALU_DEP_2) | instskip(NEXT) | instid1(VALU_DEP_2)
	v_sub_f32_e32 v25, v25, v29
	v_sub_f32_e32 v11, v11, v23
	s_delay_alu instid0(VALU_DEP_2) | instskip(NEXT) | instid1(VALU_DEP_1)
	v_sub_f32_e32 v25, v25, v28
	v_add_f32_e32 v6, v6, v25
	s_delay_alu instid0(VALU_DEP_1) | instskip(NEXT) | instid1(VALU_DEP_1)
	v_add_f32_e32 v6, v11, v6
	v_add_f32_e32 v11, v29, v6
	s_delay_alu instid0(VALU_DEP_1) | instskip(NEXT) | instid1(VALU_DEP_1)
	v_mul_f32_e32 v23, v10, v11
	v_mul_f32_e32 v25, v24, v23
	s_delay_alu instid0(VALU_DEP_1) | instskip(NEXT) | instid1(VALU_DEP_1)
	v_fma_f32 v24, v23, v24, -v25
	v_fmac_f32_e32 v24, v23, v12
	s_delay_alu instid0(VALU_DEP_1) | instskip(NEXT) | instid1(VALU_DEP_1)
	v_add_f32_e32 v12, v25, v24
	v_dual_sub_f32 v28, v29, v11 :: v_dual_sub_f32 v27, v11, v12
	v_sub_f32_e32 v25, v12, v25
	s_delay_alu instid0(VALU_DEP_2) | instskip(NEXT) | instid1(VALU_DEP_1)
	v_sub_f32_e32 v11, v11, v27
	v_sub_f32_e32 v11, v11, v12
	s_delay_alu instid0(VALU_DEP_4) | instskip(NEXT) | instid1(VALU_DEP_4)
	v_add_f32_e32 v6, v6, v28
	v_sub_f32_e32 v12, v25, v24
	s_delay_alu instid0(VALU_DEP_2) | instskip(NEXT) | instid1(VALU_DEP_1)
	v_add_f32_e32 v6, v6, v11
	v_dual_add_f32 v11, v26, v23 :: v_dual_add_f32 v6, v12, v6
	s_delay_alu instid0(VALU_DEP_1) | instskip(NEXT) | instid1(VALU_DEP_2)
	v_sub_f32_e32 v12, v11, v26
	v_add_f32_e32 v6, v27, v6
	s_delay_alu instid0(VALU_DEP_2) | instskip(NEXT) | instid1(VALU_DEP_2)
	v_sub_f32_e32 v12, v23, v12
	v_mul_f32_e32 v6, v10, v6
	s_delay_alu instid0(VALU_DEP_1) | instskip(NEXT) | instid1(VALU_DEP_1)
	v_add_f32_e32 v6, v12, v6
	v_add_f32_e32 v10, v11, v6
	s_delay_alu instid0(VALU_DEP_1) | instskip(NEXT) | instid1(VALU_DEP_1)
	v_mul_f32_e32 v12, v10, v10
	v_fmaak_f32 v23, s6, v12, 0x3ecc95a3
	v_mul_f32_e32 v24, v10, v12
	v_cmp_eq_f32_e64 s6, 0x7f800000, v3
	s_delay_alu instid0(VALU_DEP_3) | instskip(SKIP_2) | instid1(VALU_DEP_4)
	v_fmaak_f32 v12, v12, v23, 0x3f2aaada
	v_ldexp_f32 v23, v10, 1
	v_sub_f32_e32 v10, v10, v11
	s_or_b32 s6, s6, s9
	s_delay_alu instid0(VALU_DEP_3) | instskip(SKIP_1) | instid1(VALU_DEP_2)
	v_mul_f32_e32 v12, v24, v12
	v_mul_f32_e32 v24, 0x3f317218, v9
	v_dual_sub_f32 v6, v6, v10 :: v_dual_add_f32 v11, v23, v12
	s_delay_alu instid0(VALU_DEP_1) | instskip(NEXT) | instid1(VALU_DEP_2)
	v_ldexp_f32 v6, v6, 1
	v_sub_f32_e32 v10, v11, v23
	s_delay_alu instid0(VALU_DEP_4) | instskip(NEXT) | instid1(VALU_DEP_1)
	v_fma_f32 v23, 0x3f317218, v9, -v24
	v_dual_sub_f32 v10, v12, v10 :: v_dual_fmamk_f32 v9, v9, 0xb102e308, v23
	s_delay_alu instid0(VALU_DEP_1) | instskip(NEXT) | instid1(VALU_DEP_2)
	v_add_f32_e32 v6, v6, v10
	v_add_f32_e32 v10, v24, v9
	s_delay_alu instid0(VALU_DEP_2) | instskip(NEXT) | instid1(VALU_DEP_2)
	v_add_f32_e32 v12, v11, v6
	v_sub_f32_e32 v24, v10, v24
	s_delay_alu instid0(VALU_DEP_2) | instskip(SKIP_1) | instid1(VALU_DEP_3)
	v_add_f32_e32 v23, v10, v12
	v_sub_f32_e32 v11, v12, v11
	v_sub_f32_e32 v9, v9, v24
	s_delay_alu instid0(VALU_DEP_2) | instskip(NEXT) | instid1(VALU_DEP_1)
	v_dual_sub_f32 v25, v23, v10 :: v_dual_sub_f32 v6, v6, v11
	v_sub_f32_e32 v26, v23, v25
	s_delay_alu instid0(VALU_DEP_2) | instskip(NEXT) | instid1(VALU_DEP_2)
	v_dual_sub_f32 v11, v12, v25 :: v_dual_add_f32 v12, v9, v6
	v_sub_f32_e32 v10, v10, v26
	s_delay_alu instid0(VALU_DEP_1) | instskip(NEXT) | instid1(VALU_DEP_1)
	v_dual_add_f32 v10, v11, v10 :: v_dual_sub_f32 v11, v12, v9
	v_add_f32_e32 v10, v12, v10
	s_delay_alu instid0(VALU_DEP_2) | instskip(SKIP_1) | instid1(VALU_DEP_2)
	v_sub_f32_e32 v12, v12, v11
	v_sub_f32_e32 v6, v6, v11
	v_dual_add_f32 v24, v23, v10 :: v_dual_sub_f32 v9, v9, v12
	s_delay_alu instid0(VALU_DEP_1) | instskip(NEXT) | instid1(VALU_DEP_1)
	v_dual_sub_f32 v11, v24, v23 :: v_dual_add_f32 v6, v6, v9
	v_sub_f32_e32 v9, v10, v11
	s_delay_alu instid0(VALU_DEP_1) | instskip(NEXT) | instid1(VALU_DEP_1)
	v_add_f32_e32 v6, v6, v9
	v_add_f32_e32 v6, v24, v6
	s_delay_alu instid0(VALU_DEP_1) | instskip(NEXT) | instid1(VALU_DEP_1)
	v_cndmask_b32_e64 v3, v6, v3, s6
	v_add_f32_e32 v3, v4, v3
.LBB99_65:
	s_or_b32 exec_lo, exec_lo, s7
	ds_load_b32 v4, v5 offset:28
	v_max_f32_e32 v6, v3, v3
	v_cmp_u_f32_e64 s6, v3, v3
	ds_store_b32 v5, v3 offset:24
	s_waitcnt lgkmcnt(1)
	v_max_f32_e32 v9, v4, v4
	s_delay_alu instid0(VALU_DEP_1) | instskip(SKIP_1) | instid1(VALU_DEP_2)
	v_min_f32_e32 v10, v6, v9
	v_max_f32_e32 v6, v6, v9
	v_cndmask_b32_e64 v9, v10, v3, s6
	s_delay_alu instid0(VALU_DEP_2) | instskip(SKIP_1) | instid1(VALU_DEP_1)
	v_cndmask_b32_e64 v10, v6, v3, s6
	v_cmp_u_f32_e64 s6, v4, v4
	v_cndmask_b32_e64 v6, v9, v4, s6
	s_delay_alu instid0(VALU_DEP_3) | instskip(NEXT) | instid1(VALU_DEP_2)
	v_cndmask_b32_e64 v4, v10, v4, s6
	v_cmp_class_f32_e64 s7, v6, 0x1f8
	s_delay_alu instid0(VALU_DEP_2) | instskip(NEXT) | instid1(VALU_DEP_1)
	v_cmp_neq_f32_e64 s6, v6, v4
	s_or_b32 s6, s6, s7
	s_delay_alu instid0(SALU_CYCLE_1)
	s_and_saveexec_b32 s7, s6
	s_cbranch_execz .LBB99_67
; %bb.66:
	v_sub_f32_e32 v3, v6, v4
	s_delay_alu instid0(VALU_DEP_1) | instskip(SKIP_1) | instid1(VALU_DEP_2)
	v_mul_f32_e32 v6, 0x3fb8aa3b, v3
	v_cmp_ngt_f32_e64 s6, 0xc2ce8ed0, v3
	v_fma_f32 v9, 0x3fb8aa3b, v3, -v6
	v_rndne_f32_e32 v10, v6
	s_delay_alu instid0(VALU_DEP_1) | instskip(NEXT) | instid1(VALU_DEP_1)
	v_dual_fmamk_f32 v9, v3, 0x32a5705f, v9 :: v_dual_sub_f32 v6, v6, v10
	v_add_f32_e32 v6, v6, v9
	v_cvt_i32_f32_e32 v9, v10
	s_delay_alu instid0(VALU_DEP_2) | instskip(SKIP_2) | instid1(VALU_DEP_1)
	v_exp_f32_e32 v6, v6
	s_waitcnt_depctr 0xfff
	v_ldexp_f32 v6, v6, v9
	v_cndmask_b32_e64 v6, 0, v6, s6
	v_cmp_nlt_f32_e64 s6, 0x42b17218, v3
	s_delay_alu instid0(VALU_DEP_1) | instskip(NEXT) | instid1(VALU_DEP_1)
	v_cndmask_b32_e64 v3, 0x7f800000, v6, s6
	v_add_f32_e32 v6, 1.0, v3
	v_cmp_gt_f32_e64 s9, 0x33800000, |v3|
	s_delay_alu instid0(VALU_DEP_2) | instskip(NEXT) | instid1(VALU_DEP_1)
	v_cvt_f64_f32_e32 v[9:10], v6
	v_frexp_exp_i32_f64_e32 v9, v[9:10]
	v_frexp_mant_f32_e32 v10, v6
	s_delay_alu instid0(VALU_DEP_1) | instskip(SKIP_1) | instid1(VALU_DEP_1)
	v_cmp_gt_f32_e64 s6, 0x3f2aaaab, v10
	v_add_f32_e32 v10, -1.0, v6
	v_sub_f32_e32 v12, v10, v6
	v_sub_f32_e32 v10, v3, v10
	s_delay_alu instid0(VALU_DEP_4) | instskip(SKIP_1) | instid1(VALU_DEP_1)
	v_subrev_co_ci_u32_e64 v9, s6, 0, v9, s6
	s_mov_b32 s6, 0x3e9b6dac
	v_sub_nc_u32_e32 v11, 0, v9
	v_cvt_f32_i32_e32 v9, v9
	s_delay_alu instid0(VALU_DEP_2) | instskip(NEXT) | instid1(VALU_DEP_1)
	v_ldexp_f32 v6, v6, v11
	v_dual_add_f32 v12, 1.0, v12 :: v_dual_add_f32 v23, 1.0, v6
	s_delay_alu instid0(VALU_DEP_1) | instskip(NEXT) | instid1(VALU_DEP_1)
	v_add_f32_e32 v10, v10, v12
	v_ldexp_f32 v10, v10, v11
	s_delay_alu instid0(VALU_DEP_3) | instskip(NEXT) | instid1(VALU_DEP_1)
	v_dual_add_f32 v11, -1.0, v6 :: v_dual_add_f32 v12, -1.0, v23
	v_add_f32_e32 v24, 1.0, v11
	s_delay_alu instid0(VALU_DEP_2) | instskip(NEXT) | instid1(VALU_DEP_2)
	v_sub_f32_e32 v12, v6, v12
	v_sub_f32_e32 v6, v6, v24
	s_delay_alu instid0(VALU_DEP_1) | instskip(NEXT) | instid1(VALU_DEP_1)
	v_add_f32_e32 v6, v10, v6
	v_add_f32_e32 v25, v11, v6
	s_delay_alu instid0(VALU_DEP_1) | instskip(NEXT) | instid1(VALU_DEP_1)
	v_dual_sub_f32 v11, v11, v25 :: v_dual_add_f32 v12, v10, v12
	v_add_f32_e32 v6, v6, v11
	s_delay_alu instid0(VALU_DEP_2) | instskip(NEXT) | instid1(VALU_DEP_1)
	v_add_f32_e32 v24, v23, v12
	v_rcp_f32_e32 v10, v24
	v_sub_f32_e32 v23, v23, v24
	s_delay_alu instid0(VALU_DEP_1) | instskip(SKIP_2) | instid1(VALU_DEP_1)
	v_add_f32_e32 v12, v12, v23
	s_waitcnt_depctr 0xfff
	v_mul_f32_e32 v26, v25, v10
	v_mul_f32_e32 v27, v24, v26
	s_delay_alu instid0(VALU_DEP_1) | instskip(NEXT) | instid1(VALU_DEP_1)
	v_fma_f32 v23, v26, v24, -v27
	v_fmac_f32_e32 v23, v26, v12
	s_delay_alu instid0(VALU_DEP_1) | instskip(NEXT) | instid1(VALU_DEP_1)
	v_add_f32_e32 v28, v27, v23
	v_sub_f32_e32 v29, v25, v28
	v_sub_f32_e32 v11, v28, v27
	s_delay_alu instid0(VALU_DEP_2) | instskip(NEXT) | instid1(VALU_DEP_2)
	v_sub_f32_e32 v25, v25, v29
	v_sub_f32_e32 v11, v11, v23
	s_delay_alu instid0(VALU_DEP_2) | instskip(NEXT) | instid1(VALU_DEP_1)
	v_sub_f32_e32 v25, v25, v28
	v_add_f32_e32 v6, v6, v25
	s_delay_alu instid0(VALU_DEP_1) | instskip(NEXT) | instid1(VALU_DEP_1)
	v_add_f32_e32 v6, v11, v6
	v_add_f32_e32 v11, v29, v6
	s_delay_alu instid0(VALU_DEP_1) | instskip(NEXT) | instid1(VALU_DEP_1)
	v_mul_f32_e32 v23, v10, v11
	v_mul_f32_e32 v25, v24, v23
	s_delay_alu instid0(VALU_DEP_1) | instskip(NEXT) | instid1(VALU_DEP_1)
	v_fma_f32 v24, v23, v24, -v25
	v_fmac_f32_e32 v24, v23, v12
	s_delay_alu instid0(VALU_DEP_1) | instskip(NEXT) | instid1(VALU_DEP_1)
	v_add_f32_e32 v12, v25, v24
	v_dual_sub_f32 v28, v29, v11 :: v_dual_sub_f32 v27, v11, v12
	v_sub_f32_e32 v25, v12, v25
	s_delay_alu instid0(VALU_DEP_2) | instskip(NEXT) | instid1(VALU_DEP_1)
	v_sub_f32_e32 v11, v11, v27
	v_sub_f32_e32 v11, v11, v12
	s_delay_alu instid0(VALU_DEP_4) | instskip(NEXT) | instid1(VALU_DEP_4)
	v_add_f32_e32 v6, v6, v28
	v_sub_f32_e32 v12, v25, v24
	s_delay_alu instid0(VALU_DEP_2) | instskip(NEXT) | instid1(VALU_DEP_1)
	v_add_f32_e32 v6, v6, v11
	v_dual_add_f32 v11, v26, v23 :: v_dual_add_f32 v6, v12, v6
	s_delay_alu instid0(VALU_DEP_1) | instskip(NEXT) | instid1(VALU_DEP_2)
	v_sub_f32_e32 v12, v11, v26
	v_add_f32_e32 v6, v27, v6
	s_delay_alu instid0(VALU_DEP_2) | instskip(NEXT) | instid1(VALU_DEP_2)
	v_sub_f32_e32 v12, v23, v12
	v_mul_f32_e32 v6, v10, v6
	s_delay_alu instid0(VALU_DEP_1) | instskip(NEXT) | instid1(VALU_DEP_1)
	v_add_f32_e32 v6, v12, v6
	v_add_f32_e32 v10, v11, v6
	s_delay_alu instid0(VALU_DEP_1) | instskip(NEXT) | instid1(VALU_DEP_1)
	v_mul_f32_e32 v12, v10, v10
	v_fmaak_f32 v23, s6, v12, 0x3ecc95a3
	v_mul_f32_e32 v24, v10, v12
	v_cmp_eq_f32_e64 s6, 0x7f800000, v3
	s_delay_alu instid0(VALU_DEP_3) | instskip(SKIP_2) | instid1(VALU_DEP_4)
	v_fmaak_f32 v12, v12, v23, 0x3f2aaada
	v_ldexp_f32 v23, v10, 1
	v_sub_f32_e32 v10, v10, v11
	s_or_b32 s6, s6, s9
	s_delay_alu instid0(VALU_DEP_3) | instskip(SKIP_1) | instid1(VALU_DEP_2)
	v_mul_f32_e32 v12, v24, v12
	v_mul_f32_e32 v24, 0x3f317218, v9
	v_dual_sub_f32 v6, v6, v10 :: v_dual_add_f32 v11, v23, v12
	s_delay_alu instid0(VALU_DEP_1) | instskip(NEXT) | instid1(VALU_DEP_2)
	v_ldexp_f32 v6, v6, 1
	v_sub_f32_e32 v10, v11, v23
	s_delay_alu instid0(VALU_DEP_4) | instskip(NEXT) | instid1(VALU_DEP_1)
	v_fma_f32 v23, 0x3f317218, v9, -v24
	v_dual_sub_f32 v10, v12, v10 :: v_dual_fmamk_f32 v9, v9, 0xb102e308, v23
	s_delay_alu instid0(VALU_DEP_1) | instskip(NEXT) | instid1(VALU_DEP_2)
	v_add_f32_e32 v6, v6, v10
	v_add_f32_e32 v10, v24, v9
	s_delay_alu instid0(VALU_DEP_2) | instskip(NEXT) | instid1(VALU_DEP_2)
	v_add_f32_e32 v12, v11, v6
	v_sub_f32_e32 v24, v10, v24
	s_delay_alu instid0(VALU_DEP_2) | instskip(SKIP_1) | instid1(VALU_DEP_3)
	v_add_f32_e32 v23, v10, v12
	v_sub_f32_e32 v11, v12, v11
	v_sub_f32_e32 v9, v9, v24
	s_delay_alu instid0(VALU_DEP_2) | instskip(NEXT) | instid1(VALU_DEP_1)
	v_dual_sub_f32 v25, v23, v10 :: v_dual_sub_f32 v6, v6, v11
	v_sub_f32_e32 v26, v23, v25
	s_delay_alu instid0(VALU_DEP_2) | instskip(NEXT) | instid1(VALU_DEP_2)
	v_dual_sub_f32 v11, v12, v25 :: v_dual_add_f32 v12, v9, v6
	v_sub_f32_e32 v10, v10, v26
	s_delay_alu instid0(VALU_DEP_1) | instskip(NEXT) | instid1(VALU_DEP_1)
	v_dual_add_f32 v10, v11, v10 :: v_dual_sub_f32 v11, v12, v9
	v_add_f32_e32 v10, v12, v10
	s_delay_alu instid0(VALU_DEP_2) | instskip(SKIP_1) | instid1(VALU_DEP_2)
	v_sub_f32_e32 v12, v12, v11
	v_sub_f32_e32 v6, v6, v11
	v_dual_add_f32 v24, v23, v10 :: v_dual_sub_f32 v9, v9, v12
	s_delay_alu instid0(VALU_DEP_1) | instskip(NEXT) | instid1(VALU_DEP_1)
	v_dual_sub_f32 v11, v24, v23 :: v_dual_add_f32 v6, v6, v9
	v_sub_f32_e32 v9, v10, v11
	s_delay_alu instid0(VALU_DEP_1) | instskip(NEXT) | instid1(VALU_DEP_1)
	v_add_f32_e32 v6, v6, v9
	v_add_f32_e32 v6, v24, v6
	s_delay_alu instid0(VALU_DEP_1) | instskip(NEXT) | instid1(VALU_DEP_1)
	v_cndmask_b32_e64 v3, v6, v3, s6
	v_add_f32_e32 v3, v4, v3
.LBB99_67:
	s_or_b32 exec_lo, exec_lo, s7
	ds_store_b32 v5, v3 offset:28
.LBB99_68:
	s_or_b32 exec_lo, exec_lo, s8
	v_cmp_eq_u32_e64 s7, 0, v0
	v_cmp_ne_u32_e64 s6, 0, v0
	s_waitcnt lgkmcnt(0)
	s_barrier
	buffer_gl0_inv
	s_and_saveexec_b32 s8, s6
	s_cbranch_execz .LBB99_70
; %bb.69:
	v_add_nc_u32_e32 v3, -1, v0
	s_delay_alu instid0(VALU_DEP_1) | instskip(NEXT) | instid1(VALU_DEP_1)
	v_lshrrev_b32_e32 v4, 5, v3
	v_add_lshl_u32 v3, v4, v3, 2
	ds_load_b32 v22, v3
.LBB99_70:
	s_or_b32 exec_lo, exec_lo, s8
	s_and_saveexec_b32 s9, vcc_lo
	s_cbranch_execz .LBB99_133
; %bb.71:
	v_mov_b32_e32 v6, 0
	v_mbcnt_lo_u32_b32 v23, -1, 0
	s_mov_b32 s11, 0
	ds_load_b32 v3, v6 offset:1048
	v_cmp_eq_u32_e64 s8, 0, v23
	s_delay_alu instid0(VALU_DEP_1)
	s_and_saveexec_b32 s12, s8
	s_cbranch_execz .LBB99_73
; %bb.72:
	s_add_i32 s10, s15, 32
	v_mov_b32_e32 v4, 1
	s_lshl_b64 s[10:11], s[10:11], 3
	s_delay_alu instid0(SALU_CYCLE_1)
	s_add_u32 s10, s22, s10
	s_addc_u32 s11, s23, s11
	s_waitcnt lgkmcnt(0)
	global_store_b64 v6, v[3:4], s[10:11]
.LBB99_73:
	s_or_b32 exec_lo, exec_lo, s12
	v_xad_u32 v4, v23, -1, s15
	s_mov_b32 s10, exec_lo
	s_delay_alu instid0(VALU_DEP_1) | instskip(NEXT) | instid1(VALU_DEP_1)
	v_add_nc_u32_e32 v5, 32, v4
	v_lshlrev_b64 v[5:6], 3, v[5:6]
	s_delay_alu instid0(VALU_DEP_1) | instskip(NEXT) | instid1(VALU_DEP_2)
	v_add_co_u32 v5, vcc_lo, s22, v5
	v_add_co_ci_u32_e32 v6, vcc_lo, s23, v6, vcc_lo
	global_load_b64 v[9:10], v[5:6], off glc
	s_waitcnt vmcnt(0)
	v_and_b32_e32 v11, 0xff, v10
	s_delay_alu instid0(VALU_DEP_1)
	v_cmpx_eq_u16_e32 0, v11
	s_cbranch_execz .LBB99_77
; %bb.74:
	s_mov_b32 s11, 0
.LBB99_75:                              ; =>This Inner Loop Header: Depth=1
	global_load_b64 v[9:10], v[5:6], off glc
	s_waitcnt vmcnt(0)
	v_and_b32_e32 v11, 0xff, v10
	s_delay_alu instid0(VALU_DEP_1) | instskip(SKIP_1) | instid1(SALU_CYCLE_1)
	v_cmp_ne_u16_e32 vcc_lo, 0, v11
	s_or_b32 s11, vcc_lo, s11
	s_and_not1_b32 exec_lo, exec_lo, s11
	s_cbranch_execnz .LBB99_75
; %bb.76:
	s_or_b32 exec_lo, exec_lo, s11
.LBB99_77:
	s_delay_alu instid0(SALU_CYCLE_1)
	s_or_b32 exec_lo, exec_lo, s10
	v_cmp_ne_u32_e32 vcc_lo, 31, v23
	v_dual_mov_b32 v12, v9 :: v_dual_and_b32 v11, 0xff, v10
	v_lshlrev_b32_e64 v24, v23, -1
	s_mov_b32 s10, exec_lo
	v_add_co_ci_u32_e32 v5, vcc_lo, 0, v23, vcc_lo
	s_delay_alu instid0(VALU_DEP_3) | instskip(NEXT) | instid1(VALU_DEP_2)
	v_cmp_eq_u16_e32 vcc_lo, 2, v11
	v_lshlrev_b32_e32 v6, 2, v5
	v_and_or_b32 v5, vcc_lo, v24, 0x80000000
	ds_bpermute_b32 v11, v6, v9
	v_ctz_i32_b32_e32 v5, v5
	s_delay_alu instid0(VALU_DEP_1)
	v_cmpx_lt_u32_e64 v23, v5
	s_cbranch_execz .LBB99_81
; %bb.78:
	s_waitcnt lgkmcnt(0)
	v_dual_max_f32 v12, v9, v9 :: v_dual_max_f32 v25, v11, v11
	v_cmp_u_f32_e32 vcc_lo, v11, v11
	s_delay_alu instid0(VALU_DEP_2) | instskip(NEXT) | instid1(VALU_DEP_1)
	v_min_f32_e32 v26, v25, v12
	v_dual_max_f32 v12, v25, v12 :: v_dual_cndmask_b32 v25, v26, v11
	s_delay_alu instid0(VALU_DEP_1) | instskip(SKIP_1) | instid1(VALU_DEP_3)
	v_cndmask_b32_e32 v26, v12, v11, vcc_lo
	v_cmp_u_f32_e32 vcc_lo, v9, v9
	v_cndmask_b32_e32 v12, v25, v9, vcc_lo
	s_delay_alu instid0(VALU_DEP_3) | instskip(NEXT) | instid1(VALU_DEP_2)
	v_cndmask_b32_e32 v9, v26, v9, vcc_lo
	v_cmp_class_f32_e64 s11, v12, 0x1f8
	s_delay_alu instid0(VALU_DEP_2) | instskip(NEXT) | instid1(VALU_DEP_2)
	v_cmp_neq_f32_e32 vcc_lo, v12, v9
	s_or_b32 s12, vcc_lo, s11
	s_delay_alu instid0(SALU_CYCLE_1)
	s_and_saveexec_b32 s11, s12
	s_cbranch_execz .LBB99_80
; %bb.79:
	v_sub_f32_e32 v11, v12, v9
	s_mov_b32 s12, 0x3e9b6dac
	s_delay_alu instid0(VALU_DEP_1) | instskip(SKIP_1) | instid1(VALU_DEP_2)
	v_mul_f32_e32 v12, 0x3fb8aa3b, v11
	v_cmp_ngt_f32_e32 vcc_lo, 0xc2ce8ed0, v11
	v_fma_f32 v25, 0x3fb8aa3b, v11, -v12
	v_rndne_f32_e32 v26, v12
	s_delay_alu instid0(VALU_DEP_1) | instskip(NEXT) | instid1(VALU_DEP_1)
	v_dual_fmamk_f32 v25, v11, 0x32a5705f, v25 :: v_dual_sub_f32 v12, v12, v26
	v_add_f32_e32 v12, v12, v25
	v_cvt_i32_f32_e32 v25, v26
	s_delay_alu instid0(VALU_DEP_2) | instskip(SKIP_2) | instid1(VALU_DEP_1)
	v_exp_f32_e32 v12, v12
	s_waitcnt_depctr 0xfff
	v_ldexp_f32 v12, v12, v25
	v_cndmask_b32_e32 v12, 0, v12, vcc_lo
	v_cmp_nlt_f32_e32 vcc_lo, 0x42b17218, v11
	s_delay_alu instid0(VALU_DEP_2) | instskip(NEXT) | instid1(VALU_DEP_1)
	v_cndmask_b32_e32 v25, 0x7f800000, v12, vcc_lo
	v_add_f32_e32 v26, 1.0, v25
	s_delay_alu instid0(VALU_DEP_1) | instskip(NEXT) | instid1(VALU_DEP_1)
	v_cvt_f64_f32_e32 v[11:12], v26
	v_frexp_exp_i32_f64_e32 v11, v[11:12]
	v_frexp_mant_f32_e32 v12, v26
	s_delay_alu instid0(VALU_DEP_1) | instskip(SKIP_1) | instid1(VALU_DEP_1)
	v_cmp_gt_f32_e32 vcc_lo, 0x3f2aaaab, v12
	v_add_f32_e32 v12, -1.0, v26
	v_sub_f32_e32 v28, v12, v26
	v_sub_f32_e32 v12, v25, v12
	v_subrev_co_ci_u32_e32 v11, vcc_lo, 0, v11, vcc_lo
	v_cmp_eq_f32_e32 vcc_lo, 0x7f800000, v25
	s_delay_alu instid0(VALU_DEP_2) | instskip(SKIP_1) | instid1(VALU_DEP_2)
	v_sub_nc_u32_e32 v27, 0, v11
	v_cvt_f32_i32_e32 v11, v11
	v_ldexp_f32 v26, v26, v27
	s_delay_alu instid0(VALU_DEP_1) | instskip(NEXT) | instid1(VALU_DEP_1)
	v_dual_add_f32 v29, 1.0, v26 :: v_dual_add_f32 v28, 1.0, v28
	v_add_f32_e32 v12, v12, v28
	s_delay_alu instid0(VALU_DEP_2) | instskip(NEXT) | instid1(VALU_DEP_2)
	v_add_f32_e32 v28, -1.0, v29
	v_ldexp_f32 v12, v12, v27
	s_delay_alu instid0(VALU_DEP_2) | instskip(NEXT) | instid1(VALU_DEP_1)
	v_dual_add_f32 v27, -1.0, v26 :: v_dual_sub_f32 v28, v26, v28
	v_add_f32_e32 v30, 1.0, v27
	s_delay_alu instid0(VALU_DEP_2) | instskip(NEXT) | instid1(VALU_DEP_2)
	v_add_f32_e32 v28, v12, v28
	v_sub_f32_e32 v26, v26, v30
	s_delay_alu instid0(VALU_DEP_2) | instskip(NEXT) | instid1(VALU_DEP_2)
	v_add_f32_e32 v30, v29, v28
	v_add_f32_e32 v12, v12, v26
	s_delay_alu instid0(VALU_DEP_2) | instskip(SKIP_1) | instid1(VALU_DEP_1)
	v_rcp_f32_e32 v26, v30
	v_sub_f32_e32 v29, v29, v30
	v_dual_add_f32 v31, v27, v12 :: v_dual_add_f32 v28, v28, v29
	s_delay_alu instid0(VALU_DEP_1) | instskip(SKIP_2) | instid1(VALU_DEP_1)
	v_sub_f32_e32 v27, v27, v31
	s_waitcnt_depctr 0xfff
	v_mul_f32_e32 v32, v31, v26
	v_dual_add_f32 v12, v12, v27 :: v_dual_mul_f32 v33, v30, v32
	s_delay_alu instid0(VALU_DEP_1) | instskip(NEXT) | instid1(VALU_DEP_1)
	v_fma_f32 v29, v32, v30, -v33
	v_fmac_f32_e32 v29, v32, v28
	s_delay_alu instid0(VALU_DEP_1) | instskip(NEXT) | instid1(VALU_DEP_1)
	v_add_f32_e32 v34, v33, v29
	v_sub_f32_e32 v35, v31, v34
	v_sub_f32_e32 v27, v34, v33
	s_delay_alu instid0(VALU_DEP_2) | instskip(NEXT) | instid1(VALU_DEP_2)
	v_sub_f32_e32 v31, v31, v35
	v_sub_f32_e32 v27, v27, v29
	s_delay_alu instid0(VALU_DEP_2) | instskip(NEXT) | instid1(VALU_DEP_1)
	v_sub_f32_e32 v31, v31, v34
	v_add_f32_e32 v12, v12, v31
	s_delay_alu instid0(VALU_DEP_1) | instskip(NEXT) | instid1(VALU_DEP_1)
	v_add_f32_e32 v12, v27, v12
	v_add_f32_e32 v27, v35, v12
	s_delay_alu instid0(VALU_DEP_1) | instskip(NEXT) | instid1(VALU_DEP_1)
	v_mul_f32_e32 v29, v26, v27
	v_dual_sub_f32 v34, v35, v27 :: v_dual_mul_f32 v31, v30, v29
	s_delay_alu instid0(VALU_DEP_1) | instskip(NEXT) | instid1(VALU_DEP_2)
	v_add_f32_e32 v12, v12, v34
	v_fma_f32 v30, v29, v30, -v31
	s_delay_alu instid0(VALU_DEP_1) | instskip(NEXT) | instid1(VALU_DEP_1)
	v_fmac_f32_e32 v30, v29, v28
	v_add_f32_e32 v28, v31, v30
	s_delay_alu instid0(VALU_DEP_1) | instskip(SKIP_1) | instid1(VALU_DEP_2)
	v_sub_f32_e32 v33, v27, v28
	v_sub_f32_e32 v31, v28, v31
	;; [unrolled: 1-line block ×3, first 2 shown]
	s_delay_alu instid0(VALU_DEP_1) | instskip(NEXT) | instid1(VALU_DEP_3)
	v_sub_f32_e32 v27, v27, v28
	v_sub_f32_e32 v28, v31, v30
	s_delay_alu instid0(VALU_DEP_2) | instskip(SKIP_1) | instid1(VALU_DEP_2)
	v_add_f32_e32 v12, v12, v27
	v_add_f32_e32 v27, v32, v29
	;; [unrolled: 1-line block ×3, first 2 shown]
	s_delay_alu instid0(VALU_DEP_2) | instskip(NEXT) | instid1(VALU_DEP_2)
	v_sub_f32_e32 v28, v27, v32
	v_add_f32_e32 v12, v33, v12
	s_delay_alu instid0(VALU_DEP_2) | instskip(NEXT) | instid1(VALU_DEP_2)
	v_sub_f32_e32 v28, v29, v28
	v_mul_f32_e32 v12, v26, v12
	s_delay_alu instid0(VALU_DEP_1) | instskip(NEXT) | instid1(VALU_DEP_1)
	v_add_f32_e32 v12, v28, v12
	v_add_f32_e32 v26, v27, v12
	s_delay_alu instid0(VALU_DEP_1) | instskip(NEXT) | instid1(VALU_DEP_1)
	v_mul_f32_e32 v28, v26, v26
	v_fmaak_f32 v29, s12, v28, 0x3ecc95a3
	v_mul_f32_e32 v30, v26, v28
	v_cmp_gt_f32_e64 s12, 0x33800000, |v25|
	s_delay_alu instid0(VALU_DEP_3) | instskip(SKIP_2) | instid1(VALU_DEP_4)
	v_fmaak_f32 v28, v28, v29, 0x3f2aaada
	v_ldexp_f32 v29, v26, 1
	v_sub_f32_e32 v26, v26, v27
	s_or_b32 vcc_lo, vcc_lo, s12
	s_delay_alu instid0(VALU_DEP_3) | instskip(SKIP_1) | instid1(VALU_DEP_2)
	v_mul_f32_e32 v28, v30, v28
	v_mul_f32_e32 v30, 0x3f317218, v11
	v_dual_sub_f32 v12, v12, v26 :: v_dual_add_f32 v27, v29, v28
	s_delay_alu instid0(VALU_DEP_1) | instskip(NEXT) | instid1(VALU_DEP_2)
	v_ldexp_f32 v12, v12, 1
	v_sub_f32_e32 v26, v27, v29
	s_delay_alu instid0(VALU_DEP_4) | instskip(NEXT) | instid1(VALU_DEP_1)
	v_fma_f32 v29, 0x3f317218, v11, -v30
	v_dual_sub_f32 v26, v28, v26 :: v_dual_fmamk_f32 v11, v11, 0xb102e308, v29
	s_delay_alu instid0(VALU_DEP_1) | instskip(NEXT) | instid1(VALU_DEP_2)
	v_add_f32_e32 v12, v12, v26
	v_add_f32_e32 v26, v30, v11
	s_delay_alu instid0(VALU_DEP_2) | instskip(NEXT) | instid1(VALU_DEP_2)
	v_add_f32_e32 v28, v27, v12
	v_sub_f32_e32 v30, v26, v30
	s_delay_alu instid0(VALU_DEP_2) | instskip(SKIP_1) | instid1(VALU_DEP_3)
	v_add_f32_e32 v29, v26, v28
	v_sub_f32_e32 v27, v28, v27
	v_sub_f32_e32 v11, v11, v30
	s_delay_alu instid0(VALU_DEP_2) | instskip(NEXT) | instid1(VALU_DEP_1)
	v_dual_sub_f32 v31, v29, v26 :: v_dual_sub_f32 v12, v12, v27
	v_sub_f32_e32 v32, v29, v31
	s_delay_alu instid0(VALU_DEP_2) | instskip(NEXT) | instid1(VALU_DEP_2)
	v_dual_sub_f32 v27, v28, v31 :: v_dual_add_f32 v28, v11, v12
	v_sub_f32_e32 v26, v26, v32
	s_delay_alu instid0(VALU_DEP_1) | instskip(NEXT) | instid1(VALU_DEP_1)
	v_dual_add_f32 v26, v27, v26 :: v_dual_sub_f32 v27, v28, v11
	v_add_f32_e32 v26, v28, v26
	s_delay_alu instid0(VALU_DEP_2) | instskip(SKIP_1) | instid1(VALU_DEP_2)
	v_sub_f32_e32 v28, v28, v27
	v_sub_f32_e32 v12, v12, v27
	v_dual_add_f32 v30, v29, v26 :: v_dual_sub_f32 v11, v11, v28
	s_delay_alu instid0(VALU_DEP_1) | instskip(NEXT) | instid1(VALU_DEP_2)
	v_sub_f32_e32 v27, v30, v29
	v_add_f32_e32 v11, v12, v11
	s_delay_alu instid0(VALU_DEP_2) | instskip(NEXT) | instid1(VALU_DEP_1)
	v_sub_f32_e32 v12, v26, v27
	v_add_f32_e32 v11, v11, v12
	s_delay_alu instid0(VALU_DEP_1) | instskip(NEXT) | instid1(VALU_DEP_1)
	v_add_f32_e32 v11, v30, v11
	v_cndmask_b32_e32 v11, v11, v25, vcc_lo
	s_delay_alu instid0(VALU_DEP_1)
	v_add_f32_e32 v11, v9, v11
.LBB99_80:
	s_or_b32 exec_lo, exec_lo, s11
	s_delay_alu instid0(VALU_DEP_1)
	v_mov_b32_e32 v9, v11
	v_mov_b32_e32 v12, v11
.LBB99_81:
	s_or_b32 exec_lo, exec_lo, s10
	v_cmp_gt_u32_e32 vcc_lo, 30, v23
	v_add_nc_u32_e32 v26, 2, v23
	s_mov_b32 s10, exec_lo
	s_waitcnt lgkmcnt(0)
	v_cndmask_b32_e64 v11, 0, 1, vcc_lo
	s_delay_alu instid0(VALU_DEP_1) | instskip(NEXT) | instid1(VALU_DEP_1)
	v_lshlrev_b32_e32 v11, 1, v11
	v_add_lshl_u32 v25, v11, v23, 2
	ds_bpermute_b32 v11, v25, v9
	v_cmpx_le_u32_e64 v26, v5
	s_cbranch_execz .LBB99_85
; %bb.82:
	v_max_f32_e32 v9, v12, v12
	s_waitcnt lgkmcnt(0)
	v_max_f32_e32 v27, v11, v11
	v_cmp_u_f32_e32 vcc_lo, v11, v11
	s_delay_alu instid0(VALU_DEP_2) | instskip(SKIP_1) | instid1(VALU_DEP_1)
	v_min_f32_e32 v28, v27, v9
	v_max_f32_e32 v9, v27, v9
	v_cndmask_b32_e32 v9, v9, v11, vcc_lo
	s_delay_alu instid0(VALU_DEP_3) | instskip(SKIP_1) | instid1(VALU_DEP_2)
	v_cndmask_b32_e32 v27, v28, v11, vcc_lo
	v_cmp_u_f32_e32 vcc_lo, v12, v12
	v_cndmask_b32_e32 v27, v27, v12, vcc_lo
	s_delay_alu instid0(VALU_DEP_4) | instskip(NEXT) | instid1(VALU_DEP_2)
	v_cndmask_b32_e32 v9, v9, v12, vcc_lo
	v_cmp_class_f32_e64 s11, v27, 0x1f8
	s_delay_alu instid0(VALU_DEP_2) | instskip(NEXT) | instid1(VALU_DEP_2)
	v_cmp_neq_f32_e32 vcc_lo, v27, v9
	s_or_b32 s12, vcc_lo, s11
	s_delay_alu instid0(SALU_CYCLE_1)
	s_and_saveexec_b32 s11, s12
	s_cbranch_execz .LBB99_84
; %bb.83:
	v_sub_f32_e32 v11, v27, v9
	s_mov_b32 s12, 0x3e9b6dac
	s_delay_alu instid0(VALU_DEP_1) | instskip(NEXT) | instid1(VALU_DEP_1)
	v_mul_f32_e32 v12, 0x3fb8aa3b, v11
	v_fma_f32 v27, 0x3fb8aa3b, v11, -v12
	v_rndne_f32_e32 v28, v12
	s_delay_alu instid0(VALU_DEP_1) | instskip(SKIP_1) | instid1(VALU_DEP_4)
	v_sub_f32_e32 v12, v12, v28
	v_cmp_ngt_f32_e32 vcc_lo, 0xc2ce8ed0, v11
	v_fmamk_f32 v27, v11, 0x32a5705f, v27
	s_delay_alu instid0(VALU_DEP_1) | instskip(SKIP_1) | instid1(VALU_DEP_2)
	v_add_f32_e32 v12, v12, v27
	v_cvt_i32_f32_e32 v27, v28
	v_exp_f32_e32 v12, v12
	s_waitcnt_depctr 0xfff
	v_ldexp_f32 v12, v12, v27
	s_delay_alu instid0(VALU_DEP_1) | instskip(SKIP_1) | instid1(VALU_DEP_2)
	v_cndmask_b32_e32 v12, 0, v12, vcc_lo
	v_cmp_nlt_f32_e32 vcc_lo, 0x42b17218, v11
	v_cndmask_b32_e32 v27, 0x7f800000, v12, vcc_lo
	s_delay_alu instid0(VALU_DEP_1) | instskip(NEXT) | instid1(VALU_DEP_1)
	v_add_f32_e32 v28, 1.0, v27
	v_cvt_f64_f32_e32 v[11:12], v28
	s_delay_alu instid0(VALU_DEP_1) | instskip(SKIP_1) | instid1(VALU_DEP_1)
	v_frexp_exp_i32_f64_e32 v11, v[11:12]
	v_frexp_mant_f32_e32 v12, v28
	v_cmp_gt_f32_e32 vcc_lo, 0x3f2aaaab, v12
	v_add_f32_e32 v12, -1.0, v28
	s_delay_alu instid0(VALU_DEP_1) | instskip(NEXT) | instid1(VALU_DEP_1)
	v_sub_f32_e32 v30, v12, v28
	v_add_f32_e32 v30, 1.0, v30
	v_sub_f32_e32 v12, v27, v12
	v_subrev_co_ci_u32_e32 v11, vcc_lo, 0, v11, vcc_lo
	v_cmp_eq_f32_e32 vcc_lo, 0x7f800000, v27
	s_delay_alu instid0(VALU_DEP_2) | instskip(SKIP_1) | instid1(VALU_DEP_2)
	v_sub_nc_u32_e32 v29, 0, v11
	v_cvt_f32_i32_e32 v11, v11
	v_ldexp_f32 v28, v28, v29
	s_delay_alu instid0(VALU_DEP_1) | instskip(NEXT) | instid1(VALU_DEP_1)
	v_dual_add_f32 v31, 1.0, v28 :: v_dual_add_f32 v12, v12, v30
	v_add_f32_e32 v30, -1.0, v31
	s_delay_alu instid0(VALU_DEP_2) | instskip(NEXT) | instid1(VALU_DEP_2)
	v_ldexp_f32 v12, v12, v29
	v_dual_add_f32 v29, -1.0, v28 :: v_dual_sub_f32 v30, v28, v30
	s_delay_alu instid0(VALU_DEP_1) | instskip(NEXT) | instid1(VALU_DEP_2)
	v_add_f32_e32 v32, 1.0, v29
	v_add_f32_e32 v30, v12, v30
	s_delay_alu instid0(VALU_DEP_2) | instskip(NEXT) | instid1(VALU_DEP_2)
	v_sub_f32_e32 v28, v28, v32
	v_add_f32_e32 v32, v31, v30
	s_delay_alu instid0(VALU_DEP_2) | instskip(NEXT) | instid1(VALU_DEP_2)
	v_add_f32_e32 v12, v12, v28
	v_rcp_f32_e32 v28, v32
	v_sub_f32_e32 v31, v31, v32
	s_delay_alu instid0(VALU_DEP_1) | instskip(NEXT) | instid1(VALU_DEP_1)
	v_dual_add_f32 v33, v29, v12 :: v_dual_add_f32 v30, v30, v31
	v_sub_f32_e32 v29, v29, v33
	s_waitcnt_depctr 0xfff
	v_mul_f32_e32 v34, v33, v28
	v_add_f32_e32 v12, v12, v29
	s_delay_alu instid0(VALU_DEP_2) | instskip(NEXT) | instid1(VALU_DEP_1)
	v_mul_f32_e32 v35, v32, v34
	v_fma_f32 v31, v34, v32, -v35
	s_delay_alu instid0(VALU_DEP_1) | instskip(NEXT) | instid1(VALU_DEP_1)
	v_fmac_f32_e32 v31, v34, v30
	v_add_f32_e32 v36, v35, v31
	s_delay_alu instid0(VALU_DEP_1) | instskip(SKIP_1) | instid1(VALU_DEP_2)
	v_sub_f32_e32 v37, v33, v36
	v_sub_f32_e32 v29, v36, v35
	;; [unrolled: 1-line block ×3, first 2 shown]
	s_delay_alu instid0(VALU_DEP_2) | instskip(NEXT) | instid1(VALU_DEP_2)
	v_sub_f32_e32 v29, v29, v31
	v_sub_f32_e32 v33, v33, v36
	s_delay_alu instid0(VALU_DEP_1) | instskip(NEXT) | instid1(VALU_DEP_1)
	v_add_f32_e32 v12, v12, v33
	v_add_f32_e32 v12, v29, v12
	s_delay_alu instid0(VALU_DEP_1) | instskip(NEXT) | instid1(VALU_DEP_1)
	v_add_f32_e32 v29, v37, v12
	v_mul_f32_e32 v31, v28, v29
	s_delay_alu instid0(VALU_DEP_1) | instskip(NEXT) | instid1(VALU_DEP_1)
	v_dual_sub_f32 v36, v37, v29 :: v_dual_mul_f32 v33, v32, v31
	v_add_f32_e32 v12, v12, v36
	s_delay_alu instid0(VALU_DEP_2) | instskip(NEXT) | instid1(VALU_DEP_1)
	v_fma_f32 v32, v31, v32, -v33
	v_fmac_f32_e32 v32, v31, v30
	s_delay_alu instid0(VALU_DEP_1) | instskip(NEXT) | instid1(VALU_DEP_1)
	v_add_f32_e32 v30, v33, v32
	v_sub_f32_e32 v35, v29, v30
	v_sub_f32_e32 v33, v30, v33
	s_delay_alu instid0(VALU_DEP_2) | instskip(NEXT) | instid1(VALU_DEP_1)
	v_sub_f32_e32 v29, v29, v35
	v_sub_f32_e32 v29, v29, v30
	s_delay_alu instid0(VALU_DEP_1) | instskip(NEXT) | instid1(VALU_DEP_4)
	v_dual_add_f32 v12, v12, v29 :: v_dual_add_f32 v29, v34, v31
	v_sub_f32_e32 v30, v33, v32
	s_delay_alu instid0(VALU_DEP_1) | instskip(NEXT) | instid1(VALU_DEP_3)
	v_add_f32_e32 v12, v30, v12
	v_sub_f32_e32 v30, v29, v34
	s_delay_alu instid0(VALU_DEP_2) | instskip(NEXT) | instid1(VALU_DEP_2)
	v_add_f32_e32 v12, v35, v12
	v_sub_f32_e32 v30, v31, v30
	s_delay_alu instid0(VALU_DEP_2) | instskip(NEXT) | instid1(VALU_DEP_1)
	v_mul_f32_e32 v12, v28, v12
	v_add_f32_e32 v12, v30, v12
	s_delay_alu instid0(VALU_DEP_1) | instskip(NEXT) | instid1(VALU_DEP_1)
	v_add_f32_e32 v28, v29, v12
	v_mul_f32_e32 v30, v28, v28
	s_delay_alu instid0(VALU_DEP_1) | instskip(SKIP_2) | instid1(VALU_DEP_3)
	v_fmaak_f32 v31, s12, v30, 0x3ecc95a3
	v_mul_f32_e32 v32, v28, v30
	v_cmp_gt_f32_e64 s12, 0x33800000, |v27|
	v_fmaak_f32 v30, v30, v31, 0x3f2aaada
	v_ldexp_f32 v31, v28, 1
	v_sub_f32_e32 v28, v28, v29
	s_delay_alu instid0(VALU_DEP_4) | instskip(NEXT) | instid1(VALU_DEP_3)
	s_or_b32 vcc_lo, vcc_lo, s12
	v_mul_f32_e32 v30, v32, v30
	v_mul_f32_e32 v32, 0x3f317218, v11
	s_delay_alu instid0(VALU_DEP_2) | instskip(NEXT) | instid1(VALU_DEP_1)
	v_dual_sub_f32 v12, v12, v28 :: v_dual_add_f32 v29, v31, v30
	v_ldexp_f32 v12, v12, 1
	s_delay_alu instid0(VALU_DEP_2) | instskip(NEXT) | instid1(VALU_DEP_4)
	v_sub_f32_e32 v28, v29, v31
	v_fma_f32 v31, 0x3f317218, v11, -v32
	s_delay_alu instid0(VALU_DEP_1) | instskip(NEXT) | instid1(VALU_DEP_1)
	v_dual_sub_f32 v28, v30, v28 :: v_dual_fmamk_f32 v11, v11, 0xb102e308, v31
	v_add_f32_e32 v12, v12, v28
	s_delay_alu instid0(VALU_DEP_2) | instskip(NEXT) | instid1(VALU_DEP_2)
	v_add_f32_e32 v28, v32, v11
	v_add_f32_e32 v30, v29, v12
	s_delay_alu instid0(VALU_DEP_2) | instskip(NEXT) | instid1(VALU_DEP_2)
	v_sub_f32_e32 v32, v28, v32
	v_add_f32_e32 v31, v28, v30
	v_sub_f32_e32 v29, v30, v29
	s_delay_alu instid0(VALU_DEP_3) | instskip(NEXT) | instid1(VALU_DEP_2)
	v_sub_f32_e32 v11, v11, v32
	v_dual_sub_f32 v33, v31, v28 :: v_dual_sub_f32 v12, v12, v29
	s_delay_alu instid0(VALU_DEP_1) | instskip(NEXT) | instid1(VALU_DEP_2)
	v_sub_f32_e32 v34, v31, v33
	v_dual_sub_f32 v29, v30, v33 :: v_dual_add_f32 v30, v11, v12
	s_delay_alu instid0(VALU_DEP_2) | instskip(NEXT) | instid1(VALU_DEP_1)
	v_sub_f32_e32 v28, v28, v34
	v_dual_add_f32 v28, v29, v28 :: v_dual_sub_f32 v29, v30, v11
	s_delay_alu instid0(VALU_DEP_1) | instskip(NEXT) | instid1(VALU_DEP_2)
	v_add_f32_e32 v28, v30, v28
	v_sub_f32_e32 v30, v30, v29
	v_sub_f32_e32 v12, v12, v29
	s_delay_alu instid0(VALU_DEP_3) | instskip(NEXT) | instid1(VALU_DEP_3)
	v_add_f32_e32 v32, v31, v28
	v_sub_f32_e32 v11, v11, v30
	s_delay_alu instid0(VALU_DEP_2) | instskip(NEXT) | instid1(VALU_DEP_2)
	v_sub_f32_e32 v29, v32, v31
	v_add_f32_e32 v11, v12, v11
	s_delay_alu instid0(VALU_DEP_2) | instskip(NEXT) | instid1(VALU_DEP_1)
	v_sub_f32_e32 v12, v28, v29
	v_add_f32_e32 v11, v11, v12
	s_delay_alu instid0(VALU_DEP_1) | instskip(NEXT) | instid1(VALU_DEP_1)
	v_add_f32_e32 v11, v32, v11
	v_cndmask_b32_e32 v11, v11, v27, vcc_lo
	s_delay_alu instid0(VALU_DEP_1)
	v_add_f32_e32 v11, v9, v11
.LBB99_84:
	s_or_b32 exec_lo, exec_lo, s11
	s_delay_alu instid0(VALU_DEP_1)
	v_mov_b32_e32 v9, v11
	v_mov_b32_e32 v12, v11
.LBB99_85:
	s_or_b32 exec_lo, exec_lo, s10
	v_cmp_gt_u32_e32 vcc_lo, 28, v23
	v_add_nc_u32_e32 v28, 4, v23
	s_mov_b32 s10, exec_lo
	s_waitcnt lgkmcnt(0)
	v_cndmask_b32_e64 v11, 0, 1, vcc_lo
	s_delay_alu instid0(VALU_DEP_1) | instskip(NEXT) | instid1(VALU_DEP_1)
	v_lshlrev_b32_e32 v11, 2, v11
	v_add_lshl_u32 v27, v11, v23, 2
	ds_bpermute_b32 v11, v27, v9
	v_cmpx_le_u32_e64 v28, v5
	s_cbranch_execz .LBB99_89
; %bb.86:
	v_max_f32_e32 v9, v12, v12
	s_waitcnt lgkmcnt(0)
	v_max_f32_e32 v29, v11, v11
	v_cmp_u_f32_e32 vcc_lo, v11, v11
	s_delay_alu instid0(VALU_DEP_2) | instskip(SKIP_1) | instid1(VALU_DEP_2)
	v_min_f32_e32 v30, v29, v9
	v_max_f32_e32 v9, v29, v9
	v_cndmask_b32_e32 v29, v30, v11, vcc_lo
	s_delay_alu instid0(VALU_DEP_2) | instskip(SKIP_1) | instid1(VALU_DEP_3)
	v_cndmask_b32_e32 v9, v9, v11, vcc_lo
	v_cmp_u_f32_e32 vcc_lo, v12, v12
	v_cndmask_b32_e32 v29, v29, v12, vcc_lo
	s_delay_alu instid0(VALU_DEP_3) | instskip(NEXT) | instid1(VALU_DEP_2)
	v_cndmask_b32_e32 v9, v9, v12, vcc_lo
	v_cmp_class_f32_e64 s11, v29, 0x1f8
	s_delay_alu instid0(VALU_DEP_2) | instskip(NEXT) | instid1(VALU_DEP_2)
	v_cmp_neq_f32_e32 vcc_lo, v29, v9
	s_or_b32 s12, vcc_lo, s11
	s_delay_alu instid0(SALU_CYCLE_1)
	s_and_saveexec_b32 s11, s12
	s_cbranch_execz .LBB99_88
; %bb.87:
	v_sub_f32_e32 v11, v29, v9
	s_mov_b32 s12, 0x3e9b6dac
	s_delay_alu instid0(VALU_DEP_1) | instskip(NEXT) | instid1(VALU_DEP_1)
	v_mul_f32_e32 v12, 0x3fb8aa3b, v11
	v_fma_f32 v29, 0x3fb8aa3b, v11, -v12
	v_rndne_f32_e32 v30, v12
	s_delay_alu instid0(VALU_DEP_1) | instskip(SKIP_1) | instid1(VALU_DEP_4)
	v_sub_f32_e32 v12, v12, v30
	v_cmp_ngt_f32_e32 vcc_lo, 0xc2ce8ed0, v11
	v_fmamk_f32 v29, v11, 0x32a5705f, v29
	s_delay_alu instid0(VALU_DEP_1) | instskip(SKIP_1) | instid1(VALU_DEP_2)
	v_add_f32_e32 v12, v12, v29
	v_cvt_i32_f32_e32 v29, v30
	v_exp_f32_e32 v12, v12
	s_waitcnt_depctr 0xfff
	v_ldexp_f32 v12, v12, v29
	s_delay_alu instid0(VALU_DEP_1) | instskip(SKIP_1) | instid1(VALU_DEP_2)
	v_cndmask_b32_e32 v12, 0, v12, vcc_lo
	v_cmp_nlt_f32_e32 vcc_lo, 0x42b17218, v11
	v_cndmask_b32_e32 v29, 0x7f800000, v12, vcc_lo
	s_delay_alu instid0(VALU_DEP_1) | instskip(NEXT) | instid1(VALU_DEP_1)
	v_add_f32_e32 v30, 1.0, v29
	v_cvt_f64_f32_e32 v[11:12], v30
	s_delay_alu instid0(VALU_DEP_1) | instskip(SKIP_1) | instid1(VALU_DEP_1)
	v_frexp_exp_i32_f64_e32 v11, v[11:12]
	v_frexp_mant_f32_e32 v12, v30
	v_cmp_gt_f32_e32 vcc_lo, 0x3f2aaaab, v12
	v_add_f32_e32 v12, -1.0, v30
	s_delay_alu instid0(VALU_DEP_1) | instskip(SKIP_3) | instid1(VALU_DEP_2)
	v_sub_f32_e32 v32, v12, v30
	v_sub_f32_e32 v12, v29, v12
	v_subrev_co_ci_u32_e32 v11, vcc_lo, 0, v11, vcc_lo
	v_cmp_eq_f32_e32 vcc_lo, 0x7f800000, v29
	v_sub_nc_u32_e32 v31, 0, v11
	v_cvt_f32_i32_e32 v11, v11
	s_delay_alu instid0(VALU_DEP_2) | instskip(NEXT) | instid1(VALU_DEP_1)
	v_ldexp_f32 v30, v30, v31
	v_dual_add_f32 v33, 1.0, v30 :: v_dual_add_f32 v32, 1.0, v32
	s_delay_alu instid0(VALU_DEP_1) | instskip(NEXT) | instid1(VALU_DEP_2)
	v_add_f32_e32 v12, v12, v32
	v_add_f32_e32 v32, -1.0, v33
	s_delay_alu instid0(VALU_DEP_2) | instskip(NEXT) | instid1(VALU_DEP_2)
	v_ldexp_f32 v12, v12, v31
	v_dual_add_f32 v31, -1.0, v30 :: v_dual_sub_f32 v32, v30, v32
	s_delay_alu instid0(VALU_DEP_1) | instskip(NEXT) | instid1(VALU_DEP_2)
	v_add_f32_e32 v34, 1.0, v31
	v_add_f32_e32 v32, v12, v32
	s_delay_alu instid0(VALU_DEP_2) | instskip(NEXT) | instid1(VALU_DEP_2)
	v_sub_f32_e32 v30, v30, v34
	v_add_f32_e32 v34, v33, v32
	s_delay_alu instid0(VALU_DEP_2) | instskip(NEXT) | instid1(VALU_DEP_2)
	v_add_f32_e32 v12, v12, v30
	v_rcp_f32_e32 v30, v34
	v_sub_f32_e32 v33, v33, v34
	s_delay_alu instid0(VALU_DEP_1) | instskip(NEXT) | instid1(VALU_DEP_1)
	v_dual_add_f32 v35, v31, v12 :: v_dual_add_f32 v32, v32, v33
	v_sub_f32_e32 v31, v31, v35
	s_waitcnt_depctr 0xfff
	v_mul_f32_e32 v36, v35, v30
	s_delay_alu instid0(VALU_DEP_1) | instskip(NEXT) | instid1(VALU_DEP_1)
	v_dual_add_f32 v12, v12, v31 :: v_dual_mul_f32 v37, v34, v36
	v_fma_f32 v33, v36, v34, -v37
	s_delay_alu instid0(VALU_DEP_1) | instskip(NEXT) | instid1(VALU_DEP_1)
	v_fmac_f32_e32 v33, v36, v32
	v_add_f32_e32 v38, v37, v33
	s_delay_alu instid0(VALU_DEP_1) | instskip(SKIP_1) | instid1(VALU_DEP_2)
	v_sub_f32_e32 v39, v35, v38
	v_sub_f32_e32 v31, v38, v37
	;; [unrolled: 1-line block ×3, first 2 shown]
	s_delay_alu instid0(VALU_DEP_2) | instskip(NEXT) | instid1(VALU_DEP_2)
	v_sub_f32_e32 v31, v31, v33
	v_sub_f32_e32 v35, v35, v38
	s_delay_alu instid0(VALU_DEP_1) | instskip(NEXT) | instid1(VALU_DEP_1)
	v_add_f32_e32 v12, v12, v35
	v_add_f32_e32 v12, v31, v12
	s_delay_alu instid0(VALU_DEP_1) | instskip(NEXT) | instid1(VALU_DEP_1)
	v_add_f32_e32 v31, v39, v12
	v_mul_f32_e32 v33, v30, v31
	s_delay_alu instid0(VALU_DEP_1) | instskip(NEXT) | instid1(VALU_DEP_1)
	v_dual_sub_f32 v38, v39, v31 :: v_dual_mul_f32 v35, v34, v33
	v_add_f32_e32 v12, v12, v38
	s_delay_alu instid0(VALU_DEP_2) | instskip(NEXT) | instid1(VALU_DEP_1)
	v_fma_f32 v34, v33, v34, -v35
	v_fmac_f32_e32 v34, v33, v32
	s_delay_alu instid0(VALU_DEP_1) | instskip(NEXT) | instid1(VALU_DEP_1)
	v_add_f32_e32 v32, v35, v34
	v_sub_f32_e32 v37, v31, v32
	v_sub_f32_e32 v35, v32, v35
	s_delay_alu instid0(VALU_DEP_2) | instskip(NEXT) | instid1(VALU_DEP_1)
	v_sub_f32_e32 v31, v31, v37
	v_sub_f32_e32 v31, v31, v32
	s_delay_alu instid0(VALU_DEP_3) | instskip(NEXT) | instid1(VALU_DEP_2)
	v_sub_f32_e32 v32, v35, v34
	v_add_f32_e32 v12, v12, v31
	v_add_f32_e32 v31, v36, v33
	s_delay_alu instid0(VALU_DEP_2) | instskip(NEXT) | instid1(VALU_DEP_2)
	v_add_f32_e32 v12, v32, v12
	v_sub_f32_e32 v32, v31, v36
	s_delay_alu instid0(VALU_DEP_2) | instskip(NEXT) | instid1(VALU_DEP_2)
	v_add_f32_e32 v12, v37, v12
	v_sub_f32_e32 v32, v33, v32
	s_delay_alu instid0(VALU_DEP_2) | instskip(NEXT) | instid1(VALU_DEP_1)
	v_mul_f32_e32 v12, v30, v12
	v_add_f32_e32 v12, v32, v12
	s_delay_alu instid0(VALU_DEP_1) | instskip(NEXT) | instid1(VALU_DEP_1)
	v_add_f32_e32 v30, v31, v12
	v_mul_f32_e32 v32, v30, v30
	s_delay_alu instid0(VALU_DEP_1) | instskip(SKIP_2) | instid1(VALU_DEP_3)
	v_fmaak_f32 v33, s12, v32, 0x3ecc95a3
	v_mul_f32_e32 v34, v30, v32
	v_cmp_gt_f32_e64 s12, 0x33800000, |v29|
	v_fmaak_f32 v32, v32, v33, 0x3f2aaada
	v_ldexp_f32 v33, v30, 1
	v_sub_f32_e32 v30, v30, v31
	s_delay_alu instid0(VALU_DEP_4) | instskip(NEXT) | instid1(VALU_DEP_3)
	s_or_b32 vcc_lo, vcc_lo, s12
	v_mul_f32_e32 v32, v34, v32
	v_mul_f32_e32 v34, 0x3f317218, v11
	s_delay_alu instid0(VALU_DEP_2) | instskip(NEXT) | instid1(VALU_DEP_1)
	v_dual_sub_f32 v12, v12, v30 :: v_dual_add_f32 v31, v33, v32
	v_ldexp_f32 v12, v12, 1
	s_delay_alu instid0(VALU_DEP_2) | instskip(NEXT) | instid1(VALU_DEP_4)
	v_sub_f32_e32 v30, v31, v33
	v_fma_f32 v33, 0x3f317218, v11, -v34
	s_delay_alu instid0(VALU_DEP_1) | instskip(NEXT) | instid1(VALU_DEP_1)
	v_dual_sub_f32 v30, v32, v30 :: v_dual_fmamk_f32 v11, v11, 0xb102e308, v33
	v_add_f32_e32 v12, v12, v30
	s_delay_alu instid0(VALU_DEP_2) | instskip(NEXT) | instid1(VALU_DEP_2)
	v_add_f32_e32 v30, v34, v11
	v_add_f32_e32 v32, v31, v12
	s_delay_alu instid0(VALU_DEP_2) | instskip(NEXT) | instid1(VALU_DEP_2)
	v_sub_f32_e32 v34, v30, v34
	v_add_f32_e32 v33, v30, v32
	v_sub_f32_e32 v31, v32, v31
	s_delay_alu instid0(VALU_DEP_3) | instskip(NEXT) | instid1(VALU_DEP_2)
	v_sub_f32_e32 v11, v11, v34
	v_dual_sub_f32 v35, v33, v30 :: v_dual_sub_f32 v12, v12, v31
	s_delay_alu instid0(VALU_DEP_1) | instskip(NEXT) | instid1(VALU_DEP_2)
	v_sub_f32_e32 v36, v33, v35
	v_dual_sub_f32 v31, v32, v35 :: v_dual_add_f32 v32, v11, v12
	s_delay_alu instid0(VALU_DEP_2) | instskip(NEXT) | instid1(VALU_DEP_1)
	v_sub_f32_e32 v30, v30, v36
	v_dual_add_f32 v30, v31, v30 :: v_dual_sub_f32 v31, v32, v11
	s_delay_alu instid0(VALU_DEP_1) | instskip(NEXT) | instid1(VALU_DEP_2)
	v_add_f32_e32 v30, v32, v30
	v_sub_f32_e32 v32, v32, v31
	v_sub_f32_e32 v12, v12, v31
	s_delay_alu instid0(VALU_DEP_2) | instskip(NEXT) | instid1(VALU_DEP_1)
	v_dual_add_f32 v34, v33, v30 :: v_dual_sub_f32 v11, v11, v32
	v_sub_f32_e32 v31, v34, v33
	s_delay_alu instid0(VALU_DEP_2) | instskip(NEXT) | instid1(VALU_DEP_2)
	v_add_f32_e32 v11, v12, v11
	v_sub_f32_e32 v12, v30, v31
	s_delay_alu instid0(VALU_DEP_1) | instskip(NEXT) | instid1(VALU_DEP_1)
	v_add_f32_e32 v11, v11, v12
	v_add_f32_e32 v11, v34, v11
	s_delay_alu instid0(VALU_DEP_1) | instskip(NEXT) | instid1(VALU_DEP_1)
	v_cndmask_b32_e32 v11, v11, v29, vcc_lo
	v_add_f32_e32 v11, v9, v11
.LBB99_88:
	s_or_b32 exec_lo, exec_lo, s11
	s_delay_alu instid0(VALU_DEP_1)
	v_mov_b32_e32 v9, v11
	v_mov_b32_e32 v12, v11
.LBB99_89:
	s_or_b32 exec_lo, exec_lo, s10
	v_cmp_gt_u32_e32 vcc_lo, 24, v23
	v_add_nc_u32_e32 v30, 8, v23
	s_mov_b32 s10, exec_lo
	s_waitcnt lgkmcnt(0)
	v_cndmask_b32_e64 v11, 0, 1, vcc_lo
	s_delay_alu instid0(VALU_DEP_1) | instskip(NEXT) | instid1(VALU_DEP_1)
	v_lshlrev_b32_e32 v11, 3, v11
	v_add_lshl_u32 v29, v11, v23, 2
	ds_bpermute_b32 v11, v29, v9
	v_cmpx_le_u32_e64 v30, v5
	s_cbranch_execz .LBB99_93
; %bb.90:
	v_max_f32_e32 v9, v12, v12
	s_waitcnt lgkmcnt(0)
	v_max_f32_e32 v31, v11, v11
	v_cmp_u_f32_e32 vcc_lo, v11, v11
	s_delay_alu instid0(VALU_DEP_2) | instskip(SKIP_1) | instid1(VALU_DEP_1)
	v_min_f32_e32 v32, v31, v9
	v_max_f32_e32 v9, v31, v9
	v_cndmask_b32_e32 v9, v9, v11, vcc_lo
	s_delay_alu instid0(VALU_DEP_3) | instskip(SKIP_1) | instid1(VALU_DEP_2)
	v_cndmask_b32_e32 v31, v32, v11, vcc_lo
	v_cmp_u_f32_e32 vcc_lo, v12, v12
	v_cndmask_b32_e32 v31, v31, v12, vcc_lo
	s_delay_alu instid0(VALU_DEP_4) | instskip(NEXT) | instid1(VALU_DEP_2)
	v_cndmask_b32_e32 v9, v9, v12, vcc_lo
	v_cmp_class_f32_e64 s11, v31, 0x1f8
	s_delay_alu instid0(VALU_DEP_2) | instskip(NEXT) | instid1(VALU_DEP_2)
	v_cmp_neq_f32_e32 vcc_lo, v31, v9
	s_or_b32 s12, vcc_lo, s11
	s_delay_alu instid0(SALU_CYCLE_1)
	s_and_saveexec_b32 s11, s12
	s_cbranch_execz .LBB99_92
; %bb.91:
	v_sub_f32_e32 v11, v31, v9
	s_mov_b32 s12, 0x3e9b6dac
	s_delay_alu instid0(VALU_DEP_1) | instskip(NEXT) | instid1(VALU_DEP_1)
	v_mul_f32_e32 v12, 0x3fb8aa3b, v11
	v_fma_f32 v31, 0x3fb8aa3b, v11, -v12
	v_rndne_f32_e32 v32, v12
	s_delay_alu instid0(VALU_DEP_1) | instskip(SKIP_1) | instid1(VALU_DEP_4)
	v_sub_f32_e32 v12, v12, v32
	v_cmp_ngt_f32_e32 vcc_lo, 0xc2ce8ed0, v11
	v_fmamk_f32 v31, v11, 0x32a5705f, v31
	s_delay_alu instid0(VALU_DEP_1) | instskip(SKIP_1) | instid1(VALU_DEP_2)
	v_add_f32_e32 v12, v12, v31
	v_cvt_i32_f32_e32 v31, v32
	v_exp_f32_e32 v12, v12
	s_waitcnt_depctr 0xfff
	v_ldexp_f32 v12, v12, v31
	s_delay_alu instid0(VALU_DEP_1) | instskip(SKIP_1) | instid1(VALU_DEP_2)
	v_cndmask_b32_e32 v12, 0, v12, vcc_lo
	v_cmp_nlt_f32_e32 vcc_lo, 0x42b17218, v11
	v_cndmask_b32_e32 v31, 0x7f800000, v12, vcc_lo
	s_delay_alu instid0(VALU_DEP_1) | instskip(NEXT) | instid1(VALU_DEP_1)
	v_add_f32_e32 v32, 1.0, v31
	v_cvt_f64_f32_e32 v[11:12], v32
	s_delay_alu instid0(VALU_DEP_1) | instskip(SKIP_1) | instid1(VALU_DEP_1)
	v_frexp_exp_i32_f64_e32 v11, v[11:12]
	v_frexp_mant_f32_e32 v12, v32
	v_cmp_gt_f32_e32 vcc_lo, 0x3f2aaaab, v12
	v_add_f32_e32 v12, -1.0, v32
	s_delay_alu instid0(VALU_DEP_1) | instskip(NEXT) | instid1(VALU_DEP_1)
	v_sub_f32_e32 v34, v12, v32
	v_add_f32_e32 v34, 1.0, v34
	v_sub_f32_e32 v12, v31, v12
	v_subrev_co_ci_u32_e32 v11, vcc_lo, 0, v11, vcc_lo
	v_cmp_eq_f32_e32 vcc_lo, 0x7f800000, v31
	s_delay_alu instid0(VALU_DEP_2) | instskip(SKIP_1) | instid1(VALU_DEP_2)
	v_sub_nc_u32_e32 v33, 0, v11
	v_cvt_f32_i32_e32 v11, v11
	v_ldexp_f32 v32, v32, v33
	s_delay_alu instid0(VALU_DEP_1) | instskip(NEXT) | instid1(VALU_DEP_1)
	v_dual_add_f32 v35, 1.0, v32 :: v_dual_add_f32 v12, v12, v34
	v_add_f32_e32 v34, -1.0, v35
	s_delay_alu instid0(VALU_DEP_2) | instskip(NEXT) | instid1(VALU_DEP_2)
	v_ldexp_f32 v12, v12, v33
	v_dual_add_f32 v33, -1.0, v32 :: v_dual_sub_f32 v34, v32, v34
	s_delay_alu instid0(VALU_DEP_1) | instskip(NEXT) | instid1(VALU_DEP_2)
	v_add_f32_e32 v36, 1.0, v33
	v_add_f32_e32 v34, v12, v34
	s_delay_alu instid0(VALU_DEP_2) | instskip(NEXT) | instid1(VALU_DEP_2)
	v_sub_f32_e32 v32, v32, v36
	v_add_f32_e32 v36, v35, v34
	s_delay_alu instid0(VALU_DEP_2) | instskip(NEXT) | instid1(VALU_DEP_2)
	v_add_f32_e32 v12, v12, v32
	v_rcp_f32_e32 v32, v36
	v_sub_f32_e32 v35, v35, v36
	s_delay_alu instid0(VALU_DEP_1) | instskip(NEXT) | instid1(VALU_DEP_1)
	v_dual_add_f32 v37, v33, v12 :: v_dual_add_f32 v34, v34, v35
	v_sub_f32_e32 v33, v33, v37
	s_waitcnt_depctr 0xfff
	v_mul_f32_e32 v38, v37, v32
	v_add_f32_e32 v12, v12, v33
	s_delay_alu instid0(VALU_DEP_2) | instskip(NEXT) | instid1(VALU_DEP_1)
	v_mul_f32_e32 v39, v36, v38
	v_fma_f32 v35, v38, v36, -v39
	s_delay_alu instid0(VALU_DEP_1) | instskip(NEXT) | instid1(VALU_DEP_1)
	v_fmac_f32_e32 v35, v38, v34
	v_add_f32_e32 v40, v39, v35
	s_delay_alu instid0(VALU_DEP_1) | instskip(SKIP_1) | instid1(VALU_DEP_2)
	v_sub_f32_e32 v41, v37, v40
	v_sub_f32_e32 v33, v40, v39
	;; [unrolled: 1-line block ×3, first 2 shown]
	s_delay_alu instid0(VALU_DEP_2) | instskip(NEXT) | instid1(VALU_DEP_2)
	v_sub_f32_e32 v33, v33, v35
	v_sub_f32_e32 v37, v37, v40
	s_delay_alu instid0(VALU_DEP_1) | instskip(NEXT) | instid1(VALU_DEP_1)
	v_add_f32_e32 v12, v12, v37
	v_add_f32_e32 v12, v33, v12
	s_delay_alu instid0(VALU_DEP_1) | instskip(NEXT) | instid1(VALU_DEP_1)
	v_add_f32_e32 v33, v41, v12
	v_mul_f32_e32 v35, v32, v33
	s_delay_alu instid0(VALU_DEP_1) | instskip(NEXT) | instid1(VALU_DEP_1)
	v_dual_sub_f32 v40, v41, v33 :: v_dual_mul_f32 v37, v36, v35
	v_add_f32_e32 v12, v12, v40
	s_delay_alu instid0(VALU_DEP_2) | instskip(NEXT) | instid1(VALU_DEP_1)
	v_fma_f32 v36, v35, v36, -v37
	v_fmac_f32_e32 v36, v35, v34
	s_delay_alu instid0(VALU_DEP_1) | instskip(NEXT) | instid1(VALU_DEP_1)
	v_add_f32_e32 v34, v37, v36
	v_sub_f32_e32 v39, v33, v34
	v_sub_f32_e32 v37, v34, v37
	s_delay_alu instid0(VALU_DEP_2) | instskip(NEXT) | instid1(VALU_DEP_1)
	v_sub_f32_e32 v33, v33, v39
	v_sub_f32_e32 v33, v33, v34
	s_delay_alu instid0(VALU_DEP_1) | instskip(NEXT) | instid1(VALU_DEP_4)
	v_dual_add_f32 v12, v12, v33 :: v_dual_add_f32 v33, v38, v35
	v_sub_f32_e32 v34, v37, v36
	s_delay_alu instid0(VALU_DEP_1) | instskip(NEXT) | instid1(VALU_DEP_3)
	v_add_f32_e32 v12, v34, v12
	v_sub_f32_e32 v34, v33, v38
	s_delay_alu instid0(VALU_DEP_2) | instskip(NEXT) | instid1(VALU_DEP_2)
	v_add_f32_e32 v12, v39, v12
	v_sub_f32_e32 v34, v35, v34
	s_delay_alu instid0(VALU_DEP_2) | instskip(NEXT) | instid1(VALU_DEP_1)
	v_mul_f32_e32 v12, v32, v12
	v_add_f32_e32 v12, v34, v12
	s_delay_alu instid0(VALU_DEP_1) | instskip(NEXT) | instid1(VALU_DEP_1)
	v_add_f32_e32 v32, v33, v12
	v_mul_f32_e32 v34, v32, v32
	s_delay_alu instid0(VALU_DEP_1) | instskip(SKIP_2) | instid1(VALU_DEP_3)
	v_fmaak_f32 v35, s12, v34, 0x3ecc95a3
	v_mul_f32_e32 v36, v32, v34
	v_cmp_gt_f32_e64 s12, 0x33800000, |v31|
	v_fmaak_f32 v34, v34, v35, 0x3f2aaada
	v_ldexp_f32 v35, v32, 1
	v_sub_f32_e32 v32, v32, v33
	s_delay_alu instid0(VALU_DEP_4) | instskip(NEXT) | instid1(VALU_DEP_3)
	s_or_b32 vcc_lo, vcc_lo, s12
	v_mul_f32_e32 v34, v36, v34
	v_mul_f32_e32 v36, 0x3f317218, v11
	s_delay_alu instid0(VALU_DEP_2) | instskip(NEXT) | instid1(VALU_DEP_1)
	v_dual_sub_f32 v12, v12, v32 :: v_dual_add_f32 v33, v35, v34
	v_ldexp_f32 v12, v12, 1
	s_delay_alu instid0(VALU_DEP_2) | instskip(NEXT) | instid1(VALU_DEP_4)
	v_sub_f32_e32 v32, v33, v35
	v_fma_f32 v35, 0x3f317218, v11, -v36
	s_delay_alu instid0(VALU_DEP_1) | instskip(NEXT) | instid1(VALU_DEP_1)
	v_dual_sub_f32 v32, v34, v32 :: v_dual_fmamk_f32 v11, v11, 0xb102e308, v35
	v_add_f32_e32 v12, v12, v32
	s_delay_alu instid0(VALU_DEP_2) | instskip(NEXT) | instid1(VALU_DEP_2)
	v_add_f32_e32 v32, v36, v11
	v_add_f32_e32 v34, v33, v12
	s_delay_alu instid0(VALU_DEP_2) | instskip(NEXT) | instid1(VALU_DEP_2)
	v_sub_f32_e32 v36, v32, v36
	v_add_f32_e32 v35, v32, v34
	v_sub_f32_e32 v33, v34, v33
	s_delay_alu instid0(VALU_DEP_3) | instskip(NEXT) | instid1(VALU_DEP_2)
	v_sub_f32_e32 v11, v11, v36
	v_dual_sub_f32 v37, v35, v32 :: v_dual_sub_f32 v12, v12, v33
	s_delay_alu instid0(VALU_DEP_1) | instskip(NEXT) | instid1(VALU_DEP_2)
	v_sub_f32_e32 v38, v35, v37
	v_dual_sub_f32 v33, v34, v37 :: v_dual_add_f32 v34, v11, v12
	s_delay_alu instid0(VALU_DEP_2) | instskip(NEXT) | instid1(VALU_DEP_1)
	v_sub_f32_e32 v32, v32, v38
	v_dual_add_f32 v32, v33, v32 :: v_dual_sub_f32 v33, v34, v11
	s_delay_alu instid0(VALU_DEP_1) | instskip(NEXT) | instid1(VALU_DEP_2)
	v_add_f32_e32 v32, v34, v32
	v_sub_f32_e32 v34, v34, v33
	v_sub_f32_e32 v12, v12, v33
	s_delay_alu instid0(VALU_DEP_3) | instskip(NEXT) | instid1(VALU_DEP_3)
	v_add_f32_e32 v36, v35, v32
	v_sub_f32_e32 v11, v11, v34
	s_delay_alu instid0(VALU_DEP_2) | instskip(NEXT) | instid1(VALU_DEP_2)
	v_sub_f32_e32 v33, v36, v35
	v_add_f32_e32 v11, v12, v11
	s_delay_alu instid0(VALU_DEP_2) | instskip(NEXT) | instid1(VALU_DEP_1)
	v_sub_f32_e32 v12, v32, v33
	v_add_f32_e32 v11, v11, v12
	s_delay_alu instid0(VALU_DEP_1) | instskip(NEXT) | instid1(VALU_DEP_1)
	v_add_f32_e32 v11, v36, v11
	v_cndmask_b32_e32 v11, v11, v31, vcc_lo
	s_delay_alu instid0(VALU_DEP_1)
	v_add_f32_e32 v11, v9, v11
.LBB99_92:
	s_or_b32 exec_lo, exec_lo, s11
	s_delay_alu instid0(VALU_DEP_1)
	v_mov_b32_e32 v9, v11
	v_mov_b32_e32 v12, v11
.LBB99_93:
	s_or_b32 exec_lo, exec_lo, s10
	v_cmp_gt_u32_e32 vcc_lo, 16, v23
	v_add_nc_u32_e32 v33, 16, v23
	s_mov_b32 s10, exec_lo
	s_waitcnt lgkmcnt(0)
	v_cndmask_b32_e64 v11, 0, 1, vcc_lo
	s_delay_alu instid0(VALU_DEP_1) | instskip(NEXT) | instid1(VALU_DEP_1)
	v_lshlrev_b32_e32 v11, 4, v11
	v_add_lshl_u32 v32, v11, v23, 2
	ds_bpermute_b32 v9, v32, v9
	v_cmpx_le_u32_e64 v33, v5
	s_cbranch_execz .LBB99_97
; %bb.94:
	v_max_f32_e32 v5, v12, v12
	s_waitcnt lgkmcnt(0)
	v_max_f32_e32 v11, v9, v9
	v_cmp_u_f32_e32 vcc_lo, v9, v9
	s_delay_alu instid0(VALU_DEP_2) | instskip(SKIP_1) | instid1(VALU_DEP_2)
	v_min_f32_e32 v31, v11, v5
	v_max_f32_e32 v5, v11, v5
	v_cndmask_b32_e32 v11, v31, v9, vcc_lo
	s_delay_alu instid0(VALU_DEP_2) | instskip(SKIP_1) | instid1(VALU_DEP_3)
	v_cndmask_b32_e32 v5, v5, v9, vcc_lo
	v_cmp_u_f32_e32 vcc_lo, v12, v12
	v_cndmask_b32_e32 v11, v11, v12, vcc_lo
	s_delay_alu instid0(VALU_DEP_3) | instskip(NEXT) | instid1(VALU_DEP_2)
	v_cndmask_b32_e32 v5, v5, v12, vcc_lo
	v_cmp_class_f32_e64 s11, v11, 0x1f8
	s_delay_alu instid0(VALU_DEP_2) | instskip(NEXT) | instid1(VALU_DEP_2)
	v_cmp_neq_f32_e32 vcc_lo, v11, v5
	s_or_b32 s12, vcc_lo, s11
	s_delay_alu instid0(SALU_CYCLE_1)
	s_and_saveexec_b32 s11, s12
	s_cbranch_execz .LBB99_96
; %bb.95:
	v_sub_f32_e32 v9, v11, v5
	s_mov_b32 s12, 0x3e9b6dac
	s_delay_alu instid0(VALU_DEP_1) | instskip(SKIP_1) | instid1(VALU_DEP_2)
	v_mul_f32_e32 v11, 0x3fb8aa3b, v9
	v_cmp_ngt_f32_e32 vcc_lo, 0xc2ce8ed0, v9
	v_fma_f32 v12, 0x3fb8aa3b, v9, -v11
	v_rndne_f32_e32 v31, v11
	s_delay_alu instid0(VALU_DEP_1) | instskip(NEXT) | instid1(VALU_DEP_1)
	v_dual_fmamk_f32 v12, v9, 0x32a5705f, v12 :: v_dual_sub_f32 v11, v11, v31
	v_add_f32_e32 v11, v11, v12
	v_cvt_i32_f32_e32 v12, v31
	s_delay_alu instid0(VALU_DEP_2) | instskip(SKIP_2) | instid1(VALU_DEP_1)
	v_exp_f32_e32 v11, v11
	s_waitcnt_depctr 0xfff
	v_ldexp_f32 v11, v11, v12
	v_cndmask_b32_e32 v11, 0, v11, vcc_lo
	v_cmp_nlt_f32_e32 vcc_lo, 0x42b17218, v9
	s_delay_alu instid0(VALU_DEP_2) | instskip(NEXT) | instid1(VALU_DEP_1)
	v_cndmask_b32_e32 v9, 0x7f800000, v11, vcc_lo
	v_add_f32_e32 v31, 1.0, v9
	s_delay_alu instid0(VALU_DEP_1) | instskip(NEXT) | instid1(VALU_DEP_1)
	v_cvt_f64_f32_e32 v[11:12], v31
	v_frexp_exp_i32_f64_e32 v11, v[11:12]
	v_frexp_mant_f32_e32 v12, v31
	s_delay_alu instid0(VALU_DEP_1) | instskip(SKIP_1) | instid1(VALU_DEP_1)
	v_cmp_gt_f32_e32 vcc_lo, 0x3f2aaaab, v12
	v_add_f32_e32 v12, -1.0, v31
	v_dual_sub_f32 v35, v12, v31 :: v_dual_sub_f32 v12, v9, v12
	s_delay_alu instid0(VALU_DEP_1) | instskip(NEXT) | instid1(VALU_DEP_1)
	v_add_f32_e32 v35, 1.0, v35
	v_add_f32_e32 v12, v12, v35
	v_subrev_co_ci_u32_e32 v11, vcc_lo, 0, v11, vcc_lo
	s_delay_alu instid0(VALU_DEP_1) | instskip(SKIP_1) | instid1(VALU_DEP_2)
	v_sub_nc_u32_e32 v34, 0, v11
	v_cvt_f32_i32_e32 v11, v11
	v_ldexp_f32 v31, v31, v34
	v_ldexp_f32 v12, v12, v34
	s_delay_alu instid0(VALU_DEP_2) | instskip(NEXT) | instid1(VALU_DEP_1)
	v_add_f32_e32 v36, 1.0, v31
	v_dual_add_f32 v34, -1.0, v31 :: v_dual_add_f32 v35, -1.0, v36
	s_delay_alu instid0(VALU_DEP_1) | instskip(NEXT) | instid1(VALU_DEP_2)
	v_add_f32_e32 v37, 1.0, v34
	v_sub_f32_e32 v35, v31, v35
	s_delay_alu instid0(VALU_DEP_2) | instskip(NEXT) | instid1(VALU_DEP_2)
	v_sub_f32_e32 v31, v31, v37
	v_add_f32_e32 v35, v12, v35
	s_delay_alu instid0(VALU_DEP_2) | instskip(NEXT) | instid1(VALU_DEP_1)
	v_add_f32_e32 v12, v12, v31
	v_dual_add_f32 v37, v36, v35 :: v_dual_add_f32 v38, v34, v12
	s_delay_alu instid0(VALU_DEP_1) | instskip(SKIP_2) | instid1(VALU_DEP_3)
	v_rcp_f32_e32 v31, v37
	v_sub_f32_e32 v36, v36, v37
	v_cmp_eq_f32_e32 vcc_lo, 0x7f800000, v9
	v_sub_f32_e32 v34, v34, v38
	s_delay_alu instid0(VALU_DEP_1) | instskip(SKIP_2) | instid1(VALU_DEP_1)
	v_dual_add_f32 v12, v12, v34 :: v_dual_add_f32 v35, v35, v36
	s_waitcnt_depctr 0xfff
	v_mul_f32_e32 v39, v38, v31
	v_mul_f32_e32 v40, v37, v39
	s_delay_alu instid0(VALU_DEP_1) | instskip(NEXT) | instid1(VALU_DEP_1)
	v_fma_f32 v36, v39, v37, -v40
	v_fmac_f32_e32 v36, v39, v35
	s_delay_alu instid0(VALU_DEP_1) | instskip(NEXT) | instid1(VALU_DEP_1)
	v_add_f32_e32 v41, v40, v36
	v_sub_f32_e32 v42, v38, v41
	v_sub_f32_e32 v34, v41, v40
	s_delay_alu instid0(VALU_DEP_2) | instskip(NEXT) | instid1(VALU_DEP_1)
	v_sub_f32_e32 v38, v38, v42
	v_sub_f32_e32 v38, v38, v41
	s_delay_alu instid0(VALU_DEP_1) | instskip(NEXT) | instid1(VALU_DEP_4)
	v_add_f32_e32 v12, v12, v38
	v_sub_f32_e32 v34, v34, v36
	s_delay_alu instid0(VALU_DEP_1) | instskip(NEXT) | instid1(VALU_DEP_1)
	v_add_f32_e32 v12, v34, v12
	v_add_f32_e32 v34, v42, v12
	s_delay_alu instid0(VALU_DEP_1) | instskip(NEXT) | instid1(VALU_DEP_1)
	v_mul_f32_e32 v36, v31, v34
	v_dual_sub_f32 v41, v42, v34 :: v_dual_mul_f32 v38, v37, v36
	s_delay_alu instid0(VALU_DEP_1) | instskip(NEXT) | instid1(VALU_DEP_2)
	v_add_f32_e32 v12, v12, v41
	v_fma_f32 v37, v36, v37, -v38
	s_delay_alu instid0(VALU_DEP_1) | instskip(NEXT) | instid1(VALU_DEP_1)
	v_fmac_f32_e32 v37, v36, v35
	v_add_f32_e32 v35, v38, v37
	s_delay_alu instid0(VALU_DEP_1) | instskip(NEXT) | instid1(VALU_DEP_1)
	v_sub_f32_e32 v40, v34, v35
	v_sub_f32_e32 v34, v34, v40
	s_delay_alu instid0(VALU_DEP_1) | instskip(NEXT) | instid1(VALU_DEP_1)
	v_sub_f32_e32 v34, v34, v35
	v_add_f32_e32 v12, v12, v34
	v_add_f32_e32 v34, v39, v36
	v_sub_f32_e32 v38, v35, v38
	s_delay_alu instid0(VALU_DEP_1) | instskip(NEXT) | instid1(VALU_DEP_1)
	v_sub_f32_e32 v35, v38, v37
	v_dual_add_f32 v12, v35, v12 :: v_dual_sub_f32 v35, v34, v39
	s_delay_alu instid0(VALU_DEP_1) | instskip(NEXT) | instid1(VALU_DEP_1)
	v_add_f32_e32 v12, v40, v12
	v_dual_sub_f32 v35, v36, v35 :: v_dual_mul_f32 v12, v31, v12
	s_delay_alu instid0(VALU_DEP_1) | instskip(NEXT) | instid1(VALU_DEP_1)
	v_add_f32_e32 v12, v35, v12
	v_add_f32_e32 v31, v34, v12
	s_delay_alu instid0(VALU_DEP_1) | instskip(NEXT) | instid1(VALU_DEP_1)
	v_mul_f32_e32 v35, v31, v31
	v_fmaak_f32 v36, s12, v35, 0x3ecc95a3
	v_mul_f32_e32 v37, v31, v35
	v_cmp_gt_f32_e64 s12, 0x33800000, |v9|
	s_delay_alu instid0(VALU_DEP_3) | instskip(SKIP_1) | instid1(VALU_DEP_3)
	v_fmaak_f32 v35, v35, v36, 0x3f2aaada
	v_ldexp_f32 v36, v31, 1
	s_or_b32 vcc_lo, vcc_lo, s12
	s_delay_alu instid0(VALU_DEP_2) | instskip(SKIP_1) | instid1(VALU_DEP_2)
	v_mul_f32_e32 v35, v37, v35
	v_mul_f32_e32 v37, 0x3f317218, v11
	v_dual_sub_f32 v31, v31, v34 :: v_dual_add_f32 v34, v36, v35
	s_delay_alu instid0(VALU_DEP_1) | instskip(NEXT) | instid1(VALU_DEP_3)
	v_dual_sub_f32 v12, v12, v31 :: v_dual_sub_f32 v31, v34, v36
	v_fma_f32 v36, 0x3f317218, v11, -v37
	s_delay_alu instid0(VALU_DEP_2) | instskip(NEXT) | instid1(VALU_DEP_3)
	v_ldexp_f32 v12, v12, 1
	v_sub_f32_e32 v31, v35, v31
	s_delay_alu instid0(VALU_DEP_1) | instskip(NEXT) | instid1(VALU_DEP_1)
	v_dual_fmamk_f32 v11, v11, 0xb102e308, v36 :: v_dual_add_f32 v12, v12, v31
	v_add_f32_e32 v31, v37, v11
	s_delay_alu instid0(VALU_DEP_1) | instskip(NEXT) | instid1(VALU_DEP_1)
	v_sub_f32_e32 v37, v31, v37
	v_sub_f32_e32 v11, v11, v37
	s_delay_alu instid0(VALU_DEP_4) | instskip(NEXT) | instid1(VALU_DEP_1)
	v_add_f32_e32 v35, v34, v12
	v_add_f32_e32 v36, v31, v35
	s_delay_alu instid0(VALU_DEP_1) | instskip(SKIP_1) | instid1(VALU_DEP_2)
	v_sub_f32_e32 v38, v36, v31
	v_sub_f32_e32 v34, v35, v34
	v_sub_f32_e32 v39, v36, v38
	s_delay_alu instid0(VALU_DEP_2) | instskip(SKIP_1) | instid1(VALU_DEP_3)
	v_sub_f32_e32 v12, v12, v34
	v_sub_f32_e32 v34, v35, v38
	;; [unrolled: 1-line block ×3, first 2 shown]
	s_delay_alu instid0(VALU_DEP_3) | instskip(NEXT) | instid1(VALU_DEP_2)
	v_add_f32_e32 v35, v11, v12
	v_add_f32_e32 v31, v34, v31
	s_delay_alu instid0(VALU_DEP_2) | instskip(NEXT) | instid1(VALU_DEP_2)
	v_sub_f32_e32 v34, v35, v11
	v_add_f32_e32 v31, v35, v31
	s_delay_alu instid0(VALU_DEP_2) | instskip(SKIP_1) | instid1(VALU_DEP_3)
	v_sub_f32_e32 v35, v35, v34
	v_sub_f32_e32 v12, v12, v34
	v_add_f32_e32 v37, v36, v31
	s_delay_alu instid0(VALU_DEP_1) | instskip(NEXT) | instid1(VALU_DEP_1)
	v_dual_sub_f32 v11, v11, v35 :: v_dual_sub_f32 v34, v37, v36
	v_dual_add_f32 v11, v12, v11 :: v_dual_sub_f32 v12, v31, v34
	s_delay_alu instid0(VALU_DEP_1) | instskip(NEXT) | instid1(VALU_DEP_1)
	v_add_f32_e32 v11, v11, v12
	v_add_f32_e32 v11, v37, v11
	s_delay_alu instid0(VALU_DEP_1) | instskip(NEXT) | instid1(VALU_DEP_1)
	v_cndmask_b32_e32 v9, v11, v9, vcc_lo
	v_add_f32_e32 v9, v5, v9
.LBB99_96:
	s_or_b32 exec_lo, exec_lo, s11
	s_delay_alu instid0(VALU_DEP_1)
	v_mov_b32_e32 v12, v9
.LBB99_97:
	s_or_b32 exec_lo, exec_lo, s10
	v_mov_b32_e32 v5, 0
	s_mov_b32 s10, 0x3e9b6dac
	s_branch .LBB99_99
.LBB99_98:                              ;   in Loop: Header=BB99_99 Depth=1
	s_or_b32 exec_lo, exec_lo, s11
	v_subrev_nc_u32_e32 v4, 32, v4
.LBB99_99:                              ; =>This Loop Header: Depth=1
                                        ;     Child Loop BB99_102 Depth 2
	s_waitcnt lgkmcnt(0)
	v_and_b32_e32 v9, 0xff, v10
	v_mov_b32_e32 v31, v12
	s_delay_alu instid0(VALU_DEP_2) | instskip(SKIP_2) | instid1(VALU_DEP_1)
	v_cmp_ne_u16_e32 vcc_lo, 2, v9
	v_cndmask_b32_e64 v9, 0, 1, vcc_lo
	;;#ASMSTART
	;;#ASMEND
	v_cmp_ne_u32_e32 vcc_lo, 0, v9
	s_cmp_lg_u32 vcc_lo, exec_lo
	s_cbranch_scc1 .LBB99_126
; %bb.100:                              ;   in Loop: Header=BB99_99 Depth=1
	v_lshlrev_b64 v[9:10], 3, v[4:5]
	s_mov_b32 s11, exec_lo
	s_delay_alu instid0(VALU_DEP_1) | instskip(NEXT) | instid1(VALU_DEP_2)
	v_add_co_u32 v11, vcc_lo, s22, v9
	v_add_co_ci_u32_e32 v12, vcc_lo, s23, v10, vcc_lo
	global_load_b64 v[9:10], v[11:12], off glc
	s_waitcnt vmcnt(0)
	v_and_b32_e32 v34, 0xff, v10
	s_delay_alu instid0(VALU_DEP_1)
	v_cmpx_eq_u16_e32 0, v34
	s_cbranch_execz .LBB99_104
; %bb.101:                              ;   in Loop: Header=BB99_99 Depth=1
	s_mov_b32 s12, 0
.LBB99_102:                             ;   Parent Loop BB99_99 Depth=1
                                        ; =>  This Inner Loop Header: Depth=2
	global_load_b64 v[9:10], v[11:12], off glc
	s_waitcnt vmcnt(0)
	v_and_b32_e32 v34, 0xff, v10
	s_delay_alu instid0(VALU_DEP_1) | instskip(SKIP_1) | instid1(SALU_CYCLE_1)
	v_cmp_ne_u16_e32 vcc_lo, 0, v34
	s_or_b32 s12, vcc_lo, s12
	s_and_not1_b32 exec_lo, exec_lo, s12
	s_cbranch_execnz .LBB99_102
; %bb.103:                              ;   in Loop: Header=BB99_99 Depth=1
	s_or_b32 exec_lo, exec_lo, s12
.LBB99_104:                             ;   in Loop: Header=BB99_99 Depth=1
	s_delay_alu instid0(SALU_CYCLE_1)
	s_or_b32 exec_lo, exec_lo, s11
	v_dual_mov_b32 v12, v9 :: v_dual_and_b32 v11, 0xff, v10
	ds_bpermute_b32 v34, v6, v9
	s_mov_b32 s11, exec_lo
	v_cmp_eq_u16_e32 vcc_lo, 2, v11
	v_and_or_b32 v11, vcc_lo, v24, 0x80000000
	s_delay_alu instid0(VALU_DEP_1) | instskip(NEXT) | instid1(VALU_DEP_1)
	v_ctz_i32_b32_e32 v11, v11
	v_cmpx_lt_u32_e64 v23, v11
	s_cbranch_execz .LBB99_108
; %bb.105:                              ;   in Loop: Header=BB99_99 Depth=1
	s_waitcnt lgkmcnt(0)
	v_dual_max_f32 v12, v9, v9 :: v_dual_max_f32 v35, v34, v34
	v_cmp_u_f32_e32 vcc_lo, v34, v34
	s_delay_alu instid0(VALU_DEP_2) | instskip(NEXT) | instid1(VALU_DEP_1)
	v_min_f32_e32 v36, v35, v12
	v_dual_max_f32 v12, v35, v12 :: v_dual_cndmask_b32 v35, v36, v34
	s_delay_alu instid0(VALU_DEP_1) | instskip(SKIP_1) | instid1(VALU_DEP_3)
	v_cndmask_b32_e32 v36, v12, v34, vcc_lo
	v_cmp_u_f32_e32 vcc_lo, v9, v9
	v_cndmask_b32_e32 v12, v35, v9, vcc_lo
	s_delay_alu instid0(VALU_DEP_3) | instskip(NEXT) | instid1(VALU_DEP_2)
	v_cndmask_b32_e32 v9, v36, v9, vcc_lo
	v_cmp_class_f32_e64 s12, v12, 0x1f8
	s_delay_alu instid0(VALU_DEP_2) | instskip(NEXT) | instid1(VALU_DEP_2)
	v_cmp_neq_f32_e32 vcc_lo, v12, v9
	s_or_b32 s13, vcc_lo, s12
	s_delay_alu instid0(SALU_CYCLE_1)
	s_and_saveexec_b32 s12, s13
	s_cbranch_execz .LBB99_107
; %bb.106:                              ;   in Loop: Header=BB99_99 Depth=1
	v_sub_f32_e32 v12, v12, v9
	s_delay_alu instid0(VALU_DEP_1) | instskip(SKIP_1) | instid1(VALU_DEP_2)
	v_mul_f32_e32 v34, 0x3fb8aa3b, v12
	v_cmp_ngt_f32_e32 vcc_lo, 0xc2ce8ed0, v12
	v_fma_f32 v35, 0x3fb8aa3b, v12, -v34
	v_rndne_f32_e32 v36, v34
	s_delay_alu instid0(VALU_DEP_2) | instskip(NEXT) | instid1(VALU_DEP_2)
	v_fmac_f32_e32 v35, 0x32a5705f, v12
	v_sub_f32_e32 v34, v34, v36
	s_delay_alu instid0(VALU_DEP_1) | instskip(SKIP_1) | instid1(VALU_DEP_2)
	v_add_f32_e32 v34, v34, v35
	v_cvt_i32_f32_e32 v35, v36
	v_exp_f32_e32 v34, v34
	s_waitcnt_depctr 0xfff
	v_ldexp_f32 v34, v34, v35
	s_delay_alu instid0(VALU_DEP_1) | instskip(SKIP_1) | instid1(VALU_DEP_2)
	v_cndmask_b32_e32 v34, 0, v34, vcc_lo
	v_cmp_nlt_f32_e32 vcc_lo, 0x42b17218, v12
	v_cndmask_b32_e32 v12, 0x7f800000, v34, vcc_lo
	s_delay_alu instid0(VALU_DEP_1) | instskip(NEXT) | instid1(VALU_DEP_1)
	v_add_f32_e32 v36, 1.0, v12
	v_cvt_f64_f32_e32 v[34:35], v36
	s_delay_alu instid0(VALU_DEP_1) | instskip(SKIP_1) | instid1(VALU_DEP_1)
	v_frexp_exp_i32_f64_e32 v34, v[34:35]
	v_frexp_mant_f32_e32 v35, v36
	v_cmp_gt_f32_e32 vcc_lo, 0x3f2aaaab, v35
	v_add_f32_e32 v35, -1.0, v36
	s_delay_alu instid0(VALU_DEP_1) | instskip(NEXT) | instid1(VALU_DEP_1)
	v_dual_sub_f32 v38, v35, v36 :: v_dual_sub_f32 v35, v12, v35
	v_add_f32_e32 v38, 1.0, v38
	s_delay_alu instid0(VALU_DEP_1) | instskip(SKIP_1) | instid1(VALU_DEP_1)
	v_add_f32_e32 v35, v35, v38
	v_subrev_co_ci_u32_e32 v34, vcc_lo, 0, v34, vcc_lo
	v_sub_nc_u32_e32 v37, 0, v34
	v_cvt_f32_i32_e32 v34, v34
	s_delay_alu instid0(VALU_DEP_2) | instskip(SKIP_1) | instid1(VALU_DEP_2)
	v_ldexp_f32 v36, v36, v37
	v_ldexp_f32 v35, v35, v37
	v_add_f32_e32 v39, 1.0, v36
	v_add_f32_e32 v37, -1.0, v36
	v_cmp_eq_f32_e32 vcc_lo, 0x7f800000, v12
	v_cmp_gt_f32_e64 s13, 0x33800000, |v12|
	s_delay_alu instid0(VALU_DEP_4) | instskip(NEXT) | instid1(VALU_DEP_4)
	v_add_f32_e32 v38, -1.0, v39
	v_add_f32_e32 v40, 1.0, v37
	s_delay_alu instid0(VALU_DEP_3) | instskip(NEXT) | instid1(VALU_DEP_2)
	s_or_b32 vcc_lo, vcc_lo, s13
	v_sub_f32_e32 v38, v36, v38
	s_delay_alu instid0(VALU_DEP_2) | instskip(NEXT) | instid1(VALU_DEP_2)
	v_sub_f32_e32 v36, v36, v40
	v_add_f32_e32 v38, v35, v38
	s_delay_alu instid0(VALU_DEP_2) | instskip(NEXT) | instid1(VALU_DEP_1)
	v_add_f32_e32 v35, v35, v36
	v_add_f32_e32 v41, v37, v35
	s_delay_alu instid0(VALU_DEP_1) | instskip(NEXT) | instid1(VALU_DEP_1)
	v_dual_sub_f32 v37, v37, v41 :: v_dual_add_f32 v40, v39, v38
	v_add_f32_e32 v35, v35, v37
	s_delay_alu instid0(VALU_DEP_2) | instskip(SKIP_1) | instid1(VALU_DEP_1)
	v_rcp_f32_e32 v36, v40
	v_sub_f32_e32 v39, v39, v40
	v_add_f32_e32 v38, v38, v39
	s_waitcnt_depctr 0xfff
	v_mul_f32_e32 v42, v41, v36
	s_delay_alu instid0(VALU_DEP_1) | instskip(NEXT) | instid1(VALU_DEP_1)
	v_mul_f32_e32 v43, v40, v42
	v_fma_f32 v39, v42, v40, -v43
	s_delay_alu instid0(VALU_DEP_1) | instskip(NEXT) | instid1(VALU_DEP_1)
	v_fmac_f32_e32 v39, v42, v38
	v_add_f32_e32 v44, v43, v39
	s_delay_alu instid0(VALU_DEP_1) | instskip(SKIP_1) | instid1(VALU_DEP_2)
	v_sub_f32_e32 v45, v41, v44
	v_sub_f32_e32 v37, v44, v43
	;; [unrolled: 1-line block ×3, first 2 shown]
	s_delay_alu instid0(VALU_DEP_1) | instskip(NEXT) | instid1(VALU_DEP_3)
	v_sub_f32_e32 v41, v41, v44
	v_sub_f32_e32 v37, v37, v39
	s_delay_alu instid0(VALU_DEP_2) | instskip(NEXT) | instid1(VALU_DEP_1)
	v_add_f32_e32 v35, v35, v41
	v_add_f32_e32 v35, v37, v35
	s_delay_alu instid0(VALU_DEP_1) | instskip(NEXT) | instid1(VALU_DEP_1)
	v_add_f32_e32 v37, v45, v35
	v_mul_f32_e32 v39, v36, v37
	s_delay_alu instid0(VALU_DEP_1) | instskip(NEXT) | instid1(VALU_DEP_1)
	v_dual_sub_f32 v44, v45, v37 :: v_dual_mul_f32 v41, v40, v39
	v_add_f32_e32 v35, v35, v44
	s_delay_alu instid0(VALU_DEP_2) | instskip(NEXT) | instid1(VALU_DEP_1)
	v_fma_f32 v40, v39, v40, -v41
	v_fmac_f32_e32 v40, v39, v38
	s_delay_alu instid0(VALU_DEP_1) | instskip(NEXT) | instid1(VALU_DEP_1)
	v_add_f32_e32 v38, v41, v40
	v_sub_f32_e32 v43, v37, v38
	s_delay_alu instid0(VALU_DEP_1) | instskip(NEXT) | instid1(VALU_DEP_1)
	v_sub_f32_e32 v37, v37, v43
	v_sub_f32_e32 v37, v37, v38
	s_delay_alu instid0(VALU_DEP_1) | instskip(SKIP_2) | instid1(VALU_DEP_1)
	v_add_f32_e32 v35, v35, v37
	v_add_f32_e32 v37, v42, v39
	v_sub_f32_e32 v41, v38, v41
	v_sub_f32_e32 v38, v41, v40
	s_delay_alu instid0(VALU_DEP_1) | instskip(NEXT) | instid1(VALU_DEP_1)
	v_dual_add_f32 v35, v38, v35 :: v_dual_sub_f32 v38, v37, v42
	v_add_f32_e32 v35, v43, v35
	s_delay_alu instid0(VALU_DEP_1) | instskip(NEXT) | instid1(VALU_DEP_1)
	v_dual_sub_f32 v38, v39, v38 :: v_dual_mul_f32 v35, v36, v35
	v_add_f32_e32 v35, v38, v35
	s_delay_alu instid0(VALU_DEP_1) | instskip(NEXT) | instid1(VALU_DEP_1)
	v_add_f32_e32 v36, v37, v35
	v_mul_f32_e32 v38, v36, v36
	s_delay_alu instid0(VALU_DEP_1) | instskip(SKIP_1) | instid1(VALU_DEP_2)
	v_fmaak_f32 v39, s10, v38, 0x3ecc95a3
	v_mul_f32_e32 v40, v36, v38
	v_fmaak_f32 v38, v38, v39, 0x3f2aaada
	v_ldexp_f32 v39, v36, 1
	s_delay_alu instid0(VALU_DEP_2) | instskip(SKIP_1) | instid1(VALU_DEP_2)
	v_mul_f32_e32 v38, v40, v38
	v_mul_f32_e32 v40, 0x3f317218, v34
	v_dual_sub_f32 v36, v36, v37 :: v_dual_add_f32 v37, v39, v38
	s_delay_alu instid0(VALU_DEP_1) | instskip(NEXT) | instid1(VALU_DEP_3)
	v_dual_sub_f32 v35, v35, v36 :: v_dual_sub_f32 v36, v37, v39
	v_fma_f32 v39, 0x3f317218, v34, -v40
	s_delay_alu instid0(VALU_DEP_2) | instskip(NEXT) | instid1(VALU_DEP_2)
	v_ldexp_f32 v35, v35, 1
	v_dual_sub_f32 v36, v38, v36 :: v_dual_fmac_f32 v39, 0xb102e308, v34
	s_delay_alu instid0(VALU_DEP_1) | instskip(NEXT) | instid1(VALU_DEP_1)
	v_dual_add_f32 v34, v35, v36 :: v_dual_add_f32 v35, v40, v39
	v_add_f32_e32 v36, v37, v34
	s_delay_alu instid0(VALU_DEP_1) | instskip(NEXT) | instid1(VALU_DEP_1)
	v_add_f32_e32 v38, v35, v36
	v_sub_f32_e32 v41, v38, v35
	s_delay_alu instid0(VALU_DEP_1) | instskip(SKIP_1) | instid1(VALU_DEP_1)
	v_sub_f32_e32 v42, v38, v41
	v_sub_f32_e32 v37, v36, v37
	;; [unrolled: 1-line block ×4, first 2 shown]
	s_delay_alu instid0(VALU_DEP_1) | instskip(NEXT) | instid1(VALU_DEP_1)
	v_dual_sub_f32 v36, v36, v41 :: v_dual_sub_f32 v39, v39, v40
	v_add_f32_e32 v37, v39, v34
	v_sub_f32_e32 v35, v35, v42
	s_delay_alu instid0(VALU_DEP_1) | instskip(NEXT) | instid1(VALU_DEP_3)
	v_add_f32_e32 v35, v36, v35
	v_sub_f32_e32 v36, v37, v39
	s_delay_alu instid0(VALU_DEP_1) | instskip(NEXT) | instid1(VALU_DEP_1)
	v_dual_sub_f32 v34, v34, v36 :: v_dual_add_f32 v35, v37, v35
	v_dual_sub_f32 v37, v37, v36 :: v_dual_add_f32 v40, v38, v35
	s_delay_alu instid0(VALU_DEP_1) | instskip(NEXT) | instid1(VALU_DEP_1)
	v_dual_sub_f32 v36, v40, v38 :: v_dual_sub_f32 v37, v39, v37
	v_dual_sub_f32 v35, v35, v36 :: v_dual_add_f32 v34, v34, v37
	s_delay_alu instid0(VALU_DEP_1) | instskip(NEXT) | instid1(VALU_DEP_1)
	v_add_f32_e32 v34, v34, v35
	v_add_f32_e32 v34, v40, v34
	s_delay_alu instid0(VALU_DEP_1) | instskip(NEXT) | instid1(VALU_DEP_1)
	v_cndmask_b32_e32 v12, v34, v12, vcc_lo
	v_add_f32_e32 v34, v9, v12
.LBB99_107:                             ;   in Loop: Header=BB99_99 Depth=1
	s_or_b32 exec_lo, exec_lo, s12
	s_delay_alu instid0(VALU_DEP_1)
	v_mov_b32_e32 v9, v34
	v_mov_b32_e32 v12, v34
.LBB99_108:                             ;   in Loop: Header=BB99_99 Depth=1
	s_or_b32 exec_lo, exec_lo, s11
	s_waitcnt lgkmcnt(0)
	ds_bpermute_b32 v34, v25, v9
	s_mov_b32 s11, exec_lo
	v_cmpx_le_u32_e64 v26, v11
	s_cbranch_execz .LBB99_112
; %bb.109:                              ;   in Loop: Header=BB99_99 Depth=1
	v_max_f32_e32 v9, v12, v12
	s_waitcnt lgkmcnt(0)
	v_max_f32_e32 v35, v34, v34
	v_cmp_u_f32_e32 vcc_lo, v34, v34
	s_delay_alu instid0(VALU_DEP_2) | instskip(SKIP_1) | instid1(VALU_DEP_1)
	v_min_f32_e32 v36, v35, v9
	v_max_f32_e32 v9, v35, v9
	v_cndmask_b32_e32 v9, v9, v34, vcc_lo
	s_delay_alu instid0(VALU_DEP_3) | instskip(SKIP_1) | instid1(VALU_DEP_2)
	v_cndmask_b32_e32 v35, v36, v34, vcc_lo
	v_cmp_u_f32_e32 vcc_lo, v12, v12
	v_cndmask_b32_e32 v35, v35, v12, vcc_lo
	s_delay_alu instid0(VALU_DEP_4) | instskip(NEXT) | instid1(VALU_DEP_2)
	v_cndmask_b32_e32 v9, v9, v12, vcc_lo
	v_cmp_class_f32_e64 s12, v35, 0x1f8
	s_delay_alu instid0(VALU_DEP_2) | instskip(NEXT) | instid1(VALU_DEP_2)
	v_cmp_neq_f32_e32 vcc_lo, v35, v9
	s_or_b32 s13, vcc_lo, s12
	s_delay_alu instid0(SALU_CYCLE_1)
	s_and_saveexec_b32 s12, s13
	s_cbranch_execz .LBB99_111
; %bb.110:                              ;   in Loop: Header=BB99_99 Depth=1
	v_sub_f32_e32 v12, v35, v9
	s_delay_alu instid0(VALU_DEP_1) | instskip(SKIP_1) | instid1(VALU_DEP_2)
	v_mul_f32_e32 v34, 0x3fb8aa3b, v12
	v_cmp_ngt_f32_e32 vcc_lo, 0xc2ce8ed0, v12
	v_fma_f32 v35, 0x3fb8aa3b, v12, -v34
	v_rndne_f32_e32 v36, v34
	s_delay_alu instid0(VALU_DEP_2) | instskip(NEXT) | instid1(VALU_DEP_2)
	v_fmac_f32_e32 v35, 0x32a5705f, v12
	v_sub_f32_e32 v34, v34, v36
	s_delay_alu instid0(VALU_DEP_1) | instskip(SKIP_1) | instid1(VALU_DEP_2)
	v_add_f32_e32 v34, v34, v35
	v_cvt_i32_f32_e32 v35, v36
	v_exp_f32_e32 v34, v34
	s_waitcnt_depctr 0xfff
	v_ldexp_f32 v34, v34, v35
	s_delay_alu instid0(VALU_DEP_1) | instskip(SKIP_1) | instid1(VALU_DEP_2)
	v_cndmask_b32_e32 v34, 0, v34, vcc_lo
	v_cmp_nlt_f32_e32 vcc_lo, 0x42b17218, v12
	v_cndmask_b32_e32 v12, 0x7f800000, v34, vcc_lo
	s_delay_alu instid0(VALU_DEP_1) | instskip(NEXT) | instid1(VALU_DEP_1)
	v_add_f32_e32 v36, 1.0, v12
	v_cvt_f64_f32_e32 v[34:35], v36
	s_delay_alu instid0(VALU_DEP_1) | instskip(SKIP_1) | instid1(VALU_DEP_1)
	v_frexp_exp_i32_f64_e32 v34, v[34:35]
	v_frexp_mant_f32_e32 v35, v36
	v_cmp_gt_f32_e32 vcc_lo, 0x3f2aaaab, v35
	v_add_f32_e32 v35, -1.0, v36
	s_delay_alu instid0(VALU_DEP_1) | instskip(NEXT) | instid1(VALU_DEP_1)
	v_dual_sub_f32 v38, v35, v36 :: v_dual_sub_f32 v35, v12, v35
	v_add_f32_e32 v38, 1.0, v38
	s_delay_alu instid0(VALU_DEP_1) | instskip(SKIP_1) | instid1(VALU_DEP_1)
	v_add_f32_e32 v35, v35, v38
	v_subrev_co_ci_u32_e32 v34, vcc_lo, 0, v34, vcc_lo
	v_sub_nc_u32_e32 v37, 0, v34
	v_cvt_f32_i32_e32 v34, v34
	s_delay_alu instid0(VALU_DEP_2) | instskip(SKIP_1) | instid1(VALU_DEP_2)
	v_ldexp_f32 v36, v36, v37
	v_ldexp_f32 v35, v35, v37
	v_add_f32_e32 v39, 1.0, v36
	v_add_f32_e32 v37, -1.0, v36
	v_cmp_eq_f32_e32 vcc_lo, 0x7f800000, v12
	v_cmp_gt_f32_e64 s13, 0x33800000, |v12|
	s_delay_alu instid0(VALU_DEP_4) | instskip(NEXT) | instid1(VALU_DEP_4)
	v_add_f32_e32 v38, -1.0, v39
	v_add_f32_e32 v40, 1.0, v37
	s_delay_alu instid0(VALU_DEP_3) | instskip(NEXT) | instid1(VALU_DEP_2)
	s_or_b32 vcc_lo, vcc_lo, s13
	v_sub_f32_e32 v38, v36, v38
	s_delay_alu instid0(VALU_DEP_2) | instskip(NEXT) | instid1(VALU_DEP_2)
	v_sub_f32_e32 v36, v36, v40
	v_add_f32_e32 v38, v35, v38
	s_delay_alu instid0(VALU_DEP_2) | instskip(NEXT) | instid1(VALU_DEP_1)
	v_add_f32_e32 v35, v35, v36
	v_add_f32_e32 v41, v37, v35
	s_delay_alu instid0(VALU_DEP_1) | instskip(NEXT) | instid1(VALU_DEP_1)
	v_dual_sub_f32 v37, v37, v41 :: v_dual_add_f32 v40, v39, v38
	v_add_f32_e32 v35, v35, v37
	s_delay_alu instid0(VALU_DEP_2) | instskip(SKIP_1) | instid1(VALU_DEP_1)
	v_rcp_f32_e32 v36, v40
	v_sub_f32_e32 v39, v39, v40
	v_add_f32_e32 v38, v38, v39
	s_waitcnt_depctr 0xfff
	v_mul_f32_e32 v42, v41, v36
	s_delay_alu instid0(VALU_DEP_1) | instskip(NEXT) | instid1(VALU_DEP_1)
	v_mul_f32_e32 v43, v40, v42
	v_fma_f32 v39, v42, v40, -v43
	s_delay_alu instid0(VALU_DEP_1) | instskip(NEXT) | instid1(VALU_DEP_1)
	v_fmac_f32_e32 v39, v42, v38
	v_add_f32_e32 v44, v43, v39
	s_delay_alu instid0(VALU_DEP_1) | instskip(SKIP_1) | instid1(VALU_DEP_2)
	v_sub_f32_e32 v45, v41, v44
	v_sub_f32_e32 v37, v44, v43
	;; [unrolled: 1-line block ×3, first 2 shown]
	s_delay_alu instid0(VALU_DEP_1) | instskip(NEXT) | instid1(VALU_DEP_3)
	v_sub_f32_e32 v41, v41, v44
	v_sub_f32_e32 v37, v37, v39
	s_delay_alu instid0(VALU_DEP_2) | instskip(NEXT) | instid1(VALU_DEP_1)
	v_add_f32_e32 v35, v35, v41
	v_add_f32_e32 v35, v37, v35
	s_delay_alu instid0(VALU_DEP_1) | instskip(NEXT) | instid1(VALU_DEP_1)
	v_add_f32_e32 v37, v45, v35
	v_mul_f32_e32 v39, v36, v37
	s_delay_alu instid0(VALU_DEP_1) | instskip(NEXT) | instid1(VALU_DEP_1)
	v_dual_sub_f32 v44, v45, v37 :: v_dual_mul_f32 v41, v40, v39
	v_add_f32_e32 v35, v35, v44
	s_delay_alu instid0(VALU_DEP_2) | instskip(NEXT) | instid1(VALU_DEP_1)
	v_fma_f32 v40, v39, v40, -v41
	v_fmac_f32_e32 v40, v39, v38
	s_delay_alu instid0(VALU_DEP_1) | instskip(NEXT) | instid1(VALU_DEP_1)
	v_add_f32_e32 v38, v41, v40
	v_sub_f32_e32 v43, v37, v38
	s_delay_alu instid0(VALU_DEP_1) | instskip(NEXT) | instid1(VALU_DEP_1)
	v_sub_f32_e32 v37, v37, v43
	v_sub_f32_e32 v37, v37, v38
	s_delay_alu instid0(VALU_DEP_1) | instskip(SKIP_2) | instid1(VALU_DEP_1)
	v_add_f32_e32 v35, v35, v37
	v_add_f32_e32 v37, v42, v39
	v_sub_f32_e32 v41, v38, v41
	v_sub_f32_e32 v38, v41, v40
	s_delay_alu instid0(VALU_DEP_1) | instskip(NEXT) | instid1(VALU_DEP_1)
	v_dual_add_f32 v35, v38, v35 :: v_dual_sub_f32 v38, v37, v42
	v_add_f32_e32 v35, v43, v35
	s_delay_alu instid0(VALU_DEP_1) | instskip(NEXT) | instid1(VALU_DEP_1)
	v_dual_sub_f32 v38, v39, v38 :: v_dual_mul_f32 v35, v36, v35
	v_add_f32_e32 v35, v38, v35
	s_delay_alu instid0(VALU_DEP_1) | instskip(NEXT) | instid1(VALU_DEP_1)
	v_add_f32_e32 v36, v37, v35
	v_mul_f32_e32 v38, v36, v36
	s_delay_alu instid0(VALU_DEP_1) | instskip(SKIP_1) | instid1(VALU_DEP_2)
	v_fmaak_f32 v39, s10, v38, 0x3ecc95a3
	v_mul_f32_e32 v40, v36, v38
	v_fmaak_f32 v38, v38, v39, 0x3f2aaada
	v_ldexp_f32 v39, v36, 1
	s_delay_alu instid0(VALU_DEP_2) | instskip(SKIP_1) | instid1(VALU_DEP_2)
	v_mul_f32_e32 v38, v40, v38
	v_mul_f32_e32 v40, 0x3f317218, v34
	v_dual_sub_f32 v36, v36, v37 :: v_dual_add_f32 v37, v39, v38
	s_delay_alu instid0(VALU_DEP_1) | instskip(NEXT) | instid1(VALU_DEP_3)
	v_dual_sub_f32 v35, v35, v36 :: v_dual_sub_f32 v36, v37, v39
	v_fma_f32 v39, 0x3f317218, v34, -v40
	s_delay_alu instid0(VALU_DEP_2) | instskip(NEXT) | instid1(VALU_DEP_2)
	v_ldexp_f32 v35, v35, 1
	v_dual_sub_f32 v36, v38, v36 :: v_dual_fmac_f32 v39, 0xb102e308, v34
	s_delay_alu instid0(VALU_DEP_1) | instskip(NEXT) | instid1(VALU_DEP_1)
	v_dual_add_f32 v34, v35, v36 :: v_dual_add_f32 v35, v40, v39
	v_add_f32_e32 v36, v37, v34
	s_delay_alu instid0(VALU_DEP_1) | instskip(NEXT) | instid1(VALU_DEP_1)
	v_add_f32_e32 v38, v35, v36
	v_sub_f32_e32 v41, v38, v35
	s_delay_alu instid0(VALU_DEP_1) | instskip(SKIP_1) | instid1(VALU_DEP_1)
	v_sub_f32_e32 v42, v38, v41
	v_sub_f32_e32 v37, v36, v37
	;; [unrolled: 1-line block ×4, first 2 shown]
	s_delay_alu instid0(VALU_DEP_1) | instskip(NEXT) | instid1(VALU_DEP_1)
	v_dual_sub_f32 v36, v36, v41 :: v_dual_sub_f32 v39, v39, v40
	v_add_f32_e32 v37, v39, v34
	v_sub_f32_e32 v35, v35, v42
	s_delay_alu instid0(VALU_DEP_1) | instskip(NEXT) | instid1(VALU_DEP_3)
	v_add_f32_e32 v35, v36, v35
	v_sub_f32_e32 v36, v37, v39
	s_delay_alu instid0(VALU_DEP_1) | instskip(NEXT) | instid1(VALU_DEP_1)
	v_dual_sub_f32 v34, v34, v36 :: v_dual_add_f32 v35, v37, v35
	v_dual_sub_f32 v37, v37, v36 :: v_dual_add_f32 v40, v38, v35
	s_delay_alu instid0(VALU_DEP_1) | instskip(NEXT) | instid1(VALU_DEP_1)
	v_dual_sub_f32 v36, v40, v38 :: v_dual_sub_f32 v37, v39, v37
	v_dual_sub_f32 v35, v35, v36 :: v_dual_add_f32 v34, v34, v37
	s_delay_alu instid0(VALU_DEP_1) | instskip(NEXT) | instid1(VALU_DEP_1)
	v_add_f32_e32 v34, v34, v35
	v_add_f32_e32 v34, v40, v34
	s_delay_alu instid0(VALU_DEP_1) | instskip(NEXT) | instid1(VALU_DEP_1)
	v_cndmask_b32_e32 v12, v34, v12, vcc_lo
	v_add_f32_e32 v34, v9, v12
.LBB99_111:                             ;   in Loop: Header=BB99_99 Depth=1
	s_or_b32 exec_lo, exec_lo, s12
	s_delay_alu instid0(VALU_DEP_1)
	v_mov_b32_e32 v9, v34
	v_mov_b32_e32 v12, v34
.LBB99_112:                             ;   in Loop: Header=BB99_99 Depth=1
	s_or_b32 exec_lo, exec_lo, s11
	s_waitcnt lgkmcnt(0)
	ds_bpermute_b32 v34, v27, v9
	s_mov_b32 s11, exec_lo
	v_cmpx_le_u32_e64 v28, v11
	s_cbranch_execz .LBB99_116
; %bb.113:                              ;   in Loop: Header=BB99_99 Depth=1
	v_max_f32_e32 v9, v12, v12
	s_waitcnt lgkmcnt(0)
	v_max_f32_e32 v35, v34, v34
	v_cmp_u_f32_e32 vcc_lo, v34, v34
	s_delay_alu instid0(VALU_DEP_2) | instskip(SKIP_1) | instid1(VALU_DEP_1)
	v_min_f32_e32 v36, v35, v9
	v_max_f32_e32 v9, v35, v9
	v_cndmask_b32_e32 v9, v9, v34, vcc_lo
	s_delay_alu instid0(VALU_DEP_3) | instskip(SKIP_1) | instid1(VALU_DEP_2)
	v_cndmask_b32_e32 v35, v36, v34, vcc_lo
	v_cmp_u_f32_e32 vcc_lo, v12, v12
	v_cndmask_b32_e32 v35, v35, v12, vcc_lo
	s_delay_alu instid0(VALU_DEP_4) | instskip(NEXT) | instid1(VALU_DEP_2)
	v_cndmask_b32_e32 v9, v9, v12, vcc_lo
	v_cmp_class_f32_e64 s12, v35, 0x1f8
	s_delay_alu instid0(VALU_DEP_2) | instskip(NEXT) | instid1(VALU_DEP_2)
	v_cmp_neq_f32_e32 vcc_lo, v35, v9
	s_or_b32 s13, vcc_lo, s12
	s_delay_alu instid0(SALU_CYCLE_1)
	s_and_saveexec_b32 s12, s13
	s_cbranch_execz .LBB99_115
; %bb.114:                              ;   in Loop: Header=BB99_99 Depth=1
	v_sub_f32_e32 v12, v35, v9
	s_delay_alu instid0(VALU_DEP_1) | instskip(SKIP_1) | instid1(VALU_DEP_2)
	v_mul_f32_e32 v34, 0x3fb8aa3b, v12
	v_cmp_ngt_f32_e32 vcc_lo, 0xc2ce8ed0, v12
	v_fma_f32 v35, 0x3fb8aa3b, v12, -v34
	v_rndne_f32_e32 v36, v34
	s_delay_alu instid0(VALU_DEP_2) | instskip(NEXT) | instid1(VALU_DEP_2)
	v_fmac_f32_e32 v35, 0x32a5705f, v12
	v_sub_f32_e32 v34, v34, v36
	s_delay_alu instid0(VALU_DEP_1) | instskip(SKIP_1) | instid1(VALU_DEP_2)
	v_add_f32_e32 v34, v34, v35
	v_cvt_i32_f32_e32 v35, v36
	v_exp_f32_e32 v34, v34
	s_waitcnt_depctr 0xfff
	v_ldexp_f32 v34, v34, v35
	s_delay_alu instid0(VALU_DEP_1) | instskip(SKIP_1) | instid1(VALU_DEP_2)
	v_cndmask_b32_e32 v34, 0, v34, vcc_lo
	v_cmp_nlt_f32_e32 vcc_lo, 0x42b17218, v12
	v_cndmask_b32_e32 v12, 0x7f800000, v34, vcc_lo
	s_delay_alu instid0(VALU_DEP_1) | instskip(NEXT) | instid1(VALU_DEP_1)
	v_add_f32_e32 v36, 1.0, v12
	v_cvt_f64_f32_e32 v[34:35], v36
	s_delay_alu instid0(VALU_DEP_1) | instskip(SKIP_1) | instid1(VALU_DEP_1)
	v_frexp_exp_i32_f64_e32 v34, v[34:35]
	v_frexp_mant_f32_e32 v35, v36
	v_cmp_gt_f32_e32 vcc_lo, 0x3f2aaaab, v35
	v_add_f32_e32 v35, -1.0, v36
	s_delay_alu instid0(VALU_DEP_1) | instskip(NEXT) | instid1(VALU_DEP_1)
	v_dual_sub_f32 v38, v35, v36 :: v_dual_sub_f32 v35, v12, v35
	v_add_f32_e32 v38, 1.0, v38
	s_delay_alu instid0(VALU_DEP_1) | instskip(SKIP_1) | instid1(VALU_DEP_1)
	v_add_f32_e32 v35, v35, v38
	v_subrev_co_ci_u32_e32 v34, vcc_lo, 0, v34, vcc_lo
	v_sub_nc_u32_e32 v37, 0, v34
	v_cvt_f32_i32_e32 v34, v34
	s_delay_alu instid0(VALU_DEP_2) | instskip(SKIP_1) | instid1(VALU_DEP_2)
	v_ldexp_f32 v36, v36, v37
	v_ldexp_f32 v35, v35, v37
	v_add_f32_e32 v39, 1.0, v36
	v_add_f32_e32 v37, -1.0, v36
	v_cmp_eq_f32_e32 vcc_lo, 0x7f800000, v12
	v_cmp_gt_f32_e64 s13, 0x33800000, |v12|
	s_delay_alu instid0(VALU_DEP_4) | instskip(NEXT) | instid1(VALU_DEP_4)
	v_add_f32_e32 v38, -1.0, v39
	v_add_f32_e32 v40, 1.0, v37
	s_delay_alu instid0(VALU_DEP_3) | instskip(NEXT) | instid1(VALU_DEP_2)
	s_or_b32 vcc_lo, vcc_lo, s13
	v_sub_f32_e32 v38, v36, v38
	s_delay_alu instid0(VALU_DEP_2) | instskip(NEXT) | instid1(VALU_DEP_2)
	v_sub_f32_e32 v36, v36, v40
	v_add_f32_e32 v38, v35, v38
	s_delay_alu instid0(VALU_DEP_2) | instskip(NEXT) | instid1(VALU_DEP_1)
	v_add_f32_e32 v35, v35, v36
	v_add_f32_e32 v41, v37, v35
	s_delay_alu instid0(VALU_DEP_1) | instskip(NEXT) | instid1(VALU_DEP_1)
	v_dual_sub_f32 v37, v37, v41 :: v_dual_add_f32 v40, v39, v38
	v_add_f32_e32 v35, v35, v37
	s_delay_alu instid0(VALU_DEP_2) | instskip(SKIP_1) | instid1(VALU_DEP_1)
	v_rcp_f32_e32 v36, v40
	v_sub_f32_e32 v39, v39, v40
	v_add_f32_e32 v38, v38, v39
	s_waitcnt_depctr 0xfff
	v_mul_f32_e32 v42, v41, v36
	s_delay_alu instid0(VALU_DEP_1) | instskip(NEXT) | instid1(VALU_DEP_1)
	v_mul_f32_e32 v43, v40, v42
	v_fma_f32 v39, v42, v40, -v43
	s_delay_alu instid0(VALU_DEP_1) | instskip(NEXT) | instid1(VALU_DEP_1)
	v_fmac_f32_e32 v39, v42, v38
	v_add_f32_e32 v44, v43, v39
	s_delay_alu instid0(VALU_DEP_1) | instskip(SKIP_1) | instid1(VALU_DEP_2)
	v_sub_f32_e32 v45, v41, v44
	v_sub_f32_e32 v37, v44, v43
	;; [unrolled: 1-line block ×3, first 2 shown]
	s_delay_alu instid0(VALU_DEP_1) | instskip(NEXT) | instid1(VALU_DEP_3)
	v_sub_f32_e32 v41, v41, v44
	v_sub_f32_e32 v37, v37, v39
	s_delay_alu instid0(VALU_DEP_2) | instskip(NEXT) | instid1(VALU_DEP_1)
	v_add_f32_e32 v35, v35, v41
	v_add_f32_e32 v35, v37, v35
	s_delay_alu instid0(VALU_DEP_1) | instskip(NEXT) | instid1(VALU_DEP_1)
	v_add_f32_e32 v37, v45, v35
	v_mul_f32_e32 v39, v36, v37
	s_delay_alu instid0(VALU_DEP_1) | instskip(NEXT) | instid1(VALU_DEP_1)
	v_dual_sub_f32 v44, v45, v37 :: v_dual_mul_f32 v41, v40, v39
	v_add_f32_e32 v35, v35, v44
	s_delay_alu instid0(VALU_DEP_2) | instskip(NEXT) | instid1(VALU_DEP_1)
	v_fma_f32 v40, v39, v40, -v41
	v_fmac_f32_e32 v40, v39, v38
	s_delay_alu instid0(VALU_DEP_1) | instskip(NEXT) | instid1(VALU_DEP_1)
	v_add_f32_e32 v38, v41, v40
	v_sub_f32_e32 v43, v37, v38
	s_delay_alu instid0(VALU_DEP_1) | instskip(NEXT) | instid1(VALU_DEP_1)
	v_sub_f32_e32 v37, v37, v43
	v_sub_f32_e32 v37, v37, v38
	s_delay_alu instid0(VALU_DEP_1) | instskip(SKIP_2) | instid1(VALU_DEP_1)
	v_add_f32_e32 v35, v35, v37
	v_add_f32_e32 v37, v42, v39
	v_sub_f32_e32 v41, v38, v41
	v_sub_f32_e32 v38, v41, v40
	s_delay_alu instid0(VALU_DEP_1) | instskip(NEXT) | instid1(VALU_DEP_1)
	v_dual_add_f32 v35, v38, v35 :: v_dual_sub_f32 v38, v37, v42
	v_add_f32_e32 v35, v43, v35
	s_delay_alu instid0(VALU_DEP_1) | instskip(NEXT) | instid1(VALU_DEP_1)
	v_dual_sub_f32 v38, v39, v38 :: v_dual_mul_f32 v35, v36, v35
	v_add_f32_e32 v35, v38, v35
	s_delay_alu instid0(VALU_DEP_1) | instskip(NEXT) | instid1(VALU_DEP_1)
	v_add_f32_e32 v36, v37, v35
	v_mul_f32_e32 v38, v36, v36
	s_delay_alu instid0(VALU_DEP_1) | instskip(SKIP_1) | instid1(VALU_DEP_2)
	v_fmaak_f32 v39, s10, v38, 0x3ecc95a3
	v_mul_f32_e32 v40, v36, v38
	v_fmaak_f32 v38, v38, v39, 0x3f2aaada
	v_ldexp_f32 v39, v36, 1
	s_delay_alu instid0(VALU_DEP_2) | instskip(SKIP_1) | instid1(VALU_DEP_2)
	v_mul_f32_e32 v38, v40, v38
	v_mul_f32_e32 v40, 0x3f317218, v34
	v_dual_sub_f32 v36, v36, v37 :: v_dual_add_f32 v37, v39, v38
	s_delay_alu instid0(VALU_DEP_1) | instskip(NEXT) | instid1(VALU_DEP_3)
	v_dual_sub_f32 v35, v35, v36 :: v_dual_sub_f32 v36, v37, v39
	v_fma_f32 v39, 0x3f317218, v34, -v40
	s_delay_alu instid0(VALU_DEP_2) | instskip(NEXT) | instid1(VALU_DEP_2)
	v_ldexp_f32 v35, v35, 1
	v_dual_sub_f32 v36, v38, v36 :: v_dual_fmac_f32 v39, 0xb102e308, v34
	s_delay_alu instid0(VALU_DEP_1) | instskip(NEXT) | instid1(VALU_DEP_1)
	v_dual_add_f32 v34, v35, v36 :: v_dual_add_f32 v35, v40, v39
	v_add_f32_e32 v36, v37, v34
	s_delay_alu instid0(VALU_DEP_1) | instskip(NEXT) | instid1(VALU_DEP_1)
	v_add_f32_e32 v38, v35, v36
	v_sub_f32_e32 v41, v38, v35
	s_delay_alu instid0(VALU_DEP_1) | instskip(SKIP_1) | instid1(VALU_DEP_1)
	v_sub_f32_e32 v42, v38, v41
	v_sub_f32_e32 v37, v36, v37
	;; [unrolled: 1-line block ×4, first 2 shown]
	s_delay_alu instid0(VALU_DEP_1) | instskip(NEXT) | instid1(VALU_DEP_1)
	v_dual_sub_f32 v36, v36, v41 :: v_dual_sub_f32 v39, v39, v40
	v_add_f32_e32 v37, v39, v34
	v_sub_f32_e32 v35, v35, v42
	s_delay_alu instid0(VALU_DEP_1) | instskip(NEXT) | instid1(VALU_DEP_3)
	v_add_f32_e32 v35, v36, v35
	v_sub_f32_e32 v36, v37, v39
	s_delay_alu instid0(VALU_DEP_1) | instskip(NEXT) | instid1(VALU_DEP_1)
	v_dual_sub_f32 v34, v34, v36 :: v_dual_add_f32 v35, v37, v35
	v_dual_sub_f32 v37, v37, v36 :: v_dual_add_f32 v40, v38, v35
	s_delay_alu instid0(VALU_DEP_1) | instskip(NEXT) | instid1(VALU_DEP_1)
	v_dual_sub_f32 v36, v40, v38 :: v_dual_sub_f32 v37, v39, v37
	v_dual_sub_f32 v35, v35, v36 :: v_dual_add_f32 v34, v34, v37
	s_delay_alu instid0(VALU_DEP_1) | instskip(NEXT) | instid1(VALU_DEP_1)
	v_add_f32_e32 v34, v34, v35
	v_add_f32_e32 v34, v40, v34
	s_delay_alu instid0(VALU_DEP_1) | instskip(NEXT) | instid1(VALU_DEP_1)
	v_cndmask_b32_e32 v12, v34, v12, vcc_lo
	v_add_f32_e32 v34, v9, v12
.LBB99_115:                             ;   in Loop: Header=BB99_99 Depth=1
	s_or_b32 exec_lo, exec_lo, s12
	s_delay_alu instid0(VALU_DEP_1)
	v_mov_b32_e32 v9, v34
	v_mov_b32_e32 v12, v34
.LBB99_116:                             ;   in Loop: Header=BB99_99 Depth=1
	s_or_b32 exec_lo, exec_lo, s11
	s_waitcnt lgkmcnt(0)
	ds_bpermute_b32 v34, v29, v9
	s_mov_b32 s11, exec_lo
	v_cmpx_le_u32_e64 v30, v11
	s_cbranch_execz .LBB99_120
; %bb.117:                              ;   in Loop: Header=BB99_99 Depth=1
	v_max_f32_e32 v9, v12, v12
	s_waitcnt lgkmcnt(0)
	v_max_f32_e32 v35, v34, v34
	v_cmp_u_f32_e32 vcc_lo, v34, v34
	s_delay_alu instid0(VALU_DEP_2) | instskip(SKIP_1) | instid1(VALU_DEP_1)
	v_min_f32_e32 v36, v35, v9
	v_max_f32_e32 v9, v35, v9
	v_cndmask_b32_e32 v9, v9, v34, vcc_lo
	s_delay_alu instid0(VALU_DEP_3) | instskip(SKIP_1) | instid1(VALU_DEP_2)
	v_cndmask_b32_e32 v35, v36, v34, vcc_lo
	v_cmp_u_f32_e32 vcc_lo, v12, v12
	v_cndmask_b32_e32 v35, v35, v12, vcc_lo
	s_delay_alu instid0(VALU_DEP_4) | instskip(NEXT) | instid1(VALU_DEP_2)
	v_cndmask_b32_e32 v9, v9, v12, vcc_lo
	v_cmp_class_f32_e64 s12, v35, 0x1f8
	s_delay_alu instid0(VALU_DEP_2) | instskip(NEXT) | instid1(VALU_DEP_2)
	v_cmp_neq_f32_e32 vcc_lo, v35, v9
	s_or_b32 s13, vcc_lo, s12
	s_delay_alu instid0(SALU_CYCLE_1)
	s_and_saveexec_b32 s12, s13
	s_cbranch_execz .LBB99_119
; %bb.118:                              ;   in Loop: Header=BB99_99 Depth=1
	v_sub_f32_e32 v12, v35, v9
	s_delay_alu instid0(VALU_DEP_1) | instskip(SKIP_1) | instid1(VALU_DEP_2)
	v_mul_f32_e32 v34, 0x3fb8aa3b, v12
	v_cmp_ngt_f32_e32 vcc_lo, 0xc2ce8ed0, v12
	v_fma_f32 v35, 0x3fb8aa3b, v12, -v34
	v_rndne_f32_e32 v36, v34
	s_delay_alu instid0(VALU_DEP_2) | instskip(NEXT) | instid1(VALU_DEP_2)
	v_fmac_f32_e32 v35, 0x32a5705f, v12
	v_sub_f32_e32 v34, v34, v36
	s_delay_alu instid0(VALU_DEP_1) | instskip(SKIP_1) | instid1(VALU_DEP_2)
	v_add_f32_e32 v34, v34, v35
	v_cvt_i32_f32_e32 v35, v36
	v_exp_f32_e32 v34, v34
	s_waitcnt_depctr 0xfff
	v_ldexp_f32 v34, v34, v35
	s_delay_alu instid0(VALU_DEP_1) | instskip(SKIP_1) | instid1(VALU_DEP_2)
	v_cndmask_b32_e32 v34, 0, v34, vcc_lo
	v_cmp_nlt_f32_e32 vcc_lo, 0x42b17218, v12
	v_cndmask_b32_e32 v12, 0x7f800000, v34, vcc_lo
	s_delay_alu instid0(VALU_DEP_1) | instskip(NEXT) | instid1(VALU_DEP_1)
	v_add_f32_e32 v36, 1.0, v12
	v_cvt_f64_f32_e32 v[34:35], v36
	s_delay_alu instid0(VALU_DEP_1) | instskip(SKIP_1) | instid1(VALU_DEP_1)
	v_frexp_exp_i32_f64_e32 v34, v[34:35]
	v_frexp_mant_f32_e32 v35, v36
	v_cmp_gt_f32_e32 vcc_lo, 0x3f2aaaab, v35
	v_add_f32_e32 v35, -1.0, v36
	s_delay_alu instid0(VALU_DEP_1) | instskip(NEXT) | instid1(VALU_DEP_1)
	v_dual_sub_f32 v38, v35, v36 :: v_dual_sub_f32 v35, v12, v35
	v_add_f32_e32 v38, 1.0, v38
	s_delay_alu instid0(VALU_DEP_1) | instskip(SKIP_1) | instid1(VALU_DEP_1)
	v_add_f32_e32 v35, v35, v38
	v_subrev_co_ci_u32_e32 v34, vcc_lo, 0, v34, vcc_lo
	v_sub_nc_u32_e32 v37, 0, v34
	v_cvt_f32_i32_e32 v34, v34
	s_delay_alu instid0(VALU_DEP_2) | instskip(SKIP_1) | instid1(VALU_DEP_2)
	v_ldexp_f32 v36, v36, v37
	v_ldexp_f32 v35, v35, v37
	v_add_f32_e32 v39, 1.0, v36
	v_add_f32_e32 v37, -1.0, v36
	v_cmp_eq_f32_e32 vcc_lo, 0x7f800000, v12
	v_cmp_gt_f32_e64 s13, 0x33800000, |v12|
	s_delay_alu instid0(VALU_DEP_4) | instskip(NEXT) | instid1(VALU_DEP_4)
	v_add_f32_e32 v38, -1.0, v39
	v_add_f32_e32 v40, 1.0, v37
	s_delay_alu instid0(VALU_DEP_3) | instskip(NEXT) | instid1(VALU_DEP_2)
	s_or_b32 vcc_lo, vcc_lo, s13
	v_sub_f32_e32 v38, v36, v38
	s_delay_alu instid0(VALU_DEP_2) | instskip(NEXT) | instid1(VALU_DEP_2)
	v_sub_f32_e32 v36, v36, v40
	v_add_f32_e32 v38, v35, v38
	s_delay_alu instid0(VALU_DEP_2) | instskip(NEXT) | instid1(VALU_DEP_1)
	v_add_f32_e32 v35, v35, v36
	v_add_f32_e32 v41, v37, v35
	s_delay_alu instid0(VALU_DEP_1) | instskip(NEXT) | instid1(VALU_DEP_1)
	v_dual_sub_f32 v37, v37, v41 :: v_dual_add_f32 v40, v39, v38
	v_add_f32_e32 v35, v35, v37
	s_delay_alu instid0(VALU_DEP_2) | instskip(SKIP_1) | instid1(VALU_DEP_1)
	v_rcp_f32_e32 v36, v40
	v_sub_f32_e32 v39, v39, v40
	v_add_f32_e32 v38, v38, v39
	s_waitcnt_depctr 0xfff
	v_mul_f32_e32 v42, v41, v36
	s_delay_alu instid0(VALU_DEP_1) | instskip(NEXT) | instid1(VALU_DEP_1)
	v_mul_f32_e32 v43, v40, v42
	v_fma_f32 v39, v42, v40, -v43
	s_delay_alu instid0(VALU_DEP_1) | instskip(NEXT) | instid1(VALU_DEP_1)
	v_fmac_f32_e32 v39, v42, v38
	v_add_f32_e32 v44, v43, v39
	s_delay_alu instid0(VALU_DEP_1) | instskip(SKIP_1) | instid1(VALU_DEP_2)
	v_sub_f32_e32 v45, v41, v44
	v_sub_f32_e32 v37, v44, v43
	;; [unrolled: 1-line block ×3, first 2 shown]
	s_delay_alu instid0(VALU_DEP_1) | instskip(NEXT) | instid1(VALU_DEP_3)
	v_sub_f32_e32 v41, v41, v44
	v_sub_f32_e32 v37, v37, v39
	s_delay_alu instid0(VALU_DEP_2) | instskip(NEXT) | instid1(VALU_DEP_1)
	v_add_f32_e32 v35, v35, v41
	v_add_f32_e32 v35, v37, v35
	s_delay_alu instid0(VALU_DEP_1) | instskip(NEXT) | instid1(VALU_DEP_1)
	v_add_f32_e32 v37, v45, v35
	v_mul_f32_e32 v39, v36, v37
	s_delay_alu instid0(VALU_DEP_1) | instskip(NEXT) | instid1(VALU_DEP_1)
	v_dual_sub_f32 v44, v45, v37 :: v_dual_mul_f32 v41, v40, v39
	v_add_f32_e32 v35, v35, v44
	s_delay_alu instid0(VALU_DEP_2) | instskip(NEXT) | instid1(VALU_DEP_1)
	v_fma_f32 v40, v39, v40, -v41
	v_fmac_f32_e32 v40, v39, v38
	s_delay_alu instid0(VALU_DEP_1) | instskip(NEXT) | instid1(VALU_DEP_1)
	v_add_f32_e32 v38, v41, v40
	v_sub_f32_e32 v43, v37, v38
	s_delay_alu instid0(VALU_DEP_1) | instskip(NEXT) | instid1(VALU_DEP_1)
	v_sub_f32_e32 v37, v37, v43
	v_sub_f32_e32 v37, v37, v38
	s_delay_alu instid0(VALU_DEP_1) | instskip(SKIP_2) | instid1(VALU_DEP_1)
	v_add_f32_e32 v35, v35, v37
	v_add_f32_e32 v37, v42, v39
	v_sub_f32_e32 v41, v38, v41
	v_sub_f32_e32 v38, v41, v40
	s_delay_alu instid0(VALU_DEP_1) | instskip(NEXT) | instid1(VALU_DEP_1)
	v_dual_add_f32 v35, v38, v35 :: v_dual_sub_f32 v38, v37, v42
	v_add_f32_e32 v35, v43, v35
	s_delay_alu instid0(VALU_DEP_1) | instskip(NEXT) | instid1(VALU_DEP_1)
	v_dual_sub_f32 v38, v39, v38 :: v_dual_mul_f32 v35, v36, v35
	v_add_f32_e32 v35, v38, v35
	s_delay_alu instid0(VALU_DEP_1) | instskip(NEXT) | instid1(VALU_DEP_1)
	v_add_f32_e32 v36, v37, v35
	v_mul_f32_e32 v38, v36, v36
	s_delay_alu instid0(VALU_DEP_1) | instskip(SKIP_1) | instid1(VALU_DEP_2)
	v_fmaak_f32 v39, s10, v38, 0x3ecc95a3
	v_mul_f32_e32 v40, v36, v38
	v_fmaak_f32 v38, v38, v39, 0x3f2aaada
	v_ldexp_f32 v39, v36, 1
	s_delay_alu instid0(VALU_DEP_2) | instskip(SKIP_1) | instid1(VALU_DEP_2)
	v_mul_f32_e32 v38, v40, v38
	v_mul_f32_e32 v40, 0x3f317218, v34
	v_dual_sub_f32 v36, v36, v37 :: v_dual_add_f32 v37, v39, v38
	s_delay_alu instid0(VALU_DEP_1) | instskip(NEXT) | instid1(VALU_DEP_3)
	v_dual_sub_f32 v35, v35, v36 :: v_dual_sub_f32 v36, v37, v39
	v_fma_f32 v39, 0x3f317218, v34, -v40
	s_delay_alu instid0(VALU_DEP_2) | instskip(NEXT) | instid1(VALU_DEP_2)
	v_ldexp_f32 v35, v35, 1
	v_dual_sub_f32 v36, v38, v36 :: v_dual_fmac_f32 v39, 0xb102e308, v34
	s_delay_alu instid0(VALU_DEP_1) | instskip(NEXT) | instid1(VALU_DEP_1)
	v_dual_add_f32 v34, v35, v36 :: v_dual_add_f32 v35, v40, v39
	v_add_f32_e32 v36, v37, v34
	s_delay_alu instid0(VALU_DEP_1) | instskip(NEXT) | instid1(VALU_DEP_1)
	v_add_f32_e32 v38, v35, v36
	v_sub_f32_e32 v41, v38, v35
	s_delay_alu instid0(VALU_DEP_1) | instskip(SKIP_1) | instid1(VALU_DEP_1)
	v_sub_f32_e32 v42, v38, v41
	v_sub_f32_e32 v37, v36, v37
	;; [unrolled: 1-line block ×4, first 2 shown]
	s_delay_alu instid0(VALU_DEP_1) | instskip(NEXT) | instid1(VALU_DEP_1)
	v_dual_sub_f32 v36, v36, v41 :: v_dual_sub_f32 v39, v39, v40
	v_add_f32_e32 v37, v39, v34
	v_sub_f32_e32 v35, v35, v42
	s_delay_alu instid0(VALU_DEP_1) | instskip(NEXT) | instid1(VALU_DEP_3)
	v_add_f32_e32 v35, v36, v35
	v_sub_f32_e32 v36, v37, v39
	s_delay_alu instid0(VALU_DEP_1) | instskip(NEXT) | instid1(VALU_DEP_1)
	v_dual_sub_f32 v34, v34, v36 :: v_dual_add_f32 v35, v37, v35
	v_dual_sub_f32 v37, v37, v36 :: v_dual_add_f32 v40, v38, v35
	s_delay_alu instid0(VALU_DEP_1) | instskip(NEXT) | instid1(VALU_DEP_1)
	v_dual_sub_f32 v36, v40, v38 :: v_dual_sub_f32 v37, v39, v37
	v_dual_sub_f32 v35, v35, v36 :: v_dual_add_f32 v34, v34, v37
	s_delay_alu instid0(VALU_DEP_1) | instskip(NEXT) | instid1(VALU_DEP_1)
	v_add_f32_e32 v34, v34, v35
	v_add_f32_e32 v34, v40, v34
	s_delay_alu instid0(VALU_DEP_1) | instskip(NEXT) | instid1(VALU_DEP_1)
	v_cndmask_b32_e32 v12, v34, v12, vcc_lo
	v_add_f32_e32 v34, v9, v12
.LBB99_119:                             ;   in Loop: Header=BB99_99 Depth=1
	s_or_b32 exec_lo, exec_lo, s12
	s_delay_alu instid0(VALU_DEP_1)
	v_mov_b32_e32 v9, v34
	v_mov_b32_e32 v12, v34
.LBB99_120:                             ;   in Loop: Header=BB99_99 Depth=1
	s_or_b32 exec_lo, exec_lo, s11
	s_waitcnt lgkmcnt(0)
	ds_bpermute_b32 v34, v32, v9
	s_mov_b32 s11, exec_lo
	v_cmpx_le_u32_e64 v33, v11
	s_cbranch_execz .LBB99_124
; %bb.121:                              ;   in Loop: Header=BB99_99 Depth=1
	v_max_f32_e32 v9, v12, v12
	s_waitcnt lgkmcnt(0)
	v_max_f32_e32 v11, v34, v34
	v_cmp_u_f32_e32 vcc_lo, v34, v34
	s_delay_alu instid0(VALU_DEP_2) | instskip(SKIP_1) | instid1(VALU_DEP_2)
	v_min_f32_e32 v35, v11, v9
	v_max_f32_e32 v9, v11, v9
	v_cndmask_b32_e32 v11, v35, v34, vcc_lo
	s_delay_alu instid0(VALU_DEP_2) | instskip(SKIP_1) | instid1(VALU_DEP_3)
	v_cndmask_b32_e32 v9, v9, v34, vcc_lo
	v_cmp_u_f32_e32 vcc_lo, v12, v12
	v_cndmask_b32_e32 v11, v11, v12, vcc_lo
	s_delay_alu instid0(VALU_DEP_3) | instskip(NEXT) | instid1(VALU_DEP_2)
	v_cndmask_b32_e32 v9, v9, v12, vcc_lo
	v_cmp_class_f32_e64 s12, v11, 0x1f8
	s_delay_alu instid0(VALU_DEP_2) | instskip(NEXT) | instid1(VALU_DEP_2)
	v_cmp_neq_f32_e32 vcc_lo, v11, v9
	s_or_b32 s13, vcc_lo, s12
	s_delay_alu instid0(SALU_CYCLE_1)
	s_and_saveexec_b32 s12, s13
	s_cbranch_execz .LBB99_123
; %bb.122:                              ;   in Loop: Header=BB99_99 Depth=1
	v_sub_f32_e32 v11, v11, v9
	s_delay_alu instid0(VALU_DEP_1) | instskip(NEXT) | instid1(VALU_DEP_1)
	v_mul_f32_e32 v12, 0x3fb8aa3b, v11
	v_fma_f32 v34, 0x3fb8aa3b, v11, -v12
	v_rndne_f32_e32 v35, v12
	s_delay_alu instid0(VALU_DEP_1) | instskip(NEXT) | instid1(VALU_DEP_3)
	v_sub_f32_e32 v12, v12, v35
	v_fmac_f32_e32 v34, 0x32a5705f, v11
	v_cmp_ngt_f32_e32 vcc_lo, 0xc2ce8ed0, v11
	s_delay_alu instid0(VALU_DEP_2) | instskip(SKIP_1) | instid1(VALU_DEP_2)
	v_add_f32_e32 v12, v12, v34
	v_cvt_i32_f32_e32 v34, v35
	v_exp_f32_e32 v12, v12
	s_waitcnt_depctr 0xfff
	v_ldexp_f32 v12, v12, v34
	s_delay_alu instid0(VALU_DEP_1) | instskip(SKIP_1) | instid1(VALU_DEP_2)
	v_cndmask_b32_e32 v12, 0, v12, vcc_lo
	v_cmp_nlt_f32_e32 vcc_lo, 0x42b17218, v11
	v_cndmask_b32_e32 v34, 0x7f800000, v12, vcc_lo
	s_delay_alu instid0(VALU_DEP_1) | instskip(NEXT) | instid1(VALU_DEP_1)
	v_add_f32_e32 v35, 1.0, v34
	v_cvt_f64_f32_e32 v[11:12], v35
	s_delay_alu instid0(VALU_DEP_1) | instskip(SKIP_1) | instid1(VALU_DEP_1)
	v_frexp_exp_i32_f64_e32 v11, v[11:12]
	v_frexp_mant_f32_e32 v12, v35
	v_cmp_gt_f32_e32 vcc_lo, 0x3f2aaaab, v12
	v_add_f32_e32 v12, -1.0, v35
	s_delay_alu instid0(VALU_DEP_1) | instskip(SKIP_1) | instid1(VALU_DEP_2)
	v_sub_f32_e32 v37, v12, v35
	v_cmp_gt_f32_e64 s13, 0x33800000, |v34|
	v_add_f32_e32 v37, 1.0, v37
	v_subrev_co_ci_u32_e32 v11, vcc_lo, 0, v11, vcc_lo
	v_cmp_eq_f32_e32 vcc_lo, 0x7f800000, v34
	s_delay_alu instid0(VALU_DEP_2) | instskip(SKIP_2) | instid1(VALU_DEP_2)
	v_sub_nc_u32_e32 v36, 0, v11
	v_cvt_f32_i32_e32 v11, v11
	s_or_b32 vcc_lo, vcc_lo, s13
	v_ldexp_f32 v35, v35, v36
	v_sub_f32_e32 v12, v34, v12
	s_delay_alu instid0(VALU_DEP_1) | instskip(NEXT) | instid1(VALU_DEP_1)
	v_add_f32_e32 v12, v12, v37
	v_ldexp_f32 v12, v12, v36
	s_delay_alu instid0(VALU_DEP_4) | instskip(NEXT) | instid1(VALU_DEP_1)
	v_add_f32_e32 v38, 1.0, v35
	v_add_f32_e32 v37, -1.0, v38
	s_delay_alu instid0(VALU_DEP_1) | instskip(NEXT) | instid1(VALU_DEP_1)
	v_sub_f32_e32 v37, v35, v37
	v_dual_add_f32 v37, v12, v37 :: v_dual_add_f32 v36, -1.0, v35
	s_delay_alu instid0(VALU_DEP_1) | instskip(NEXT) | instid1(VALU_DEP_1)
	v_add_f32_e32 v39, 1.0, v36
	v_sub_f32_e32 v35, v35, v39
	s_delay_alu instid0(VALU_DEP_1) | instskip(NEXT) | instid1(VALU_DEP_1)
	v_dual_add_f32 v39, v38, v37 :: v_dual_add_f32 v12, v12, v35
	v_rcp_f32_e32 v35, v39
	v_sub_f32_e32 v38, v38, v39
	s_delay_alu instid0(VALU_DEP_1) | instskip(SKIP_3) | instid1(VALU_DEP_2)
	v_dual_add_f32 v37, v37, v38 :: v_dual_add_f32 v40, v36, v12
	s_waitcnt_depctr 0xfff
	v_mul_f32_e32 v41, v40, v35
	v_sub_f32_e32 v36, v36, v40
	v_mul_f32_e32 v42, v39, v41
	s_delay_alu instid0(VALU_DEP_1) | instskip(NEXT) | instid1(VALU_DEP_1)
	v_fma_f32 v38, v41, v39, -v42
	v_fmac_f32_e32 v38, v41, v37
	s_delay_alu instid0(VALU_DEP_1) | instskip(NEXT) | instid1(VALU_DEP_1)
	v_dual_add_f32 v43, v42, v38 :: v_dual_add_f32 v12, v12, v36
	v_sub_f32_e32 v44, v40, v43
	v_sub_f32_e32 v36, v43, v42
	s_delay_alu instid0(VALU_DEP_2) | instskip(NEXT) | instid1(VALU_DEP_2)
	v_sub_f32_e32 v40, v40, v44
	v_sub_f32_e32 v36, v36, v38
	s_delay_alu instid0(VALU_DEP_2) | instskip(NEXT) | instid1(VALU_DEP_1)
	v_sub_f32_e32 v40, v40, v43
	v_add_f32_e32 v12, v12, v40
	s_delay_alu instid0(VALU_DEP_1) | instskip(NEXT) | instid1(VALU_DEP_1)
	v_add_f32_e32 v12, v36, v12
	v_add_f32_e32 v36, v44, v12
	s_delay_alu instid0(VALU_DEP_1) | instskip(NEXT) | instid1(VALU_DEP_1)
	v_mul_f32_e32 v38, v35, v36
	v_dual_sub_f32 v43, v44, v36 :: v_dual_mul_f32 v40, v39, v38
	s_delay_alu instid0(VALU_DEP_1) | instskip(NEXT) | instid1(VALU_DEP_2)
	v_add_f32_e32 v12, v12, v43
	v_fma_f32 v39, v38, v39, -v40
	s_delay_alu instid0(VALU_DEP_1) | instskip(NEXT) | instid1(VALU_DEP_1)
	v_fmac_f32_e32 v39, v38, v37
	v_add_f32_e32 v37, v40, v39
	s_delay_alu instid0(VALU_DEP_1) | instskip(SKIP_1) | instid1(VALU_DEP_2)
	v_sub_f32_e32 v42, v36, v37
	v_sub_f32_e32 v40, v37, v40
	;; [unrolled: 1-line block ×3, first 2 shown]
	s_delay_alu instid0(VALU_DEP_1) | instskip(NEXT) | instid1(VALU_DEP_3)
	v_sub_f32_e32 v36, v36, v37
	v_sub_f32_e32 v37, v40, v39
	s_delay_alu instid0(VALU_DEP_2) | instskip(SKIP_1) | instid1(VALU_DEP_1)
	v_add_f32_e32 v12, v12, v36
	v_add_f32_e32 v36, v41, v38
	v_dual_add_f32 v12, v37, v12 :: v_dual_sub_f32 v37, v36, v41
	s_delay_alu instid0(VALU_DEP_1) | instskip(NEXT) | instid1(VALU_DEP_1)
	v_add_f32_e32 v12, v42, v12
	v_dual_sub_f32 v37, v38, v37 :: v_dual_mul_f32 v12, v35, v12
	s_delay_alu instid0(VALU_DEP_1) | instskip(NEXT) | instid1(VALU_DEP_1)
	v_add_f32_e32 v12, v37, v12
	v_add_f32_e32 v35, v36, v12
	s_delay_alu instid0(VALU_DEP_1) | instskip(NEXT) | instid1(VALU_DEP_1)
	v_mul_f32_e32 v37, v35, v35
	v_fmaak_f32 v38, s10, v37, 0x3ecc95a3
	v_mul_f32_e32 v39, v35, v37
	s_delay_alu instid0(VALU_DEP_2) | instskip(SKIP_2) | instid1(VALU_DEP_3)
	v_fmaak_f32 v37, v37, v38, 0x3f2aaada
	v_ldexp_f32 v38, v35, 1
	v_sub_f32_e32 v35, v35, v36
	v_mul_f32_e32 v37, v39, v37
	v_mul_f32_e32 v39, 0x3f317218, v11
	s_delay_alu instid0(VALU_DEP_3) | instskip(NEXT) | instid1(VALU_DEP_3)
	v_sub_f32_e32 v12, v12, v35
	v_add_f32_e32 v36, v38, v37
	s_delay_alu instid0(VALU_DEP_2) | instskip(NEXT) | instid1(VALU_DEP_2)
	v_ldexp_f32 v12, v12, 1
	v_sub_f32_e32 v35, v36, v38
	v_fma_f32 v38, 0x3f317218, v11, -v39
	s_delay_alu instid0(VALU_DEP_2) | instskip(NEXT) | instid1(VALU_DEP_2)
	v_sub_f32_e32 v35, v37, v35
	v_fmac_f32_e32 v38, 0xb102e308, v11
	s_delay_alu instid0(VALU_DEP_1) | instskip(NEXT) | instid1(VALU_DEP_1)
	v_dual_add_f32 v11, v12, v35 :: v_dual_add_f32 v12, v39, v38
	v_sub_f32_e32 v39, v12, v39
	s_delay_alu instid0(VALU_DEP_2) | instskip(NEXT) | instid1(VALU_DEP_2)
	v_add_f32_e32 v35, v36, v11
	v_sub_f32_e32 v38, v38, v39
	s_delay_alu instid0(VALU_DEP_2) | instskip(NEXT) | instid1(VALU_DEP_1)
	v_dual_add_f32 v37, v12, v35 :: v_dual_sub_f32 v36, v35, v36
	v_sub_f32_e32 v40, v37, v12
	s_delay_alu instid0(VALU_DEP_2) | instskip(NEXT) | instid1(VALU_DEP_2)
	v_sub_f32_e32 v11, v11, v36
	v_sub_f32_e32 v41, v37, v40
	s_delay_alu instid0(VALU_DEP_2) | instskip(NEXT) | instid1(VALU_DEP_2)
	v_dual_sub_f32 v35, v35, v40 :: v_dual_add_f32 v36, v38, v11
	v_sub_f32_e32 v12, v12, v41
	s_delay_alu instid0(VALU_DEP_1) | instskip(NEXT) | instid1(VALU_DEP_1)
	v_dual_add_f32 v12, v35, v12 :: v_dual_sub_f32 v35, v36, v38
	v_add_f32_e32 v12, v36, v12
	s_delay_alu instid0(VALU_DEP_2) | instskip(SKIP_1) | instid1(VALU_DEP_3)
	v_sub_f32_e32 v36, v36, v35
	v_sub_f32_e32 v11, v11, v35
	v_add_f32_e32 v39, v37, v12
	s_delay_alu instid0(VALU_DEP_1) | instskip(NEXT) | instid1(VALU_DEP_1)
	v_dual_sub_f32 v36, v38, v36 :: v_dual_sub_f32 v35, v39, v37
	v_dual_add_f32 v11, v11, v36 :: v_dual_sub_f32 v12, v12, v35
	s_delay_alu instid0(VALU_DEP_1) | instskip(NEXT) | instid1(VALU_DEP_1)
	v_add_f32_e32 v11, v11, v12
	v_add_f32_e32 v11, v39, v11
	s_delay_alu instid0(VALU_DEP_1) | instskip(NEXT) | instid1(VALU_DEP_1)
	v_cndmask_b32_e32 v11, v11, v34, vcc_lo
	v_add_f32_e32 v34, v9, v11
.LBB99_123:                             ;   in Loop: Header=BB99_99 Depth=1
	s_or_b32 exec_lo, exec_lo, s12
	s_delay_alu instid0(VALU_DEP_1)
	v_mov_b32_e32 v12, v34
.LBB99_124:                             ;   in Loop: Header=BB99_99 Depth=1
	s_or_b32 exec_lo, exec_lo, s11
	v_max_f32_e32 v9, v31, v31
	s_delay_alu instid0(VALU_DEP_2) | instskip(SKIP_2) | instid1(VALU_DEP_2)
	v_max_f32_e32 v11, v12, v12
	v_cmp_u_f32_e32 vcc_lo, v12, v12
	s_waitcnt lgkmcnt(0)
	v_min_f32_e32 v34, v11, v9
	v_max_f32_e32 v9, v11, v9
	s_delay_alu instid0(VALU_DEP_1) | instskip(NEXT) | instid1(VALU_DEP_3)
	v_cndmask_b32_e32 v9, v9, v12, vcc_lo
	v_cndmask_b32_e32 v11, v34, v12, vcc_lo
	v_cmp_u_f32_e32 vcc_lo, v31, v31
	s_delay_alu instid0(VALU_DEP_2) | instskip(NEXT) | instid1(VALU_DEP_4)
	v_cndmask_b32_e32 v11, v11, v31, vcc_lo
	v_cndmask_b32_e32 v9, v9, v31, vcc_lo
	s_delay_alu instid0(VALU_DEP_2) | instskip(NEXT) | instid1(VALU_DEP_2)
	v_cmp_class_f32_e64 s11, v11, 0x1f8
	v_cmp_neq_f32_e32 vcc_lo, v11, v9
	s_delay_alu instid0(VALU_DEP_2) | instskip(NEXT) | instid1(SALU_CYCLE_1)
	s_or_b32 s11, vcc_lo, s11
	s_and_saveexec_b32 s12, s11
	s_delay_alu instid0(SALU_CYCLE_1)
	s_xor_b32 s11, exec_lo, s12
	s_cbranch_execz .LBB99_98
; %bb.125:                              ;   in Loop: Header=BB99_99 Depth=1
	v_sub_f32_e32 v11, v11, v9
	s_delay_alu instid0(VALU_DEP_1) | instskip(NEXT) | instid1(VALU_DEP_1)
	v_mul_f32_e32 v12, 0x3fb8aa3b, v11
	v_fma_f32 v34, 0x3fb8aa3b, v11, -v12
	v_rndne_f32_e32 v35, v12
	s_delay_alu instid0(VALU_DEP_1) | instskip(NEXT) | instid1(VALU_DEP_3)
	v_sub_f32_e32 v12, v12, v35
	v_fmac_f32_e32 v34, 0x32a5705f, v11
	v_cmp_ngt_f32_e32 vcc_lo, 0xc2ce8ed0, v11
	s_delay_alu instid0(VALU_DEP_2) | instskip(SKIP_1) | instid1(VALU_DEP_2)
	v_add_f32_e32 v12, v12, v34
	v_cvt_i32_f32_e32 v34, v35
	v_exp_f32_e32 v12, v12
	s_waitcnt_depctr 0xfff
	v_ldexp_f32 v12, v12, v34
	s_delay_alu instid0(VALU_DEP_1) | instskip(SKIP_1) | instid1(VALU_DEP_2)
	v_cndmask_b32_e32 v12, 0, v12, vcc_lo
	v_cmp_nlt_f32_e32 vcc_lo, 0x42b17218, v11
	v_cndmask_b32_e32 v34, 0x7f800000, v12, vcc_lo
	s_delay_alu instid0(VALU_DEP_1) | instskip(NEXT) | instid1(VALU_DEP_1)
	v_add_f32_e32 v35, 1.0, v34
	v_cvt_f64_f32_e32 v[11:12], v35
	s_delay_alu instid0(VALU_DEP_1) | instskip(SKIP_1) | instid1(VALU_DEP_1)
	v_frexp_exp_i32_f64_e32 v11, v[11:12]
	v_frexp_mant_f32_e32 v12, v35
	v_cmp_gt_f32_e32 vcc_lo, 0x3f2aaaab, v12
	v_add_f32_e32 v12, -1.0, v35
	s_delay_alu instid0(VALU_DEP_1) | instskip(SKIP_1) | instid1(VALU_DEP_2)
	v_sub_f32_e32 v37, v12, v35
	v_cmp_gt_f32_e64 s12, 0x33800000, |v34|
	v_add_f32_e32 v37, 1.0, v37
	v_subrev_co_ci_u32_e32 v11, vcc_lo, 0, v11, vcc_lo
	v_cmp_eq_f32_e32 vcc_lo, 0x7f800000, v34
	s_delay_alu instid0(VALU_DEP_2) | instskip(SKIP_2) | instid1(VALU_DEP_2)
	v_sub_nc_u32_e32 v36, 0, v11
	v_cvt_f32_i32_e32 v11, v11
	s_or_b32 vcc_lo, vcc_lo, s12
	v_ldexp_f32 v35, v35, v36
	v_sub_f32_e32 v12, v34, v12
	s_delay_alu instid0(VALU_DEP_1) | instskip(NEXT) | instid1(VALU_DEP_1)
	v_add_f32_e32 v12, v12, v37
	v_ldexp_f32 v12, v12, v36
	s_delay_alu instid0(VALU_DEP_4) | instskip(NEXT) | instid1(VALU_DEP_1)
	v_add_f32_e32 v38, 1.0, v35
	v_add_f32_e32 v37, -1.0, v38
	s_delay_alu instid0(VALU_DEP_1) | instskip(NEXT) | instid1(VALU_DEP_1)
	v_sub_f32_e32 v37, v35, v37
	v_dual_add_f32 v37, v12, v37 :: v_dual_add_f32 v36, -1.0, v35
	s_delay_alu instid0(VALU_DEP_1) | instskip(NEXT) | instid1(VALU_DEP_1)
	v_add_f32_e32 v39, 1.0, v36
	v_sub_f32_e32 v35, v35, v39
	s_delay_alu instid0(VALU_DEP_1) | instskip(NEXT) | instid1(VALU_DEP_1)
	v_dual_add_f32 v39, v38, v37 :: v_dual_add_f32 v12, v12, v35
	v_rcp_f32_e32 v35, v39
	v_sub_f32_e32 v38, v38, v39
	s_delay_alu instid0(VALU_DEP_1) | instskip(SKIP_3) | instid1(VALU_DEP_2)
	v_dual_add_f32 v37, v37, v38 :: v_dual_add_f32 v40, v36, v12
	s_waitcnt_depctr 0xfff
	v_mul_f32_e32 v41, v40, v35
	v_sub_f32_e32 v36, v36, v40
	v_mul_f32_e32 v42, v39, v41
	s_delay_alu instid0(VALU_DEP_1) | instskip(NEXT) | instid1(VALU_DEP_1)
	v_fma_f32 v38, v41, v39, -v42
	v_fmac_f32_e32 v38, v41, v37
	s_delay_alu instid0(VALU_DEP_1) | instskip(NEXT) | instid1(VALU_DEP_1)
	v_dual_add_f32 v43, v42, v38 :: v_dual_add_f32 v12, v12, v36
	v_sub_f32_e32 v44, v40, v43
	v_sub_f32_e32 v36, v43, v42
	s_delay_alu instid0(VALU_DEP_2) | instskip(NEXT) | instid1(VALU_DEP_2)
	v_sub_f32_e32 v40, v40, v44
	v_sub_f32_e32 v36, v36, v38
	s_delay_alu instid0(VALU_DEP_2) | instskip(NEXT) | instid1(VALU_DEP_1)
	v_sub_f32_e32 v40, v40, v43
	v_add_f32_e32 v12, v12, v40
	s_delay_alu instid0(VALU_DEP_1) | instskip(NEXT) | instid1(VALU_DEP_1)
	v_add_f32_e32 v12, v36, v12
	v_add_f32_e32 v36, v44, v12
	s_delay_alu instid0(VALU_DEP_1) | instskip(NEXT) | instid1(VALU_DEP_1)
	v_mul_f32_e32 v38, v35, v36
	v_dual_sub_f32 v43, v44, v36 :: v_dual_mul_f32 v40, v39, v38
	s_delay_alu instid0(VALU_DEP_1) | instskip(NEXT) | instid1(VALU_DEP_2)
	v_add_f32_e32 v12, v12, v43
	v_fma_f32 v39, v38, v39, -v40
	s_delay_alu instid0(VALU_DEP_1) | instskip(NEXT) | instid1(VALU_DEP_1)
	v_fmac_f32_e32 v39, v38, v37
	v_add_f32_e32 v37, v40, v39
	s_delay_alu instid0(VALU_DEP_1) | instskip(SKIP_1) | instid1(VALU_DEP_2)
	v_sub_f32_e32 v42, v36, v37
	v_sub_f32_e32 v40, v37, v40
	;; [unrolled: 1-line block ×3, first 2 shown]
	s_delay_alu instid0(VALU_DEP_1) | instskip(NEXT) | instid1(VALU_DEP_3)
	v_sub_f32_e32 v36, v36, v37
	v_sub_f32_e32 v37, v40, v39
	s_delay_alu instid0(VALU_DEP_2) | instskip(SKIP_1) | instid1(VALU_DEP_1)
	v_add_f32_e32 v12, v12, v36
	v_add_f32_e32 v36, v41, v38
	v_dual_add_f32 v12, v37, v12 :: v_dual_sub_f32 v37, v36, v41
	s_delay_alu instid0(VALU_DEP_1) | instskip(NEXT) | instid1(VALU_DEP_1)
	v_add_f32_e32 v12, v42, v12
	v_dual_sub_f32 v37, v38, v37 :: v_dual_mul_f32 v12, v35, v12
	s_delay_alu instid0(VALU_DEP_1) | instskip(NEXT) | instid1(VALU_DEP_1)
	v_add_f32_e32 v12, v37, v12
	v_add_f32_e32 v35, v36, v12
	s_delay_alu instid0(VALU_DEP_1) | instskip(NEXT) | instid1(VALU_DEP_1)
	v_mul_f32_e32 v37, v35, v35
	v_fmaak_f32 v38, s10, v37, 0x3ecc95a3
	v_mul_f32_e32 v39, v35, v37
	s_delay_alu instid0(VALU_DEP_2) | instskip(SKIP_2) | instid1(VALU_DEP_3)
	v_fmaak_f32 v37, v37, v38, 0x3f2aaada
	v_ldexp_f32 v38, v35, 1
	v_sub_f32_e32 v35, v35, v36
	v_mul_f32_e32 v37, v39, v37
	v_mul_f32_e32 v39, 0x3f317218, v11
	s_delay_alu instid0(VALU_DEP_3) | instskip(NEXT) | instid1(VALU_DEP_3)
	v_sub_f32_e32 v12, v12, v35
	v_add_f32_e32 v36, v38, v37
	s_delay_alu instid0(VALU_DEP_2) | instskip(NEXT) | instid1(VALU_DEP_2)
	v_ldexp_f32 v12, v12, 1
	v_sub_f32_e32 v35, v36, v38
	v_fma_f32 v38, 0x3f317218, v11, -v39
	s_delay_alu instid0(VALU_DEP_2) | instskip(NEXT) | instid1(VALU_DEP_2)
	v_sub_f32_e32 v35, v37, v35
	v_fmac_f32_e32 v38, 0xb102e308, v11
	s_delay_alu instid0(VALU_DEP_1) | instskip(NEXT) | instid1(VALU_DEP_1)
	v_dual_add_f32 v11, v12, v35 :: v_dual_add_f32 v12, v39, v38
	v_sub_f32_e32 v39, v12, v39
	s_delay_alu instid0(VALU_DEP_2) | instskip(NEXT) | instid1(VALU_DEP_2)
	v_add_f32_e32 v35, v36, v11
	v_sub_f32_e32 v38, v38, v39
	s_delay_alu instid0(VALU_DEP_2) | instskip(NEXT) | instid1(VALU_DEP_1)
	v_dual_add_f32 v37, v12, v35 :: v_dual_sub_f32 v36, v35, v36
	v_sub_f32_e32 v40, v37, v12
	s_delay_alu instid0(VALU_DEP_2) | instskip(NEXT) | instid1(VALU_DEP_2)
	v_sub_f32_e32 v11, v11, v36
	v_sub_f32_e32 v41, v37, v40
	s_delay_alu instid0(VALU_DEP_2) | instskip(NEXT) | instid1(VALU_DEP_2)
	v_dual_sub_f32 v35, v35, v40 :: v_dual_add_f32 v36, v38, v11
	v_sub_f32_e32 v12, v12, v41
	s_delay_alu instid0(VALU_DEP_1) | instskip(NEXT) | instid1(VALU_DEP_1)
	v_dual_add_f32 v12, v35, v12 :: v_dual_sub_f32 v35, v36, v38
	v_add_f32_e32 v12, v36, v12
	s_delay_alu instid0(VALU_DEP_2) | instskip(SKIP_1) | instid1(VALU_DEP_3)
	v_sub_f32_e32 v36, v36, v35
	v_sub_f32_e32 v11, v11, v35
	v_add_f32_e32 v39, v37, v12
	s_delay_alu instid0(VALU_DEP_1) | instskip(NEXT) | instid1(VALU_DEP_1)
	v_dual_sub_f32 v36, v38, v36 :: v_dual_sub_f32 v35, v39, v37
	v_dual_add_f32 v11, v11, v36 :: v_dual_sub_f32 v12, v12, v35
	s_delay_alu instid0(VALU_DEP_1) | instskip(NEXT) | instid1(VALU_DEP_1)
	v_add_f32_e32 v11, v11, v12
	v_add_f32_e32 v11, v39, v11
	s_delay_alu instid0(VALU_DEP_1) | instskip(NEXT) | instid1(VALU_DEP_1)
	v_cndmask_b32_e32 v11, v11, v34, vcc_lo
	v_add_f32_e32 v12, v9, v11
	s_branch .LBB99_98
.LBB99_126:                             ;   in Loop: Header=BB99_99 Depth=1
                                        ; implicit-def: $vgpr12
                                        ; implicit-def: $vgpr10
	s_cbranch_execz .LBB99_99
; %bb.127:
	s_and_saveexec_b32 s10, s8
	s_cbranch_execz .LBB99_131
; %bb.128:
	v_max_f32_e32 v4, v3, v3
	v_max_f32_e32 v5, v31, v31
	v_cmp_u_f32_e32 vcc_lo, v31, v31
	s_delay_alu instid0(VALU_DEP_2) | instskip(NEXT) | instid1(VALU_DEP_1)
	v_min_f32_e32 v6, v5, v4
	v_dual_max_f32 v4, v5, v4 :: v_dual_cndmask_b32 v5, v6, v31
	s_delay_alu instid0(VALU_DEP_1) | instskip(SKIP_1) | instid1(VALU_DEP_3)
	v_cndmask_b32_e32 v4, v4, v31, vcc_lo
	v_cmp_u_f32_e32 vcc_lo, v3, v3
	v_cndmask_b32_e32 v5, v5, v3, vcc_lo
	s_delay_alu instid0(VALU_DEP_3) | instskip(NEXT) | instid1(VALU_DEP_2)
	v_dual_cndmask_b32 v4, v4, v3 :: v_dual_mov_b32 v3, v31
	v_cmp_class_f32_e64 s8, v5, 0x1f8
	s_delay_alu instid0(VALU_DEP_2) | instskip(NEXT) | instid1(VALU_DEP_2)
	v_cmp_neq_f32_e32 vcc_lo, v5, v4
	s_or_b32 s11, vcc_lo, s8
	s_delay_alu instid0(SALU_CYCLE_1)
	s_and_saveexec_b32 s8, s11
	s_cbranch_execz .LBB99_130
; %bb.129:
	v_sub_f32_e32 v3, v5, v4
	s_mov_b32 s11, 0x3e9b6dac
	s_delay_alu instid0(VALU_DEP_1) | instskip(SKIP_1) | instid1(VALU_DEP_2)
	v_mul_f32_e32 v5, 0x3fb8aa3b, v3
	v_cmp_ngt_f32_e32 vcc_lo, 0xc2ce8ed0, v3
	v_fma_f32 v6, 0x3fb8aa3b, v3, -v5
	v_rndne_f32_e32 v9, v5
	s_delay_alu instid0(VALU_DEP_1) | instskip(NEXT) | instid1(VALU_DEP_1)
	v_dual_fmamk_f32 v6, v3, 0x32a5705f, v6 :: v_dual_sub_f32 v5, v5, v9
	v_add_f32_e32 v5, v5, v6
	v_cvt_i32_f32_e32 v6, v9
	s_delay_alu instid0(VALU_DEP_2) | instskip(SKIP_2) | instid1(VALU_DEP_1)
	v_exp_f32_e32 v5, v5
	s_waitcnt_depctr 0xfff
	v_ldexp_f32 v5, v5, v6
	v_cndmask_b32_e32 v5, 0, v5, vcc_lo
	v_cmp_nlt_f32_e32 vcc_lo, 0x42b17218, v3
	s_delay_alu instid0(VALU_DEP_2) | instskip(NEXT) | instid1(VALU_DEP_1)
	v_cndmask_b32_e32 v3, 0x7f800000, v5, vcc_lo
	v_add_f32_e32 v9, 1.0, v3
	s_delay_alu instid0(VALU_DEP_1) | instskip(NEXT) | instid1(VALU_DEP_1)
	v_cvt_f64_f32_e32 v[5:6], v9
	v_frexp_exp_i32_f64_e32 v5, v[5:6]
	v_frexp_mant_f32_e32 v6, v9
	s_delay_alu instid0(VALU_DEP_1) | instskip(SKIP_1) | instid1(VALU_DEP_1)
	v_cmp_gt_f32_e32 vcc_lo, 0x3f2aaaab, v6
	v_add_f32_e32 v6, -1.0, v9
	v_dual_sub_f32 v11, v6, v9 :: v_dual_sub_f32 v6, v3, v6
	v_subrev_co_ci_u32_e32 v5, vcc_lo, 0, v5, vcc_lo
	s_delay_alu instid0(VALU_DEP_1) | instskip(SKIP_1) | instid1(VALU_DEP_2)
	v_sub_nc_u32_e32 v10, 0, v5
	v_cvt_f32_i32_e32 v5, v5
	v_ldexp_f32 v9, v9, v10
	s_delay_alu instid0(VALU_DEP_1) | instskip(NEXT) | instid1(VALU_DEP_1)
	v_dual_add_f32 v11, 1.0, v11 :: v_dual_add_f32 v12, 1.0, v9
	v_add_f32_e32 v6, v6, v11
	s_delay_alu instid0(VALU_DEP_1) | instskip(NEXT) | instid1(VALU_DEP_3)
	v_ldexp_f32 v6, v6, v10
	v_dual_add_f32 v10, -1.0, v9 :: v_dual_add_f32 v11, -1.0, v12
	s_delay_alu instid0(VALU_DEP_1) | instskip(NEXT) | instid1(VALU_DEP_2)
	v_add_f32_e32 v23, 1.0, v10
	v_sub_f32_e32 v11, v9, v11
	s_delay_alu instid0(VALU_DEP_2) | instskip(NEXT) | instid1(VALU_DEP_2)
	v_sub_f32_e32 v9, v9, v23
	v_add_f32_e32 v11, v6, v11
	s_delay_alu instid0(VALU_DEP_1) | instskip(NEXT) | instid1(VALU_DEP_1)
	v_dual_add_f32 v6, v6, v9 :: v_dual_add_f32 v23, v12, v11
	v_add_f32_e32 v24, v10, v6
	s_delay_alu instid0(VALU_DEP_2) | instskip(SKIP_2) | instid1(VALU_DEP_3)
	v_rcp_f32_e32 v9, v23
	v_sub_f32_e32 v12, v12, v23
	v_cmp_eq_f32_e32 vcc_lo, 0x7f800000, v3
	v_sub_f32_e32 v10, v10, v24
	s_delay_alu instid0(VALU_DEP_1) | instskip(SKIP_2) | instid1(VALU_DEP_1)
	v_dual_add_f32 v11, v11, v12 :: v_dual_add_f32 v6, v6, v10
	s_waitcnt_depctr 0xfff
	v_mul_f32_e32 v25, v24, v9
	v_mul_f32_e32 v26, v23, v25
	s_delay_alu instid0(VALU_DEP_1) | instskip(NEXT) | instid1(VALU_DEP_1)
	v_fma_f32 v12, v25, v23, -v26
	v_fmac_f32_e32 v12, v25, v11
	s_delay_alu instid0(VALU_DEP_1) | instskip(NEXT) | instid1(VALU_DEP_1)
	v_add_f32_e32 v27, v26, v12
	v_sub_f32_e32 v28, v24, v27
	v_sub_f32_e32 v10, v27, v26
	s_delay_alu instid0(VALU_DEP_2) | instskip(NEXT) | instid1(VALU_DEP_2)
	v_sub_f32_e32 v24, v24, v28
	v_sub_f32_e32 v10, v10, v12
	s_delay_alu instid0(VALU_DEP_2) | instskip(NEXT) | instid1(VALU_DEP_1)
	v_sub_f32_e32 v24, v24, v27
	v_add_f32_e32 v6, v6, v24
	s_delay_alu instid0(VALU_DEP_1) | instskip(NEXT) | instid1(VALU_DEP_1)
	v_add_f32_e32 v6, v10, v6
	v_add_f32_e32 v10, v28, v6
	s_delay_alu instid0(VALU_DEP_1) | instskip(NEXT) | instid1(VALU_DEP_1)
	v_mul_f32_e32 v12, v9, v10
	v_dual_sub_f32 v27, v28, v10 :: v_dual_mul_f32 v24, v23, v12
	s_delay_alu instid0(VALU_DEP_1) | instskip(NEXT) | instid1(VALU_DEP_1)
	v_fma_f32 v23, v12, v23, -v24
	v_fmac_f32_e32 v23, v12, v11
	s_delay_alu instid0(VALU_DEP_1) | instskip(NEXT) | instid1(VALU_DEP_4)
	v_add_f32_e32 v11, v24, v23
	v_add_f32_e32 v6, v6, v27
	s_delay_alu instid0(VALU_DEP_2) | instskip(SKIP_1) | instid1(VALU_DEP_2)
	v_sub_f32_e32 v26, v10, v11
	v_sub_f32_e32 v24, v11, v24
	;; [unrolled: 1-line block ×3, first 2 shown]
	s_delay_alu instid0(VALU_DEP_1) | instskip(NEXT) | instid1(VALU_DEP_1)
	v_sub_f32_e32 v10, v10, v11
	v_dual_sub_f32 v11, v24, v23 :: v_dual_add_f32 v6, v6, v10
	v_add_f32_e32 v10, v25, v12
	s_delay_alu instid0(VALU_DEP_1) | instskip(NEXT) | instid1(VALU_DEP_1)
	v_dual_add_f32 v6, v11, v6 :: v_dual_sub_f32 v11, v10, v25
	v_dual_add_f32 v6, v26, v6 :: v_dual_sub_f32 v11, v12, v11
	s_delay_alu instid0(VALU_DEP_1) | instskip(NEXT) | instid1(VALU_DEP_1)
	v_mul_f32_e32 v6, v9, v6
	v_add_f32_e32 v6, v11, v6
	s_delay_alu instid0(VALU_DEP_1) | instskip(NEXT) | instid1(VALU_DEP_1)
	v_add_f32_e32 v9, v10, v6
	v_mul_f32_e32 v11, v9, v9
	s_delay_alu instid0(VALU_DEP_1) | instskip(SKIP_2) | instid1(VALU_DEP_3)
	v_fmaak_f32 v12, s11, v11, 0x3ecc95a3
	v_mul_f32_e32 v23, v9, v11
	v_cmp_gt_f32_e64 s11, 0x33800000, |v3|
	v_fmaak_f32 v11, v11, v12, 0x3f2aaada
	v_ldexp_f32 v12, v9, 1
	s_delay_alu instid0(VALU_DEP_3) | instskip(NEXT) | instid1(VALU_DEP_2)
	s_or_b32 vcc_lo, vcc_lo, s11
	v_mul_f32_e32 v11, v23, v11
	v_sub_f32_e32 v9, v9, v10
	s_delay_alu instid0(VALU_DEP_2) | instskip(NEXT) | instid1(VALU_DEP_2)
	v_dual_mul_f32 v23, 0x3f317218, v5 :: v_dual_add_f32 v10, v12, v11
	v_sub_f32_e32 v6, v6, v9
	s_delay_alu instid0(VALU_DEP_2) | instskip(NEXT) | instid1(VALU_DEP_3)
	v_sub_f32_e32 v9, v10, v12
	v_fma_f32 v12, 0x3f317218, v5, -v23
	s_delay_alu instid0(VALU_DEP_3) | instskip(NEXT) | instid1(VALU_DEP_3)
	v_ldexp_f32 v6, v6, 1
	v_sub_f32_e32 v9, v11, v9
	s_delay_alu instid0(VALU_DEP_1) | instskip(NEXT) | instid1(VALU_DEP_1)
	v_dual_fmamk_f32 v5, v5, 0xb102e308, v12 :: v_dual_add_f32 v6, v6, v9
	v_add_f32_e32 v9, v23, v5
	s_delay_alu instid0(VALU_DEP_2) | instskip(NEXT) | instid1(VALU_DEP_2)
	v_add_f32_e32 v11, v10, v6
	v_sub_f32_e32 v23, v9, v23
	s_delay_alu instid0(VALU_DEP_2) | instskip(NEXT) | instid1(VALU_DEP_1)
	v_add_f32_e32 v12, v9, v11
	v_dual_sub_f32 v5, v5, v23 :: v_dual_sub_f32 v24, v12, v9
	s_delay_alu instid0(VALU_DEP_1) | instskip(NEXT) | instid1(VALU_DEP_1)
	v_sub_f32_e32 v25, v12, v24
	v_dual_sub_f32 v9, v9, v25 :: v_dual_sub_f32 v10, v11, v10
	s_delay_alu instid0(VALU_DEP_1) | instskip(NEXT) | instid1(VALU_DEP_1)
	v_sub_f32_e32 v6, v6, v10
	v_dual_sub_f32 v10, v11, v24 :: v_dual_add_f32 v11, v5, v6
	s_delay_alu instid0(VALU_DEP_1) | instskip(NEXT) | instid1(VALU_DEP_2)
	v_add_f32_e32 v9, v10, v9
	v_sub_f32_e32 v10, v11, v5
	s_delay_alu instid0(VALU_DEP_2) | instskip(NEXT) | instid1(VALU_DEP_2)
	v_add_f32_e32 v9, v11, v9
	v_sub_f32_e32 v11, v11, v10
	s_delay_alu instid0(VALU_DEP_1) | instskip(NEXT) | instid1(VALU_DEP_3)
	v_sub_f32_e32 v5, v5, v11
	v_dual_add_f32 v23, v12, v9 :: v_dual_sub_f32 v6, v6, v10
	s_delay_alu instid0(VALU_DEP_1) | instskip(NEXT) | instid1(VALU_DEP_1)
	v_dual_sub_f32 v10, v23, v12 :: v_dual_add_f32 v5, v6, v5
	v_sub_f32_e32 v6, v9, v10
	s_delay_alu instid0(VALU_DEP_1) | instskip(NEXT) | instid1(VALU_DEP_1)
	v_add_f32_e32 v5, v5, v6
	v_add_f32_e32 v5, v23, v5
	s_delay_alu instid0(VALU_DEP_1) | instskip(NEXT) | instid1(VALU_DEP_1)
	v_cndmask_b32_e32 v3, v5, v3, vcc_lo
	v_add_f32_e32 v3, v4, v3
.LBB99_130:
	s_or_b32 exec_lo, exec_lo, s8
	s_add_i32 s12, s15, 32
	s_mov_b32 s13, 0
	v_dual_mov_b32 v5, 0 :: v_dual_mov_b32 v4, 2
	s_lshl_b64 s[12:13], s[12:13], 3
	s_delay_alu instid0(SALU_CYCLE_1)
	s_add_u32 s12, s22, s12
	s_addc_u32 s13, s23, s13
	global_store_b64 v5, v[3:4], s[12:13]
.LBB99_131:
	s_or_b32 exec_lo, exec_lo, s10
	s_delay_alu instid0(SALU_CYCLE_1)
	s_and_b32 exec_lo, exec_lo, s7
	s_cbranch_execz .LBB99_133
; %bb.132:
	v_mov_b32_e32 v3, 0
	ds_store_b32 v3, v31
.LBB99_133:
	s_or_b32 exec_lo, exec_lo, s9
	v_dual_mov_b32 v3, 0 :: v_dual_mov_b32 v4, v1
	s_waitcnt lgkmcnt(0)
	s_waitcnt_vscnt null, 0x0
	s_barrier
	buffer_gl0_inv
	ds_load_b32 v3, v3
	s_and_saveexec_b32 s7, s6
	s_cbranch_execz .LBB99_137
; %bb.134:
	v_max_f32_e32 v4, v22, v22
	v_cmp_u_f32_e32 vcc_lo, v22, v22
	s_delay_alu instid0(VALU_DEP_2) | instskip(NEXT) | instid1(VALU_DEP_1)
	v_min_f32_e32 v5, v4, v21
	v_dual_max_f32 v4, v4, v21 :: v_dual_cndmask_b32 v5, v5, v22
	s_delay_alu instid0(VALU_DEP_1) | instskip(NEXT) | instid1(VALU_DEP_2)
	v_cndmask_b32_e32 v4, v4, v22, vcc_lo
	v_cndmask_b32_e64 v5, v5, v1, s5
	s_delay_alu instid0(VALU_DEP_2) | instskip(NEXT) | instid1(VALU_DEP_2)
	v_cndmask_b32_e64 v4, v4, v1, s5
	v_cmp_class_f32_e64 s5, v5, 0x1f8
	s_delay_alu instid0(VALU_DEP_2) | instskip(NEXT) | instid1(VALU_DEP_2)
	v_cmp_neq_f32_e32 vcc_lo, v5, v4
	s_or_b32 s6, vcc_lo, s5
	s_delay_alu instid0(SALU_CYCLE_1)
	s_and_saveexec_b32 s5, s6
	s_cbranch_execz .LBB99_136
; %bb.135:
	v_sub_f32_e32 v5, v5, v4
	s_mov_b32 s6, 0x3e9b6dac
	s_delay_alu instid0(VALU_DEP_1) | instskip(NEXT) | instid1(VALU_DEP_1)
	v_mul_f32_e32 v6, 0x3fb8aa3b, v5
	v_fma_f32 v9, 0x3fb8aa3b, v5, -v6
	v_rndne_f32_e32 v10, v6
	s_delay_alu instid0(VALU_DEP_1) | instskip(SKIP_1) | instid1(VALU_DEP_4)
	v_sub_f32_e32 v6, v6, v10
	v_cmp_ngt_f32_e32 vcc_lo, 0xc2ce8ed0, v5
	v_fmamk_f32 v9, v5, 0x32a5705f, v9
	s_delay_alu instid0(VALU_DEP_1) | instskip(SKIP_1) | instid1(VALU_DEP_2)
	v_add_f32_e32 v6, v6, v9
	v_cvt_i32_f32_e32 v9, v10
	v_exp_f32_e32 v6, v6
	s_waitcnt_depctr 0xfff
	v_ldexp_f32 v6, v6, v9
	s_delay_alu instid0(VALU_DEP_1) | instskip(SKIP_1) | instid1(VALU_DEP_2)
	v_cndmask_b32_e32 v6, 0, v6, vcc_lo
	v_cmp_nlt_f32_e32 vcc_lo, 0x42b17218, v5
	v_cndmask_b32_e32 v9, 0x7f800000, v6, vcc_lo
	s_delay_alu instid0(VALU_DEP_1) | instskip(NEXT) | instid1(VALU_DEP_1)
	v_add_f32_e32 v10, 1.0, v9
	v_cvt_f64_f32_e32 v[5:6], v10
	s_delay_alu instid0(VALU_DEP_1) | instskip(SKIP_1) | instid1(VALU_DEP_1)
	v_frexp_exp_i32_f64_e32 v5, v[5:6]
	v_frexp_mant_f32_e32 v6, v10
	v_cmp_gt_f32_e32 vcc_lo, 0x3f2aaaab, v6
	v_add_f32_e32 v6, -1.0, v10
	s_delay_alu instid0(VALU_DEP_1) | instskip(NEXT) | instid1(VALU_DEP_1)
	v_sub_f32_e32 v12, v6, v10
	v_add_f32_e32 v12, 1.0, v12
	v_sub_f32_e32 v6, v9, v6
	v_subrev_co_ci_u32_e32 v5, vcc_lo, 0, v5, vcc_lo
	v_cmp_eq_f32_e32 vcc_lo, 0x7f800000, v9
	s_delay_alu instid0(VALU_DEP_2) | instskip(SKIP_1) | instid1(VALU_DEP_2)
	v_sub_nc_u32_e32 v11, 0, v5
	v_cvt_f32_i32_e32 v5, v5
	v_ldexp_f32 v10, v10, v11
	s_delay_alu instid0(VALU_DEP_1) | instskip(NEXT) | instid1(VALU_DEP_1)
	v_dual_add_f32 v21, 1.0, v10 :: v_dual_add_f32 v6, v6, v12
	v_add_f32_e32 v12, -1.0, v21
	s_delay_alu instid0(VALU_DEP_2) | instskip(NEXT) | instid1(VALU_DEP_2)
	v_ldexp_f32 v6, v6, v11
	v_dual_add_f32 v11, -1.0, v10 :: v_dual_sub_f32 v12, v10, v12
	s_delay_alu instid0(VALU_DEP_1) | instskip(NEXT) | instid1(VALU_DEP_2)
	v_add_f32_e32 v22, 1.0, v11
	v_add_f32_e32 v12, v6, v12
	s_delay_alu instid0(VALU_DEP_2) | instskip(NEXT) | instid1(VALU_DEP_2)
	v_sub_f32_e32 v10, v10, v22
	v_add_f32_e32 v22, v21, v12
	s_delay_alu instid0(VALU_DEP_2) | instskip(NEXT) | instid1(VALU_DEP_2)
	v_add_f32_e32 v6, v6, v10
	v_rcp_f32_e32 v10, v22
	v_sub_f32_e32 v21, v21, v22
	s_delay_alu instid0(VALU_DEP_1) | instskip(NEXT) | instid1(VALU_DEP_1)
	v_dual_add_f32 v23, v11, v6 :: v_dual_add_f32 v12, v12, v21
	v_sub_f32_e32 v11, v11, v23
	s_waitcnt_depctr 0xfff
	v_mul_f32_e32 v24, v23, v10
	v_add_f32_e32 v6, v6, v11
	s_delay_alu instid0(VALU_DEP_2) | instskip(NEXT) | instid1(VALU_DEP_1)
	v_mul_f32_e32 v25, v22, v24
	v_fma_f32 v21, v24, v22, -v25
	s_delay_alu instid0(VALU_DEP_1) | instskip(NEXT) | instid1(VALU_DEP_1)
	v_fmac_f32_e32 v21, v24, v12
	v_add_f32_e32 v26, v25, v21
	s_delay_alu instid0(VALU_DEP_1) | instskip(SKIP_1) | instid1(VALU_DEP_2)
	v_sub_f32_e32 v27, v23, v26
	v_sub_f32_e32 v11, v26, v25
	;; [unrolled: 1-line block ×3, first 2 shown]
	s_delay_alu instid0(VALU_DEP_2) | instskip(NEXT) | instid1(VALU_DEP_2)
	v_sub_f32_e32 v11, v11, v21
	v_sub_f32_e32 v23, v23, v26
	s_delay_alu instid0(VALU_DEP_1) | instskip(NEXT) | instid1(VALU_DEP_1)
	v_add_f32_e32 v6, v6, v23
	v_add_f32_e32 v6, v11, v6
	s_delay_alu instid0(VALU_DEP_1) | instskip(NEXT) | instid1(VALU_DEP_1)
	v_add_f32_e32 v11, v27, v6
	v_mul_f32_e32 v21, v10, v11
	s_delay_alu instid0(VALU_DEP_1) | instskip(NEXT) | instid1(VALU_DEP_1)
	v_dual_sub_f32 v26, v27, v11 :: v_dual_mul_f32 v23, v22, v21
	v_add_f32_e32 v6, v6, v26
	s_delay_alu instid0(VALU_DEP_2) | instskip(NEXT) | instid1(VALU_DEP_1)
	v_fma_f32 v22, v21, v22, -v23
	v_fmac_f32_e32 v22, v21, v12
	s_delay_alu instid0(VALU_DEP_1) | instskip(NEXT) | instid1(VALU_DEP_1)
	v_add_f32_e32 v12, v23, v22
	v_sub_f32_e32 v25, v11, v12
	v_sub_f32_e32 v23, v12, v23
	s_delay_alu instid0(VALU_DEP_2) | instskip(NEXT) | instid1(VALU_DEP_1)
	v_sub_f32_e32 v11, v11, v25
	v_sub_f32_e32 v11, v11, v12
	s_delay_alu instid0(VALU_DEP_1) | instskip(NEXT) | instid1(VALU_DEP_4)
	v_dual_add_f32 v6, v6, v11 :: v_dual_add_f32 v11, v24, v21
	v_sub_f32_e32 v12, v23, v22
	s_delay_alu instid0(VALU_DEP_1) | instskip(NEXT) | instid1(VALU_DEP_3)
	v_add_f32_e32 v6, v12, v6
	v_sub_f32_e32 v12, v11, v24
	s_delay_alu instid0(VALU_DEP_2) | instskip(NEXT) | instid1(VALU_DEP_2)
	v_add_f32_e32 v6, v25, v6
	v_sub_f32_e32 v12, v21, v12
	s_delay_alu instid0(VALU_DEP_2) | instskip(NEXT) | instid1(VALU_DEP_1)
	v_mul_f32_e32 v6, v10, v6
	v_add_f32_e32 v6, v12, v6
	s_delay_alu instid0(VALU_DEP_1) | instskip(NEXT) | instid1(VALU_DEP_1)
	v_add_f32_e32 v10, v11, v6
	v_mul_f32_e32 v12, v10, v10
	s_delay_alu instid0(VALU_DEP_1) | instskip(SKIP_2) | instid1(VALU_DEP_3)
	v_fmaak_f32 v21, s6, v12, 0x3ecc95a3
	v_mul_f32_e32 v22, v10, v12
	v_cmp_gt_f32_e64 s6, 0x33800000, |v9|
	v_fmaak_f32 v12, v12, v21, 0x3f2aaada
	v_ldexp_f32 v21, v10, 1
	v_sub_f32_e32 v10, v10, v11
	s_delay_alu instid0(VALU_DEP_4) | instskip(NEXT) | instid1(VALU_DEP_3)
	s_or_b32 vcc_lo, vcc_lo, s6
	v_mul_f32_e32 v12, v22, v12
	v_mul_f32_e32 v22, 0x3f317218, v5
	s_delay_alu instid0(VALU_DEP_2) | instskip(NEXT) | instid1(VALU_DEP_1)
	v_dual_sub_f32 v6, v6, v10 :: v_dual_add_f32 v11, v21, v12
	v_ldexp_f32 v6, v6, 1
	s_delay_alu instid0(VALU_DEP_2) | instskip(NEXT) | instid1(VALU_DEP_4)
	v_sub_f32_e32 v10, v11, v21
	v_fma_f32 v21, 0x3f317218, v5, -v22
	s_delay_alu instid0(VALU_DEP_1) | instskip(NEXT) | instid1(VALU_DEP_1)
	v_dual_sub_f32 v10, v12, v10 :: v_dual_fmamk_f32 v5, v5, 0xb102e308, v21
	v_add_f32_e32 v6, v6, v10
	s_delay_alu instid0(VALU_DEP_2) | instskip(NEXT) | instid1(VALU_DEP_2)
	v_add_f32_e32 v10, v22, v5
	v_add_f32_e32 v12, v11, v6
	s_delay_alu instid0(VALU_DEP_2) | instskip(NEXT) | instid1(VALU_DEP_2)
	v_sub_f32_e32 v22, v10, v22
	v_add_f32_e32 v21, v10, v12
	v_sub_f32_e32 v11, v12, v11
	s_delay_alu instid0(VALU_DEP_3) | instskip(NEXT) | instid1(VALU_DEP_2)
	v_sub_f32_e32 v5, v5, v22
	v_dual_sub_f32 v23, v21, v10 :: v_dual_sub_f32 v6, v6, v11
	s_delay_alu instid0(VALU_DEP_1) | instskip(NEXT) | instid1(VALU_DEP_2)
	v_sub_f32_e32 v24, v21, v23
	v_dual_sub_f32 v11, v12, v23 :: v_dual_add_f32 v12, v5, v6
	s_delay_alu instid0(VALU_DEP_2) | instskip(NEXT) | instid1(VALU_DEP_1)
	v_sub_f32_e32 v10, v10, v24
	v_dual_add_f32 v10, v11, v10 :: v_dual_sub_f32 v11, v12, v5
	s_delay_alu instid0(VALU_DEP_1) | instskip(NEXT) | instid1(VALU_DEP_2)
	v_add_f32_e32 v10, v12, v10
	v_sub_f32_e32 v12, v12, v11
	v_sub_f32_e32 v6, v6, v11
	s_delay_alu instid0(VALU_DEP_3) | instskip(NEXT) | instid1(VALU_DEP_3)
	v_add_f32_e32 v22, v21, v10
	v_sub_f32_e32 v5, v5, v12
	s_delay_alu instid0(VALU_DEP_2) | instskip(NEXT) | instid1(VALU_DEP_2)
	v_sub_f32_e32 v11, v22, v21
	v_add_f32_e32 v5, v6, v5
	s_delay_alu instid0(VALU_DEP_2) | instskip(NEXT) | instid1(VALU_DEP_1)
	v_sub_f32_e32 v6, v10, v11
	v_add_f32_e32 v5, v5, v6
	s_delay_alu instid0(VALU_DEP_1) | instskip(NEXT) | instid1(VALU_DEP_1)
	v_add_f32_e32 v5, v22, v5
	v_cndmask_b32_e32 v5, v5, v9, vcc_lo
	s_delay_alu instid0(VALU_DEP_1)
	v_add_f32_e32 v22, v4, v5
.LBB99_136:
	s_or_b32 exec_lo, exec_lo, s5
	s_delay_alu instid0(VALU_DEP_1)
	v_mov_b32_e32 v4, v22
.LBB99_137:
	s_or_b32 exec_lo, exec_lo, s7
	s_waitcnt lgkmcnt(0)
	s_delay_alu instid0(VALU_DEP_1) | instskip(SKIP_1) | instid1(VALU_DEP_2)
	v_dual_max_f32 v5, v4, v4 :: v_dual_max_f32 v6, v3, v3
	v_cmp_u_f32_e32 vcc_lo, v3, v3
	v_min_f32_e32 v9, v6, v5
	s_delay_alu instid0(VALU_DEP_1) | instskip(NEXT) | instid1(VALU_DEP_1)
	v_dual_max_f32 v5, v6, v5 :: v_dual_cndmask_b32 v6, v9, v3
	v_cndmask_b32_e32 v9, v5, v3, vcc_lo
	v_cmp_u_f32_e32 vcc_lo, v4, v4
	s_delay_alu instid0(VALU_DEP_3) | instskip(NEXT) | instid1(VALU_DEP_3)
	v_cndmask_b32_e32 v5, v6, v4, vcc_lo
	v_cndmask_b32_e32 v4, v9, v4, vcc_lo
	s_delay_alu instid0(VALU_DEP_2) | instskip(NEXT) | instid1(VALU_DEP_2)
	v_cmp_class_f32_e64 s5, v5, 0x1f8
	v_cmp_neq_f32_e32 vcc_lo, v5, v4
	s_delay_alu instid0(VALU_DEP_2) | instskip(NEXT) | instid1(SALU_CYCLE_1)
	s_or_b32 s6, vcc_lo, s5
	s_and_saveexec_b32 s5, s6
	s_cbranch_execz .LBB99_139
; %bb.138:
	v_sub_f32_e32 v3, v5, v4
	s_mov_b32 s6, 0x3e9b6dac
	s_delay_alu instid0(VALU_DEP_1) | instskip(SKIP_1) | instid1(VALU_DEP_2)
	v_mul_f32_e32 v5, 0x3fb8aa3b, v3
	v_cmp_ngt_f32_e32 vcc_lo, 0xc2ce8ed0, v3
	v_fma_f32 v6, 0x3fb8aa3b, v3, -v5
	v_rndne_f32_e32 v9, v5
	s_delay_alu instid0(VALU_DEP_1) | instskip(NEXT) | instid1(VALU_DEP_1)
	v_dual_fmamk_f32 v6, v3, 0x32a5705f, v6 :: v_dual_sub_f32 v5, v5, v9
	v_add_f32_e32 v5, v5, v6
	v_cvt_i32_f32_e32 v6, v9
	s_delay_alu instid0(VALU_DEP_2) | instskip(SKIP_2) | instid1(VALU_DEP_1)
	v_exp_f32_e32 v5, v5
	s_waitcnt_depctr 0xfff
	v_ldexp_f32 v5, v5, v6
	v_cndmask_b32_e32 v5, 0, v5, vcc_lo
	v_cmp_nlt_f32_e32 vcc_lo, 0x42b17218, v3
	s_delay_alu instid0(VALU_DEP_2) | instskip(NEXT) | instid1(VALU_DEP_1)
	v_cndmask_b32_e32 v3, 0x7f800000, v5, vcc_lo
	v_add_f32_e32 v9, 1.0, v3
	s_delay_alu instid0(VALU_DEP_1) | instskip(NEXT) | instid1(VALU_DEP_1)
	v_cvt_f64_f32_e32 v[5:6], v9
	v_frexp_exp_i32_f64_e32 v5, v[5:6]
	v_frexp_mant_f32_e32 v6, v9
	s_delay_alu instid0(VALU_DEP_1) | instskip(SKIP_1) | instid1(VALU_DEP_1)
	v_cmp_gt_f32_e32 vcc_lo, 0x3f2aaaab, v6
	v_add_f32_e32 v6, -1.0, v9
	v_dual_sub_f32 v11, v6, v9 :: v_dual_sub_f32 v6, v3, v6
	v_subrev_co_ci_u32_e32 v5, vcc_lo, 0, v5, vcc_lo
	s_delay_alu instid0(VALU_DEP_1) | instskip(SKIP_1) | instid1(VALU_DEP_2)
	v_sub_nc_u32_e32 v10, 0, v5
	v_cvt_f32_i32_e32 v5, v5
	v_ldexp_f32 v9, v9, v10
	s_delay_alu instid0(VALU_DEP_1) | instskip(NEXT) | instid1(VALU_DEP_1)
	v_dual_add_f32 v11, 1.0, v11 :: v_dual_add_f32 v12, 1.0, v9
	v_add_f32_e32 v6, v6, v11
	s_delay_alu instid0(VALU_DEP_1) | instskip(NEXT) | instid1(VALU_DEP_3)
	v_ldexp_f32 v6, v6, v10
	v_dual_add_f32 v10, -1.0, v9 :: v_dual_add_f32 v11, -1.0, v12
	s_delay_alu instid0(VALU_DEP_1) | instskip(NEXT) | instid1(VALU_DEP_2)
	v_add_f32_e32 v21, 1.0, v10
	v_sub_f32_e32 v11, v9, v11
	s_delay_alu instid0(VALU_DEP_2) | instskip(NEXT) | instid1(VALU_DEP_2)
	v_sub_f32_e32 v9, v9, v21
	v_add_f32_e32 v11, v6, v11
	s_delay_alu instid0(VALU_DEP_2) | instskip(NEXT) | instid1(VALU_DEP_1)
	v_add_f32_e32 v6, v6, v9
	v_dual_add_f32 v22, v10, v6 :: v_dual_add_f32 v21, v12, v11
	v_cmp_eq_f32_e32 vcc_lo, 0x7f800000, v3
	s_delay_alu instid0(VALU_DEP_2) | instskip(NEXT) | instid1(VALU_DEP_3)
	v_sub_f32_e32 v10, v10, v22
	v_rcp_f32_e32 v9, v21
	v_sub_f32_e32 v12, v12, v21
	s_delay_alu instid0(VALU_DEP_1) | instskip(SKIP_2) | instid1(VALU_DEP_1)
	v_dual_add_f32 v6, v6, v10 :: v_dual_add_f32 v11, v11, v12
	s_waitcnt_depctr 0xfff
	v_mul_f32_e32 v23, v22, v9
	v_mul_f32_e32 v24, v21, v23
	s_delay_alu instid0(VALU_DEP_1) | instskip(NEXT) | instid1(VALU_DEP_1)
	v_fma_f32 v12, v23, v21, -v24
	v_fmac_f32_e32 v12, v23, v11
	s_delay_alu instid0(VALU_DEP_1) | instskip(NEXT) | instid1(VALU_DEP_1)
	v_add_f32_e32 v25, v24, v12
	v_sub_f32_e32 v26, v22, v25
	s_delay_alu instid0(VALU_DEP_1) | instskip(NEXT) | instid1(VALU_DEP_1)
	v_sub_f32_e32 v22, v22, v26
	v_sub_f32_e32 v22, v22, v25
	s_delay_alu instid0(VALU_DEP_1) | instskip(SKIP_1) | instid1(VALU_DEP_1)
	v_add_f32_e32 v6, v6, v22
	v_sub_f32_e32 v10, v25, v24
	v_sub_f32_e32 v10, v10, v12
	s_delay_alu instid0(VALU_DEP_1) | instskip(NEXT) | instid1(VALU_DEP_1)
	v_add_f32_e32 v6, v10, v6
	v_add_f32_e32 v10, v26, v6
	s_delay_alu instid0(VALU_DEP_1) | instskip(NEXT) | instid1(VALU_DEP_1)
	v_mul_f32_e32 v12, v9, v10
	v_dual_sub_f32 v25, v26, v10 :: v_dual_mul_f32 v22, v21, v12
	s_delay_alu instid0(VALU_DEP_1) | instskip(NEXT) | instid1(VALU_DEP_2)
	v_add_f32_e32 v6, v6, v25
	v_fma_f32 v21, v12, v21, -v22
	s_delay_alu instid0(VALU_DEP_1) | instskip(NEXT) | instid1(VALU_DEP_1)
	v_fmac_f32_e32 v21, v12, v11
	v_add_f32_e32 v11, v22, v21
	s_delay_alu instid0(VALU_DEP_1) | instskip(NEXT) | instid1(VALU_DEP_1)
	v_sub_f32_e32 v24, v10, v11
	v_sub_f32_e32 v10, v10, v24
	s_delay_alu instid0(VALU_DEP_1) | instskip(NEXT) | instid1(VALU_DEP_1)
	v_sub_f32_e32 v10, v10, v11
	v_add_f32_e32 v6, v6, v10
	v_add_f32_e32 v10, v23, v12
	v_sub_f32_e32 v22, v11, v22
	s_delay_alu instid0(VALU_DEP_1) | instskip(NEXT) | instid1(VALU_DEP_1)
	v_sub_f32_e32 v11, v22, v21
	v_dual_add_f32 v6, v11, v6 :: v_dual_sub_f32 v11, v10, v23
	s_delay_alu instid0(VALU_DEP_1) | instskip(NEXT) | instid1(VALU_DEP_1)
	v_add_f32_e32 v6, v24, v6
	v_dual_sub_f32 v11, v12, v11 :: v_dual_mul_f32 v6, v9, v6
	s_delay_alu instid0(VALU_DEP_1) | instskip(NEXT) | instid1(VALU_DEP_1)
	v_add_f32_e32 v6, v11, v6
	v_add_f32_e32 v9, v10, v6
	s_delay_alu instid0(VALU_DEP_1) | instskip(NEXT) | instid1(VALU_DEP_1)
	v_mul_f32_e32 v11, v9, v9
	v_fmaak_f32 v12, s6, v11, 0x3ecc95a3
	v_mul_f32_e32 v21, v9, v11
	v_cmp_gt_f32_e64 s6, 0x33800000, |v3|
	s_delay_alu instid0(VALU_DEP_3) | instskip(SKIP_2) | instid1(VALU_DEP_4)
	v_fmaak_f32 v11, v11, v12, 0x3f2aaada
	v_ldexp_f32 v12, v9, 1
	v_sub_f32_e32 v9, v9, v10
	s_or_b32 vcc_lo, vcc_lo, s6
	s_delay_alu instid0(VALU_DEP_3) | instskip(SKIP_1) | instid1(VALU_DEP_3)
	v_mul_f32_e32 v11, v21, v11
	v_mul_f32_e32 v21, 0x3f317218, v5
	v_sub_f32_e32 v6, v6, v9
	s_delay_alu instid0(VALU_DEP_3) | instskip(NEXT) | instid1(VALU_DEP_2)
	v_add_f32_e32 v10, v12, v11
	v_ldexp_f32 v6, v6, 1
	s_delay_alu instid0(VALU_DEP_2) | instskip(SKIP_1) | instid1(VALU_DEP_2)
	v_sub_f32_e32 v9, v10, v12
	v_fma_f32 v12, 0x3f317218, v5, -v21
	v_sub_f32_e32 v9, v11, v9
	s_delay_alu instid0(VALU_DEP_1) | instskip(NEXT) | instid1(VALU_DEP_1)
	v_dual_fmamk_f32 v5, v5, 0xb102e308, v12 :: v_dual_add_f32 v6, v6, v9
	v_add_f32_e32 v9, v21, v5
	s_delay_alu instid0(VALU_DEP_2) | instskip(NEXT) | instid1(VALU_DEP_1)
	v_add_f32_e32 v11, v10, v6
	v_add_f32_e32 v12, v9, v11
	s_delay_alu instid0(VALU_DEP_1) | instskip(SKIP_1) | instid1(VALU_DEP_2)
	v_sub_f32_e32 v22, v12, v9
	v_dual_sub_f32 v21, v9, v21 :: v_dual_sub_f32 v10, v11, v10
	v_sub_f32_e32 v23, v12, v22
	s_delay_alu instid0(VALU_DEP_1) | instskip(NEXT) | instid1(VALU_DEP_3)
	v_sub_f32_e32 v9, v9, v23
	v_dual_sub_f32 v5, v5, v21 :: v_dual_sub_f32 v6, v6, v10
	v_sub_f32_e32 v10, v11, v22
	s_delay_alu instid0(VALU_DEP_2) | instskip(NEXT) | instid1(VALU_DEP_2)
	v_add_f32_e32 v11, v5, v6
	v_add_f32_e32 v9, v10, v9
	s_delay_alu instid0(VALU_DEP_2) | instskip(NEXT) | instid1(VALU_DEP_2)
	v_sub_f32_e32 v10, v11, v5
	v_add_f32_e32 v9, v11, v9
	s_delay_alu instid0(VALU_DEP_1) | instskip(NEXT) | instid1(VALU_DEP_3)
	v_add_f32_e32 v21, v12, v9
	v_sub_f32_e32 v11, v11, v10
	s_delay_alu instid0(VALU_DEP_1) | instskip(NEXT) | instid1(VALU_DEP_1)
	v_dual_sub_f32 v5, v5, v11 :: v_dual_sub_f32 v6, v6, v10
	v_dual_sub_f32 v10, v21, v12 :: v_dual_add_f32 v5, v6, v5
	s_delay_alu instid0(VALU_DEP_1) | instskip(NEXT) | instid1(VALU_DEP_1)
	v_sub_f32_e32 v6, v9, v10
	v_add_f32_e32 v5, v5, v6
	s_delay_alu instid0(VALU_DEP_1) | instskip(NEXT) | instid1(VALU_DEP_1)
	v_add_f32_e32 v5, v21, v5
	v_cndmask_b32_e32 v3, v5, v3, vcc_lo
	s_delay_alu instid0(VALU_DEP_1)
	v_add_f32_e32 v3, v4, v3
.LBB99_139:
	s_or_b32 exec_lo, exec_lo, s5
	s_delay_alu instid0(VALU_DEP_1) | instskip(SKIP_1) | instid1(VALU_DEP_2)
	v_max_f32_e32 v4, v3, v3
	v_cmp_u_f32_e32 vcc_lo, v3, v3
	v_min_f32_e32 v5, v4, v18
	s_delay_alu instid0(VALU_DEP_1) | instskip(NEXT) | instid1(VALU_DEP_1)
	v_dual_max_f32 v4, v4, v18 :: v_dual_cndmask_b32 v5, v5, v3
	v_cndmask_b32_e32 v4, v4, v3, vcc_lo
	s_delay_alu instid0(VALU_DEP_2) | instskip(NEXT) | instid1(VALU_DEP_2)
	v_cndmask_b32_e64 v6, v5, v2, s2
	v_cndmask_b32_e64 v5, v4, v2, s2
	v_mov_b32_e32 v4, v3
	s_delay_alu instid0(VALU_DEP_3) | instskip(NEXT) | instid1(VALU_DEP_3)
	v_cmp_class_f32_e64 s2, v6, 0x1f8
	v_cmp_neq_f32_e32 vcc_lo, v6, v5
	s_delay_alu instid0(VALU_DEP_2) | instskip(NEXT) | instid1(SALU_CYCLE_1)
	s_or_b32 s5, vcc_lo, s2
	s_and_saveexec_b32 s2, s5
	s_cbranch_execz .LBB99_141
; %bb.140:
	v_sub_f32_e32 v4, v6, v5
	s_mov_b32 s5, 0x3e9b6dac
	s_delay_alu instid0(VALU_DEP_1) | instskip(SKIP_1) | instid1(VALU_DEP_2)
	v_mul_f32_e32 v6, 0x3fb8aa3b, v4
	v_cmp_ngt_f32_e32 vcc_lo, 0xc2ce8ed0, v4
	v_fma_f32 v9, 0x3fb8aa3b, v4, -v6
	v_rndne_f32_e32 v10, v6
	s_delay_alu instid0(VALU_DEP_1) | instskip(NEXT) | instid1(VALU_DEP_1)
	v_dual_fmamk_f32 v9, v4, 0x32a5705f, v9 :: v_dual_sub_f32 v6, v6, v10
	v_add_f32_e32 v6, v6, v9
	v_cvt_i32_f32_e32 v9, v10
	s_delay_alu instid0(VALU_DEP_2) | instskip(SKIP_2) | instid1(VALU_DEP_1)
	v_exp_f32_e32 v6, v6
	s_waitcnt_depctr 0xfff
	v_ldexp_f32 v6, v6, v9
	v_cndmask_b32_e32 v6, 0, v6, vcc_lo
	v_cmp_nlt_f32_e32 vcc_lo, 0x42b17218, v4
	s_delay_alu instid0(VALU_DEP_2) | instskip(NEXT) | instid1(VALU_DEP_1)
	v_cndmask_b32_e32 v4, 0x7f800000, v6, vcc_lo
	v_add_f32_e32 v6, 1.0, v4
	s_delay_alu instid0(VALU_DEP_1) | instskip(NEXT) | instid1(VALU_DEP_1)
	v_cvt_f64_f32_e32 v[9:10], v6
	v_frexp_exp_i32_f64_e32 v9, v[9:10]
	v_frexp_mant_f32_e32 v10, v6
	s_delay_alu instid0(VALU_DEP_1) | instskip(SKIP_1) | instid1(VALU_DEP_1)
	v_cmp_gt_f32_e32 vcc_lo, 0x3f2aaaab, v10
	v_add_f32_e32 v10, -1.0, v6
	v_sub_f32_e32 v12, v10, v6
	v_sub_f32_e32 v10, v4, v10
	v_subrev_co_ci_u32_e32 v9, vcc_lo, 0, v9, vcc_lo
	s_delay_alu instid0(VALU_DEP_1) | instskip(SKIP_1) | instid1(VALU_DEP_2)
	v_sub_nc_u32_e32 v11, 0, v9
	v_cvt_f32_i32_e32 v9, v9
	v_ldexp_f32 v6, v6, v11
	s_delay_alu instid0(VALU_DEP_1) | instskip(NEXT) | instid1(VALU_DEP_1)
	v_dual_add_f32 v12, 1.0, v12 :: v_dual_add_f32 v21, 1.0, v6
	v_add_f32_e32 v10, v10, v12
	s_delay_alu instid0(VALU_DEP_2) | instskip(NEXT) | instid1(VALU_DEP_2)
	v_add_f32_e32 v12, -1.0, v21
	v_ldexp_f32 v10, v10, v11
	s_delay_alu instid0(VALU_DEP_2) | instskip(NEXT) | instid1(VALU_DEP_1)
	v_dual_add_f32 v11, -1.0, v6 :: v_dual_sub_f32 v12, v6, v12
	v_add_f32_e32 v22, 1.0, v11
	s_delay_alu instid0(VALU_DEP_2) | instskip(NEXT) | instid1(VALU_DEP_2)
	v_add_f32_e32 v12, v10, v12
	v_sub_f32_e32 v6, v6, v22
	s_delay_alu instid0(VALU_DEP_2) | instskip(NEXT) | instid1(VALU_DEP_2)
	v_add_f32_e32 v22, v21, v12
	v_add_f32_e32 v6, v10, v6
	s_delay_alu instid0(VALU_DEP_2) | instskip(SKIP_1) | instid1(VALU_DEP_1)
	v_rcp_f32_e32 v10, v22
	v_sub_f32_e32 v21, v21, v22
	v_dual_add_f32 v23, v11, v6 :: v_dual_add_f32 v12, v12, v21
	s_delay_alu instid0(VALU_DEP_1) | instskip(SKIP_4) | instid1(VALU_DEP_2)
	v_sub_f32_e32 v11, v11, v23
	v_cmp_eq_f32_e32 vcc_lo, 0x7f800000, v4
	s_waitcnt_depctr 0xfff
	v_mul_f32_e32 v24, v23, v10
	v_add_f32_e32 v6, v6, v11
	v_mul_f32_e32 v25, v22, v24
	s_delay_alu instid0(VALU_DEP_1) | instskip(NEXT) | instid1(VALU_DEP_1)
	v_fma_f32 v21, v24, v22, -v25
	v_fmac_f32_e32 v21, v24, v12
	s_delay_alu instid0(VALU_DEP_1) | instskip(NEXT) | instid1(VALU_DEP_1)
	v_add_f32_e32 v26, v25, v21
	v_sub_f32_e32 v27, v23, v26
	v_sub_f32_e32 v11, v26, v25
	s_delay_alu instid0(VALU_DEP_2) | instskip(NEXT) | instid1(VALU_DEP_2)
	v_sub_f32_e32 v23, v23, v27
	v_sub_f32_e32 v11, v11, v21
	s_delay_alu instid0(VALU_DEP_2) | instskip(NEXT) | instid1(VALU_DEP_1)
	v_sub_f32_e32 v23, v23, v26
	v_add_f32_e32 v6, v6, v23
	s_delay_alu instid0(VALU_DEP_1) | instskip(NEXT) | instid1(VALU_DEP_1)
	v_add_f32_e32 v6, v11, v6
	v_add_f32_e32 v11, v27, v6
	s_delay_alu instid0(VALU_DEP_1) | instskip(NEXT) | instid1(VALU_DEP_1)
	v_mul_f32_e32 v21, v10, v11
	v_dual_sub_f32 v26, v27, v11 :: v_dual_mul_f32 v23, v22, v21
	s_delay_alu instid0(VALU_DEP_1) | instskip(NEXT) | instid1(VALU_DEP_2)
	v_add_f32_e32 v6, v6, v26
	v_fma_f32 v22, v21, v22, -v23
	s_delay_alu instid0(VALU_DEP_1) | instskip(NEXT) | instid1(VALU_DEP_1)
	v_fmac_f32_e32 v22, v21, v12
	v_add_f32_e32 v12, v23, v22
	s_delay_alu instid0(VALU_DEP_1) | instskip(SKIP_1) | instid1(VALU_DEP_2)
	v_sub_f32_e32 v25, v11, v12
	v_sub_f32_e32 v23, v12, v23
	;; [unrolled: 1-line block ×3, first 2 shown]
	s_delay_alu instid0(VALU_DEP_1) | instskip(NEXT) | instid1(VALU_DEP_3)
	v_sub_f32_e32 v11, v11, v12
	v_sub_f32_e32 v12, v23, v22
	s_delay_alu instid0(VALU_DEP_2) | instskip(NEXT) | instid1(VALU_DEP_1)
	v_dual_add_f32 v6, v6, v11 :: v_dual_add_f32 v11, v24, v21
	v_add_f32_e32 v6, v12, v6
	s_delay_alu instid0(VALU_DEP_2) | instskip(NEXT) | instid1(VALU_DEP_2)
	v_sub_f32_e32 v12, v11, v24
	v_add_f32_e32 v6, v25, v6
	s_delay_alu instid0(VALU_DEP_2) | instskip(NEXT) | instid1(VALU_DEP_2)
	v_sub_f32_e32 v12, v21, v12
	v_mul_f32_e32 v6, v10, v6
	s_delay_alu instid0(VALU_DEP_1) | instskip(NEXT) | instid1(VALU_DEP_1)
	v_add_f32_e32 v6, v12, v6
	v_add_f32_e32 v10, v11, v6
	s_delay_alu instid0(VALU_DEP_1) | instskip(NEXT) | instid1(VALU_DEP_1)
	v_mul_f32_e32 v12, v10, v10
	v_fmaak_f32 v21, s5, v12, 0x3ecc95a3
	v_mul_f32_e32 v22, v10, v12
	v_cmp_gt_f32_e64 s5, 0x33800000, |v4|
	s_delay_alu instid0(VALU_DEP_3) | instskip(SKIP_2) | instid1(VALU_DEP_4)
	v_fmaak_f32 v12, v12, v21, 0x3f2aaada
	v_ldexp_f32 v21, v10, 1
	v_sub_f32_e32 v10, v10, v11
	s_or_b32 vcc_lo, vcc_lo, s5
	s_delay_alu instid0(VALU_DEP_3) | instskip(SKIP_1) | instid1(VALU_DEP_2)
	v_mul_f32_e32 v12, v22, v12
	v_mul_f32_e32 v22, 0x3f317218, v9
	v_dual_sub_f32 v6, v6, v10 :: v_dual_add_f32 v11, v21, v12
	s_delay_alu instid0(VALU_DEP_1) | instskip(NEXT) | instid1(VALU_DEP_2)
	v_ldexp_f32 v6, v6, 1
	v_sub_f32_e32 v10, v11, v21
	s_delay_alu instid0(VALU_DEP_4) | instskip(NEXT) | instid1(VALU_DEP_1)
	v_fma_f32 v21, 0x3f317218, v9, -v22
	v_dual_sub_f32 v10, v12, v10 :: v_dual_fmamk_f32 v9, v9, 0xb102e308, v21
	s_delay_alu instid0(VALU_DEP_1) | instskip(NEXT) | instid1(VALU_DEP_2)
	v_add_f32_e32 v6, v6, v10
	v_add_f32_e32 v10, v22, v9
	s_delay_alu instid0(VALU_DEP_2) | instskip(NEXT) | instid1(VALU_DEP_2)
	v_add_f32_e32 v12, v11, v6
	v_sub_f32_e32 v22, v10, v22
	s_delay_alu instid0(VALU_DEP_2) | instskip(SKIP_1) | instid1(VALU_DEP_3)
	v_add_f32_e32 v21, v10, v12
	v_sub_f32_e32 v11, v12, v11
	v_sub_f32_e32 v9, v9, v22
	s_delay_alu instid0(VALU_DEP_2) | instskip(NEXT) | instid1(VALU_DEP_1)
	v_dual_sub_f32 v23, v21, v10 :: v_dual_sub_f32 v6, v6, v11
	v_sub_f32_e32 v24, v21, v23
	s_delay_alu instid0(VALU_DEP_2) | instskip(NEXT) | instid1(VALU_DEP_2)
	v_dual_sub_f32 v11, v12, v23 :: v_dual_add_f32 v12, v9, v6
	v_sub_f32_e32 v10, v10, v24
	s_delay_alu instid0(VALU_DEP_1) | instskip(NEXT) | instid1(VALU_DEP_1)
	v_dual_add_f32 v10, v11, v10 :: v_dual_sub_f32 v11, v12, v9
	v_add_f32_e32 v10, v12, v10
	s_delay_alu instid0(VALU_DEP_2) | instskip(SKIP_1) | instid1(VALU_DEP_3)
	v_sub_f32_e32 v12, v12, v11
	v_sub_f32_e32 v6, v6, v11
	v_add_f32_e32 v22, v21, v10
	s_delay_alu instid0(VALU_DEP_3) | instskip(NEXT) | instid1(VALU_DEP_2)
	v_sub_f32_e32 v9, v9, v12
	v_sub_f32_e32 v11, v22, v21
	s_delay_alu instid0(VALU_DEP_2) | instskip(NEXT) | instid1(VALU_DEP_2)
	v_add_f32_e32 v6, v6, v9
	v_sub_f32_e32 v9, v10, v11
	s_delay_alu instid0(VALU_DEP_1) | instskip(NEXT) | instid1(VALU_DEP_1)
	v_add_f32_e32 v6, v6, v9
	v_add_f32_e32 v6, v22, v6
	s_delay_alu instid0(VALU_DEP_1) | instskip(NEXT) | instid1(VALU_DEP_1)
	v_cndmask_b32_e32 v4, v6, v4, vcc_lo
	v_add_f32_e32 v4, v5, v4
.LBB99_141:
	s_or_b32 exec_lo, exec_lo, s2
	s_delay_alu instid0(VALU_DEP_1) | instskip(SKIP_1) | instid1(VALU_DEP_2)
	v_max_f32_e32 v5, v4, v4
	v_cmp_u_f32_e32 vcc_lo, v4, v4
	v_min_f32_e32 v6, v5, v19
	s_delay_alu instid0(VALU_DEP_1) | instskip(NEXT) | instid1(VALU_DEP_1)
	v_dual_max_f32 v5, v5, v19 :: v_dual_cndmask_b32 v6, v6, v4
	v_cndmask_b32_e32 v5, v5, v4, vcc_lo
	s_delay_alu instid0(VALU_DEP_2) | instskip(NEXT) | instid1(VALU_DEP_2)
	v_cndmask_b32_e64 v9, v6, v7, s3
	v_cndmask_b32_e64 v6, v5, v7, s3
	v_mov_b32_e32 v5, v4
	s_delay_alu instid0(VALU_DEP_3) | instskip(NEXT) | instid1(VALU_DEP_3)
	v_cmp_class_f32_e64 s2, v9, 0x1f8
	v_cmp_neq_f32_e32 vcc_lo, v9, v6
	s_delay_alu instid0(VALU_DEP_2) | instskip(NEXT) | instid1(SALU_CYCLE_1)
	s_or_b32 s3, vcc_lo, s2
	s_and_saveexec_b32 s2, s3
	s_cbranch_execz .LBB99_143
; %bb.142:
	v_sub_f32_e32 v5, v9, v6
	s_mov_b32 s3, 0x3e9b6dac
	s_delay_alu instid0(VALU_DEP_1) | instskip(SKIP_1) | instid1(VALU_DEP_2)
	v_mul_f32_e32 v9, 0x3fb8aa3b, v5
	v_cmp_ngt_f32_e32 vcc_lo, 0xc2ce8ed0, v5
	v_fma_f32 v10, 0x3fb8aa3b, v5, -v9
	v_rndne_f32_e32 v11, v9
	s_delay_alu instid0(VALU_DEP_2) | instskip(NEXT) | instid1(VALU_DEP_2)
	v_fmamk_f32 v10, v5, 0x32a5705f, v10
	v_sub_f32_e32 v9, v9, v11
	s_delay_alu instid0(VALU_DEP_1) | instskip(SKIP_1) | instid1(VALU_DEP_2)
	v_add_f32_e32 v9, v9, v10
	v_cvt_i32_f32_e32 v10, v11
	v_exp_f32_e32 v9, v9
	s_waitcnt_depctr 0xfff
	v_ldexp_f32 v9, v9, v10
	s_delay_alu instid0(VALU_DEP_1) | instskip(SKIP_1) | instid1(VALU_DEP_2)
	v_cndmask_b32_e32 v9, 0, v9, vcc_lo
	v_cmp_nlt_f32_e32 vcc_lo, 0x42b17218, v5
	v_cndmask_b32_e32 v5, 0x7f800000, v9, vcc_lo
	s_delay_alu instid0(VALU_DEP_1) | instskip(NEXT) | instid1(VALU_DEP_1)
	v_add_f32_e32 v11, 1.0, v5
	v_cvt_f64_f32_e32 v[9:10], v11
	s_delay_alu instid0(VALU_DEP_1) | instskip(SKIP_1) | instid1(VALU_DEP_1)
	v_frexp_exp_i32_f64_e32 v9, v[9:10]
	v_frexp_mant_f32_e32 v10, v11
	v_cmp_gt_f32_e32 vcc_lo, 0x3f2aaaab, v10
	v_add_f32_e32 v10, -1.0, v11
	s_delay_alu instid0(VALU_DEP_1) | instskip(NEXT) | instid1(VALU_DEP_1)
	v_dual_sub_f32 v19, v10, v11 :: v_dual_sub_f32 v10, v5, v10
	v_add_f32_e32 v19, 1.0, v19
	s_delay_alu instid0(VALU_DEP_1) | instskip(SKIP_1) | instid1(VALU_DEP_1)
	v_add_f32_e32 v10, v10, v19
	v_subrev_co_ci_u32_e32 v9, vcc_lo, 0, v9, vcc_lo
	v_sub_nc_u32_e32 v12, 0, v9
	v_cvt_f32_i32_e32 v9, v9
	s_delay_alu instid0(VALU_DEP_2) | instskip(SKIP_1) | instid1(VALU_DEP_2)
	v_ldexp_f32 v11, v11, v12
	v_ldexp_f32 v10, v10, v12
	v_add_f32_e32 v21, 1.0, v11
	v_add_f32_e32 v12, -1.0, v11
	v_cmp_eq_f32_e32 vcc_lo, 0x7f800000, v5
	s_delay_alu instid0(VALU_DEP_2) | instskip(NEXT) | instid1(VALU_DEP_1)
	v_dual_add_f32 v19, -1.0, v21 :: v_dual_add_f32 v22, 1.0, v12
	v_sub_f32_e32 v19, v11, v19
	s_delay_alu instid0(VALU_DEP_2) | instskip(NEXT) | instid1(VALU_DEP_2)
	v_sub_f32_e32 v11, v11, v22
	v_add_f32_e32 v19, v10, v19
	s_delay_alu instid0(VALU_DEP_2) | instskip(NEXT) | instid1(VALU_DEP_2)
	v_add_f32_e32 v10, v10, v11
	v_add_f32_e32 v22, v21, v19
	s_delay_alu instid0(VALU_DEP_1) | instskip(SKIP_1) | instid1(VALU_DEP_1)
	v_rcp_f32_e32 v11, v22
	v_sub_f32_e32 v21, v21, v22
	v_add_f32_e32 v19, v19, v21
	v_add_f32_e32 v23, v12, v10
	s_waitcnt_depctr 0xfff
	v_mul_f32_e32 v24, v23, v11
	s_delay_alu instid0(VALU_DEP_1) | instskip(NEXT) | instid1(VALU_DEP_1)
	v_dual_sub_f32 v12, v12, v23 :: v_dual_mul_f32 v25, v22, v24
	v_add_f32_e32 v10, v10, v12
	s_delay_alu instid0(VALU_DEP_2) | instskip(NEXT) | instid1(VALU_DEP_1)
	v_fma_f32 v21, v24, v22, -v25
	v_fmac_f32_e32 v21, v24, v19
	s_delay_alu instid0(VALU_DEP_1) | instskip(NEXT) | instid1(VALU_DEP_1)
	v_add_f32_e32 v26, v25, v21
	v_dual_sub_f32 v27, v23, v26 :: v_dual_sub_f32 v12, v26, v25
	s_delay_alu instid0(VALU_DEP_1) | instskip(NEXT) | instid1(VALU_DEP_1)
	v_dual_sub_f32 v23, v23, v27 :: v_dual_sub_f32 v12, v12, v21
	v_sub_f32_e32 v23, v23, v26
	s_delay_alu instid0(VALU_DEP_1) | instskip(NEXT) | instid1(VALU_DEP_1)
	v_add_f32_e32 v10, v10, v23
	v_add_f32_e32 v10, v12, v10
	s_delay_alu instid0(VALU_DEP_1) | instskip(NEXT) | instid1(VALU_DEP_1)
	v_add_f32_e32 v12, v27, v10
	v_mul_f32_e32 v21, v11, v12
	s_delay_alu instid0(VALU_DEP_1) | instskip(NEXT) | instid1(VALU_DEP_1)
	v_dual_sub_f32 v26, v27, v12 :: v_dual_mul_f32 v23, v22, v21
	v_add_f32_e32 v10, v10, v26
	s_delay_alu instid0(VALU_DEP_2) | instskip(NEXT) | instid1(VALU_DEP_1)
	v_fma_f32 v22, v21, v22, -v23
	v_fmac_f32_e32 v22, v21, v19
	s_delay_alu instid0(VALU_DEP_1) | instskip(NEXT) | instid1(VALU_DEP_1)
	v_add_f32_e32 v19, v23, v22
	v_sub_f32_e32 v25, v12, v19
	s_delay_alu instid0(VALU_DEP_1) | instskip(NEXT) | instid1(VALU_DEP_1)
	v_dual_sub_f32 v23, v19, v23 :: v_dual_sub_f32 v12, v12, v25
	v_dual_sub_f32 v12, v12, v19 :: v_dual_sub_f32 v19, v23, v22
	s_delay_alu instid0(VALU_DEP_1) | instskip(NEXT) | instid1(VALU_DEP_1)
	v_add_f32_e32 v10, v10, v12
	v_add_f32_e32 v10, v19, v10
	s_delay_alu instid0(VALU_DEP_1) | instskip(SKIP_1) | instid1(VALU_DEP_1)
	v_add_f32_e32 v10, v25, v10
	v_add_f32_e32 v12, v24, v21
	v_dual_mul_f32 v10, v11, v10 :: v_dual_sub_f32 v19, v12, v24
	s_delay_alu instid0(VALU_DEP_1) | instskip(NEXT) | instid1(VALU_DEP_1)
	v_sub_f32_e32 v19, v21, v19
	v_add_f32_e32 v10, v19, v10
	s_delay_alu instid0(VALU_DEP_1) | instskip(NEXT) | instid1(VALU_DEP_1)
	v_add_f32_e32 v11, v12, v10
	v_mul_f32_e32 v19, v11, v11
	s_delay_alu instid0(VALU_DEP_1) | instskip(SKIP_2) | instid1(VALU_DEP_3)
	v_fmaak_f32 v21, s3, v19, 0x3ecc95a3
	v_mul_f32_e32 v22, v11, v19
	v_cmp_gt_f32_e64 s3, 0x33800000, |v5|
	v_fmaak_f32 v19, v19, v21, 0x3f2aaada
	v_ldexp_f32 v21, v11, 1
	v_sub_f32_e32 v11, v11, v12
	s_delay_alu instid0(VALU_DEP_4) | instskip(NEXT) | instid1(VALU_DEP_3)
	s_or_b32 vcc_lo, vcc_lo, s3
	v_dual_mul_f32 v19, v22, v19 :: v_dual_mul_f32 v22, 0x3f317218, v9
	s_delay_alu instid0(VALU_DEP_2) | instskip(NEXT) | instid1(VALU_DEP_2)
	v_sub_f32_e32 v10, v10, v11
	v_add_f32_e32 v12, v21, v19
	s_delay_alu instid0(VALU_DEP_2) | instskip(NEXT) | instid1(VALU_DEP_2)
	v_ldexp_f32 v10, v10, 1
	v_sub_f32_e32 v11, v12, v21
	v_fma_f32 v21, 0x3f317218, v9, -v22
	s_delay_alu instid0(VALU_DEP_2) | instskip(NEXT) | instid1(VALU_DEP_1)
	v_sub_f32_e32 v11, v19, v11
	v_add_f32_e32 v10, v10, v11
	s_delay_alu instid0(VALU_DEP_1) | instskip(NEXT) | instid1(VALU_DEP_1)
	v_add_f32_e32 v19, v12, v10
	v_dual_fmamk_f32 v9, v9, 0xb102e308, v21 :: v_dual_sub_f32 v12, v19, v12
	s_delay_alu instid0(VALU_DEP_1) | instskip(NEXT) | instid1(VALU_DEP_1)
	v_add_f32_e32 v11, v22, v9
	v_dual_sub_f32 v10, v10, v12 :: v_dual_add_f32 v21, v11, v19
	s_delay_alu instid0(VALU_DEP_1) | instskip(NEXT) | instid1(VALU_DEP_1)
	v_sub_f32_e32 v23, v21, v11
	v_sub_f32_e32 v24, v21, v23
	;; [unrolled: 1-line block ×4, first 2 shown]
	s_delay_alu instid0(VALU_DEP_3) | instskip(NEXT) | instid1(VALU_DEP_2)
	v_sub_f32_e32 v11, v11, v24
	v_sub_f32_e32 v9, v9, v22
	s_delay_alu instid0(VALU_DEP_2) | instskip(NEXT) | instid1(VALU_DEP_2)
	v_add_f32_e32 v11, v12, v11
	v_add_f32_e32 v19, v9, v10
	s_delay_alu instid0(VALU_DEP_1) | instskip(NEXT) | instid1(VALU_DEP_3)
	v_sub_f32_e32 v12, v19, v9
	v_add_f32_e32 v11, v19, v11
	s_delay_alu instid0(VALU_DEP_1) | instskip(SKIP_1) | instid1(VALU_DEP_2)
	v_dual_sub_f32 v19, v19, v12 :: v_dual_add_f32 v22, v21, v11
	v_sub_f32_e32 v10, v10, v12
	v_dual_sub_f32 v12, v22, v21 :: v_dual_sub_f32 v9, v9, v19
	s_delay_alu instid0(VALU_DEP_1) | instskip(NEXT) | instid1(VALU_DEP_1)
	v_dual_add_f32 v9, v10, v9 :: v_dual_sub_f32 v10, v11, v12
	v_add_f32_e32 v9, v9, v10
	s_delay_alu instid0(VALU_DEP_1) | instskip(NEXT) | instid1(VALU_DEP_1)
	v_add_f32_e32 v9, v22, v9
	v_cndmask_b32_e32 v5, v9, v5, vcc_lo
	s_delay_alu instid0(VALU_DEP_1)
	v_add_f32_e32 v5, v6, v5
.LBB99_143:
	s_or_b32 exec_lo, exec_lo, s2
	s_delay_alu instid0(VALU_DEP_1) | instskip(SKIP_1) | instid1(VALU_DEP_2)
	v_max_f32_e32 v6, v5, v5
	v_cmp_u_f32_e32 vcc_lo, v5, v5
	v_min_f32_e32 v9, v6, v20
	s_delay_alu instid0(VALU_DEP_1) | instskip(NEXT) | instid1(VALU_DEP_1)
	v_dual_max_f32 v6, v6, v20 :: v_dual_cndmask_b32 v9, v9, v5
	v_cndmask_b32_e32 v6, v6, v5, vcc_lo
	s_delay_alu instid0(VALU_DEP_2) | instskip(NEXT) | instid1(VALU_DEP_2)
	v_cndmask_b32_e64 v10, v9, v8, s4
	v_cndmask_b32_e64 v9, v6, v8, s4
	v_mov_b32_e32 v6, v5
	s_delay_alu instid0(VALU_DEP_3) | instskip(NEXT) | instid1(VALU_DEP_3)
	v_cmp_class_f32_e64 s2, v10, 0x1f8
	v_cmp_neq_f32_e32 vcc_lo, v10, v9
	s_delay_alu instid0(VALU_DEP_2) | instskip(NEXT) | instid1(SALU_CYCLE_1)
	s_or_b32 s3, vcc_lo, s2
	s_and_saveexec_b32 s2, s3
	s_cbranch_execz .LBB99_145
; %bb.144:
	v_sub_f32_e32 v6, v10, v9
	s_mov_b32 s3, 0x3e9b6dac
	s_delay_alu instid0(VALU_DEP_1) | instskip(SKIP_1) | instid1(VALU_DEP_2)
	v_mul_f32_e32 v10, 0x3fb8aa3b, v6
	v_cmp_ngt_f32_e32 vcc_lo, 0xc2ce8ed0, v6
	v_fma_f32 v11, 0x3fb8aa3b, v6, -v10
	v_rndne_f32_e32 v12, v10
	s_delay_alu instid0(VALU_DEP_2) | instskip(NEXT) | instid1(VALU_DEP_2)
	v_fmamk_f32 v11, v6, 0x32a5705f, v11
	v_sub_f32_e32 v10, v10, v12
	s_delay_alu instid0(VALU_DEP_1) | instskip(SKIP_1) | instid1(VALU_DEP_2)
	v_add_f32_e32 v10, v10, v11
	v_cvt_i32_f32_e32 v11, v12
	v_exp_f32_e32 v10, v10
	s_waitcnt_depctr 0xfff
	v_ldexp_f32 v10, v10, v11
	s_delay_alu instid0(VALU_DEP_1) | instskip(SKIP_1) | instid1(VALU_DEP_2)
	v_cndmask_b32_e32 v10, 0, v10, vcc_lo
	v_cmp_nlt_f32_e32 vcc_lo, 0x42b17218, v6
	v_cndmask_b32_e32 v6, 0x7f800000, v10, vcc_lo
	s_delay_alu instid0(VALU_DEP_1) | instskip(NEXT) | instid1(VALU_DEP_1)
	v_add_f32_e32 v12, 1.0, v6
	v_cvt_f64_f32_e32 v[10:11], v12
	s_delay_alu instid0(VALU_DEP_1) | instskip(SKIP_1) | instid1(VALU_DEP_1)
	v_frexp_exp_i32_f64_e32 v10, v[10:11]
	v_frexp_mant_f32_e32 v11, v12
	v_cmp_gt_f32_e32 vcc_lo, 0x3f2aaaab, v11
	v_add_f32_e32 v11, -1.0, v12
	s_delay_alu instid0(VALU_DEP_1) | instskip(NEXT) | instid1(VALU_DEP_1)
	v_dual_sub_f32 v20, v11, v12 :: v_dual_sub_f32 v11, v6, v11
	v_add_f32_e32 v20, 1.0, v20
	s_delay_alu instid0(VALU_DEP_1) | instskip(SKIP_2) | instid1(VALU_DEP_2)
	v_add_f32_e32 v11, v11, v20
	v_subrev_co_ci_u32_e32 v10, vcc_lo, 0, v10, vcc_lo
	v_cmp_eq_f32_e32 vcc_lo, 0x7f800000, v6
	v_sub_nc_u32_e32 v19, 0, v10
	v_cvt_f32_i32_e32 v10, v10
	s_delay_alu instid0(VALU_DEP_2) | instskip(SKIP_1) | instid1(VALU_DEP_2)
	v_ldexp_f32 v12, v12, v19
	v_ldexp_f32 v11, v11, v19
	v_add_f32_e32 v21, 1.0, v12
	s_delay_alu instid0(VALU_DEP_1) | instskip(NEXT) | instid1(VALU_DEP_1)
	v_dual_add_f32 v19, -1.0, v12 :: v_dual_add_f32 v20, -1.0, v21
	v_add_f32_e32 v22, 1.0, v19
	s_delay_alu instid0(VALU_DEP_2) | instskip(NEXT) | instid1(VALU_DEP_2)
	v_sub_f32_e32 v20, v12, v20
	v_sub_f32_e32 v12, v12, v22
	s_delay_alu instid0(VALU_DEP_2) | instskip(NEXT) | instid1(VALU_DEP_2)
	v_add_f32_e32 v20, v11, v20
	v_add_f32_e32 v11, v11, v12
	s_delay_alu instid0(VALU_DEP_1) | instskip(NEXT) | instid1(VALU_DEP_1)
	v_add_f32_e32 v23, v19, v11
	v_dual_sub_f32 v19, v19, v23 :: v_dual_add_f32 v22, v21, v20
	s_delay_alu instid0(VALU_DEP_1) | instskip(NEXT) | instid1(VALU_DEP_2)
	v_add_f32_e32 v11, v11, v19
	v_rcp_f32_e32 v12, v22
	v_sub_f32_e32 v21, v21, v22
	s_delay_alu instid0(VALU_DEP_1) | instskip(SKIP_2) | instid1(VALU_DEP_1)
	v_add_f32_e32 v20, v20, v21
	s_waitcnt_depctr 0xfff
	v_mul_f32_e32 v24, v23, v12
	v_mul_f32_e32 v25, v22, v24
	s_delay_alu instid0(VALU_DEP_1) | instskip(NEXT) | instid1(VALU_DEP_1)
	v_fma_f32 v21, v24, v22, -v25
	v_fmac_f32_e32 v21, v24, v20
	s_delay_alu instid0(VALU_DEP_1) | instskip(NEXT) | instid1(VALU_DEP_1)
	v_add_f32_e32 v26, v25, v21
	v_sub_f32_e32 v27, v23, v26
	s_delay_alu instid0(VALU_DEP_1) | instskip(NEXT) | instid1(VALU_DEP_1)
	v_sub_f32_e32 v23, v23, v27
	v_sub_f32_e32 v23, v23, v26
	s_delay_alu instid0(VALU_DEP_1) | instskip(SKIP_1) | instid1(VALU_DEP_1)
	v_add_f32_e32 v11, v11, v23
	v_sub_f32_e32 v19, v26, v25
	v_sub_f32_e32 v19, v19, v21
	s_delay_alu instid0(VALU_DEP_1) | instskip(NEXT) | instid1(VALU_DEP_1)
	v_add_f32_e32 v11, v19, v11
	v_add_f32_e32 v19, v27, v11
	s_delay_alu instid0(VALU_DEP_1) | instskip(NEXT) | instid1(VALU_DEP_1)
	v_mul_f32_e32 v21, v12, v19
	v_dual_sub_f32 v26, v27, v19 :: v_dual_mul_f32 v23, v22, v21
	s_delay_alu instid0(VALU_DEP_1) | instskip(NEXT) | instid1(VALU_DEP_2)
	v_add_f32_e32 v11, v11, v26
	v_fma_f32 v22, v21, v22, -v23
	s_delay_alu instid0(VALU_DEP_1) | instskip(NEXT) | instid1(VALU_DEP_1)
	v_fmac_f32_e32 v22, v21, v20
	v_add_f32_e32 v20, v23, v22
	s_delay_alu instid0(VALU_DEP_1) | instskip(NEXT) | instid1(VALU_DEP_1)
	v_sub_f32_e32 v25, v19, v20
	v_sub_f32_e32 v19, v19, v25
	s_delay_alu instid0(VALU_DEP_1) | instskip(NEXT) | instid1(VALU_DEP_1)
	v_sub_f32_e32 v19, v19, v20
	v_add_f32_e32 v11, v11, v19
	v_add_f32_e32 v19, v24, v21
	v_sub_f32_e32 v23, v20, v23
	s_delay_alu instid0(VALU_DEP_1) | instskip(NEXT) | instid1(VALU_DEP_1)
	v_sub_f32_e32 v20, v23, v22
	v_dual_add_f32 v11, v20, v11 :: v_dual_sub_f32 v20, v19, v24
	s_delay_alu instid0(VALU_DEP_1) | instskip(NEXT) | instid1(VALU_DEP_1)
	v_add_f32_e32 v11, v25, v11
	v_dual_sub_f32 v20, v21, v20 :: v_dual_mul_f32 v11, v12, v11
	s_delay_alu instid0(VALU_DEP_1) | instskip(NEXT) | instid1(VALU_DEP_1)
	v_add_f32_e32 v11, v20, v11
	v_add_f32_e32 v12, v19, v11
	s_delay_alu instid0(VALU_DEP_1) | instskip(NEXT) | instid1(VALU_DEP_1)
	v_mul_f32_e32 v20, v12, v12
	v_fmaak_f32 v21, s3, v20, 0x3ecc95a3
	v_mul_f32_e32 v22, v12, v20
	v_cmp_gt_f32_e64 s3, 0x33800000, |v6|
	s_delay_alu instid0(VALU_DEP_3) | instskip(SKIP_1) | instid1(VALU_DEP_3)
	v_fmaak_f32 v20, v20, v21, 0x3f2aaada
	v_ldexp_f32 v21, v12, 1
	s_or_b32 vcc_lo, vcc_lo, s3
	s_delay_alu instid0(VALU_DEP_2) | instskip(SKIP_1) | instid1(VALU_DEP_2)
	v_mul_f32_e32 v20, v22, v20
	v_sub_f32_e32 v12, v12, v19
	v_dual_mul_f32 v22, 0x3f317218, v10 :: v_dual_add_f32 v19, v21, v20
	s_delay_alu instid0(VALU_DEP_2) | instskip(NEXT) | instid1(VALU_DEP_2)
	v_sub_f32_e32 v11, v11, v12
	v_sub_f32_e32 v12, v19, v21
	s_delay_alu instid0(VALU_DEP_3) | instskip(NEXT) | instid1(VALU_DEP_3)
	v_fma_f32 v21, 0x3f317218, v10, -v22
	v_ldexp_f32 v11, v11, 1
	s_delay_alu instid0(VALU_DEP_3) | instskip(NEXT) | instid1(VALU_DEP_1)
	v_sub_f32_e32 v12, v20, v12
	v_dual_fmamk_f32 v10, v10, 0xb102e308, v21 :: v_dual_add_f32 v11, v11, v12
	s_delay_alu instid0(VALU_DEP_1) | instskip(NEXT) | instid1(VALU_DEP_2)
	v_add_f32_e32 v12, v22, v10
	v_add_f32_e32 v20, v19, v11
	s_delay_alu instid0(VALU_DEP_2) | instskip(NEXT) | instid1(VALU_DEP_1)
	v_sub_f32_e32 v22, v12, v22
	v_dual_sub_f32 v10, v10, v22 :: v_dual_add_f32 v21, v12, v20
	s_delay_alu instid0(VALU_DEP_1) | instskip(SKIP_1) | instid1(VALU_DEP_2)
	v_sub_f32_e32 v23, v21, v12
	v_sub_f32_e32 v19, v20, v19
	;; [unrolled: 1-line block ×3, first 2 shown]
	s_delay_alu instid0(VALU_DEP_2) | instskip(SKIP_1) | instid1(VALU_DEP_3)
	v_sub_f32_e32 v11, v11, v19
	v_sub_f32_e32 v19, v20, v23
	;; [unrolled: 1-line block ×3, first 2 shown]
	s_delay_alu instid0(VALU_DEP_3) | instskip(NEXT) | instid1(VALU_DEP_1)
	v_add_f32_e32 v20, v10, v11
	v_dual_add_f32 v12, v19, v12 :: v_dual_sub_f32 v19, v20, v10
	s_delay_alu instid0(VALU_DEP_1) | instskip(NEXT) | instid1(VALU_DEP_1)
	v_dual_add_f32 v12, v20, v12 :: v_dual_sub_f32 v11, v11, v19
	v_add_f32_e32 v22, v21, v12
	s_delay_alu instid0(VALU_DEP_1) | instskip(NEXT) | instid1(VALU_DEP_1)
	v_dual_sub_f32 v20, v20, v19 :: v_dual_sub_f32 v19, v22, v21
	v_sub_f32_e32 v10, v10, v20
	s_delay_alu instid0(VALU_DEP_1) | instskip(NEXT) | instid1(VALU_DEP_1)
	v_dual_add_f32 v10, v11, v10 :: v_dual_sub_f32 v11, v12, v19
	v_add_f32_e32 v10, v10, v11
	s_delay_alu instid0(VALU_DEP_1) | instskip(NEXT) | instid1(VALU_DEP_1)
	v_add_f32_e32 v10, v22, v10
	v_cndmask_b32_e32 v6, v10, v6, vcc_lo
	s_delay_alu instid0(VALU_DEP_1)
	v_add_f32_e32 v6, v9, v6
.LBB99_145:
	s_or_b32 exec_lo, exec_lo, s2
	s_load_b256 s[8:15], s[0:1], 0x38
	s_branch .LBB99_224
.LBB99_146:
                                        ; implicit-def: $vgpr3_vgpr4_vgpr5_vgpr6
	s_load_b256 s[8:15], s[0:1], 0x38
	s_cbranch_execz .LBB99_224
; %bb.147:
	v_cmp_eq_u32_e64 s4, 0, v0
	s_waitcnt lgkmcnt(0)
	s_cmp_lg_u64 s[12:13], 0
	v_mov_b32_e32 v6, v4
	v_cmp_ne_u32_e32 vcc_lo, 0, v0
	v_dual_mov_b32 v5, v3 :: v_dual_mov_b32 v4, v2
	v_mov_b32_e32 v3, v1
	s_cselect_b32 s0, -1, 0
	s_delay_alu instid0(SALU_CYCLE_1) | instskip(NEXT) | instid1(SALU_CYCLE_1)
	s_and_b32 s0, s4, s0
	s_and_saveexec_b32 s1, s0
	s_cbranch_execz .LBB99_151
; %bb.148:
	v_dual_mov_b32 v3, 0 :: v_dual_max_f32 v4, v1, v1
	global_load_b32 v3, v3, s[8:9]
	s_waitcnt vmcnt(0)
	v_max_f32_e32 v5, v3, v3
	v_cmp_u_f32_e64 s0, v3, v3
	s_delay_alu instid0(VALU_DEP_2) | instskip(SKIP_1) | instid1(VALU_DEP_2)
	v_min_f32_e32 v6, v5, v4
	v_max_f32_e32 v4, v5, v4
	v_cndmask_b32_e64 v5, v6, v3, s0
	s_delay_alu instid0(VALU_DEP_2) | instskip(SKIP_1) | instid1(VALU_DEP_1)
	v_cndmask_b32_e64 v6, v4, v3, s0
	v_cmp_u_f32_e64 s0, v1, v1
	v_cndmask_b32_e64 v4, v5, v1, s0
	s_delay_alu instid0(VALU_DEP_3) | instskip(NEXT) | instid1(VALU_DEP_2)
	v_cndmask_b32_e64 v1, v6, v1, s0
	v_cmp_class_f32_e64 s2, v4, 0x1f8
	s_delay_alu instid0(VALU_DEP_2) | instskip(NEXT) | instid1(VALU_DEP_1)
	v_cmp_neq_f32_e64 s0, v4, v1
	s_or_b32 s0, s0, s2
	s_delay_alu instid0(SALU_CYCLE_1)
	s_and_saveexec_b32 s2, s0
	s_cbranch_execz .LBB99_150
; %bb.149:
	v_sub_f32_e32 v3, v4, v1
	s_delay_alu instid0(VALU_DEP_1) | instskip(SKIP_1) | instid1(VALU_DEP_2)
	v_mul_f32_e32 v4, 0x3fb8aa3b, v3
	v_cmp_ngt_f32_e64 s0, 0xc2ce8ed0, v3
	v_fma_f32 v5, 0x3fb8aa3b, v3, -v4
	v_rndne_f32_e32 v6, v4
	s_delay_alu instid0(VALU_DEP_1) | instskip(NEXT) | instid1(VALU_DEP_1)
	v_dual_fmamk_f32 v5, v3, 0x32a5705f, v5 :: v_dual_sub_f32 v4, v4, v6
	v_add_f32_e32 v4, v4, v5
	v_cvt_i32_f32_e32 v5, v6
	s_delay_alu instid0(VALU_DEP_2) | instskip(SKIP_2) | instid1(VALU_DEP_1)
	v_exp_f32_e32 v4, v4
	s_waitcnt_depctr 0xfff
	v_ldexp_f32 v4, v4, v5
	v_cndmask_b32_e64 v4, 0, v4, s0
	v_cmp_nlt_f32_e64 s0, 0x42b17218, v3
	s_delay_alu instid0(VALU_DEP_1) | instskip(NEXT) | instid1(VALU_DEP_1)
	v_cndmask_b32_e64 v5, 0x7f800000, v4, s0
	v_add_f32_e32 v6, 1.0, v5
	v_cmp_gt_f32_e64 s3, 0x33800000, |v5|
	s_delay_alu instid0(VALU_DEP_2) | instskip(NEXT) | instid1(VALU_DEP_1)
	v_cvt_f64_f32_e32 v[3:4], v6
	v_frexp_exp_i32_f64_e32 v3, v[3:4]
	v_frexp_mant_f32_e32 v4, v6
	s_delay_alu instid0(VALU_DEP_1) | instskip(SKIP_1) | instid1(VALU_DEP_1)
	v_cmp_gt_f32_e64 s0, 0x3f2aaaab, v4
	v_add_f32_e32 v4, -1.0, v6
	v_sub_f32_e32 v10, v4, v6
	v_sub_f32_e32 v4, v5, v4
	s_delay_alu instid0(VALU_DEP_2) | instskip(NEXT) | instid1(VALU_DEP_1)
	v_add_f32_e32 v10, 1.0, v10
	v_add_f32_e32 v4, v4, v10
	v_subrev_co_ci_u32_e64 v3, s0, 0, v3, s0
	s_mov_b32 s0, 0x3e9b6dac
	s_delay_alu instid0(VALU_DEP_1) | instskip(SKIP_1) | instid1(VALU_DEP_2)
	v_sub_nc_u32_e32 v9, 0, v3
	v_cvt_f32_i32_e32 v3, v3
	v_ldexp_f32 v6, v6, v9
	v_ldexp_f32 v4, v4, v9
	s_delay_alu instid0(VALU_DEP_2) | instskip(NEXT) | instid1(VALU_DEP_1)
	v_add_f32_e32 v11, 1.0, v6
	v_dual_add_f32 v9, -1.0, v6 :: v_dual_add_f32 v10, -1.0, v11
	s_delay_alu instid0(VALU_DEP_1) | instskip(NEXT) | instid1(VALU_DEP_2)
	v_add_f32_e32 v12, 1.0, v9
	v_sub_f32_e32 v10, v6, v10
	s_delay_alu instid0(VALU_DEP_2) | instskip(NEXT) | instid1(VALU_DEP_2)
	v_sub_f32_e32 v6, v6, v12
	v_add_f32_e32 v10, v4, v10
	s_delay_alu instid0(VALU_DEP_2) | instskip(NEXT) | instid1(VALU_DEP_1)
	v_add_f32_e32 v4, v4, v6
	v_dual_add_f32 v12, v11, v10 :: v_dual_add_f32 v19, v9, v4
	s_delay_alu instid0(VALU_DEP_1) | instskip(SKIP_1) | instid1(VALU_DEP_2)
	v_rcp_f32_e32 v6, v12
	v_sub_f32_e32 v11, v11, v12
	v_sub_f32_e32 v9, v9, v19
	s_delay_alu instid0(VALU_DEP_2) | instskip(NEXT) | instid1(VALU_DEP_2)
	v_add_f32_e32 v10, v10, v11
	v_add_f32_e32 v4, v4, v9
	s_waitcnt_depctr 0xfff
	v_mul_f32_e32 v20, v19, v6
	s_delay_alu instid0(VALU_DEP_1) | instskip(NEXT) | instid1(VALU_DEP_1)
	v_mul_f32_e32 v21, v12, v20
	v_fma_f32 v11, v20, v12, -v21
	s_delay_alu instid0(VALU_DEP_1) | instskip(NEXT) | instid1(VALU_DEP_1)
	v_fmac_f32_e32 v11, v20, v10
	v_add_f32_e32 v22, v21, v11
	s_delay_alu instid0(VALU_DEP_1) | instskip(SKIP_1) | instid1(VALU_DEP_2)
	v_sub_f32_e32 v23, v19, v22
	v_sub_f32_e32 v9, v22, v21
	;; [unrolled: 1-line block ×3, first 2 shown]
	s_delay_alu instid0(VALU_DEP_2) | instskip(NEXT) | instid1(VALU_DEP_2)
	v_sub_f32_e32 v9, v9, v11
	v_sub_f32_e32 v19, v19, v22
	s_delay_alu instid0(VALU_DEP_1) | instskip(NEXT) | instid1(VALU_DEP_1)
	v_add_f32_e32 v4, v4, v19
	v_add_f32_e32 v4, v9, v4
	s_delay_alu instid0(VALU_DEP_1) | instskip(NEXT) | instid1(VALU_DEP_1)
	v_add_f32_e32 v9, v23, v4
	v_mul_f32_e32 v11, v6, v9
	s_delay_alu instid0(VALU_DEP_1) | instskip(NEXT) | instid1(VALU_DEP_1)
	v_dual_sub_f32 v22, v23, v9 :: v_dual_mul_f32 v19, v12, v11
	v_fma_f32 v12, v11, v12, -v19
	s_delay_alu instid0(VALU_DEP_1) | instskip(NEXT) | instid1(VALU_DEP_1)
	v_fmac_f32_e32 v12, v11, v10
	v_add_f32_e32 v10, v19, v12
	s_delay_alu instid0(VALU_DEP_1) | instskip(SKIP_1) | instid1(VALU_DEP_2)
	v_sub_f32_e32 v21, v9, v10
	v_dual_sub_f32 v19, v10, v19 :: v_dual_add_f32 v4, v4, v22
	v_sub_f32_e32 v9, v9, v21
	s_delay_alu instid0(VALU_DEP_1) | instskip(NEXT) | instid1(VALU_DEP_1)
	v_sub_f32_e32 v9, v9, v10
	v_add_f32_e32 v4, v4, v9
	s_delay_alu instid0(VALU_DEP_4) | instskip(NEXT) | instid1(VALU_DEP_1)
	v_dual_add_f32 v9, v20, v11 :: v_dual_sub_f32 v10, v19, v12
	v_add_f32_e32 v4, v10, v4
	s_delay_alu instid0(VALU_DEP_2) | instskip(NEXT) | instid1(VALU_DEP_2)
	v_sub_f32_e32 v10, v9, v20
	v_add_f32_e32 v4, v21, v4
	s_delay_alu instid0(VALU_DEP_2) | instskip(NEXT) | instid1(VALU_DEP_2)
	v_sub_f32_e32 v10, v11, v10
	v_mul_f32_e32 v4, v6, v4
	s_delay_alu instid0(VALU_DEP_1) | instskip(NEXT) | instid1(VALU_DEP_1)
	v_add_f32_e32 v4, v10, v4
	v_add_f32_e32 v6, v9, v4
	s_delay_alu instid0(VALU_DEP_1) | instskip(NEXT) | instid1(VALU_DEP_1)
	v_mul_f32_e32 v10, v6, v6
	v_fmaak_f32 v11, s0, v10, 0x3ecc95a3
	v_mul_f32_e32 v12, v6, v10
	v_cmp_eq_f32_e64 s0, 0x7f800000, v5
	s_delay_alu instid0(VALU_DEP_3) | instskip(SKIP_2) | instid1(VALU_DEP_4)
	v_fmaak_f32 v10, v10, v11, 0x3f2aaada
	v_ldexp_f32 v11, v6, 1
	v_sub_f32_e32 v6, v6, v9
	s_or_b32 s0, s0, s3
	s_delay_alu instid0(VALU_DEP_3) | instskip(SKIP_1) | instid1(VALU_DEP_3)
	v_mul_f32_e32 v10, v12, v10
	v_mul_f32_e32 v12, 0x3f317218, v3
	v_sub_f32_e32 v4, v4, v6
	s_delay_alu instid0(VALU_DEP_3) | instskip(NEXT) | instid1(VALU_DEP_2)
	v_add_f32_e32 v9, v11, v10
	v_ldexp_f32 v4, v4, 1
	s_delay_alu instid0(VALU_DEP_2) | instskip(SKIP_1) | instid1(VALU_DEP_1)
	v_sub_f32_e32 v6, v9, v11
	v_fma_f32 v11, 0x3f317218, v3, -v12
	v_dual_sub_f32 v6, v10, v6 :: v_dual_fmamk_f32 v3, v3, 0xb102e308, v11
	s_delay_alu instid0(VALU_DEP_1) | instskip(NEXT) | instid1(VALU_DEP_2)
	v_add_f32_e32 v4, v4, v6
	v_add_f32_e32 v6, v12, v3
	s_delay_alu instid0(VALU_DEP_2) | instskip(NEXT) | instid1(VALU_DEP_2)
	v_add_f32_e32 v10, v9, v4
	v_sub_f32_e32 v12, v6, v12
	s_delay_alu instid0(VALU_DEP_2) | instskip(SKIP_1) | instid1(VALU_DEP_3)
	v_add_f32_e32 v11, v6, v10
	v_sub_f32_e32 v9, v10, v9
	v_sub_f32_e32 v3, v3, v12
	s_delay_alu instid0(VALU_DEP_2) | instskip(NEXT) | instid1(VALU_DEP_1)
	v_dual_sub_f32 v19, v11, v6 :: v_dual_sub_f32 v4, v4, v9
	v_sub_f32_e32 v20, v11, v19
	s_delay_alu instid0(VALU_DEP_2) | instskip(NEXT) | instid1(VALU_DEP_2)
	v_dual_sub_f32 v9, v10, v19 :: v_dual_add_f32 v10, v3, v4
	v_sub_f32_e32 v6, v6, v20
	s_delay_alu instid0(VALU_DEP_1) | instskip(NEXT) | instid1(VALU_DEP_1)
	v_dual_add_f32 v6, v9, v6 :: v_dual_sub_f32 v9, v10, v3
	v_add_f32_e32 v6, v10, v6
	s_delay_alu instid0(VALU_DEP_2) | instskip(SKIP_1) | instid1(VALU_DEP_3)
	v_sub_f32_e32 v10, v10, v9
	v_sub_f32_e32 v4, v4, v9
	v_add_f32_e32 v12, v11, v6
	s_delay_alu instid0(VALU_DEP_3) | instskip(NEXT) | instid1(VALU_DEP_2)
	v_sub_f32_e32 v3, v3, v10
	v_sub_f32_e32 v9, v12, v11
	s_delay_alu instid0(VALU_DEP_1) | instskip(NEXT) | instid1(VALU_DEP_1)
	v_dual_add_f32 v3, v4, v3 :: v_dual_sub_f32 v4, v6, v9
	v_add_f32_e32 v3, v3, v4
	s_delay_alu instid0(VALU_DEP_1) | instskip(NEXT) | instid1(VALU_DEP_1)
	v_add_f32_e32 v3, v12, v3
	v_cndmask_b32_e64 v3, v3, v5, s0
	s_delay_alu instid0(VALU_DEP_1)
	v_add_f32_e32 v3, v1, v3
.LBB99_150:
	s_or_b32 exec_lo, exec_lo, s2
	s_delay_alu instid0(VALU_DEP_1)
	v_mov_b32_e32 v1, v3
.LBB99_151:
	s_or_b32 exec_lo, exec_lo, s1
	s_delay_alu instid0(VALU_DEP_1) | instskip(SKIP_2) | instid1(VALU_DEP_3)
	v_max_f32_e32 v19, v1, v1
	v_cmp_u_f32_e64 s3, v1, v1
	v_cmp_u_f32_e64 s0, v2, v2
	v_min_f32_e32 v11, v19, v18
	v_max_f32_e32 v12, v19, v18
	s_delay_alu instid0(VALU_DEP_2) | instskip(NEXT) | instid1(VALU_DEP_2)
	v_cndmask_b32_e64 v4, v11, v1, s3
	v_cndmask_b32_e64 v5, v12, v1, s3
	s_delay_alu instid0(VALU_DEP_2) | instskip(SKIP_1) | instid1(VALU_DEP_3)
	v_cndmask_b32_e64 v6, v4, v2, s0
	v_mov_b32_e32 v4, v1
	v_cndmask_b32_e64 v5, v5, v2, s0
	s_delay_alu instid0(VALU_DEP_3) | instskip(NEXT) | instid1(VALU_DEP_2)
	v_cmp_class_f32_e64 s2, v6, 0x1f8
	v_cmp_neq_f32_e64 s1, v6, v5
	s_delay_alu instid0(VALU_DEP_1) | instskip(NEXT) | instid1(SALU_CYCLE_1)
	s_or_b32 s1, s1, s2
	s_and_saveexec_b32 s2, s1
	s_cbranch_execz .LBB99_153
; %bb.152:
	v_sub_f32_e32 v4, v6, v5
	s_delay_alu instid0(VALU_DEP_1) | instskip(SKIP_1) | instid1(VALU_DEP_2)
	v_mul_f32_e32 v6, 0x3fb8aa3b, v4
	v_cmp_ngt_f32_e64 s1, 0xc2ce8ed0, v4
	v_fma_f32 v9, 0x3fb8aa3b, v4, -v6
	v_rndne_f32_e32 v10, v6
	s_delay_alu instid0(VALU_DEP_1) | instskip(NEXT) | instid1(VALU_DEP_1)
	v_dual_fmamk_f32 v9, v4, 0x32a5705f, v9 :: v_dual_sub_f32 v6, v6, v10
	v_add_f32_e32 v6, v6, v9
	v_cvt_i32_f32_e32 v9, v10
	s_delay_alu instid0(VALU_DEP_2) | instskip(SKIP_2) | instid1(VALU_DEP_1)
	v_exp_f32_e32 v6, v6
	s_waitcnt_depctr 0xfff
	v_ldexp_f32 v6, v6, v9
	v_cndmask_b32_e64 v6, 0, v6, s1
	v_cmp_nlt_f32_e64 s1, 0x42b17218, v4
	s_delay_alu instid0(VALU_DEP_1) | instskip(NEXT) | instid1(VALU_DEP_1)
	v_cndmask_b32_e64 v4, 0x7f800000, v6, s1
	v_add_f32_e32 v6, 1.0, v4
	v_cmp_gt_f32_e64 s5, 0x33800000, |v4|
	s_delay_alu instid0(VALU_DEP_2) | instskip(NEXT) | instid1(VALU_DEP_1)
	v_cvt_f64_f32_e32 v[9:10], v6
	v_frexp_exp_i32_f64_e32 v9, v[9:10]
	v_frexp_mant_f32_e32 v10, v6
	s_delay_alu instid0(VALU_DEP_1) | instskip(SKIP_1) | instid1(VALU_DEP_1)
	v_cmp_gt_f32_e64 s1, 0x3f2aaaab, v10
	v_add_f32_e32 v10, -1.0, v6
	v_sub_f32_e32 v21, v10, v6
	s_delay_alu instid0(VALU_DEP_1) | instskip(NEXT) | instid1(VALU_DEP_4)
	v_add_f32_e32 v21, 1.0, v21
	v_subrev_co_ci_u32_e64 v9, s1, 0, v9, s1
	s_mov_b32 s1, 0x3e9b6dac
	s_delay_alu instid0(VALU_DEP_1) | instskip(SKIP_1) | instid1(VALU_DEP_2)
	v_sub_nc_u32_e32 v20, 0, v9
	v_cvt_f32_i32_e32 v9, v9
	v_ldexp_f32 v6, v6, v20
	s_delay_alu instid0(VALU_DEP_1) | instskip(SKIP_1) | instid1(VALU_DEP_1)
	v_add_f32_e32 v22, 1.0, v6
	v_sub_f32_e32 v10, v4, v10
	v_dual_add_f32 v10, v10, v21 :: v_dual_add_f32 v21, -1.0, v22
	s_delay_alu instid0(VALU_DEP_1) | instskip(NEXT) | instid1(VALU_DEP_2)
	v_ldexp_f32 v10, v10, v20
	v_dual_add_f32 v20, -1.0, v6 :: v_dual_sub_f32 v21, v6, v21
	s_delay_alu instid0(VALU_DEP_1) | instskip(NEXT) | instid1(VALU_DEP_2)
	v_add_f32_e32 v23, 1.0, v20
	v_add_f32_e32 v21, v10, v21
	s_delay_alu instid0(VALU_DEP_2) | instskip(NEXT) | instid1(VALU_DEP_2)
	v_sub_f32_e32 v6, v6, v23
	v_add_f32_e32 v23, v22, v21
	s_delay_alu instid0(VALU_DEP_2) | instskip(NEXT) | instid1(VALU_DEP_2)
	v_add_f32_e32 v6, v10, v6
	v_rcp_f32_e32 v10, v23
	s_delay_alu instid0(VALU_DEP_1) | instskip(NEXT) | instid1(VALU_DEP_1)
	v_add_f32_e32 v24, v20, v6
	v_sub_f32_e32 v20, v20, v24
	s_waitcnt_depctr 0xfff
	v_dual_mul_f32 v25, v24, v10 :: v_dual_sub_f32 v22, v22, v23
	v_add_f32_e32 v6, v6, v20
	s_delay_alu instid0(VALU_DEP_2) | instskip(NEXT) | instid1(VALU_DEP_1)
	v_dual_mul_f32 v26, v23, v25 :: v_dual_add_f32 v21, v21, v22
	v_fma_f32 v22, v25, v23, -v26
	s_delay_alu instid0(VALU_DEP_1) | instskip(NEXT) | instid1(VALU_DEP_1)
	v_fmac_f32_e32 v22, v25, v21
	v_add_f32_e32 v27, v26, v22
	s_delay_alu instid0(VALU_DEP_1) | instskip(SKIP_1) | instid1(VALU_DEP_2)
	v_sub_f32_e32 v28, v24, v27
	v_sub_f32_e32 v20, v27, v26
	;; [unrolled: 1-line block ×3, first 2 shown]
	s_delay_alu instid0(VALU_DEP_2) | instskip(NEXT) | instid1(VALU_DEP_2)
	v_sub_f32_e32 v20, v20, v22
	v_sub_f32_e32 v24, v24, v27
	s_delay_alu instid0(VALU_DEP_1) | instskip(NEXT) | instid1(VALU_DEP_1)
	v_add_f32_e32 v6, v6, v24
	v_add_f32_e32 v6, v20, v6
	s_delay_alu instid0(VALU_DEP_1) | instskip(NEXT) | instid1(VALU_DEP_1)
	v_add_f32_e32 v20, v28, v6
	v_mul_f32_e32 v22, v10, v20
	s_delay_alu instid0(VALU_DEP_1) | instskip(NEXT) | instid1(VALU_DEP_1)
	v_dual_sub_f32 v27, v28, v20 :: v_dual_mul_f32 v24, v23, v22
	v_add_f32_e32 v6, v6, v27
	s_delay_alu instid0(VALU_DEP_2) | instskip(NEXT) | instid1(VALU_DEP_1)
	v_fma_f32 v23, v22, v23, -v24
	v_fmac_f32_e32 v23, v22, v21
	s_delay_alu instid0(VALU_DEP_1) | instskip(NEXT) | instid1(VALU_DEP_1)
	v_add_f32_e32 v21, v24, v23
	v_sub_f32_e32 v26, v20, v21
	v_sub_f32_e32 v24, v21, v24
	s_delay_alu instid0(VALU_DEP_2) | instskip(NEXT) | instid1(VALU_DEP_1)
	v_sub_f32_e32 v20, v20, v26
	v_sub_f32_e32 v20, v20, v21
	s_delay_alu instid0(VALU_DEP_1) | instskip(SKIP_1) | instid1(VALU_DEP_1)
	v_dual_sub_f32 v21, v24, v23 :: v_dual_add_f32 v6, v6, v20
	v_add_f32_e32 v20, v25, v22
	v_dual_add_f32 v6, v21, v6 :: v_dual_sub_f32 v21, v20, v25
	s_delay_alu instid0(VALU_DEP_1) | instskip(NEXT) | instid1(VALU_DEP_2)
	v_add_f32_e32 v6, v26, v6
	v_sub_f32_e32 v21, v22, v21
	s_delay_alu instid0(VALU_DEP_2) | instskip(NEXT) | instid1(VALU_DEP_1)
	v_mul_f32_e32 v6, v10, v6
	v_add_f32_e32 v6, v21, v6
	s_delay_alu instid0(VALU_DEP_1) | instskip(NEXT) | instid1(VALU_DEP_1)
	v_add_f32_e32 v10, v20, v6
	v_mul_f32_e32 v21, v10, v10
	s_delay_alu instid0(VALU_DEP_1) | instskip(SKIP_2) | instid1(VALU_DEP_3)
	v_fmaak_f32 v22, s1, v21, 0x3ecc95a3
	v_mul_f32_e32 v23, v10, v21
	v_cmp_eq_f32_e64 s1, 0x7f800000, v4
	v_fmaak_f32 v21, v21, v22, 0x3f2aaada
	v_ldexp_f32 v22, v10, 1
	v_sub_f32_e32 v10, v10, v20
	s_delay_alu instid0(VALU_DEP_4) | instskip(NEXT) | instid1(VALU_DEP_3)
	s_or_b32 s1, s1, s5
	v_mul_f32_e32 v21, v23, v21
	s_delay_alu instid0(VALU_DEP_2) | instskip(NEXT) | instid1(VALU_DEP_2)
	v_dual_mul_f32 v23, 0x3f317218, v9 :: v_dual_sub_f32 v6, v6, v10
	v_add_f32_e32 v20, v22, v21
	s_delay_alu instid0(VALU_DEP_2) | instskip(NEXT) | instid1(VALU_DEP_2)
	v_ldexp_f32 v6, v6, 1
	v_sub_f32_e32 v10, v20, v22
	s_delay_alu instid0(VALU_DEP_4) | instskip(NEXT) | instid1(VALU_DEP_2)
	v_fma_f32 v22, 0x3f317218, v9, -v23
	v_sub_f32_e32 v10, v21, v10
	s_delay_alu instid0(VALU_DEP_1) | instskip(NEXT) | instid1(VALU_DEP_1)
	v_dual_fmamk_f32 v9, v9, 0xb102e308, v22 :: v_dual_add_f32 v6, v6, v10
	v_dual_add_f32 v10, v23, v9 :: v_dual_add_f32 v21, v20, v6
	s_delay_alu instid0(VALU_DEP_1) | instskip(NEXT) | instid1(VALU_DEP_2)
	v_sub_f32_e32 v23, v10, v23
	v_add_f32_e32 v22, v10, v21
	v_sub_f32_e32 v20, v21, v20
	s_delay_alu instid0(VALU_DEP_2) | instskip(NEXT) | instid1(VALU_DEP_2)
	v_dual_sub_f32 v9, v9, v23 :: v_dual_sub_f32 v24, v22, v10
	v_sub_f32_e32 v6, v6, v20
	s_delay_alu instid0(VALU_DEP_2) | instskip(SKIP_1) | instid1(VALU_DEP_2)
	v_sub_f32_e32 v25, v22, v24
	v_sub_f32_e32 v20, v21, v24
	v_dual_add_f32 v21, v9, v6 :: v_dual_sub_f32 v10, v10, v25
	s_delay_alu instid0(VALU_DEP_1) | instskip(NEXT) | instid1(VALU_DEP_2)
	v_add_f32_e32 v10, v20, v10
	v_sub_f32_e32 v20, v21, v9
	s_delay_alu instid0(VALU_DEP_2) | instskip(NEXT) | instid1(VALU_DEP_2)
	v_add_f32_e32 v10, v21, v10
	v_sub_f32_e32 v21, v21, v20
	v_sub_f32_e32 v6, v6, v20
	s_delay_alu instid0(VALU_DEP_3) | instskip(NEXT) | instid1(VALU_DEP_1)
	v_add_f32_e32 v23, v22, v10
	v_dual_sub_f32 v9, v9, v21 :: v_dual_sub_f32 v20, v23, v22
	s_delay_alu instid0(VALU_DEP_1) | instskip(NEXT) | instid1(VALU_DEP_2)
	v_add_f32_e32 v6, v6, v9
	v_sub_f32_e32 v9, v10, v20
	s_delay_alu instid0(VALU_DEP_1) | instskip(NEXT) | instid1(VALU_DEP_1)
	v_add_f32_e32 v6, v6, v9
	v_add_f32_e32 v6, v23, v6
	s_delay_alu instid0(VALU_DEP_1) | instskip(NEXT) | instid1(VALU_DEP_1)
	v_cndmask_b32_e64 v4, v6, v4, s1
	v_add_f32_e32 v4, v5, v4
.LBB99_153:
	s_or_b32 exec_lo, exec_lo, s2
	v_max_f32_e32 v9, v7, v7
	s_delay_alu instid0(VALU_DEP_2) | instskip(SKIP_1) | instid1(VALU_DEP_2)
	v_max_f32_e32 v5, v4, v4
	v_cmp_u_f32_e64 s1, v4, v4
	v_min_f32_e32 v6, v5, v9
	v_max_f32_e32 v5, v5, v9
	s_delay_alu instid0(VALU_DEP_2) | instskip(NEXT) | instid1(VALU_DEP_2)
	v_cndmask_b32_e64 v6, v6, v4, s1
	v_cndmask_b32_e64 v5, v5, v4, s1
	v_cmp_u_f32_e64 s1, v7, v7
	s_delay_alu instid0(VALU_DEP_1) | instskip(NEXT) | instid1(VALU_DEP_3)
	v_cndmask_b32_e64 v6, v6, v7, s1
	v_cndmask_b32_e64 v5, v5, v7, s1
	s_delay_alu instid0(VALU_DEP_2) | instskip(NEXT) | instid1(VALU_DEP_2)
	v_cmp_class_f32_e64 s5, v6, 0x1f8
	v_cmp_neq_f32_e64 s2, v6, v5
	s_delay_alu instid0(VALU_DEP_1) | instskip(NEXT) | instid1(SALU_CYCLE_1)
	s_or_b32 s2, s2, s5
	s_and_saveexec_b32 s5, s2
	s_cbranch_execz .LBB99_155
; %bb.154:
	v_sub_f32_e32 v4, v6, v5
	s_delay_alu instid0(VALU_DEP_1) | instskip(SKIP_1) | instid1(VALU_DEP_2)
	v_mul_f32_e32 v6, 0x3fb8aa3b, v4
	v_cmp_ngt_f32_e64 s2, 0xc2ce8ed0, v4
	v_fma_f32 v10, 0x3fb8aa3b, v4, -v6
	v_rndne_f32_e32 v20, v6
	s_delay_alu instid0(VALU_DEP_2) | instskip(NEXT) | instid1(VALU_DEP_2)
	v_fmamk_f32 v10, v4, 0x32a5705f, v10
	v_sub_f32_e32 v6, v6, v20
	s_delay_alu instid0(VALU_DEP_1) | instskip(SKIP_1) | instid1(VALU_DEP_2)
	v_add_f32_e32 v6, v6, v10
	v_cvt_i32_f32_e32 v10, v20
	v_exp_f32_e32 v6, v6
	s_waitcnt_depctr 0xfff
	v_ldexp_f32 v6, v6, v10
	s_delay_alu instid0(VALU_DEP_1) | instskip(SKIP_1) | instid1(VALU_DEP_1)
	v_cndmask_b32_e64 v6, 0, v6, s2
	v_cmp_nlt_f32_e64 s2, 0x42b17218, v4
	v_cndmask_b32_e64 v4, 0x7f800000, v6, s2
	s_delay_alu instid0(VALU_DEP_1) | instskip(SKIP_1) | instid1(VALU_DEP_2)
	v_add_f32_e32 v6, 1.0, v4
	v_cmp_gt_f32_e64 s6, 0x33800000, |v4|
	v_cvt_f64_f32_e32 v[20:21], v6
	s_delay_alu instid0(VALU_DEP_1) | instskip(SKIP_1) | instid1(VALU_DEP_1)
	v_frexp_exp_i32_f64_e32 v10, v[20:21]
	v_frexp_mant_f32_e32 v20, v6
	v_cmp_gt_f32_e64 s2, 0x3f2aaaab, v20
	v_add_f32_e32 v20, -1.0, v6
	s_delay_alu instid0(VALU_DEP_1) | instskip(SKIP_1) | instid1(VALU_DEP_2)
	v_sub_f32_e32 v22, v20, v6
	v_sub_f32_e32 v20, v4, v20
	v_add_f32_e32 v22, 1.0, v22
	s_delay_alu instid0(VALU_DEP_1) | instskip(SKIP_2) | instid1(VALU_DEP_1)
	v_add_f32_e32 v20, v20, v22
	v_subrev_co_ci_u32_e64 v10, s2, 0, v10, s2
	s_mov_b32 s2, 0x3e9b6dac
	v_sub_nc_u32_e32 v21, 0, v10
	v_cvt_f32_i32_e32 v10, v10
	s_delay_alu instid0(VALU_DEP_2) | instskip(SKIP_1) | instid1(VALU_DEP_2)
	v_ldexp_f32 v6, v6, v21
	v_ldexp_f32 v20, v20, v21
	v_add_f32_e32 v23, 1.0, v6
	s_delay_alu instid0(VALU_DEP_1) | instskip(NEXT) | instid1(VALU_DEP_1)
	v_dual_add_f32 v21, -1.0, v6 :: v_dual_add_f32 v22, -1.0, v23
	v_add_f32_e32 v24, 1.0, v21
	s_delay_alu instid0(VALU_DEP_2) | instskip(NEXT) | instid1(VALU_DEP_2)
	v_sub_f32_e32 v22, v6, v22
	v_sub_f32_e32 v6, v6, v24
	s_delay_alu instid0(VALU_DEP_2) | instskip(NEXT) | instid1(VALU_DEP_2)
	v_add_f32_e32 v22, v20, v22
	v_add_f32_e32 v6, v20, v6
	s_delay_alu instid0(VALU_DEP_2) | instskip(NEXT) | instid1(VALU_DEP_2)
	v_add_f32_e32 v24, v23, v22
	v_add_f32_e32 v25, v21, v6
	s_delay_alu instid0(VALU_DEP_2) | instskip(SKIP_1) | instid1(VALU_DEP_1)
	v_rcp_f32_e32 v20, v24
	v_sub_f32_e32 v23, v23, v24
	v_dual_sub_f32 v21, v21, v25 :: v_dual_add_f32 v22, v22, v23
	s_delay_alu instid0(VALU_DEP_1) | instskip(SKIP_2) | instid1(VALU_DEP_1)
	v_add_f32_e32 v6, v6, v21
	s_waitcnt_depctr 0xfff
	v_mul_f32_e32 v26, v25, v20
	v_mul_f32_e32 v27, v24, v26
	s_delay_alu instid0(VALU_DEP_1) | instskip(NEXT) | instid1(VALU_DEP_1)
	v_fma_f32 v23, v26, v24, -v27
	v_fmac_f32_e32 v23, v26, v22
	s_delay_alu instid0(VALU_DEP_1) | instskip(NEXT) | instid1(VALU_DEP_1)
	v_add_f32_e32 v28, v27, v23
	v_sub_f32_e32 v29, v25, v28
	v_sub_f32_e32 v21, v28, v27
	s_delay_alu instid0(VALU_DEP_2) | instskip(NEXT) | instid1(VALU_DEP_2)
	v_sub_f32_e32 v25, v25, v29
	v_sub_f32_e32 v21, v21, v23
	s_delay_alu instid0(VALU_DEP_2) | instskip(NEXT) | instid1(VALU_DEP_1)
	v_sub_f32_e32 v25, v25, v28
	v_add_f32_e32 v6, v6, v25
	s_delay_alu instid0(VALU_DEP_1) | instskip(NEXT) | instid1(VALU_DEP_1)
	v_add_f32_e32 v6, v21, v6
	v_add_f32_e32 v21, v29, v6
	s_delay_alu instid0(VALU_DEP_1) | instskip(NEXT) | instid1(VALU_DEP_1)
	v_mul_f32_e32 v23, v20, v21
	v_dual_sub_f32 v28, v29, v21 :: v_dual_mul_f32 v25, v24, v23
	s_delay_alu instid0(VALU_DEP_1) | instskip(NEXT) | instid1(VALU_DEP_2)
	v_add_f32_e32 v6, v6, v28
	v_fma_f32 v24, v23, v24, -v25
	s_delay_alu instid0(VALU_DEP_1) | instskip(NEXT) | instid1(VALU_DEP_1)
	v_fmac_f32_e32 v24, v23, v22
	v_add_f32_e32 v22, v25, v24
	s_delay_alu instid0(VALU_DEP_1) | instskip(SKIP_1) | instid1(VALU_DEP_2)
	v_sub_f32_e32 v27, v21, v22
	v_sub_f32_e32 v25, v22, v25
	;; [unrolled: 1-line block ×3, first 2 shown]
	s_delay_alu instid0(VALU_DEP_1) | instskip(NEXT) | instid1(VALU_DEP_3)
	v_sub_f32_e32 v21, v21, v22
	v_sub_f32_e32 v22, v25, v24
	s_delay_alu instid0(VALU_DEP_2) | instskip(SKIP_1) | instid1(VALU_DEP_2)
	v_add_f32_e32 v6, v6, v21
	v_add_f32_e32 v21, v26, v23
	;; [unrolled: 1-line block ×3, first 2 shown]
	s_delay_alu instid0(VALU_DEP_2) | instskip(NEXT) | instid1(VALU_DEP_2)
	v_sub_f32_e32 v22, v21, v26
	v_add_f32_e32 v6, v27, v6
	s_delay_alu instid0(VALU_DEP_2) | instskip(NEXT) | instid1(VALU_DEP_2)
	v_sub_f32_e32 v22, v23, v22
	v_mul_f32_e32 v6, v20, v6
	s_delay_alu instid0(VALU_DEP_1) | instskip(NEXT) | instid1(VALU_DEP_1)
	v_add_f32_e32 v6, v22, v6
	v_add_f32_e32 v20, v21, v6
	s_delay_alu instid0(VALU_DEP_1) | instskip(NEXT) | instid1(VALU_DEP_1)
	v_mul_f32_e32 v22, v20, v20
	v_fmaak_f32 v23, s2, v22, 0x3ecc95a3
	v_mul_f32_e32 v24, v20, v22
	v_cmp_eq_f32_e64 s2, 0x7f800000, v4
	s_delay_alu instid0(VALU_DEP_3) | instskip(SKIP_2) | instid1(VALU_DEP_4)
	v_fmaak_f32 v22, v22, v23, 0x3f2aaada
	v_ldexp_f32 v23, v20, 1
	v_sub_f32_e32 v20, v20, v21
	s_or_b32 s2, s2, s6
	s_delay_alu instid0(VALU_DEP_3) | instskip(SKIP_1) | instid1(VALU_DEP_2)
	v_mul_f32_e32 v22, v24, v22
	v_mul_f32_e32 v24, 0x3f317218, v10
	v_dual_sub_f32 v6, v6, v20 :: v_dual_add_f32 v21, v23, v22
	s_delay_alu instid0(VALU_DEP_1) | instskip(NEXT) | instid1(VALU_DEP_2)
	v_ldexp_f32 v6, v6, 1
	v_sub_f32_e32 v20, v21, v23
	s_delay_alu instid0(VALU_DEP_4) | instskip(NEXT) | instid1(VALU_DEP_2)
	v_fma_f32 v23, 0x3f317218, v10, -v24
	v_sub_f32_e32 v20, v22, v20
	s_delay_alu instid0(VALU_DEP_2) | instskip(NEXT) | instid1(VALU_DEP_2)
	v_fmamk_f32 v10, v10, 0xb102e308, v23
	v_add_f32_e32 v6, v6, v20
	s_delay_alu instid0(VALU_DEP_2) | instskip(NEXT) | instid1(VALU_DEP_2)
	v_add_f32_e32 v20, v24, v10
	v_add_f32_e32 v22, v21, v6
	s_delay_alu instid0(VALU_DEP_2) | instskip(NEXT) | instid1(VALU_DEP_2)
	v_sub_f32_e32 v24, v20, v24
	v_add_f32_e32 v23, v20, v22
	v_sub_f32_e32 v21, v22, v21
	s_delay_alu instid0(VALU_DEP_3) | instskip(NEXT) | instid1(VALU_DEP_2)
	v_sub_f32_e32 v10, v10, v24
	v_dual_sub_f32 v25, v23, v20 :: v_dual_sub_f32 v6, v6, v21
	s_delay_alu instid0(VALU_DEP_1) | instskip(SKIP_1) | instid1(VALU_DEP_3)
	v_sub_f32_e32 v26, v23, v25
	v_sub_f32_e32 v21, v22, v25
	v_add_f32_e32 v22, v10, v6
	s_delay_alu instid0(VALU_DEP_3) | instskip(NEXT) | instid1(VALU_DEP_1)
	v_sub_f32_e32 v20, v20, v26
	v_dual_add_f32 v20, v21, v20 :: v_dual_sub_f32 v21, v22, v10
	s_delay_alu instid0(VALU_DEP_1) | instskip(NEXT) | instid1(VALU_DEP_2)
	v_add_f32_e32 v20, v22, v20
	v_sub_f32_e32 v22, v22, v21
	v_sub_f32_e32 v6, v6, v21
	s_delay_alu instid0(VALU_DEP_3) | instskip(NEXT) | instid1(VALU_DEP_1)
	v_add_f32_e32 v24, v23, v20
	v_dual_sub_f32 v10, v10, v22 :: v_dual_sub_f32 v21, v24, v23
	s_delay_alu instid0(VALU_DEP_1) | instskip(NEXT) | instid1(VALU_DEP_2)
	v_add_f32_e32 v6, v6, v10
	v_sub_f32_e32 v10, v20, v21
	s_delay_alu instid0(VALU_DEP_1) | instskip(NEXT) | instid1(VALU_DEP_1)
	v_add_f32_e32 v6, v6, v10
	v_add_f32_e32 v6, v24, v6
	s_delay_alu instid0(VALU_DEP_1) | instskip(NEXT) | instid1(VALU_DEP_1)
	v_cndmask_b32_e64 v4, v6, v4, s2
	v_add_f32_e32 v4, v5, v4
.LBB99_155:
	s_or_b32 exec_lo, exec_lo, s5
	v_max_f32_e32 v10, v8, v8
	s_delay_alu instid0(VALU_DEP_2) | instskip(SKIP_1) | instid1(VALU_DEP_2)
	v_max_f32_e32 v5, v4, v4
	v_cmp_u_f32_e64 s2, v4, v4
	v_min_f32_e32 v6, v5, v10
	v_max_f32_e32 v5, v5, v10
	s_delay_alu instid0(VALU_DEP_2) | instskip(NEXT) | instid1(VALU_DEP_2)
	v_cndmask_b32_e64 v6, v6, v4, s2
	v_cndmask_b32_e64 v5, v5, v4, s2
	v_cmp_u_f32_e64 s2, v8, v8
	s_delay_alu instid0(VALU_DEP_1) | instskip(NEXT) | instid1(VALU_DEP_3)
	v_cndmask_b32_e64 v6, v6, v8, s2
	v_cndmask_b32_e64 v5, v5, v8, s2
	s_delay_alu instid0(VALU_DEP_2) | instskip(NEXT) | instid1(VALU_DEP_2)
	v_cmp_class_f32_e64 s6, v6, 0x1f8
	v_cmp_neq_f32_e64 s5, v6, v5
	s_delay_alu instid0(VALU_DEP_1) | instskip(NEXT) | instid1(SALU_CYCLE_1)
	s_or_b32 s5, s5, s6
	s_and_saveexec_b32 s6, s5
	s_cbranch_execz .LBB99_157
; %bb.156:
	v_sub_f32_e32 v4, v6, v5
	s_delay_alu instid0(VALU_DEP_1) | instskip(SKIP_1) | instid1(VALU_DEP_2)
	v_mul_f32_e32 v6, 0x3fb8aa3b, v4
	v_cmp_ngt_f32_e64 s5, 0xc2ce8ed0, v4
	v_fma_f32 v20, 0x3fb8aa3b, v4, -v6
	v_rndne_f32_e32 v21, v6
	s_delay_alu instid0(VALU_DEP_2) | instskip(NEXT) | instid1(VALU_DEP_2)
	v_fmamk_f32 v20, v4, 0x32a5705f, v20
	v_sub_f32_e32 v6, v6, v21
	s_delay_alu instid0(VALU_DEP_1) | instskip(SKIP_1) | instid1(VALU_DEP_2)
	v_add_f32_e32 v6, v6, v20
	v_cvt_i32_f32_e32 v20, v21
	v_exp_f32_e32 v6, v6
	s_waitcnt_depctr 0xfff
	v_ldexp_f32 v6, v6, v20
	s_delay_alu instid0(VALU_DEP_1) | instskip(SKIP_1) | instid1(VALU_DEP_1)
	v_cndmask_b32_e64 v6, 0, v6, s5
	v_cmp_nlt_f32_e64 s5, 0x42b17218, v4
	v_cndmask_b32_e64 v4, 0x7f800000, v6, s5
	s_delay_alu instid0(VALU_DEP_1) | instskip(SKIP_1) | instid1(VALU_DEP_2)
	v_add_f32_e32 v6, 1.0, v4
	v_cmp_gt_f32_e64 s7, 0x33800000, |v4|
	v_cvt_f64_f32_e32 v[20:21], v6
	s_delay_alu instid0(VALU_DEP_1) | instskip(SKIP_1) | instid1(VALU_DEP_1)
	v_frexp_exp_i32_f64_e32 v20, v[20:21]
	v_frexp_mant_f32_e32 v21, v6
	v_cmp_gt_f32_e64 s5, 0x3f2aaaab, v21
	v_add_f32_e32 v21, -1.0, v6
	s_delay_alu instid0(VALU_DEP_1) | instskip(SKIP_1) | instid1(VALU_DEP_2)
	v_sub_f32_e32 v23, v21, v6
	v_sub_f32_e32 v21, v4, v21
	v_add_f32_e32 v23, 1.0, v23
	s_delay_alu instid0(VALU_DEP_1) | instskip(SKIP_2) | instid1(VALU_DEP_1)
	v_add_f32_e32 v21, v21, v23
	v_subrev_co_ci_u32_e64 v20, s5, 0, v20, s5
	s_mov_b32 s5, 0x3e9b6dac
	v_sub_nc_u32_e32 v22, 0, v20
	v_cvt_f32_i32_e32 v20, v20
	s_delay_alu instid0(VALU_DEP_2) | instskip(SKIP_1) | instid1(VALU_DEP_2)
	v_ldexp_f32 v6, v6, v22
	v_ldexp_f32 v21, v21, v22
	v_add_f32_e32 v24, 1.0, v6
	s_delay_alu instid0(VALU_DEP_1) | instskip(NEXT) | instid1(VALU_DEP_1)
	v_dual_add_f32 v22, -1.0, v6 :: v_dual_add_f32 v23, -1.0, v24
	v_add_f32_e32 v25, 1.0, v22
	s_delay_alu instid0(VALU_DEP_2) | instskip(NEXT) | instid1(VALU_DEP_1)
	v_sub_f32_e32 v23, v6, v23
	v_dual_sub_f32 v6, v6, v25 :: v_dual_add_f32 v23, v21, v23
	s_delay_alu instid0(VALU_DEP_1) | instskip(NEXT) | instid1(VALU_DEP_1)
	v_dual_add_f32 v6, v21, v6 :: v_dual_add_f32 v25, v24, v23
	v_rcp_f32_e32 v21, v25
	v_sub_f32_e32 v24, v24, v25
	s_delay_alu instid0(VALU_DEP_1) | instskip(NEXT) | instid1(VALU_DEP_1)
	v_dual_add_f32 v26, v22, v6 :: v_dual_add_f32 v23, v23, v24
	v_sub_f32_e32 v22, v22, v26
	s_waitcnt_depctr 0xfff
	v_mul_f32_e32 v27, v26, v21
	v_add_f32_e32 v6, v6, v22
	s_delay_alu instid0(VALU_DEP_2) | instskip(NEXT) | instid1(VALU_DEP_1)
	v_mul_f32_e32 v28, v25, v27
	v_fma_f32 v24, v27, v25, -v28
	s_delay_alu instid0(VALU_DEP_1) | instskip(NEXT) | instid1(VALU_DEP_1)
	v_fmac_f32_e32 v24, v27, v23
	v_add_f32_e32 v29, v28, v24
	s_delay_alu instid0(VALU_DEP_1) | instskip(SKIP_1) | instid1(VALU_DEP_2)
	v_sub_f32_e32 v30, v26, v29
	v_sub_f32_e32 v22, v29, v28
	;; [unrolled: 1-line block ×3, first 2 shown]
	s_delay_alu instid0(VALU_DEP_2) | instskip(NEXT) | instid1(VALU_DEP_2)
	v_sub_f32_e32 v22, v22, v24
	v_sub_f32_e32 v26, v26, v29
	s_delay_alu instid0(VALU_DEP_1) | instskip(NEXT) | instid1(VALU_DEP_1)
	v_add_f32_e32 v6, v6, v26
	v_add_f32_e32 v6, v22, v6
	s_delay_alu instid0(VALU_DEP_1) | instskip(NEXT) | instid1(VALU_DEP_1)
	v_add_f32_e32 v22, v30, v6
	v_mul_f32_e32 v24, v21, v22
	s_delay_alu instid0(VALU_DEP_1) | instskip(NEXT) | instid1(VALU_DEP_1)
	v_mul_f32_e32 v26, v25, v24
	v_fma_f32 v25, v24, v25, -v26
	s_delay_alu instid0(VALU_DEP_1) | instskip(SKIP_1) | instid1(VALU_DEP_2)
	v_fmac_f32_e32 v25, v24, v23
	v_sub_f32_e32 v29, v30, v22
	v_add_f32_e32 v23, v26, v25
	s_delay_alu instid0(VALU_DEP_2) | instskip(NEXT) | instid1(VALU_DEP_2)
	v_add_f32_e32 v6, v6, v29
	v_sub_f32_e32 v28, v22, v23
	v_sub_f32_e32 v26, v23, v26
	s_delay_alu instid0(VALU_DEP_2) | instskip(NEXT) | instid1(VALU_DEP_1)
	v_sub_f32_e32 v22, v22, v28
	v_sub_f32_e32 v22, v22, v23
	s_delay_alu instid0(VALU_DEP_3) | instskip(NEXT) | instid1(VALU_DEP_2)
	v_sub_f32_e32 v23, v26, v25
	v_add_f32_e32 v6, v6, v22
	v_add_f32_e32 v22, v27, v24
	s_delay_alu instid0(VALU_DEP_1) | instskip(NEXT) | instid1(VALU_DEP_1)
	v_dual_add_f32 v6, v23, v6 :: v_dual_sub_f32 v23, v22, v27
	v_add_f32_e32 v6, v28, v6
	s_delay_alu instid0(VALU_DEP_1) | instskip(NEXT) | instid1(VALU_DEP_1)
	v_dual_sub_f32 v23, v24, v23 :: v_dual_mul_f32 v6, v21, v6
	v_add_f32_e32 v6, v23, v6
	s_delay_alu instid0(VALU_DEP_1) | instskip(NEXT) | instid1(VALU_DEP_1)
	v_add_f32_e32 v21, v22, v6
	v_mul_f32_e32 v23, v21, v21
	s_delay_alu instid0(VALU_DEP_1) | instskip(SKIP_2) | instid1(VALU_DEP_3)
	v_fmaak_f32 v24, s5, v23, 0x3ecc95a3
	v_mul_f32_e32 v25, v21, v23
	v_cmp_eq_f32_e64 s5, 0x7f800000, v4
	v_fmaak_f32 v23, v23, v24, 0x3f2aaada
	v_ldexp_f32 v24, v21, 1
	v_sub_f32_e32 v21, v21, v22
	s_delay_alu instid0(VALU_DEP_4) | instskip(NEXT) | instid1(VALU_DEP_3)
	s_or_b32 s5, s5, s7
	v_mul_f32_e32 v23, v25, v23
	s_delay_alu instid0(VALU_DEP_2) | instskip(NEXT) | instid1(VALU_DEP_2)
	v_dual_mul_f32 v25, 0x3f317218, v20 :: v_dual_sub_f32 v6, v6, v21
	v_add_f32_e32 v22, v24, v23
	s_delay_alu instid0(VALU_DEP_2) | instskip(NEXT) | instid1(VALU_DEP_2)
	v_ldexp_f32 v6, v6, 1
	v_sub_f32_e32 v21, v22, v24
	s_delay_alu instid0(VALU_DEP_4) | instskip(NEXT) | instid1(VALU_DEP_1)
	v_fma_f32 v24, 0x3f317218, v20, -v25
	v_dual_sub_f32 v21, v23, v21 :: v_dual_fmamk_f32 v20, v20, 0xb102e308, v24
	s_delay_alu instid0(VALU_DEP_1) | instskip(NEXT) | instid1(VALU_DEP_1)
	v_dual_add_f32 v6, v6, v21 :: v_dual_add_f32 v21, v25, v20
	v_add_f32_e32 v23, v22, v6
	s_delay_alu instid0(VALU_DEP_2) | instskip(NEXT) | instid1(VALU_DEP_2)
	v_sub_f32_e32 v25, v21, v25
	v_add_f32_e32 v24, v21, v23
	v_sub_f32_e32 v22, v23, v22
	s_delay_alu instid0(VALU_DEP_3) | instskip(NEXT) | instid1(VALU_DEP_3)
	v_sub_f32_e32 v20, v20, v25
	v_sub_f32_e32 v26, v24, v21
	s_delay_alu instid0(VALU_DEP_3) | instskip(NEXT) | instid1(VALU_DEP_2)
	v_sub_f32_e32 v6, v6, v22
	v_sub_f32_e32 v27, v24, v26
	v_sub_f32_e32 v22, v23, v26
	s_delay_alu instid0(VALU_DEP_3) | instskip(NEXT) | instid1(VALU_DEP_3)
	v_add_f32_e32 v23, v20, v6
	v_sub_f32_e32 v21, v21, v27
	s_delay_alu instid0(VALU_DEP_1) | instskip(NEXT) | instid1(VALU_DEP_1)
	v_dual_add_f32 v21, v22, v21 :: v_dual_sub_f32 v22, v23, v20
	v_add_f32_e32 v21, v23, v21
	s_delay_alu instid0(VALU_DEP_2) | instskip(NEXT) | instid1(VALU_DEP_2)
	v_sub_f32_e32 v23, v23, v22
	v_dual_sub_f32 v6, v6, v22 :: v_dual_add_f32 v25, v24, v21
	s_delay_alu instid0(VALU_DEP_2) | instskip(NEXT) | instid1(VALU_DEP_2)
	v_sub_f32_e32 v20, v20, v23
	v_sub_f32_e32 v22, v25, v24
	s_delay_alu instid0(VALU_DEP_2) | instskip(NEXT) | instid1(VALU_DEP_2)
	v_add_f32_e32 v6, v6, v20
	v_sub_f32_e32 v20, v21, v22
	s_delay_alu instid0(VALU_DEP_1) | instskip(NEXT) | instid1(VALU_DEP_1)
	v_add_f32_e32 v6, v6, v20
	v_add_f32_e32 v6, v25, v6
	s_delay_alu instid0(VALU_DEP_1) | instskip(NEXT) | instid1(VALU_DEP_1)
	v_cndmask_b32_e64 v4, v6, v4, s5
	v_add_f32_e32 v4, v5, v4
.LBB99_157:
	s_or_b32 exec_lo, exec_lo, s6
	v_lshrrev_b32_e32 v5, 5, v0
	s_mov_b32 s7, exec_lo
	s_delay_alu instid0(VALU_DEP_1)
	v_add_lshl_u32 v5, v5, v0, 2
	ds_store_b32 v5, v4
	s_waitcnt lgkmcnt(0)
	s_barrier
	buffer_gl0_inv
	v_cmpx_gt_u32_e32 32, v0
	s_cbranch_execz .LBB99_209
; %bb.158:
	v_and_b32_e32 v5, 0xfc, v0
	s_delay_alu instid0(VALU_DEP_1)
	v_lshl_or_b32 v20, v0, 5, v5
	ds_load_2addr_b32 v[5:6], v20 offset1:1
	s_waitcnt lgkmcnt(0)
	v_dual_max_f32 v22, v6, v6 :: v_dual_max_f32 v21, v5, v5
	v_cmp_u_f32_e64 s5, v5, v5
	v_cmp_u_f32_e64 s6, v6, v6
	s_delay_alu instid0(VALU_DEP_3) | instskip(SKIP_1) | instid1(VALU_DEP_2)
	v_min_f32_e32 v23, v21, v22
	v_max_f32_e32 v22, v21, v22
	v_cndmask_b32_e64 v23, v23, v5, s5
	s_delay_alu instid0(VALU_DEP_2) | instskip(NEXT) | instid1(VALU_DEP_2)
	v_cndmask_b32_e64 v24, v22, v5, s5
	v_cndmask_b32_e64 v22, v23, v6, s6
	s_delay_alu instid0(VALU_DEP_2) | instskip(SKIP_1) | instid1(VALU_DEP_3)
	v_cndmask_b32_e64 v6, v24, v6, s6
	v_mov_b32_e32 v23, v5
	v_cmp_class_f32_e64 s8, v22, 0x1f8
	s_delay_alu instid0(VALU_DEP_3) | instskip(NEXT) | instid1(VALU_DEP_1)
	v_cmp_neq_f32_e64 s6, v22, v6
	s_or_b32 s6, s6, s8
	s_delay_alu instid0(SALU_CYCLE_1)
	s_and_saveexec_b32 s8, s6
	s_cbranch_execz .LBB99_160
; %bb.159:
	v_sub_f32_e32 v22, v22, v6
	s_delay_alu instid0(VALU_DEP_1) | instskip(NEXT) | instid1(VALU_DEP_1)
	v_mul_f32_e32 v23, 0x3fb8aa3b, v22
	v_fma_f32 v24, 0x3fb8aa3b, v22, -v23
	v_rndne_f32_e32 v25, v23
	s_delay_alu instid0(VALU_DEP_1) | instskip(SKIP_1) | instid1(VALU_DEP_2)
	v_dual_sub_f32 v23, v23, v25 :: v_dual_fmamk_f32 v24, v22, 0x32a5705f, v24
	v_cmp_ngt_f32_e64 s6, 0xc2ce8ed0, v22
	v_add_f32_e32 v23, v23, v24
	v_cvt_i32_f32_e32 v24, v25
	s_delay_alu instid0(VALU_DEP_2) | instskip(SKIP_2) | instid1(VALU_DEP_1)
	v_exp_f32_e32 v23, v23
	s_waitcnt_depctr 0xfff
	v_ldexp_f32 v23, v23, v24
	v_cndmask_b32_e64 v23, 0, v23, s6
	v_cmp_nlt_f32_e64 s6, 0x42b17218, v22
	s_delay_alu instid0(VALU_DEP_1) | instskip(NEXT) | instid1(VALU_DEP_1)
	v_cndmask_b32_e64 v24, 0x7f800000, v23, s6
	v_add_f32_e32 v25, 1.0, v24
	v_cmp_gt_f32_e64 s9, 0x33800000, |v24|
	s_delay_alu instid0(VALU_DEP_2) | instskip(NEXT) | instid1(VALU_DEP_1)
	v_cvt_f64_f32_e32 v[22:23], v25
	v_frexp_exp_i32_f64_e32 v22, v[22:23]
	v_frexp_mant_f32_e32 v23, v25
	s_delay_alu instid0(VALU_DEP_1) | instskip(SKIP_1) | instid1(VALU_DEP_1)
	v_cmp_gt_f32_e64 s6, 0x3f2aaaab, v23
	v_add_f32_e32 v23, -1.0, v25
	v_sub_f32_e32 v27, v23, v25
	v_sub_f32_e32 v23, v24, v23
	s_delay_alu instid0(VALU_DEP_4) | instskip(SKIP_1) | instid1(VALU_DEP_1)
	v_subrev_co_ci_u32_e64 v22, s6, 0, v22, s6
	s_mov_b32 s6, 0x3e9b6dac
	v_sub_nc_u32_e32 v26, 0, v22
	v_cvt_f32_i32_e32 v22, v22
	s_delay_alu instid0(VALU_DEP_2) | instskip(NEXT) | instid1(VALU_DEP_1)
	v_ldexp_f32 v25, v25, v26
	v_dual_add_f32 v28, 1.0, v25 :: v_dual_add_f32 v27, 1.0, v27
	s_delay_alu instid0(VALU_DEP_1) | instskip(NEXT) | instid1(VALU_DEP_2)
	v_add_f32_e32 v23, v23, v27
	v_add_f32_e32 v27, -1.0, v28
	s_delay_alu instid0(VALU_DEP_2) | instskip(NEXT) | instid1(VALU_DEP_2)
	v_ldexp_f32 v23, v23, v26
	v_dual_add_f32 v26, -1.0, v25 :: v_dual_sub_f32 v27, v25, v27
	s_delay_alu instid0(VALU_DEP_1) | instskip(NEXT) | instid1(VALU_DEP_2)
	v_add_f32_e32 v29, 1.0, v26
	v_add_f32_e32 v27, v23, v27
	s_delay_alu instid0(VALU_DEP_2) | instskip(NEXT) | instid1(VALU_DEP_2)
	v_sub_f32_e32 v25, v25, v29
	v_add_f32_e32 v29, v28, v27
	s_delay_alu instid0(VALU_DEP_2) | instskip(NEXT) | instid1(VALU_DEP_2)
	v_add_f32_e32 v23, v23, v25
	v_rcp_f32_e32 v25, v29
	v_sub_f32_e32 v28, v28, v29
	s_delay_alu instid0(VALU_DEP_1) | instskip(NEXT) | instid1(VALU_DEP_1)
	v_dual_add_f32 v30, v26, v23 :: v_dual_add_f32 v27, v27, v28
	v_sub_f32_e32 v26, v26, v30
	s_waitcnt_depctr 0xfff
	v_mul_f32_e32 v31, v30, v25
	s_delay_alu instid0(VALU_DEP_1) | instskip(NEXT) | instid1(VALU_DEP_1)
	v_dual_add_f32 v23, v23, v26 :: v_dual_mul_f32 v32, v29, v31
	v_fma_f32 v28, v31, v29, -v32
	s_delay_alu instid0(VALU_DEP_1) | instskip(NEXT) | instid1(VALU_DEP_1)
	v_fmac_f32_e32 v28, v31, v27
	v_add_f32_e32 v33, v32, v28
	s_delay_alu instid0(VALU_DEP_1) | instskip(SKIP_1) | instid1(VALU_DEP_2)
	v_sub_f32_e32 v34, v30, v33
	v_sub_f32_e32 v26, v33, v32
	;; [unrolled: 1-line block ×3, first 2 shown]
	s_delay_alu instid0(VALU_DEP_2) | instskip(NEXT) | instid1(VALU_DEP_2)
	v_sub_f32_e32 v26, v26, v28
	v_sub_f32_e32 v30, v30, v33
	s_delay_alu instid0(VALU_DEP_1) | instskip(NEXT) | instid1(VALU_DEP_1)
	v_add_f32_e32 v23, v23, v30
	v_add_f32_e32 v23, v26, v23
	s_delay_alu instid0(VALU_DEP_1) | instskip(NEXT) | instid1(VALU_DEP_1)
	v_add_f32_e32 v26, v34, v23
	v_mul_f32_e32 v28, v25, v26
	s_delay_alu instid0(VALU_DEP_1) | instskip(NEXT) | instid1(VALU_DEP_1)
	v_dual_sub_f32 v33, v34, v26 :: v_dual_mul_f32 v30, v29, v28
	v_add_f32_e32 v23, v23, v33
	s_delay_alu instid0(VALU_DEP_2) | instskip(NEXT) | instid1(VALU_DEP_1)
	v_fma_f32 v29, v28, v29, -v30
	v_fmac_f32_e32 v29, v28, v27
	s_delay_alu instid0(VALU_DEP_1) | instskip(NEXT) | instid1(VALU_DEP_1)
	v_add_f32_e32 v27, v30, v29
	v_sub_f32_e32 v32, v26, v27
	v_sub_f32_e32 v30, v27, v30
	s_delay_alu instid0(VALU_DEP_2) | instskip(NEXT) | instid1(VALU_DEP_1)
	v_sub_f32_e32 v26, v26, v32
	v_sub_f32_e32 v26, v26, v27
	s_delay_alu instid0(VALU_DEP_3) | instskip(NEXT) | instid1(VALU_DEP_2)
	v_sub_f32_e32 v27, v30, v29
	v_add_f32_e32 v23, v23, v26
	v_add_f32_e32 v26, v31, v28
	s_delay_alu instid0(VALU_DEP_2) | instskip(NEXT) | instid1(VALU_DEP_2)
	v_add_f32_e32 v23, v27, v23
	v_sub_f32_e32 v27, v26, v31
	s_delay_alu instid0(VALU_DEP_2) | instskip(NEXT) | instid1(VALU_DEP_2)
	v_add_f32_e32 v23, v32, v23
	v_sub_f32_e32 v27, v28, v27
	s_delay_alu instid0(VALU_DEP_2) | instskip(NEXT) | instid1(VALU_DEP_1)
	v_mul_f32_e32 v23, v25, v23
	v_add_f32_e32 v23, v27, v23
	s_delay_alu instid0(VALU_DEP_1) | instskip(NEXT) | instid1(VALU_DEP_1)
	v_add_f32_e32 v25, v26, v23
	v_mul_f32_e32 v27, v25, v25
	s_delay_alu instid0(VALU_DEP_1) | instskip(SKIP_2) | instid1(VALU_DEP_3)
	v_fmaak_f32 v28, s6, v27, 0x3ecc95a3
	v_mul_f32_e32 v29, v25, v27
	v_cmp_eq_f32_e64 s6, 0x7f800000, v24
	v_fmaak_f32 v27, v27, v28, 0x3f2aaada
	v_ldexp_f32 v28, v25, 1
	v_sub_f32_e32 v25, v25, v26
	s_delay_alu instid0(VALU_DEP_4) | instskip(NEXT) | instid1(VALU_DEP_3)
	s_or_b32 s6, s6, s9
	v_mul_f32_e32 v27, v29, v27
	v_mul_f32_e32 v29, 0x3f317218, v22
	s_delay_alu instid0(VALU_DEP_2) | instskip(NEXT) | instid1(VALU_DEP_1)
	v_dual_sub_f32 v23, v23, v25 :: v_dual_add_f32 v26, v28, v27
	v_ldexp_f32 v23, v23, 1
	s_delay_alu instid0(VALU_DEP_2) | instskip(NEXT) | instid1(VALU_DEP_4)
	v_sub_f32_e32 v25, v26, v28
	v_fma_f32 v28, 0x3f317218, v22, -v29
	s_delay_alu instid0(VALU_DEP_1) | instskip(NEXT) | instid1(VALU_DEP_1)
	v_dual_sub_f32 v25, v27, v25 :: v_dual_fmamk_f32 v22, v22, 0xb102e308, v28
	v_add_f32_e32 v23, v23, v25
	s_delay_alu instid0(VALU_DEP_2) | instskip(NEXT) | instid1(VALU_DEP_2)
	v_add_f32_e32 v25, v29, v22
	v_add_f32_e32 v27, v26, v23
	s_delay_alu instid0(VALU_DEP_2) | instskip(NEXT) | instid1(VALU_DEP_2)
	v_sub_f32_e32 v29, v25, v29
	v_add_f32_e32 v28, v25, v27
	v_sub_f32_e32 v26, v27, v26
	s_delay_alu instid0(VALU_DEP_3) | instskip(NEXT) | instid1(VALU_DEP_2)
	v_sub_f32_e32 v22, v22, v29
	v_dual_sub_f32 v30, v28, v25 :: v_dual_sub_f32 v23, v23, v26
	s_delay_alu instid0(VALU_DEP_1) | instskip(NEXT) | instid1(VALU_DEP_2)
	v_sub_f32_e32 v31, v28, v30
	v_dual_sub_f32 v26, v27, v30 :: v_dual_add_f32 v27, v22, v23
	s_delay_alu instid0(VALU_DEP_2) | instskip(NEXT) | instid1(VALU_DEP_1)
	v_sub_f32_e32 v25, v25, v31
	v_dual_add_f32 v25, v26, v25 :: v_dual_sub_f32 v26, v27, v22
	s_delay_alu instid0(VALU_DEP_1) | instskip(NEXT) | instid1(VALU_DEP_2)
	v_add_f32_e32 v25, v27, v25
	v_sub_f32_e32 v27, v27, v26
	v_sub_f32_e32 v23, v23, v26
	s_delay_alu instid0(VALU_DEP_2) | instskip(NEXT) | instid1(VALU_DEP_1)
	v_dual_add_f32 v29, v28, v25 :: v_dual_sub_f32 v22, v22, v27
	v_sub_f32_e32 v26, v29, v28
	s_delay_alu instid0(VALU_DEP_2) | instskip(NEXT) | instid1(VALU_DEP_2)
	v_add_f32_e32 v22, v23, v22
	v_sub_f32_e32 v23, v25, v26
	s_delay_alu instid0(VALU_DEP_1) | instskip(NEXT) | instid1(VALU_DEP_1)
	v_add_f32_e32 v22, v22, v23
	v_add_f32_e32 v22, v29, v22
	s_delay_alu instid0(VALU_DEP_1) | instskip(NEXT) | instid1(VALU_DEP_1)
	v_cndmask_b32_e64 v22, v22, v24, s6
	v_add_f32_e32 v23, v6, v22
.LBB99_160:
	s_or_b32 exec_lo, exec_lo, s8
	ds_load_b32 v6, v20 offset:8
	v_max_f32_e32 v22, v23, v23
	v_cmp_u_f32_e64 s6, v23, v23
	s_waitcnt lgkmcnt(0)
	v_max_f32_e32 v24, v6, v6
	s_delay_alu instid0(VALU_DEP_1) | instskip(SKIP_1) | instid1(VALU_DEP_2)
	v_min_f32_e32 v25, v22, v24
	v_max_f32_e32 v22, v22, v24
	v_cndmask_b32_e64 v24, v25, v23, s6
	s_delay_alu instid0(VALU_DEP_2) | instskip(SKIP_1) | instid1(VALU_DEP_1)
	v_cndmask_b32_e64 v25, v22, v23, s6
	v_cmp_u_f32_e64 s6, v6, v6
	v_cndmask_b32_e64 v22, v24, v6, s6
	s_delay_alu instid0(VALU_DEP_3) | instskip(NEXT) | instid1(VALU_DEP_2)
	v_cndmask_b32_e64 v6, v25, v6, s6
	v_cmp_class_f32_e64 s8, v22, 0x1f8
	s_delay_alu instid0(VALU_DEP_2) | instskip(NEXT) | instid1(VALU_DEP_1)
	v_cmp_neq_f32_e64 s6, v22, v6
	s_or_b32 s6, s6, s8
	s_delay_alu instid0(SALU_CYCLE_1)
	s_and_saveexec_b32 s8, s6
	s_cbranch_execz .LBB99_162
; %bb.161:
	v_sub_f32_e32 v22, v22, v6
	s_delay_alu instid0(VALU_DEP_1) | instskip(NEXT) | instid1(VALU_DEP_1)
	v_mul_f32_e32 v23, 0x3fb8aa3b, v22
	v_fma_f32 v24, 0x3fb8aa3b, v22, -v23
	v_rndne_f32_e32 v25, v23
	s_delay_alu instid0(VALU_DEP_1) | instskip(SKIP_1) | instid1(VALU_DEP_2)
	v_dual_sub_f32 v23, v23, v25 :: v_dual_fmamk_f32 v24, v22, 0x32a5705f, v24
	v_cmp_ngt_f32_e64 s6, 0xc2ce8ed0, v22
	v_add_f32_e32 v23, v23, v24
	v_cvt_i32_f32_e32 v24, v25
	s_delay_alu instid0(VALU_DEP_2) | instskip(SKIP_2) | instid1(VALU_DEP_1)
	v_exp_f32_e32 v23, v23
	s_waitcnt_depctr 0xfff
	v_ldexp_f32 v23, v23, v24
	v_cndmask_b32_e64 v23, 0, v23, s6
	v_cmp_nlt_f32_e64 s6, 0x42b17218, v22
	s_delay_alu instid0(VALU_DEP_1) | instskip(NEXT) | instid1(VALU_DEP_1)
	v_cndmask_b32_e64 v24, 0x7f800000, v23, s6
	v_add_f32_e32 v25, 1.0, v24
	v_cmp_gt_f32_e64 s9, 0x33800000, |v24|
	s_delay_alu instid0(VALU_DEP_2) | instskip(NEXT) | instid1(VALU_DEP_1)
	v_cvt_f64_f32_e32 v[22:23], v25
	v_frexp_exp_i32_f64_e32 v22, v[22:23]
	v_frexp_mant_f32_e32 v23, v25
	s_delay_alu instid0(VALU_DEP_1) | instskip(SKIP_1) | instid1(VALU_DEP_1)
	v_cmp_gt_f32_e64 s6, 0x3f2aaaab, v23
	v_add_f32_e32 v23, -1.0, v25
	v_sub_f32_e32 v27, v23, v25
	v_sub_f32_e32 v23, v24, v23
	s_delay_alu instid0(VALU_DEP_4) | instskip(SKIP_1) | instid1(VALU_DEP_1)
	v_subrev_co_ci_u32_e64 v22, s6, 0, v22, s6
	s_mov_b32 s6, 0x3e9b6dac
	v_sub_nc_u32_e32 v26, 0, v22
	v_cvt_f32_i32_e32 v22, v22
	s_delay_alu instid0(VALU_DEP_2) | instskip(NEXT) | instid1(VALU_DEP_1)
	v_ldexp_f32 v25, v25, v26
	v_dual_add_f32 v28, 1.0, v25 :: v_dual_add_f32 v27, 1.0, v27
	s_delay_alu instid0(VALU_DEP_1) | instskip(NEXT) | instid1(VALU_DEP_2)
	v_add_f32_e32 v23, v23, v27
	v_add_f32_e32 v27, -1.0, v28
	s_delay_alu instid0(VALU_DEP_2) | instskip(NEXT) | instid1(VALU_DEP_2)
	v_ldexp_f32 v23, v23, v26
	v_dual_add_f32 v26, -1.0, v25 :: v_dual_sub_f32 v27, v25, v27
	s_delay_alu instid0(VALU_DEP_1) | instskip(NEXT) | instid1(VALU_DEP_2)
	v_add_f32_e32 v29, 1.0, v26
	v_add_f32_e32 v27, v23, v27
	s_delay_alu instid0(VALU_DEP_2) | instskip(NEXT) | instid1(VALU_DEP_2)
	v_sub_f32_e32 v25, v25, v29
	v_add_f32_e32 v29, v28, v27
	s_delay_alu instid0(VALU_DEP_2) | instskip(NEXT) | instid1(VALU_DEP_2)
	v_add_f32_e32 v23, v23, v25
	v_rcp_f32_e32 v25, v29
	v_sub_f32_e32 v28, v28, v29
	s_delay_alu instid0(VALU_DEP_1) | instskip(NEXT) | instid1(VALU_DEP_1)
	v_dual_add_f32 v30, v26, v23 :: v_dual_add_f32 v27, v27, v28
	v_sub_f32_e32 v26, v26, v30
	s_waitcnt_depctr 0xfff
	v_mul_f32_e32 v31, v30, v25
	s_delay_alu instid0(VALU_DEP_1) | instskip(NEXT) | instid1(VALU_DEP_1)
	v_dual_add_f32 v23, v23, v26 :: v_dual_mul_f32 v32, v29, v31
	v_fma_f32 v28, v31, v29, -v32
	s_delay_alu instid0(VALU_DEP_1) | instskip(NEXT) | instid1(VALU_DEP_1)
	v_fmac_f32_e32 v28, v31, v27
	v_add_f32_e32 v33, v32, v28
	s_delay_alu instid0(VALU_DEP_1) | instskip(SKIP_1) | instid1(VALU_DEP_2)
	v_sub_f32_e32 v34, v30, v33
	v_sub_f32_e32 v26, v33, v32
	;; [unrolled: 1-line block ×3, first 2 shown]
	s_delay_alu instid0(VALU_DEP_2) | instskip(NEXT) | instid1(VALU_DEP_2)
	v_sub_f32_e32 v26, v26, v28
	v_sub_f32_e32 v30, v30, v33
	s_delay_alu instid0(VALU_DEP_1) | instskip(NEXT) | instid1(VALU_DEP_1)
	v_add_f32_e32 v23, v23, v30
	v_add_f32_e32 v23, v26, v23
	s_delay_alu instid0(VALU_DEP_1) | instskip(NEXT) | instid1(VALU_DEP_1)
	v_add_f32_e32 v26, v34, v23
	v_mul_f32_e32 v28, v25, v26
	s_delay_alu instid0(VALU_DEP_1) | instskip(NEXT) | instid1(VALU_DEP_1)
	v_dual_sub_f32 v33, v34, v26 :: v_dual_mul_f32 v30, v29, v28
	v_add_f32_e32 v23, v23, v33
	s_delay_alu instid0(VALU_DEP_2) | instskip(NEXT) | instid1(VALU_DEP_1)
	v_fma_f32 v29, v28, v29, -v30
	v_fmac_f32_e32 v29, v28, v27
	s_delay_alu instid0(VALU_DEP_1) | instskip(NEXT) | instid1(VALU_DEP_1)
	v_add_f32_e32 v27, v30, v29
	v_sub_f32_e32 v32, v26, v27
	v_sub_f32_e32 v30, v27, v30
	s_delay_alu instid0(VALU_DEP_2) | instskip(NEXT) | instid1(VALU_DEP_1)
	v_sub_f32_e32 v26, v26, v32
	v_sub_f32_e32 v26, v26, v27
	s_delay_alu instid0(VALU_DEP_3) | instskip(NEXT) | instid1(VALU_DEP_2)
	v_sub_f32_e32 v27, v30, v29
	v_add_f32_e32 v23, v23, v26
	v_add_f32_e32 v26, v31, v28
	s_delay_alu instid0(VALU_DEP_2) | instskip(NEXT) | instid1(VALU_DEP_2)
	v_add_f32_e32 v23, v27, v23
	v_sub_f32_e32 v27, v26, v31
	s_delay_alu instid0(VALU_DEP_2) | instskip(NEXT) | instid1(VALU_DEP_2)
	v_add_f32_e32 v23, v32, v23
	v_sub_f32_e32 v27, v28, v27
	s_delay_alu instid0(VALU_DEP_2) | instskip(NEXT) | instid1(VALU_DEP_1)
	v_mul_f32_e32 v23, v25, v23
	v_add_f32_e32 v23, v27, v23
	s_delay_alu instid0(VALU_DEP_1) | instskip(NEXT) | instid1(VALU_DEP_1)
	v_add_f32_e32 v25, v26, v23
	v_mul_f32_e32 v27, v25, v25
	s_delay_alu instid0(VALU_DEP_1) | instskip(SKIP_2) | instid1(VALU_DEP_3)
	v_fmaak_f32 v28, s6, v27, 0x3ecc95a3
	v_mul_f32_e32 v29, v25, v27
	v_cmp_eq_f32_e64 s6, 0x7f800000, v24
	v_fmaak_f32 v27, v27, v28, 0x3f2aaada
	v_ldexp_f32 v28, v25, 1
	v_sub_f32_e32 v25, v25, v26
	s_delay_alu instid0(VALU_DEP_4) | instskip(NEXT) | instid1(VALU_DEP_3)
	s_or_b32 s6, s6, s9
	v_mul_f32_e32 v27, v29, v27
	v_mul_f32_e32 v29, 0x3f317218, v22
	s_delay_alu instid0(VALU_DEP_2) | instskip(NEXT) | instid1(VALU_DEP_1)
	v_dual_sub_f32 v23, v23, v25 :: v_dual_add_f32 v26, v28, v27
	v_ldexp_f32 v23, v23, 1
	s_delay_alu instid0(VALU_DEP_2) | instskip(NEXT) | instid1(VALU_DEP_4)
	v_sub_f32_e32 v25, v26, v28
	v_fma_f32 v28, 0x3f317218, v22, -v29
	s_delay_alu instid0(VALU_DEP_1) | instskip(NEXT) | instid1(VALU_DEP_1)
	v_dual_sub_f32 v25, v27, v25 :: v_dual_fmamk_f32 v22, v22, 0xb102e308, v28
	v_add_f32_e32 v23, v23, v25
	s_delay_alu instid0(VALU_DEP_2) | instskip(NEXT) | instid1(VALU_DEP_2)
	v_add_f32_e32 v25, v29, v22
	v_add_f32_e32 v27, v26, v23
	s_delay_alu instid0(VALU_DEP_2) | instskip(NEXT) | instid1(VALU_DEP_2)
	v_sub_f32_e32 v29, v25, v29
	v_add_f32_e32 v28, v25, v27
	v_sub_f32_e32 v26, v27, v26
	s_delay_alu instid0(VALU_DEP_3) | instskip(NEXT) | instid1(VALU_DEP_2)
	v_sub_f32_e32 v22, v22, v29
	v_dual_sub_f32 v30, v28, v25 :: v_dual_sub_f32 v23, v23, v26
	s_delay_alu instid0(VALU_DEP_1) | instskip(NEXT) | instid1(VALU_DEP_2)
	v_sub_f32_e32 v31, v28, v30
	v_dual_sub_f32 v26, v27, v30 :: v_dual_add_f32 v27, v22, v23
	s_delay_alu instid0(VALU_DEP_2) | instskip(NEXT) | instid1(VALU_DEP_1)
	v_sub_f32_e32 v25, v25, v31
	v_dual_add_f32 v25, v26, v25 :: v_dual_sub_f32 v26, v27, v22
	s_delay_alu instid0(VALU_DEP_1) | instskip(NEXT) | instid1(VALU_DEP_2)
	v_add_f32_e32 v25, v27, v25
	v_sub_f32_e32 v27, v27, v26
	v_sub_f32_e32 v23, v23, v26
	s_delay_alu instid0(VALU_DEP_2) | instskip(NEXT) | instid1(VALU_DEP_1)
	v_dual_add_f32 v29, v28, v25 :: v_dual_sub_f32 v22, v22, v27
	v_sub_f32_e32 v26, v29, v28
	s_delay_alu instid0(VALU_DEP_2) | instskip(NEXT) | instid1(VALU_DEP_2)
	v_add_f32_e32 v22, v23, v22
	v_sub_f32_e32 v23, v25, v26
	s_delay_alu instid0(VALU_DEP_1) | instskip(NEXT) | instid1(VALU_DEP_1)
	v_add_f32_e32 v22, v22, v23
	v_add_f32_e32 v22, v29, v22
	s_delay_alu instid0(VALU_DEP_1) | instskip(NEXT) | instid1(VALU_DEP_1)
	v_cndmask_b32_e64 v22, v22, v24, s6
	v_add_f32_e32 v23, v6, v22
.LBB99_162:
	s_or_b32 exec_lo, exec_lo, s8
	ds_load_b32 v6, v20 offset:12
	v_max_f32_e32 v22, v23, v23
	v_cmp_u_f32_e64 s6, v23, v23
	s_waitcnt lgkmcnt(0)
	v_max_f32_e32 v24, v6, v6
	s_delay_alu instid0(VALU_DEP_1) | instskip(SKIP_1) | instid1(VALU_DEP_2)
	v_min_f32_e32 v25, v22, v24
	v_max_f32_e32 v22, v22, v24
	v_cndmask_b32_e64 v24, v25, v23, s6
	s_delay_alu instid0(VALU_DEP_2) | instskip(SKIP_1) | instid1(VALU_DEP_1)
	v_cndmask_b32_e64 v25, v22, v23, s6
	v_cmp_u_f32_e64 s6, v6, v6
	v_cndmask_b32_e64 v22, v24, v6, s6
	s_delay_alu instid0(VALU_DEP_3) | instskip(NEXT) | instid1(VALU_DEP_2)
	v_cndmask_b32_e64 v6, v25, v6, s6
	v_cmp_class_f32_e64 s8, v22, 0x1f8
	s_delay_alu instid0(VALU_DEP_2) | instskip(NEXT) | instid1(VALU_DEP_1)
	v_cmp_neq_f32_e64 s6, v22, v6
	s_or_b32 s6, s6, s8
	s_delay_alu instid0(SALU_CYCLE_1)
	s_and_saveexec_b32 s8, s6
	s_cbranch_execz .LBB99_164
; %bb.163:
	v_sub_f32_e32 v22, v22, v6
	s_delay_alu instid0(VALU_DEP_1) | instskip(NEXT) | instid1(VALU_DEP_1)
	v_mul_f32_e32 v23, 0x3fb8aa3b, v22
	v_fma_f32 v24, 0x3fb8aa3b, v22, -v23
	v_rndne_f32_e32 v25, v23
	s_delay_alu instid0(VALU_DEP_1) | instskip(SKIP_1) | instid1(VALU_DEP_2)
	v_dual_sub_f32 v23, v23, v25 :: v_dual_fmamk_f32 v24, v22, 0x32a5705f, v24
	v_cmp_ngt_f32_e64 s6, 0xc2ce8ed0, v22
	v_add_f32_e32 v23, v23, v24
	v_cvt_i32_f32_e32 v24, v25
	s_delay_alu instid0(VALU_DEP_2) | instskip(SKIP_2) | instid1(VALU_DEP_1)
	v_exp_f32_e32 v23, v23
	s_waitcnt_depctr 0xfff
	v_ldexp_f32 v23, v23, v24
	v_cndmask_b32_e64 v23, 0, v23, s6
	v_cmp_nlt_f32_e64 s6, 0x42b17218, v22
	s_delay_alu instid0(VALU_DEP_1) | instskip(NEXT) | instid1(VALU_DEP_1)
	v_cndmask_b32_e64 v24, 0x7f800000, v23, s6
	v_add_f32_e32 v25, 1.0, v24
	v_cmp_gt_f32_e64 s9, 0x33800000, |v24|
	s_delay_alu instid0(VALU_DEP_2) | instskip(NEXT) | instid1(VALU_DEP_1)
	v_cvt_f64_f32_e32 v[22:23], v25
	v_frexp_exp_i32_f64_e32 v22, v[22:23]
	v_frexp_mant_f32_e32 v23, v25
	s_delay_alu instid0(VALU_DEP_1) | instskip(SKIP_1) | instid1(VALU_DEP_1)
	v_cmp_gt_f32_e64 s6, 0x3f2aaaab, v23
	v_add_f32_e32 v23, -1.0, v25
	v_sub_f32_e32 v27, v23, v25
	v_sub_f32_e32 v23, v24, v23
	s_delay_alu instid0(VALU_DEP_4) | instskip(SKIP_1) | instid1(VALU_DEP_1)
	v_subrev_co_ci_u32_e64 v22, s6, 0, v22, s6
	s_mov_b32 s6, 0x3e9b6dac
	v_sub_nc_u32_e32 v26, 0, v22
	v_cvt_f32_i32_e32 v22, v22
	s_delay_alu instid0(VALU_DEP_2) | instskip(NEXT) | instid1(VALU_DEP_1)
	v_ldexp_f32 v25, v25, v26
	v_dual_add_f32 v28, 1.0, v25 :: v_dual_add_f32 v27, 1.0, v27
	s_delay_alu instid0(VALU_DEP_1) | instskip(NEXT) | instid1(VALU_DEP_2)
	v_add_f32_e32 v23, v23, v27
	v_add_f32_e32 v27, -1.0, v28
	s_delay_alu instid0(VALU_DEP_2) | instskip(NEXT) | instid1(VALU_DEP_2)
	v_ldexp_f32 v23, v23, v26
	v_dual_add_f32 v26, -1.0, v25 :: v_dual_sub_f32 v27, v25, v27
	s_delay_alu instid0(VALU_DEP_1) | instskip(NEXT) | instid1(VALU_DEP_2)
	v_add_f32_e32 v29, 1.0, v26
	v_add_f32_e32 v27, v23, v27
	s_delay_alu instid0(VALU_DEP_2) | instskip(NEXT) | instid1(VALU_DEP_2)
	v_sub_f32_e32 v25, v25, v29
	v_add_f32_e32 v29, v28, v27
	s_delay_alu instid0(VALU_DEP_2) | instskip(NEXT) | instid1(VALU_DEP_2)
	v_add_f32_e32 v23, v23, v25
	v_rcp_f32_e32 v25, v29
	v_sub_f32_e32 v28, v28, v29
	s_delay_alu instid0(VALU_DEP_1) | instskip(NEXT) | instid1(VALU_DEP_1)
	v_dual_add_f32 v30, v26, v23 :: v_dual_add_f32 v27, v27, v28
	v_sub_f32_e32 v26, v26, v30
	s_waitcnt_depctr 0xfff
	v_mul_f32_e32 v31, v30, v25
	s_delay_alu instid0(VALU_DEP_1) | instskip(NEXT) | instid1(VALU_DEP_1)
	v_dual_add_f32 v23, v23, v26 :: v_dual_mul_f32 v32, v29, v31
	v_fma_f32 v28, v31, v29, -v32
	s_delay_alu instid0(VALU_DEP_1) | instskip(NEXT) | instid1(VALU_DEP_1)
	v_fmac_f32_e32 v28, v31, v27
	v_add_f32_e32 v33, v32, v28
	s_delay_alu instid0(VALU_DEP_1) | instskip(SKIP_1) | instid1(VALU_DEP_2)
	v_sub_f32_e32 v34, v30, v33
	v_sub_f32_e32 v26, v33, v32
	;; [unrolled: 1-line block ×3, first 2 shown]
	s_delay_alu instid0(VALU_DEP_2) | instskip(NEXT) | instid1(VALU_DEP_2)
	v_sub_f32_e32 v26, v26, v28
	v_sub_f32_e32 v30, v30, v33
	s_delay_alu instid0(VALU_DEP_1) | instskip(NEXT) | instid1(VALU_DEP_1)
	v_add_f32_e32 v23, v23, v30
	v_add_f32_e32 v23, v26, v23
	s_delay_alu instid0(VALU_DEP_1) | instskip(NEXT) | instid1(VALU_DEP_1)
	v_add_f32_e32 v26, v34, v23
	v_mul_f32_e32 v28, v25, v26
	s_delay_alu instid0(VALU_DEP_1) | instskip(NEXT) | instid1(VALU_DEP_1)
	v_dual_sub_f32 v33, v34, v26 :: v_dual_mul_f32 v30, v29, v28
	v_add_f32_e32 v23, v23, v33
	s_delay_alu instid0(VALU_DEP_2) | instskip(NEXT) | instid1(VALU_DEP_1)
	v_fma_f32 v29, v28, v29, -v30
	v_fmac_f32_e32 v29, v28, v27
	s_delay_alu instid0(VALU_DEP_1) | instskip(NEXT) | instid1(VALU_DEP_1)
	v_add_f32_e32 v27, v30, v29
	v_sub_f32_e32 v32, v26, v27
	v_sub_f32_e32 v30, v27, v30
	s_delay_alu instid0(VALU_DEP_2) | instskip(NEXT) | instid1(VALU_DEP_1)
	v_sub_f32_e32 v26, v26, v32
	v_sub_f32_e32 v26, v26, v27
	s_delay_alu instid0(VALU_DEP_3) | instskip(NEXT) | instid1(VALU_DEP_2)
	v_sub_f32_e32 v27, v30, v29
	v_add_f32_e32 v23, v23, v26
	v_add_f32_e32 v26, v31, v28
	s_delay_alu instid0(VALU_DEP_2) | instskip(NEXT) | instid1(VALU_DEP_2)
	v_add_f32_e32 v23, v27, v23
	v_sub_f32_e32 v27, v26, v31
	s_delay_alu instid0(VALU_DEP_2) | instskip(NEXT) | instid1(VALU_DEP_2)
	v_add_f32_e32 v23, v32, v23
	v_sub_f32_e32 v27, v28, v27
	s_delay_alu instid0(VALU_DEP_2) | instskip(NEXT) | instid1(VALU_DEP_1)
	v_mul_f32_e32 v23, v25, v23
	v_add_f32_e32 v23, v27, v23
	s_delay_alu instid0(VALU_DEP_1) | instskip(NEXT) | instid1(VALU_DEP_1)
	v_add_f32_e32 v25, v26, v23
	v_mul_f32_e32 v27, v25, v25
	s_delay_alu instid0(VALU_DEP_1) | instskip(SKIP_2) | instid1(VALU_DEP_3)
	v_fmaak_f32 v28, s6, v27, 0x3ecc95a3
	v_mul_f32_e32 v29, v25, v27
	v_cmp_eq_f32_e64 s6, 0x7f800000, v24
	v_fmaak_f32 v27, v27, v28, 0x3f2aaada
	v_ldexp_f32 v28, v25, 1
	v_sub_f32_e32 v25, v25, v26
	s_delay_alu instid0(VALU_DEP_4) | instskip(NEXT) | instid1(VALU_DEP_3)
	s_or_b32 s6, s6, s9
	v_mul_f32_e32 v27, v29, v27
	v_mul_f32_e32 v29, 0x3f317218, v22
	s_delay_alu instid0(VALU_DEP_2) | instskip(NEXT) | instid1(VALU_DEP_1)
	v_dual_sub_f32 v23, v23, v25 :: v_dual_add_f32 v26, v28, v27
	v_ldexp_f32 v23, v23, 1
	s_delay_alu instid0(VALU_DEP_2) | instskip(NEXT) | instid1(VALU_DEP_4)
	v_sub_f32_e32 v25, v26, v28
	v_fma_f32 v28, 0x3f317218, v22, -v29
	s_delay_alu instid0(VALU_DEP_1) | instskip(NEXT) | instid1(VALU_DEP_1)
	v_dual_sub_f32 v25, v27, v25 :: v_dual_fmamk_f32 v22, v22, 0xb102e308, v28
	v_add_f32_e32 v23, v23, v25
	s_delay_alu instid0(VALU_DEP_2) | instskip(NEXT) | instid1(VALU_DEP_2)
	v_add_f32_e32 v25, v29, v22
	v_add_f32_e32 v27, v26, v23
	s_delay_alu instid0(VALU_DEP_2) | instskip(NEXT) | instid1(VALU_DEP_2)
	v_sub_f32_e32 v29, v25, v29
	v_add_f32_e32 v28, v25, v27
	v_sub_f32_e32 v26, v27, v26
	s_delay_alu instid0(VALU_DEP_3) | instskip(NEXT) | instid1(VALU_DEP_2)
	v_sub_f32_e32 v22, v22, v29
	v_dual_sub_f32 v30, v28, v25 :: v_dual_sub_f32 v23, v23, v26
	s_delay_alu instid0(VALU_DEP_1) | instskip(NEXT) | instid1(VALU_DEP_2)
	v_sub_f32_e32 v31, v28, v30
	v_dual_sub_f32 v26, v27, v30 :: v_dual_add_f32 v27, v22, v23
	s_delay_alu instid0(VALU_DEP_2) | instskip(NEXT) | instid1(VALU_DEP_1)
	v_sub_f32_e32 v25, v25, v31
	v_dual_add_f32 v25, v26, v25 :: v_dual_sub_f32 v26, v27, v22
	s_delay_alu instid0(VALU_DEP_1) | instskip(NEXT) | instid1(VALU_DEP_2)
	v_add_f32_e32 v25, v27, v25
	v_sub_f32_e32 v27, v27, v26
	v_sub_f32_e32 v23, v23, v26
	s_delay_alu instid0(VALU_DEP_2) | instskip(NEXT) | instid1(VALU_DEP_1)
	v_dual_add_f32 v29, v28, v25 :: v_dual_sub_f32 v22, v22, v27
	v_sub_f32_e32 v26, v29, v28
	s_delay_alu instid0(VALU_DEP_2) | instskip(NEXT) | instid1(VALU_DEP_2)
	v_add_f32_e32 v22, v23, v22
	v_sub_f32_e32 v23, v25, v26
	s_delay_alu instid0(VALU_DEP_1) | instskip(NEXT) | instid1(VALU_DEP_1)
	v_add_f32_e32 v22, v22, v23
	v_add_f32_e32 v22, v29, v22
	s_delay_alu instid0(VALU_DEP_1) | instskip(NEXT) | instid1(VALU_DEP_1)
	v_cndmask_b32_e64 v22, v22, v24, s6
	v_add_f32_e32 v23, v6, v22
.LBB99_164:
	s_or_b32 exec_lo, exec_lo, s8
	ds_load_b32 v6, v20 offset:16
	v_max_f32_e32 v22, v23, v23
	v_cmp_u_f32_e64 s6, v23, v23
	s_waitcnt lgkmcnt(0)
	v_max_f32_e32 v24, v6, v6
	s_delay_alu instid0(VALU_DEP_1) | instskip(SKIP_1) | instid1(VALU_DEP_2)
	v_min_f32_e32 v25, v22, v24
	v_max_f32_e32 v22, v22, v24
	v_cndmask_b32_e64 v24, v25, v23, s6
	s_delay_alu instid0(VALU_DEP_2) | instskip(SKIP_1) | instid1(VALU_DEP_1)
	v_cndmask_b32_e64 v25, v22, v23, s6
	v_cmp_u_f32_e64 s6, v6, v6
	v_cndmask_b32_e64 v22, v24, v6, s6
	s_delay_alu instid0(VALU_DEP_3) | instskip(NEXT) | instid1(VALU_DEP_2)
	v_cndmask_b32_e64 v6, v25, v6, s6
	v_cmp_class_f32_e64 s8, v22, 0x1f8
	s_delay_alu instid0(VALU_DEP_2) | instskip(NEXT) | instid1(VALU_DEP_1)
	v_cmp_neq_f32_e64 s6, v22, v6
	s_or_b32 s6, s6, s8
	s_delay_alu instid0(SALU_CYCLE_1)
	s_and_saveexec_b32 s8, s6
	s_cbranch_execz .LBB99_166
; %bb.165:
	v_sub_f32_e32 v22, v22, v6
	s_delay_alu instid0(VALU_DEP_1) | instskip(NEXT) | instid1(VALU_DEP_1)
	v_mul_f32_e32 v23, 0x3fb8aa3b, v22
	v_fma_f32 v24, 0x3fb8aa3b, v22, -v23
	v_rndne_f32_e32 v25, v23
	s_delay_alu instid0(VALU_DEP_1) | instskip(SKIP_1) | instid1(VALU_DEP_2)
	v_dual_sub_f32 v23, v23, v25 :: v_dual_fmamk_f32 v24, v22, 0x32a5705f, v24
	v_cmp_ngt_f32_e64 s6, 0xc2ce8ed0, v22
	v_add_f32_e32 v23, v23, v24
	v_cvt_i32_f32_e32 v24, v25
	s_delay_alu instid0(VALU_DEP_2) | instskip(SKIP_2) | instid1(VALU_DEP_1)
	v_exp_f32_e32 v23, v23
	s_waitcnt_depctr 0xfff
	v_ldexp_f32 v23, v23, v24
	v_cndmask_b32_e64 v23, 0, v23, s6
	v_cmp_nlt_f32_e64 s6, 0x42b17218, v22
	s_delay_alu instid0(VALU_DEP_1) | instskip(NEXT) | instid1(VALU_DEP_1)
	v_cndmask_b32_e64 v24, 0x7f800000, v23, s6
	v_add_f32_e32 v25, 1.0, v24
	v_cmp_gt_f32_e64 s9, 0x33800000, |v24|
	s_delay_alu instid0(VALU_DEP_2) | instskip(NEXT) | instid1(VALU_DEP_1)
	v_cvt_f64_f32_e32 v[22:23], v25
	v_frexp_exp_i32_f64_e32 v22, v[22:23]
	v_frexp_mant_f32_e32 v23, v25
	s_delay_alu instid0(VALU_DEP_1) | instskip(SKIP_1) | instid1(VALU_DEP_1)
	v_cmp_gt_f32_e64 s6, 0x3f2aaaab, v23
	v_add_f32_e32 v23, -1.0, v25
	v_sub_f32_e32 v27, v23, v25
	v_sub_f32_e32 v23, v24, v23
	s_delay_alu instid0(VALU_DEP_4) | instskip(SKIP_1) | instid1(VALU_DEP_1)
	v_subrev_co_ci_u32_e64 v22, s6, 0, v22, s6
	s_mov_b32 s6, 0x3e9b6dac
	v_sub_nc_u32_e32 v26, 0, v22
	v_cvt_f32_i32_e32 v22, v22
	s_delay_alu instid0(VALU_DEP_2) | instskip(NEXT) | instid1(VALU_DEP_1)
	v_ldexp_f32 v25, v25, v26
	v_dual_add_f32 v28, 1.0, v25 :: v_dual_add_f32 v27, 1.0, v27
	s_delay_alu instid0(VALU_DEP_1) | instskip(NEXT) | instid1(VALU_DEP_2)
	v_add_f32_e32 v23, v23, v27
	v_add_f32_e32 v27, -1.0, v28
	s_delay_alu instid0(VALU_DEP_2) | instskip(NEXT) | instid1(VALU_DEP_2)
	v_ldexp_f32 v23, v23, v26
	v_dual_add_f32 v26, -1.0, v25 :: v_dual_sub_f32 v27, v25, v27
	s_delay_alu instid0(VALU_DEP_1) | instskip(NEXT) | instid1(VALU_DEP_2)
	v_add_f32_e32 v29, 1.0, v26
	v_add_f32_e32 v27, v23, v27
	s_delay_alu instid0(VALU_DEP_2) | instskip(NEXT) | instid1(VALU_DEP_2)
	v_sub_f32_e32 v25, v25, v29
	v_add_f32_e32 v29, v28, v27
	s_delay_alu instid0(VALU_DEP_2) | instskip(NEXT) | instid1(VALU_DEP_2)
	v_add_f32_e32 v23, v23, v25
	v_rcp_f32_e32 v25, v29
	v_sub_f32_e32 v28, v28, v29
	s_delay_alu instid0(VALU_DEP_1) | instskip(NEXT) | instid1(VALU_DEP_1)
	v_dual_add_f32 v30, v26, v23 :: v_dual_add_f32 v27, v27, v28
	v_sub_f32_e32 v26, v26, v30
	s_waitcnt_depctr 0xfff
	v_mul_f32_e32 v31, v30, v25
	s_delay_alu instid0(VALU_DEP_1) | instskip(NEXT) | instid1(VALU_DEP_1)
	v_dual_add_f32 v23, v23, v26 :: v_dual_mul_f32 v32, v29, v31
	v_fma_f32 v28, v31, v29, -v32
	s_delay_alu instid0(VALU_DEP_1) | instskip(NEXT) | instid1(VALU_DEP_1)
	v_fmac_f32_e32 v28, v31, v27
	v_add_f32_e32 v33, v32, v28
	s_delay_alu instid0(VALU_DEP_1) | instskip(SKIP_1) | instid1(VALU_DEP_2)
	v_sub_f32_e32 v34, v30, v33
	v_sub_f32_e32 v26, v33, v32
	v_sub_f32_e32 v30, v30, v34
	s_delay_alu instid0(VALU_DEP_2) | instskip(NEXT) | instid1(VALU_DEP_2)
	v_sub_f32_e32 v26, v26, v28
	v_sub_f32_e32 v30, v30, v33
	s_delay_alu instid0(VALU_DEP_1) | instskip(NEXT) | instid1(VALU_DEP_1)
	v_add_f32_e32 v23, v23, v30
	v_add_f32_e32 v23, v26, v23
	s_delay_alu instid0(VALU_DEP_1) | instskip(NEXT) | instid1(VALU_DEP_1)
	v_add_f32_e32 v26, v34, v23
	v_mul_f32_e32 v28, v25, v26
	s_delay_alu instid0(VALU_DEP_1) | instskip(NEXT) | instid1(VALU_DEP_1)
	v_dual_sub_f32 v33, v34, v26 :: v_dual_mul_f32 v30, v29, v28
	v_add_f32_e32 v23, v23, v33
	s_delay_alu instid0(VALU_DEP_2) | instskip(NEXT) | instid1(VALU_DEP_1)
	v_fma_f32 v29, v28, v29, -v30
	v_fmac_f32_e32 v29, v28, v27
	s_delay_alu instid0(VALU_DEP_1) | instskip(NEXT) | instid1(VALU_DEP_1)
	v_add_f32_e32 v27, v30, v29
	v_sub_f32_e32 v32, v26, v27
	v_sub_f32_e32 v30, v27, v30
	s_delay_alu instid0(VALU_DEP_2) | instskip(NEXT) | instid1(VALU_DEP_1)
	v_sub_f32_e32 v26, v26, v32
	v_sub_f32_e32 v26, v26, v27
	s_delay_alu instid0(VALU_DEP_3) | instskip(NEXT) | instid1(VALU_DEP_2)
	v_sub_f32_e32 v27, v30, v29
	v_add_f32_e32 v23, v23, v26
	v_add_f32_e32 v26, v31, v28
	s_delay_alu instid0(VALU_DEP_2) | instskip(NEXT) | instid1(VALU_DEP_2)
	v_add_f32_e32 v23, v27, v23
	v_sub_f32_e32 v27, v26, v31
	s_delay_alu instid0(VALU_DEP_2) | instskip(NEXT) | instid1(VALU_DEP_2)
	v_add_f32_e32 v23, v32, v23
	v_sub_f32_e32 v27, v28, v27
	s_delay_alu instid0(VALU_DEP_2) | instskip(NEXT) | instid1(VALU_DEP_1)
	v_mul_f32_e32 v23, v25, v23
	v_add_f32_e32 v23, v27, v23
	s_delay_alu instid0(VALU_DEP_1) | instskip(NEXT) | instid1(VALU_DEP_1)
	v_add_f32_e32 v25, v26, v23
	v_mul_f32_e32 v27, v25, v25
	s_delay_alu instid0(VALU_DEP_1) | instskip(SKIP_2) | instid1(VALU_DEP_3)
	v_fmaak_f32 v28, s6, v27, 0x3ecc95a3
	v_mul_f32_e32 v29, v25, v27
	v_cmp_eq_f32_e64 s6, 0x7f800000, v24
	v_fmaak_f32 v27, v27, v28, 0x3f2aaada
	v_ldexp_f32 v28, v25, 1
	v_sub_f32_e32 v25, v25, v26
	s_delay_alu instid0(VALU_DEP_4) | instskip(NEXT) | instid1(VALU_DEP_3)
	s_or_b32 s6, s6, s9
	v_mul_f32_e32 v27, v29, v27
	v_mul_f32_e32 v29, 0x3f317218, v22
	s_delay_alu instid0(VALU_DEP_2) | instskip(NEXT) | instid1(VALU_DEP_1)
	v_dual_sub_f32 v23, v23, v25 :: v_dual_add_f32 v26, v28, v27
	v_ldexp_f32 v23, v23, 1
	s_delay_alu instid0(VALU_DEP_2) | instskip(NEXT) | instid1(VALU_DEP_4)
	v_sub_f32_e32 v25, v26, v28
	v_fma_f32 v28, 0x3f317218, v22, -v29
	s_delay_alu instid0(VALU_DEP_1) | instskip(NEXT) | instid1(VALU_DEP_1)
	v_dual_sub_f32 v25, v27, v25 :: v_dual_fmamk_f32 v22, v22, 0xb102e308, v28
	v_add_f32_e32 v23, v23, v25
	s_delay_alu instid0(VALU_DEP_2) | instskip(NEXT) | instid1(VALU_DEP_2)
	v_add_f32_e32 v25, v29, v22
	v_add_f32_e32 v27, v26, v23
	s_delay_alu instid0(VALU_DEP_2) | instskip(NEXT) | instid1(VALU_DEP_2)
	v_sub_f32_e32 v29, v25, v29
	v_add_f32_e32 v28, v25, v27
	v_sub_f32_e32 v26, v27, v26
	s_delay_alu instid0(VALU_DEP_3) | instskip(NEXT) | instid1(VALU_DEP_2)
	v_sub_f32_e32 v22, v22, v29
	v_dual_sub_f32 v30, v28, v25 :: v_dual_sub_f32 v23, v23, v26
	s_delay_alu instid0(VALU_DEP_1) | instskip(NEXT) | instid1(VALU_DEP_2)
	v_sub_f32_e32 v31, v28, v30
	v_dual_sub_f32 v26, v27, v30 :: v_dual_add_f32 v27, v22, v23
	s_delay_alu instid0(VALU_DEP_2) | instskip(NEXT) | instid1(VALU_DEP_1)
	v_sub_f32_e32 v25, v25, v31
	v_dual_add_f32 v25, v26, v25 :: v_dual_sub_f32 v26, v27, v22
	s_delay_alu instid0(VALU_DEP_1) | instskip(NEXT) | instid1(VALU_DEP_2)
	v_add_f32_e32 v25, v27, v25
	v_sub_f32_e32 v27, v27, v26
	v_sub_f32_e32 v23, v23, v26
	s_delay_alu instid0(VALU_DEP_2) | instskip(NEXT) | instid1(VALU_DEP_1)
	v_dual_add_f32 v29, v28, v25 :: v_dual_sub_f32 v22, v22, v27
	v_sub_f32_e32 v26, v29, v28
	s_delay_alu instid0(VALU_DEP_2) | instskip(NEXT) | instid1(VALU_DEP_2)
	v_add_f32_e32 v22, v23, v22
	v_sub_f32_e32 v23, v25, v26
	s_delay_alu instid0(VALU_DEP_1) | instskip(NEXT) | instid1(VALU_DEP_1)
	v_add_f32_e32 v22, v22, v23
	v_add_f32_e32 v22, v29, v22
	s_delay_alu instid0(VALU_DEP_1) | instskip(NEXT) | instid1(VALU_DEP_1)
	v_cndmask_b32_e64 v22, v22, v24, s6
	v_add_f32_e32 v23, v6, v22
.LBB99_166:
	s_or_b32 exec_lo, exec_lo, s8
	ds_load_b32 v6, v20 offset:20
	v_max_f32_e32 v22, v23, v23
	v_cmp_u_f32_e64 s6, v23, v23
	s_waitcnt lgkmcnt(0)
	v_max_f32_e32 v24, v6, v6
	s_delay_alu instid0(VALU_DEP_1) | instskip(SKIP_1) | instid1(VALU_DEP_2)
	v_min_f32_e32 v25, v22, v24
	v_max_f32_e32 v22, v22, v24
	v_cndmask_b32_e64 v24, v25, v23, s6
	s_delay_alu instid0(VALU_DEP_2) | instskip(SKIP_1) | instid1(VALU_DEP_1)
	v_cndmask_b32_e64 v25, v22, v23, s6
	v_cmp_u_f32_e64 s6, v6, v6
	v_cndmask_b32_e64 v22, v24, v6, s6
	s_delay_alu instid0(VALU_DEP_3) | instskip(NEXT) | instid1(VALU_DEP_2)
	v_cndmask_b32_e64 v6, v25, v6, s6
	v_cmp_class_f32_e64 s8, v22, 0x1f8
	s_delay_alu instid0(VALU_DEP_2) | instskip(NEXT) | instid1(VALU_DEP_1)
	v_cmp_neq_f32_e64 s6, v22, v6
	s_or_b32 s6, s6, s8
	s_delay_alu instid0(SALU_CYCLE_1)
	s_and_saveexec_b32 s8, s6
	s_cbranch_execz .LBB99_168
; %bb.167:
	v_sub_f32_e32 v22, v22, v6
	s_delay_alu instid0(VALU_DEP_1) | instskip(NEXT) | instid1(VALU_DEP_1)
	v_mul_f32_e32 v23, 0x3fb8aa3b, v22
	v_fma_f32 v24, 0x3fb8aa3b, v22, -v23
	v_rndne_f32_e32 v25, v23
	s_delay_alu instid0(VALU_DEP_1) | instskip(SKIP_1) | instid1(VALU_DEP_2)
	v_dual_sub_f32 v23, v23, v25 :: v_dual_fmamk_f32 v24, v22, 0x32a5705f, v24
	v_cmp_ngt_f32_e64 s6, 0xc2ce8ed0, v22
	v_add_f32_e32 v23, v23, v24
	v_cvt_i32_f32_e32 v24, v25
	s_delay_alu instid0(VALU_DEP_2) | instskip(SKIP_2) | instid1(VALU_DEP_1)
	v_exp_f32_e32 v23, v23
	s_waitcnt_depctr 0xfff
	v_ldexp_f32 v23, v23, v24
	v_cndmask_b32_e64 v23, 0, v23, s6
	v_cmp_nlt_f32_e64 s6, 0x42b17218, v22
	s_delay_alu instid0(VALU_DEP_1) | instskip(NEXT) | instid1(VALU_DEP_1)
	v_cndmask_b32_e64 v24, 0x7f800000, v23, s6
	v_add_f32_e32 v25, 1.0, v24
	v_cmp_gt_f32_e64 s9, 0x33800000, |v24|
	s_delay_alu instid0(VALU_DEP_2) | instskip(NEXT) | instid1(VALU_DEP_1)
	v_cvt_f64_f32_e32 v[22:23], v25
	v_frexp_exp_i32_f64_e32 v22, v[22:23]
	v_frexp_mant_f32_e32 v23, v25
	s_delay_alu instid0(VALU_DEP_1) | instskip(SKIP_1) | instid1(VALU_DEP_1)
	v_cmp_gt_f32_e64 s6, 0x3f2aaaab, v23
	v_add_f32_e32 v23, -1.0, v25
	v_sub_f32_e32 v27, v23, v25
	v_sub_f32_e32 v23, v24, v23
	s_delay_alu instid0(VALU_DEP_4) | instskip(SKIP_1) | instid1(VALU_DEP_1)
	v_subrev_co_ci_u32_e64 v22, s6, 0, v22, s6
	s_mov_b32 s6, 0x3e9b6dac
	v_sub_nc_u32_e32 v26, 0, v22
	v_cvt_f32_i32_e32 v22, v22
	s_delay_alu instid0(VALU_DEP_2) | instskip(NEXT) | instid1(VALU_DEP_1)
	v_ldexp_f32 v25, v25, v26
	v_dual_add_f32 v28, 1.0, v25 :: v_dual_add_f32 v27, 1.0, v27
	s_delay_alu instid0(VALU_DEP_1) | instskip(NEXT) | instid1(VALU_DEP_2)
	v_add_f32_e32 v23, v23, v27
	v_add_f32_e32 v27, -1.0, v28
	s_delay_alu instid0(VALU_DEP_2) | instskip(NEXT) | instid1(VALU_DEP_2)
	v_ldexp_f32 v23, v23, v26
	v_dual_add_f32 v26, -1.0, v25 :: v_dual_sub_f32 v27, v25, v27
	s_delay_alu instid0(VALU_DEP_1) | instskip(NEXT) | instid1(VALU_DEP_2)
	v_add_f32_e32 v29, 1.0, v26
	v_add_f32_e32 v27, v23, v27
	s_delay_alu instid0(VALU_DEP_2) | instskip(NEXT) | instid1(VALU_DEP_2)
	v_sub_f32_e32 v25, v25, v29
	v_add_f32_e32 v29, v28, v27
	s_delay_alu instid0(VALU_DEP_2) | instskip(NEXT) | instid1(VALU_DEP_2)
	v_add_f32_e32 v23, v23, v25
	v_rcp_f32_e32 v25, v29
	v_sub_f32_e32 v28, v28, v29
	s_delay_alu instid0(VALU_DEP_1) | instskip(NEXT) | instid1(VALU_DEP_1)
	v_dual_add_f32 v30, v26, v23 :: v_dual_add_f32 v27, v27, v28
	v_sub_f32_e32 v26, v26, v30
	s_waitcnt_depctr 0xfff
	v_mul_f32_e32 v31, v30, v25
	s_delay_alu instid0(VALU_DEP_1) | instskip(NEXT) | instid1(VALU_DEP_1)
	v_dual_add_f32 v23, v23, v26 :: v_dual_mul_f32 v32, v29, v31
	v_fma_f32 v28, v31, v29, -v32
	s_delay_alu instid0(VALU_DEP_1) | instskip(NEXT) | instid1(VALU_DEP_1)
	v_fmac_f32_e32 v28, v31, v27
	v_add_f32_e32 v33, v32, v28
	s_delay_alu instid0(VALU_DEP_1) | instskip(SKIP_1) | instid1(VALU_DEP_2)
	v_sub_f32_e32 v34, v30, v33
	v_sub_f32_e32 v26, v33, v32
	;; [unrolled: 1-line block ×3, first 2 shown]
	s_delay_alu instid0(VALU_DEP_2) | instskip(NEXT) | instid1(VALU_DEP_2)
	v_sub_f32_e32 v26, v26, v28
	v_sub_f32_e32 v30, v30, v33
	s_delay_alu instid0(VALU_DEP_1) | instskip(NEXT) | instid1(VALU_DEP_1)
	v_add_f32_e32 v23, v23, v30
	v_add_f32_e32 v23, v26, v23
	s_delay_alu instid0(VALU_DEP_1) | instskip(NEXT) | instid1(VALU_DEP_1)
	v_add_f32_e32 v26, v34, v23
	v_mul_f32_e32 v28, v25, v26
	s_delay_alu instid0(VALU_DEP_1) | instskip(NEXT) | instid1(VALU_DEP_1)
	v_dual_sub_f32 v33, v34, v26 :: v_dual_mul_f32 v30, v29, v28
	v_add_f32_e32 v23, v23, v33
	s_delay_alu instid0(VALU_DEP_2) | instskip(NEXT) | instid1(VALU_DEP_1)
	v_fma_f32 v29, v28, v29, -v30
	v_fmac_f32_e32 v29, v28, v27
	s_delay_alu instid0(VALU_DEP_1) | instskip(NEXT) | instid1(VALU_DEP_1)
	v_add_f32_e32 v27, v30, v29
	v_sub_f32_e32 v32, v26, v27
	v_sub_f32_e32 v30, v27, v30
	s_delay_alu instid0(VALU_DEP_2) | instskip(NEXT) | instid1(VALU_DEP_1)
	v_sub_f32_e32 v26, v26, v32
	v_sub_f32_e32 v26, v26, v27
	s_delay_alu instid0(VALU_DEP_3) | instskip(NEXT) | instid1(VALU_DEP_2)
	v_sub_f32_e32 v27, v30, v29
	v_add_f32_e32 v23, v23, v26
	v_add_f32_e32 v26, v31, v28
	s_delay_alu instid0(VALU_DEP_2) | instskip(NEXT) | instid1(VALU_DEP_2)
	v_add_f32_e32 v23, v27, v23
	v_sub_f32_e32 v27, v26, v31
	s_delay_alu instid0(VALU_DEP_2) | instskip(NEXT) | instid1(VALU_DEP_2)
	v_add_f32_e32 v23, v32, v23
	v_sub_f32_e32 v27, v28, v27
	s_delay_alu instid0(VALU_DEP_2) | instskip(NEXT) | instid1(VALU_DEP_1)
	v_mul_f32_e32 v23, v25, v23
	v_add_f32_e32 v23, v27, v23
	s_delay_alu instid0(VALU_DEP_1) | instskip(NEXT) | instid1(VALU_DEP_1)
	v_add_f32_e32 v25, v26, v23
	v_mul_f32_e32 v27, v25, v25
	s_delay_alu instid0(VALU_DEP_1) | instskip(SKIP_2) | instid1(VALU_DEP_3)
	v_fmaak_f32 v28, s6, v27, 0x3ecc95a3
	v_mul_f32_e32 v29, v25, v27
	v_cmp_eq_f32_e64 s6, 0x7f800000, v24
	v_fmaak_f32 v27, v27, v28, 0x3f2aaada
	v_ldexp_f32 v28, v25, 1
	v_sub_f32_e32 v25, v25, v26
	s_delay_alu instid0(VALU_DEP_4) | instskip(NEXT) | instid1(VALU_DEP_3)
	s_or_b32 s6, s6, s9
	v_mul_f32_e32 v27, v29, v27
	v_mul_f32_e32 v29, 0x3f317218, v22
	s_delay_alu instid0(VALU_DEP_2) | instskip(NEXT) | instid1(VALU_DEP_1)
	v_dual_sub_f32 v23, v23, v25 :: v_dual_add_f32 v26, v28, v27
	v_ldexp_f32 v23, v23, 1
	s_delay_alu instid0(VALU_DEP_2) | instskip(NEXT) | instid1(VALU_DEP_4)
	v_sub_f32_e32 v25, v26, v28
	v_fma_f32 v28, 0x3f317218, v22, -v29
	s_delay_alu instid0(VALU_DEP_1) | instskip(NEXT) | instid1(VALU_DEP_1)
	v_dual_sub_f32 v25, v27, v25 :: v_dual_fmamk_f32 v22, v22, 0xb102e308, v28
	v_add_f32_e32 v23, v23, v25
	s_delay_alu instid0(VALU_DEP_2) | instskip(NEXT) | instid1(VALU_DEP_2)
	v_add_f32_e32 v25, v29, v22
	v_add_f32_e32 v27, v26, v23
	s_delay_alu instid0(VALU_DEP_2) | instskip(NEXT) | instid1(VALU_DEP_2)
	v_sub_f32_e32 v29, v25, v29
	v_add_f32_e32 v28, v25, v27
	v_sub_f32_e32 v26, v27, v26
	s_delay_alu instid0(VALU_DEP_3) | instskip(NEXT) | instid1(VALU_DEP_2)
	v_sub_f32_e32 v22, v22, v29
	v_dual_sub_f32 v30, v28, v25 :: v_dual_sub_f32 v23, v23, v26
	s_delay_alu instid0(VALU_DEP_1) | instskip(NEXT) | instid1(VALU_DEP_2)
	v_sub_f32_e32 v31, v28, v30
	v_dual_sub_f32 v26, v27, v30 :: v_dual_add_f32 v27, v22, v23
	s_delay_alu instid0(VALU_DEP_2) | instskip(NEXT) | instid1(VALU_DEP_1)
	v_sub_f32_e32 v25, v25, v31
	v_dual_add_f32 v25, v26, v25 :: v_dual_sub_f32 v26, v27, v22
	s_delay_alu instid0(VALU_DEP_1) | instskip(NEXT) | instid1(VALU_DEP_2)
	v_add_f32_e32 v25, v27, v25
	v_sub_f32_e32 v27, v27, v26
	v_sub_f32_e32 v23, v23, v26
	s_delay_alu instid0(VALU_DEP_2) | instskip(NEXT) | instid1(VALU_DEP_1)
	v_dual_add_f32 v29, v28, v25 :: v_dual_sub_f32 v22, v22, v27
	v_sub_f32_e32 v26, v29, v28
	s_delay_alu instid0(VALU_DEP_2) | instskip(NEXT) | instid1(VALU_DEP_2)
	v_add_f32_e32 v22, v23, v22
	v_sub_f32_e32 v23, v25, v26
	s_delay_alu instid0(VALU_DEP_1) | instskip(NEXT) | instid1(VALU_DEP_1)
	v_add_f32_e32 v22, v22, v23
	v_add_f32_e32 v22, v29, v22
	s_delay_alu instid0(VALU_DEP_1) | instskip(NEXT) | instid1(VALU_DEP_1)
	v_cndmask_b32_e64 v22, v22, v24, s6
	v_add_f32_e32 v23, v6, v22
.LBB99_168:
	s_or_b32 exec_lo, exec_lo, s8
	ds_load_b32 v6, v20 offset:24
	v_max_f32_e32 v22, v23, v23
	v_cmp_u_f32_e64 s6, v23, v23
	s_waitcnt lgkmcnt(0)
	v_max_f32_e32 v24, v6, v6
	s_delay_alu instid0(VALU_DEP_1) | instskip(SKIP_1) | instid1(VALU_DEP_2)
	v_min_f32_e32 v25, v22, v24
	v_max_f32_e32 v22, v22, v24
	v_cndmask_b32_e64 v24, v25, v23, s6
	s_delay_alu instid0(VALU_DEP_2) | instskip(SKIP_1) | instid1(VALU_DEP_1)
	v_cndmask_b32_e64 v25, v22, v23, s6
	v_cmp_u_f32_e64 s6, v6, v6
	v_cndmask_b32_e64 v22, v24, v6, s6
	s_delay_alu instid0(VALU_DEP_3) | instskip(NEXT) | instid1(VALU_DEP_2)
	v_cndmask_b32_e64 v6, v25, v6, s6
	v_cmp_class_f32_e64 s8, v22, 0x1f8
	s_delay_alu instid0(VALU_DEP_2) | instskip(NEXT) | instid1(VALU_DEP_1)
	v_cmp_neq_f32_e64 s6, v22, v6
	s_or_b32 s6, s6, s8
	s_delay_alu instid0(SALU_CYCLE_1)
	s_and_saveexec_b32 s8, s6
	s_cbranch_execz .LBB99_170
; %bb.169:
	v_sub_f32_e32 v22, v22, v6
	s_delay_alu instid0(VALU_DEP_1) | instskip(NEXT) | instid1(VALU_DEP_1)
	v_mul_f32_e32 v23, 0x3fb8aa3b, v22
	v_fma_f32 v24, 0x3fb8aa3b, v22, -v23
	v_rndne_f32_e32 v25, v23
	s_delay_alu instid0(VALU_DEP_1) | instskip(SKIP_1) | instid1(VALU_DEP_2)
	v_dual_sub_f32 v23, v23, v25 :: v_dual_fmamk_f32 v24, v22, 0x32a5705f, v24
	v_cmp_ngt_f32_e64 s6, 0xc2ce8ed0, v22
	v_add_f32_e32 v23, v23, v24
	v_cvt_i32_f32_e32 v24, v25
	s_delay_alu instid0(VALU_DEP_2) | instskip(SKIP_2) | instid1(VALU_DEP_1)
	v_exp_f32_e32 v23, v23
	s_waitcnt_depctr 0xfff
	v_ldexp_f32 v23, v23, v24
	v_cndmask_b32_e64 v23, 0, v23, s6
	v_cmp_nlt_f32_e64 s6, 0x42b17218, v22
	s_delay_alu instid0(VALU_DEP_1) | instskip(NEXT) | instid1(VALU_DEP_1)
	v_cndmask_b32_e64 v24, 0x7f800000, v23, s6
	v_add_f32_e32 v25, 1.0, v24
	v_cmp_gt_f32_e64 s9, 0x33800000, |v24|
	s_delay_alu instid0(VALU_DEP_2) | instskip(NEXT) | instid1(VALU_DEP_1)
	v_cvt_f64_f32_e32 v[22:23], v25
	v_frexp_exp_i32_f64_e32 v22, v[22:23]
	v_frexp_mant_f32_e32 v23, v25
	s_delay_alu instid0(VALU_DEP_1) | instskip(SKIP_1) | instid1(VALU_DEP_1)
	v_cmp_gt_f32_e64 s6, 0x3f2aaaab, v23
	v_add_f32_e32 v23, -1.0, v25
	v_sub_f32_e32 v27, v23, v25
	v_sub_f32_e32 v23, v24, v23
	s_delay_alu instid0(VALU_DEP_4) | instskip(SKIP_1) | instid1(VALU_DEP_1)
	v_subrev_co_ci_u32_e64 v22, s6, 0, v22, s6
	s_mov_b32 s6, 0x3e9b6dac
	v_sub_nc_u32_e32 v26, 0, v22
	v_cvt_f32_i32_e32 v22, v22
	s_delay_alu instid0(VALU_DEP_2) | instskip(NEXT) | instid1(VALU_DEP_1)
	v_ldexp_f32 v25, v25, v26
	v_dual_add_f32 v28, 1.0, v25 :: v_dual_add_f32 v27, 1.0, v27
	s_delay_alu instid0(VALU_DEP_1) | instskip(NEXT) | instid1(VALU_DEP_2)
	v_add_f32_e32 v23, v23, v27
	v_add_f32_e32 v27, -1.0, v28
	s_delay_alu instid0(VALU_DEP_2) | instskip(NEXT) | instid1(VALU_DEP_2)
	v_ldexp_f32 v23, v23, v26
	v_dual_add_f32 v26, -1.0, v25 :: v_dual_sub_f32 v27, v25, v27
	s_delay_alu instid0(VALU_DEP_1) | instskip(NEXT) | instid1(VALU_DEP_2)
	v_add_f32_e32 v29, 1.0, v26
	v_add_f32_e32 v27, v23, v27
	s_delay_alu instid0(VALU_DEP_2) | instskip(NEXT) | instid1(VALU_DEP_2)
	v_sub_f32_e32 v25, v25, v29
	v_add_f32_e32 v29, v28, v27
	s_delay_alu instid0(VALU_DEP_2) | instskip(NEXT) | instid1(VALU_DEP_2)
	v_add_f32_e32 v23, v23, v25
	v_rcp_f32_e32 v25, v29
	v_sub_f32_e32 v28, v28, v29
	s_delay_alu instid0(VALU_DEP_1) | instskip(NEXT) | instid1(VALU_DEP_1)
	v_dual_add_f32 v30, v26, v23 :: v_dual_add_f32 v27, v27, v28
	v_sub_f32_e32 v26, v26, v30
	s_waitcnt_depctr 0xfff
	v_mul_f32_e32 v31, v30, v25
	s_delay_alu instid0(VALU_DEP_1) | instskip(NEXT) | instid1(VALU_DEP_1)
	v_dual_add_f32 v23, v23, v26 :: v_dual_mul_f32 v32, v29, v31
	v_fma_f32 v28, v31, v29, -v32
	s_delay_alu instid0(VALU_DEP_1) | instskip(NEXT) | instid1(VALU_DEP_1)
	v_fmac_f32_e32 v28, v31, v27
	v_add_f32_e32 v33, v32, v28
	s_delay_alu instid0(VALU_DEP_1) | instskip(SKIP_1) | instid1(VALU_DEP_2)
	v_sub_f32_e32 v34, v30, v33
	v_sub_f32_e32 v26, v33, v32
	;; [unrolled: 1-line block ×3, first 2 shown]
	s_delay_alu instid0(VALU_DEP_2) | instskip(NEXT) | instid1(VALU_DEP_2)
	v_sub_f32_e32 v26, v26, v28
	v_sub_f32_e32 v30, v30, v33
	s_delay_alu instid0(VALU_DEP_1) | instskip(NEXT) | instid1(VALU_DEP_1)
	v_add_f32_e32 v23, v23, v30
	v_add_f32_e32 v23, v26, v23
	s_delay_alu instid0(VALU_DEP_1) | instskip(NEXT) | instid1(VALU_DEP_1)
	v_add_f32_e32 v26, v34, v23
	v_mul_f32_e32 v28, v25, v26
	s_delay_alu instid0(VALU_DEP_1) | instskip(NEXT) | instid1(VALU_DEP_1)
	v_dual_sub_f32 v33, v34, v26 :: v_dual_mul_f32 v30, v29, v28
	v_add_f32_e32 v23, v23, v33
	s_delay_alu instid0(VALU_DEP_2) | instskip(NEXT) | instid1(VALU_DEP_1)
	v_fma_f32 v29, v28, v29, -v30
	v_fmac_f32_e32 v29, v28, v27
	s_delay_alu instid0(VALU_DEP_1) | instskip(NEXT) | instid1(VALU_DEP_1)
	v_add_f32_e32 v27, v30, v29
	v_sub_f32_e32 v32, v26, v27
	v_sub_f32_e32 v30, v27, v30
	s_delay_alu instid0(VALU_DEP_2) | instskip(NEXT) | instid1(VALU_DEP_1)
	v_sub_f32_e32 v26, v26, v32
	v_sub_f32_e32 v26, v26, v27
	s_delay_alu instid0(VALU_DEP_3) | instskip(NEXT) | instid1(VALU_DEP_2)
	v_sub_f32_e32 v27, v30, v29
	v_add_f32_e32 v23, v23, v26
	v_add_f32_e32 v26, v31, v28
	s_delay_alu instid0(VALU_DEP_2) | instskip(NEXT) | instid1(VALU_DEP_2)
	v_add_f32_e32 v23, v27, v23
	v_sub_f32_e32 v27, v26, v31
	s_delay_alu instid0(VALU_DEP_2) | instskip(NEXT) | instid1(VALU_DEP_2)
	v_add_f32_e32 v23, v32, v23
	v_sub_f32_e32 v27, v28, v27
	s_delay_alu instid0(VALU_DEP_2) | instskip(NEXT) | instid1(VALU_DEP_1)
	v_mul_f32_e32 v23, v25, v23
	v_add_f32_e32 v23, v27, v23
	s_delay_alu instid0(VALU_DEP_1) | instskip(NEXT) | instid1(VALU_DEP_1)
	v_add_f32_e32 v25, v26, v23
	v_mul_f32_e32 v27, v25, v25
	s_delay_alu instid0(VALU_DEP_1) | instskip(SKIP_2) | instid1(VALU_DEP_3)
	v_fmaak_f32 v28, s6, v27, 0x3ecc95a3
	v_mul_f32_e32 v29, v25, v27
	v_cmp_eq_f32_e64 s6, 0x7f800000, v24
	v_fmaak_f32 v27, v27, v28, 0x3f2aaada
	v_ldexp_f32 v28, v25, 1
	v_sub_f32_e32 v25, v25, v26
	s_delay_alu instid0(VALU_DEP_4) | instskip(NEXT) | instid1(VALU_DEP_3)
	s_or_b32 s6, s6, s9
	v_mul_f32_e32 v27, v29, v27
	v_mul_f32_e32 v29, 0x3f317218, v22
	s_delay_alu instid0(VALU_DEP_2) | instskip(NEXT) | instid1(VALU_DEP_1)
	v_dual_sub_f32 v23, v23, v25 :: v_dual_add_f32 v26, v28, v27
	v_ldexp_f32 v23, v23, 1
	s_delay_alu instid0(VALU_DEP_2) | instskip(NEXT) | instid1(VALU_DEP_4)
	v_sub_f32_e32 v25, v26, v28
	v_fma_f32 v28, 0x3f317218, v22, -v29
	s_delay_alu instid0(VALU_DEP_1) | instskip(NEXT) | instid1(VALU_DEP_1)
	v_dual_sub_f32 v25, v27, v25 :: v_dual_fmamk_f32 v22, v22, 0xb102e308, v28
	v_add_f32_e32 v23, v23, v25
	s_delay_alu instid0(VALU_DEP_2) | instskip(NEXT) | instid1(VALU_DEP_2)
	v_add_f32_e32 v25, v29, v22
	v_add_f32_e32 v27, v26, v23
	s_delay_alu instid0(VALU_DEP_2) | instskip(NEXT) | instid1(VALU_DEP_2)
	v_sub_f32_e32 v29, v25, v29
	v_add_f32_e32 v28, v25, v27
	v_sub_f32_e32 v26, v27, v26
	s_delay_alu instid0(VALU_DEP_3) | instskip(NEXT) | instid1(VALU_DEP_2)
	v_sub_f32_e32 v22, v22, v29
	v_dual_sub_f32 v30, v28, v25 :: v_dual_sub_f32 v23, v23, v26
	s_delay_alu instid0(VALU_DEP_1) | instskip(NEXT) | instid1(VALU_DEP_2)
	v_sub_f32_e32 v31, v28, v30
	v_dual_sub_f32 v26, v27, v30 :: v_dual_add_f32 v27, v22, v23
	s_delay_alu instid0(VALU_DEP_2) | instskip(NEXT) | instid1(VALU_DEP_1)
	v_sub_f32_e32 v25, v25, v31
	v_dual_add_f32 v25, v26, v25 :: v_dual_sub_f32 v26, v27, v22
	s_delay_alu instid0(VALU_DEP_1) | instskip(NEXT) | instid1(VALU_DEP_2)
	v_add_f32_e32 v25, v27, v25
	v_sub_f32_e32 v27, v27, v26
	v_sub_f32_e32 v23, v23, v26
	s_delay_alu instid0(VALU_DEP_2) | instskip(NEXT) | instid1(VALU_DEP_1)
	v_dual_add_f32 v29, v28, v25 :: v_dual_sub_f32 v22, v22, v27
	v_sub_f32_e32 v26, v29, v28
	s_delay_alu instid0(VALU_DEP_2) | instskip(NEXT) | instid1(VALU_DEP_2)
	v_add_f32_e32 v22, v23, v22
	v_sub_f32_e32 v23, v25, v26
	s_delay_alu instid0(VALU_DEP_1) | instskip(NEXT) | instid1(VALU_DEP_1)
	v_add_f32_e32 v22, v22, v23
	v_add_f32_e32 v22, v29, v22
	s_delay_alu instid0(VALU_DEP_1) | instskip(NEXT) | instid1(VALU_DEP_1)
	v_cndmask_b32_e64 v22, v22, v24, s6
	v_add_f32_e32 v23, v6, v22
.LBB99_170:
	s_or_b32 exec_lo, exec_lo, s8
	ds_load_b32 v6, v20 offset:28
	v_max_f32_e32 v22, v23, v23
	v_cmp_u_f32_e64 s6, v23, v23
	s_waitcnt lgkmcnt(0)
	v_max_f32_e32 v24, v6, v6
	s_delay_alu instid0(VALU_DEP_1) | instskip(SKIP_1) | instid1(VALU_DEP_2)
	v_min_f32_e32 v25, v22, v24
	v_max_f32_e32 v22, v22, v24
	v_cndmask_b32_e64 v24, v25, v23, s6
	s_delay_alu instid0(VALU_DEP_2) | instskip(SKIP_1) | instid1(VALU_DEP_1)
	v_cndmask_b32_e64 v25, v22, v23, s6
	v_cmp_u_f32_e64 s6, v6, v6
	v_cndmask_b32_e64 v22, v24, v6, s6
	s_delay_alu instid0(VALU_DEP_3) | instskip(NEXT) | instid1(VALU_DEP_2)
	v_cndmask_b32_e64 v6, v25, v6, s6
	v_cmp_class_f32_e64 s8, v22, 0x1f8
	s_delay_alu instid0(VALU_DEP_2) | instskip(NEXT) | instid1(VALU_DEP_1)
	v_cmp_neq_f32_e64 s6, v22, v6
	s_or_b32 s6, s6, s8
	s_delay_alu instid0(SALU_CYCLE_1)
	s_and_saveexec_b32 s8, s6
	s_cbranch_execz .LBB99_172
; %bb.171:
	v_sub_f32_e32 v22, v22, v6
	s_delay_alu instid0(VALU_DEP_1) | instskip(NEXT) | instid1(VALU_DEP_1)
	v_mul_f32_e32 v23, 0x3fb8aa3b, v22
	v_fma_f32 v24, 0x3fb8aa3b, v22, -v23
	v_rndne_f32_e32 v25, v23
	s_delay_alu instid0(VALU_DEP_1) | instskip(SKIP_1) | instid1(VALU_DEP_2)
	v_dual_sub_f32 v23, v23, v25 :: v_dual_fmamk_f32 v24, v22, 0x32a5705f, v24
	v_cmp_ngt_f32_e64 s6, 0xc2ce8ed0, v22
	v_add_f32_e32 v23, v23, v24
	v_cvt_i32_f32_e32 v24, v25
	s_delay_alu instid0(VALU_DEP_2) | instskip(SKIP_2) | instid1(VALU_DEP_1)
	v_exp_f32_e32 v23, v23
	s_waitcnt_depctr 0xfff
	v_ldexp_f32 v23, v23, v24
	v_cndmask_b32_e64 v23, 0, v23, s6
	v_cmp_nlt_f32_e64 s6, 0x42b17218, v22
	s_delay_alu instid0(VALU_DEP_1) | instskip(NEXT) | instid1(VALU_DEP_1)
	v_cndmask_b32_e64 v24, 0x7f800000, v23, s6
	v_add_f32_e32 v25, 1.0, v24
	v_cmp_gt_f32_e64 s9, 0x33800000, |v24|
	s_delay_alu instid0(VALU_DEP_2) | instskip(NEXT) | instid1(VALU_DEP_1)
	v_cvt_f64_f32_e32 v[22:23], v25
	v_frexp_exp_i32_f64_e32 v22, v[22:23]
	v_frexp_mant_f32_e32 v23, v25
	s_delay_alu instid0(VALU_DEP_1) | instskip(SKIP_1) | instid1(VALU_DEP_1)
	v_cmp_gt_f32_e64 s6, 0x3f2aaaab, v23
	v_add_f32_e32 v23, -1.0, v25
	v_sub_f32_e32 v27, v23, v25
	v_sub_f32_e32 v23, v24, v23
	s_delay_alu instid0(VALU_DEP_4) | instskip(SKIP_1) | instid1(VALU_DEP_1)
	v_subrev_co_ci_u32_e64 v22, s6, 0, v22, s6
	s_mov_b32 s6, 0x3e9b6dac
	v_sub_nc_u32_e32 v26, 0, v22
	v_cvt_f32_i32_e32 v22, v22
	s_delay_alu instid0(VALU_DEP_2) | instskip(NEXT) | instid1(VALU_DEP_1)
	v_ldexp_f32 v25, v25, v26
	v_dual_add_f32 v28, 1.0, v25 :: v_dual_add_f32 v27, 1.0, v27
	s_delay_alu instid0(VALU_DEP_1) | instskip(NEXT) | instid1(VALU_DEP_2)
	v_add_f32_e32 v23, v23, v27
	v_add_f32_e32 v27, -1.0, v28
	s_delay_alu instid0(VALU_DEP_2) | instskip(NEXT) | instid1(VALU_DEP_2)
	v_ldexp_f32 v23, v23, v26
	v_dual_add_f32 v26, -1.0, v25 :: v_dual_sub_f32 v27, v25, v27
	s_delay_alu instid0(VALU_DEP_1) | instskip(NEXT) | instid1(VALU_DEP_2)
	v_add_f32_e32 v29, 1.0, v26
	v_add_f32_e32 v27, v23, v27
	s_delay_alu instid0(VALU_DEP_2) | instskip(NEXT) | instid1(VALU_DEP_2)
	v_sub_f32_e32 v25, v25, v29
	v_add_f32_e32 v29, v28, v27
	s_delay_alu instid0(VALU_DEP_2) | instskip(NEXT) | instid1(VALU_DEP_2)
	v_add_f32_e32 v23, v23, v25
	v_rcp_f32_e32 v25, v29
	v_sub_f32_e32 v28, v28, v29
	s_delay_alu instid0(VALU_DEP_1) | instskip(NEXT) | instid1(VALU_DEP_1)
	v_dual_add_f32 v30, v26, v23 :: v_dual_add_f32 v27, v27, v28
	v_sub_f32_e32 v26, v26, v30
	s_waitcnt_depctr 0xfff
	v_mul_f32_e32 v31, v30, v25
	s_delay_alu instid0(VALU_DEP_1) | instskip(NEXT) | instid1(VALU_DEP_1)
	v_dual_add_f32 v23, v23, v26 :: v_dual_mul_f32 v32, v29, v31
	v_fma_f32 v28, v31, v29, -v32
	s_delay_alu instid0(VALU_DEP_1) | instskip(NEXT) | instid1(VALU_DEP_1)
	v_fmac_f32_e32 v28, v31, v27
	v_add_f32_e32 v33, v32, v28
	s_delay_alu instid0(VALU_DEP_1) | instskip(SKIP_1) | instid1(VALU_DEP_2)
	v_sub_f32_e32 v34, v30, v33
	v_sub_f32_e32 v26, v33, v32
	;; [unrolled: 1-line block ×3, first 2 shown]
	s_delay_alu instid0(VALU_DEP_2) | instskip(NEXT) | instid1(VALU_DEP_2)
	v_sub_f32_e32 v26, v26, v28
	v_sub_f32_e32 v30, v30, v33
	s_delay_alu instid0(VALU_DEP_1) | instskip(NEXT) | instid1(VALU_DEP_1)
	v_add_f32_e32 v23, v23, v30
	v_add_f32_e32 v23, v26, v23
	s_delay_alu instid0(VALU_DEP_1) | instskip(NEXT) | instid1(VALU_DEP_1)
	v_add_f32_e32 v26, v34, v23
	v_mul_f32_e32 v28, v25, v26
	s_delay_alu instid0(VALU_DEP_1) | instskip(NEXT) | instid1(VALU_DEP_1)
	v_dual_sub_f32 v33, v34, v26 :: v_dual_mul_f32 v30, v29, v28
	v_add_f32_e32 v23, v23, v33
	s_delay_alu instid0(VALU_DEP_2) | instskip(NEXT) | instid1(VALU_DEP_1)
	v_fma_f32 v29, v28, v29, -v30
	v_fmac_f32_e32 v29, v28, v27
	s_delay_alu instid0(VALU_DEP_1) | instskip(NEXT) | instid1(VALU_DEP_1)
	v_add_f32_e32 v27, v30, v29
	v_sub_f32_e32 v32, v26, v27
	v_sub_f32_e32 v30, v27, v30
	s_delay_alu instid0(VALU_DEP_2) | instskip(NEXT) | instid1(VALU_DEP_1)
	v_sub_f32_e32 v26, v26, v32
	v_sub_f32_e32 v26, v26, v27
	s_delay_alu instid0(VALU_DEP_3) | instskip(NEXT) | instid1(VALU_DEP_2)
	v_sub_f32_e32 v27, v30, v29
	v_add_f32_e32 v23, v23, v26
	v_add_f32_e32 v26, v31, v28
	s_delay_alu instid0(VALU_DEP_2) | instskip(NEXT) | instid1(VALU_DEP_2)
	v_add_f32_e32 v23, v27, v23
	v_sub_f32_e32 v27, v26, v31
	s_delay_alu instid0(VALU_DEP_2) | instskip(NEXT) | instid1(VALU_DEP_2)
	v_add_f32_e32 v23, v32, v23
	v_sub_f32_e32 v27, v28, v27
	s_delay_alu instid0(VALU_DEP_2) | instskip(NEXT) | instid1(VALU_DEP_1)
	v_mul_f32_e32 v23, v25, v23
	v_add_f32_e32 v23, v27, v23
	s_delay_alu instid0(VALU_DEP_1) | instskip(NEXT) | instid1(VALU_DEP_1)
	v_add_f32_e32 v25, v26, v23
	v_mul_f32_e32 v27, v25, v25
	s_delay_alu instid0(VALU_DEP_1) | instskip(SKIP_2) | instid1(VALU_DEP_3)
	v_fmaak_f32 v28, s6, v27, 0x3ecc95a3
	v_mul_f32_e32 v29, v25, v27
	v_cmp_eq_f32_e64 s6, 0x7f800000, v24
	v_fmaak_f32 v27, v27, v28, 0x3f2aaada
	v_ldexp_f32 v28, v25, 1
	v_sub_f32_e32 v25, v25, v26
	s_delay_alu instid0(VALU_DEP_4) | instskip(NEXT) | instid1(VALU_DEP_3)
	s_or_b32 s6, s6, s9
	v_mul_f32_e32 v27, v29, v27
	v_mul_f32_e32 v29, 0x3f317218, v22
	s_delay_alu instid0(VALU_DEP_2) | instskip(NEXT) | instid1(VALU_DEP_1)
	v_dual_sub_f32 v23, v23, v25 :: v_dual_add_f32 v26, v28, v27
	v_ldexp_f32 v23, v23, 1
	s_delay_alu instid0(VALU_DEP_2) | instskip(NEXT) | instid1(VALU_DEP_4)
	v_sub_f32_e32 v25, v26, v28
	v_fma_f32 v28, 0x3f317218, v22, -v29
	s_delay_alu instid0(VALU_DEP_1) | instskip(NEXT) | instid1(VALU_DEP_1)
	v_dual_sub_f32 v25, v27, v25 :: v_dual_fmamk_f32 v22, v22, 0xb102e308, v28
	v_add_f32_e32 v23, v23, v25
	s_delay_alu instid0(VALU_DEP_2) | instskip(NEXT) | instid1(VALU_DEP_2)
	v_add_f32_e32 v25, v29, v22
	v_add_f32_e32 v27, v26, v23
	s_delay_alu instid0(VALU_DEP_2) | instskip(NEXT) | instid1(VALU_DEP_2)
	v_sub_f32_e32 v29, v25, v29
	v_add_f32_e32 v28, v25, v27
	v_sub_f32_e32 v26, v27, v26
	s_delay_alu instid0(VALU_DEP_3) | instskip(NEXT) | instid1(VALU_DEP_2)
	v_sub_f32_e32 v22, v22, v29
	v_dual_sub_f32 v30, v28, v25 :: v_dual_sub_f32 v23, v23, v26
	s_delay_alu instid0(VALU_DEP_1) | instskip(NEXT) | instid1(VALU_DEP_2)
	v_sub_f32_e32 v31, v28, v30
	v_dual_sub_f32 v26, v27, v30 :: v_dual_add_f32 v27, v22, v23
	s_delay_alu instid0(VALU_DEP_2) | instskip(NEXT) | instid1(VALU_DEP_1)
	v_sub_f32_e32 v25, v25, v31
	v_dual_add_f32 v25, v26, v25 :: v_dual_sub_f32 v26, v27, v22
	s_delay_alu instid0(VALU_DEP_1) | instskip(NEXT) | instid1(VALU_DEP_2)
	v_add_f32_e32 v25, v27, v25
	v_sub_f32_e32 v27, v27, v26
	v_sub_f32_e32 v23, v23, v26
	s_delay_alu instid0(VALU_DEP_2) | instskip(NEXT) | instid1(VALU_DEP_1)
	v_dual_add_f32 v29, v28, v25 :: v_dual_sub_f32 v22, v22, v27
	v_sub_f32_e32 v26, v29, v28
	s_delay_alu instid0(VALU_DEP_2) | instskip(NEXT) | instid1(VALU_DEP_2)
	v_add_f32_e32 v22, v23, v22
	v_sub_f32_e32 v23, v25, v26
	s_delay_alu instid0(VALU_DEP_1) | instskip(NEXT) | instid1(VALU_DEP_1)
	v_add_f32_e32 v22, v22, v23
	v_add_f32_e32 v22, v29, v22
	s_delay_alu instid0(VALU_DEP_1) | instskip(NEXT) | instid1(VALU_DEP_1)
	v_cndmask_b32_e64 v22, v22, v24, s6
	v_add_f32_e32 v23, v6, v22
.LBB99_172:
	s_or_b32 exec_lo, exec_lo, s8
	v_mbcnt_lo_u32_b32 v6, -1, 0
	s_delay_alu instid0(VALU_DEP_2) | instskip(SKIP_1) | instid1(VALU_DEP_2)
	v_mov_b32_dpp v24, v23 row_shr:1 row_mask:0xf bank_mask:0xf
	s_mov_b32 s8, exec_lo
	v_and_b32_e32 v22, 15, v6
	s_delay_alu instid0(VALU_DEP_1)
	v_cmpx_ne_u32_e32 0, v22
	s_xor_b32 s8, exec_lo, s8
	s_cbranch_execz .LBB99_176
; %bb.173:
	v_dual_max_f32 v25, v23, v23 :: v_dual_max_f32 v26, v24, v24
	v_cmp_u_f32_e64 s6, v24, v24
	s_delay_alu instid0(VALU_DEP_2) | instskip(SKIP_1) | instid1(VALU_DEP_2)
	v_min_f32_e32 v27, v26, v25
	v_max_f32_e32 v25, v26, v25
	v_cndmask_b32_e64 v26, v27, v24, s6
	s_delay_alu instid0(VALU_DEP_2) | instskip(SKIP_1) | instid1(VALU_DEP_1)
	v_cndmask_b32_e64 v27, v25, v24, s6
	v_cmp_u_f32_e64 s6, v23, v23
	v_cndmask_b32_e64 v25, v26, v23, s6
	s_delay_alu instid0(VALU_DEP_3) | instskip(NEXT) | instid1(VALU_DEP_2)
	v_cndmask_b32_e64 v23, v27, v23, s6
	v_cmp_class_f32_e64 s9, v25, 0x1f8
	s_delay_alu instid0(VALU_DEP_2) | instskip(NEXT) | instid1(VALU_DEP_1)
	v_cmp_neq_f32_e64 s6, v25, v23
	s_or_b32 s6, s6, s9
	s_delay_alu instid0(SALU_CYCLE_1)
	s_and_saveexec_b32 s9, s6
	s_cbranch_execz .LBB99_175
; %bb.174:
	v_sub_f32_e32 v24, v25, v23
	s_delay_alu instid0(VALU_DEP_1) | instskip(SKIP_1) | instid1(VALU_DEP_2)
	v_mul_f32_e32 v25, 0x3fb8aa3b, v24
	v_cmp_ngt_f32_e64 s6, 0xc2ce8ed0, v24
	v_fma_f32 v26, 0x3fb8aa3b, v24, -v25
	v_rndne_f32_e32 v27, v25
	s_delay_alu instid0(VALU_DEP_1) | instskip(NEXT) | instid1(VALU_DEP_1)
	v_dual_fmamk_f32 v26, v24, 0x32a5705f, v26 :: v_dual_sub_f32 v25, v25, v27
	v_add_f32_e32 v25, v25, v26
	v_cvt_i32_f32_e32 v26, v27
	s_delay_alu instid0(VALU_DEP_2) | instskip(SKIP_2) | instid1(VALU_DEP_1)
	v_exp_f32_e32 v25, v25
	s_waitcnt_depctr 0xfff
	v_ldexp_f32 v25, v25, v26
	v_cndmask_b32_e64 v25, 0, v25, s6
	v_cmp_nlt_f32_e64 s6, 0x42b17218, v24
	s_delay_alu instid0(VALU_DEP_1) | instskip(NEXT) | instid1(VALU_DEP_1)
	v_cndmask_b32_e64 v26, 0x7f800000, v25, s6
	v_add_f32_e32 v27, 1.0, v26
	v_cmp_gt_f32_e64 s12, 0x33800000, |v26|
	s_delay_alu instid0(VALU_DEP_2) | instskip(NEXT) | instid1(VALU_DEP_1)
	v_cvt_f64_f32_e32 v[24:25], v27
	v_frexp_exp_i32_f64_e32 v24, v[24:25]
	v_frexp_mant_f32_e32 v25, v27
	s_delay_alu instid0(VALU_DEP_1) | instskip(SKIP_1) | instid1(VALU_DEP_1)
	v_cmp_gt_f32_e64 s6, 0x3f2aaaab, v25
	v_add_f32_e32 v25, -1.0, v27
	v_sub_f32_e32 v29, v25, v27
	v_sub_f32_e32 v25, v26, v25
	s_delay_alu instid0(VALU_DEP_4) | instskip(SKIP_1) | instid1(VALU_DEP_1)
	v_subrev_co_ci_u32_e64 v24, s6, 0, v24, s6
	s_mov_b32 s6, 0x3e9b6dac
	v_sub_nc_u32_e32 v28, 0, v24
	v_cvt_f32_i32_e32 v24, v24
	s_delay_alu instid0(VALU_DEP_2) | instskip(NEXT) | instid1(VALU_DEP_1)
	v_ldexp_f32 v27, v27, v28
	v_dual_add_f32 v30, 1.0, v27 :: v_dual_add_f32 v29, 1.0, v29
	s_delay_alu instid0(VALU_DEP_1) | instskip(NEXT) | instid1(VALU_DEP_2)
	v_add_f32_e32 v25, v25, v29
	v_add_f32_e32 v29, -1.0, v30
	s_delay_alu instid0(VALU_DEP_2) | instskip(NEXT) | instid1(VALU_DEP_2)
	v_ldexp_f32 v25, v25, v28
	v_dual_add_f32 v28, -1.0, v27 :: v_dual_sub_f32 v29, v27, v29
	s_delay_alu instid0(VALU_DEP_1) | instskip(NEXT) | instid1(VALU_DEP_2)
	v_add_f32_e32 v31, 1.0, v28
	v_add_f32_e32 v29, v25, v29
	s_delay_alu instid0(VALU_DEP_2) | instskip(NEXT) | instid1(VALU_DEP_2)
	v_sub_f32_e32 v27, v27, v31
	v_add_f32_e32 v31, v30, v29
	s_delay_alu instid0(VALU_DEP_2) | instskip(NEXT) | instid1(VALU_DEP_2)
	v_add_f32_e32 v25, v25, v27
	v_rcp_f32_e32 v27, v31
	v_sub_f32_e32 v30, v30, v31
	s_delay_alu instid0(VALU_DEP_1) | instskip(NEXT) | instid1(VALU_DEP_1)
	v_dual_add_f32 v32, v28, v25 :: v_dual_add_f32 v29, v29, v30
	v_sub_f32_e32 v28, v28, v32
	s_waitcnt_depctr 0xfff
	v_mul_f32_e32 v33, v32, v27
	s_delay_alu instid0(VALU_DEP_1) | instskip(NEXT) | instid1(VALU_DEP_1)
	v_dual_add_f32 v25, v25, v28 :: v_dual_mul_f32 v34, v31, v33
	v_fma_f32 v30, v33, v31, -v34
	s_delay_alu instid0(VALU_DEP_1) | instskip(NEXT) | instid1(VALU_DEP_1)
	v_fmac_f32_e32 v30, v33, v29
	v_add_f32_e32 v35, v34, v30
	s_delay_alu instid0(VALU_DEP_1) | instskip(SKIP_1) | instid1(VALU_DEP_2)
	v_sub_f32_e32 v36, v32, v35
	v_sub_f32_e32 v28, v35, v34
	v_sub_f32_e32 v32, v32, v36
	s_delay_alu instid0(VALU_DEP_2) | instskip(NEXT) | instid1(VALU_DEP_2)
	v_sub_f32_e32 v28, v28, v30
	v_sub_f32_e32 v32, v32, v35
	s_delay_alu instid0(VALU_DEP_1) | instskip(NEXT) | instid1(VALU_DEP_1)
	v_add_f32_e32 v25, v25, v32
	v_add_f32_e32 v25, v28, v25
	s_delay_alu instid0(VALU_DEP_1) | instskip(NEXT) | instid1(VALU_DEP_1)
	v_add_f32_e32 v28, v36, v25
	v_mul_f32_e32 v30, v27, v28
	s_delay_alu instid0(VALU_DEP_1) | instskip(NEXT) | instid1(VALU_DEP_1)
	v_dual_sub_f32 v35, v36, v28 :: v_dual_mul_f32 v32, v31, v30
	v_add_f32_e32 v25, v25, v35
	s_delay_alu instid0(VALU_DEP_2) | instskip(NEXT) | instid1(VALU_DEP_1)
	v_fma_f32 v31, v30, v31, -v32
	v_fmac_f32_e32 v31, v30, v29
	s_delay_alu instid0(VALU_DEP_1) | instskip(NEXT) | instid1(VALU_DEP_1)
	v_add_f32_e32 v29, v32, v31
	v_sub_f32_e32 v34, v28, v29
	v_sub_f32_e32 v32, v29, v32
	s_delay_alu instid0(VALU_DEP_2) | instskip(NEXT) | instid1(VALU_DEP_1)
	v_sub_f32_e32 v28, v28, v34
	v_sub_f32_e32 v28, v28, v29
	s_delay_alu instid0(VALU_DEP_3) | instskip(NEXT) | instid1(VALU_DEP_2)
	v_sub_f32_e32 v29, v32, v31
	v_add_f32_e32 v25, v25, v28
	v_add_f32_e32 v28, v33, v30
	s_delay_alu instid0(VALU_DEP_2) | instskip(NEXT) | instid1(VALU_DEP_2)
	v_add_f32_e32 v25, v29, v25
	v_sub_f32_e32 v29, v28, v33
	s_delay_alu instid0(VALU_DEP_2) | instskip(NEXT) | instid1(VALU_DEP_2)
	v_add_f32_e32 v25, v34, v25
	v_sub_f32_e32 v29, v30, v29
	s_delay_alu instid0(VALU_DEP_2) | instskip(NEXT) | instid1(VALU_DEP_1)
	v_mul_f32_e32 v25, v27, v25
	v_add_f32_e32 v25, v29, v25
	s_delay_alu instid0(VALU_DEP_1) | instskip(NEXT) | instid1(VALU_DEP_1)
	v_add_f32_e32 v27, v28, v25
	v_mul_f32_e32 v29, v27, v27
	s_delay_alu instid0(VALU_DEP_1) | instskip(SKIP_2) | instid1(VALU_DEP_3)
	v_fmaak_f32 v30, s6, v29, 0x3ecc95a3
	v_mul_f32_e32 v31, v27, v29
	v_cmp_eq_f32_e64 s6, 0x7f800000, v26
	v_fmaak_f32 v29, v29, v30, 0x3f2aaada
	v_ldexp_f32 v30, v27, 1
	v_sub_f32_e32 v27, v27, v28
	s_delay_alu instid0(VALU_DEP_4) | instskip(NEXT) | instid1(VALU_DEP_3)
	s_or_b32 s6, s6, s12
	v_mul_f32_e32 v29, v31, v29
	v_mul_f32_e32 v31, 0x3f317218, v24
	s_delay_alu instid0(VALU_DEP_2) | instskip(NEXT) | instid1(VALU_DEP_1)
	v_dual_sub_f32 v25, v25, v27 :: v_dual_add_f32 v28, v30, v29
	v_ldexp_f32 v25, v25, 1
	s_delay_alu instid0(VALU_DEP_2) | instskip(NEXT) | instid1(VALU_DEP_4)
	v_sub_f32_e32 v27, v28, v30
	v_fma_f32 v30, 0x3f317218, v24, -v31
	s_delay_alu instid0(VALU_DEP_1) | instskip(NEXT) | instid1(VALU_DEP_1)
	v_dual_sub_f32 v27, v29, v27 :: v_dual_fmamk_f32 v24, v24, 0xb102e308, v30
	v_add_f32_e32 v25, v25, v27
	s_delay_alu instid0(VALU_DEP_2) | instskip(NEXT) | instid1(VALU_DEP_2)
	v_add_f32_e32 v27, v31, v24
	v_add_f32_e32 v29, v28, v25
	s_delay_alu instid0(VALU_DEP_2) | instskip(NEXT) | instid1(VALU_DEP_2)
	v_sub_f32_e32 v31, v27, v31
	v_add_f32_e32 v30, v27, v29
	v_sub_f32_e32 v28, v29, v28
	s_delay_alu instid0(VALU_DEP_3) | instskip(NEXT) | instid1(VALU_DEP_2)
	v_sub_f32_e32 v24, v24, v31
	v_dual_sub_f32 v32, v30, v27 :: v_dual_sub_f32 v25, v25, v28
	s_delay_alu instid0(VALU_DEP_1) | instskip(NEXT) | instid1(VALU_DEP_2)
	v_sub_f32_e32 v33, v30, v32
	v_dual_sub_f32 v28, v29, v32 :: v_dual_add_f32 v29, v24, v25
	s_delay_alu instid0(VALU_DEP_2) | instskip(NEXT) | instid1(VALU_DEP_1)
	v_sub_f32_e32 v27, v27, v33
	v_dual_add_f32 v27, v28, v27 :: v_dual_sub_f32 v28, v29, v24
	s_delay_alu instid0(VALU_DEP_1) | instskip(NEXT) | instid1(VALU_DEP_2)
	v_add_f32_e32 v27, v29, v27
	v_sub_f32_e32 v29, v29, v28
	v_sub_f32_e32 v25, v25, v28
	s_delay_alu instid0(VALU_DEP_2) | instskip(NEXT) | instid1(VALU_DEP_1)
	v_dual_add_f32 v31, v30, v27 :: v_dual_sub_f32 v24, v24, v29
	v_sub_f32_e32 v28, v31, v30
	s_delay_alu instid0(VALU_DEP_2) | instskip(NEXT) | instid1(VALU_DEP_2)
	v_add_f32_e32 v24, v25, v24
	v_sub_f32_e32 v25, v27, v28
	s_delay_alu instid0(VALU_DEP_1) | instskip(NEXT) | instid1(VALU_DEP_1)
	v_add_f32_e32 v24, v24, v25
	v_add_f32_e32 v24, v31, v24
	s_delay_alu instid0(VALU_DEP_1) | instskip(NEXT) | instid1(VALU_DEP_1)
	v_cndmask_b32_e64 v24, v24, v26, s6
	v_add_f32_e32 v24, v23, v24
.LBB99_175:
	s_or_b32 exec_lo, exec_lo, s9
	s_delay_alu instid0(VALU_DEP_1)
	v_mov_b32_e32 v23, v24
.LBB99_176:
	s_or_b32 exec_lo, exec_lo, s8
	s_delay_alu instid0(VALU_DEP_1)
	v_mov_b32_dpp v24, v23 row_shr:2 row_mask:0xf bank_mask:0xf
	s_mov_b32 s8, exec_lo
	v_cmpx_lt_u32_e32 1, v22
	s_cbranch_execz .LBB99_180
; %bb.177:
	s_delay_alu instid0(VALU_DEP_2) | instskip(SKIP_1) | instid1(VALU_DEP_2)
	v_dual_max_f32 v25, v23, v23 :: v_dual_max_f32 v26, v24, v24
	v_cmp_u_f32_e64 s6, v24, v24
	v_min_f32_e32 v27, v26, v25
	v_max_f32_e32 v25, v26, v25
	s_delay_alu instid0(VALU_DEP_2) | instskip(NEXT) | instid1(VALU_DEP_2)
	v_cndmask_b32_e64 v26, v27, v24, s6
	v_cndmask_b32_e64 v27, v25, v24, s6
	v_cmp_u_f32_e64 s6, v23, v23
	s_delay_alu instid0(VALU_DEP_1) | instskip(NEXT) | instid1(VALU_DEP_3)
	v_cndmask_b32_e64 v25, v26, v23, s6
	v_cndmask_b32_e64 v23, v27, v23, s6
	s_delay_alu instid0(VALU_DEP_2) | instskip(NEXT) | instid1(VALU_DEP_2)
	v_cmp_class_f32_e64 s9, v25, 0x1f8
	v_cmp_neq_f32_e64 s6, v25, v23
	s_delay_alu instid0(VALU_DEP_1) | instskip(NEXT) | instid1(SALU_CYCLE_1)
	s_or_b32 s6, s6, s9
	s_and_saveexec_b32 s9, s6
	s_cbranch_execz .LBB99_179
; %bb.178:
	v_sub_f32_e32 v24, v25, v23
	s_delay_alu instid0(VALU_DEP_1) | instskip(SKIP_1) | instid1(VALU_DEP_2)
	v_mul_f32_e32 v25, 0x3fb8aa3b, v24
	v_cmp_ngt_f32_e64 s6, 0xc2ce8ed0, v24
	v_fma_f32 v26, 0x3fb8aa3b, v24, -v25
	v_rndne_f32_e32 v27, v25
	s_delay_alu instid0(VALU_DEP_1) | instskip(NEXT) | instid1(VALU_DEP_1)
	v_dual_fmamk_f32 v26, v24, 0x32a5705f, v26 :: v_dual_sub_f32 v25, v25, v27
	v_add_f32_e32 v25, v25, v26
	v_cvt_i32_f32_e32 v26, v27
	s_delay_alu instid0(VALU_DEP_2) | instskip(SKIP_2) | instid1(VALU_DEP_1)
	v_exp_f32_e32 v25, v25
	s_waitcnt_depctr 0xfff
	v_ldexp_f32 v25, v25, v26
	v_cndmask_b32_e64 v25, 0, v25, s6
	v_cmp_nlt_f32_e64 s6, 0x42b17218, v24
	s_delay_alu instid0(VALU_DEP_1) | instskip(NEXT) | instid1(VALU_DEP_1)
	v_cndmask_b32_e64 v26, 0x7f800000, v25, s6
	v_add_f32_e32 v27, 1.0, v26
	v_cmp_gt_f32_e64 s12, 0x33800000, |v26|
	s_delay_alu instid0(VALU_DEP_2) | instskip(NEXT) | instid1(VALU_DEP_1)
	v_cvt_f64_f32_e32 v[24:25], v27
	v_frexp_exp_i32_f64_e32 v24, v[24:25]
	v_frexp_mant_f32_e32 v25, v27
	s_delay_alu instid0(VALU_DEP_1) | instskip(SKIP_1) | instid1(VALU_DEP_1)
	v_cmp_gt_f32_e64 s6, 0x3f2aaaab, v25
	v_add_f32_e32 v25, -1.0, v27
	v_sub_f32_e32 v29, v25, v27
	v_sub_f32_e32 v25, v26, v25
	s_delay_alu instid0(VALU_DEP_4) | instskip(SKIP_1) | instid1(VALU_DEP_1)
	v_subrev_co_ci_u32_e64 v24, s6, 0, v24, s6
	s_mov_b32 s6, 0x3e9b6dac
	v_sub_nc_u32_e32 v28, 0, v24
	v_cvt_f32_i32_e32 v24, v24
	s_delay_alu instid0(VALU_DEP_2) | instskip(NEXT) | instid1(VALU_DEP_1)
	v_ldexp_f32 v27, v27, v28
	v_dual_add_f32 v30, 1.0, v27 :: v_dual_add_f32 v29, 1.0, v29
	s_delay_alu instid0(VALU_DEP_1) | instskip(NEXT) | instid1(VALU_DEP_2)
	v_add_f32_e32 v25, v25, v29
	v_add_f32_e32 v29, -1.0, v30
	s_delay_alu instid0(VALU_DEP_2) | instskip(NEXT) | instid1(VALU_DEP_2)
	v_ldexp_f32 v25, v25, v28
	v_dual_add_f32 v28, -1.0, v27 :: v_dual_sub_f32 v29, v27, v29
	s_delay_alu instid0(VALU_DEP_1) | instskip(NEXT) | instid1(VALU_DEP_2)
	v_add_f32_e32 v31, 1.0, v28
	v_add_f32_e32 v29, v25, v29
	s_delay_alu instid0(VALU_DEP_2) | instskip(NEXT) | instid1(VALU_DEP_2)
	v_sub_f32_e32 v27, v27, v31
	v_add_f32_e32 v31, v30, v29
	s_delay_alu instid0(VALU_DEP_2) | instskip(NEXT) | instid1(VALU_DEP_2)
	v_add_f32_e32 v25, v25, v27
	v_rcp_f32_e32 v27, v31
	v_sub_f32_e32 v30, v30, v31
	s_delay_alu instid0(VALU_DEP_1) | instskip(NEXT) | instid1(VALU_DEP_1)
	v_dual_add_f32 v32, v28, v25 :: v_dual_add_f32 v29, v29, v30
	v_sub_f32_e32 v28, v28, v32
	s_waitcnt_depctr 0xfff
	v_mul_f32_e32 v33, v32, v27
	s_delay_alu instid0(VALU_DEP_1) | instskip(NEXT) | instid1(VALU_DEP_1)
	v_dual_add_f32 v25, v25, v28 :: v_dual_mul_f32 v34, v31, v33
	v_fma_f32 v30, v33, v31, -v34
	s_delay_alu instid0(VALU_DEP_1) | instskip(NEXT) | instid1(VALU_DEP_1)
	v_fmac_f32_e32 v30, v33, v29
	v_add_f32_e32 v35, v34, v30
	s_delay_alu instid0(VALU_DEP_1) | instskip(SKIP_1) | instid1(VALU_DEP_2)
	v_sub_f32_e32 v36, v32, v35
	v_sub_f32_e32 v28, v35, v34
	;; [unrolled: 1-line block ×3, first 2 shown]
	s_delay_alu instid0(VALU_DEP_2) | instskip(NEXT) | instid1(VALU_DEP_2)
	v_sub_f32_e32 v28, v28, v30
	v_sub_f32_e32 v32, v32, v35
	s_delay_alu instid0(VALU_DEP_1) | instskip(NEXT) | instid1(VALU_DEP_1)
	v_add_f32_e32 v25, v25, v32
	v_add_f32_e32 v25, v28, v25
	s_delay_alu instid0(VALU_DEP_1) | instskip(NEXT) | instid1(VALU_DEP_1)
	v_add_f32_e32 v28, v36, v25
	v_mul_f32_e32 v30, v27, v28
	s_delay_alu instid0(VALU_DEP_1) | instskip(NEXT) | instid1(VALU_DEP_1)
	v_dual_sub_f32 v35, v36, v28 :: v_dual_mul_f32 v32, v31, v30
	v_add_f32_e32 v25, v25, v35
	s_delay_alu instid0(VALU_DEP_2) | instskip(NEXT) | instid1(VALU_DEP_1)
	v_fma_f32 v31, v30, v31, -v32
	v_fmac_f32_e32 v31, v30, v29
	s_delay_alu instid0(VALU_DEP_1) | instskip(NEXT) | instid1(VALU_DEP_1)
	v_add_f32_e32 v29, v32, v31
	v_sub_f32_e32 v34, v28, v29
	v_sub_f32_e32 v32, v29, v32
	s_delay_alu instid0(VALU_DEP_2) | instskip(NEXT) | instid1(VALU_DEP_1)
	v_sub_f32_e32 v28, v28, v34
	v_sub_f32_e32 v28, v28, v29
	s_delay_alu instid0(VALU_DEP_3) | instskip(NEXT) | instid1(VALU_DEP_2)
	v_sub_f32_e32 v29, v32, v31
	v_add_f32_e32 v25, v25, v28
	v_add_f32_e32 v28, v33, v30
	s_delay_alu instid0(VALU_DEP_2) | instskip(NEXT) | instid1(VALU_DEP_2)
	v_add_f32_e32 v25, v29, v25
	v_sub_f32_e32 v29, v28, v33
	s_delay_alu instid0(VALU_DEP_2) | instskip(NEXT) | instid1(VALU_DEP_2)
	v_add_f32_e32 v25, v34, v25
	v_sub_f32_e32 v29, v30, v29
	s_delay_alu instid0(VALU_DEP_2) | instskip(NEXT) | instid1(VALU_DEP_1)
	v_mul_f32_e32 v25, v27, v25
	v_add_f32_e32 v25, v29, v25
	s_delay_alu instid0(VALU_DEP_1) | instskip(NEXT) | instid1(VALU_DEP_1)
	v_add_f32_e32 v27, v28, v25
	v_mul_f32_e32 v29, v27, v27
	s_delay_alu instid0(VALU_DEP_1) | instskip(SKIP_2) | instid1(VALU_DEP_3)
	v_fmaak_f32 v30, s6, v29, 0x3ecc95a3
	v_mul_f32_e32 v31, v27, v29
	v_cmp_eq_f32_e64 s6, 0x7f800000, v26
	v_fmaak_f32 v29, v29, v30, 0x3f2aaada
	v_ldexp_f32 v30, v27, 1
	v_sub_f32_e32 v27, v27, v28
	s_delay_alu instid0(VALU_DEP_4) | instskip(NEXT) | instid1(VALU_DEP_3)
	s_or_b32 s6, s6, s12
	v_mul_f32_e32 v29, v31, v29
	v_mul_f32_e32 v31, 0x3f317218, v24
	s_delay_alu instid0(VALU_DEP_2) | instskip(NEXT) | instid1(VALU_DEP_1)
	v_dual_sub_f32 v25, v25, v27 :: v_dual_add_f32 v28, v30, v29
	v_ldexp_f32 v25, v25, 1
	s_delay_alu instid0(VALU_DEP_2) | instskip(NEXT) | instid1(VALU_DEP_4)
	v_sub_f32_e32 v27, v28, v30
	v_fma_f32 v30, 0x3f317218, v24, -v31
	s_delay_alu instid0(VALU_DEP_1) | instskip(NEXT) | instid1(VALU_DEP_1)
	v_dual_sub_f32 v27, v29, v27 :: v_dual_fmamk_f32 v24, v24, 0xb102e308, v30
	v_add_f32_e32 v25, v25, v27
	s_delay_alu instid0(VALU_DEP_2) | instskip(NEXT) | instid1(VALU_DEP_2)
	v_add_f32_e32 v27, v31, v24
	v_add_f32_e32 v29, v28, v25
	s_delay_alu instid0(VALU_DEP_2) | instskip(NEXT) | instid1(VALU_DEP_2)
	v_sub_f32_e32 v31, v27, v31
	v_add_f32_e32 v30, v27, v29
	v_sub_f32_e32 v28, v29, v28
	s_delay_alu instid0(VALU_DEP_3) | instskip(NEXT) | instid1(VALU_DEP_2)
	v_sub_f32_e32 v24, v24, v31
	v_dual_sub_f32 v32, v30, v27 :: v_dual_sub_f32 v25, v25, v28
	s_delay_alu instid0(VALU_DEP_1) | instskip(NEXT) | instid1(VALU_DEP_2)
	v_sub_f32_e32 v33, v30, v32
	v_dual_sub_f32 v28, v29, v32 :: v_dual_add_f32 v29, v24, v25
	s_delay_alu instid0(VALU_DEP_2) | instskip(NEXT) | instid1(VALU_DEP_1)
	v_sub_f32_e32 v27, v27, v33
	v_dual_add_f32 v27, v28, v27 :: v_dual_sub_f32 v28, v29, v24
	s_delay_alu instid0(VALU_DEP_1) | instskip(NEXT) | instid1(VALU_DEP_2)
	v_add_f32_e32 v27, v29, v27
	v_sub_f32_e32 v29, v29, v28
	v_sub_f32_e32 v25, v25, v28
	s_delay_alu instid0(VALU_DEP_2) | instskip(NEXT) | instid1(VALU_DEP_1)
	v_dual_add_f32 v31, v30, v27 :: v_dual_sub_f32 v24, v24, v29
	v_sub_f32_e32 v28, v31, v30
	s_delay_alu instid0(VALU_DEP_2) | instskip(NEXT) | instid1(VALU_DEP_2)
	v_add_f32_e32 v24, v25, v24
	v_sub_f32_e32 v25, v27, v28
	s_delay_alu instid0(VALU_DEP_1) | instskip(NEXT) | instid1(VALU_DEP_1)
	v_add_f32_e32 v24, v24, v25
	v_add_f32_e32 v24, v31, v24
	s_delay_alu instid0(VALU_DEP_1) | instskip(NEXT) | instid1(VALU_DEP_1)
	v_cndmask_b32_e64 v24, v24, v26, s6
	v_add_f32_e32 v24, v23, v24
.LBB99_179:
	s_or_b32 exec_lo, exec_lo, s9
	s_delay_alu instid0(VALU_DEP_1)
	v_mov_b32_e32 v23, v24
.LBB99_180:
	s_or_b32 exec_lo, exec_lo, s8
	s_delay_alu instid0(VALU_DEP_1)
	v_mov_b32_dpp v24, v23 row_shr:4 row_mask:0xf bank_mask:0xf
	s_mov_b32 s8, exec_lo
	v_cmpx_lt_u32_e32 3, v22
	s_cbranch_execz .LBB99_184
; %bb.181:
	s_delay_alu instid0(VALU_DEP_2) | instskip(SKIP_1) | instid1(VALU_DEP_2)
	v_dual_max_f32 v25, v23, v23 :: v_dual_max_f32 v26, v24, v24
	v_cmp_u_f32_e64 s6, v24, v24
	v_min_f32_e32 v27, v26, v25
	v_max_f32_e32 v25, v26, v25
	s_delay_alu instid0(VALU_DEP_2) | instskip(NEXT) | instid1(VALU_DEP_2)
	v_cndmask_b32_e64 v26, v27, v24, s6
	v_cndmask_b32_e64 v27, v25, v24, s6
	v_cmp_u_f32_e64 s6, v23, v23
	s_delay_alu instid0(VALU_DEP_1) | instskip(NEXT) | instid1(VALU_DEP_3)
	v_cndmask_b32_e64 v25, v26, v23, s6
	v_cndmask_b32_e64 v23, v27, v23, s6
	s_delay_alu instid0(VALU_DEP_2) | instskip(NEXT) | instid1(VALU_DEP_2)
	v_cmp_class_f32_e64 s9, v25, 0x1f8
	v_cmp_neq_f32_e64 s6, v25, v23
	s_delay_alu instid0(VALU_DEP_1) | instskip(NEXT) | instid1(SALU_CYCLE_1)
	s_or_b32 s6, s6, s9
	s_and_saveexec_b32 s9, s6
	s_cbranch_execz .LBB99_183
; %bb.182:
	v_sub_f32_e32 v24, v25, v23
	s_delay_alu instid0(VALU_DEP_1) | instskip(SKIP_1) | instid1(VALU_DEP_2)
	v_mul_f32_e32 v25, 0x3fb8aa3b, v24
	v_cmp_ngt_f32_e64 s6, 0xc2ce8ed0, v24
	v_fma_f32 v26, 0x3fb8aa3b, v24, -v25
	v_rndne_f32_e32 v27, v25
	s_delay_alu instid0(VALU_DEP_1) | instskip(NEXT) | instid1(VALU_DEP_1)
	v_dual_fmamk_f32 v26, v24, 0x32a5705f, v26 :: v_dual_sub_f32 v25, v25, v27
	v_add_f32_e32 v25, v25, v26
	v_cvt_i32_f32_e32 v26, v27
	s_delay_alu instid0(VALU_DEP_2) | instskip(SKIP_2) | instid1(VALU_DEP_1)
	v_exp_f32_e32 v25, v25
	s_waitcnt_depctr 0xfff
	v_ldexp_f32 v25, v25, v26
	v_cndmask_b32_e64 v25, 0, v25, s6
	v_cmp_nlt_f32_e64 s6, 0x42b17218, v24
	s_delay_alu instid0(VALU_DEP_1) | instskip(NEXT) | instid1(VALU_DEP_1)
	v_cndmask_b32_e64 v26, 0x7f800000, v25, s6
	v_add_f32_e32 v27, 1.0, v26
	v_cmp_gt_f32_e64 s12, 0x33800000, |v26|
	s_delay_alu instid0(VALU_DEP_2) | instskip(NEXT) | instid1(VALU_DEP_1)
	v_cvt_f64_f32_e32 v[24:25], v27
	v_frexp_exp_i32_f64_e32 v24, v[24:25]
	v_frexp_mant_f32_e32 v25, v27
	s_delay_alu instid0(VALU_DEP_1) | instskip(SKIP_1) | instid1(VALU_DEP_1)
	v_cmp_gt_f32_e64 s6, 0x3f2aaaab, v25
	v_add_f32_e32 v25, -1.0, v27
	v_sub_f32_e32 v29, v25, v27
	v_sub_f32_e32 v25, v26, v25
	s_delay_alu instid0(VALU_DEP_4) | instskip(SKIP_1) | instid1(VALU_DEP_1)
	v_subrev_co_ci_u32_e64 v24, s6, 0, v24, s6
	s_mov_b32 s6, 0x3e9b6dac
	v_sub_nc_u32_e32 v28, 0, v24
	v_cvt_f32_i32_e32 v24, v24
	s_delay_alu instid0(VALU_DEP_2) | instskip(NEXT) | instid1(VALU_DEP_1)
	v_ldexp_f32 v27, v27, v28
	v_dual_add_f32 v30, 1.0, v27 :: v_dual_add_f32 v29, 1.0, v29
	s_delay_alu instid0(VALU_DEP_1) | instskip(NEXT) | instid1(VALU_DEP_2)
	v_add_f32_e32 v25, v25, v29
	v_add_f32_e32 v29, -1.0, v30
	s_delay_alu instid0(VALU_DEP_2) | instskip(NEXT) | instid1(VALU_DEP_2)
	v_ldexp_f32 v25, v25, v28
	v_dual_add_f32 v28, -1.0, v27 :: v_dual_sub_f32 v29, v27, v29
	s_delay_alu instid0(VALU_DEP_1) | instskip(NEXT) | instid1(VALU_DEP_2)
	v_add_f32_e32 v31, 1.0, v28
	v_add_f32_e32 v29, v25, v29
	s_delay_alu instid0(VALU_DEP_2) | instskip(NEXT) | instid1(VALU_DEP_2)
	v_sub_f32_e32 v27, v27, v31
	v_add_f32_e32 v31, v30, v29
	s_delay_alu instid0(VALU_DEP_2) | instskip(NEXT) | instid1(VALU_DEP_2)
	v_add_f32_e32 v25, v25, v27
	v_rcp_f32_e32 v27, v31
	v_sub_f32_e32 v30, v30, v31
	s_delay_alu instid0(VALU_DEP_1) | instskip(NEXT) | instid1(VALU_DEP_1)
	v_dual_add_f32 v32, v28, v25 :: v_dual_add_f32 v29, v29, v30
	v_sub_f32_e32 v28, v28, v32
	s_waitcnt_depctr 0xfff
	v_mul_f32_e32 v33, v32, v27
	s_delay_alu instid0(VALU_DEP_1) | instskip(NEXT) | instid1(VALU_DEP_1)
	v_dual_add_f32 v25, v25, v28 :: v_dual_mul_f32 v34, v31, v33
	v_fma_f32 v30, v33, v31, -v34
	s_delay_alu instid0(VALU_DEP_1) | instskip(NEXT) | instid1(VALU_DEP_1)
	v_fmac_f32_e32 v30, v33, v29
	v_add_f32_e32 v35, v34, v30
	s_delay_alu instid0(VALU_DEP_1) | instskip(SKIP_1) | instid1(VALU_DEP_2)
	v_sub_f32_e32 v36, v32, v35
	v_sub_f32_e32 v28, v35, v34
	v_sub_f32_e32 v32, v32, v36
	s_delay_alu instid0(VALU_DEP_2) | instskip(NEXT) | instid1(VALU_DEP_2)
	v_sub_f32_e32 v28, v28, v30
	v_sub_f32_e32 v32, v32, v35
	s_delay_alu instid0(VALU_DEP_1) | instskip(NEXT) | instid1(VALU_DEP_1)
	v_add_f32_e32 v25, v25, v32
	v_add_f32_e32 v25, v28, v25
	s_delay_alu instid0(VALU_DEP_1) | instskip(NEXT) | instid1(VALU_DEP_1)
	v_add_f32_e32 v28, v36, v25
	v_mul_f32_e32 v30, v27, v28
	s_delay_alu instid0(VALU_DEP_1) | instskip(NEXT) | instid1(VALU_DEP_1)
	v_dual_sub_f32 v35, v36, v28 :: v_dual_mul_f32 v32, v31, v30
	v_add_f32_e32 v25, v25, v35
	s_delay_alu instid0(VALU_DEP_2) | instskip(NEXT) | instid1(VALU_DEP_1)
	v_fma_f32 v31, v30, v31, -v32
	v_fmac_f32_e32 v31, v30, v29
	s_delay_alu instid0(VALU_DEP_1) | instskip(NEXT) | instid1(VALU_DEP_1)
	v_add_f32_e32 v29, v32, v31
	v_sub_f32_e32 v34, v28, v29
	v_sub_f32_e32 v32, v29, v32
	s_delay_alu instid0(VALU_DEP_2) | instskip(NEXT) | instid1(VALU_DEP_1)
	v_sub_f32_e32 v28, v28, v34
	v_sub_f32_e32 v28, v28, v29
	s_delay_alu instid0(VALU_DEP_3) | instskip(NEXT) | instid1(VALU_DEP_2)
	v_sub_f32_e32 v29, v32, v31
	v_add_f32_e32 v25, v25, v28
	v_add_f32_e32 v28, v33, v30
	s_delay_alu instid0(VALU_DEP_2) | instskip(NEXT) | instid1(VALU_DEP_2)
	v_add_f32_e32 v25, v29, v25
	v_sub_f32_e32 v29, v28, v33
	s_delay_alu instid0(VALU_DEP_2) | instskip(NEXT) | instid1(VALU_DEP_2)
	v_add_f32_e32 v25, v34, v25
	v_sub_f32_e32 v29, v30, v29
	s_delay_alu instid0(VALU_DEP_2) | instskip(NEXT) | instid1(VALU_DEP_1)
	v_mul_f32_e32 v25, v27, v25
	v_add_f32_e32 v25, v29, v25
	s_delay_alu instid0(VALU_DEP_1) | instskip(NEXT) | instid1(VALU_DEP_1)
	v_add_f32_e32 v27, v28, v25
	v_mul_f32_e32 v29, v27, v27
	s_delay_alu instid0(VALU_DEP_1) | instskip(SKIP_2) | instid1(VALU_DEP_3)
	v_fmaak_f32 v30, s6, v29, 0x3ecc95a3
	v_mul_f32_e32 v31, v27, v29
	v_cmp_eq_f32_e64 s6, 0x7f800000, v26
	v_fmaak_f32 v29, v29, v30, 0x3f2aaada
	v_ldexp_f32 v30, v27, 1
	v_sub_f32_e32 v27, v27, v28
	s_delay_alu instid0(VALU_DEP_4) | instskip(NEXT) | instid1(VALU_DEP_3)
	s_or_b32 s6, s6, s12
	v_mul_f32_e32 v29, v31, v29
	v_mul_f32_e32 v31, 0x3f317218, v24
	s_delay_alu instid0(VALU_DEP_2) | instskip(NEXT) | instid1(VALU_DEP_1)
	v_dual_sub_f32 v25, v25, v27 :: v_dual_add_f32 v28, v30, v29
	v_ldexp_f32 v25, v25, 1
	s_delay_alu instid0(VALU_DEP_2) | instskip(NEXT) | instid1(VALU_DEP_4)
	v_sub_f32_e32 v27, v28, v30
	v_fma_f32 v30, 0x3f317218, v24, -v31
	s_delay_alu instid0(VALU_DEP_1) | instskip(NEXT) | instid1(VALU_DEP_1)
	v_dual_sub_f32 v27, v29, v27 :: v_dual_fmamk_f32 v24, v24, 0xb102e308, v30
	v_add_f32_e32 v25, v25, v27
	s_delay_alu instid0(VALU_DEP_2) | instskip(NEXT) | instid1(VALU_DEP_2)
	v_add_f32_e32 v27, v31, v24
	v_add_f32_e32 v29, v28, v25
	s_delay_alu instid0(VALU_DEP_2) | instskip(NEXT) | instid1(VALU_DEP_2)
	v_sub_f32_e32 v31, v27, v31
	v_add_f32_e32 v30, v27, v29
	v_sub_f32_e32 v28, v29, v28
	s_delay_alu instid0(VALU_DEP_3) | instskip(NEXT) | instid1(VALU_DEP_2)
	v_sub_f32_e32 v24, v24, v31
	v_dual_sub_f32 v32, v30, v27 :: v_dual_sub_f32 v25, v25, v28
	s_delay_alu instid0(VALU_DEP_1) | instskip(NEXT) | instid1(VALU_DEP_2)
	v_sub_f32_e32 v33, v30, v32
	v_dual_sub_f32 v28, v29, v32 :: v_dual_add_f32 v29, v24, v25
	s_delay_alu instid0(VALU_DEP_2) | instskip(NEXT) | instid1(VALU_DEP_1)
	v_sub_f32_e32 v27, v27, v33
	v_dual_add_f32 v27, v28, v27 :: v_dual_sub_f32 v28, v29, v24
	s_delay_alu instid0(VALU_DEP_1) | instskip(NEXT) | instid1(VALU_DEP_2)
	v_add_f32_e32 v27, v29, v27
	v_sub_f32_e32 v29, v29, v28
	v_sub_f32_e32 v25, v25, v28
	s_delay_alu instid0(VALU_DEP_2) | instskip(NEXT) | instid1(VALU_DEP_1)
	v_dual_add_f32 v31, v30, v27 :: v_dual_sub_f32 v24, v24, v29
	v_sub_f32_e32 v28, v31, v30
	s_delay_alu instid0(VALU_DEP_2) | instskip(NEXT) | instid1(VALU_DEP_2)
	v_add_f32_e32 v24, v25, v24
	v_sub_f32_e32 v25, v27, v28
	s_delay_alu instid0(VALU_DEP_1) | instskip(NEXT) | instid1(VALU_DEP_1)
	v_add_f32_e32 v24, v24, v25
	v_add_f32_e32 v24, v31, v24
	s_delay_alu instid0(VALU_DEP_1) | instskip(NEXT) | instid1(VALU_DEP_1)
	v_cndmask_b32_e64 v24, v24, v26, s6
	v_add_f32_e32 v24, v23, v24
.LBB99_183:
	s_or_b32 exec_lo, exec_lo, s9
	s_delay_alu instid0(VALU_DEP_1)
	v_mov_b32_e32 v23, v24
.LBB99_184:
	s_or_b32 exec_lo, exec_lo, s8
	s_delay_alu instid0(VALU_DEP_1)
	v_mov_b32_dpp v24, v23 row_shr:8 row_mask:0xf bank_mask:0xf
	s_mov_b32 s8, exec_lo
	v_cmpx_lt_u32_e32 7, v22
	s_cbranch_execz .LBB99_188
; %bb.185:
	s_delay_alu instid0(VALU_DEP_2) | instskip(SKIP_1) | instid1(VALU_DEP_2)
	v_dual_max_f32 v22, v23, v23 :: v_dual_max_f32 v25, v24, v24
	v_cmp_u_f32_e64 s6, v24, v24
	v_min_f32_e32 v26, v25, v22
	v_max_f32_e32 v22, v25, v22
	s_delay_alu instid0(VALU_DEP_2) | instskip(NEXT) | instid1(VALU_DEP_2)
	v_cndmask_b32_e64 v25, v26, v24, s6
	v_cndmask_b32_e64 v22, v22, v24, s6
	v_cmp_u_f32_e64 s6, v23, v23
	s_delay_alu instid0(VALU_DEP_1) | instskip(NEXT) | instid1(VALU_DEP_3)
	v_cndmask_b32_e64 v25, v25, v23, s6
	v_cndmask_b32_e64 v22, v22, v23, s6
	s_delay_alu instid0(VALU_DEP_2) | instskip(NEXT) | instid1(VALU_DEP_2)
	v_cmp_class_f32_e64 s9, v25, 0x1f8
	v_cmp_neq_f32_e64 s6, v25, v22
	s_delay_alu instid0(VALU_DEP_1) | instskip(NEXT) | instid1(SALU_CYCLE_1)
	s_or_b32 s6, s6, s9
	s_and_saveexec_b32 s9, s6
	s_cbranch_execz .LBB99_187
; %bb.186:
	v_sub_f32_e32 v23, v25, v22
	s_delay_alu instid0(VALU_DEP_1) | instskip(NEXT) | instid1(VALU_DEP_1)
	v_mul_f32_e32 v24, 0x3fb8aa3b, v23
	v_fma_f32 v25, 0x3fb8aa3b, v23, -v24
	v_rndne_f32_e32 v26, v24
	s_delay_alu instid0(VALU_DEP_1) | instskip(NEXT) | instid1(VALU_DEP_1)
	v_dual_fmamk_f32 v25, v23, 0x32a5705f, v25 :: v_dual_sub_f32 v24, v24, v26
	v_add_f32_e32 v24, v24, v25
	v_cvt_i32_f32_e32 v25, v26
	v_cmp_ngt_f32_e64 s6, 0xc2ce8ed0, v23
	s_delay_alu instid0(VALU_DEP_3) | instskip(SKIP_2) | instid1(VALU_DEP_1)
	v_exp_f32_e32 v24, v24
	s_waitcnt_depctr 0xfff
	v_ldexp_f32 v24, v24, v25
	v_cndmask_b32_e64 v24, 0, v24, s6
	v_cmp_nlt_f32_e64 s6, 0x42b17218, v23
	s_delay_alu instid0(VALU_DEP_1) | instskip(NEXT) | instid1(VALU_DEP_1)
	v_cndmask_b32_e64 v25, 0x7f800000, v24, s6
	v_add_f32_e32 v26, 1.0, v25
	v_cmp_gt_f32_e64 s12, 0x33800000, |v25|
	s_delay_alu instid0(VALU_DEP_2) | instskip(NEXT) | instid1(VALU_DEP_1)
	v_cvt_f64_f32_e32 v[23:24], v26
	v_frexp_exp_i32_f64_e32 v23, v[23:24]
	v_frexp_mant_f32_e32 v24, v26
	s_delay_alu instid0(VALU_DEP_1) | instskip(SKIP_1) | instid1(VALU_DEP_1)
	v_cmp_gt_f32_e64 s6, 0x3f2aaaab, v24
	v_add_f32_e32 v24, -1.0, v26
	v_sub_f32_e32 v28, v24, v26
	s_delay_alu instid0(VALU_DEP_3) | instskip(SKIP_1) | instid1(VALU_DEP_1)
	v_subrev_co_ci_u32_e64 v23, s6, 0, v23, s6
	s_mov_b32 s6, 0x3e9b6dac
	v_sub_nc_u32_e32 v27, 0, v23
	v_cvt_f32_i32_e32 v23, v23
	s_delay_alu instid0(VALU_DEP_2) | instskip(NEXT) | instid1(VALU_DEP_1)
	v_ldexp_f32 v26, v26, v27
	v_dual_sub_f32 v24, v25, v24 :: v_dual_add_f32 v29, 1.0, v26
	v_add_f32_e32 v28, 1.0, v28
	s_delay_alu instid0(VALU_DEP_1) | instskip(NEXT) | instid1(VALU_DEP_3)
	v_add_f32_e32 v24, v24, v28
	v_add_f32_e32 v28, -1.0, v29
	s_delay_alu instid0(VALU_DEP_2) | instskip(NEXT) | instid1(VALU_DEP_2)
	v_ldexp_f32 v24, v24, v27
	v_dual_add_f32 v27, -1.0, v26 :: v_dual_sub_f32 v28, v26, v28
	s_delay_alu instid0(VALU_DEP_1) | instskip(NEXT) | instid1(VALU_DEP_2)
	v_add_f32_e32 v30, 1.0, v27
	v_add_f32_e32 v28, v24, v28
	s_delay_alu instid0(VALU_DEP_2) | instskip(NEXT) | instid1(VALU_DEP_2)
	v_sub_f32_e32 v26, v26, v30
	v_add_f32_e32 v30, v29, v28
	s_delay_alu instid0(VALU_DEP_2) | instskip(NEXT) | instid1(VALU_DEP_2)
	v_add_f32_e32 v24, v24, v26
	v_rcp_f32_e32 v26, v30
	v_sub_f32_e32 v29, v29, v30
	s_delay_alu instid0(VALU_DEP_1) | instskip(NEXT) | instid1(VALU_DEP_1)
	v_dual_add_f32 v31, v27, v24 :: v_dual_add_f32 v28, v28, v29
	v_sub_f32_e32 v27, v27, v31
	s_waitcnt_depctr 0xfff
	v_mul_f32_e32 v32, v31, v26
	s_delay_alu instid0(VALU_DEP_1) | instskip(NEXT) | instid1(VALU_DEP_1)
	v_dual_add_f32 v24, v24, v27 :: v_dual_mul_f32 v33, v30, v32
	v_fma_f32 v29, v32, v30, -v33
	s_delay_alu instid0(VALU_DEP_1) | instskip(NEXT) | instid1(VALU_DEP_1)
	v_fmac_f32_e32 v29, v32, v28
	v_add_f32_e32 v34, v33, v29
	s_delay_alu instid0(VALU_DEP_1) | instskip(SKIP_1) | instid1(VALU_DEP_2)
	v_sub_f32_e32 v35, v31, v34
	v_sub_f32_e32 v27, v34, v33
	;; [unrolled: 1-line block ×3, first 2 shown]
	s_delay_alu instid0(VALU_DEP_2) | instskip(NEXT) | instid1(VALU_DEP_2)
	v_sub_f32_e32 v27, v27, v29
	v_sub_f32_e32 v31, v31, v34
	s_delay_alu instid0(VALU_DEP_1) | instskip(NEXT) | instid1(VALU_DEP_1)
	v_add_f32_e32 v24, v24, v31
	v_add_f32_e32 v24, v27, v24
	s_delay_alu instid0(VALU_DEP_1) | instskip(NEXT) | instid1(VALU_DEP_1)
	v_add_f32_e32 v27, v35, v24
	v_mul_f32_e32 v29, v26, v27
	s_delay_alu instid0(VALU_DEP_1) | instskip(NEXT) | instid1(VALU_DEP_1)
	v_dual_sub_f32 v34, v35, v27 :: v_dual_mul_f32 v31, v30, v29
	v_add_f32_e32 v24, v24, v34
	s_delay_alu instid0(VALU_DEP_2) | instskip(NEXT) | instid1(VALU_DEP_1)
	v_fma_f32 v30, v29, v30, -v31
	v_fmac_f32_e32 v30, v29, v28
	s_delay_alu instid0(VALU_DEP_1) | instskip(NEXT) | instid1(VALU_DEP_1)
	v_add_f32_e32 v28, v31, v30
	v_sub_f32_e32 v33, v27, v28
	v_sub_f32_e32 v31, v28, v31
	s_delay_alu instid0(VALU_DEP_2) | instskip(NEXT) | instid1(VALU_DEP_1)
	v_sub_f32_e32 v27, v27, v33
	v_sub_f32_e32 v27, v27, v28
	s_delay_alu instid0(VALU_DEP_3) | instskip(NEXT) | instid1(VALU_DEP_2)
	v_sub_f32_e32 v28, v31, v30
	v_add_f32_e32 v24, v24, v27
	v_add_f32_e32 v27, v32, v29
	s_delay_alu instid0(VALU_DEP_2) | instskip(NEXT) | instid1(VALU_DEP_2)
	v_add_f32_e32 v24, v28, v24
	v_sub_f32_e32 v28, v27, v32
	s_delay_alu instid0(VALU_DEP_2) | instskip(NEXT) | instid1(VALU_DEP_2)
	v_add_f32_e32 v24, v33, v24
	v_sub_f32_e32 v28, v29, v28
	s_delay_alu instid0(VALU_DEP_2) | instskip(NEXT) | instid1(VALU_DEP_1)
	v_mul_f32_e32 v24, v26, v24
	v_add_f32_e32 v24, v28, v24
	s_delay_alu instid0(VALU_DEP_1) | instskip(NEXT) | instid1(VALU_DEP_1)
	v_add_f32_e32 v26, v27, v24
	v_mul_f32_e32 v28, v26, v26
	s_delay_alu instid0(VALU_DEP_1) | instskip(SKIP_2) | instid1(VALU_DEP_3)
	v_fmaak_f32 v29, s6, v28, 0x3ecc95a3
	v_mul_f32_e32 v30, v26, v28
	v_cmp_eq_f32_e64 s6, 0x7f800000, v25
	v_fmaak_f32 v28, v28, v29, 0x3f2aaada
	v_ldexp_f32 v29, v26, 1
	v_sub_f32_e32 v26, v26, v27
	s_delay_alu instid0(VALU_DEP_4) | instskip(NEXT) | instid1(VALU_DEP_3)
	s_or_b32 s6, s6, s12
	v_mul_f32_e32 v28, v30, v28
	v_mul_f32_e32 v30, 0x3f317218, v23
	s_delay_alu instid0(VALU_DEP_2) | instskip(NEXT) | instid1(VALU_DEP_1)
	v_dual_sub_f32 v24, v24, v26 :: v_dual_add_f32 v27, v29, v28
	v_ldexp_f32 v24, v24, 1
	s_delay_alu instid0(VALU_DEP_2) | instskip(NEXT) | instid1(VALU_DEP_4)
	v_sub_f32_e32 v26, v27, v29
	v_fma_f32 v29, 0x3f317218, v23, -v30
	s_delay_alu instid0(VALU_DEP_1) | instskip(NEXT) | instid1(VALU_DEP_1)
	v_dual_sub_f32 v26, v28, v26 :: v_dual_fmamk_f32 v23, v23, 0xb102e308, v29
	v_add_f32_e32 v24, v24, v26
	s_delay_alu instid0(VALU_DEP_2) | instskip(NEXT) | instid1(VALU_DEP_2)
	v_add_f32_e32 v26, v30, v23
	v_add_f32_e32 v28, v27, v24
	s_delay_alu instid0(VALU_DEP_2) | instskip(NEXT) | instid1(VALU_DEP_2)
	v_sub_f32_e32 v30, v26, v30
	v_add_f32_e32 v29, v26, v28
	v_sub_f32_e32 v27, v28, v27
	s_delay_alu instid0(VALU_DEP_3) | instskip(NEXT) | instid1(VALU_DEP_2)
	v_sub_f32_e32 v23, v23, v30
	v_dual_sub_f32 v31, v29, v26 :: v_dual_sub_f32 v24, v24, v27
	s_delay_alu instid0(VALU_DEP_1) | instskip(NEXT) | instid1(VALU_DEP_2)
	v_sub_f32_e32 v32, v29, v31
	v_dual_sub_f32 v27, v28, v31 :: v_dual_add_f32 v28, v23, v24
	s_delay_alu instid0(VALU_DEP_2) | instskip(NEXT) | instid1(VALU_DEP_1)
	v_sub_f32_e32 v26, v26, v32
	v_dual_add_f32 v26, v27, v26 :: v_dual_sub_f32 v27, v28, v23
	s_delay_alu instid0(VALU_DEP_1) | instskip(NEXT) | instid1(VALU_DEP_2)
	v_add_f32_e32 v26, v28, v26
	v_sub_f32_e32 v28, v28, v27
	v_sub_f32_e32 v24, v24, v27
	s_delay_alu instid0(VALU_DEP_2) | instskip(NEXT) | instid1(VALU_DEP_1)
	v_dual_add_f32 v30, v29, v26 :: v_dual_sub_f32 v23, v23, v28
	v_sub_f32_e32 v27, v30, v29
	s_delay_alu instid0(VALU_DEP_2) | instskip(NEXT) | instid1(VALU_DEP_2)
	v_add_f32_e32 v23, v24, v23
	v_sub_f32_e32 v24, v26, v27
	s_delay_alu instid0(VALU_DEP_1) | instskip(NEXT) | instid1(VALU_DEP_1)
	v_add_f32_e32 v23, v23, v24
	v_add_f32_e32 v23, v30, v23
	s_delay_alu instid0(VALU_DEP_1) | instskip(NEXT) | instid1(VALU_DEP_1)
	v_cndmask_b32_e64 v23, v23, v25, s6
	v_add_f32_e32 v24, v22, v23
.LBB99_187:
	s_or_b32 exec_lo, exec_lo, s9
	s_delay_alu instid0(VALU_DEP_1)
	v_mov_b32_e32 v23, v24
.LBB99_188:
	s_or_b32 exec_lo, exec_lo, s8
	ds_swizzle_b32 v24, v23 offset:swizzle(BROADCAST,32,15)
	v_and_b32_e32 v22, 16, v6
	s_mov_b32 s8, exec_lo
	s_delay_alu instid0(VALU_DEP_1)
	v_cmpx_ne_u32_e32 0, v22
	s_cbranch_execz .LBB99_192
; %bb.189:
	s_waitcnt lgkmcnt(0)
	v_dual_max_f32 v22, v23, v23 :: v_dual_max_f32 v25, v24, v24
	v_cmp_u_f32_e64 s6, v24, v24
	s_delay_alu instid0(VALU_DEP_2) | instskip(SKIP_1) | instid1(VALU_DEP_2)
	v_min_f32_e32 v26, v25, v22
	v_max_f32_e32 v22, v25, v22
	v_cndmask_b32_e64 v25, v26, v24, s6
	s_delay_alu instid0(VALU_DEP_2) | instskip(SKIP_1) | instid1(VALU_DEP_1)
	v_cndmask_b32_e64 v22, v22, v24, s6
	v_cmp_u_f32_e64 s6, v23, v23
	v_cndmask_b32_e64 v25, v25, v23, s6
	s_delay_alu instid0(VALU_DEP_3) | instskip(NEXT) | instid1(VALU_DEP_2)
	v_cndmask_b32_e64 v22, v22, v23, s6
	v_cmp_class_f32_e64 s9, v25, 0x1f8
	s_delay_alu instid0(VALU_DEP_2) | instskip(NEXT) | instid1(VALU_DEP_1)
	v_cmp_neq_f32_e64 s6, v25, v22
	s_or_b32 s6, s6, s9
	s_delay_alu instid0(SALU_CYCLE_1)
	s_and_saveexec_b32 s9, s6
	s_cbranch_execz .LBB99_191
; %bb.190:
	v_sub_f32_e32 v23, v25, v22
	s_delay_alu instid0(VALU_DEP_1) | instskip(NEXT) | instid1(VALU_DEP_1)
	v_mul_f32_e32 v24, 0x3fb8aa3b, v23
	v_fma_f32 v25, 0x3fb8aa3b, v23, -v24
	v_rndne_f32_e32 v26, v24
	s_delay_alu instid0(VALU_DEP_1) | instskip(NEXT) | instid1(VALU_DEP_1)
	v_dual_fmamk_f32 v25, v23, 0x32a5705f, v25 :: v_dual_sub_f32 v24, v24, v26
	v_add_f32_e32 v24, v24, v25
	v_cvt_i32_f32_e32 v25, v26
	v_cmp_ngt_f32_e64 s6, 0xc2ce8ed0, v23
	s_delay_alu instid0(VALU_DEP_3) | instskip(SKIP_2) | instid1(VALU_DEP_1)
	v_exp_f32_e32 v24, v24
	s_waitcnt_depctr 0xfff
	v_ldexp_f32 v24, v24, v25
	v_cndmask_b32_e64 v24, 0, v24, s6
	v_cmp_nlt_f32_e64 s6, 0x42b17218, v23
	s_delay_alu instid0(VALU_DEP_1) | instskip(NEXT) | instid1(VALU_DEP_1)
	v_cndmask_b32_e64 v25, 0x7f800000, v24, s6
	v_add_f32_e32 v26, 1.0, v25
	v_cmp_gt_f32_e64 s12, 0x33800000, |v25|
	s_delay_alu instid0(VALU_DEP_2) | instskip(NEXT) | instid1(VALU_DEP_1)
	v_cvt_f64_f32_e32 v[23:24], v26
	v_frexp_exp_i32_f64_e32 v23, v[23:24]
	v_frexp_mant_f32_e32 v24, v26
	s_delay_alu instid0(VALU_DEP_1) | instskip(SKIP_1) | instid1(VALU_DEP_1)
	v_cmp_gt_f32_e64 s6, 0x3f2aaaab, v24
	v_add_f32_e32 v24, -1.0, v26
	v_sub_f32_e32 v28, v24, v26
	s_delay_alu instid0(VALU_DEP_3) | instskip(SKIP_1) | instid1(VALU_DEP_1)
	v_subrev_co_ci_u32_e64 v23, s6, 0, v23, s6
	s_mov_b32 s6, 0x3e9b6dac
	v_sub_nc_u32_e32 v27, 0, v23
	v_cvt_f32_i32_e32 v23, v23
	s_delay_alu instid0(VALU_DEP_2) | instskip(NEXT) | instid1(VALU_DEP_1)
	v_ldexp_f32 v26, v26, v27
	v_dual_sub_f32 v24, v25, v24 :: v_dual_add_f32 v29, 1.0, v26
	v_add_f32_e32 v28, 1.0, v28
	s_delay_alu instid0(VALU_DEP_1) | instskip(NEXT) | instid1(VALU_DEP_3)
	v_add_f32_e32 v24, v24, v28
	v_add_f32_e32 v28, -1.0, v29
	s_delay_alu instid0(VALU_DEP_2) | instskip(NEXT) | instid1(VALU_DEP_2)
	v_ldexp_f32 v24, v24, v27
	v_dual_add_f32 v27, -1.0, v26 :: v_dual_sub_f32 v28, v26, v28
	s_delay_alu instid0(VALU_DEP_1) | instskip(NEXT) | instid1(VALU_DEP_2)
	v_add_f32_e32 v30, 1.0, v27
	v_add_f32_e32 v28, v24, v28
	s_delay_alu instid0(VALU_DEP_2) | instskip(NEXT) | instid1(VALU_DEP_2)
	v_sub_f32_e32 v26, v26, v30
	v_add_f32_e32 v30, v29, v28
	s_delay_alu instid0(VALU_DEP_2) | instskip(NEXT) | instid1(VALU_DEP_2)
	v_add_f32_e32 v24, v24, v26
	v_rcp_f32_e32 v26, v30
	v_sub_f32_e32 v29, v29, v30
	s_delay_alu instid0(VALU_DEP_1) | instskip(NEXT) | instid1(VALU_DEP_1)
	v_dual_add_f32 v31, v27, v24 :: v_dual_add_f32 v28, v28, v29
	v_sub_f32_e32 v27, v27, v31
	s_waitcnt_depctr 0xfff
	v_mul_f32_e32 v32, v31, v26
	s_delay_alu instid0(VALU_DEP_1) | instskip(NEXT) | instid1(VALU_DEP_1)
	v_dual_add_f32 v24, v24, v27 :: v_dual_mul_f32 v33, v30, v32
	v_fma_f32 v29, v32, v30, -v33
	s_delay_alu instid0(VALU_DEP_1) | instskip(NEXT) | instid1(VALU_DEP_1)
	v_fmac_f32_e32 v29, v32, v28
	v_add_f32_e32 v34, v33, v29
	s_delay_alu instid0(VALU_DEP_1) | instskip(SKIP_1) | instid1(VALU_DEP_2)
	v_sub_f32_e32 v35, v31, v34
	v_sub_f32_e32 v27, v34, v33
	;; [unrolled: 1-line block ×3, first 2 shown]
	s_delay_alu instid0(VALU_DEP_2) | instskip(NEXT) | instid1(VALU_DEP_2)
	v_sub_f32_e32 v27, v27, v29
	v_sub_f32_e32 v31, v31, v34
	s_delay_alu instid0(VALU_DEP_1) | instskip(NEXT) | instid1(VALU_DEP_1)
	v_add_f32_e32 v24, v24, v31
	v_add_f32_e32 v24, v27, v24
	s_delay_alu instid0(VALU_DEP_1) | instskip(NEXT) | instid1(VALU_DEP_1)
	v_add_f32_e32 v27, v35, v24
	v_mul_f32_e32 v29, v26, v27
	s_delay_alu instid0(VALU_DEP_1) | instskip(NEXT) | instid1(VALU_DEP_1)
	v_dual_sub_f32 v34, v35, v27 :: v_dual_mul_f32 v31, v30, v29
	v_add_f32_e32 v24, v24, v34
	s_delay_alu instid0(VALU_DEP_2) | instskip(NEXT) | instid1(VALU_DEP_1)
	v_fma_f32 v30, v29, v30, -v31
	v_fmac_f32_e32 v30, v29, v28
	s_delay_alu instid0(VALU_DEP_1) | instskip(NEXT) | instid1(VALU_DEP_1)
	v_add_f32_e32 v28, v31, v30
	v_sub_f32_e32 v33, v27, v28
	v_sub_f32_e32 v31, v28, v31
	s_delay_alu instid0(VALU_DEP_2) | instskip(NEXT) | instid1(VALU_DEP_1)
	v_sub_f32_e32 v27, v27, v33
	v_sub_f32_e32 v27, v27, v28
	s_delay_alu instid0(VALU_DEP_3) | instskip(NEXT) | instid1(VALU_DEP_2)
	v_sub_f32_e32 v28, v31, v30
	v_add_f32_e32 v24, v24, v27
	v_add_f32_e32 v27, v32, v29
	s_delay_alu instid0(VALU_DEP_2) | instskip(NEXT) | instid1(VALU_DEP_2)
	v_add_f32_e32 v24, v28, v24
	v_sub_f32_e32 v28, v27, v32
	s_delay_alu instid0(VALU_DEP_2) | instskip(NEXT) | instid1(VALU_DEP_2)
	v_add_f32_e32 v24, v33, v24
	v_sub_f32_e32 v28, v29, v28
	s_delay_alu instid0(VALU_DEP_2) | instskip(NEXT) | instid1(VALU_DEP_1)
	v_mul_f32_e32 v24, v26, v24
	v_add_f32_e32 v24, v28, v24
	s_delay_alu instid0(VALU_DEP_1) | instskip(NEXT) | instid1(VALU_DEP_1)
	v_add_f32_e32 v26, v27, v24
	v_mul_f32_e32 v28, v26, v26
	s_delay_alu instid0(VALU_DEP_1) | instskip(SKIP_2) | instid1(VALU_DEP_3)
	v_fmaak_f32 v29, s6, v28, 0x3ecc95a3
	v_mul_f32_e32 v30, v26, v28
	v_cmp_eq_f32_e64 s6, 0x7f800000, v25
	v_fmaak_f32 v28, v28, v29, 0x3f2aaada
	v_ldexp_f32 v29, v26, 1
	v_sub_f32_e32 v26, v26, v27
	s_delay_alu instid0(VALU_DEP_4) | instskip(NEXT) | instid1(VALU_DEP_3)
	s_or_b32 s6, s6, s12
	v_mul_f32_e32 v28, v30, v28
	v_mul_f32_e32 v30, 0x3f317218, v23
	s_delay_alu instid0(VALU_DEP_2) | instskip(NEXT) | instid1(VALU_DEP_1)
	v_dual_sub_f32 v24, v24, v26 :: v_dual_add_f32 v27, v29, v28
	v_ldexp_f32 v24, v24, 1
	s_delay_alu instid0(VALU_DEP_2) | instskip(NEXT) | instid1(VALU_DEP_4)
	v_sub_f32_e32 v26, v27, v29
	v_fma_f32 v29, 0x3f317218, v23, -v30
	s_delay_alu instid0(VALU_DEP_1) | instskip(NEXT) | instid1(VALU_DEP_1)
	v_dual_sub_f32 v26, v28, v26 :: v_dual_fmamk_f32 v23, v23, 0xb102e308, v29
	v_add_f32_e32 v24, v24, v26
	s_delay_alu instid0(VALU_DEP_2) | instskip(NEXT) | instid1(VALU_DEP_2)
	v_add_f32_e32 v26, v30, v23
	v_add_f32_e32 v28, v27, v24
	s_delay_alu instid0(VALU_DEP_2) | instskip(NEXT) | instid1(VALU_DEP_2)
	v_sub_f32_e32 v30, v26, v30
	v_add_f32_e32 v29, v26, v28
	v_sub_f32_e32 v27, v28, v27
	s_delay_alu instid0(VALU_DEP_3) | instskip(NEXT) | instid1(VALU_DEP_2)
	v_sub_f32_e32 v23, v23, v30
	v_dual_sub_f32 v31, v29, v26 :: v_dual_sub_f32 v24, v24, v27
	s_delay_alu instid0(VALU_DEP_1) | instskip(NEXT) | instid1(VALU_DEP_2)
	v_sub_f32_e32 v32, v29, v31
	v_dual_sub_f32 v27, v28, v31 :: v_dual_add_f32 v28, v23, v24
	s_delay_alu instid0(VALU_DEP_2) | instskip(NEXT) | instid1(VALU_DEP_1)
	v_sub_f32_e32 v26, v26, v32
	v_dual_add_f32 v26, v27, v26 :: v_dual_sub_f32 v27, v28, v23
	s_delay_alu instid0(VALU_DEP_1) | instskip(NEXT) | instid1(VALU_DEP_2)
	v_add_f32_e32 v26, v28, v26
	v_sub_f32_e32 v28, v28, v27
	v_sub_f32_e32 v24, v24, v27
	s_delay_alu instid0(VALU_DEP_2) | instskip(NEXT) | instid1(VALU_DEP_1)
	v_dual_add_f32 v30, v29, v26 :: v_dual_sub_f32 v23, v23, v28
	v_sub_f32_e32 v27, v30, v29
	s_delay_alu instid0(VALU_DEP_2) | instskip(NEXT) | instid1(VALU_DEP_2)
	v_add_f32_e32 v23, v24, v23
	v_sub_f32_e32 v24, v26, v27
	s_delay_alu instid0(VALU_DEP_1) | instskip(NEXT) | instid1(VALU_DEP_1)
	v_add_f32_e32 v23, v23, v24
	v_add_f32_e32 v23, v30, v23
	s_delay_alu instid0(VALU_DEP_1) | instskip(NEXT) | instid1(VALU_DEP_1)
	v_cndmask_b32_e64 v23, v23, v25, s6
	v_add_f32_e32 v24, v22, v23
.LBB99_191:
	s_or_b32 exec_lo, exec_lo, s9
	s_delay_alu instid0(VALU_DEP_1)
	v_mov_b32_e32 v23, v24
.LBB99_192:
	s_or_b32 exec_lo, exec_lo, s8
	v_add_nc_u32_e32 v22, -1, v6
	s_delay_alu instid0(VALU_DEP_1) | instskip(NEXT) | instid1(VALU_DEP_1)
	v_cmp_gt_i32_e64 s6, 0, v22
	v_cndmask_b32_e64 v6, v22, v6, s6
	s_delay_alu instid0(VALU_DEP_1) | instskip(SKIP_4) | instid1(VALU_DEP_2)
	v_lshlrev_b32_e32 v6, 2, v6
	ds_bpermute_b32 v6, v6, v23
	s_waitcnt lgkmcnt(0)
	v_max_f32_e32 v22, v6, v6
	v_cmp_u_f32_e64 s6, v6, v6
	v_min_f32_e32 v23, v22, v21
	v_max_f32_e32 v21, v22, v21
	s_delay_alu instid0(VALU_DEP_2) | instskip(NEXT) | instid1(VALU_DEP_2)
	v_cndmask_b32_e64 v22, v23, v6, s6
	v_cndmask_b32_e64 v23, v21, v6, s6
	s_delay_alu instid0(VALU_DEP_2) | instskip(NEXT) | instid1(VALU_DEP_2)
	v_cndmask_b32_e64 v21, v22, v5, s5
	v_cndmask_b32_e64 v5, v23, v5, s5
	s_delay_alu instid0(VALU_DEP_2) | instskip(NEXT) | instid1(VALU_DEP_2)
	v_cmp_class_f32_e64 s6, v21, 0x1f8
	v_cmp_neq_f32_e64 s5, v21, v5
	s_delay_alu instid0(VALU_DEP_1) | instskip(NEXT) | instid1(SALU_CYCLE_1)
	s_or_b32 s5, s5, s6
	s_and_saveexec_b32 s6, s5
	s_cbranch_execz .LBB99_194
; %bb.193:
	v_sub_f32_e32 v6, v21, v5
	s_delay_alu instid0(VALU_DEP_1) | instskip(SKIP_1) | instid1(VALU_DEP_2)
	v_mul_f32_e32 v21, 0x3fb8aa3b, v6
	v_cmp_ngt_f32_e64 s5, 0xc2ce8ed0, v6
	v_fma_f32 v22, 0x3fb8aa3b, v6, -v21
	v_rndne_f32_e32 v23, v21
	s_delay_alu instid0(VALU_DEP_1) | instskip(NEXT) | instid1(VALU_DEP_1)
	v_dual_fmamk_f32 v22, v6, 0x32a5705f, v22 :: v_dual_sub_f32 v21, v21, v23
	v_add_f32_e32 v21, v21, v22
	v_cvt_i32_f32_e32 v22, v23
	s_delay_alu instid0(VALU_DEP_2) | instskip(SKIP_2) | instid1(VALU_DEP_1)
	v_exp_f32_e32 v21, v21
	s_waitcnt_depctr 0xfff
	v_ldexp_f32 v21, v21, v22
	v_cndmask_b32_e64 v21, 0, v21, s5
	v_cmp_nlt_f32_e64 s5, 0x42b17218, v6
	s_delay_alu instid0(VALU_DEP_1) | instskip(NEXT) | instid1(VALU_DEP_1)
	v_cndmask_b32_e64 v6, 0x7f800000, v21, s5
	v_add_f32_e32 v23, 1.0, v6
	v_cmp_gt_f32_e64 s8, 0x33800000, |v6|
	s_delay_alu instid0(VALU_DEP_2) | instskip(NEXT) | instid1(VALU_DEP_1)
	v_cvt_f64_f32_e32 v[21:22], v23
	v_frexp_exp_i32_f64_e32 v21, v[21:22]
	v_frexp_mant_f32_e32 v22, v23
	s_delay_alu instid0(VALU_DEP_1) | instskip(SKIP_1) | instid1(VALU_DEP_1)
	v_cmp_gt_f32_e64 s5, 0x3f2aaaab, v22
	v_add_f32_e32 v22, -1.0, v23
	v_sub_f32_e32 v25, v22, v23
	s_delay_alu instid0(VALU_DEP_1) | instskip(NEXT) | instid1(VALU_DEP_1)
	v_dual_sub_f32 v22, v6, v22 :: v_dual_add_f32 v25, 1.0, v25
	v_add_f32_e32 v22, v22, v25
	v_subrev_co_ci_u32_e64 v21, s5, 0, v21, s5
	s_mov_b32 s5, 0x3e9b6dac
	s_delay_alu instid0(VALU_DEP_1) | instskip(SKIP_1) | instid1(VALU_DEP_2)
	v_sub_nc_u32_e32 v24, 0, v21
	v_cvt_f32_i32_e32 v21, v21
	v_ldexp_f32 v23, v23, v24
	v_ldexp_f32 v22, v22, v24
	s_delay_alu instid0(VALU_DEP_2) | instskip(NEXT) | instid1(VALU_DEP_1)
	v_add_f32_e32 v26, 1.0, v23
	v_dual_add_f32 v24, -1.0, v23 :: v_dual_add_f32 v25, -1.0, v26
	s_delay_alu instid0(VALU_DEP_1) | instskip(NEXT) | instid1(VALU_DEP_2)
	v_add_f32_e32 v27, 1.0, v24
	v_sub_f32_e32 v25, v23, v25
	s_delay_alu instid0(VALU_DEP_2) | instskip(NEXT) | instid1(VALU_DEP_2)
	v_sub_f32_e32 v23, v23, v27
	v_add_f32_e32 v25, v22, v25
	s_delay_alu instid0(VALU_DEP_2) | instskip(NEXT) | instid1(VALU_DEP_1)
	v_add_f32_e32 v22, v22, v23
	v_dual_add_f32 v28, v24, v22 :: v_dual_add_f32 v27, v26, v25
	s_delay_alu instid0(VALU_DEP_1) | instskip(NEXT) | instid1(VALU_DEP_2)
	v_sub_f32_e32 v24, v24, v28
	v_rcp_f32_e32 v23, v27
	v_sub_f32_e32 v26, v26, v27
	s_delay_alu instid0(VALU_DEP_1) | instskip(SKIP_2) | instid1(VALU_DEP_1)
	v_dual_add_f32 v22, v22, v24 :: v_dual_add_f32 v25, v25, v26
	s_waitcnt_depctr 0xfff
	v_mul_f32_e32 v29, v28, v23
	v_mul_f32_e32 v30, v27, v29
	s_delay_alu instid0(VALU_DEP_1) | instskip(NEXT) | instid1(VALU_DEP_1)
	v_fma_f32 v26, v29, v27, -v30
	v_fmac_f32_e32 v26, v29, v25
	s_delay_alu instid0(VALU_DEP_1) | instskip(NEXT) | instid1(VALU_DEP_1)
	v_add_f32_e32 v31, v30, v26
	v_sub_f32_e32 v32, v28, v31
	s_delay_alu instid0(VALU_DEP_1) | instskip(SKIP_1) | instid1(VALU_DEP_2)
	v_sub_f32_e32 v28, v28, v32
	v_sub_f32_e32 v24, v31, v30
	;; [unrolled: 1-line block ×3, first 2 shown]
	s_delay_alu instid0(VALU_DEP_2) | instskip(NEXT) | instid1(VALU_DEP_2)
	v_sub_f32_e32 v24, v24, v26
	v_add_f32_e32 v22, v22, v28
	s_delay_alu instid0(VALU_DEP_1) | instskip(NEXT) | instid1(VALU_DEP_1)
	v_add_f32_e32 v22, v24, v22
	v_add_f32_e32 v24, v32, v22
	s_delay_alu instid0(VALU_DEP_1) | instskip(NEXT) | instid1(VALU_DEP_1)
	v_mul_f32_e32 v26, v23, v24
	v_dual_sub_f32 v31, v32, v24 :: v_dual_mul_f32 v28, v27, v26
	s_delay_alu instid0(VALU_DEP_1) | instskip(NEXT) | instid1(VALU_DEP_2)
	v_add_f32_e32 v22, v22, v31
	v_fma_f32 v27, v26, v27, -v28
	s_delay_alu instid0(VALU_DEP_1) | instskip(NEXT) | instid1(VALU_DEP_1)
	v_fmac_f32_e32 v27, v26, v25
	v_add_f32_e32 v25, v28, v27
	s_delay_alu instid0(VALU_DEP_1) | instskip(SKIP_1) | instid1(VALU_DEP_2)
	v_sub_f32_e32 v30, v24, v25
	v_sub_f32_e32 v28, v25, v28
	;; [unrolled: 1-line block ×3, first 2 shown]
	s_delay_alu instid0(VALU_DEP_1) | instskip(NEXT) | instid1(VALU_DEP_1)
	v_sub_f32_e32 v24, v24, v25
	v_dual_sub_f32 v25, v28, v27 :: v_dual_add_f32 v22, v22, v24
	v_add_f32_e32 v24, v29, v26
	s_delay_alu instid0(VALU_DEP_1) | instskip(NEXT) | instid1(VALU_DEP_1)
	v_dual_add_f32 v22, v25, v22 :: v_dual_sub_f32 v25, v24, v29
	v_add_f32_e32 v22, v30, v22
	s_delay_alu instid0(VALU_DEP_1) | instskip(NEXT) | instid1(VALU_DEP_1)
	v_dual_sub_f32 v25, v26, v25 :: v_dual_mul_f32 v22, v23, v22
	v_add_f32_e32 v22, v25, v22
	s_delay_alu instid0(VALU_DEP_1) | instskip(NEXT) | instid1(VALU_DEP_1)
	v_add_f32_e32 v23, v24, v22
	v_mul_f32_e32 v25, v23, v23
	s_delay_alu instid0(VALU_DEP_1) | instskip(SKIP_2) | instid1(VALU_DEP_3)
	v_fmaak_f32 v26, s5, v25, 0x3ecc95a3
	v_mul_f32_e32 v27, v23, v25
	v_cmp_eq_f32_e64 s5, 0x7f800000, v6
	v_fmaak_f32 v25, v25, v26, 0x3f2aaada
	v_ldexp_f32 v26, v23, 1
	v_sub_f32_e32 v23, v23, v24
	s_delay_alu instid0(VALU_DEP_4) | instskip(NEXT) | instid1(VALU_DEP_3)
	s_or_b32 s5, s5, s8
	v_mul_f32_e32 v25, v27, v25
	s_delay_alu instid0(VALU_DEP_2) | instskip(NEXT) | instid1(VALU_DEP_2)
	v_dual_mul_f32 v27, 0x3f317218, v21 :: v_dual_sub_f32 v22, v22, v23
	v_add_f32_e32 v24, v26, v25
	s_delay_alu instid0(VALU_DEP_2) | instskip(NEXT) | instid1(VALU_DEP_2)
	v_ldexp_f32 v22, v22, 1
	v_sub_f32_e32 v23, v24, v26
	s_delay_alu instid0(VALU_DEP_4) | instskip(NEXT) | instid1(VALU_DEP_2)
	v_fma_f32 v26, 0x3f317218, v21, -v27
	v_sub_f32_e32 v23, v25, v23
	s_delay_alu instid0(VALU_DEP_1) | instskip(NEXT) | instid1(VALU_DEP_1)
	v_dual_fmamk_f32 v21, v21, 0xb102e308, v26 :: v_dual_add_f32 v22, v22, v23
	v_add_f32_e32 v23, v27, v21
	s_delay_alu instid0(VALU_DEP_1) | instskip(NEXT) | instid1(VALU_DEP_1)
	v_sub_f32_e32 v27, v23, v27
	v_sub_f32_e32 v21, v21, v27
	s_delay_alu instid0(VALU_DEP_4) | instskip(NEXT) | instid1(VALU_DEP_1)
	v_add_f32_e32 v25, v24, v22
	v_sub_f32_e32 v24, v25, v24
	s_delay_alu instid0(VALU_DEP_1) | instskip(SKIP_1) | instid1(VALU_DEP_1)
	v_sub_f32_e32 v22, v22, v24
	v_add_f32_e32 v26, v23, v25
	v_sub_f32_e32 v28, v26, v23
	s_delay_alu instid0(VALU_DEP_1) | instskip(NEXT) | instid1(VALU_DEP_4)
	v_sub_f32_e32 v24, v25, v28
	v_add_f32_e32 v25, v21, v22
	v_sub_f32_e32 v29, v26, v28
	s_delay_alu instid0(VALU_DEP_1) | instskip(NEXT) | instid1(VALU_DEP_1)
	v_sub_f32_e32 v23, v23, v29
	v_dual_add_f32 v23, v24, v23 :: v_dual_sub_f32 v24, v25, v21
	s_delay_alu instid0(VALU_DEP_1) | instskip(SKIP_1) | instid1(VALU_DEP_2)
	v_dual_add_f32 v23, v25, v23 :: v_dual_sub_f32 v22, v22, v24
	v_sub_f32_e32 v25, v25, v24
	v_add_f32_e32 v27, v26, v23
	s_delay_alu instid0(VALU_DEP_1) | instskip(NEXT) | instid1(VALU_DEP_1)
	v_dual_sub_f32 v21, v21, v25 :: v_dual_sub_f32 v24, v27, v26
	v_dual_add_f32 v21, v22, v21 :: v_dual_sub_f32 v22, v23, v24
	s_delay_alu instid0(VALU_DEP_1) | instskip(NEXT) | instid1(VALU_DEP_1)
	v_add_f32_e32 v21, v21, v22
	v_add_f32_e32 v21, v27, v21
	s_delay_alu instid0(VALU_DEP_1) | instskip(NEXT) | instid1(VALU_DEP_1)
	v_cndmask_b32_e64 v6, v21, v6, s5
	v_add_f32_e32 v6, v5, v6
.LBB99_194:
	s_or_b32 exec_lo, exec_lo, s6
	s_delay_alu instid0(VALU_DEP_1)
	v_cndmask_b32_e64 v5, v6, v4, s4
	; wave barrier
	ds_store_b32 v20, v5
	; wave barrier
	ds_load_b32 v6, v20 offset:4
	v_max_f32_e32 v21, v5, v5
	v_cmp_u_f32_e64 s4, v5, v5
	s_waitcnt lgkmcnt(0)
	v_max_f32_e32 v22, v6, v6
	s_delay_alu instid0(VALU_DEP_1) | instskip(SKIP_1) | instid1(VALU_DEP_2)
	v_min_f32_e32 v23, v21, v22
	v_max_f32_e32 v21, v21, v22
	v_cndmask_b32_e64 v22, v23, v5, s4
	s_delay_alu instid0(VALU_DEP_2) | instskip(SKIP_1) | instid1(VALU_DEP_1)
	v_cndmask_b32_e64 v23, v21, v5, s4
	v_cmp_u_f32_e64 s4, v6, v6
	v_cndmask_b32_e64 v21, v22, v6, s4
	s_delay_alu instid0(VALU_DEP_3) | instskip(NEXT) | instid1(VALU_DEP_2)
	v_cndmask_b32_e64 v6, v23, v6, s4
	v_cmp_class_f32_e64 s5, v21, 0x1f8
	s_delay_alu instid0(VALU_DEP_2) | instskip(NEXT) | instid1(VALU_DEP_1)
	v_cmp_neq_f32_e64 s4, v21, v6
	s_or_b32 s4, s4, s5
	s_delay_alu instid0(SALU_CYCLE_1)
	s_and_saveexec_b32 s5, s4
	s_cbranch_execz .LBB99_196
; %bb.195:
	v_sub_f32_e32 v5, v21, v6
	s_delay_alu instid0(VALU_DEP_1) | instskip(SKIP_1) | instid1(VALU_DEP_2)
	v_mul_f32_e32 v21, 0x3fb8aa3b, v5
	v_cmp_ngt_f32_e64 s4, 0xc2ce8ed0, v5
	v_fma_f32 v22, 0x3fb8aa3b, v5, -v21
	v_rndne_f32_e32 v23, v21
	s_delay_alu instid0(VALU_DEP_2) | instskip(NEXT) | instid1(VALU_DEP_2)
	v_fmamk_f32 v22, v5, 0x32a5705f, v22
	v_sub_f32_e32 v21, v21, v23
	s_delay_alu instid0(VALU_DEP_1) | instskip(SKIP_1) | instid1(VALU_DEP_2)
	v_add_f32_e32 v21, v21, v22
	v_cvt_i32_f32_e32 v22, v23
	v_exp_f32_e32 v21, v21
	s_waitcnt_depctr 0xfff
	v_ldexp_f32 v21, v21, v22
	s_delay_alu instid0(VALU_DEP_1) | instskip(SKIP_1) | instid1(VALU_DEP_1)
	v_cndmask_b32_e64 v21, 0, v21, s4
	v_cmp_nlt_f32_e64 s4, 0x42b17218, v5
	v_cndmask_b32_e64 v5, 0x7f800000, v21, s4
	s_delay_alu instid0(VALU_DEP_1) | instskip(SKIP_1) | instid1(VALU_DEP_2)
	v_add_f32_e32 v23, 1.0, v5
	v_cmp_gt_f32_e64 s6, 0x33800000, |v5|
	v_cvt_f64_f32_e32 v[21:22], v23
	s_delay_alu instid0(VALU_DEP_1) | instskip(SKIP_1) | instid1(VALU_DEP_1)
	v_frexp_exp_i32_f64_e32 v21, v[21:22]
	v_frexp_mant_f32_e32 v22, v23
	v_cmp_gt_f32_e64 s4, 0x3f2aaaab, v22
	v_add_f32_e32 v22, -1.0, v23
	s_delay_alu instid0(VALU_DEP_1) | instskip(NEXT) | instid1(VALU_DEP_3)
	v_dual_sub_f32 v25, v22, v23 :: v_dual_sub_f32 v22, v5, v22
	v_subrev_co_ci_u32_e64 v21, s4, 0, v21, s4
	s_mov_b32 s4, 0x3e9b6dac
	s_delay_alu instid0(VALU_DEP_1) | instskip(SKIP_1) | instid1(VALU_DEP_2)
	v_sub_nc_u32_e32 v24, 0, v21
	v_cvt_f32_i32_e32 v21, v21
	v_ldexp_f32 v23, v23, v24
	s_delay_alu instid0(VALU_DEP_1) | instskip(NEXT) | instid1(VALU_DEP_1)
	v_dual_add_f32 v25, 1.0, v25 :: v_dual_add_f32 v26, 1.0, v23
	v_add_f32_e32 v22, v22, v25
	s_delay_alu instid0(VALU_DEP_1) | instskip(NEXT) | instid1(VALU_DEP_3)
	v_ldexp_f32 v22, v22, v24
	v_dual_add_f32 v24, -1.0, v23 :: v_dual_add_f32 v25, -1.0, v26
	s_delay_alu instid0(VALU_DEP_1) | instskip(NEXT) | instid1(VALU_DEP_2)
	v_add_f32_e32 v27, 1.0, v24
	v_sub_f32_e32 v25, v23, v25
	s_delay_alu instid0(VALU_DEP_2) | instskip(NEXT) | instid1(VALU_DEP_2)
	v_sub_f32_e32 v23, v23, v27
	v_add_f32_e32 v25, v22, v25
	s_delay_alu instid0(VALU_DEP_2) | instskip(NEXT) | instid1(VALU_DEP_1)
	v_add_f32_e32 v22, v22, v23
	v_dual_add_f32 v28, v24, v22 :: v_dual_add_f32 v27, v26, v25
	s_delay_alu instid0(VALU_DEP_1) | instskip(NEXT) | instid1(VALU_DEP_2)
	v_sub_f32_e32 v24, v24, v28
	v_rcp_f32_e32 v23, v27
	v_sub_f32_e32 v26, v26, v27
	s_delay_alu instid0(VALU_DEP_1) | instskip(SKIP_2) | instid1(VALU_DEP_1)
	v_dual_add_f32 v22, v22, v24 :: v_dual_add_f32 v25, v25, v26
	s_waitcnt_depctr 0xfff
	v_mul_f32_e32 v29, v28, v23
	v_mul_f32_e32 v30, v27, v29
	s_delay_alu instid0(VALU_DEP_1) | instskip(NEXT) | instid1(VALU_DEP_1)
	v_fma_f32 v26, v29, v27, -v30
	v_fmac_f32_e32 v26, v29, v25
	s_delay_alu instid0(VALU_DEP_1) | instskip(NEXT) | instid1(VALU_DEP_1)
	v_add_f32_e32 v31, v30, v26
	v_sub_f32_e32 v32, v28, v31
	v_sub_f32_e32 v24, v31, v30
	s_delay_alu instid0(VALU_DEP_2) | instskip(NEXT) | instid1(VALU_DEP_2)
	v_sub_f32_e32 v28, v28, v32
	v_sub_f32_e32 v24, v24, v26
	s_delay_alu instid0(VALU_DEP_2) | instskip(NEXT) | instid1(VALU_DEP_1)
	v_sub_f32_e32 v28, v28, v31
	v_add_f32_e32 v22, v22, v28
	s_delay_alu instid0(VALU_DEP_1) | instskip(NEXT) | instid1(VALU_DEP_1)
	v_add_f32_e32 v22, v24, v22
	v_add_f32_e32 v24, v32, v22
	s_delay_alu instid0(VALU_DEP_1) | instskip(NEXT) | instid1(VALU_DEP_1)
	v_mul_f32_e32 v26, v23, v24
	v_dual_sub_f32 v31, v32, v24 :: v_dual_mul_f32 v28, v27, v26
	s_delay_alu instid0(VALU_DEP_1) | instskip(NEXT) | instid1(VALU_DEP_2)
	v_add_f32_e32 v22, v22, v31
	v_fma_f32 v27, v26, v27, -v28
	s_delay_alu instid0(VALU_DEP_1) | instskip(NEXT) | instid1(VALU_DEP_1)
	v_fmac_f32_e32 v27, v26, v25
	v_add_f32_e32 v25, v28, v27
	s_delay_alu instid0(VALU_DEP_1) | instskip(NEXT) | instid1(VALU_DEP_1)
	v_sub_f32_e32 v30, v24, v25
	v_sub_f32_e32 v24, v24, v30
	s_delay_alu instid0(VALU_DEP_1) | instskip(NEXT) | instid1(VALU_DEP_1)
	v_sub_f32_e32 v24, v24, v25
	v_add_f32_e32 v22, v22, v24
	v_add_f32_e32 v24, v29, v26
	v_sub_f32_e32 v28, v25, v28
	s_delay_alu instid0(VALU_DEP_1) | instskip(NEXT) | instid1(VALU_DEP_1)
	v_sub_f32_e32 v25, v28, v27
	v_dual_add_f32 v22, v25, v22 :: v_dual_sub_f32 v25, v24, v29
	s_delay_alu instid0(VALU_DEP_1) | instskip(NEXT) | instid1(VALU_DEP_1)
	v_add_f32_e32 v22, v30, v22
	v_dual_sub_f32 v25, v26, v25 :: v_dual_mul_f32 v22, v23, v22
	s_delay_alu instid0(VALU_DEP_1) | instskip(NEXT) | instid1(VALU_DEP_1)
	v_add_f32_e32 v22, v25, v22
	v_add_f32_e32 v23, v24, v22
	s_delay_alu instid0(VALU_DEP_1) | instskip(NEXT) | instid1(VALU_DEP_1)
	v_mul_f32_e32 v25, v23, v23
	v_fmaak_f32 v26, s4, v25, 0x3ecc95a3
	v_mul_f32_e32 v27, v23, v25
	v_cmp_eq_f32_e64 s4, 0x7f800000, v5
	s_delay_alu instid0(VALU_DEP_3) | instskip(SKIP_2) | instid1(VALU_DEP_4)
	v_fmaak_f32 v25, v25, v26, 0x3f2aaada
	v_ldexp_f32 v26, v23, 1
	v_sub_f32_e32 v23, v23, v24
	s_or_b32 s4, s4, s6
	s_delay_alu instid0(VALU_DEP_3) | instskip(NEXT) | instid1(VALU_DEP_2)
	v_mul_f32_e32 v25, v27, v25
	v_dual_mul_f32 v27, 0x3f317218, v21 :: v_dual_sub_f32 v22, v22, v23
	s_delay_alu instid0(VALU_DEP_2) | instskip(NEXT) | instid1(VALU_DEP_2)
	v_add_f32_e32 v24, v26, v25
	v_ldexp_f32 v22, v22, 1
	s_delay_alu instid0(VALU_DEP_2) | instskip(NEXT) | instid1(VALU_DEP_4)
	v_sub_f32_e32 v23, v24, v26
	v_fma_f32 v26, 0x3f317218, v21, -v27
	s_delay_alu instid0(VALU_DEP_2) | instskip(NEXT) | instid1(VALU_DEP_1)
	v_sub_f32_e32 v23, v25, v23
	v_dual_fmamk_f32 v21, v21, 0xb102e308, v26 :: v_dual_add_f32 v22, v22, v23
	s_delay_alu instid0(VALU_DEP_1) | instskip(NEXT) | instid1(VALU_DEP_1)
	v_add_f32_e32 v23, v27, v21
	v_sub_f32_e32 v27, v23, v27
	s_delay_alu instid0(VALU_DEP_1) | instskip(NEXT) | instid1(VALU_DEP_4)
	v_sub_f32_e32 v21, v21, v27
	v_add_f32_e32 v25, v24, v22
	s_delay_alu instid0(VALU_DEP_1) | instskip(NEXT) | instid1(VALU_DEP_1)
	v_sub_f32_e32 v24, v25, v24
	v_sub_f32_e32 v22, v22, v24
	v_add_f32_e32 v26, v23, v25
	s_delay_alu instid0(VALU_DEP_1) | instskip(NEXT) | instid1(VALU_DEP_1)
	v_sub_f32_e32 v28, v26, v23
	v_sub_f32_e32 v24, v25, v28
	s_delay_alu instid0(VALU_DEP_4) | instskip(SKIP_1) | instid1(VALU_DEP_1)
	v_add_f32_e32 v25, v21, v22
	v_sub_f32_e32 v29, v26, v28
	v_sub_f32_e32 v23, v23, v29
	s_delay_alu instid0(VALU_DEP_1) | instskip(NEXT) | instid1(VALU_DEP_1)
	v_dual_add_f32 v23, v24, v23 :: v_dual_sub_f32 v24, v25, v21
	v_dual_add_f32 v23, v25, v23 :: v_dual_sub_f32 v22, v22, v24
	v_sub_f32_e32 v25, v25, v24
	s_delay_alu instid0(VALU_DEP_2) | instskip(NEXT) | instid1(VALU_DEP_1)
	v_add_f32_e32 v27, v26, v23
	v_dual_sub_f32 v21, v21, v25 :: v_dual_sub_f32 v24, v27, v26
	s_delay_alu instid0(VALU_DEP_1) | instskip(NEXT) | instid1(VALU_DEP_1)
	v_dual_add_f32 v21, v22, v21 :: v_dual_sub_f32 v22, v23, v24
	v_add_f32_e32 v21, v21, v22
	s_delay_alu instid0(VALU_DEP_1) | instskip(NEXT) | instid1(VALU_DEP_1)
	v_add_f32_e32 v21, v27, v21
	v_cndmask_b32_e64 v5, v21, v5, s4
	s_delay_alu instid0(VALU_DEP_1)
	v_add_f32_e32 v5, v6, v5
.LBB99_196:
	s_or_b32 exec_lo, exec_lo, s5
	ds_load_b32 v6, v20 offset:8
	v_max_f32_e32 v21, v5, v5
	v_cmp_u_f32_e64 s4, v5, v5
	ds_store_b32 v20, v5 offset:4
	s_waitcnt lgkmcnt(1)
	v_max_f32_e32 v22, v6, v6
	s_delay_alu instid0(VALU_DEP_1) | instskip(SKIP_1) | instid1(VALU_DEP_2)
	v_min_f32_e32 v23, v21, v22
	v_max_f32_e32 v21, v21, v22
	v_cndmask_b32_e64 v22, v23, v5, s4
	s_delay_alu instid0(VALU_DEP_2) | instskip(SKIP_1) | instid1(VALU_DEP_1)
	v_cndmask_b32_e64 v23, v21, v5, s4
	v_cmp_u_f32_e64 s4, v6, v6
	v_cndmask_b32_e64 v21, v22, v6, s4
	s_delay_alu instid0(VALU_DEP_3) | instskip(NEXT) | instid1(VALU_DEP_2)
	v_cndmask_b32_e64 v6, v23, v6, s4
	v_cmp_class_f32_e64 s5, v21, 0x1f8
	s_delay_alu instid0(VALU_DEP_2) | instskip(NEXT) | instid1(VALU_DEP_1)
	v_cmp_neq_f32_e64 s4, v21, v6
	s_or_b32 s4, s4, s5
	s_delay_alu instid0(SALU_CYCLE_1)
	s_and_saveexec_b32 s5, s4
	s_cbranch_execz .LBB99_198
; %bb.197:
	v_sub_f32_e32 v5, v21, v6
	s_delay_alu instid0(VALU_DEP_1) | instskip(SKIP_1) | instid1(VALU_DEP_2)
	v_mul_f32_e32 v21, 0x3fb8aa3b, v5
	v_cmp_ngt_f32_e64 s4, 0xc2ce8ed0, v5
	v_fma_f32 v22, 0x3fb8aa3b, v5, -v21
	v_rndne_f32_e32 v23, v21
	s_delay_alu instid0(VALU_DEP_2) | instskip(NEXT) | instid1(VALU_DEP_2)
	v_fmamk_f32 v22, v5, 0x32a5705f, v22
	v_sub_f32_e32 v21, v21, v23
	s_delay_alu instid0(VALU_DEP_1) | instskip(SKIP_1) | instid1(VALU_DEP_2)
	v_add_f32_e32 v21, v21, v22
	v_cvt_i32_f32_e32 v22, v23
	v_exp_f32_e32 v21, v21
	s_waitcnt_depctr 0xfff
	v_ldexp_f32 v21, v21, v22
	s_delay_alu instid0(VALU_DEP_1) | instskip(SKIP_1) | instid1(VALU_DEP_1)
	v_cndmask_b32_e64 v21, 0, v21, s4
	v_cmp_nlt_f32_e64 s4, 0x42b17218, v5
	v_cndmask_b32_e64 v5, 0x7f800000, v21, s4
	s_delay_alu instid0(VALU_DEP_1) | instskip(SKIP_1) | instid1(VALU_DEP_2)
	v_add_f32_e32 v23, 1.0, v5
	v_cmp_gt_f32_e64 s6, 0x33800000, |v5|
	v_cvt_f64_f32_e32 v[21:22], v23
	s_delay_alu instid0(VALU_DEP_1) | instskip(SKIP_1) | instid1(VALU_DEP_1)
	v_frexp_exp_i32_f64_e32 v21, v[21:22]
	v_frexp_mant_f32_e32 v22, v23
	v_cmp_gt_f32_e64 s4, 0x3f2aaaab, v22
	v_add_f32_e32 v22, -1.0, v23
	s_delay_alu instid0(VALU_DEP_1) | instskip(NEXT) | instid1(VALU_DEP_3)
	v_dual_sub_f32 v25, v22, v23 :: v_dual_sub_f32 v22, v5, v22
	v_subrev_co_ci_u32_e64 v21, s4, 0, v21, s4
	s_mov_b32 s4, 0x3e9b6dac
	s_delay_alu instid0(VALU_DEP_1) | instskip(SKIP_1) | instid1(VALU_DEP_2)
	v_sub_nc_u32_e32 v24, 0, v21
	v_cvt_f32_i32_e32 v21, v21
	v_ldexp_f32 v23, v23, v24
	s_delay_alu instid0(VALU_DEP_1) | instskip(NEXT) | instid1(VALU_DEP_1)
	v_dual_add_f32 v25, 1.0, v25 :: v_dual_add_f32 v26, 1.0, v23
	v_add_f32_e32 v22, v22, v25
	s_delay_alu instid0(VALU_DEP_1) | instskip(NEXT) | instid1(VALU_DEP_3)
	v_ldexp_f32 v22, v22, v24
	v_dual_add_f32 v24, -1.0, v23 :: v_dual_add_f32 v25, -1.0, v26
	s_delay_alu instid0(VALU_DEP_1) | instskip(NEXT) | instid1(VALU_DEP_2)
	v_add_f32_e32 v27, 1.0, v24
	v_sub_f32_e32 v25, v23, v25
	s_delay_alu instid0(VALU_DEP_2) | instskip(NEXT) | instid1(VALU_DEP_2)
	v_sub_f32_e32 v23, v23, v27
	v_add_f32_e32 v25, v22, v25
	s_delay_alu instid0(VALU_DEP_2) | instskip(NEXT) | instid1(VALU_DEP_1)
	v_add_f32_e32 v22, v22, v23
	v_dual_add_f32 v28, v24, v22 :: v_dual_add_f32 v27, v26, v25
	s_delay_alu instid0(VALU_DEP_1) | instskip(NEXT) | instid1(VALU_DEP_2)
	v_sub_f32_e32 v24, v24, v28
	v_rcp_f32_e32 v23, v27
	v_sub_f32_e32 v26, v26, v27
	s_delay_alu instid0(VALU_DEP_1) | instskip(SKIP_2) | instid1(VALU_DEP_1)
	v_dual_add_f32 v22, v22, v24 :: v_dual_add_f32 v25, v25, v26
	s_waitcnt_depctr 0xfff
	v_mul_f32_e32 v29, v28, v23
	v_mul_f32_e32 v30, v27, v29
	s_delay_alu instid0(VALU_DEP_1) | instskip(NEXT) | instid1(VALU_DEP_1)
	v_fma_f32 v26, v29, v27, -v30
	v_fmac_f32_e32 v26, v29, v25
	s_delay_alu instid0(VALU_DEP_1) | instskip(NEXT) | instid1(VALU_DEP_1)
	v_add_f32_e32 v31, v30, v26
	v_sub_f32_e32 v32, v28, v31
	v_sub_f32_e32 v24, v31, v30
	s_delay_alu instid0(VALU_DEP_2) | instskip(NEXT) | instid1(VALU_DEP_2)
	v_sub_f32_e32 v28, v28, v32
	v_sub_f32_e32 v24, v24, v26
	s_delay_alu instid0(VALU_DEP_2) | instskip(NEXT) | instid1(VALU_DEP_1)
	v_sub_f32_e32 v28, v28, v31
	v_add_f32_e32 v22, v22, v28
	s_delay_alu instid0(VALU_DEP_1) | instskip(NEXT) | instid1(VALU_DEP_1)
	v_add_f32_e32 v22, v24, v22
	v_add_f32_e32 v24, v32, v22
	s_delay_alu instid0(VALU_DEP_1) | instskip(NEXT) | instid1(VALU_DEP_1)
	v_mul_f32_e32 v26, v23, v24
	v_dual_sub_f32 v31, v32, v24 :: v_dual_mul_f32 v28, v27, v26
	s_delay_alu instid0(VALU_DEP_1) | instskip(NEXT) | instid1(VALU_DEP_2)
	v_add_f32_e32 v22, v22, v31
	v_fma_f32 v27, v26, v27, -v28
	s_delay_alu instid0(VALU_DEP_1) | instskip(NEXT) | instid1(VALU_DEP_1)
	v_fmac_f32_e32 v27, v26, v25
	v_add_f32_e32 v25, v28, v27
	s_delay_alu instid0(VALU_DEP_1) | instskip(NEXT) | instid1(VALU_DEP_1)
	v_sub_f32_e32 v30, v24, v25
	v_sub_f32_e32 v24, v24, v30
	s_delay_alu instid0(VALU_DEP_1) | instskip(NEXT) | instid1(VALU_DEP_1)
	v_sub_f32_e32 v24, v24, v25
	v_add_f32_e32 v22, v22, v24
	v_add_f32_e32 v24, v29, v26
	v_sub_f32_e32 v28, v25, v28
	s_delay_alu instid0(VALU_DEP_1) | instskip(NEXT) | instid1(VALU_DEP_1)
	v_sub_f32_e32 v25, v28, v27
	v_dual_add_f32 v22, v25, v22 :: v_dual_sub_f32 v25, v24, v29
	s_delay_alu instid0(VALU_DEP_1) | instskip(NEXT) | instid1(VALU_DEP_1)
	v_add_f32_e32 v22, v30, v22
	v_dual_sub_f32 v25, v26, v25 :: v_dual_mul_f32 v22, v23, v22
	s_delay_alu instid0(VALU_DEP_1) | instskip(NEXT) | instid1(VALU_DEP_1)
	v_add_f32_e32 v22, v25, v22
	v_add_f32_e32 v23, v24, v22
	s_delay_alu instid0(VALU_DEP_1) | instskip(NEXT) | instid1(VALU_DEP_1)
	v_mul_f32_e32 v25, v23, v23
	v_fmaak_f32 v26, s4, v25, 0x3ecc95a3
	v_mul_f32_e32 v27, v23, v25
	v_cmp_eq_f32_e64 s4, 0x7f800000, v5
	s_delay_alu instid0(VALU_DEP_3) | instskip(SKIP_2) | instid1(VALU_DEP_4)
	v_fmaak_f32 v25, v25, v26, 0x3f2aaada
	v_ldexp_f32 v26, v23, 1
	v_sub_f32_e32 v23, v23, v24
	s_or_b32 s4, s4, s6
	s_delay_alu instid0(VALU_DEP_3) | instskip(NEXT) | instid1(VALU_DEP_2)
	v_mul_f32_e32 v25, v27, v25
	v_dual_mul_f32 v27, 0x3f317218, v21 :: v_dual_sub_f32 v22, v22, v23
	s_delay_alu instid0(VALU_DEP_2) | instskip(NEXT) | instid1(VALU_DEP_2)
	v_add_f32_e32 v24, v26, v25
	v_ldexp_f32 v22, v22, 1
	s_delay_alu instid0(VALU_DEP_2) | instskip(NEXT) | instid1(VALU_DEP_4)
	v_sub_f32_e32 v23, v24, v26
	v_fma_f32 v26, 0x3f317218, v21, -v27
	s_delay_alu instid0(VALU_DEP_2) | instskip(NEXT) | instid1(VALU_DEP_1)
	v_sub_f32_e32 v23, v25, v23
	v_dual_fmamk_f32 v21, v21, 0xb102e308, v26 :: v_dual_add_f32 v22, v22, v23
	s_delay_alu instid0(VALU_DEP_1) | instskip(NEXT) | instid1(VALU_DEP_1)
	v_add_f32_e32 v23, v27, v21
	v_sub_f32_e32 v27, v23, v27
	s_delay_alu instid0(VALU_DEP_1) | instskip(NEXT) | instid1(VALU_DEP_4)
	v_sub_f32_e32 v21, v21, v27
	v_add_f32_e32 v25, v24, v22
	s_delay_alu instid0(VALU_DEP_1) | instskip(NEXT) | instid1(VALU_DEP_1)
	v_sub_f32_e32 v24, v25, v24
	v_sub_f32_e32 v22, v22, v24
	v_add_f32_e32 v26, v23, v25
	s_delay_alu instid0(VALU_DEP_1) | instskip(NEXT) | instid1(VALU_DEP_1)
	v_sub_f32_e32 v28, v26, v23
	v_sub_f32_e32 v24, v25, v28
	s_delay_alu instid0(VALU_DEP_4) | instskip(SKIP_1) | instid1(VALU_DEP_1)
	v_add_f32_e32 v25, v21, v22
	v_sub_f32_e32 v29, v26, v28
	v_sub_f32_e32 v23, v23, v29
	s_delay_alu instid0(VALU_DEP_1) | instskip(NEXT) | instid1(VALU_DEP_1)
	v_dual_add_f32 v23, v24, v23 :: v_dual_sub_f32 v24, v25, v21
	v_dual_add_f32 v23, v25, v23 :: v_dual_sub_f32 v22, v22, v24
	v_sub_f32_e32 v25, v25, v24
	s_delay_alu instid0(VALU_DEP_2) | instskip(NEXT) | instid1(VALU_DEP_1)
	v_add_f32_e32 v27, v26, v23
	v_dual_sub_f32 v21, v21, v25 :: v_dual_sub_f32 v24, v27, v26
	s_delay_alu instid0(VALU_DEP_1) | instskip(NEXT) | instid1(VALU_DEP_1)
	v_dual_add_f32 v21, v22, v21 :: v_dual_sub_f32 v22, v23, v24
	v_add_f32_e32 v21, v21, v22
	s_delay_alu instid0(VALU_DEP_1) | instskip(NEXT) | instid1(VALU_DEP_1)
	v_add_f32_e32 v21, v27, v21
	v_cndmask_b32_e64 v5, v21, v5, s4
	s_delay_alu instid0(VALU_DEP_1)
	v_add_f32_e32 v5, v6, v5
.LBB99_198:
	s_or_b32 exec_lo, exec_lo, s5
	ds_load_b32 v6, v20 offset:12
	v_max_f32_e32 v21, v5, v5
	v_cmp_u_f32_e64 s4, v5, v5
	ds_store_b32 v20, v5 offset:8
	s_waitcnt lgkmcnt(1)
	v_max_f32_e32 v22, v6, v6
	s_delay_alu instid0(VALU_DEP_1) | instskip(SKIP_1) | instid1(VALU_DEP_2)
	v_min_f32_e32 v23, v21, v22
	v_max_f32_e32 v21, v21, v22
	v_cndmask_b32_e64 v22, v23, v5, s4
	s_delay_alu instid0(VALU_DEP_2) | instskip(SKIP_1) | instid1(VALU_DEP_1)
	v_cndmask_b32_e64 v23, v21, v5, s4
	v_cmp_u_f32_e64 s4, v6, v6
	v_cndmask_b32_e64 v21, v22, v6, s4
	s_delay_alu instid0(VALU_DEP_3) | instskip(NEXT) | instid1(VALU_DEP_2)
	v_cndmask_b32_e64 v6, v23, v6, s4
	v_cmp_class_f32_e64 s5, v21, 0x1f8
	s_delay_alu instid0(VALU_DEP_2) | instskip(NEXT) | instid1(VALU_DEP_1)
	v_cmp_neq_f32_e64 s4, v21, v6
	s_or_b32 s4, s4, s5
	s_delay_alu instid0(SALU_CYCLE_1)
	s_and_saveexec_b32 s5, s4
	s_cbranch_execz .LBB99_200
; %bb.199:
	v_sub_f32_e32 v5, v21, v6
	s_delay_alu instid0(VALU_DEP_1) | instskip(SKIP_1) | instid1(VALU_DEP_2)
	v_mul_f32_e32 v21, 0x3fb8aa3b, v5
	v_cmp_ngt_f32_e64 s4, 0xc2ce8ed0, v5
	v_fma_f32 v22, 0x3fb8aa3b, v5, -v21
	v_rndne_f32_e32 v23, v21
	s_delay_alu instid0(VALU_DEP_2) | instskip(NEXT) | instid1(VALU_DEP_2)
	v_fmamk_f32 v22, v5, 0x32a5705f, v22
	v_sub_f32_e32 v21, v21, v23
	s_delay_alu instid0(VALU_DEP_1) | instskip(SKIP_1) | instid1(VALU_DEP_2)
	v_add_f32_e32 v21, v21, v22
	v_cvt_i32_f32_e32 v22, v23
	v_exp_f32_e32 v21, v21
	s_waitcnt_depctr 0xfff
	v_ldexp_f32 v21, v21, v22
	s_delay_alu instid0(VALU_DEP_1) | instskip(SKIP_1) | instid1(VALU_DEP_1)
	v_cndmask_b32_e64 v21, 0, v21, s4
	v_cmp_nlt_f32_e64 s4, 0x42b17218, v5
	v_cndmask_b32_e64 v5, 0x7f800000, v21, s4
	s_delay_alu instid0(VALU_DEP_1) | instskip(SKIP_1) | instid1(VALU_DEP_2)
	v_add_f32_e32 v23, 1.0, v5
	v_cmp_gt_f32_e64 s6, 0x33800000, |v5|
	v_cvt_f64_f32_e32 v[21:22], v23
	s_delay_alu instid0(VALU_DEP_1) | instskip(SKIP_1) | instid1(VALU_DEP_1)
	v_frexp_exp_i32_f64_e32 v21, v[21:22]
	v_frexp_mant_f32_e32 v22, v23
	v_cmp_gt_f32_e64 s4, 0x3f2aaaab, v22
	v_add_f32_e32 v22, -1.0, v23
	s_delay_alu instid0(VALU_DEP_1) | instskip(NEXT) | instid1(VALU_DEP_3)
	v_dual_sub_f32 v25, v22, v23 :: v_dual_sub_f32 v22, v5, v22
	v_subrev_co_ci_u32_e64 v21, s4, 0, v21, s4
	s_mov_b32 s4, 0x3e9b6dac
	s_delay_alu instid0(VALU_DEP_1) | instskip(SKIP_1) | instid1(VALU_DEP_2)
	v_sub_nc_u32_e32 v24, 0, v21
	v_cvt_f32_i32_e32 v21, v21
	v_ldexp_f32 v23, v23, v24
	s_delay_alu instid0(VALU_DEP_1) | instskip(NEXT) | instid1(VALU_DEP_1)
	v_dual_add_f32 v25, 1.0, v25 :: v_dual_add_f32 v26, 1.0, v23
	v_add_f32_e32 v22, v22, v25
	s_delay_alu instid0(VALU_DEP_1) | instskip(NEXT) | instid1(VALU_DEP_3)
	v_ldexp_f32 v22, v22, v24
	v_dual_add_f32 v24, -1.0, v23 :: v_dual_add_f32 v25, -1.0, v26
	s_delay_alu instid0(VALU_DEP_1) | instskip(NEXT) | instid1(VALU_DEP_2)
	v_add_f32_e32 v27, 1.0, v24
	v_sub_f32_e32 v25, v23, v25
	s_delay_alu instid0(VALU_DEP_2) | instskip(NEXT) | instid1(VALU_DEP_2)
	v_sub_f32_e32 v23, v23, v27
	v_add_f32_e32 v25, v22, v25
	s_delay_alu instid0(VALU_DEP_2) | instskip(NEXT) | instid1(VALU_DEP_1)
	v_add_f32_e32 v22, v22, v23
	v_dual_add_f32 v28, v24, v22 :: v_dual_add_f32 v27, v26, v25
	s_delay_alu instid0(VALU_DEP_1) | instskip(NEXT) | instid1(VALU_DEP_2)
	v_sub_f32_e32 v24, v24, v28
	v_rcp_f32_e32 v23, v27
	v_sub_f32_e32 v26, v26, v27
	s_delay_alu instid0(VALU_DEP_1) | instskip(SKIP_2) | instid1(VALU_DEP_1)
	v_dual_add_f32 v22, v22, v24 :: v_dual_add_f32 v25, v25, v26
	s_waitcnt_depctr 0xfff
	v_mul_f32_e32 v29, v28, v23
	v_mul_f32_e32 v30, v27, v29
	s_delay_alu instid0(VALU_DEP_1) | instskip(NEXT) | instid1(VALU_DEP_1)
	v_fma_f32 v26, v29, v27, -v30
	v_fmac_f32_e32 v26, v29, v25
	s_delay_alu instid0(VALU_DEP_1) | instskip(NEXT) | instid1(VALU_DEP_1)
	v_add_f32_e32 v31, v30, v26
	v_sub_f32_e32 v32, v28, v31
	v_sub_f32_e32 v24, v31, v30
	s_delay_alu instid0(VALU_DEP_2) | instskip(NEXT) | instid1(VALU_DEP_2)
	v_sub_f32_e32 v28, v28, v32
	v_sub_f32_e32 v24, v24, v26
	s_delay_alu instid0(VALU_DEP_2) | instskip(NEXT) | instid1(VALU_DEP_1)
	v_sub_f32_e32 v28, v28, v31
	v_add_f32_e32 v22, v22, v28
	s_delay_alu instid0(VALU_DEP_1) | instskip(NEXT) | instid1(VALU_DEP_1)
	v_add_f32_e32 v22, v24, v22
	v_add_f32_e32 v24, v32, v22
	s_delay_alu instid0(VALU_DEP_1) | instskip(NEXT) | instid1(VALU_DEP_1)
	v_mul_f32_e32 v26, v23, v24
	v_dual_sub_f32 v31, v32, v24 :: v_dual_mul_f32 v28, v27, v26
	s_delay_alu instid0(VALU_DEP_1) | instskip(NEXT) | instid1(VALU_DEP_2)
	v_add_f32_e32 v22, v22, v31
	v_fma_f32 v27, v26, v27, -v28
	s_delay_alu instid0(VALU_DEP_1) | instskip(NEXT) | instid1(VALU_DEP_1)
	v_fmac_f32_e32 v27, v26, v25
	v_add_f32_e32 v25, v28, v27
	s_delay_alu instid0(VALU_DEP_1) | instskip(NEXT) | instid1(VALU_DEP_1)
	v_sub_f32_e32 v30, v24, v25
	v_sub_f32_e32 v24, v24, v30
	s_delay_alu instid0(VALU_DEP_1) | instskip(NEXT) | instid1(VALU_DEP_1)
	v_sub_f32_e32 v24, v24, v25
	v_add_f32_e32 v22, v22, v24
	v_add_f32_e32 v24, v29, v26
	v_sub_f32_e32 v28, v25, v28
	s_delay_alu instid0(VALU_DEP_1) | instskip(NEXT) | instid1(VALU_DEP_1)
	v_sub_f32_e32 v25, v28, v27
	v_dual_add_f32 v22, v25, v22 :: v_dual_sub_f32 v25, v24, v29
	s_delay_alu instid0(VALU_DEP_1) | instskip(NEXT) | instid1(VALU_DEP_1)
	v_add_f32_e32 v22, v30, v22
	v_dual_sub_f32 v25, v26, v25 :: v_dual_mul_f32 v22, v23, v22
	s_delay_alu instid0(VALU_DEP_1) | instskip(NEXT) | instid1(VALU_DEP_1)
	v_add_f32_e32 v22, v25, v22
	v_add_f32_e32 v23, v24, v22
	s_delay_alu instid0(VALU_DEP_1) | instskip(NEXT) | instid1(VALU_DEP_1)
	v_mul_f32_e32 v25, v23, v23
	v_fmaak_f32 v26, s4, v25, 0x3ecc95a3
	v_mul_f32_e32 v27, v23, v25
	v_cmp_eq_f32_e64 s4, 0x7f800000, v5
	s_delay_alu instid0(VALU_DEP_3) | instskip(SKIP_2) | instid1(VALU_DEP_4)
	v_fmaak_f32 v25, v25, v26, 0x3f2aaada
	v_ldexp_f32 v26, v23, 1
	v_sub_f32_e32 v23, v23, v24
	s_or_b32 s4, s4, s6
	s_delay_alu instid0(VALU_DEP_3) | instskip(NEXT) | instid1(VALU_DEP_2)
	v_mul_f32_e32 v25, v27, v25
	v_dual_mul_f32 v27, 0x3f317218, v21 :: v_dual_sub_f32 v22, v22, v23
	s_delay_alu instid0(VALU_DEP_2) | instskip(NEXT) | instid1(VALU_DEP_2)
	v_add_f32_e32 v24, v26, v25
	v_ldexp_f32 v22, v22, 1
	s_delay_alu instid0(VALU_DEP_2) | instskip(NEXT) | instid1(VALU_DEP_4)
	v_sub_f32_e32 v23, v24, v26
	v_fma_f32 v26, 0x3f317218, v21, -v27
	s_delay_alu instid0(VALU_DEP_2) | instskip(NEXT) | instid1(VALU_DEP_1)
	v_sub_f32_e32 v23, v25, v23
	v_dual_fmamk_f32 v21, v21, 0xb102e308, v26 :: v_dual_add_f32 v22, v22, v23
	s_delay_alu instid0(VALU_DEP_1) | instskip(NEXT) | instid1(VALU_DEP_1)
	v_add_f32_e32 v23, v27, v21
	v_sub_f32_e32 v27, v23, v27
	s_delay_alu instid0(VALU_DEP_1) | instskip(NEXT) | instid1(VALU_DEP_4)
	v_sub_f32_e32 v21, v21, v27
	v_add_f32_e32 v25, v24, v22
	s_delay_alu instid0(VALU_DEP_1) | instskip(NEXT) | instid1(VALU_DEP_1)
	v_sub_f32_e32 v24, v25, v24
	v_sub_f32_e32 v22, v22, v24
	v_add_f32_e32 v26, v23, v25
	s_delay_alu instid0(VALU_DEP_1) | instskip(NEXT) | instid1(VALU_DEP_1)
	v_sub_f32_e32 v28, v26, v23
	v_sub_f32_e32 v24, v25, v28
	s_delay_alu instid0(VALU_DEP_4) | instskip(SKIP_1) | instid1(VALU_DEP_1)
	v_add_f32_e32 v25, v21, v22
	v_sub_f32_e32 v29, v26, v28
	v_sub_f32_e32 v23, v23, v29
	s_delay_alu instid0(VALU_DEP_1) | instskip(NEXT) | instid1(VALU_DEP_1)
	v_dual_add_f32 v23, v24, v23 :: v_dual_sub_f32 v24, v25, v21
	v_dual_add_f32 v23, v25, v23 :: v_dual_sub_f32 v22, v22, v24
	v_sub_f32_e32 v25, v25, v24
	s_delay_alu instid0(VALU_DEP_2) | instskip(NEXT) | instid1(VALU_DEP_1)
	v_add_f32_e32 v27, v26, v23
	v_dual_sub_f32 v21, v21, v25 :: v_dual_sub_f32 v24, v27, v26
	s_delay_alu instid0(VALU_DEP_1) | instskip(NEXT) | instid1(VALU_DEP_1)
	v_dual_add_f32 v21, v22, v21 :: v_dual_sub_f32 v22, v23, v24
	v_add_f32_e32 v21, v21, v22
	s_delay_alu instid0(VALU_DEP_1) | instskip(NEXT) | instid1(VALU_DEP_1)
	v_add_f32_e32 v21, v27, v21
	v_cndmask_b32_e64 v5, v21, v5, s4
	s_delay_alu instid0(VALU_DEP_1)
	v_add_f32_e32 v5, v6, v5
.LBB99_200:
	s_or_b32 exec_lo, exec_lo, s5
	ds_load_b32 v6, v20 offset:16
	v_max_f32_e32 v21, v5, v5
	v_cmp_u_f32_e64 s4, v5, v5
	ds_store_b32 v20, v5 offset:12
	s_waitcnt lgkmcnt(1)
	v_max_f32_e32 v22, v6, v6
	s_delay_alu instid0(VALU_DEP_1) | instskip(SKIP_1) | instid1(VALU_DEP_2)
	v_min_f32_e32 v23, v21, v22
	v_max_f32_e32 v21, v21, v22
	v_cndmask_b32_e64 v22, v23, v5, s4
	s_delay_alu instid0(VALU_DEP_2) | instskip(SKIP_1) | instid1(VALU_DEP_1)
	v_cndmask_b32_e64 v23, v21, v5, s4
	v_cmp_u_f32_e64 s4, v6, v6
	v_cndmask_b32_e64 v21, v22, v6, s4
	s_delay_alu instid0(VALU_DEP_3) | instskip(NEXT) | instid1(VALU_DEP_2)
	v_cndmask_b32_e64 v6, v23, v6, s4
	v_cmp_class_f32_e64 s5, v21, 0x1f8
	s_delay_alu instid0(VALU_DEP_2) | instskip(NEXT) | instid1(VALU_DEP_1)
	v_cmp_neq_f32_e64 s4, v21, v6
	s_or_b32 s4, s4, s5
	s_delay_alu instid0(SALU_CYCLE_1)
	s_and_saveexec_b32 s5, s4
	s_cbranch_execz .LBB99_202
; %bb.201:
	v_sub_f32_e32 v5, v21, v6
	s_delay_alu instid0(VALU_DEP_1) | instskip(SKIP_1) | instid1(VALU_DEP_2)
	v_mul_f32_e32 v21, 0x3fb8aa3b, v5
	v_cmp_ngt_f32_e64 s4, 0xc2ce8ed0, v5
	v_fma_f32 v22, 0x3fb8aa3b, v5, -v21
	v_rndne_f32_e32 v23, v21
	s_delay_alu instid0(VALU_DEP_2) | instskip(NEXT) | instid1(VALU_DEP_2)
	v_fmamk_f32 v22, v5, 0x32a5705f, v22
	v_sub_f32_e32 v21, v21, v23
	s_delay_alu instid0(VALU_DEP_1) | instskip(SKIP_1) | instid1(VALU_DEP_2)
	v_add_f32_e32 v21, v21, v22
	v_cvt_i32_f32_e32 v22, v23
	v_exp_f32_e32 v21, v21
	s_waitcnt_depctr 0xfff
	v_ldexp_f32 v21, v21, v22
	s_delay_alu instid0(VALU_DEP_1) | instskip(SKIP_1) | instid1(VALU_DEP_1)
	v_cndmask_b32_e64 v21, 0, v21, s4
	v_cmp_nlt_f32_e64 s4, 0x42b17218, v5
	v_cndmask_b32_e64 v5, 0x7f800000, v21, s4
	s_delay_alu instid0(VALU_DEP_1) | instskip(SKIP_1) | instid1(VALU_DEP_2)
	v_add_f32_e32 v23, 1.0, v5
	v_cmp_gt_f32_e64 s6, 0x33800000, |v5|
	v_cvt_f64_f32_e32 v[21:22], v23
	s_delay_alu instid0(VALU_DEP_1) | instskip(SKIP_1) | instid1(VALU_DEP_1)
	v_frexp_exp_i32_f64_e32 v21, v[21:22]
	v_frexp_mant_f32_e32 v22, v23
	v_cmp_gt_f32_e64 s4, 0x3f2aaaab, v22
	v_add_f32_e32 v22, -1.0, v23
	s_delay_alu instid0(VALU_DEP_1) | instskip(NEXT) | instid1(VALU_DEP_3)
	v_dual_sub_f32 v25, v22, v23 :: v_dual_sub_f32 v22, v5, v22
	v_subrev_co_ci_u32_e64 v21, s4, 0, v21, s4
	s_mov_b32 s4, 0x3e9b6dac
	s_delay_alu instid0(VALU_DEP_1) | instskip(SKIP_1) | instid1(VALU_DEP_2)
	v_sub_nc_u32_e32 v24, 0, v21
	v_cvt_f32_i32_e32 v21, v21
	v_ldexp_f32 v23, v23, v24
	s_delay_alu instid0(VALU_DEP_1) | instskip(NEXT) | instid1(VALU_DEP_1)
	v_dual_add_f32 v25, 1.0, v25 :: v_dual_add_f32 v26, 1.0, v23
	v_add_f32_e32 v22, v22, v25
	s_delay_alu instid0(VALU_DEP_1) | instskip(NEXT) | instid1(VALU_DEP_3)
	v_ldexp_f32 v22, v22, v24
	v_dual_add_f32 v24, -1.0, v23 :: v_dual_add_f32 v25, -1.0, v26
	s_delay_alu instid0(VALU_DEP_1) | instskip(NEXT) | instid1(VALU_DEP_2)
	v_add_f32_e32 v27, 1.0, v24
	v_sub_f32_e32 v25, v23, v25
	s_delay_alu instid0(VALU_DEP_2) | instskip(NEXT) | instid1(VALU_DEP_2)
	v_sub_f32_e32 v23, v23, v27
	v_add_f32_e32 v25, v22, v25
	s_delay_alu instid0(VALU_DEP_2) | instskip(NEXT) | instid1(VALU_DEP_1)
	v_add_f32_e32 v22, v22, v23
	v_dual_add_f32 v28, v24, v22 :: v_dual_add_f32 v27, v26, v25
	s_delay_alu instid0(VALU_DEP_1) | instskip(NEXT) | instid1(VALU_DEP_2)
	v_sub_f32_e32 v24, v24, v28
	v_rcp_f32_e32 v23, v27
	v_sub_f32_e32 v26, v26, v27
	s_delay_alu instid0(VALU_DEP_1) | instskip(SKIP_2) | instid1(VALU_DEP_1)
	v_dual_add_f32 v22, v22, v24 :: v_dual_add_f32 v25, v25, v26
	s_waitcnt_depctr 0xfff
	v_mul_f32_e32 v29, v28, v23
	v_mul_f32_e32 v30, v27, v29
	s_delay_alu instid0(VALU_DEP_1) | instskip(NEXT) | instid1(VALU_DEP_1)
	v_fma_f32 v26, v29, v27, -v30
	v_fmac_f32_e32 v26, v29, v25
	s_delay_alu instid0(VALU_DEP_1) | instskip(NEXT) | instid1(VALU_DEP_1)
	v_add_f32_e32 v31, v30, v26
	v_sub_f32_e32 v32, v28, v31
	v_sub_f32_e32 v24, v31, v30
	s_delay_alu instid0(VALU_DEP_2) | instskip(NEXT) | instid1(VALU_DEP_2)
	v_sub_f32_e32 v28, v28, v32
	v_sub_f32_e32 v24, v24, v26
	s_delay_alu instid0(VALU_DEP_2) | instskip(NEXT) | instid1(VALU_DEP_1)
	v_sub_f32_e32 v28, v28, v31
	v_add_f32_e32 v22, v22, v28
	s_delay_alu instid0(VALU_DEP_1) | instskip(NEXT) | instid1(VALU_DEP_1)
	v_add_f32_e32 v22, v24, v22
	v_add_f32_e32 v24, v32, v22
	s_delay_alu instid0(VALU_DEP_1) | instskip(NEXT) | instid1(VALU_DEP_1)
	v_mul_f32_e32 v26, v23, v24
	v_dual_sub_f32 v31, v32, v24 :: v_dual_mul_f32 v28, v27, v26
	s_delay_alu instid0(VALU_DEP_1) | instskip(NEXT) | instid1(VALU_DEP_2)
	v_add_f32_e32 v22, v22, v31
	v_fma_f32 v27, v26, v27, -v28
	s_delay_alu instid0(VALU_DEP_1) | instskip(NEXT) | instid1(VALU_DEP_1)
	v_fmac_f32_e32 v27, v26, v25
	v_add_f32_e32 v25, v28, v27
	s_delay_alu instid0(VALU_DEP_1) | instskip(NEXT) | instid1(VALU_DEP_1)
	v_sub_f32_e32 v30, v24, v25
	v_sub_f32_e32 v24, v24, v30
	s_delay_alu instid0(VALU_DEP_1) | instskip(NEXT) | instid1(VALU_DEP_1)
	v_sub_f32_e32 v24, v24, v25
	v_add_f32_e32 v22, v22, v24
	v_add_f32_e32 v24, v29, v26
	v_sub_f32_e32 v28, v25, v28
	s_delay_alu instid0(VALU_DEP_1) | instskip(NEXT) | instid1(VALU_DEP_1)
	v_sub_f32_e32 v25, v28, v27
	v_dual_add_f32 v22, v25, v22 :: v_dual_sub_f32 v25, v24, v29
	s_delay_alu instid0(VALU_DEP_1) | instskip(NEXT) | instid1(VALU_DEP_1)
	v_add_f32_e32 v22, v30, v22
	v_dual_sub_f32 v25, v26, v25 :: v_dual_mul_f32 v22, v23, v22
	s_delay_alu instid0(VALU_DEP_1) | instskip(NEXT) | instid1(VALU_DEP_1)
	v_add_f32_e32 v22, v25, v22
	v_add_f32_e32 v23, v24, v22
	s_delay_alu instid0(VALU_DEP_1) | instskip(NEXT) | instid1(VALU_DEP_1)
	v_mul_f32_e32 v25, v23, v23
	v_fmaak_f32 v26, s4, v25, 0x3ecc95a3
	v_mul_f32_e32 v27, v23, v25
	v_cmp_eq_f32_e64 s4, 0x7f800000, v5
	s_delay_alu instid0(VALU_DEP_3) | instskip(SKIP_2) | instid1(VALU_DEP_4)
	v_fmaak_f32 v25, v25, v26, 0x3f2aaada
	v_ldexp_f32 v26, v23, 1
	v_sub_f32_e32 v23, v23, v24
	s_or_b32 s4, s4, s6
	s_delay_alu instid0(VALU_DEP_3) | instskip(NEXT) | instid1(VALU_DEP_2)
	v_mul_f32_e32 v25, v27, v25
	v_dual_mul_f32 v27, 0x3f317218, v21 :: v_dual_sub_f32 v22, v22, v23
	s_delay_alu instid0(VALU_DEP_2) | instskip(NEXT) | instid1(VALU_DEP_2)
	v_add_f32_e32 v24, v26, v25
	v_ldexp_f32 v22, v22, 1
	s_delay_alu instid0(VALU_DEP_2) | instskip(NEXT) | instid1(VALU_DEP_4)
	v_sub_f32_e32 v23, v24, v26
	v_fma_f32 v26, 0x3f317218, v21, -v27
	s_delay_alu instid0(VALU_DEP_2) | instskip(NEXT) | instid1(VALU_DEP_1)
	v_sub_f32_e32 v23, v25, v23
	v_dual_fmamk_f32 v21, v21, 0xb102e308, v26 :: v_dual_add_f32 v22, v22, v23
	s_delay_alu instid0(VALU_DEP_1) | instskip(NEXT) | instid1(VALU_DEP_1)
	v_add_f32_e32 v23, v27, v21
	v_sub_f32_e32 v27, v23, v27
	s_delay_alu instid0(VALU_DEP_1) | instskip(NEXT) | instid1(VALU_DEP_4)
	v_sub_f32_e32 v21, v21, v27
	v_add_f32_e32 v25, v24, v22
	s_delay_alu instid0(VALU_DEP_1) | instskip(NEXT) | instid1(VALU_DEP_1)
	v_sub_f32_e32 v24, v25, v24
	v_sub_f32_e32 v22, v22, v24
	v_add_f32_e32 v26, v23, v25
	s_delay_alu instid0(VALU_DEP_1) | instskip(NEXT) | instid1(VALU_DEP_1)
	v_sub_f32_e32 v28, v26, v23
	v_sub_f32_e32 v24, v25, v28
	s_delay_alu instid0(VALU_DEP_4) | instskip(SKIP_1) | instid1(VALU_DEP_1)
	v_add_f32_e32 v25, v21, v22
	v_sub_f32_e32 v29, v26, v28
	v_sub_f32_e32 v23, v23, v29
	s_delay_alu instid0(VALU_DEP_1) | instskip(NEXT) | instid1(VALU_DEP_1)
	v_dual_add_f32 v23, v24, v23 :: v_dual_sub_f32 v24, v25, v21
	v_dual_add_f32 v23, v25, v23 :: v_dual_sub_f32 v22, v22, v24
	v_sub_f32_e32 v25, v25, v24
	s_delay_alu instid0(VALU_DEP_2) | instskip(NEXT) | instid1(VALU_DEP_1)
	v_add_f32_e32 v27, v26, v23
	v_dual_sub_f32 v21, v21, v25 :: v_dual_sub_f32 v24, v27, v26
	s_delay_alu instid0(VALU_DEP_1) | instskip(NEXT) | instid1(VALU_DEP_1)
	v_dual_add_f32 v21, v22, v21 :: v_dual_sub_f32 v22, v23, v24
	v_add_f32_e32 v21, v21, v22
	s_delay_alu instid0(VALU_DEP_1) | instskip(NEXT) | instid1(VALU_DEP_1)
	v_add_f32_e32 v21, v27, v21
	v_cndmask_b32_e64 v5, v21, v5, s4
	s_delay_alu instid0(VALU_DEP_1)
	v_add_f32_e32 v5, v6, v5
.LBB99_202:
	s_or_b32 exec_lo, exec_lo, s5
	ds_load_b32 v6, v20 offset:20
	v_max_f32_e32 v21, v5, v5
	v_cmp_u_f32_e64 s4, v5, v5
	ds_store_b32 v20, v5 offset:16
	s_waitcnt lgkmcnt(1)
	v_max_f32_e32 v22, v6, v6
	s_delay_alu instid0(VALU_DEP_1) | instskip(SKIP_1) | instid1(VALU_DEP_2)
	v_min_f32_e32 v23, v21, v22
	v_max_f32_e32 v21, v21, v22
	v_cndmask_b32_e64 v22, v23, v5, s4
	s_delay_alu instid0(VALU_DEP_2) | instskip(SKIP_1) | instid1(VALU_DEP_1)
	v_cndmask_b32_e64 v23, v21, v5, s4
	v_cmp_u_f32_e64 s4, v6, v6
	v_cndmask_b32_e64 v21, v22, v6, s4
	s_delay_alu instid0(VALU_DEP_3) | instskip(NEXT) | instid1(VALU_DEP_2)
	v_cndmask_b32_e64 v6, v23, v6, s4
	v_cmp_class_f32_e64 s5, v21, 0x1f8
	s_delay_alu instid0(VALU_DEP_2) | instskip(NEXT) | instid1(VALU_DEP_1)
	v_cmp_neq_f32_e64 s4, v21, v6
	s_or_b32 s4, s4, s5
	s_delay_alu instid0(SALU_CYCLE_1)
	s_and_saveexec_b32 s5, s4
	s_cbranch_execz .LBB99_204
; %bb.203:
	v_sub_f32_e32 v5, v21, v6
	s_delay_alu instid0(VALU_DEP_1) | instskip(SKIP_1) | instid1(VALU_DEP_2)
	v_mul_f32_e32 v21, 0x3fb8aa3b, v5
	v_cmp_ngt_f32_e64 s4, 0xc2ce8ed0, v5
	v_fma_f32 v22, 0x3fb8aa3b, v5, -v21
	v_rndne_f32_e32 v23, v21
	s_delay_alu instid0(VALU_DEP_2) | instskip(NEXT) | instid1(VALU_DEP_2)
	v_fmamk_f32 v22, v5, 0x32a5705f, v22
	v_sub_f32_e32 v21, v21, v23
	s_delay_alu instid0(VALU_DEP_1) | instskip(SKIP_1) | instid1(VALU_DEP_2)
	v_add_f32_e32 v21, v21, v22
	v_cvt_i32_f32_e32 v22, v23
	v_exp_f32_e32 v21, v21
	s_waitcnt_depctr 0xfff
	v_ldexp_f32 v21, v21, v22
	s_delay_alu instid0(VALU_DEP_1) | instskip(SKIP_1) | instid1(VALU_DEP_1)
	v_cndmask_b32_e64 v21, 0, v21, s4
	v_cmp_nlt_f32_e64 s4, 0x42b17218, v5
	v_cndmask_b32_e64 v5, 0x7f800000, v21, s4
	s_delay_alu instid0(VALU_DEP_1) | instskip(SKIP_1) | instid1(VALU_DEP_2)
	v_add_f32_e32 v23, 1.0, v5
	v_cmp_gt_f32_e64 s6, 0x33800000, |v5|
	v_cvt_f64_f32_e32 v[21:22], v23
	s_delay_alu instid0(VALU_DEP_1) | instskip(SKIP_1) | instid1(VALU_DEP_1)
	v_frexp_exp_i32_f64_e32 v21, v[21:22]
	v_frexp_mant_f32_e32 v22, v23
	v_cmp_gt_f32_e64 s4, 0x3f2aaaab, v22
	v_add_f32_e32 v22, -1.0, v23
	s_delay_alu instid0(VALU_DEP_1) | instskip(NEXT) | instid1(VALU_DEP_3)
	v_dual_sub_f32 v25, v22, v23 :: v_dual_sub_f32 v22, v5, v22
	v_subrev_co_ci_u32_e64 v21, s4, 0, v21, s4
	s_mov_b32 s4, 0x3e9b6dac
	s_delay_alu instid0(VALU_DEP_1) | instskip(SKIP_1) | instid1(VALU_DEP_2)
	v_sub_nc_u32_e32 v24, 0, v21
	v_cvt_f32_i32_e32 v21, v21
	v_ldexp_f32 v23, v23, v24
	s_delay_alu instid0(VALU_DEP_1) | instskip(NEXT) | instid1(VALU_DEP_1)
	v_dual_add_f32 v25, 1.0, v25 :: v_dual_add_f32 v26, 1.0, v23
	v_add_f32_e32 v22, v22, v25
	s_delay_alu instid0(VALU_DEP_1) | instskip(NEXT) | instid1(VALU_DEP_3)
	v_ldexp_f32 v22, v22, v24
	v_dual_add_f32 v24, -1.0, v23 :: v_dual_add_f32 v25, -1.0, v26
	s_delay_alu instid0(VALU_DEP_1) | instskip(NEXT) | instid1(VALU_DEP_2)
	v_add_f32_e32 v27, 1.0, v24
	v_sub_f32_e32 v25, v23, v25
	s_delay_alu instid0(VALU_DEP_2) | instskip(NEXT) | instid1(VALU_DEP_2)
	v_sub_f32_e32 v23, v23, v27
	v_add_f32_e32 v25, v22, v25
	s_delay_alu instid0(VALU_DEP_2) | instskip(NEXT) | instid1(VALU_DEP_1)
	v_add_f32_e32 v22, v22, v23
	v_dual_add_f32 v28, v24, v22 :: v_dual_add_f32 v27, v26, v25
	s_delay_alu instid0(VALU_DEP_1) | instskip(NEXT) | instid1(VALU_DEP_2)
	v_sub_f32_e32 v24, v24, v28
	v_rcp_f32_e32 v23, v27
	v_sub_f32_e32 v26, v26, v27
	s_delay_alu instid0(VALU_DEP_1) | instskip(SKIP_2) | instid1(VALU_DEP_1)
	v_dual_add_f32 v22, v22, v24 :: v_dual_add_f32 v25, v25, v26
	s_waitcnt_depctr 0xfff
	v_mul_f32_e32 v29, v28, v23
	v_mul_f32_e32 v30, v27, v29
	s_delay_alu instid0(VALU_DEP_1) | instskip(NEXT) | instid1(VALU_DEP_1)
	v_fma_f32 v26, v29, v27, -v30
	v_fmac_f32_e32 v26, v29, v25
	s_delay_alu instid0(VALU_DEP_1) | instskip(NEXT) | instid1(VALU_DEP_1)
	v_add_f32_e32 v31, v30, v26
	v_sub_f32_e32 v32, v28, v31
	v_sub_f32_e32 v24, v31, v30
	s_delay_alu instid0(VALU_DEP_2) | instskip(NEXT) | instid1(VALU_DEP_2)
	v_sub_f32_e32 v28, v28, v32
	v_sub_f32_e32 v24, v24, v26
	s_delay_alu instid0(VALU_DEP_2) | instskip(NEXT) | instid1(VALU_DEP_1)
	v_sub_f32_e32 v28, v28, v31
	v_add_f32_e32 v22, v22, v28
	s_delay_alu instid0(VALU_DEP_1) | instskip(NEXT) | instid1(VALU_DEP_1)
	v_add_f32_e32 v22, v24, v22
	v_add_f32_e32 v24, v32, v22
	s_delay_alu instid0(VALU_DEP_1) | instskip(NEXT) | instid1(VALU_DEP_1)
	v_mul_f32_e32 v26, v23, v24
	v_dual_sub_f32 v31, v32, v24 :: v_dual_mul_f32 v28, v27, v26
	s_delay_alu instid0(VALU_DEP_1) | instskip(NEXT) | instid1(VALU_DEP_2)
	v_add_f32_e32 v22, v22, v31
	v_fma_f32 v27, v26, v27, -v28
	s_delay_alu instid0(VALU_DEP_1) | instskip(NEXT) | instid1(VALU_DEP_1)
	v_fmac_f32_e32 v27, v26, v25
	v_add_f32_e32 v25, v28, v27
	s_delay_alu instid0(VALU_DEP_1) | instskip(NEXT) | instid1(VALU_DEP_1)
	v_sub_f32_e32 v30, v24, v25
	v_sub_f32_e32 v24, v24, v30
	s_delay_alu instid0(VALU_DEP_1) | instskip(NEXT) | instid1(VALU_DEP_1)
	v_sub_f32_e32 v24, v24, v25
	v_add_f32_e32 v22, v22, v24
	v_add_f32_e32 v24, v29, v26
	v_sub_f32_e32 v28, v25, v28
	s_delay_alu instid0(VALU_DEP_1) | instskip(NEXT) | instid1(VALU_DEP_1)
	v_sub_f32_e32 v25, v28, v27
	v_dual_add_f32 v22, v25, v22 :: v_dual_sub_f32 v25, v24, v29
	s_delay_alu instid0(VALU_DEP_1) | instskip(NEXT) | instid1(VALU_DEP_1)
	v_add_f32_e32 v22, v30, v22
	v_dual_sub_f32 v25, v26, v25 :: v_dual_mul_f32 v22, v23, v22
	s_delay_alu instid0(VALU_DEP_1) | instskip(NEXT) | instid1(VALU_DEP_1)
	v_add_f32_e32 v22, v25, v22
	v_add_f32_e32 v23, v24, v22
	s_delay_alu instid0(VALU_DEP_1) | instskip(NEXT) | instid1(VALU_DEP_1)
	v_mul_f32_e32 v25, v23, v23
	v_fmaak_f32 v26, s4, v25, 0x3ecc95a3
	v_mul_f32_e32 v27, v23, v25
	v_cmp_eq_f32_e64 s4, 0x7f800000, v5
	s_delay_alu instid0(VALU_DEP_3) | instskip(SKIP_2) | instid1(VALU_DEP_4)
	v_fmaak_f32 v25, v25, v26, 0x3f2aaada
	v_ldexp_f32 v26, v23, 1
	v_sub_f32_e32 v23, v23, v24
	s_or_b32 s4, s4, s6
	s_delay_alu instid0(VALU_DEP_3) | instskip(NEXT) | instid1(VALU_DEP_2)
	v_mul_f32_e32 v25, v27, v25
	v_dual_mul_f32 v27, 0x3f317218, v21 :: v_dual_sub_f32 v22, v22, v23
	s_delay_alu instid0(VALU_DEP_2) | instskip(NEXT) | instid1(VALU_DEP_2)
	v_add_f32_e32 v24, v26, v25
	v_ldexp_f32 v22, v22, 1
	s_delay_alu instid0(VALU_DEP_2) | instskip(NEXT) | instid1(VALU_DEP_4)
	v_sub_f32_e32 v23, v24, v26
	v_fma_f32 v26, 0x3f317218, v21, -v27
	s_delay_alu instid0(VALU_DEP_2) | instskip(NEXT) | instid1(VALU_DEP_1)
	v_sub_f32_e32 v23, v25, v23
	v_dual_fmamk_f32 v21, v21, 0xb102e308, v26 :: v_dual_add_f32 v22, v22, v23
	s_delay_alu instid0(VALU_DEP_1) | instskip(NEXT) | instid1(VALU_DEP_1)
	v_add_f32_e32 v23, v27, v21
	v_sub_f32_e32 v27, v23, v27
	s_delay_alu instid0(VALU_DEP_1) | instskip(NEXT) | instid1(VALU_DEP_4)
	v_sub_f32_e32 v21, v21, v27
	v_add_f32_e32 v25, v24, v22
	s_delay_alu instid0(VALU_DEP_1) | instskip(NEXT) | instid1(VALU_DEP_1)
	v_sub_f32_e32 v24, v25, v24
	v_sub_f32_e32 v22, v22, v24
	v_add_f32_e32 v26, v23, v25
	s_delay_alu instid0(VALU_DEP_1) | instskip(NEXT) | instid1(VALU_DEP_1)
	v_sub_f32_e32 v28, v26, v23
	v_sub_f32_e32 v24, v25, v28
	s_delay_alu instid0(VALU_DEP_4) | instskip(SKIP_1) | instid1(VALU_DEP_1)
	v_add_f32_e32 v25, v21, v22
	v_sub_f32_e32 v29, v26, v28
	v_sub_f32_e32 v23, v23, v29
	s_delay_alu instid0(VALU_DEP_1) | instskip(NEXT) | instid1(VALU_DEP_1)
	v_dual_add_f32 v23, v24, v23 :: v_dual_sub_f32 v24, v25, v21
	v_dual_add_f32 v23, v25, v23 :: v_dual_sub_f32 v22, v22, v24
	v_sub_f32_e32 v25, v25, v24
	s_delay_alu instid0(VALU_DEP_2) | instskip(NEXT) | instid1(VALU_DEP_1)
	v_add_f32_e32 v27, v26, v23
	v_dual_sub_f32 v21, v21, v25 :: v_dual_sub_f32 v24, v27, v26
	s_delay_alu instid0(VALU_DEP_1) | instskip(NEXT) | instid1(VALU_DEP_1)
	v_dual_add_f32 v21, v22, v21 :: v_dual_sub_f32 v22, v23, v24
	v_add_f32_e32 v21, v21, v22
	s_delay_alu instid0(VALU_DEP_1) | instskip(NEXT) | instid1(VALU_DEP_1)
	v_add_f32_e32 v21, v27, v21
	v_cndmask_b32_e64 v5, v21, v5, s4
	s_delay_alu instid0(VALU_DEP_1)
	v_add_f32_e32 v5, v6, v5
.LBB99_204:
	s_or_b32 exec_lo, exec_lo, s5
	ds_load_b32 v6, v20 offset:24
	v_max_f32_e32 v21, v5, v5
	v_cmp_u_f32_e64 s4, v5, v5
	ds_store_b32 v20, v5 offset:20
	s_waitcnt lgkmcnt(1)
	v_max_f32_e32 v22, v6, v6
	s_delay_alu instid0(VALU_DEP_1) | instskip(SKIP_1) | instid1(VALU_DEP_2)
	v_min_f32_e32 v23, v21, v22
	v_max_f32_e32 v21, v21, v22
	v_cndmask_b32_e64 v22, v23, v5, s4
	s_delay_alu instid0(VALU_DEP_2) | instskip(SKIP_1) | instid1(VALU_DEP_1)
	v_cndmask_b32_e64 v23, v21, v5, s4
	v_cmp_u_f32_e64 s4, v6, v6
	v_cndmask_b32_e64 v21, v22, v6, s4
	s_delay_alu instid0(VALU_DEP_3) | instskip(NEXT) | instid1(VALU_DEP_2)
	v_cndmask_b32_e64 v6, v23, v6, s4
	v_cmp_class_f32_e64 s5, v21, 0x1f8
	s_delay_alu instid0(VALU_DEP_2) | instskip(NEXT) | instid1(VALU_DEP_1)
	v_cmp_neq_f32_e64 s4, v21, v6
	s_or_b32 s4, s4, s5
	s_delay_alu instid0(SALU_CYCLE_1)
	s_and_saveexec_b32 s5, s4
	s_cbranch_execz .LBB99_206
; %bb.205:
	v_sub_f32_e32 v5, v21, v6
	s_delay_alu instid0(VALU_DEP_1) | instskip(SKIP_1) | instid1(VALU_DEP_2)
	v_mul_f32_e32 v21, 0x3fb8aa3b, v5
	v_cmp_ngt_f32_e64 s4, 0xc2ce8ed0, v5
	v_fma_f32 v22, 0x3fb8aa3b, v5, -v21
	v_rndne_f32_e32 v23, v21
	s_delay_alu instid0(VALU_DEP_2) | instskip(NEXT) | instid1(VALU_DEP_2)
	v_fmamk_f32 v22, v5, 0x32a5705f, v22
	v_sub_f32_e32 v21, v21, v23
	s_delay_alu instid0(VALU_DEP_1) | instskip(SKIP_1) | instid1(VALU_DEP_2)
	v_add_f32_e32 v21, v21, v22
	v_cvt_i32_f32_e32 v22, v23
	v_exp_f32_e32 v21, v21
	s_waitcnt_depctr 0xfff
	v_ldexp_f32 v21, v21, v22
	s_delay_alu instid0(VALU_DEP_1) | instskip(SKIP_1) | instid1(VALU_DEP_1)
	v_cndmask_b32_e64 v21, 0, v21, s4
	v_cmp_nlt_f32_e64 s4, 0x42b17218, v5
	v_cndmask_b32_e64 v5, 0x7f800000, v21, s4
	s_delay_alu instid0(VALU_DEP_1) | instskip(SKIP_1) | instid1(VALU_DEP_2)
	v_add_f32_e32 v23, 1.0, v5
	v_cmp_gt_f32_e64 s6, 0x33800000, |v5|
	v_cvt_f64_f32_e32 v[21:22], v23
	s_delay_alu instid0(VALU_DEP_1) | instskip(SKIP_1) | instid1(VALU_DEP_1)
	v_frexp_exp_i32_f64_e32 v21, v[21:22]
	v_frexp_mant_f32_e32 v22, v23
	v_cmp_gt_f32_e64 s4, 0x3f2aaaab, v22
	v_add_f32_e32 v22, -1.0, v23
	s_delay_alu instid0(VALU_DEP_1) | instskip(NEXT) | instid1(VALU_DEP_3)
	v_dual_sub_f32 v25, v22, v23 :: v_dual_sub_f32 v22, v5, v22
	v_subrev_co_ci_u32_e64 v21, s4, 0, v21, s4
	s_mov_b32 s4, 0x3e9b6dac
	s_delay_alu instid0(VALU_DEP_1) | instskip(SKIP_1) | instid1(VALU_DEP_2)
	v_sub_nc_u32_e32 v24, 0, v21
	v_cvt_f32_i32_e32 v21, v21
	v_ldexp_f32 v23, v23, v24
	s_delay_alu instid0(VALU_DEP_1) | instskip(NEXT) | instid1(VALU_DEP_1)
	v_dual_add_f32 v25, 1.0, v25 :: v_dual_add_f32 v26, 1.0, v23
	v_add_f32_e32 v22, v22, v25
	s_delay_alu instid0(VALU_DEP_1) | instskip(NEXT) | instid1(VALU_DEP_3)
	v_ldexp_f32 v22, v22, v24
	v_dual_add_f32 v24, -1.0, v23 :: v_dual_add_f32 v25, -1.0, v26
	s_delay_alu instid0(VALU_DEP_1) | instskip(NEXT) | instid1(VALU_DEP_2)
	v_add_f32_e32 v27, 1.0, v24
	v_sub_f32_e32 v25, v23, v25
	s_delay_alu instid0(VALU_DEP_2) | instskip(NEXT) | instid1(VALU_DEP_2)
	v_sub_f32_e32 v23, v23, v27
	v_add_f32_e32 v25, v22, v25
	s_delay_alu instid0(VALU_DEP_2) | instskip(NEXT) | instid1(VALU_DEP_1)
	v_add_f32_e32 v22, v22, v23
	v_dual_add_f32 v28, v24, v22 :: v_dual_add_f32 v27, v26, v25
	s_delay_alu instid0(VALU_DEP_1) | instskip(NEXT) | instid1(VALU_DEP_2)
	v_sub_f32_e32 v24, v24, v28
	v_rcp_f32_e32 v23, v27
	v_sub_f32_e32 v26, v26, v27
	s_delay_alu instid0(VALU_DEP_1) | instskip(SKIP_2) | instid1(VALU_DEP_1)
	v_dual_add_f32 v22, v22, v24 :: v_dual_add_f32 v25, v25, v26
	s_waitcnt_depctr 0xfff
	v_mul_f32_e32 v29, v28, v23
	v_mul_f32_e32 v30, v27, v29
	s_delay_alu instid0(VALU_DEP_1) | instskip(NEXT) | instid1(VALU_DEP_1)
	v_fma_f32 v26, v29, v27, -v30
	v_fmac_f32_e32 v26, v29, v25
	s_delay_alu instid0(VALU_DEP_1) | instskip(NEXT) | instid1(VALU_DEP_1)
	v_add_f32_e32 v31, v30, v26
	v_sub_f32_e32 v32, v28, v31
	v_sub_f32_e32 v24, v31, v30
	s_delay_alu instid0(VALU_DEP_2) | instskip(NEXT) | instid1(VALU_DEP_2)
	v_sub_f32_e32 v28, v28, v32
	v_sub_f32_e32 v24, v24, v26
	s_delay_alu instid0(VALU_DEP_2) | instskip(NEXT) | instid1(VALU_DEP_1)
	v_sub_f32_e32 v28, v28, v31
	v_add_f32_e32 v22, v22, v28
	s_delay_alu instid0(VALU_DEP_1) | instskip(NEXT) | instid1(VALU_DEP_1)
	v_add_f32_e32 v22, v24, v22
	v_add_f32_e32 v24, v32, v22
	s_delay_alu instid0(VALU_DEP_1) | instskip(NEXT) | instid1(VALU_DEP_1)
	v_mul_f32_e32 v26, v23, v24
	v_dual_sub_f32 v31, v32, v24 :: v_dual_mul_f32 v28, v27, v26
	s_delay_alu instid0(VALU_DEP_1) | instskip(NEXT) | instid1(VALU_DEP_2)
	v_add_f32_e32 v22, v22, v31
	v_fma_f32 v27, v26, v27, -v28
	s_delay_alu instid0(VALU_DEP_1) | instskip(NEXT) | instid1(VALU_DEP_1)
	v_fmac_f32_e32 v27, v26, v25
	v_add_f32_e32 v25, v28, v27
	s_delay_alu instid0(VALU_DEP_1) | instskip(NEXT) | instid1(VALU_DEP_1)
	v_sub_f32_e32 v30, v24, v25
	v_sub_f32_e32 v24, v24, v30
	s_delay_alu instid0(VALU_DEP_1) | instskip(NEXT) | instid1(VALU_DEP_1)
	v_sub_f32_e32 v24, v24, v25
	v_add_f32_e32 v22, v22, v24
	v_add_f32_e32 v24, v29, v26
	v_sub_f32_e32 v28, v25, v28
	s_delay_alu instid0(VALU_DEP_1) | instskip(NEXT) | instid1(VALU_DEP_1)
	v_sub_f32_e32 v25, v28, v27
	v_dual_add_f32 v22, v25, v22 :: v_dual_sub_f32 v25, v24, v29
	s_delay_alu instid0(VALU_DEP_1) | instskip(NEXT) | instid1(VALU_DEP_1)
	v_add_f32_e32 v22, v30, v22
	v_dual_sub_f32 v25, v26, v25 :: v_dual_mul_f32 v22, v23, v22
	s_delay_alu instid0(VALU_DEP_1) | instskip(NEXT) | instid1(VALU_DEP_1)
	v_add_f32_e32 v22, v25, v22
	v_add_f32_e32 v23, v24, v22
	s_delay_alu instid0(VALU_DEP_1) | instskip(NEXT) | instid1(VALU_DEP_1)
	v_mul_f32_e32 v25, v23, v23
	v_fmaak_f32 v26, s4, v25, 0x3ecc95a3
	v_mul_f32_e32 v27, v23, v25
	v_cmp_eq_f32_e64 s4, 0x7f800000, v5
	s_delay_alu instid0(VALU_DEP_3) | instskip(SKIP_2) | instid1(VALU_DEP_4)
	v_fmaak_f32 v25, v25, v26, 0x3f2aaada
	v_ldexp_f32 v26, v23, 1
	v_sub_f32_e32 v23, v23, v24
	s_or_b32 s4, s4, s6
	s_delay_alu instid0(VALU_DEP_3) | instskip(NEXT) | instid1(VALU_DEP_2)
	v_mul_f32_e32 v25, v27, v25
	v_dual_mul_f32 v27, 0x3f317218, v21 :: v_dual_sub_f32 v22, v22, v23
	s_delay_alu instid0(VALU_DEP_2) | instskip(NEXT) | instid1(VALU_DEP_2)
	v_add_f32_e32 v24, v26, v25
	v_ldexp_f32 v22, v22, 1
	s_delay_alu instid0(VALU_DEP_2) | instskip(NEXT) | instid1(VALU_DEP_4)
	v_sub_f32_e32 v23, v24, v26
	v_fma_f32 v26, 0x3f317218, v21, -v27
	s_delay_alu instid0(VALU_DEP_2) | instskip(NEXT) | instid1(VALU_DEP_1)
	v_sub_f32_e32 v23, v25, v23
	v_dual_fmamk_f32 v21, v21, 0xb102e308, v26 :: v_dual_add_f32 v22, v22, v23
	s_delay_alu instid0(VALU_DEP_1) | instskip(NEXT) | instid1(VALU_DEP_1)
	v_add_f32_e32 v23, v27, v21
	v_sub_f32_e32 v27, v23, v27
	s_delay_alu instid0(VALU_DEP_1) | instskip(NEXT) | instid1(VALU_DEP_4)
	v_sub_f32_e32 v21, v21, v27
	v_add_f32_e32 v25, v24, v22
	s_delay_alu instid0(VALU_DEP_1) | instskip(NEXT) | instid1(VALU_DEP_1)
	v_sub_f32_e32 v24, v25, v24
	v_sub_f32_e32 v22, v22, v24
	v_add_f32_e32 v26, v23, v25
	s_delay_alu instid0(VALU_DEP_1) | instskip(NEXT) | instid1(VALU_DEP_1)
	v_sub_f32_e32 v28, v26, v23
	v_sub_f32_e32 v24, v25, v28
	s_delay_alu instid0(VALU_DEP_4) | instskip(SKIP_1) | instid1(VALU_DEP_1)
	v_add_f32_e32 v25, v21, v22
	v_sub_f32_e32 v29, v26, v28
	v_sub_f32_e32 v23, v23, v29
	s_delay_alu instid0(VALU_DEP_1) | instskip(NEXT) | instid1(VALU_DEP_1)
	v_dual_add_f32 v23, v24, v23 :: v_dual_sub_f32 v24, v25, v21
	v_dual_add_f32 v23, v25, v23 :: v_dual_sub_f32 v22, v22, v24
	v_sub_f32_e32 v25, v25, v24
	s_delay_alu instid0(VALU_DEP_2) | instskip(NEXT) | instid1(VALU_DEP_1)
	v_add_f32_e32 v27, v26, v23
	v_dual_sub_f32 v21, v21, v25 :: v_dual_sub_f32 v24, v27, v26
	s_delay_alu instid0(VALU_DEP_1) | instskip(NEXT) | instid1(VALU_DEP_1)
	v_dual_add_f32 v21, v22, v21 :: v_dual_sub_f32 v22, v23, v24
	v_add_f32_e32 v21, v21, v22
	s_delay_alu instid0(VALU_DEP_1) | instskip(NEXT) | instid1(VALU_DEP_1)
	v_add_f32_e32 v21, v27, v21
	v_cndmask_b32_e64 v5, v21, v5, s4
	s_delay_alu instid0(VALU_DEP_1)
	v_add_f32_e32 v5, v6, v5
.LBB99_206:
	s_or_b32 exec_lo, exec_lo, s5
	ds_load_b32 v6, v20 offset:28
	v_max_f32_e32 v21, v5, v5
	v_cmp_u_f32_e64 s4, v5, v5
	ds_store_b32 v20, v5 offset:24
	s_waitcnt lgkmcnt(1)
	v_max_f32_e32 v22, v6, v6
	s_delay_alu instid0(VALU_DEP_1) | instskip(SKIP_1) | instid1(VALU_DEP_2)
	v_min_f32_e32 v23, v21, v22
	v_max_f32_e32 v21, v21, v22
	v_cndmask_b32_e64 v22, v23, v5, s4
	s_delay_alu instid0(VALU_DEP_2) | instskip(SKIP_1) | instid1(VALU_DEP_1)
	v_cndmask_b32_e64 v23, v21, v5, s4
	v_cmp_u_f32_e64 s4, v6, v6
	v_cndmask_b32_e64 v21, v22, v6, s4
	s_delay_alu instid0(VALU_DEP_3) | instskip(NEXT) | instid1(VALU_DEP_2)
	v_cndmask_b32_e64 v6, v23, v6, s4
	v_cmp_class_f32_e64 s5, v21, 0x1f8
	s_delay_alu instid0(VALU_DEP_2) | instskip(NEXT) | instid1(VALU_DEP_1)
	v_cmp_neq_f32_e64 s4, v21, v6
	s_or_b32 s4, s4, s5
	s_delay_alu instid0(SALU_CYCLE_1)
	s_and_saveexec_b32 s5, s4
	s_cbranch_execz .LBB99_208
; %bb.207:
	v_sub_f32_e32 v5, v21, v6
	s_delay_alu instid0(VALU_DEP_1) | instskip(SKIP_1) | instid1(VALU_DEP_2)
	v_mul_f32_e32 v21, 0x3fb8aa3b, v5
	v_cmp_ngt_f32_e64 s4, 0xc2ce8ed0, v5
	v_fma_f32 v22, 0x3fb8aa3b, v5, -v21
	v_rndne_f32_e32 v23, v21
	s_delay_alu instid0(VALU_DEP_2) | instskip(NEXT) | instid1(VALU_DEP_2)
	v_fmamk_f32 v22, v5, 0x32a5705f, v22
	v_sub_f32_e32 v21, v21, v23
	s_delay_alu instid0(VALU_DEP_1) | instskip(SKIP_1) | instid1(VALU_DEP_2)
	v_add_f32_e32 v21, v21, v22
	v_cvt_i32_f32_e32 v22, v23
	v_exp_f32_e32 v21, v21
	s_waitcnt_depctr 0xfff
	v_ldexp_f32 v21, v21, v22
	s_delay_alu instid0(VALU_DEP_1) | instskip(SKIP_1) | instid1(VALU_DEP_1)
	v_cndmask_b32_e64 v21, 0, v21, s4
	v_cmp_nlt_f32_e64 s4, 0x42b17218, v5
	v_cndmask_b32_e64 v5, 0x7f800000, v21, s4
	s_delay_alu instid0(VALU_DEP_1) | instskip(SKIP_1) | instid1(VALU_DEP_2)
	v_add_f32_e32 v23, 1.0, v5
	v_cmp_gt_f32_e64 s6, 0x33800000, |v5|
	v_cvt_f64_f32_e32 v[21:22], v23
	s_delay_alu instid0(VALU_DEP_1) | instskip(SKIP_1) | instid1(VALU_DEP_1)
	v_frexp_exp_i32_f64_e32 v21, v[21:22]
	v_frexp_mant_f32_e32 v22, v23
	v_cmp_gt_f32_e64 s4, 0x3f2aaaab, v22
	v_add_f32_e32 v22, -1.0, v23
	s_delay_alu instid0(VALU_DEP_1) | instskip(NEXT) | instid1(VALU_DEP_3)
	v_dual_sub_f32 v25, v22, v23 :: v_dual_sub_f32 v22, v5, v22
	v_subrev_co_ci_u32_e64 v21, s4, 0, v21, s4
	s_mov_b32 s4, 0x3e9b6dac
	s_delay_alu instid0(VALU_DEP_1) | instskip(SKIP_1) | instid1(VALU_DEP_2)
	v_sub_nc_u32_e32 v24, 0, v21
	v_cvt_f32_i32_e32 v21, v21
	v_ldexp_f32 v23, v23, v24
	s_delay_alu instid0(VALU_DEP_1) | instskip(NEXT) | instid1(VALU_DEP_1)
	v_dual_add_f32 v25, 1.0, v25 :: v_dual_add_f32 v26, 1.0, v23
	v_add_f32_e32 v22, v22, v25
	s_delay_alu instid0(VALU_DEP_1) | instskip(NEXT) | instid1(VALU_DEP_3)
	v_ldexp_f32 v22, v22, v24
	v_dual_add_f32 v24, -1.0, v23 :: v_dual_add_f32 v25, -1.0, v26
	s_delay_alu instid0(VALU_DEP_1) | instskip(NEXT) | instid1(VALU_DEP_2)
	v_add_f32_e32 v27, 1.0, v24
	v_sub_f32_e32 v25, v23, v25
	s_delay_alu instid0(VALU_DEP_2) | instskip(NEXT) | instid1(VALU_DEP_2)
	v_sub_f32_e32 v23, v23, v27
	v_add_f32_e32 v25, v22, v25
	s_delay_alu instid0(VALU_DEP_2) | instskip(NEXT) | instid1(VALU_DEP_1)
	v_add_f32_e32 v22, v22, v23
	v_dual_add_f32 v28, v24, v22 :: v_dual_add_f32 v27, v26, v25
	s_delay_alu instid0(VALU_DEP_1) | instskip(NEXT) | instid1(VALU_DEP_2)
	v_sub_f32_e32 v24, v24, v28
	v_rcp_f32_e32 v23, v27
	v_sub_f32_e32 v26, v26, v27
	s_delay_alu instid0(VALU_DEP_1) | instskip(SKIP_2) | instid1(VALU_DEP_1)
	v_dual_add_f32 v22, v22, v24 :: v_dual_add_f32 v25, v25, v26
	s_waitcnt_depctr 0xfff
	v_mul_f32_e32 v29, v28, v23
	v_mul_f32_e32 v30, v27, v29
	s_delay_alu instid0(VALU_DEP_1) | instskip(NEXT) | instid1(VALU_DEP_1)
	v_fma_f32 v26, v29, v27, -v30
	v_fmac_f32_e32 v26, v29, v25
	s_delay_alu instid0(VALU_DEP_1) | instskip(NEXT) | instid1(VALU_DEP_1)
	v_add_f32_e32 v31, v30, v26
	v_sub_f32_e32 v32, v28, v31
	v_sub_f32_e32 v24, v31, v30
	s_delay_alu instid0(VALU_DEP_2) | instskip(NEXT) | instid1(VALU_DEP_2)
	v_sub_f32_e32 v28, v28, v32
	v_sub_f32_e32 v24, v24, v26
	s_delay_alu instid0(VALU_DEP_2) | instskip(NEXT) | instid1(VALU_DEP_1)
	v_sub_f32_e32 v28, v28, v31
	v_add_f32_e32 v22, v22, v28
	s_delay_alu instid0(VALU_DEP_1) | instskip(NEXT) | instid1(VALU_DEP_1)
	v_add_f32_e32 v22, v24, v22
	v_add_f32_e32 v24, v32, v22
	s_delay_alu instid0(VALU_DEP_1) | instskip(NEXT) | instid1(VALU_DEP_1)
	v_mul_f32_e32 v26, v23, v24
	v_dual_sub_f32 v31, v32, v24 :: v_dual_mul_f32 v28, v27, v26
	s_delay_alu instid0(VALU_DEP_1) | instskip(NEXT) | instid1(VALU_DEP_2)
	v_add_f32_e32 v22, v22, v31
	v_fma_f32 v27, v26, v27, -v28
	s_delay_alu instid0(VALU_DEP_1) | instskip(NEXT) | instid1(VALU_DEP_1)
	v_fmac_f32_e32 v27, v26, v25
	v_add_f32_e32 v25, v28, v27
	s_delay_alu instid0(VALU_DEP_1) | instskip(NEXT) | instid1(VALU_DEP_1)
	v_sub_f32_e32 v30, v24, v25
	v_sub_f32_e32 v24, v24, v30
	s_delay_alu instid0(VALU_DEP_1) | instskip(NEXT) | instid1(VALU_DEP_1)
	v_sub_f32_e32 v24, v24, v25
	v_add_f32_e32 v22, v22, v24
	v_add_f32_e32 v24, v29, v26
	v_sub_f32_e32 v28, v25, v28
	s_delay_alu instid0(VALU_DEP_1) | instskip(NEXT) | instid1(VALU_DEP_1)
	v_sub_f32_e32 v25, v28, v27
	v_dual_add_f32 v22, v25, v22 :: v_dual_sub_f32 v25, v24, v29
	s_delay_alu instid0(VALU_DEP_1) | instskip(NEXT) | instid1(VALU_DEP_1)
	v_add_f32_e32 v22, v30, v22
	v_dual_sub_f32 v25, v26, v25 :: v_dual_mul_f32 v22, v23, v22
	s_delay_alu instid0(VALU_DEP_1) | instskip(NEXT) | instid1(VALU_DEP_1)
	v_add_f32_e32 v22, v25, v22
	v_add_f32_e32 v23, v24, v22
	s_delay_alu instid0(VALU_DEP_1) | instskip(NEXT) | instid1(VALU_DEP_1)
	v_mul_f32_e32 v25, v23, v23
	v_fmaak_f32 v26, s4, v25, 0x3ecc95a3
	v_mul_f32_e32 v27, v23, v25
	v_cmp_eq_f32_e64 s4, 0x7f800000, v5
	s_delay_alu instid0(VALU_DEP_3) | instskip(SKIP_2) | instid1(VALU_DEP_4)
	v_fmaak_f32 v25, v25, v26, 0x3f2aaada
	v_ldexp_f32 v26, v23, 1
	v_sub_f32_e32 v23, v23, v24
	s_or_b32 s4, s4, s6
	s_delay_alu instid0(VALU_DEP_3) | instskip(NEXT) | instid1(VALU_DEP_2)
	v_mul_f32_e32 v25, v27, v25
	v_dual_mul_f32 v27, 0x3f317218, v21 :: v_dual_sub_f32 v22, v22, v23
	s_delay_alu instid0(VALU_DEP_2) | instskip(NEXT) | instid1(VALU_DEP_2)
	v_add_f32_e32 v24, v26, v25
	v_ldexp_f32 v22, v22, 1
	s_delay_alu instid0(VALU_DEP_2) | instskip(NEXT) | instid1(VALU_DEP_4)
	v_sub_f32_e32 v23, v24, v26
	v_fma_f32 v26, 0x3f317218, v21, -v27
	s_delay_alu instid0(VALU_DEP_2) | instskip(NEXT) | instid1(VALU_DEP_1)
	v_sub_f32_e32 v23, v25, v23
	v_dual_fmamk_f32 v21, v21, 0xb102e308, v26 :: v_dual_add_f32 v22, v22, v23
	s_delay_alu instid0(VALU_DEP_1) | instskip(NEXT) | instid1(VALU_DEP_1)
	v_add_f32_e32 v23, v27, v21
	v_sub_f32_e32 v27, v23, v27
	s_delay_alu instid0(VALU_DEP_1) | instskip(NEXT) | instid1(VALU_DEP_4)
	v_sub_f32_e32 v21, v21, v27
	v_add_f32_e32 v25, v24, v22
	s_delay_alu instid0(VALU_DEP_1) | instskip(NEXT) | instid1(VALU_DEP_1)
	v_sub_f32_e32 v24, v25, v24
	v_sub_f32_e32 v22, v22, v24
	v_add_f32_e32 v26, v23, v25
	s_delay_alu instid0(VALU_DEP_1) | instskip(NEXT) | instid1(VALU_DEP_1)
	v_sub_f32_e32 v28, v26, v23
	v_sub_f32_e32 v24, v25, v28
	s_delay_alu instid0(VALU_DEP_4) | instskip(SKIP_1) | instid1(VALU_DEP_1)
	v_add_f32_e32 v25, v21, v22
	v_sub_f32_e32 v29, v26, v28
	v_sub_f32_e32 v23, v23, v29
	s_delay_alu instid0(VALU_DEP_1) | instskip(NEXT) | instid1(VALU_DEP_1)
	v_dual_add_f32 v23, v24, v23 :: v_dual_sub_f32 v24, v25, v21
	v_dual_add_f32 v23, v25, v23 :: v_dual_sub_f32 v22, v22, v24
	v_sub_f32_e32 v25, v25, v24
	s_delay_alu instid0(VALU_DEP_2) | instskip(NEXT) | instid1(VALU_DEP_1)
	v_add_f32_e32 v27, v26, v23
	v_dual_sub_f32 v21, v21, v25 :: v_dual_sub_f32 v24, v27, v26
	s_delay_alu instid0(VALU_DEP_1) | instskip(NEXT) | instid1(VALU_DEP_1)
	v_dual_add_f32 v21, v22, v21 :: v_dual_sub_f32 v22, v23, v24
	v_add_f32_e32 v21, v21, v22
	s_delay_alu instid0(VALU_DEP_1) | instskip(NEXT) | instid1(VALU_DEP_1)
	v_add_f32_e32 v21, v27, v21
	v_cndmask_b32_e64 v5, v21, v5, s4
	s_delay_alu instid0(VALU_DEP_1)
	v_add_f32_e32 v5, v6, v5
.LBB99_208:
	s_or_b32 exec_lo, exec_lo, s5
	ds_store_b32 v20, v5 offset:28
.LBB99_209:
	s_or_b32 exec_lo, exec_lo, s7
	s_waitcnt lgkmcnt(0)
	s_barrier
	buffer_gl0_inv
	s_and_saveexec_b32 s4, vcc_lo
	s_cbranch_execz .LBB99_211
; %bb.210:
	v_add_nc_u32_e32 v4, -1, v0
	s_delay_alu instid0(VALU_DEP_1) | instskip(NEXT) | instid1(VALU_DEP_1)
	v_lshrrev_b32_e32 v5, 5, v4
	v_add_lshl_u32 v4, v5, v4, 2
	ds_load_b32 v4, v4
.LBB99_211:
	s_or_b32 exec_lo, exec_lo, s4
	s_and_saveexec_b32 s4, vcc_lo
	s_cbranch_execz .LBB99_215
; %bb.212:
	s_waitcnt lgkmcnt(0)
	v_max_f32_e32 v3, v4, v4
	v_cmp_u_f32_e32 vcc_lo, v4, v4
	s_delay_alu instid0(VALU_DEP_2) | instskip(SKIP_1) | instid1(VALU_DEP_2)
	v_min_f32_e32 v5, v3, v19
	v_max_f32_e32 v3, v3, v19
	v_cndmask_b32_e32 v5, v5, v4, vcc_lo
	s_delay_alu instid0(VALU_DEP_2) | instskip(NEXT) | instid1(VALU_DEP_2)
	v_cndmask_b32_e32 v6, v3, v4, vcc_lo
	v_cndmask_b32_e64 v3, v5, v1, s3
	s_delay_alu instid0(VALU_DEP_2) | instskip(NEXT) | instid1(VALU_DEP_2)
	v_cndmask_b32_e64 v1, v6, v1, s3
	v_cmp_class_f32_e64 s3, v3, 0x1f8
	s_delay_alu instid0(VALU_DEP_2) | instskip(NEXT) | instid1(VALU_DEP_2)
	v_cmp_neq_f32_e32 vcc_lo, v3, v1
	s_or_b32 s5, vcc_lo, s3
	s_delay_alu instid0(SALU_CYCLE_1)
	s_and_saveexec_b32 s3, s5
	s_cbranch_execz .LBB99_214
; %bb.213:
	v_sub_f32_e32 v3, v3, v1
	s_mov_b32 s5, 0x3e9b6dac
	s_delay_alu instid0(VALU_DEP_1) | instskip(NEXT) | instid1(VALU_DEP_1)
	v_mul_f32_e32 v4, 0x3fb8aa3b, v3
	v_fma_f32 v5, 0x3fb8aa3b, v3, -v4
	v_rndne_f32_e32 v6, v4
	s_delay_alu instid0(VALU_DEP_1) | instskip(SKIP_1) | instid1(VALU_DEP_4)
	v_sub_f32_e32 v4, v4, v6
	v_cmp_ngt_f32_e32 vcc_lo, 0xc2ce8ed0, v3
	v_fmamk_f32 v5, v3, 0x32a5705f, v5
	s_delay_alu instid0(VALU_DEP_1) | instskip(SKIP_1) | instid1(VALU_DEP_2)
	v_add_f32_e32 v4, v4, v5
	v_cvt_i32_f32_e32 v5, v6
	v_exp_f32_e32 v4, v4
	s_waitcnt_depctr 0xfff
	v_ldexp_f32 v4, v4, v5
	s_delay_alu instid0(VALU_DEP_1) | instskip(SKIP_1) | instid1(VALU_DEP_2)
	v_cndmask_b32_e32 v4, 0, v4, vcc_lo
	v_cmp_nlt_f32_e32 vcc_lo, 0x42b17218, v3
	v_cndmask_b32_e32 v5, 0x7f800000, v4, vcc_lo
	s_delay_alu instid0(VALU_DEP_1) | instskip(NEXT) | instid1(VALU_DEP_1)
	v_add_f32_e32 v6, 1.0, v5
	v_cvt_f64_f32_e32 v[3:4], v6
	s_delay_alu instid0(VALU_DEP_1) | instskip(SKIP_1) | instid1(VALU_DEP_1)
	v_frexp_exp_i32_f64_e32 v3, v[3:4]
	v_frexp_mant_f32_e32 v4, v6
	v_cmp_gt_f32_e32 vcc_lo, 0x3f2aaaab, v4
	v_add_f32_e32 v4, -1.0, v6
	s_delay_alu instid0(VALU_DEP_1) | instskip(SKIP_1) | instid1(VALU_DEP_2)
	v_sub_f32_e32 v12, v4, v6
	v_sub_f32_e32 v4, v5, v4
	v_add_f32_e32 v12, 1.0, v12
	s_delay_alu instid0(VALU_DEP_1) | instskip(SKIP_2) | instid1(VALU_DEP_2)
	v_add_f32_e32 v4, v4, v12
	v_subrev_co_ci_u32_e32 v3, vcc_lo, 0, v3, vcc_lo
	v_cmp_eq_f32_e32 vcc_lo, 0x7f800000, v5
	v_sub_nc_u32_e32 v11, 0, v3
	v_cvt_f32_i32_e32 v3, v3
	s_delay_alu instid0(VALU_DEP_2) | instskip(SKIP_1) | instid1(VALU_DEP_2)
	v_ldexp_f32 v6, v6, v11
	v_ldexp_f32 v4, v4, v11
	v_add_f32_e32 v19, 1.0, v6
	s_delay_alu instid0(VALU_DEP_1) | instskip(NEXT) | instid1(VALU_DEP_1)
	v_dual_add_f32 v11, -1.0, v6 :: v_dual_add_f32 v12, -1.0, v19
	v_add_f32_e32 v20, 1.0, v11
	s_delay_alu instid0(VALU_DEP_2) | instskip(NEXT) | instid1(VALU_DEP_2)
	v_sub_f32_e32 v12, v6, v12
	v_sub_f32_e32 v6, v6, v20
	s_delay_alu instid0(VALU_DEP_2) | instskip(NEXT) | instid1(VALU_DEP_2)
	v_add_f32_e32 v12, v4, v12
	v_add_f32_e32 v4, v4, v6
	s_delay_alu instid0(VALU_DEP_2) | instskip(NEXT) | instid1(VALU_DEP_2)
	v_add_f32_e32 v20, v19, v12
	v_add_f32_e32 v21, v11, v4
	s_delay_alu instid0(VALU_DEP_2) | instskip(SKIP_1) | instid1(VALU_DEP_1)
	v_rcp_f32_e32 v6, v20
	v_sub_f32_e32 v19, v19, v20
	v_dual_sub_f32 v11, v11, v21 :: v_dual_add_f32 v12, v12, v19
	s_waitcnt_depctr 0xfff
	v_mul_f32_e32 v22, v21, v6
	s_delay_alu instid0(VALU_DEP_1) | instskip(NEXT) | instid1(VALU_DEP_1)
	v_mul_f32_e32 v23, v20, v22
	v_fma_f32 v19, v22, v20, -v23
	s_delay_alu instid0(VALU_DEP_1) | instskip(NEXT) | instid1(VALU_DEP_1)
	v_fmac_f32_e32 v19, v22, v12
	v_add_f32_e32 v24, v23, v19
	s_delay_alu instid0(VALU_DEP_1) | instskip(NEXT) | instid1(VALU_DEP_1)
	v_sub_f32_e32 v25, v21, v24
	v_sub_f32_e32 v21, v21, v25
	s_delay_alu instid0(VALU_DEP_1) | instskip(SKIP_1) | instid1(VALU_DEP_1)
	v_dual_sub_f32 v21, v21, v24 :: v_dual_add_f32 v4, v4, v11
	v_sub_f32_e32 v11, v24, v23
	v_dual_add_f32 v4, v4, v21 :: v_dual_sub_f32 v11, v11, v19
	s_delay_alu instid0(VALU_DEP_1) | instskip(NEXT) | instid1(VALU_DEP_1)
	v_add_f32_e32 v4, v11, v4
	v_add_f32_e32 v11, v25, v4
	s_delay_alu instid0(VALU_DEP_1) | instskip(SKIP_1) | instid1(VALU_DEP_2)
	v_mul_f32_e32 v19, v6, v11
	v_sub_f32_e32 v24, v25, v11
	v_mul_f32_e32 v21, v20, v19
	s_delay_alu instid0(VALU_DEP_2) | instskip(NEXT) | instid1(VALU_DEP_2)
	v_add_f32_e32 v4, v4, v24
	v_fma_f32 v20, v19, v20, -v21
	s_delay_alu instid0(VALU_DEP_1) | instskip(NEXT) | instid1(VALU_DEP_1)
	v_fmac_f32_e32 v20, v19, v12
	v_add_f32_e32 v12, v21, v20
	s_delay_alu instid0(VALU_DEP_1) | instskip(SKIP_1) | instid1(VALU_DEP_2)
	v_sub_f32_e32 v23, v11, v12
	v_sub_f32_e32 v21, v12, v21
	;; [unrolled: 1-line block ×3, first 2 shown]
	s_delay_alu instid0(VALU_DEP_1) | instskip(NEXT) | instid1(VALU_DEP_3)
	v_sub_f32_e32 v11, v11, v12
	v_sub_f32_e32 v12, v21, v20
	s_delay_alu instid0(VALU_DEP_2) | instskip(NEXT) | instid1(VALU_DEP_1)
	v_add_f32_e32 v4, v4, v11
	v_dual_add_f32 v11, v22, v19 :: v_dual_add_f32 v4, v12, v4
	s_delay_alu instid0(VALU_DEP_1) | instskip(NEXT) | instid1(VALU_DEP_2)
	v_sub_f32_e32 v12, v11, v22
	v_add_f32_e32 v4, v23, v4
	s_delay_alu instid0(VALU_DEP_2) | instskip(NEXT) | instid1(VALU_DEP_2)
	v_sub_f32_e32 v12, v19, v12
	v_mul_f32_e32 v4, v6, v4
	s_delay_alu instid0(VALU_DEP_1) | instskip(NEXT) | instid1(VALU_DEP_1)
	v_add_f32_e32 v4, v12, v4
	v_add_f32_e32 v6, v11, v4
	s_delay_alu instid0(VALU_DEP_1) | instskip(NEXT) | instid1(VALU_DEP_1)
	v_mul_f32_e32 v12, v6, v6
	v_fmaak_f32 v19, s5, v12, 0x3ecc95a3
	v_mul_f32_e32 v20, v6, v12
	v_cmp_gt_f32_e64 s5, 0x33800000, |v5|
	s_delay_alu instid0(VALU_DEP_3) | instskip(SKIP_2) | instid1(VALU_DEP_4)
	v_fmaak_f32 v12, v12, v19, 0x3f2aaada
	v_ldexp_f32 v19, v6, 1
	v_sub_f32_e32 v6, v6, v11
	s_or_b32 vcc_lo, vcc_lo, s5
	s_delay_alu instid0(VALU_DEP_3) | instskip(NEXT) | instid1(VALU_DEP_1)
	v_mul_f32_e32 v12, v20, v12
	v_dual_sub_f32 v4, v4, v6 :: v_dual_add_f32 v11, v19, v12
	s_delay_alu instid0(VALU_DEP_1) | instskip(NEXT) | instid1(VALU_DEP_2)
	v_ldexp_f32 v4, v4, 1
	v_sub_f32_e32 v6, v11, v19
	s_delay_alu instid0(VALU_DEP_1) | instskip(NEXT) | instid1(VALU_DEP_1)
	v_sub_f32_e32 v6, v12, v6
	v_add_f32_e32 v4, v4, v6
	s_delay_alu instid0(VALU_DEP_1) | instskip(SKIP_1) | instid1(VALU_DEP_2)
	v_add_f32_e32 v12, v11, v4
	v_mul_f32_e32 v20, 0x3f317218, v3
	v_sub_f32_e32 v11, v12, v11
	s_delay_alu instid0(VALU_DEP_2) | instskip(NEXT) | instid1(VALU_DEP_1)
	v_fma_f32 v19, 0x3f317218, v3, -v20
	v_dual_sub_f32 v4, v4, v11 :: v_dual_fmamk_f32 v3, v3, 0xb102e308, v19
	s_delay_alu instid0(VALU_DEP_1) | instskip(NEXT) | instid1(VALU_DEP_1)
	v_add_f32_e32 v6, v20, v3
	v_add_f32_e32 v19, v6, v12
	s_delay_alu instid0(VALU_DEP_1) | instskip(NEXT) | instid1(VALU_DEP_1)
	v_dual_sub_f32 v20, v6, v20 :: v_dual_sub_f32 v21, v19, v6
	v_sub_f32_e32 v3, v3, v20
	s_delay_alu instid0(VALU_DEP_2) | instskip(NEXT) | instid1(VALU_DEP_2)
	v_sub_f32_e32 v22, v19, v21
	v_dual_sub_f32 v11, v12, v21 :: v_dual_add_f32 v12, v3, v4
	s_delay_alu instid0(VALU_DEP_2) | instskip(NEXT) | instid1(VALU_DEP_1)
	v_sub_f32_e32 v6, v6, v22
	v_dual_add_f32 v6, v11, v6 :: v_dual_sub_f32 v11, v12, v3
	s_delay_alu instid0(VALU_DEP_1) | instskip(NEXT) | instid1(VALU_DEP_2)
	v_add_f32_e32 v6, v12, v6
	v_sub_f32_e32 v12, v12, v11
	v_sub_f32_e32 v4, v4, v11
	s_delay_alu instid0(VALU_DEP_3) | instskip(NEXT) | instid1(VALU_DEP_3)
	v_add_f32_e32 v20, v19, v6
	v_sub_f32_e32 v3, v3, v12
	s_delay_alu instid0(VALU_DEP_2) | instskip(NEXT) | instid1(VALU_DEP_2)
	v_sub_f32_e32 v11, v20, v19
	v_add_f32_e32 v3, v4, v3
	s_delay_alu instid0(VALU_DEP_2) | instskip(NEXT) | instid1(VALU_DEP_1)
	v_sub_f32_e32 v4, v6, v11
	v_add_f32_e32 v3, v3, v4
	s_delay_alu instid0(VALU_DEP_1) | instskip(NEXT) | instid1(VALU_DEP_1)
	v_add_f32_e32 v3, v20, v3
	v_cndmask_b32_e32 v3, v3, v5, vcc_lo
	s_delay_alu instid0(VALU_DEP_1)
	v_add_f32_e32 v4, v1, v3
.LBB99_214:
	s_or_b32 exec_lo, exec_lo, s3
	s_delay_alu instid0(VALU_DEP_1) | instskip(SKIP_2) | instid1(VALU_DEP_2)
	v_max_f32_e32 v3, v4, v4
	v_mov_b32_e32 v1, v4
	;;#ASMSTART
	;;#ASMEND
	v_max_f32_e32 v12, v3, v18
	v_min_f32_e32 v11, v3, v18
	v_mov_b32_e32 v3, v4
	v_mov_b32_e32 v4, v5
	v_mov_b32_e32 v5, v6
	v_mov_b32_e32 v6, v7
.LBB99_215:
	s_or_b32 exec_lo, exec_lo, s4
	v_cmp_u_f32_e32 vcc_lo, v1, v1
	s_waitcnt lgkmcnt(0)
	v_cndmask_b32_e32 v4, v11, v1, vcc_lo
	v_cndmask_b32_e32 v5, v12, v1, vcc_lo
	s_delay_alu instid0(VALU_DEP_2) | instskip(NEXT) | instid1(VALU_DEP_2)
	v_cndmask_b32_e64 v4, v4, v2, s0
	v_cndmask_b32_e64 v2, v5, v2, s0
	s_delay_alu instid0(VALU_DEP_2) | instskip(NEXT) | instid1(VALU_DEP_2)
	v_cmp_class_f32_e64 s0, v4, 0x1f8
	v_cmp_neq_f32_e32 vcc_lo, v4, v2
	s_delay_alu instid0(VALU_DEP_2) | instskip(NEXT) | instid1(SALU_CYCLE_1)
	s_or_b32 s3, vcc_lo, s0
	s_and_saveexec_b32 s0, s3
	s_cbranch_execz .LBB99_217
; %bb.216:
	v_sub_f32_e32 v1, v4, v2
	s_mov_b32 s3, 0x3e9b6dac
	s_delay_alu instid0(VALU_DEP_1) | instskip(SKIP_1) | instid1(VALU_DEP_2)
	v_mul_f32_e32 v4, 0x3fb8aa3b, v1
	v_cmp_ngt_f32_e32 vcc_lo, 0xc2ce8ed0, v1
	v_fma_f32 v5, 0x3fb8aa3b, v1, -v4
	v_rndne_f32_e32 v6, v4
	s_delay_alu instid0(VALU_DEP_1) | instskip(NEXT) | instid1(VALU_DEP_1)
	v_dual_fmamk_f32 v5, v1, 0x32a5705f, v5 :: v_dual_sub_f32 v4, v4, v6
	v_add_f32_e32 v4, v4, v5
	v_cvt_i32_f32_e32 v5, v6
	s_delay_alu instid0(VALU_DEP_2) | instskip(SKIP_2) | instid1(VALU_DEP_1)
	v_exp_f32_e32 v4, v4
	s_waitcnt_depctr 0xfff
	v_ldexp_f32 v4, v4, v5
	v_cndmask_b32_e32 v4, 0, v4, vcc_lo
	v_cmp_nlt_f32_e32 vcc_lo, 0x42b17218, v1
	s_delay_alu instid0(VALU_DEP_2) | instskip(NEXT) | instid1(VALU_DEP_1)
	v_cndmask_b32_e32 v1, 0x7f800000, v4, vcc_lo
	v_add_f32_e32 v6, 1.0, v1
	s_delay_alu instid0(VALU_DEP_1) | instskip(NEXT) | instid1(VALU_DEP_1)
	v_cvt_f64_f32_e32 v[4:5], v6
	v_frexp_exp_i32_f64_e32 v4, v[4:5]
	v_frexp_mant_f32_e32 v5, v6
	s_delay_alu instid0(VALU_DEP_1) | instskip(SKIP_1) | instid1(VALU_DEP_1)
	v_cmp_gt_f32_e32 vcc_lo, 0x3f2aaaab, v5
	v_add_f32_e32 v5, -1.0, v6
	v_sub_f32_e32 v12, v5, v6
	s_delay_alu instid0(VALU_DEP_1) | instskip(NEXT) | instid1(VALU_DEP_1)
	v_dual_sub_f32 v5, v1, v5 :: v_dual_add_f32 v12, 1.0, v12
	v_add_f32_e32 v5, v5, v12
	v_subrev_co_ci_u32_e32 v4, vcc_lo, 0, v4, vcc_lo
	v_cmp_eq_f32_e32 vcc_lo, 0x7f800000, v1
	s_delay_alu instid0(VALU_DEP_2) | instskip(SKIP_1) | instid1(VALU_DEP_2)
	v_sub_nc_u32_e32 v11, 0, v4
	v_cvt_f32_i32_e32 v4, v4
	v_ldexp_f32 v6, v6, v11
	v_ldexp_f32 v5, v5, v11
	s_delay_alu instid0(VALU_DEP_2) | instskip(SKIP_1) | instid1(VALU_DEP_1)
	v_add_f32_e32 v11, -1.0, v6
	v_add_f32_e32 v18, 1.0, v6
	v_add_f32_e32 v12, -1.0, v18
	s_delay_alu instid0(VALU_DEP_1) | instskip(NEXT) | instid1(VALU_DEP_1)
	v_dual_sub_f32 v12, v6, v12 :: v_dual_add_f32 v19, 1.0, v11
	v_add_f32_e32 v12, v5, v12
	s_delay_alu instid0(VALU_DEP_2) | instskip(NEXT) | instid1(VALU_DEP_1)
	v_sub_f32_e32 v6, v6, v19
	v_add_f32_e32 v5, v5, v6
	s_delay_alu instid0(VALU_DEP_1) | instskip(NEXT) | instid1(VALU_DEP_1)
	v_add_f32_e32 v20, v11, v5
	v_sub_f32_e32 v11, v11, v20
	v_add_f32_e32 v19, v18, v12
	s_delay_alu instid0(VALU_DEP_1) | instskip(SKIP_1) | instid1(VALU_DEP_3)
	v_rcp_f32_e32 v6, v19
	v_sub_f32_e32 v18, v18, v19
	v_add_f32_e32 v5, v5, v11
	s_waitcnt_depctr 0xfff
	v_mul_f32_e32 v21, v20, v6
	v_add_f32_e32 v12, v12, v18
	s_delay_alu instid0(VALU_DEP_2) | instskip(NEXT) | instid1(VALU_DEP_1)
	v_mul_f32_e32 v22, v19, v21
	v_fma_f32 v18, v21, v19, -v22
	s_delay_alu instid0(VALU_DEP_1) | instskip(NEXT) | instid1(VALU_DEP_1)
	v_fmac_f32_e32 v18, v21, v12
	v_add_f32_e32 v23, v22, v18
	s_delay_alu instid0(VALU_DEP_1) | instskip(NEXT) | instid1(VALU_DEP_1)
	v_sub_f32_e32 v24, v20, v23
	v_sub_f32_e32 v20, v20, v24
	s_delay_alu instid0(VALU_DEP_1) | instskip(NEXT) | instid1(VALU_DEP_1)
	v_sub_f32_e32 v20, v20, v23
	v_add_f32_e32 v5, v5, v20
	v_sub_f32_e32 v11, v23, v22
	s_delay_alu instid0(VALU_DEP_1) | instskip(NEXT) | instid1(VALU_DEP_1)
	v_sub_f32_e32 v11, v11, v18
	v_add_f32_e32 v5, v11, v5
	s_delay_alu instid0(VALU_DEP_1) | instskip(NEXT) | instid1(VALU_DEP_1)
	v_add_f32_e32 v11, v24, v5
	v_mul_f32_e32 v18, v6, v11
	s_delay_alu instid0(VALU_DEP_1) | instskip(NEXT) | instid1(VALU_DEP_1)
	v_dual_mul_f32 v20, v19, v18 :: v_dual_sub_f32 v23, v24, v11
	v_fma_f32 v19, v18, v19, -v20
	s_delay_alu instid0(VALU_DEP_1) | instskip(NEXT) | instid1(VALU_DEP_1)
	v_fmac_f32_e32 v19, v18, v12
	v_add_f32_e32 v12, v20, v19
	s_delay_alu instid0(VALU_DEP_1) | instskip(NEXT) | instid1(VALU_DEP_1)
	v_dual_add_f32 v5, v5, v23 :: v_dual_sub_f32 v22, v11, v12
	v_sub_f32_e32 v11, v11, v22
	s_delay_alu instid0(VALU_DEP_1) | instskip(NEXT) | instid1(VALU_DEP_1)
	v_sub_f32_e32 v11, v11, v12
	v_add_f32_e32 v5, v5, v11
	v_dual_add_f32 v11, v21, v18 :: v_dual_sub_f32 v20, v12, v20
	s_delay_alu instid0(VALU_DEP_1) | instskip(NEXT) | instid1(VALU_DEP_1)
	v_sub_f32_e32 v12, v20, v19
	v_add_f32_e32 v5, v12, v5
	s_delay_alu instid0(VALU_DEP_3) | instskip(NEXT) | instid1(VALU_DEP_1)
	v_sub_f32_e32 v12, v11, v21
	v_sub_f32_e32 v12, v18, v12
	s_delay_alu instid0(VALU_DEP_3) | instskip(NEXT) | instid1(VALU_DEP_1)
	v_add_f32_e32 v5, v22, v5
	v_mul_f32_e32 v5, v6, v5
	s_delay_alu instid0(VALU_DEP_1) | instskip(NEXT) | instid1(VALU_DEP_1)
	v_add_f32_e32 v5, v12, v5
	v_add_f32_e32 v6, v11, v5
	s_delay_alu instid0(VALU_DEP_1) | instskip(NEXT) | instid1(VALU_DEP_1)
	v_mul_f32_e32 v12, v6, v6
	v_fmaak_f32 v18, s3, v12, 0x3ecc95a3
	v_mul_f32_e32 v19, v6, v12
	v_cmp_gt_f32_e64 s3, 0x33800000, |v1|
	s_delay_alu instid0(VALU_DEP_3) | instskip(SKIP_2) | instid1(VALU_DEP_4)
	v_fmaak_f32 v12, v12, v18, 0x3f2aaada
	v_ldexp_f32 v18, v6, 1
	v_sub_f32_e32 v6, v6, v11
	s_or_b32 vcc_lo, vcc_lo, s3
	s_delay_alu instid0(VALU_DEP_3) | instskip(SKIP_1) | instid1(VALU_DEP_3)
	v_mul_f32_e32 v12, v19, v12
	v_mul_f32_e32 v19, 0x3f317218, v4
	v_sub_f32_e32 v5, v5, v6
	s_delay_alu instid0(VALU_DEP_3) | instskip(NEXT) | instid1(VALU_DEP_2)
	v_add_f32_e32 v11, v18, v12
	v_ldexp_f32 v5, v5, 1
	s_delay_alu instid0(VALU_DEP_2) | instskip(SKIP_1) | instid1(VALU_DEP_2)
	v_sub_f32_e32 v6, v11, v18
	v_fma_f32 v18, 0x3f317218, v4, -v19
	v_sub_f32_e32 v6, v12, v6
	s_delay_alu instid0(VALU_DEP_1) | instskip(NEXT) | instid1(VALU_DEP_1)
	v_dual_fmamk_f32 v4, v4, 0xb102e308, v18 :: v_dual_add_f32 v5, v5, v6
	v_add_f32_e32 v12, v11, v5
	s_delay_alu instid0(VALU_DEP_1) | instskip(NEXT) | instid1(VALU_DEP_1)
	v_dual_sub_f32 v11, v12, v11 :: v_dual_add_f32 v6, v19, v4
	v_sub_f32_e32 v5, v5, v11
	s_delay_alu instid0(VALU_DEP_2) | instskip(SKIP_1) | instid1(VALU_DEP_2)
	v_sub_f32_e32 v19, v6, v19
	v_add_f32_e32 v18, v6, v12
	v_sub_f32_e32 v4, v4, v19
	s_delay_alu instid0(VALU_DEP_2) | instskip(NEXT) | instid1(VALU_DEP_1)
	v_sub_f32_e32 v20, v18, v6
	v_sub_f32_e32 v21, v18, v20
	;; [unrolled: 1-line block ×3, first 2 shown]
	s_delay_alu instid0(VALU_DEP_4) | instskip(NEXT) | instid1(VALU_DEP_3)
	v_add_f32_e32 v12, v4, v5
	v_sub_f32_e32 v6, v6, v21
	s_delay_alu instid0(VALU_DEP_1) | instskip(NEXT) | instid1(VALU_DEP_1)
	v_dual_add_f32 v6, v11, v6 :: v_dual_sub_f32 v11, v12, v4
	v_add_f32_e32 v6, v12, v6
	s_delay_alu instid0(VALU_DEP_2) | instskip(SKIP_1) | instid1(VALU_DEP_3)
	v_sub_f32_e32 v12, v12, v11
	v_sub_f32_e32 v5, v5, v11
	v_add_f32_e32 v19, v18, v6
	s_delay_alu instid0(VALU_DEP_1) | instskip(NEXT) | instid1(VALU_DEP_1)
	v_dual_sub_f32 v11, v19, v18 :: v_dual_sub_f32 v4, v4, v12
	v_dual_add_f32 v4, v5, v4 :: v_dual_sub_f32 v5, v6, v11
	s_delay_alu instid0(VALU_DEP_1) | instskip(NEXT) | instid1(VALU_DEP_1)
	v_add_f32_e32 v4, v4, v5
	v_add_f32_e32 v4, v19, v4
	s_delay_alu instid0(VALU_DEP_1) | instskip(NEXT) | instid1(VALU_DEP_1)
	v_cndmask_b32_e32 v1, v4, v1, vcc_lo
	v_add_f32_e32 v1, v2, v1
.LBB99_217:
	s_or_b32 exec_lo, exec_lo, s0
	s_delay_alu instid0(VALU_DEP_1) | instskip(SKIP_1) | instid1(VALU_DEP_2)
	v_max_f32_e32 v2, v1, v1
	v_cmp_u_f32_e32 vcc_lo, v1, v1
	v_dual_mov_b32 v5, v1 :: v_dual_min_f32 v4, v2, v9
	v_max_f32_e32 v2, v2, v9
	s_delay_alu instid0(VALU_DEP_2) | instskip(NEXT) | instid1(VALU_DEP_2)
	v_cndmask_b32_e32 v4, v4, v1, vcc_lo
	v_cndmask_b32_e32 v2, v2, v1, vcc_lo
	s_delay_alu instid0(VALU_DEP_2) | instskip(NEXT) | instid1(VALU_DEP_2)
	v_cndmask_b32_e64 v4, v4, v7, s1
	v_cndmask_b32_e64 v2, v2, v7, s1
	s_delay_alu instid0(VALU_DEP_2) | instskip(NEXT) | instid1(VALU_DEP_2)
	v_cmp_class_f32_e64 s0, v4, 0x1f8
	v_cmp_neq_f32_e32 vcc_lo, v4, v2
	s_delay_alu instid0(VALU_DEP_2) | instskip(NEXT) | instid1(SALU_CYCLE_1)
	s_or_b32 s1, vcc_lo, s0
	s_and_saveexec_b32 s0, s1
	s_cbranch_execz .LBB99_219
; %bb.218:
	v_sub_f32_e32 v4, v4, v2
	s_mov_b32 s1, 0x3e9b6dac
	s_delay_alu instid0(VALU_DEP_1) | instskip(NEXT) | instid1(VALU_DEP_1)
	v_mul_f32_e32 v5, 0x3fb8aa3b, v4
	v_fma_f32 v6, 0x3fb8aa3b, v4, -v5
	v_rndne_f32_e32 v7, v5
	s_delay_alu instid0(VALU_DEP_1) | instskip(SKIP_1) | instid1(VALU_DEP_4)
	v_sub_f32_e32 v5, v5, v7
	v_cmp_ngt_f32_e32 vcc_lo, 0xc2ce8ed0, v4
	v_fmamk_f32 v6, v4, 0x32a5705f, v6
	s_delay_alu instid0(VALU_DEP_1) | instskip(SKIP_1) | instid1(VALU_DEP_2)
	v_add_f32_e32 v5, v5, v6
	v_cvt_i32_f32_e32 v6, v7
	v_exp_f32_e32 v5, v5
	s_waitcnt_depctr 0xfff
	v_ldexp_f32 v5, v5, v6
	s_delay_alu instid0(VALU_DEP_1) | instskip(SKIP_1) | instid1(VALU_DEP_2)
	v_cndmask_b32_e32 v5, 0, v5, vcc_lo
	v_cmp_nlt_f32_e32 vcc_lo, 0x42b17218, v4
	v_cndmask_b32_e32 v6, 0x7f800000, v5, vcc_lo
	s_delay_alu instid0(VALU_DEP_1) | instskip(NEXT) | instid1(VALU_DEP_1)
	v_add_f32_e32 v7, 1.0, v6
	v_cvt_f64_f32_e32 v[4:5], v7
	s_delay_alu instid0(VALU_DEP_1) | instskip(SKIP_1) | instid1(VALU_DEP_1)
	v_frexp_exp_i32_f64_e32 v4, v[4:5]
	v_frexp_mant_f32_e32 v5, v7
	v_cmp_gt_f32_e32 vcc_lo, 0x3f2aaaab, v5
	v_add_f32_e32 v5, -1.0, v7
	s_delay_alu instid0(VALU_DEP_1) | instskip(SKIP_1) | instid1(VALU_DEP_2)
	v_sub_f32_e32 v11, v5, v7
	v_sub_f32_e32 v5, v6, v5
	v_add_f32_e32 v11, 1.0, v11
	s_delay_alu instid0(VALU_DEP_1) | instskip(SKIP_2) | instid1(VALU_DEP_2)
	v_add_f32_e32 v5, v5, v11
	v_subrev_co_ci_u32_e32 v4, vcc_lo, 0, v4, vcc_lo
	v_cmp_eq_f32_e32 vcc_lo, 0x7f800000, v6
	v_sub_nc_u32_e32 v9, 0, v4
	v_cvt_f32_i32_e32 v4, v4
	s_delay_alu instid0(VALU_DEP_2) | instskip(SKIP_1) | instid1(VALU_DEP_2)
	v_ldexp_f32 v7, v7, v9
	v_ldexp_f32 v5, v5, v9
	v_add_f32_e32 v12, 1.0, v7
	v_add_f32_e32 v9, -1.0, v7
	s_delay_alu instid0(VALU_DEP_1) | instskip(NEXT) | instid1(VALU_DEP_1)
	v_dual_add_f32 v11, -1.0, v12 :: v_dual_add_f32 v18, 1.0, v9
	v_sub_f32_e32 v11, v7, v11
	s_delay_alu instid0(VALU_DEP_2) | instskip(NEXT) | instid1(VALU_DEP_2)
	v_sub_f32_e32 v7, v7, v18
	v_add_f32_e32 v11, v5, v11
	s_delay_alu instid0(VALU_DEP_2) | instskip(NEXT) | instid1(VALU_DEP_2)
	v_add_f32_e32 v5, v5, v7
	v_add_f32_e32 v18, v12, v11
	s_delay_alu instid0(VALU_DEP_1) | instskip(SKIP_1) | instid1(VALU_DEP_1)
	v_rcp_f32_e32 v7, v18
	v_sub_f32_e32 v12, v12, v18
	v_add_f32_e32 v11, v11, v12
	v_add_f32_e32 v19, v9, v5
	s_waitcnt_depctr 0xfff
	v_mul_f32_e32 v20, v19, v7
	v_sub_f32_e32 v9, v9, v19
	s_delay_alu instid0(VALU_DEP_2) | instskip(NEXT) | instid1(VALU_DEP_2)
	v_mul_f32_e32 v21, v18, v20
	v_add_f32_e32 v5, v5, v9
	s_delay_alu instid0(VALU_DEP_2) | instskip(NEXT) | instid1(VALU_DEP_1)
	v_fma_f32 v12, v20, v18, -v21
	v_fmac_f32_e32 v12, v20, v11
	s_delay_alu instid0(VALU_DEP_1) | instskip(NEXT) | instid1(VALU_DEP_1)
	v_add_f32_e32 v22, v21, v12
	v_sub_f32_e32 v23, v19, v22
	v_sub_f32_e32 v9, v22, v21
	s_delay_alu instid0(VALU_DEP_2) | instskip(NEXT) | instid1(VALU_DEP_2)
	v_sub_f32_e32 v19, v19, v23
	v_sub_f32_e32 v9, v9, v12
	s_delay_alu instid0(VALU_DEP_2) | instskip(NEXT) | instid1(VALU_DEP_1)
	v_sub_f32_e32 v19, v19, v22
	v_add_f32_e32 v5, v5, v19
	s_delay_alu instid0(VALU_DEP_1) | instskip(NEXT) | instid1(VALU_DEP_1)
	v_add_f32_e32 v5, v9, v5
	v_add_f32_e32 v9, v23, v5
	s_delay_alu instid0(VALU_DEP_1) | instskip(NEXT) | instid1(VALU_DEP_1)
	v_mul_f32_e32 v12, v7, v9
	v_dual_sub_f32 v22, v23, v9 :: v_dual_mul_f32 v19, v18, v12
	s_delay_alu instid0(VALU_DEP_1) | instskip(NEXT) | instid1(VALU_DEP_2)
	v_add_f32_e32 v5, v5, v22
	v_fma_f32 v18, v12, v18, -v19
	s_delay_alu instid0(VALU_DEP_1) | instskip(NEXT) | instid1(VALU_DEP_1)
	v_fmac_f32_e32 v18, v12, v11
	v_add_f32_e32 v11, v19, v18
	s_delay_alu instid0(VALU_DEP_1) | instskip(SKIP_1) | instid1(VALU_DEP_2)
	v_sub_f32_e32 v21, v9, v11
	v_sub_f32_e32 v19, v11, v19
	;; [unrolled: 1-line block ×3, first 2 shown]
	s_delay_alu instid0(VALU_DEP_1) | instskip(NEXT) | instid1(VALU_DEP_3)
	v_sub_f32_e32 v9, v9, v11
	v_sub_f32_e32 v11, v19, v18
	s_delay_alu instid0(VALU_DEP_2) | instskip(SKIP_1) | instid1(VALU_DEP_2)
	v_add_f32_e32 v5, v5, v9
	v_add_f32_e32 v9, v20, v12
	;; [unrolled: 1-line block ×3, first 2 shown]
	s_delay_alu instid0(VALU_DEP_2) | instskip(NEXT) | instid1(VALU_DEP_2)
	v_sub_f32_e32 v11, v9, v20
	v_add_f32_e32 v5, v21, v5
	s_delay_alu instid0(VALU_DEP_2) | instskip(NEXT) | instid1(VALU_DEP_2)
	v_sub_f32_e32 v11, v12, v11
	v_mul_f32_e32 v5, v7, v5
	s_delay_alu instid0(VALU_DEP_1) | instskip(NEXT) | instid1(VALU_DEP_1)
	v_add_f32_e32 v5, v11, v5
	v_add_f32_e32 v7, v9, v5
	s_delay_alu instid0(VALU_DEP_1) | instskip(NEXT) | instid1(VALU_DEP_1)
	v_mul_f32_e32 v11, v7, v7
	v_fmaak_f32 v12, s1, v11, 0x3ecc95a3
	v_mul_f32_e32 v18, v7, v11
	v_cmp_gt_f32_e64 s1, 0x33800000, |v6|
	s_delay_alu instid0(VALU_DEP_3) | instskip(SKIP_2) | instid1(VALU_DEP_4)
	v_fmaak_f32 v11, v11, v12, 0x3f2aaada
	v_ldexp_f32 v12, v7, 1
	v_sub_f32_e32 v7, v7, v9
	s_or_b32 vcc_lo, vcc_lo, s1
	s_delay_alu instid0(VALU_DEP_3) | instskip(NEXT) | instid1(VALU_DEP_2)
	v_dual_mul_f32 v11, v18, v11 :: v_dual_mul_f32 v18, 0x3f317218, v4
	v_sub_f32_e32 v5, v5, v7
	s_delay_alu instid0(VALU_DEP_2) | instskip(NEXT) | instid1(VALU_DEP_2)
	v_add_f32_e32 v9, v12, v11
	v_ldexp_f32 v5, v5, 1
	s_delay_alu instid0(VALU_DEP_2) | instskip(SKIP_1) | instid1(VALU_DEP_1)
	v_sub_f32_e32 v7, v9, v12
	v_fma_f32 v12, 0x3f317218, v4, -v18
	v_dual_sub_f32 v7, v11, v7 :: v_dual_fmamk_f32 v4, v4, 0xb102e308, v12
	s_delay_alu instid0(VALU_DEP_1) | instskip(NEXT) | instid1(VALU_DEP_2)
	v_add_f32_e32 v5, v5, v7
	v_add_f32_e32 v7, v18, v4
	s_delay_alu instid0(VALU_DEP_1) | instskip(NEXT) | instid1(VALU_DEP_1)
	v_dual_add_f32 v11, v9, v5 :: v_dual_sub_f32 v18, v7, v18
	v_add_f32_e32 v12, v7, v11
	s_delay_alu instid0(VALU_DEP_2) | instskip(NEXT) | instid1(VALU_DEP_2)
	v_dual_sub_f32 v9, v11, v9 :: v_dual_sub_f32 v4, v4, v18
	v_sub_f32_e32 v19, v12, v7
	s_delay_alu instid0(VALU_DEP_1) | instskip(SKIP_1) | instid1(VALU_DEP_2)
	v_dual_sub_f32 v5, v5, v9 :: v_dual_sub_f32 v20, v12, v19
	v_sub_f32_e32 v9, v11, v19
	v_add_f32_e32 v11, v4, v5
	s_delay_alu instid0(VALU_DEP_3) | instskip(NEXT) | instid1(VALU_DEP_1)
	v_sub_f32_e32 v7, v7, v20
	v_add_f32_e32 v7, v9, v7
	s_delay_alu instid0(VALU_DEP_3) | instskip(NEXT) | instid1(VALU_DEP_2)
	v_sub_f32_e32 v9, v11, v4
	v_add_f32_e32 v7, v11, v7
	s_delay_alu instid0(VALU_DEP_2) | instskip(NEXT) | instid1(VALU_DEP_2)
	v_sub_f32_e32 v11, v11, v9
	v_dual_sub_f32 v5, v5, v9 :: v_dual_add_f32 v18, v12, v7
	s_delay_alu instid0(VALU_DEP_1) | instskip(NEXT) | instid1(VALU_DEP_1)
	v_dual_sub_f32 v4, v4, v11 :: v_dual_sub_f32 v9, v18, v12
	v_dual_add_f32 v4, v5, v4 :: v_dual_sub_f32 v5, v7, v9
	s_delay_alu instid0(VALU_DEP_1) | instskip(NEXT) | instid1(VALU_DEP_1)
	v_add_f32_e32 v4, v4, v5
	v_add_f32_e32 v4, v18, v4
	s_delay_alu instid0(VALU_DEP_1) | instskip(NEXT) | instid1(VALU_DEP_1)
	v_cndmask_b32_e32 v4, v4, v6, vcc_lo
	v_add_f32_e32 v5, v2, v4
.LBB99_219:
	s_or_b32 exec_lo, exec_lo, s0
	s_delay_alu instid0(VALU_DEP_1) | instskip(SKIP_2) | instid1(VALU_DEP_3)
	v_max_f32_e32 v2, v5, v5
	v_cmp_u_f32_e32 vcc_lo, v5, v5
	v_mov_b32_e32 v6, v5
	v_min_f32_e32 v4, v2, v10
	v_max_f32_e32 v2, v2, v10
	s_delay_alu instid0(VALU_DEP_2) | instskip(NEXT) | instid1(VALU_DEP_2)
	v_cndmask_b32_e32 v4, v4, v5, vcc_lo
	v_cndmask_b32_e32 v2, v2, v5, vcc_lo
	s_delay_alu instid0(VALU_DEP_2) | instskip(NEXT) | instid1(VALU_DEP_2)
	v_cndmask_b32_e64 v4, v4, v8, s2
	v_cndmask_b32_e64 v2, v2, v8, s2
	s_delay_alu instid0(VALU_DEP_2) | instskip(NEXT) | instid1(VALU_DEP_2)
	v_cmp_class_f32_e64 s0, v4, 0x1f8
	v_cmp_neq_f32_e32 vcc_lo, v4, v2
	s_delay_alu instid0(VALU_DEP_2) | instskip(NEXT) | instid1(SALU_CYCLE_1)
	s_or_b32 s1, vcc_lo, s0
	s_and_saveexec_b32 s0, s1
	s_cbranch_execz .LBB99_221
; %bb.220:
	v_sub_f32_e32 v4, v4, v2
	s_mov_b32 s1, 0x3e9b6dac
	s_delay_alu instid0(VALU_DEP_1) | instskip(SKIP_1) | instid1(VALU_DEP_2)
	v_mul_f32_e32 v6, 0x3fb8aa3b, v4
	v_cmp_ngt_f32_e32 vcc_lo, 0xc2ce8ed0, v4
	v_fma_f32 v7, 0x3fb8aa3b, v4, -v6
	v_rndne_f32_e32 v8, v6
	s_delay_alu instid0(VALU_DEP_1) | instskip(NEXT) | instid1(VALU_DEP_1)
	v_dual_fmamk_f32 v7, v4, 0x32a5705f, v7 :: v_dual_sub_f32 v6, v6, v8
	v_add_f32_e32 v6, v6, v7
	v_cvt_i32_f32_e32 v7, v8
	s_delay_alu instid0(VALU_DEP_2) | instskip(SKIP_2) | instid1(VALU_DEP_1)
	v_exp_f32_e32 v6, v6
	s_waitcnt_depctr 0xfff
	v_ldexp_f32 v6, v6, v7
	v_cndmask_b32_e32 v6, 0, v6, vcc_lo
	v_cmp_nlt_f32_e32 vcc_lo, 0x42b17218, v4
	s_delay_alu instid0(VALU_DEP_2) | instskip(NEXT) | instid1(VALU_DEP_1)
	v_cndmask_b32_e32 v4, 0x7f800000, v6, vcc_lo
	v_add_f32_e32 v8, 1.0, v4
	s_delay_alu instid0(VALU_DEP_1) | instskip(NEXT) | instid1(VALU_DEP_1)
	v_cvt_f64_f32_e32 v[6:7], v8
	v_frexp_exp_i32_f64_e32 v6, v[6:7]
	v_frexp_mant_f32_e32 v7, v8
	s_delay_alu instid0(VALU_DEP_1) | instskip(SKIP_1) | instid1(VALU_DEP_1)
	v_cmp_gt_f32_e32 vcc_lo, 0x3f2aaaab, v7
	v_add_f32_e32 v7, -1.0, v8
	v_dual_sub_f32 v10, v7, v8 :: v_dual_sub_f32 v7, v4, v7
	s_delay_alu instid0(VALU_DEP_1) | instskip(NEXT) | instid1(VALU_DEP_1)
	v_add_f32_e32 v10, 1.0, v10
	v_add_f32_e32 v7, v7, v10
	v_subrev_co_ci_u32_e32 v6, vcc_lo, 0, v6, vcc_lo
	s_delay_alu instid0(VALU_DEP_1) | instskip(SKIP_1) | instid1(VALU_DEP_2)
	v_sub_nc_u32_e32 v9, 0, v6
	v_cvt_f32_i32_e32 v6, v6
	v_ldexp_f32 v8, v8, v9
	v_ldexp_f32 v7, v7, v9
	s_delay_alu instid0(VALU_DEP_2) | instskip(NEXT) | instid1(VALU_DEP_1)
	v_add_f32_e32 v11, 1.0, v8
	v_dual_add_f32 v9, -1.0, v8 :: v_dual_add_f32 v10, -1.0, v11
	s_delay_alu instid0(VALU_DEP_1) | instskip(NEXT) | instid1(VALU_DEP_2)
	v_add_f32_e32 v12, 1.0, v9
	v_sub_f32_e32 v10, v8, v10
	s_delay_alu instid0(VALU_DEP_2) | instskip(NEXT) | instid1(VALU_DEP_2)
	v_sub_f32_e32 v8, v8, v12
	v_add_f32_e32 v10, v7, v10
	s_delay_alu instid0(VALU_DEP_2) | instskip(SKIP_1) | instid1(VALU_DEP_3)
	v_add_f32_e32 v7, v7, v8
	v_cmp_eq_f32_e32 vcc_lo, 0x7f800000, v4
	v_add_f32_e32 v12, v11, v10
	s_delay_alu instid0(VALU_DEP_1) | instskip(NEXT) | instid1(VALU_DEP_3)
	v_rcp_f32_e32 v8, v12
	v_dual_add_f32 v18, v9, v7 :: v_dual_sub_f32 v11, v11, v12
	s_delay_alu instid0(VALU_DEP_1) | instskip(SKIP_2) | instid1(VALU_DEP_1)
	v_dual_sub_f32 v9, v9, v18 :: v_dual_add_f32 v10, v10, v11
	s_waitcnt_depctr 0xfff
	v_mul_f32_e32 v19, v18, v8
	v_dual_add_f32 v7, v7, v9 :: v_dual_mul_f32 v20, v12, v19
	s_delay_alu instid0(VALU_DEP_1) | instskip(NEXT) | instid1(VALU_DEP_1)
	v_fma_f32 v11, v19, v12, -v20
	v_fmac_f32_e32 v11, v19, v10
	s_delay_alu instid0(VALU_DEP_1) | instskip(NEXT) | instid1(VALU_DEP_1)
	v_add_f32_e32 v21, v20, v11
	v_sub_f32_e32 v22, v18, v21
	s_delay_alu instid0(VALU_DEP_1) | instskip(NEXT) | instid1(VALU_DEP_1)
	v_sub_f32_e32 v18, v18, v22
	v_sub_f32_e32 v18, v18, v21
	s_delay_alu instid0(VALU_DEP_1) | instskip(SKIP_1) | instid1(VALU_DEP_1)
	v_add_f32_e32 v7, v7, v18
	v_sub_f32_e32 v9, v21, v20
	v_sub_f32_e32 v9, v9, v11
	s_delay_alu instid0(VALU_DEP_1) | instskip(NEXT) | instid1(VALU_DEP_1)
	v_add_f32_e32 v7, v9, v7
	v_add_f32_e32 v9, v22, v7
	s_delay_alu instid0(VALU_DEP_1) | instskip(NEXT) | instid1(VALU_DEP_1)
	v_mul_f32_e32 v11, v8, v9
	v_mul_f32_e32 v18, v12, v11
	s_delay_alu instid0(VALU_DEP_1) | instskip(NEXT) | instid1(VALU_DEP_1)
	v_fma_f32 v12, v11, v12, -v18
	v_dual_fmac_f32 v12, v11, v10 :: v_dual_sub_f32 v21, v22, v9
	s_delay_alu instid0(VALU_DEP_1) | instskip(NEXT) | instid1(VALU_DEP_1)
	v_dual_add_f32 v7, v7, v21 :: v_dual_add_f32 v10, v18, v12
	v_sub_f32_e32 v20, v9, v10
	s_delay_alu instid0(VALU_DEP_1) | instskip(NEXT) | instid1(VALU_DEP_1)
	v_sub_f32_e32 v9, v9, v20
	v_sub_f32_e32 v9, v9, v10
	s_delay_alu instid0(VALU_DEP_1) | instskip(SKIP_1) | instid1(VALU_DEP_1)
	v_add_f32_e32 v7, v7, v9
	v_dual_add_f32 v9, v19, v11 :: v_dual_sub_f32 v18, v10, v18
	v_sub_f32_e32 v10, v18, v12
	s_delay_alu instid0(VALU_DEP_1) | instskip(NEXT) | instid1(VALU_DEP_3)
	v_add_f32_e32 v7, v10, v7
	v_sub_f32_e32 v10, v9, v19
	s_delay_alu instid0(VALU_DEP_1) | instskip(NEXT) | instid1(VALU_DEP_1)
	v_dual_sub_f32 v10, v11, v10 :: v_dual_add_f32 v7, v20, v7
	v_mul_f32_e32 v7, v8, v7
	s_delay_alu instid0(VALU_DEP_1) | instskip(NEXT) | instid1(VALU_DEP_1)
	v_add_f32_e32 v7, v10, v7
	v_add_f32_e32 v8, v9, v7
	s_delay_alu instid0(VALU_DEP_1) | instskip(NEXT) | instid1(VALU_DEP_1)
	v_mul_f32_e32 v10, v8, v8
	v_fmaak_f32 v11, s1, v10, 0x3ecc95a3
	v_mul_f32_e32 v12, v8, v10
	v_cmp_gt_f32_e64 s1, 0x33800000, |v4|
	s_delay_alu instid0(VALU_DEP_3) | instskip(SKIP_1) | instid1(VALU_DEP_3)
	v_fmaak_f32 v10, v10, v11, 0x3f2aaada
	v_ldexp_f32 v11, v8, 1
	s_or_b32 vcc_lo, vcc_lo, s1
	s_delay_alu instid0(VALU_DEP_2) | instskip(NEXT) | instid1(VALU_DEP_1)
	v_mul_f32_e32 v10, v12, v10
	v_dual_sub_f32 v8, v8, v9 :: v_dual_add_f32 v9, v11, v10
	s_delay_alu instid0(VALU_DEP_1) | instskip(NEXT) | instid1(VALU_DEP_1)
	v_dual_sub_f32 v7, v7, v8 :: v_dual_sub_f32 v8, v9, v11
	v_ldexp_f32 v7, v7, 1
	s_delay_alu instid0(VALU_DEP_2) | instskip(NEXT) | instid1(VALU_DEP_1)
	v_sub_f32_e32 v8, v10, v8
	v_add_f32_e32 v7, v7, v8
	s_delay_alu instid0(VALU_DEP_1) | instskip(NEXT) | instid1(VALU_DEP_1)
	v_add_f32_e32 v10, v9, v7
	v_dual_mul_f32 v12, 0x3f317218, v6 :: v_dual_sub_f32 v9, v10, v9
	s_delay_alu instid0(VALU_DEP_1) | instskip(NEXT) | instid1(VALU_DEP_1)
	v_fma_f32 v11, 0x3f317218, v6, -v12
	v_dual_sub_f32 v7, v7, v9 :: v_dual_fmamk_f32 v6, v6, 0xb102e308, v11
	s_delay_alu instid0(VALU_DEP_1) | instskip(NEXT) | instid1(VALU_DEP_1)
	v_add_f32_e32 v8, v12, v6
	v_add_f32_e32 v11, v8, v10
	v_sub_f32_e32 v12, v8, v12
	s_delay_alu instid0(VALU_DEP_1) | instskip(NEXT) | instid1(VALU_DEP_3)
	v_sub_f32_e32 v6, v6, v12
	v_sub_f32_e32 v18, v11, v8
	s_delay_alu instid0(VALU_DEP_1) | instskip(SKIP_1) | instid1(VALU_DEP_4)
	v_sub_f32_e32 v19, v11, v18
	v_sub_f32_e32 v9, v10, v18
	v_add_f32_e32 v10, v6, v7
	s_delay_alu instid0(VALU_DEP_3) | instskip(NEXT) | instid1(VALU_DEP_1)
	v_sub_f32_e32 v8, v8, v19
	v_dual_add_f32 v8, v9, v8 :: v_dual_sub_f32 v9, v10, v6
	s_delay_alu instid0(VALU_DEP_1) | instskip(NEXT) | instid1(VALU_DEP_2)
	v_add_f32_e32 v8, v10, v8
	v_sub_f32_e32 v10, v10, v9
	v_sub_f32_e32 v7, v7, v9
	s_delay_alu instid0(VALU_DEP_3) | instskip(NEXT) | instid1(VALU_DEP_1)
	v_add_f32_e32 v12, v11, v8
	v_dual_sub_f32 v9, v12, v11 :: v_dual_sub_f32 v6, v6, v10
	s_delay_alu instid0(VALU_DEP_1) | instskip(NEXT) | instid1(VALU_DEP_1)
	v_dual_add_f32 v6, v7, v6 :: v_dual_sub_f32 v7, v8, v9
	v_add_f32_e32 v6, v6, v7
	s_delay_alu instid0(VALU_DEP_1) | instskip(NEXT) | instid1(VALU_DEP_1)
	v_add_f32_e32 v6, v12, v6
	v_cndmask_b32_e32 v4, v6, v4, vcc_lo
	s_delay_alu instid0(VALU_DEP_1)
	v_add_f32_e32 v6, v2, v4
.LBB99_221:
	s_or_b32 exec_lo, exec_lo, s0
	v_mov_b32_e32 v4, v1
	s_mov_b32 s0, exec_lo
	v_cmpx_eq_u32_e32 0xff, v0
	s_cbranch_execz .LBB99_223
; %bb.222:
	v_dual_mov_b32 v7, 0 :: v_dual_mov_b32 v2, 2
	v_mov_b32_e32 v1, v6
	global_store_b64 v7, v[1:2], s[22:23] offset:256
.LBB99_223:
	s_or_b32 exec_lo, exec_lo, s0
.LBB99_224:
	s_add_u32 s0, s20, s18
	v_lshlrev_b32_e32 v2, 4, v0
	v_lshrrev_b32_e32 v1, 5, v0
	s_addc_u32 s1, s21, s19
	s_add_u32 s0, s0, s16
	s_addc_u32 s1, s1, s17
	s_and_b32 vcc_lo, exec_lo, s26
	s_mov_b32 s2, -1
	s_waitcnt lgkmcnt(0)
	s_waitcnt_vscnt null, 0x0
	s_barrier
	buffer_gl0_inv
	s_cbranch_vccz .LBB99_226
; %bb.225:
	v_lshl_add_u32 v7, v17, 2, v2
	v_lshrrev_b32_e32 v8, 5, v15
	v_lshrrev_b32_e32 v9, 5, v14
	v_add_lshl_u32 v10, v1, v0, 2
	s_mov_b32 s2, 0
	ds_store_2addr_b32 v7, v3, v4 offset1:1
	ds_store_2addr_b32 v7, v5, v6 offset0:2 offset1:3
	v_lshrrev_b32_e32 v7, 5, v13
	v_add_lshl_u32 v8, v8, v0, 2
	v_add_lshl_u32 v9, v9, v0, 2
	s_waitcnt lgkmcnt(0)
	s_barrier
	v_add_lshl_u32 v7, v7, v0, 2
	buffer_gl0_inv
	ds_load_b32 v10, v10
	ds_load_b32 v8, v8 offset:1024
	ds_load_b32 v9, v9 offset:2048
	;; [unrolled: 1-line block ×3, first 2 shown]
	s_waitcnt lgkmcnt(3)
	global_store_b32 v16, v10, s[0:1]
	s_waitcnt lgkmcnt(2)
	global_store_b32 v16, v8, s[0:1] offset:1024
	s_waitcnt lgkmcnt(1)
	global_store_b32 v16, v9, s[0:1] offset:2048
	;; [unrolled: 2-line block ×3, first 2 shown]
.LBB99_226:
	s_and_not1_b32 vcc_lo, exec_lo, s2
	s_cbranch_vccnz .LBB99_232
; %bb.227:
	v_lshl_add_u32 v2, v17, 2, v2
	v_lshrrev_b32_e32 v7, 5, v15
	v_lshrrev_b32_e32 v8, 5, v14
	v_add_lshl_u32 v1, v1, v0, 2
	ds_store_2addr_b32 v2, v3, v4 offset1:1
	ds_store_2addr_b32 v2, v5, v6 offset0:2 offset1:3
	v_lshrrev_b32_e32 v2, 5, v13
	v_add_lshl_u32 v3, v7, v0, 2
	v_add_lshl_u32 v6, v8, v0, 2
	s_waitcnt lgkmcnt(0)
	s_waitcnt_vscnt null, 0x0
	s_barrier
	v_add_lshl_u32 v2, v2, v0, 2
	buffer_gl0_inv
	ds_load_b32 v5, v1
	ds_load_b32 v4, v3 offset:1024
	ds_load_b32 v6, v6 offset:2048
	;; [unrolled: 1-line block ×3, first 2 shown]
	v_add_co_u32 v2, s0, s0, v16
	v_mov_b32_e32 v1, 0
	v_add_co_ci_u32_e64 v3, null, s1, 0, s0
	s_mov_b32 s0, exec_lo
	v_cmpx_gt_u32_e64 s24, v0
	s_cbranch_execnz .LBB99_236
; %bb.228:
	s_or_b32 exec_lo, exec_lo, s0
	s_delay_alu instid0(SALU_CYCLE_1)
	s_mov_b32 s0, exec_lo
	v_cmpx_gt_u32_e64 s24, v15
	s_cbranch_execnz .LBB99_237
.LBB99_229:
	s_or_b32 exec_lo, exec_lo, s0
	s_delay_alu instid0(SALU_CYCLE_1)
	s_mov_b32 s0, exec_lo
	v_cmpx_gt_u32_e64 s24, v14
	s_cbranch_execnz .LBB99_238
.LBB99_230:
	s_or_b32 exec_lo, exec_lo, s0
	s_delay_alu instid0(SALU_CYCLE_1)
	s_mov_b32 s0, exec_lo
	v_cmpx_gt_u32_e64 s24, v13
	s_cbranch_execnz .LBB99_239
.LBB99_231:
	s_or_b32 exec_lo, exec_lo, s0
	v_cmp_lt_u64_e64 s0, s[14:15], 2
	s_delay_alu instid0(VALU_DEP_1)
	s_and_b32 vcc_lo, exec_lo, s0
	s_cbranch_vccz .LBB99_240
.LBB99_232:
	s_nop 0
	s_sendmsg sendmsg(MSG_DEALLOC_VGPRS)
	s_endpgm
.LBB99_233:
	global_load_b32 v5, v16, s[8:9]
	v_dual_mov_b32 v1, s4 :: v_dual_mov_b32 v2, s5
	v_dual_mov_b32 v3, s6 :: v_dual_mov_b32 v4, s7
                                        ; kill: def $vgpr1 killed $vgpr5 killed $exec
	s_or_b32 exec_lo, exec_lo, s3
	s_delay_alu instid0(SALU_CYCLE_1)
	s_mov_b32 s2, exec_lo
	v_cmpx_gt_u32_e64 s24, v15
	s_cbranch_execz .LBB99_5
.LBB99_234:
	global_load_b32 v2, v16, s[8:9] offset:1024
	s_or_b32 exec_lo, exec_lo, s2
	s_delay_alu instid0(SALU_CYCLE_1)
	s_mov_b32 s2, exec_lo
	v_cmpx_gt_u32_e64 s24, v14
	s_cbranch_execz .LBB99_6
.LBB99_235:
	global_load_b32 v3, v16, s[8:9] offset:2048
	s_or_b32 exec_lo, exec_lo, s2
	s_delay_alu instid0(SALU_CYCLE_1)
	s_mov_b32 s2, exec_lo
	v_cmpx_gt_u32_e64 s24, v13
	s_cbranch_execnz .LBB99_7
	s_branch .LBB99_8
.LBB99_236:
	s_waitcnt lgkmcnt(3)
	global_store_b32 v[2:3], v5, off
	s_or_b32 exec_lo, exec_lo, s0
	s_delay_alu instid0(SALU_CYCLE_1)
	s_mov_b32 s0, exec_lo
	v_cmpx_gt_u32_e64 s24, v15
	s_cbranch_execz .LBB99_229
.LBB99_237:
	s_waitcnt lgkmcnt(2)
	global_store_b32 v[2:3], v4, off offset:1024
	s_or_b32 exec_lo, exec_lo, s0
	s_delay_alu instid0(SALU_CYCLE_1)
	s_mov_b32 s0, exec_lo
	v_cmpx_gt_u32_e64 s24, v14
	s_cbranch_execz .LBB99_230
.LBB99_238:
	s_waitcnt lgkmcnt(1)
	global_store_b32 v[2:3], v6, off offset:2048
	s_or_b32 exec_lo, exec_lo, s0
	s_delay_alu instid0(SALU_CYCLE_1)
	s_mov_b32 s0, exec_lo
	v_cmpx_gt_u32_e64 s24, v13
	s_cbranch_execz .LBB99_231
.LBB99_239:
	s_waitcnt lgkmcnt(0)
	global_store_b32 v[2:3], v7, off offset:3072
	s_or_b32 exec_lo, exec_lo, s0
	v_cmp_lt_u64_e64 s0, s[14:15], 2
	s_delay_alu instid0(VALU_DEP_1)
	s_and_b32 vcc_lo, exec_lo, s0
	s_cbranch_vccnz .LBB99_232
.LBB99_240:
	s_add_u32 s0, s24, -1
	s_addc_u32 s1, s25, -1
	s_delay_alu instid0(SALU_CYCLE_1)
	s_lshr_b64 s[2:3], s[0:1], 2
	s_mov_b32 s1, exec_lo
	v_cmpx_eq_u64_e64 s[2:3], v[0:1]
	s_cbranch_execz .LBB99_232
; %bb.241:
	s_and_b32 s0, s0, 3
	s_mov_b32 s1, 0
	s_delay_alu instid0(SALU_CYCLE_1) | instskip(NEXT) | instid1(VALU_DEP_1)
	v_cmp_lt_i64_e64 s2, s[0:1], 2
	s_and_b32 vcc_lo, exec_lo, s2
	s_mov_b32 s2, -1
	s_cbranch_vccnz .LBB99_247
; %bb.242:
	v_cmp_gt_i64_e64 s2, s[0:1], 2
	s_delay_alu instid0(VALU_DEP_1)
	s_and_b32 vcc_lo, exec_lo, s2
	s_mov_b32 s2, -1
	s_cbranch_vccz .LBB99_244
; %bb.243:
	v_mov_b32_e32 v0, 0
	s_mov_b32 s2, 0
	s_waitcnt lgkmcnt(0)
	global_store_b32 v0, v7, s[10:11]
.LBB99_244:
	s_and_not1_b32 vcc_lo, exec_lo, s2
	s_cbranch_vccnz .LBB99_246
; %bb.245:
	v_mov_b32_e32 v0, 0
	s_waitcnt lgkmcnt(1)
	global_store_b32 v0, v6, s[10:11]
.LBB99_246:
	s_mov_b32 s2, 0
.LBB99_247:
	s_delay_alu instid0(SALU_CYCLE_1)
	s_and_not1_b32 vcc_lo, exec_lo, s2
	s_cbranch_vccnz .LBB99_232
; %bb.248:
	s_cmp_eq_u64 s[0:1], 1
	s_mov_b32 s0, -1
	s_cbranch_scc1 .LBB99_250
; %bb.249:
	v_mov_b32_e32 v0, 0
	s_mov_b32 s0, 0
	s_waitcnt lgkmcnt(3)
	global_store_b32 v0, v5, s[10:11]
.LBB99_250:
	s_and_not1_b32 vcc_lo, exec_lo, s0
	s_cbranch_vccnz .LBB99_232
; %bb.251:
	v_mov_b32_e32 v0, 0
	s_waitcnt lgkmcnt(2)
	global_store_b32 v0, v4, s[10:11]
	s_nop 0
	s_sendmsg sendmsg(MSG_DEALLOC_VGPRS)
	s_endpgm
	.section	.rodata,"a",@progbits
	.p2align	6, 0x0
	.amdhsa_kernel _ZN7rocprim17ROCPRIM_400000_NS6detail17trampoline_kernelINS0_14default_configENS1_20scan_config_selectorIfEEZZNS1_9scan_implILNS1_25lookback_scan_determinismE0ELb0ELb0ES3_PKfPffZZZN2at6native31launch_logcumsumexp_cuda_kernelERKNSB_10TensorBaseESF_lENKUlvE_clEvENKUlvE0_clEvEUlffE_fEEDaPvRmT3_T4_T5_mT6_P12ihipStream_tbENKUlT_T0_E_clISt17integral_constantIbLb0EESW_EEDaSR_SS_EUlSR_E_NS1_11comp_targetILNS1_3genE9ELNS1_11target_archE1100ELNS1_3gpuE3ELNS1_3repE0EEENS1_30default_config_static_selectorELNS0_4arch9wavefront6targetE0EEEvT1_
		.amdhsa_group_segment_fixed_size 4224
		.amdhsa_private_segment_fixed_size 0
		.amdhsa_kernarg_size 96
		.amdhsa_user_sgpr_count 15
		.amdhsa_user_sgpr_dispatch_ptr 0
		.amdhsa_user_sgpr_queue_ptr 0
		.amdhsa_user_sgpr_kernarg_segment_ptr 1
		.amdhsa_user_sgpr_dispatch_id 0
		.amdhsa_user_sgpr_private_segment_size 0
		.amdhsa_wavefront_size32 1
		.amdhsa_uses_dynamic_stack 0
		.amdhsa_enable_private_segment 0
		.amdhsa_system_sgpr_workgroup_id_x 1
		.amdhsa_system_sgpr_workgroup_id_y 0
		.amdhsa_system_sgpr_workgroup_id_z 0
		.amdhsa_system_sgpr_workgroup_info 0
		.amdhsa_system_vgpr_workitem_id 0
		.amdhsa_next_free_vgpr 46
		.amdhsa_next_free_sgpr 27
		.amdhsa_reserve_vcc 1
		.amdhsa_float_round_mode_32 0
		.amdhsa_float_round_mode_16_64 0
		.amdhsa_float_denorm_mode_32 3
		.amdhsa_float_denorm_mode_16_64 3
		.amdhsa_dx10_clamp 1
		.amdhsa_ieee_mode 1
		.amdhsa_fp16_overflow 0
		.amdhsa_workgroup_processor_mode 1
		.amdhsa_memory_ordered 1
		.amdhsa_forward_progress 0
		.amdhsa_shared_vgpr_count 0
		.amdhsa_exception_fp_ieee_invalid_op 0
		.amdhsa_exception_fp_denorm_src 0
		.amdhsa_exception_fp_ieee_div_zero 0
		.amdhsa_exception_fp_ieee_overflow 0
		.amdhsa_exception_fp_ieee_underflow 0
		.amdhsa_exception_fp_ieee_inexact 0
		.amdhsa_exception_int_div_zero 0
	.end_amdhsa_kernel
	.section	.text._ZN7rocprim17ROCPRIM_400000_NS6detail17trampoline_kernelINS0_14default_configENS1_20scan_config_selectorIfEEZZNS1_9scan_implILNS1_25lookback_scan_determinismE0ELb0ELb0ES3_PKfPffZZZN2at6native31launch_logcumsumexp_cuda_kernelERKNSB_10TensorBaseESF_lENKUlvE_clEvENKUlvE0_clEvEUlffE_fEEDaPvRmT3_T4_T5_mT6_P12ihipStream_tbENKUlT_T0_E_clISt17integral_constantIbLb0EESW_EEDaSR_SS_EUlSR_E_NS1_11comp_targetILNS1_3genE9ELNS1_11target_archE1100ELNS1_3gpuE3ELNS1_3repE0EEENS1_30default_config_static_selectorELNS0_4arch9wavefront6targetE0EEEvT1_,"axG",@progbits,_ZN7rocprim17ROCPRIM_400000_NS6detail17trampoline_kernelINS0_14default_configENS1_20scan_config_selectorIfEEZZNS1_9scan_implILNS1_25lookback_scan_determinismE0ELb0ELb0ES3_PKfPffZZZN2at6native31launch_logcumsumexp_cuda_kernelERKNSB_10TensorBaseESF_lENKUlvE_clEvENKUlvE0_clEvEUlffE_fEEDaPvRmT3_T4_T5_mT6_P12ihipStream_tbENKUlT_T0_E_clISt17integral_constantIbLb0EESW_EEDaSR_SS_EUlSR_E_NS1_11comp_targetILNS1_3genE9ELNS1_11target_archE1100ELNS1_3gpuE3ELNS1_3repE0EEENS1_30default_config_static_selectorELNS0_4arch9wavefront6targetE0EEEvT1_,comdat
.Lfunc_end99:
	.size	_ZN7rocprim17ROCPRIM_400000_NS6detail17trampoline_kernelINS0_14default_configENS1_20scan_config_selectorIfEEZZNS1_9scan_implILNS1_25lookback_scan_determinismE0ELb0ELb0ES3_PKfPffZZZN2at6native31launch_logcumsumexp_cuda_kernelERKNSB_10TensorBaseESF_lENKUlvE_clEvENKUlvE0_clEvEUlffE_fEEDaPvRmT3_T4_T5_mT6_P12ihipStream_tbENKUlT_T0_E_clISt17integral_constantIbLb0EESW_EEDaSR_SS_EUlSR_E_NS1_11comp_targetILNS1_3genE9ELNS1_11target_archE1100ELNS1_3gpuE3ELNS1_3repE0EEENS1_30default_config_static_selectorELNS0_4arch9wavefront6targetE0EEEvT1_, .Lfunc_end99-_ZN7rocprim17ROCPRIM_400000_NS6detail17trampoline_kernelINS0_14default_configENS1_20scan_config_selectorIfEEZZNS1_9scan_implILNS1_25lookback_scan_determinismE0ELb0ELb0ES3_PKfPffZZZN2at6native31launch_logcumsumexp_cuda_kernelERKNSB_10TensorBaseESF_lENKUlvE_clEvENKUlvE0_clEvEUlffE_fEEDaPvRmT3_T4_T5_mT6_P12ihipStream_tbENKUlT_T0_E_clISt17integral_constantIbLb0EESW_EEDaSR_SS_EUlSR_E_NS1_11comp_targetILNS1_3genE9ELNS1_11target_archE1100ELNS1_3gpuE3ELNS1_3repE0EEENS1_30default_config_static_selectorELNS0_4arch9wavefront6targetE0EEEvT1_
                                        ; -- End function
	.section	.AMDGPU.csdata,"",@progbits
; Kernel info:
; codeLenInByte = 66168
; NumSgprs: 29
; NumVgprs: 46
; ScratchSize: 0
; MemoryBound: 0
; FloatMode: 240
; IeeeMode: 1
; LDSByteSize: 4224 bytes/workgroup (compile time only)
; SGPRBlocks: 3
; VGPRBlocks: 5
; NumSGPRsForWavesPerEU: 29
; NumVGPRsForWavesPerEU: 46
; Occupancy: 16
; WaveLimiterHint : 1
; COMPUTE_PGM_RSRC2:SCRATCH_EN: 0
; COMPUTE_PGM_RSRC2:USER_SGPR: 15
; COMPUTE_PGM_RSRC2:TRAP_HANDLER: 0
; COMPUTE_PGM_RSRC2:TGID_X_EN: 1
; COMPUTE_PGM_RSRC2:TGID_Y_EN: 0
; COMPUTE_PGM_RSRC2:TGID_Z_EN: 0
; COMPUTE_PGM_RSRC2:TIDIG_COMP_CNT: 0
	.section	.text._ZN7rocprim17ROCPRIM_400000_NS6detail17trampoline_kernelINS0_14default_configENS1_20scan_config_selectorIfEEZZNS1_9scan_implILNS1_25lookback_scan_determinismE0ELb0ELb0ES3_PKfPffZZZN2at6native31launch_logcumsumexp_cuda_kernelERKNSB_10TensorBaseESF_lENKUlvE_clEvENKUlvE0_clEvEUlffE_fEEDaPvRmT3_T4_T5_mT6_P12ihipStream_tbENKUlT_T0_E_clISt17integral_constantIbLb0EESW_EEDaSR_SS_EUlSR_E_NS1_11comp_targetILNS1_3genE8ELNS1_11target_archE1030ELNS1_3gpuE2ELNS1_3repE0EEENS1_30default_config_static_selectorELNS0_4arch9wavefront6targetE0EEEvT1_,"axG",@progbits,_ZN7rocprim17ROCPRIM_400000_NS6detail17trampoline_kernelINS0_14default_configENS1_20scan_config_selectorIfEEZZNS1_9scan_implILNS1_25lookback_scan_determinismE0ELb0ELb0ES3_PKfPffZZZN2at6native31launch_logcumsumexp_cuda_kernelERKNSB_10TensorBaseESF_lENKUlvE_clEvENKUlvE0_clEvEUlffE_fEEDaPvRmT3_T4_T5_mT6_P12ihipStream_tbENKUlT_T0_E_clISt17integral_constantIbLb0EESW_EEDaSR_SS_EUlSR_E_NS1_11comp_targetILNS1_3genE8ELNS1_11target_archE1030ELNS1_3gpuE2ELNS1_3repE0EEENS1_30default_config_static_selectorELNS0_4arch9wavefront6targetE0EEEvT1_,comdat
	.globl	_ZN7rocprim17ROCPRIM_400000_NS6detail17trampoline_kernelINS0_14default_configENS1_20scan_config_selectorIfEEZZNS1_9scan_implILNS1_25lookback_scan_determinismE0ELb0ELb0ES3_PKfPffZZZN2at6native31launch_logcumsumexp_cuda_kernelERKNSB_10TensorBaseESF_lENKUlvE_clEvENKUlvE0_clEvEUlffE_fEEDaPvRmT3_T4_T5_mT6_P12ihipStream_tbENKUlT_T0_E_clISt17integral_constantIbLb0EESW_EEDaSR_SS_EUlSR_E_NS1_11comp_targetILNS1_3genE8ELNS1_11target_archE1030ELNS1_3gpuE2ELNS1_3repE0EEENS1_30default_config_static_selectorELNS0_4arch9wavefront6targetE0EEEvT1_ ; -- Begin function _ZN7rocprim17ROCPRIM_400000_NS6detail17trampoline_kernelINS0_14default_configENS1_20scan_config_selectorIfEEZZNS1_9scan_implILNS1_25lookback_scan_determinismE0ELb0ELb0ES3_PKfPffZZZN2at6native31launch_logcumsumexp_cuda_kernelERKNSB_10TensorBaseESF_lENKUlvE_clEvENKUlvE0_clEvEUlffE_fEEDaPvRmT3_T4_T5_mT6_P12ihipStream_tbENKUlT_T0_E_clISt17integral_constantIbLb0EESW_EEDaSR_SS_EUlSR_E_NS1_11comp_targetILNS1_3genE8ELNS1_11target_archE1030ELNS1_3gpuE2ELNS1_3repE0EEENS1_30default_config_static_selectorELNS0_4arch9wavefront6targetE0EEEvT1_
	.p2align	8
	.type	_ZN7rocprim17ROCPRIM_400000_NS6detail17trampoline_kernelINS0_14default_configENS1_20scan_config_selectorIfEEZZNS1_9scan_implILNS1_25lookback_scan_determinismE0ELb0ELb0ES3_PKfPffZZZN2at6native31launch_logcumsumexp_cuda_kernelERKNSB_10TensorBaseESF_lENKUlvE_clEvENKUlvE0_clEvEUlffE_fEEDaPvRmT3_T4_T5_mT6_P12ihipStream_tbENKUlT_T0_E_clISt17integral_constantIbLb0EESW_EEDaSR_SS_EUlSR_E_NS1_11comp_targetILNS1_3genE8ELNS1_11target_archE1030ELNS1_3gpuE2ELNS1_3repE0EEENS1_30default_config_static_selectorELNS0_4arch9wavefront6targetE0EEEvT1_,@function
_ZN7rocprim17ROCPRIM_400000_NS6detail17trampoline_kernelINS0_14default_configENS1_20scan_config_selectorIfEEZZNS1_9scan_implILNS1_25lookback_scan_determinismE0ELb0ELb0ES3_PKfPffZZZN2at6native31launch_logcumsumexp_cuda_kernelERKNSB_10TensorBaseESF_lENKUlvE_clEvENKUlvE0_clEvEUlffE_fEEDaPvRmT3_T4_T5_mT6_P12ihipStream_tbENKUlT_T0_E_clISt17integral_constantIbLb0EESW_EEDaSR_SS_EUlSR_E_NS1_11comp_targetILNS1_3genE8ELNS1_11target_archE1030ELNS1_3gpuE2ELNS1_3repE0EEENS1_30default_config_static_selectorELNS0_4arch9wavefront6targetE0EEEvT1_: ; @_ZN7rocprim17ROCPRIM_400000_NS6detail17trampoline_kernelINS0_14default_configENS1_20scan_config_selectorIfEEZZNS1_9scan_implILNS1_25lookback_scan_determinismE0ELb0ELb0ES3_PKfPffZZZN2at6native31launch_logcumsumexp_cuda_kernelERKNSB_10TensorBaseESF_lENKUlvE_clEvENKUlvE0_clEvEUlffE_fEEDaPvRmT3_T4_T5_mT6_P12ihipStream_tbENKUlT_T0_E_clISt17integral_constantIbLb0EESW_EEDaSR_SS_EUlSR_E_NS1_11comp_targetILNS1_3genE8ELNS1_11target_archE1030ELNS1_3gpuE2ELNS1_3repE0EEENS1_30default_config_static_selectorELNS0_4arch9wavefront6targetE0EEEvT1_
; %bb.0:
	.section	.rodata,"a",@progbits
	.p2align	6, 0x0
	.amdhsa_kernel _ZN7rocprim17ROCPRIM_400000_NS6detail17trampoline_kernelINS0_14default_configENS1_20scan_config_selectorIfEEZZNS1_9scan_implILNS1_25lookback_scan_determinismE0ELb0ELb0ES3_PKfPffZZZN2at6native31launch_logcumsumexp_cuda_kernelERKNSB_10TensorBaseESF_lENKUlvE_clEvENKUlvE0_clEvEUlffE_fEEDaPvRmT3_T4_T5_mT6_P12ihipStream_tbENKUlT_T0_E_clISt17integral_constantIbLb0EESW_EEDaSR_SS_EUlSR_E_NS1_11comp_targetILNS1_3genE8ELNS1_11target_archE1030ELNS1_3gpuE2ELNS1_3repE0EEENS1_30default_config_static_selectorELNS0_4arch9wavefront6targetE0EEEvT1_
		.amdhsa_group_segment_fixed_size 0
		.amdhsa_private_segment_fixed_size 0
		.amdhsa_kernarg_size 96
		.amdhsa_user_sgpr_count 15
		.amdhsa_user_sgpr_dispatch_ptr 0
		.amdhsa_user_sgpr_queue_ptr 0
		.amdhsa_user_sgpr_kernarg_segment_ptr 1
		.amdhsa_user_sgpr_dispatch_id 0
		.amdhsa_user_sgpr_private_segment_size 0
		.amdhsa_wavefront_size32 1
		.amdhsa_uses_dynamic_stack 0
		.amdhsa_enable_private_segment 0
		.amdhsa_system_sgpr_workgroup_id_x 1
		.amdhsa_system_sgpr_workgroup_id_y 0
		.amdhsa_system_sgpr_workgroup_id_z 0
		.amdhsa_system_sgpr_workgroup_info 0
		.amdhsa_system_vgpr_workitem_id 0
		.amdhsa_next_free_vgpr 1
		.amdhsa_next_free_sgpr 1
		.amdhsa_reserve_vcc 0
		.amdhsa_float_round_mode_32 0
		.amdhsa_float_round_mode_16_64 0
		.amdhsa_float_denorm_mode_32 3
		.amdhsa_float_denorm_mode_16_64 3
		.amdhsa_dx10_clamp 1
		.amdhsa_ieee_mode 1
		.amdhsa_fp16_overflow 0
		.amdhsa_workgroup_processor_mode 1
		.amdhsa_memory_ordered 1
		.amdhsa_forward_progress 0
		.amdhsa_shared_vgpr_count 0
		.amdhsa_exception_fp_ieee_invalid_op 0
		.amdhsa_exception_fp_denorm_src 0
		.amdhsa_exception_fp_ieee_div_zero 0
		.amdhsa_exception_fp_ieee_overflow 0
		.amdhsa_exception_fp_ieee_underflow 0
		.amdhsa_exception_fp_ieee_inexact 0
		.amdhsa_exception_int_div_zero 0
	.end_amdhsa_kernel
	.section	.text._ZN7rocprim17ROCPRIM_400000_NS6detail17trampoline_kernelINS0_14default_configENS1_20scan_config_selectorIfEEZZNS1_9scan_implILNS1_25lookback_scan_determinismE0ELb0ELb0ES3_PKfPffZZZN2at6native31launch_logcumsumexp_cuda_kernelERKNSB_10TensorBaseESF_lENKUlvE_clEvENKUlvE0_clEvEUlffE_fEEDaPvRmT3_T4_T5_mT6_P12ihipStream_tbENKUlT_T0_E_clISt17integral_constantIbLb0EESW_EEDaSR_SS_EUlSR_E_NS1_11comp_targetILNS1_3genE8ELNS1_11target_archE1030ELNS1_3gpuE2ELNS1_3repE0EEENS1_30default_config_static_selectorELNS0_4arch9wavefront6targetE0EEEvT1_,"axG",@progbits,_ZN7rocprim17ROCPRIM_400000_NS6detail17trampoline_kernelINS0_14default_configENS1_20scan_config_selectorIfEEZZNS1_9scan_implILNS1_25lookback_scan_determinismE0ELb0ELb0ES3_PKfPffZZZN2at6native31launch_logcumsumexp_cuda_kernelERKNSB_10TensorBaseESF_lENKUlvE_clEvENKUlvE0_clEvEUlffE_fEEDaPvRmT3_T4_T5_mT6_P12ihipStream_tbENKUlT_T0_E_clISt17integral_constantIbLb0EESW_EEDaSR_SS_EUlSR_E_NS1_11comp_targetILNS1_3genE8ELNS1_11target_archE1030ELNS1_3gpuE2ELNS1_3repE0EEENS1_30default_config_static_selectorELNS0_4arch9wavefront6targetE0EEEvT1_,comdat
.Lfunc_end100:
	.size	_ZN7rocprim17ROCPRIM_400000_NS6detail17trampoline_kernelINS0_14default_configENS1_20scan_config_selectorIfEEZZNS1_9scan_implILNS1_25lookback_scan_determinismE0ELb0ELb0ES3_PKfPffZZZN2at6native31launch_logcumsumexp_cuda_kernelERKNSB_10TensorBaseESF_lENKUlvE_clEvENKUlvE0_clEvEUlffE_fEEDaPvRmT3_T4_T5_mT6_P12ihipStream_tbENKUlT_T0_E_clISt17integral_constantIbLb0EESW_EEDaSR_SS_EUlSR_E_NS1_11comp_targetILNS1_3genE8ELNS1_11target_archE1030ELNS1_3gpuE2ELNS1_3repE0EEENS1_30default_config_static_selectorELNS0_4arch9wavefront6targetE0EEEvT1_, .Lfunc_end100-_ZN7rocprim17ROCPRIM_400000_NS6detail17trampoline_kernelINS0_14default_configENS1_20scan_config_selectorIfEEZZNS1_9scan_implILNS1_25lookback_scan_determinismE0ELb0ELb0ES3_PKfPffZZZN2at6native31launch_logcumsumexp_cuda_kernelERKNSB_10TensorBaseESF_lENKUlvE_clEvENKUlvE0_clEvEUlffE_fEEDaPvRmT3_T4_T5_mT6_P12ihipStream_tbENKUlT_T0_E_clISt17integral_constantIbLb0EESW_EEDaSR_SS_EUlSR_E_NS1_11comp_targetILNS1_3genE8ELNS1_11target_archE1030ELNS1_3gpuE2ELNS1_3repE0EEENS1_30default_config_static_selectorELNS0_4arch9wavefront6targetE0EEEvT1_
                                        ; -- End function
	.section	.AMDGPU.csdata,"",@progbits
; Kernel info:
; codeLenInByte = 0
; NumSgprs: 0
; NumVgprs: 0
; ScratchSize: 0
; MemoryBound: 0
; FloatMode: 240
; IeeeMode: 1
; LDSByteSize: 0 bytes/workgroup (compile time only)
; SGPRBlocks: 0
; VGPRBlocks: 0
; NumSGPRsForWavesPerEU: 1
; NumVGPRsForWavesPerEU: 1
; Occupancy: 16
; WaveLimiterHint : 0
; COMPUTE_PGM_RSRC2:SCRATCH_EN: 0
; COMPUTE_PGM_RSRC2:USER_SGPR: 15
; COMPUTE_PGM_RSRC2:TRAP_HANDLER: 0
; COMPUTE_PGM_RSRC2:TGID_X_EN: 1
; COMPUTE_PGM_RSRC2:TGID_Y_EN: 0
; COMPUTE_PGM_RSRC2:TGID_Z_EN: 0
; COMPUTE_PGM_RSRC2:TIDIG_COMP_CNT: 0
	.section	.text._ZN7rocprim17ROCPRIM_400000_NS6detail17trampoline_kernelINS0_14default_configENS1_25transform_config_selectorIfLb1EEEZNS1_14transform_implILb1ES3_S5_PfS7_NS0_8identityIfEEEE10hipError_tT2_T3_mT4_P12ihipStream_tbEUlT_E_NS1_11comp_targetILNS1_3genE0ELNS1_11target_archE4294967295ELNS1_3gpuE0ELNS1_3repE0EEENS1_30default_config_static_selectorELNS0_4arch9wavefront6targetE0EEEvT1_,"axG",@progbits,_ZN7rocprim17ROCPRIM_400000_NS6detail17trampoline_kernelINS0_14default_configENS1_25transform_config_selectorIfLb1EEEZNS1_14transform_implILb1ES3_S5_PfS7_NS0_8identityIfEEEE10hipError_tT2_T3_mT4_P12ihipStream_tbEUlT_E_NS1_11comp_targetILNS1_3genE0ELNS1_11target_archE4294967295ELNS1_3gpuE0ELNS1_3repE0EEENS1_30default_config_static_selectorELNS0_4arch9wavefront6targetE0EEEvT1_,comdat
	.protected	_ZN7rocprim17ROCPRIM_400000_NS6detail17trampoline_kernelINS0_14default_configENS1_25transform_config_selectorIfLb1EEEZNS1_14transform_implILb1ES3_S5_PfS7_NS0_8identityIfEEEE10hipError_tT2_T3_mT4_P12ihipStream_tbEUlT_E_NS1_11comp_targetILNS1_3genE0ELNS1_11target_archE4294967295ELNS1_3gpuE0ELNS1_3repE0EEENS1_30default_config_static_selectorELNS0_4arch9wavefront6targetE0EEEvT1_ ; -- Begin function _ZN7rocprim17ROCPRIM_400000_NS6detail17trampoline_kernelINS0_14default_configENS1_25transform_config_selectorIfLb1EEEZNS1_14transform_implILb1ES3_S5_PfS7_NS0_8identityIfEEEE10hipError_tT2_T3_mT4_P12ihipStream_tbEUlT_E_NS1_11comp_targetILNS1_3genE0ELNS1_11target_archE4294967295ELNS1_3gpuE0ELNS1_3repE0EEENS1_30default_config_static_selectorELNS0_4arch9wavefront6targetE0EEEvT1_
	.globl	_ZN7rocprim17ROCPRIM_400000_NS6detail17trampoline_kernelINS0_14default_configENS1_25transform_config_selectorIfLb1EEEZNS1_14transform_implILb1ES3_S5_PfS7_NS0_8identityIfEEEE10hipError_tT2_T3_mT4_P12ihipStream_tbEUlT_E_NS1_11comp_targetILNS1_3genE0ELNS1_11target_archE4294967295ELNS1_3gpuE0ELNS1_3repE0EEENS1_30default_config_static_selectorELNS0_4arch9wavefront6targetE0EEEvT1_
	.p2align	8
	.type	_ZN7rocprim17ROCPRIM_400000_NS6detail17trampoline_kernelINS0_14default_configENS1_25transform_config_selectorIfLb1EEEZNS1_14transform_implILb1ES3_S5_PfS7_NS0_8identityIfEEEE10hipError_tT2_T3_mT4_P12ihipStream_tbEUlT_E_NS1_11comp_targetILNS1_3genE0ELNS1_11target_archE4294967295ELNS1_3gpuE0ELNS1_3repE0EEENS1_30default_config_static_selectorELNS0_4arch9wavefront6targetE0EEEvT1_,@function
_ZN7rocprim17ROCPRIM_400000_NS6detail17trampoline_kernelINS0_14default_configENS1_25transform_config_selectorIfLb1EEEZNS1_14transform_implILb1ES3_S5_PfS7_NS0_8identityIfEEEE10hipError_tT2_T3_mT4_P12ihipStream_tbEUlT_E_NS1_11comp_targetILNS1_3genE0ELNS1_11target_archE4294967295ELNS1_3gpuE0ELNS1_3repE0EEENS1_30default_config_static_selectorELNS0_4arch9wavefront6targetE0EEEvT1_: ; @_ZN7rocprim17ROCPRIM_400000_NS6detail17trampoline_kernelINS0_14default_configENS1_25transform_config_selectorIfLb1EEEZNS1_14transform_implILb1ES3_S5_PfS7_NS0_8identityIfEEEE10hipError_tT2_T3_mT4_P12ihipStream_tbEUlT_E_NS1_11comp_targetILNS1_3genE0ELNS1_11target_archE4294967295ELNS1_3gpuE0ELNS1_3repE0EEENS1_30default_config_static_selectorELNS0_4arch9wavefront6targetE0EEEvT1_
; %bb.0:
	.section	.rodata,"a",@progbits
	.p2align	6, 0x0
	.amdhsa_kernel _ZN7rocprim17ROCPRIM_400000_NS6detail17trampoline_kernelINS0_14default_configENS1_25transform_config_selectorIfLb1EEEZNS1_14transform_implILb1ES3_S5_PfS7_NS0_8identityIfEEEE10hipError_tT2_T3_mT4_P12ihipStream_tbEUlT_E_NS1_11comp_targetILNS1_3genE0ELNS1_11target_archE4294967295ELNS1_3gpuE0ELNS1_3repE0EEENS1_30default_config_static_selectorELNS0_4arch9wavefront6targetE0EEEvT1_
		.amdhsa_group_segment_fixed_size 0
		.amdhsa_private_segment_fixed_size 0
		.amdhsa_kernarg_size 40
		.amdhsa_user_sgpr_count 15
		.amdhsa_user_sgpr_dispatch_ptr 0
		.amdhsa_user_sgpr_queue_ptr 0
		.amdhsa_user_sgpr_kernarg_segment_ptr 1
		.amdhsa_user_sgpr_dispatch_id 0
		.amdhsa_user_sgpr_private_segment_size 0
		.amdhsa_wavefront_size32 1
		.amdhsa_uses_dynamic_stack 0
		.amdhsa_enable_private_segment 0
		.amdhsa_system_sgpr_workgroup_id_x 1
		.amdhsa_system_sgpr_workgroup_id_y 0
		.amdhsa_system_sgpr_workgroup_id_z 0
		.amdhsa_system_sgpr_workgroup_info 0
		.amdhsa_system_vgpr_workitem_id 0
		.amdhsa_next_free_vgpr 1
		.amdhsa_next_free_sgpr 1
		.amdhsa_reserve_vcc 0
		.amdhsa_float_round_mode_32 0
		.amdhsa_float_round_mode_16_64 0
		.amdhsa_float_denorm_mode_32 3
		.amdhsa_float_denorm_mode_16_64 3
		.amdhsa_dx10_clamp 1
		.amdhsa_ieee_mode 1
		.amdhsa_fp16_overflow 0
		.amdhsa_workgroup_processor_mode 1
		.amdhsa_memory_ordered 1
		.amdhsa_forward_progress 0
		.amdhsa_shared_vgpr_count 0
		.amdhsa_exception_fp_ieee_invalid_op 0
		.amdhsa_exception_fp_denorm_src 0
		.amdhsa_exception_fp_ieee_div_zero 0
		.amdhsa_exception_fp_ieee_overflow 0
		.amdhsa_exception_fp_ieee_underflow 0
		.amdhsa_exception_fp_ieee_inexact 0
		.amdhsa_exception_int_div_zero 0
	.end_amdhsa_kernel
	.section	.text._ZN7rocprim17ROCPRIM_400000_NS6detail17trampoline_kernelINS0_14default_configENS1_25transform_config_selectorIfLb1EEEZNS1_14transform_implILb1ES3_S5_PfS7_NS0_8identityIfEEEE10hipError_tT2_T3_mT4_P12ihipStream_tbEUlT_E_NS1_11comp_targetILNS1_3genE0ELNS1_11target_archE4294967295ELNS1_3gpuE0ELNS1_3repE0EEENS1_30default_config_static_selectorELNS0_4arch9wavefront6targetE0EEEvT1_,"axG",@progbits,_ZN7rocprim17ROCPRIM_400000_NS6detail17trampoline_kernelINS0_14default_configENS1_25transform_config_selectorIfLb1EEEZNS1_14transform_implILb1ES3_S5_PfS7_NS0_8identityIfEEEE10hipError_tT2_T3_mT4_P12ihipStream_tbEUlT_E_NS1_11comp_targetILNS1_3genE0ELNS1_11target_archE4294967295ELNS1_3gpuE0ELNS1_3repE0EEENS1_30default_config_static_selectorELNS0_4arch9wavefront6targetE0EEEvT1_,comdat
.Lfunc_end101:
	.size	_ZN7rocprim17ROCPRIM_400000_NS6detail17trampoline_kernelINS0_14default_configENS1_25transform_config_selectorIfLb1EEEZNS1_14transform_implILb1ES3_S5_PfS7_NS0_8identityIfEEEE10hipError_tT2_T3_mT4_P12ihipStream_tbEUlT_E_NS1_11comp_targetILNS1_3genE0ELNS1_11target_archE4294967295ELNS1_3gpuE0ELNS1_3repE0EEENS1_30default_config_static_selectorELNS0_4arch9wavefront6targetE0EEEvT1_, .Lfunc_end101-_ZN7rocprim17ROCPRIM_400000_NS6detail17trampoline_kernelINS0_14default_configENS1_25transform_config_selectorIfLb1EEEZNS1_14transform_implILb1ES3_S5_PfS7_NS0_8identityIfEEEE10hipError_tT2_T3_mT4_P12ihipStream_tbEUlT_E_NS1_11comp_targetILNS1_3genE0ELNS1_11target_archE4294967295ELNS1_3gpuE0ELNS1_3repE0EEENS1_30default_config_static_selectorELNS0_4arch9wavefront6targetE0EEEvT1_
                                        ; -- End function
	.section	.AMDGPU.csdata,"",@progbits
; Kernel info:
; codeLenInByte = 0
; NumSgprs: 0
; NumVgprs: 0
; ScratchSize: 0
; MemoryBound: 0
; FloatMode: 240
; IeeeMode: 1
; LDSByteSize: 0 bytes/workgroup (compile time only)
; SGPRBlocks: 0
; VGPRBlocks: 0
; NumSGPRsForWavesPerEU: 1
; NumVGPRsForWavesPerEU: 1
; Occupancy: 16
; WaveLimiterHint : 0
; COMPUTE_PGM_RSRC2:SCRATCH_EN: 0
; COMPUTE_PGM_RSRC2:USER_SGPR: 15
; COMPUTE_PGM_RSRC2:TRAP_HANDLER: 0
; COMPUTE_PGM_RSRC2:TGID_X_EN: 1
; COMPUTE_PGM_RSRC2:TGID_Y_EN: 0
; COMPUTE_PGM_RSRC2:TGID_Z_EN: 0
; COMPUTE_PGM_RSRC2:TIDIG_COMP_CNT: 0
	.section	.text._ZN7rocprim17ROCPRIM_400000_NS6detail17trampoline_kernelINS0_14default_configENS1_25transform_config_selectorIfLb1EEEZNS1_14transform_implILb1ES3_S5_PfS7_NS0_8identityIfEEEE10hipError_tT2_T3_mT4_P12ihipStream_tbEUlT_E_NS1_11comp_targetILNS1_3genE10ELNS1_11target_archE1201ELNS1_3gpuE5ELNS1_3repE0EEENS1_30default_config_static_selectorELNS0_4arch9wavefront6targetE0EEEvT1_,"axG",@progbits,_ZN7rocprim17ROCPRIM_400000_NS6detail17trampoline_kernelINS0_14default_configENS1_25transform_config_selectorIfLb1EEEZNS1_14transform_implILb1ES3_S5_PfS7_NS0_8identityIfEEEE10hipError_tT2_T3_mT4_P12ihipStream_tbEUlT_E_NS1_11comp_targetILNS1_3genE10ELNS1_11target_archE1201ELNS1_3gpuE5ELNS1_3repE0EEENS1_30default_config_static_selectorELNS0_4arch9wavefront6targetE0EEEvT1_,comdat
	.protected	_ZN7rocprim17ROCPRIM_400000_NS6detail17trampoline_kernelINS0_14default_configENS1_25transform_config_selectorIfLb1EEEZNS1_14transform_implILb1ES3_S5_PfS7_NS0_8identityIfEEEE10hipError_tT2_T3_mT4_P12ihipStream_tbEUlT_E_NS1_11comp_targetILNS1_3genE10ELNS1_11target_archE1201ELNS1_3gpuE5ELNS1_3repE0EEENS1_30default_config_static_selectorELNS0_4arch9wavefront6targetE0EEEvT1_ ; -- Begin function _ZN7rocprim17ROCPRIM_400000_NS6detail17trampoline_kernelINS0_14default_configENS1_25transform_config_selectorIfLb1EEEZNS1_14transform_implILb1ES3_S5_PfS7_NS0_8identityIfEEEE10hipError_tT2_T3_mT4_P12ihipStream_tbEUlT_E_NS1_11comp_targetILNS1_3genE10ELNS1_11target_archE1201ELNS1_3gpuE5ELNS1_3repE0EEENS1_30default_config_static_selectorELNS0_4arch9wavefront6targetE0EEEvT1_
	.globl	_ZN7rocprim17ROCPRIM_400000_NS6detail17trampoline_kernelINS0_14default_configENS1_25transform_config_selectorIfLb1EEEZNS1_14transform_implILb1ES3_S5_PfS7_NS0_8identityIfEEEE10hipError_tT2_T3_mT4_P12ihipStream_tbEUlT_E_NS1_11comp_targetILNS1_3genE10ELNS1_11target_archE1201ELNS1_3gpuE5ELNS1_3repE0EEENS1_30default_config_static_selectorELNS0_4arch9wavefront6targetE0EEEvT1_
	.p2align	8
	.type	_ZN7rocprim17ROCPRIM_400000_NS6detail17trampoline_kernelINS0_14default_configENS1_25transform_config_selectorIfLb1EEEZNS1_14transform_implILb1ES3_S5_PfS7_NS0_8identityIfEEEE10hipError_tT2_T3_mT4_P12ihipStream_tbEUlT_E_NS1_11comp_targetILNS1_3genE10ELNS1_11target_archE1201ELNS1_3gpuE5ELNS1_3repE0EEENS1_30default_config_static_selectorELNS0_4arch9wavefront6targetE0EEEvT1_,@function
_ZN7rocprim17ROCPRIM_400000_NS6detail17trampoline_kernelINS0_14default_configENS1_25transform_config_selectorIfLb1EEEZNS1_14transform_implILb1ES3_S5_PfS7_NS0_8identityIfEEEE10hipError_tT2_T3_mT4_P12ihipStream_tbEUlT_E_NS1_11comp_targetILNS1_3genE10ELNS1_11target_archE1201ELNS1_3gpuE5ELNS1_3repE0EEENS1_30default_config_static_selectorELNS0_4arch9wavefront6targetE0EEEvT1_: ; @_ZN7rocprim17ROCPRIM_400000_NS6detail17trampoline_kernelINS0_14default_configENS1_25transform_config_selectorIfLb1EEEZNS1_14transform_implILb1ES3_S5_PfS7_NS0_8identityIfEEEE10hipError_tT2_T3_mT4_P12ihipStream_tbEUlT_E_NS1_11comp_targetILNS1_3genE10ELNS1_11target_archE1201ELNS1_3gpuE5ELNS1_3repE0EEENS1_30default_config_static_selectorELNS0_4arch9wavefront6targetE0EEEvT1_
; %bb.0:
	.section	.rodata,"a",@progbits
	.p2align	6, 0x0
	.amdhsa_kernel _ZN7rocprim17ROCPRIM_400000_NS6detail17trampoline_kernelINS0_14default_configENS1_25transform_config_selectorIfLb1EEEZNS1_14transform_implILb1ES3_S5_PfS7_NS0_8identityIfEEEE10hipError_tT2_T3_mT4_P12ihipStream_tbEUlT_E_NS1_11comp_targetILNS1_3genE10ELNS1_11target_archE1201ELNS1_3gpuE5ELNS1_3repE0EEENS1_30default_config_static_selectorELNS0_4arch9wavefront6targetE0EEEvT1_
		.amdhsa_group_segment_fixed_size 0
		.amdhsa_private_segment_fixed_size 0
		.amdhsa_kernarg_size 40
		.amdhsa_user_sgpr_count 15
		.amdhsa_user_sgpr_dispatch_ptr 0
		.amdhsa_user_sgpr_queue_ptr 0
		.amdhsa_user_sgpr_kernarg_segment_ptr 1
		.amdhsa_user_sgpr_dispatch_id 0
		.amdhsa_user_sgpr_private_segment_size 0
		.amdhsa_wavefront_size32 1
		.amdhsa_uses_dynamic_stack 0
		.amdhsa_enable_private_segment 0
		.amdhsa_system_sgpr_workgroup_id_x 1
		.amdhsa_system_sgpr_workgroup_id_y 0
		.amdhsa_system_sgpr_workgroup_id_z 0
		.amdhsa_system_sgpr_workgroup_info 0
		.amdhsa_system_vgpr_workitem_id 0
		.amdhsa_next_free_vgpr 1
		.amdhsa_next_free_sgpr 1
		.amdhsa_reserve_vcc 0
		.amdhsa_float_round_mode_32 0
		.amdhsa_float_round_mode_16_64 0
		.amdhsa_float_denorm_mode_32 3
		.amdhsa_float_denorm_mode_16_64 3
		.amdhsa_dx10_clamp 1
		.amdhsa_ieee_mode 1
		.amdhsa_fp16_overflow 0
		.amdhsa_workgroup_processor_mode 1
		.amdhsa_memory_ordered 1
		.amdhsa_forward_progress 0
		.amdhsa_shared_vgpr_count 0
		.amdhsa_exception_fp_ieee_invalid_op 0
		.amdhsa_exception_fp_denorm_src 0
		.amdhsa_exception_fp_ieee_div_zero 0
		.amdhsa_exception_fp_ieee_overflow 0
		.amdhsa_exception_fp_ieee_underflow 0
		.amdhsa_exception_fp_ieee_inexact 0
		.amdhsa_exception_int_div_zero 0
	.end_amdhsa_kernel
	.section	.text._ZN7rocprim17ROCPRIM_400000_NS6detail17trampoline_kernelINS0_14default_configENS1_25transform_config_selectorIfLb1EEEZNS1_14transform_implILb1ES3_S5_PfS7_NS0_8identityIfEEEE10hipError_tT2_T3_mT4_P12ihipStream_tbEUlT_E_NS1_11comp_targetILNS1_3genE10ELNS1_11target_archE1201ELNS1_3gpuE5ELNS1_3repE0EEENS1_30default_config_static_selectorELNS0_4arch9wavefront6targetE0EEEvT1_,"axG",@progbits,_ZN7rocprim17ROCPRIM_400000_NS6detail17trampoline_kernelINS0_14default_configENS1_25transform_config_selectorIfLb1EEEZNS1_14transform_implILb1ES3_S5_PfS7_NS0_8identityIfEEEE10hipError_tT2_T3_mT4_P12ihipStream_tbEUlT_E_NS1_11comp_targetILNS1_3genE10ELNS1_11target_archE1201ELNS1_3gpuE5ELNS1_3repE0EEENS1_30default_config_static_selectorELNS0_4arch9wavefront6targetE0EEEvT1_,comdat
.Lfunc_end102:
	.size	_ZN7rocprim17ROCPRIM_400000_NS6detail17trampoline_kernelINS0_14default_configENS1_25transform_config_selectorIfLb1EEEZNS1_14transform_implILb1ES3_S5_PfS7_NS0_8identityIfEEEE10hipError_tT2_T3_mT4_P12ihipStream_tbEUlT_E_NS1_11comp_targetILNS1_3genE10ELNS1_11target_archE1201ELNS1_3gpuE5ELNS1_3repE0EEENS1_30default_config_static_selectorELNS0_4arch9wavefront6targetE0EEEvT1_, .Lfunc_end102-_ZN7rocprim17ROCPRIM_400000_NS6detail17trampoline_kernelINS0_14default_configENS1_25transform_config_selectorIfLb1EEEZNS1_14transform_implILb1ES3_S5_PfS7_NS0_8identityIfEEEE10hipError_tT2_T3_mT4_P12ihipStream_tbEUlT_E_NS1_11comp_targetILNS1_3genE10ELNS1_11target_archE1201ELNS1_3gpuE5ELNS1_3repE0EEENS1_30default_config_static_selectorELNS0_4arch9wavefront6targetE0EEEvT1_
                                        ; -- End function
	.section	.AMDGPU.csdata,"",@progbits
; Kernel info:
; codeLenInByte = 0
; NumSgprs: 0
; NumVgprs: 0
; ScratchSize: 0
; MemoryBound: 0
; FloatMode: 240
; IeeeMode: 1
; LDSByteSize: 0 bytes/workgroup (compile time only)
; SGPRBlocks: 0
; VGPRBlocks: 0
; NumSGPRsForWavesPerEU: 1
; NumVGPRsForWavesPerEU: 1
; Occupancy: 16
; WaveLimiterHint : 0
; COMPUTE_PGM_RSRC2:SCRATCH_EN: 0
; COMPUTE_PGM_RSRC2:USER_SGPR: 15
; COMPUTE_PGM_RSRC2:TRAP_HANDLER: 0
; COMPUTE_PGM_RSRC2:TGID_X_EN: 1
; COMPUTE_PGM_RSRC2:TGID_Y_EN: 0
; COMPUTE_PGM_RSRC2:TGID_Z_EN: 0
; COMPUTE_PGM_RSRC2:TIDIG_COMP_CNT: 0
	.section	.text._ZN7rocprim17ROCPRIM_400000_NS6detail17trampoline_kernelINS0_14default_configENS1_25transform_config_selectorIfLb1EEEZNS1_14transform_implILb1ES3_S5_PfS7_NS0_8identityIfEEEE10hipError_tT2_T3_mT4_P12ihipStream_tbEUlT_E_NS1_11comp_targetILNS1_3genE5ELNS1_11target_archE942ELNS1_3gpuE9ELNS1_3repE0EEENS1_30default_config_static_selectorELNS0_4arch9wavefront6targetE0EEEvT1_,"axG",@progbits,_ZN7rocprim17ROCPRIM_400000_NS6detail17trampoline_kernelINS0_14default_configENS1_25transform_config_selectorIfLb1EEEZNS1_14transform_implILb1ES3_S5_PfS7_NS0_8identityIfEEEE10hipError_tT2_T3_mT4_P12ihipStream_tbEUlT_E_NS1_11comp_targetILNS1_3genE5ELNS1_11target_archE942ELNS1_3gpuE9ELNS1_3repE0EEENS1_30default_config_static_selectorELNS0_4arch9wavefront6targetE0EEEvT1_,comdat
	.protected	_ZN7rocprim17ROCPRIM_400000_NS6detail17trampoline_kernelINS0_14default_configENS1_25transform_config_selectorIfLb1EEEZNS1_14transform_implILb1ES3_S5_PfS7_NS0_8identityIfEEEE10hipError_tT2_T3_mT4_P12ihipStream_tbEUlT_E_NS1_11comp_targetILNS1_3genE5ELNS1_11target_archE942ELNS1_3gpuE9ELNS1_3repE0EEENS1_30default_config_static_selectorELNS0_4arch9wavefront6targetE0EEEvT1_ ; -- Begin function _ZN7rocprim17ROCPRIM_400000_NS6detail17trampoline_kernelINS0_14default_configENS1_25transform_config_selectorIfLb1EEEZNS1_14transform_implILb1ES3_S5_PfS7_NS0_8identityIfEEEE10hipError_tT2_T3_mT4_P12ihipStream_tbEUlT_E_NS1_11comp_targetILNS1_3genE5ELNS1_11target_archE942ELNS1_3gpuE9ELNS1_3repE0EEENS1_30default_config_static_selectorELNS0_4arch9wavefront6targetE0EEEvT1_
	.globl	_ZN7rocprim17ROCPRIM_400000_NS6detail17trampoline_kernelINS0_14default_configENS1_25transform_config_selectorIfLb1EEEZNS1_14transform_implILb1ES3_S5_PfS7_NS0_8identityIfEEEE10hipError_tT2_T3_mT4_P12ihipStream_tbEUlT_E_NS1_11comp_targetILNS1_3genE5ELNS1_11target_archE942ELNS1_3gpuE9ELNS1_3repE0EEENS1_30default_config_static_selectorELNS0_4arch9wavefront6targetE0EEEvT1_
	.p2align	8
	.type	_ZN7rocprim17ROCPRIM_400000_NS6detail17trampoline_kernelINS0_14default_configENS1_25transform_config_selectorIfLb1EEEZNS1_14transform_implILb1ES3_S5_PfS7_NS0_8identityIfEEEE10hipError_tT2_T3_mT4_P12ihipStream_tbEUlT_E_NS1_11comp_targetILNS1_3genE5ELNS1_11target_archE942ELNS1_3gpuE9ELNS1_3repE0EEENS1_30default_config_static_selectorELNS0_4arch9wavefront6targetE0EEEvT1_,@function
_ZN7rocprim17ROCPRIM_400000_NS6detail17trampoline_kernelINS0_14default_configENS1_25transform_config_selectorIfLb1EEEZNS1_14transform_implILb1ES3_S5_PfS7_NS0_8identityIfEEEE10hipError_tT2_T3_mT4_P12ihipStream_tbEUlT_E_NS1_11comp_targetILNS1_3genE5ELNS1_11target_archE942ELNS1_3gpuE9ELNS1_3repE0EEENS1_30default_config_static_selectorELNS0_4arch9wavefront6targetE0EEEvT1_: ; @_ZN7rocprim17ROCPRIM_400000_NS6detail17trampoline_kernelINS0_14default_configENS1_25transform_config_selectorIfLb1EEEZNS1_14transform_implILb1ES3_S5_PfS7_NS0_8identityIfEEEE10hipError_tT2_T3_mT4_P12ihipStream_tbEUlT_E_NS1_11comp_targetILNS1_3genE5ELNS1_11target_archE942ELNS1_3gpuE9ELNS1_3repE0EEENS1_30default_config_static_selectorELNS0_4arch9wavefront6targetE0EEEvT1_
; %bb.0:
	.section	.rodata,"a",@progbits
	.p2align	6, 0x0
	.amdhsa_kernel _ZN7rocprim17ROCPRIM_400000_NS6detail17trampoline_kernelINS0_14default_configENS1_25transform_config_selectorIfLb1EEEZNS1_14transform_implILb1ES3_S5_PfS7_NS0_8identityIfEEEE10hipError_tT2_T3_mT4_P12ihipStream_tbEUlT_E_NS1_11comp_targetILNS1_3genE5ELNS1_11target_archE942ELNS1_3gpuE9ELNS1_3repE0EEENS1_30default_config_static_selectorELNS0_4arch9wavefront6targetE0EEEvT1_
		.amdhsa_group_segment_fixed_size 0
		.amdhsa_private_segment_fixed_size 0
		.amdhsa_kernarg_size 40
		.amdhsa_user_sgpr_count 15
		.amdhsa_user_sgpr_dispatch_ptr 0
		.amdhsa_user_sgpr_queue_ptr 0
		.amdhsa_user_sgpr_kernarg_segment_ptr 1
		.amdhsa_user_sgpr_dispatch_id 0
		.amdhsa_user_sgpr_private_segment_size 0
		.amdhsa_wavefront_size32 1
		.amdhsa_uses_dynamic_stack 0
		.amdhsa_enable_private_segment 0
		.amdhsa_system_sgpr_workgroup_id_x 1
		.amdhsa_system_sgpr_workgroup_id_y 0
		.amdhsa_system_sgpr_workgroup_id_z 0
		.amdhsa_system_sgpr_workgroup_info 0
		.amdhsa_system_vgpr_workitem_id 0
		.amdhsa_next_free_vgpr 1
		.amdhsa_next_free_sgpr 1
		.amdhsa_reserve_vcc 0
		.amdhsa_float_round_mode_32 0
		.amdhsa_float_round_mode_16_64 0
		.amdhsa_float_denorm_mode_32 3
		.amdhsa_float_denorm_mode_16_64 3
		.amdhsa_dx10_clamp 1
		.amdhsa_ieee_mode 1
		.amdhsa_fp16_overflow 0
		.amdhsa_workgroup_processor_mode 1
		.amdhsa_memory_ordered 1
		.amdhsa_forward_progress 0
		.amdhsa_shared_vgpr_count 0
		.amdhsa_exception_fp_ieee_invalid_op 0
		.amdhsa_exception_fp_denorm_src 0
		.amdhsa_exception_fp_ieee_div_zero 0
		.amdhsa_exception_fp_ieee_overflow 0
		.amdhsa_exception_fp_ieee_underflow 0
		.amdhsa_exception_fp_ieee_inexact 0
		.amdhsa_exception_int_div_zero 0
	.end_amdhsa_kernel
	.section	.text._ZN7rocprim17ROCPRIM_400000_NS6detail17trampoline_kernelINS0_14default_configENS1_25transform_config_selectorIfLb1EEEZNS1_14transform_implILb1ES3_S5_PfS7_NS0_8identityIfEEEE10hipError_tT2_T3_mT4_P12ihipStream_tbEUlT_E_NS1_11comp_targetILNS1_3genE5ELNS1_11target_archE942ELNS1_3gpuE9ELNS1_3repE0EEENS1_30default_config_static_selectorELNS0_4arch9wavefront6targetE0EEEvT1_,"axG",@progbits,_ZN7rocprim17ROCPRIM_400000_NS6detail17trampoline_kernelINS0_14default_configENS1_25transform_config_selectorIfLb1EEEZNS1_14transform_implILb1ES3_S5_PfS7_NS0_8identityIfEEEE10hipError_tT2_T3_mT4_P12ihipStream_tbEUlT_E_NS1_11comp_targetILNS1_3genE5ELNS1_11target_archE942ELNS1_3gpuE9ELNS1_3repE0EEENS1_30default_config_static_selectorELNS0_4arch9wavefront6targetE0EEEvT1_,comdat
.Lfunc_end103:
	.size	_ZN7rocprim17ROCPRIM_400000_NS6detail17trampoline_kernelINS0_14default_configENS1_25transform_config_selectorIfLb1EEEZNS1_14transform_implILb1ES3_S5_PfS7_NS0_8identityIfEEEE10hipError_tT2_T3_mT4_P12ihipStream_tbEUlT_E_NS1_11comp_targetILNS1_3genE5ELNS1_11target_archE942ELNS1_3gpuE9ELNS1_3repE0EEENS1_30default_config_static_selectorELNS0_4arch9wavefront6targetE0EEEvT1_, .Lfunc_end103-_ZN7rocprim17ROCPRIM_400000_NS6detail17trampoline_kernelINS0_14default_configENS1_25transform_config_selectorIfLb1EEEZNS1_14transform_implILb1ES3_S5_PfS7_NS0_8identityIfEEEE10hipError_tT2_T3_mT4_P12ihipStream_tbEUlT_E_NS1_11comp_targetILNS1_3genE5ELNS1_11target_archE942ELNS1_3gpuE9ELNS1_3repE0EEENS1_30default_config_static_selectorELNS0_4arch9wavefront6targetE0EEEvT1_
                                        ; -- End function
	.section	.AMDGPU.csdata,"",@progbits
; Kernel info:
; codeLenInByte = 0
; NumSgprs: 0
; NumVgprs: 0
; ScratchSize: 0
; MemoryBound: 0
; FloatMode: 240
; IeeeMode: 1
; LDSByteSize: 0 bytes/workgroup (compile time only)
; SGPRBlocks: 0
; VGPRBlocks: 0
; NumSGPRsForWavesPerEU: 1
; NumVGPRsForWavesPerEU: 1
; Occupancy: 16
; WaveLimiterHint : 0
; COMPUTE_PGM_RSRC2:SCRATCH_EN: 0
; COMPUTE_PGM_RSRC2:USER_SGPR: 15
; COMPUTE_PGM_RSRC2:TRAP_HANDLER: 0
; COMPUTE_PGM_RSRC2:TGID_X_EN: 1
; COMPUTE_PGM_RSRC2:TGID_Y_EN: 0
; COMPUTE_PGM_RSRC2:TGID_Z_EN: 0
; COMPUTE_PGM_RSRC2:TIDIG_COMP_CNT: 0
	.section	.text._ZN7rocprim17ROCPRIM_400000_NS6detail17trampoline_kernelINS0_14default_configENS1_25transform_config_selectorIfLb1EEEZNS1_14transform_implILb1ES3_S5_PfS7_NS0_8identityIfEEEE10hipError_tT2_T3_mT4_P12ihipStream_tbEUlT_E_NS1_11comp_targetILNS1_3genE4ELNS1_11target_archE910ELNS1_3gpuE8ELNS1_3repE0EEENS1_30default_config_static_selectorELNS0_4arch9wavefront6targetE0EEEvT1_,"axG",@progbits,_ZN7rocprim17ROCPRIM_400000_NS6detail17trampoline_kernelINS0_14default_configENS1_25transform_config_selectorIfLb1EEEZNS1_14transform_implILb1ES3_S5_PfS7_NS0_8identityIfEEEE10hipError_tT2_T3_mT4_P12ihipStream_tbEUlT_E_NS1_11comp_targetILNS1_3genE4ELNS1_11target_archE910ELNS1_3gpuE8ELNS1_3repE0EEENS1_30default_config_static_selectorELNS0_4arch9wavefront6targetE0EEEvT1_,comdat
	.protected	_ZN7rocprim17ROCPRIM_400000_NS6detail17trampoline_kernelINS0_14default_configENS1_25transform_config_selectorIfLb1EEEZNS1_14transform_implILb1ES3_S5_PfS7_NS0_8identityIfEEEE10hipError_tT2_T3_mT4_P12ihipStream_tbEUlT_E_NS1_11comp_targetILNS1_3genE4ELNS1_11target_archE910ELNS1_3gpuE8ELNS1_3repE0EEENS1_30default_config_static_selectorELNS0_4arch9wavefront6targetE0EEEvT1_ ; -- Begin function _ZN7rocprim17ROCPRIM_400000_NS6detail17trampoline_kernelINS0_14default_configENS1_25transform_config_selectorIfLb1EEEZNS1_14transform_implILb1ES3_S5_PfS7_NS0_8identityIfEEEE10hipError_tT2_T3_mT4_P12ihipStream_tbEUlT_E_NS1_11comp_targetILNS1_3genE4ELNS1_11target_archE910ELNS1_3gpuE8ELNS1_3repE0EEENS1_30default_config_static_selectorELNS0_4arch9wavefront6targetE0EEEvT1_
	.globl	_ZN7rocprim17ROCPRIM_400000_NS6detail17trampoline_kernelINS0_14default_configENS1_25transform_config_selectorIfLb1EEEZNS1_14transform_implILb1ES3_S5_PfS7_NS0_8identityIfEEEE10hipError_tT2_T3_mT4_P12ihipStream_tbEUlT_E_NS1_11comp_targetILNS1_3genE4ELNS1_11target_archE910ELNS1_3gpuE8ELNS1_3repE0EEENS1_30default_config_static_selectorELNS0_4arch9wavefront6targetE0EEEvT1_
	.p2align	8
	.type	_ZN7rocprim17ROCPRIM_400000_NS6detail17trampoline_kernelINS0_14default_configENS1_25transform_config_selectorIfLb1EEEZNS1_14transform_implILb1ES3_S5_PfS7_NS0_8identityIfEEEE10hipError_tT2_T3_mT4_P12ihipStream_tbEUlT_E_NS1_11comp_targetILNS1_3genE4ELNS1_11target_archE910ELNS1_3gpuE8ELNS1_3repE0EEENS1_30default_config_static_selectorELNS0_4arch9wavefront6targetE0EEEvT1_,@function
_ZN7rocprim17ROCPRIM_400000_NS6detail17trampoline_kernelINS0_14default_configENS1_25transform_config_selectorIfLb1EEEZNS1_14transform_implILb1ES3_S5_PfS7_NS0_8identityIfEEEE10hipError_tT2_T3_mT4_P12ihipStream_tbEUlT_E_NS1_11comp_targetILNS1_3genE4ELNS1_11target_archE910ELNS1_3gpuE8ELNS1_3repE0EEENS1_30default_config_static_selectorELNS0_4arch9wavefront6targetE0EEEvT1_: ; @_ZN7rocprim17ROCPRIM_400000_NS6detail17trampoline_kernelINS0_14default_configENS1_25transform_config_selectorIfLb1EEEZNS1_14transform_implILb1ES3_S5_PfS7_NS0_8identityIfEEEE10hipError_tT2_T3_mT4_P12ihipStream_tbEUlT_E_NS1_11comp_targetILNS1_3genE4ELNS1_11target_archE910ELNS1_3gpuE8ELNS1_3repE0EEENS1_30default_config_static_selectorELNS0_4arch9wavefront6targetE0EEEvT1_
; %bb.0:
	.section	.rodata,"a",@progbits
	.p2align	6, 0x0
	.amdhsa_kernel _ZN7rocprim17ROCPRIM_400000_NS6detail17trampoline_kernelINS0_14default_configENS1_25transform_config_selectorIfLb1EEEZNS1_14transform_implILb1ES3_S5_PfS7_NS0_8identityIfEEEE10hipError_tT2_T3_mT4_P12ihipStream_tbEUlT_E_NS1_11comp_targetILNS1_3genE4ELNS1_11target_archE910ELNS1_3gpuE8ELNS1_3repE0EEENS1_30default_config_static_selectorELNS0_4arch9wavefront6targetE0EEEvT1_
		.amdhsa_group_segment_fixed_size 0
		.amdhsa_private_segment_fixed_size 0
		.amdhsa_kernarg_size 40
		.amdhsa_user_sgpr_count 15
		.amdhsa_user_sgpr_dispatch_ptr 0
		.amdhsa_user_sgpr_queue_ptr 0
		.amdhsa_user_sgpr_kernarg_segment_ptr 1
		.amdhsa_user_sgpr_dispatch_id 0
		.amdhsa_user_sgpr_private_segment_size 0
		.amdhsa_wavefront_size32 1
		.amdhsa_uses_dynamic_stack 0
		.amdhsa_enable_private_segment 0
		.amdhsa_system_sgpr_workgroup_id_x 1
		.amdhsa_system_sgpr_workgroup_id_y 0
		.amdhsa_system_sgpr_workgroup_id_z 0
		.amdhsa_system_sgpr_workgroup_info 0
		.amdhsa_system_vgpr_workitem_id 0
		.amdhsa_next_free_vgpr 1
		.amdhsa_next_free_sgpr 1
		.amdhsa_reserve_vcc 0
		.amdhsa_float_round_mode_32 0
		.amdhsa_float_round_mode_16_64 0
		.amdhsa_float_denorm_mode_32 3
		.amdhsa_float_denorm_mode_16_64 3
		.amdhsa_dx10_clamp 1
		.amdhsa_ieee_mode 1
		.amdhsa_fp16_overflow 0
		.amdhsa_workgroup_processor_mode 1
		.amdhsa_memory_ordered 1
		.amdhsa_forward_progress 0
		.amdhsa_shared_vgpr_count 0
		.amdhsa_exception_fp_ieee_invalid_op 0
		.amdhsa_exception_fp_denorm_src 0
		.amdhsa_exception_fp_ieee_div_zero 0
		.amdhsa_exception_fp_ieee_overflow 0
		.amdhsa_exception_fp_ieee_underflow 0
		.amdhsa_exception_fp_ieee_inexact 0
		.amdhsa_exception_int_div_zero 0
	.end_amdhsa_kernel
	.section	.text._ZN7rocprim17ROCPRIM_400000_NS6detail17trampoline_kernelINS0_14default_configENS1_25transform_config_selectorIfLb1EEEZNS1_14transform_implILb1ES3_S5_PfS7_NS0_8identityIfEEEE10hipError_tT2_T3_mT4_P12ihipStream_tbEUlT_E_NS1_11comp_targetILNS1_3genE4ELNS1_11target_archE910ELNS1_3gpuE8ELNS1_3repE0EEENS1_30default_config_static_selectorELNS0_4arch9wavefront6targetE0EEEvT1_,"axG",@progbits,_ZN7rocprim17ROCPRIM_400000_NS6detail17trampoline_kernelINS0_14default_configENS1_25transform_config_selectorIfLb1EEEZNS1_14transform_implILb1ES3_S5_PfS7_NS0_8identityIfEEEE10hipError_tT2_T3_mT4_P12ihipStream_tbEUlT_E_NS1_11comp_targetILNS1_3genE4ELNS1_11target_archE910ELNS1_3gpuE8ELNS1_3repE0EEENS1_30default_config_static_selectorELNS0_4arch9wavefront6targetE0EEEvT1_,comdat
.Lfunc_end104:
	.size	_ZN7rocprim17ROCPRIM_400000_NS6detail17trampoline_kernelINS0_14default_configENS1_25transform_config_selectorIfLb1EEEZNS1_14transform_implILb1ES3_S5_PfS7_NS0_8identityIfEEEE10hipError_tT2_T3_mT4_P12ihipStream_tbEUlT_E_NS1_11comp_targetILNS1_3genE4ELNS1_11target_archE910ELNS1_3gpuE8ELNS1_3repE0EEENS1_30default_config_static_selectorELNS0_4arch9wavefront6targetE0EEEvT1_, .Lfunc_end104-_ZN7rocprim17ROCPRIM_400000_NS6detail17trampoline_kernelINS0_14default_configENS1_25transform_config_selectorIfLb1EEEZNS1_14transform_implILb1ES3_S5_PfS7_NS0_8identityIfEEEE10hipError_tT2_T3_mT4_P12ihipStream_tbEUlT_E_NS1_11comp_targetILNS1_3genE4ELNS1_11target_archE910ELNS1_3gpuE8ELNS1_3repE0EEENS1_30default_config_static_selectorELNS0_4arch9wavefront6targetE0EEEvT1_
                                        ; -- End function
	.section	.AMDGPU.csdata,"",@progbits
; Kernel info:
; codeLenInByte = 0
; NumSgprs: 0
; NumVgprs: 0
; ScratchSize: 0
; MemoryBound: 0
; FloatMode: 240
; IeeeMode: 1
; LDSByteSize: 0 bytes/workgroup (compile time only)
; SGPRBlocks: 0
; VGPRBlocks: 0
; NumSGPRsForWavesPerEU: 1
; NumVGPRsForWavesPerEU: 1
; Occupancy: 16
; WaveLimiterHint : 0
; COMPUTE_PGM_RSRC2:SCRATCH_EN: 0
; COMPUTE_PGM_RSRC2:USER_SGPR: 15
; COMPUTE_PGM_RSRC2:TRAP_HANDLER: 0
; COMPUTE_PGM_RSRC2:TGID_X_EN: 1
; COMPUTE_PGM_RSRC2:TGID_Y_EN: 0
; COMPUTE_PGM_RSRC2:TGID_Z_EN: 0
; COMPUTE_PGM_RSRC2:TIDIG_COMP_CNT: 0
	.section	.text._ZN7rocprim17ROCPRIM_400000_NS6detail17trampoline_kernelINS0_14default_configENS1_25transform_config_selectorIfLb1EEEZNS1_14transform_implILb1ES3_S5_PfS7_NS0_8identityIfEEEE10hipError_tT2_T3_mT4_P12ihipStream_tbEUlT_E_NS1_11comp_targetILNS1_3genE3ELNS1_11target_archE908ELNS1_3gpuE7ELNS1_3repE0EEENS1_30default_config_static_selectorELNS0_4arch9wavefront6targetE0EEEvT1_,"axG",@progbits,_ZN7rocprim17ROCPRIM_400000_NS6detail17trampoline_kernelINS0_14default_configENS1_25transform_config_selectorIfLb1EEEZNS1_14transform_implILb1ES3_S5_PfS7_NS0_8identityIfEEEE10hipError_tT2_T3_mT4_P12ihipStream_tbEUlT_E_NS1_11comp_targetILNS1_3genE3ELNS1_11target_archE908ELNS1_3gpuE7ELNS1_3repE0EEENS1_30default_config_static_selectorELNS0_4arch9wavefront6targetE0EEEvT1_,comdat
	.protected	_ZN7rocprim17ROCPRIM_400000_NS6detail17trampoline_kernelINS0_14default_configENS1_25transform_config_selectorIfLb1EEEZNS1_14transform_implILb1ES3_S5_PfS7_NS0_8identityIfEEEE10hipError_tT2_T3_mT4_P12ihipStream_tbEUlT_E_NS1_11comp_targetILNS1_3genE3ELNS1_11target_archE908ELNS1_3gpuE7ELNS1_3repE0EEENS1_30default_config_static_selectorELNS0_4arch9wavefront6targetE0EEEvT1_ ; -- Begin function _ZN7rocprim17ROCPRIM_400000_NS6detail17trampoline_kernelINS0_14default_configENS1_25transform_config_selectorIfLb1EEEZNS1_14transform_implILb1ES3_S5_PfS7_NS0_8identityIfEEEE10hipError_tT2_T3_mT4_P12ihipStream_tbEUlT_E_NS1_11comp_targetILNS1_3genE3ELNS1_11target_archE908ELNS1_3gpuE7ELNS1_3repE0EEENS1_30default_config_static_selectorELNS0_4arch9wavefront6targetE0EEEvT1_
	.globl	_ZN7rocprim17ROCPRIM_400000_NS6detail17trampoline_kernelINS0_14default_configENS1_25transform_config_selectorIfLb1EEEZNS1_14transform_implILb1ES3_S5_PfS7_NS0_8identityIfEEEE10hipError_tT2_T3_mT4_P12ihipStream_tbEUlT_E_NS1_11comp_targetILNS1_3genE3ELNS1_11target_archE908ELNS1_3gpuE7ELNS1_3repE0EEENS1_30default_config_static_selectorELNS0_4arch9wavefront6targetE0EEEvT1_
	.p2align	8
	.type	_ZN7rocprim17ROCPRIM_400000_NS6detail17trampoline_kernelINS0_14default_configENS1_25transform_config_selectorIfLb1EEEZNS1_14transform_implILb1ES3_S5_PfS7_NS0_8identityIfEEEE10hipError_tT2_T3_mT4_P12ihipStream_tbEUlT_E_NS1_11comp_targetILNS1_3genE3ELNS1_11target_archE908ELNS1_3gpuE7ELNS1_3repE0EEENS1_30default_config_static_selectorELNS0_4arch9wavefront6targetE0EEEvT1_,@function
_ZN7rocprim17ROCPRIM_400000_NS6detail17trampoline_kernelINS0_14default_configENS1_25transform_config_selectorIfLb1EEEZNS1_14transform_implILb1ES3_S5_PfS7_NS0_8identityIfEEEE10hipError_tT2_T3_mT4_P12ihipStream_tbEUlT_E_NS1_11comp_targetILNS1_3genE3ELNS1_11target_archE908ELNS1_3gpuE7ELNS1_3repE0EEENS1_30default_config_static_selectorELNS0_4arch9wavefront6targetE0EEEvT1_: ; @_ZN7rocprim17ROCPRIM_400000_NS6detail17trampoline_kernelINS0_14default_configENS1_25transform_config_selectorIfLb1EEEZNS1_14transform_implILb1ES3_S5_PfS7_NS0_8identityIfEEEE10hipError_tT2_T3_mT4_P12ihipStream_tbEUlT_E_NS1_11comp_targetILNS1_3genE3ELNS1_11target_archE908ELNS1_3gpuE7ELNS1_3repE0EEENS1_30default_config_static_selectorELNS0_4arch9wavefront6targetE0EEEvT1_
; %bb.0:
	.section	.rodata,"a",@progbits
	.p2align	6, 0x0
	.amdhsa_kernel _ZN7rocprim17ROCPRIM_400000_NS6detail17trampoline_kernelINS0_14default_configENS1_25transform_config_selectorIfLb1EEEZNS1_14transform_implILb1ES3_S5_PfS7_NS0_8identityIfEEEE10hipError_tT2_T3_mT4_P12ihipStream_tbEUlT_E_NS1_11comp_targetILNS1_3genE3ELNS1_11target_archE908ELNS1_3gpuE7ELNS1_3repE0EEENS1_30default_config_static_selectorELNS0_4arch9wavefront6targetE0EEEvT1_
		.amdhsa_group_segment_fixed_size 0
		.amdhsa_private_segment_fixed_size 0
		.amdhsa_kernarg_size 40
		.amdhsa_user_sgpr_count 15
		.amdhsa_user_sgpr_dispatch_ptr 0
		.amdhsa_user_sgpr_queue_ptr 0
		.amdhsa_user_sgpr_kernarg_segment_ptr 1
		.amdhsa_user_sgpr_dispatch_id 0
		.amdhsa_user_sgpr_private_segment_size 0
		.amdhsa_wavefront_size32 1
		.amdhsa_uses_dynamic_stack 0
		.amdhsa_enable_private_segment 0
		.amdhsa_system_sgpr_workgroup_id_x 1
		.amdhsa_system_sgpr_workgroup_id_y 0
		.amdhsa_system_sgpr_workgroup_id_z 0
		.amdhsa_system_sgpr_workgroup_info 0
		.amdhsa_system_vgpr_workitem_id 0
		.amdhsa_next_free_vgpr 1
		.amdhsa_next_free_sgpr 1
		.amdhsa_reserve_vcc 0
		.amdhsa_float_round_mode_32 0
		.amdhsa_float_round_mode_16_64 0
		.amdhsa_float_denorm_mode_32 3
		.amdhsa_float_denorm_mode_16_64 3
		.amdhsa_dx10_clamp 1
		.amdhsa_ieee_mode 1
		.amdhsa_fp16_overflow 0
		.amdhsa_workgroup_processor_mode 1
		.amdhsa_memory_ordered 1
		.amdhsa_forward_progress 0
		.amdhsa_shared_vgpr_count 0
		.amdhsa_exception_fp_ieee_invalid_op 0
		.amdhsa_exception_fp_denorm_src 0
		.amdhsa_exception_fp_ieee_div_zero 0
		.amdhsa_exception_fp_ieee_overflow 0
		.amdhsa_exception_fp_ieee_underflow 0
		.amdhsa_exception_fp_ieee_inexact 0
		.amdhsa_exception_int_div_zero 0
	.end_amdhsa_kernel
	.section	.text._ZN7rocprim17ROCPRIM_400000_NS6detail17trampoline_kernelINS0_14default_configENS1_25transform_config_selectorIfLb1EEEZNS1_14transform_implILb1ES3_S5_PfS7_NS0_8identityIfEEEE10hipError_tT2_T3_mT4_P12ihipStream_tbEUlT_E_NS1_11comp_targetILNS1_3genE3ELNS1_11target_archE908ELNS1_3gpuE7ELNS1_3repE0EEENS1_30default_config_static_selectorELNS0_4arch9wavefront6targetE0EEEvT1_,"axG",@progbits,_ZN7rocprim17ROCPRIM_400000_NS6detail17trampoline_kernelINS0_14default_configENS1_25transform_config_selectorIfLb1EEEZNS1_14transform_implILb1ES3_S5_PfS7_NS0_8identityIfEEEE10hipError_tT2_T3_mT4_P12ihipStream_tbEUlT_E_NS1_11comp_targetILNS1_3genE3ELNS1_11target_archE908ELNS1_3gpuE7ELNS1_3repE0EEENS1_30default_config_static_selectorELNS0_4arch9wavefront6targetE0EEEvT1_,comdat
.Lfunc_end105:
	.size	_ZN7rocprim17ROCPRIM_400000_NS6detail17trampoline_kernelINS0_14default_configENS1_25transform_config_selectorIfLb1EEEZNS1_14transform_implILb1ES3_S5_PfS7_NS0_8identityIfEEEE10hipError_tT2_T3_mT4_P12ihipStream_tbEUlT_E_NS1_11comp_targetILNS1_3genE3ELNS1_11target_archE908ELNS1_3gpuE7ELNS1_3repE0EEENS1_30default_config_static_selectorELNS0_4arch9wavefront6targetE0EEEvT1_, .Lfunc_end105-_ZN7rocprim17ROCPRIM_400000_NS6detail17trampoline_kernelINS0_14default_configENS1_25transform_config_selectorIfLb1EEEZNS1_14transform_implILb1ES3_S5_PfS7_NS0_8identityIfEEEE10hipError_tT2_T3_mT4_P12ihipStream_tbEUlT_E_NS1_11comp_targetILNS1_3genE3ELNS1_11target_archE908ELNS1_3gpuE7ELNS1_3repE0EEENS1_30default_config_static_selectorELNS0_4arch9wavefront6targetE0EEEvT1_
                                        ; -- End function
	.section	.AMDGPU.csdata,"",@progbits
; Kernel info:
; codeLenInByte = 0
; NumSgprs: 0
; NumVgprs: 0
; ScratchSize: 0
; MemoryBound: 0
; FloatMode: 240
; IeeeMode: 1
; LDSByteSize: 0 bytes/workgroup (compile time only)
; SGPRBlocks: 0
; VGPRBlocks: 0
; NumSGPRsForWavesPerEU: 1
; NumVGPRsForWavesPerEU: 1
; Occupancy: 16
; WaveLimiterHint : 0
; COMPUTE_PGM_RSRC2:SCRATCH_EN: 0
; COMPUTE_PGM_RSRC2:USER_SGPR: 15
; COMPUTE_PGM_RSRC2:TRAP_HANDLER: 0
; COMPUTE_PGM_RSRC2:TGID_X_EN: 1
; COMPUTE_PGM_RSRC2:TGID_Y_EN: 0
; COMPUTE_PGM_RSRC2:TGID_Z_EN: 0
; COMPUTE_PGM_RSRC2:TIDIG_COMP_CNT: 0
	.section	.text._ZN7rocprim17ROCPRIM_400000_NS6detail17trampoline_kernelINS0_14default_configENS1_25transform_config_selectorIfLb1EEEZNS1_14transform_implILb1ES3_S5_PfS7_NS0_8identityIfEEEE10hipError_tT2_T3_mT4_P12ihipStream_tbEUlT_E_NS1_11comp_targetILNS1_3genE2ELNS1_11target_archE906ELNS1_3gpuE6ELNS1_3repE0EEENS1_30default_config_static_selectorELNS0_4arch9wavefront6targetE0EEEvT1_,"axG",@progbits,_ZN7rocprim17ROCPRIM_400000_NS6detail17trampoline_kernelINS0_14default_configENS1_25transform_config_selectorIfLb1EEEZNS1_14transform_implILb1ES3_S5_PfS7_NS0_8identityIfEEEE10hipError_tT2_T3_mT4_P12ihipStream_tbEUlT_E_NS1_11comp_targetILNS1_3genE2ELNS1_11target_archE906ELNS1_3gpuE6ELNS1_3repE0EEENS1_30default_config_static_selectorELNS0_4arch9wavefront6targetE0EEEvT1_,comdat
	.protected	_ZN7rocprim17ROCPRIM_400000_NS6detail17trampoline_kernelINS0_14default_configENS1_25transform_config_selectorIfLb1EEEZNS1_14transform_implILb1ES3_S5_PfS7_NS0_8identityIfEEEE10hipError_tT2_T3_mT4_P12ihipStream_tbEUlT_E_NS1_11comp_targetILNS1_3genE2ELNS1_11target_archE906ELNS1_3gpuE6ELNS1_3repE0EEENS1_30default_config_static_selectorELNS0_4arch9wavefront6targetE0EEEvT1_ ; -- Begin function _ZN7rocprim17ROCPRIM_400000_NS6detail17trampoline_kernelINS0_14default_configENS1_25transform_config_selectorIfLb1EEEZNS1_14transform_implILb1ES3_S5_PfS7_NS0_8identityIfEEEE10hipError_tT2_T3_mT4_P12ihipStream_tbEUlT_E_NS1_11comp_targetILNS1_3genE2ELNS1_11target_archE906ELNS1_3gpuE6ELNS1_3repE0EEENS1_30default_config_static_selectorELNS0_4arch9wavefront6targetE0EEEvT1_
	.globl	_ZN7rocprim17ROCPRIM_400000_NS6detail17trampoline_kernelINS0_14default_configENS1_25transform_config_selectorIfLb1EEEZNS1_14transform_implILb1ES3_S5_PfS7_NS0_8identityIfEEEE10hipError_tT2_T3_mT4_P12ihipStream_tbEUlT_E_NS1_11comp_targetILNS1_3genE2ELNS1_11target_archE906ELNS1_3gpuE6ELNS1_3repE0EEENS1_30default_config_static_selectorELNS0_4arch9wavefront6targetE0EEEvT1_
	.p2align	8
	.type	_ZN7rocprim17ROCPRIM_400000_NS6detail17trampoline_kernelINS0_14default_configENS1_25transform_config_selectorIfLb1EEEZNS1_14transform_implILb1ES3_S5_PfS7_NS0_8identityIfEEEE10hipError_tT2_T3_mT4_P12ihipStream_tbEUlT_E_NS1_11comp_targetILNS1_3genE2ELNS1_11target_archE906ELNS1_3gpuE6ELNS1_3repE0EEENS1_30default_config_static_selectorELNS0_4arch9wavefront6targetE0EEEvT1_,@function
_ZN7rocprim17ROCPRIM_400000_NS6detail17trampoline_kernelINS0_14default_configENS1_25transform_config_selectorIfLb1EEEZNS1_14transform_implILb1ES3_S5_PfS7_NS0_8identityIfEEEE10hipError_tT2_T3_mT4_P12ihipStream_tbEUlT_E_NS1_11comp_targetILNS1_3genE2ELNS1_11target_archE906ELNS1_3gpuE6ELNS1_3repE0EEENS1_30default_config_static_selectorELNS0_4arch9wavefront6targetE0EEEvT1_: ; @_ZN7rocprim17ROCPRIM_400000_NS6detail17trampoline_kernelINS0_14default_configENS1_25transform_config_selectorIfLb1EEEZNS1_14transform_implILb1ES3_S5_PfS7_NS0_8identityIfEEEE10hipError_tT2_T3_mT4_P12ihipStream_tbEUlT_E_NS1_11comp_targetILNS1_3genE2ELNS1_11target_archE906ELNS1_3gpuE6ELNS1_3repE0EEENS1_30default_config_static_selectorELNS0_4arch9wavefront6targetE0EEEvT1_
; %bb.0:
	.section	.rodata,"a",@progbits
	.p2align	6, 0x0
	.amdhsa_kernel _ZN7rocprim17ROCPRIM_400000_NS6detail17trampoline_kernelINS0_14default_configENS1_25transform_config_selectorIfLb1EEEZNS1_14transform_implILb1ES3_S5_PfS7_NS0_8identityIfEEEE10hipError_tT2_T3_mT4_P12ihipStream_tbEUlT_E_NS1_11comp_targetILNS1_3genE2ELNS1_11target_archE906ELNS1_3gpuE6ELNS1_3repE0EEENS1_30default_config_static_selectorELNS0_4arch9wavefront6targetE0EEEvT1_
		.amdhsa_group_segment_fixed_size 0
		.amdhsa_private_segment_fixed_size 0
		.amdhsa_kernarg_size 40
		.amdhsa_user_sgpr_count 15
		.amdhsa_user_sgpr_dispatch_ptr 0
		.amdhsa_user_sgpr_queue_ptr 0
		.amdhsa_user_sgpr_kernarg_segment_ptr 1
		.amdhsa_user_sgpr_dispatch_id 0
		.amdhsa_user_sgpr_private_segment_size 0
		.amdhsa_wavefront_size32 1
		.amdhsa_uses_dynamic_stack 0
		.amdhsa_enable_private_segment 0
		.amdhsa_system_sgpr_workgroup_id_x 1
		.amdhsa_system_sgpr_workgroup_id_y 0
		.amdhsa_system_sgpr_workgroup_id_z 0
		.amdhsa_system_sgpr_workgroup_info 0
		.amdhsa_system_vgpr_workitem_id 0
		.amdhsa_next_free_vgpr 1
		.amdhsa_next_free_sgpr 1
		.amdhsa_reserve_vcc 0
		.amdhsa_float_round_mode_32 0
		.amdhsa_float_round_mode_16_64 0
		.amdhsa_float_denorm_mode_32 3
		.amdhsa_float_denorm_mode_16_64 3
		.amdhsa_dx10_clamp 1
		.amdhsa_ieee_mode 1
		.amdhsa_fp16_overflow 0
		.amdhsa_workgroup_processor_mode 1
		.amdhsa_memory_ordered 1
		.amdhsa_forward_progress 0
		.amdhsa_shared_vgpr_count 0
		.amdhsa_exception_fp_ieee_invalid_op 0
		.amdhsa_exception_fp_denorm_src 0
		.amdhsa_exception_fp_ieee_div_zero 0
		.amdhsa_exception_fp_ieee_overflow 0
		.amdhsa_exception_fp_ieee_underflow 0
		.amdhsa_exception_fp_ieee_inexact 0
		.amdhsa_exception_int_div_zero 0
	.end_amdhsa_kernel
	.section	.text._ZN7rocprim17ROCPRIM_400000_NS6detail17trampoline_kernelINS0_14default_configENS1_25transform_config_selectorIfLb1EEEZNS1_14transform_implILb1ES3_S5_PfS7_NS0_8identityIfEEEE10hipError_tT2_T3_mT4_P12ihipStream_tbEUlT_E_NS1_11comp_targetILNS1_3genE2ELNS1_11target_archE906ELNS1_3gpuE6ELNS1_3repE0EEENS1_30default_config_static_selectorELNS0_4arch9wavefront6targetE0EEEvT1_,"axG",@progbits,_ZN7rocprim17ROCPRIM_400000_NS6detail17trampoline_kernelINS0_14default_configENS1_25transform_config_selectorIfLb1EEEZNS1_14transform_implILb1ES3_S5_PfS7_NS0_8identityIfEEEE10hipError_tT2_T3_mT4_P12ihipStream_tbEUlT_E_NS1_11comp_targetILNS1_3genE2ELNS1_11target_archE906ELNS1_3gpuE6ELNS1_3repE0EEENS1_30default_config_static_selectorELNS0_4arch9wavefront6targetE0EEEvT1_,comdat
.Lfunc_end106:
	.size	_ZN7rocprim17ROCPRIM_400000_NS6detail17trampoline_kernelINS0_14default_configENS1_25transform_config_selectorIfLb1EEEZNS1_14transform_implILb1ES3_S5_PfS7_NS0_8identityIfEEEE10hipError_tT2_T3_mT4_P12ihipStream_tbEUlT_E_NS1_11comp_targetILNS1_3genE2ELNS1_11target_archE906ELNS1_3gpuE6ELNS1_3repE0EEENS1_30default_config_static_selectorELNS0_4arch9wavefront6targetE0EEEvT1_, .Lfunc_end106-_ZN7rocprim17ROCPRIM_400000_NS6detail17trampoline_kernelINS0_14default_configENS1_25transform_config_selectorIfLb1EEEZNS1_14transform_implILb1ES3_S5_PfS7_NS0_8identityIfEEEE10hipError_tT2_T3_mT4_P12ihipStream_tbEUlT_E_NS1_11comp_targetILNS1_3genE2ELNS1_11target_archE906ELNS1_3gpuE6ELNS1_3repE0EEENS1_30default_config_static_selectorELNS0_4arch9wavefront6targetE0EEEvT1_
                                        ; -- End function
	.section	.AMDGPU.csdata,"",@progbits
; Kernel info:
; codeLenInByte = 0
; NumSgprs: 0
; NumVgprs: 0
; ScratchSize: 0
; MemoryBound: 0
; FloatMode: 240
; IeeeMode: 1
; LDSByteSize: 0 bytes/workgroup (compile time only)
; SGPRBlocks: 0
; VGPRBlocks: 0
; NumSGPRsForWavesPerEU: 1
; NumVGPRsForWavesPerEU: 1
; Occupancy: 16
; WaveLimiterHint : 0
; COMPUTE_PGM_RSRC2:SCRATCH_EN: 0
; COMPUTE_PGM_RSRC2:USER_SGPR: 15
; COMPUTE_PGM_RSRC2:TRAP_HANDLER: 0
; COMPUTE_PGM_RSRC2:TGID_X_EN: 1
; COMPUTE_PGM_RSRC2:TGID_Y_EN: 0
; COMPUTE_PGM_RSRC2:TGID_Z_EN: 0
; COMPUTE_PGM_RSRC2:TIDIG_COMP_CNT: 0
	.section	.text._ZN7rocprim17ROCPRIM_400000_NS6detail17trampoline_kernelINS0_14default_configENS1_25transform_config_selectorIfLb1EEEZNS1_14transform_implILb1ES3_S5_PfS7_NS0_8identityIfEEEE10hipError_tT2_T3_mT4_P12ihipStream_tbEUlT_E_NS1_11comp_targetILNS1_3genE9ELNS1_11target_archE1100ELNS1_3gpuE3ELNS1_3repE0EEENS1_30default_config_static_selectorELNS0_4arch9wavefront6targetE0EEEvT1_,"axG",@progbits,_ZN7rocprim17ROCPRIM_400000_NS6detail17trampoline_kernelINS0_14default_configENS1_25transform_config_selectorIfLb1EEEZNS1_14transform_implILb1ES3_S5_PfS7_NS0_8identityIfEEEE10hipError_tT2_T3_mT4_P12ihipStream_tbEUlT_E_NS1_11comp_targetILNS1_3genE9ELNS1_11target_archE1100ELNS1_3gpuE3ELNS1_3repE0EEENS1_30default_config_static_selectorELNS0_4arch9wavefront6targetE0EEEvT1_,comdat
	.protected	_ZN7rocprim17ROCPRIM_400000_NS6detail17trampoline_kernelINS0_14default_configENS1_25transform_config_selectorIfLb1EEEZNS1_14transform_implILb1ES3_S5_PfS7_NS0_8identityIfEEEE10hipError_tT2_T3_mT4_P12ihipStream_tbEUlT_E_NS1_11comp_targetILNS1_3genE9ELNS1_11target_archE1100ELNS1_3gpuE3ELNS1_3repE0EEENS1_30default_config_static_selectorELNS0_4arch9wavefront6targetE0EEEvT1_ ; -- Begin function _ZN7rocprim17ROCPRIM_400000_NS6detail17trampoline_kernelINS0_14default_configENS1_25transform_config_selectorIfLb1EEEZNS1_14transform_implILb1ES3_S5_PfS7_NS0_8identityIfEEEE10hipError_tT2_T3_mT4_P12ihipStream_tbEUlT_E_NS1_11comp_targetILNS1_3genE9ELNS1_11target_archE1100ELNS1_3gpuE3ELNS1_3repE0EEENS1_30default_config_static_selectorELNS0_4arch9wavefront6targetE0EEEvT1_
	.globl	_ZN7rocprim17ROCPRIM_400000_NS6detail17trampoline_kernelINS0_14default_configENS1_25transform_config_selectorIfLb1EEEZNS1_14transform_implILb1ES3_S5_PfS7_NS0_8identityIfEEEE10hipError_tT2_T3_mT4_P12ihipStream_tbEUlT_E_NS1_11comp_targetILNS1_3genE9ELNS1_11target_archE1100ELNS1_3gpuE3ELNS1_3repE0EEENS1_30default_config_static_selectorELNS0_4arch9wavefront6targetE0EEEvT1_
	.p2align	8
	.type	_ZN7rocprim17ROCPRIM_400000_NS6detail17trampoline_kernelINS0_14default_configENS1_25transform_config_selectorIfLb1EEEZNS1_14transform_implILb1ES3_S5_PfS7_NS0_8identityIfEEEE10hipError_tT2_T3_mT4_P12ihipStream_tbEUlT_E_NS1_11comp_targetILNS1_3genE9ELNS1_11target_archE1100ELNS1_3gpuE3ELNS1_3repE0EEENS1_30default_config_static_selectorELNS0_4arch9wavefront6targetE0EEEvT1_,@function
_ZN7rocprim17ROCPRIM_400000_NS6detail17trampoline_kernelINS0_14default_configENS1_25transform_config_selectorIfLb1EEEZNS1_14transform_implILb1ES3_S5_PfS7_NS0_8identityIfEEEE10hipError_tT2_T3_mT4_P12ihipStream_tbEUlT_E_NS1_11comp_targetILNS1_3genE9ELNS1_11target_archE1100ELNS1_3gpuE3ELNS1_3repE0EEENS1_30default_config_static_selectorELNS0_4arch9wavefront6targetE0EEEvT1_: ; @_ZN7rocprim17ROCPRIM_400000_NS6detail17trampoline_kernelINS0_14default_configENS1_25transform_config_selectorIfLb1EEEZNS1_14transform_implILb1ES3_S5_PfS7_NS0_8identityIfEEEE10hipError_tT2_T3_mT4_P12ihipStream_tbEUlT_E_NS1_11comp_targetILNS1_3genE9ELNS1_11target_archE1100ELNS1_3gpuE3ELNS1_3repE0EEENS1_30default_config_static_selectorELNS0_4arch9wavefront6targetE0EEEvT1_
; %bb.0:
	s_load_b256 s[4:11], s[0:1], 0x0
	s_waitcnt lgkmcnt(0)
	s_load_b32 s9, s[0:1], 0x28
	s_lshl_b64 s[0:1], s[6:7], 2
	s_delay_alu instid0(SALU_CYCLE_1)
	s_add_u32 s4, s4, s0
	s_addc_u32 s5, s5, s1
	s_add_u32 s6, s10, s0
	s_addc_u32 s7, s11, s1
	s_lshl_b32 s0, s15, 11
	s_mov_b32 s1, 0
	s_waitcnt lgkmcnt(0)
	s_add_i32 s9, s9, -1
	s_lshl_b64 s[2:3], s[0:1], 2
	s_mov_b32 s1, -1
	s_add_u32 s4, s4, s2
	s_addc_u32 s5, s5, s3
	s_cmp_lg_u32 s15, s9
	s_cbranch_scc0 .LBB107_2
; %bb.1:
	v_lshlrev_b32_e32 v3, 3, v0
	s_add_u32 s10, s6, s2
	s_addc_u32 s11, s7, s3
	s_mov_b32 s1, 0
	global_load_b64 v[1:2], v3, s[4:5] slc dlc
	s_waitcnt vmcnt(0)
	global_store_b64 v3, v[1:2], s[10:11]
.LBB107_2:
	s_and_not1_b32 vcc_lo, exec_lo, s1
	s_cbranch_vccnz .LBB107_11
; %bb.3:
	s_sub_i32 s0, s8, s0
	v_lshlrev_b32_e32 v3, 2, v0
	v_cmp_gt_u32_e32 vcc_lo, s0, v0
                                        ; implicit-def: $vgpr1_vgpr2
	s_and_saveexec_b32 s1, vcc_lo
	s_cbranch_execz .LBB107_5
; %bb.4:
	global_load_b32 v1, v3, s[4:5]
.LBB107_5:
	s_or_b32 exec_lo, exec_lo, s1
	v_or_b32_e32 v0, 0x400, v0
	s_delay_alu instid0(VALU_DEP_1) | instskip(NEXT) | instid1(VALU_DEP_1)
	v_cmp_gt_u32_e64 s0, s0, v0
	s_and_saveexec_b32 s1, s0
	s_cbranch_execz .LBB107_7
; %bb.6:
	v_lshlrev_b32_e32 v0, 2, v0
	global_load_b32 v2, v0, s[4:5]
.LBB107_7:
	s_or_b32 exec_lo, exec_lo, s1
	s_add_u32 s1, s6, s2
	s_addc_u32 s2, s7, s3
	v_add_co_u32 v3, s1, s1, v3
	s_delay_alu instid0(VALU_DEP_1)
	v_add_co_ci_u32_e64 v4, null, s2, 0, s1
	s_and_saveexec_b32 s1, vcc_lo
	s_cbranch_execz .LBB107_9
; %bb.8:
	s_waitcnt vmcnt(0)
	global_store_b32 v[3:4], v1, off
.LBB107_9:
	s_or_b32 exec_lo, exec_lo, s1
	s_and_saveexec_b32 s1, s0
	s_cbranch_execz .LBB107_11
; %bb.10:
	v_add_co_u32 v0, vcc_lo, 0x1000, v3
	s_waitcnt vmcnt(0)
	v_add_co_ci_u32_e32 v1, vcc_lo, 0, v4, vcc_lo
	global_store_b32 v[0:1], v2, off
.LBB107_11:
	s_nop 0
	s_sendmsg sendmsg(MSG_DEALLOC_VGPRS)
	s_endpgm
	.section	.rodata,"a",@progbits
	.p2align	6, 0x0
	.amdhsa_kernel _ZN7rocprim17ROCPRIM_400000_NS6detail17trampoline_kernelINS0_14default_configENS1_25transform_config_selectorIfLb1EEEZNS1_14transform_implILb1ES3_S5_PfS7_NS0_8identityIfEEEE10hipError_tT2_T3_mT4_P12ihipStream_tbEUlT_E_NS1_11comp_targetILNS1_3genE9ELNS1_11target_archE1100ELNS1_3gpuE3ELNS1_3repE0EEENS1_30default_config_static_selectorELNS0_4arch9wavefront6targetE0EEEvT1_
		.amdhsa_group_segment_fixed_size 0
		.amdhsa_private_segment_fixed_size 0
		.amdhsa_kernarg_size 296
		.amdhsa_user_sgpr_count 15
		.amdhsa_user_sgpr_dispatch_ptr 0
		.amdhsa_user_sgpr_queue_ptr 0
		.amdhsa_user_sgpr_kernarg_segment_ptr 1
		.amdhsa_user_sgpr_dispatch_id 0
		.amdhsa_user_sgpr_private_segment_size 0
		.amdhsa_wavefront_size32 1
		.amdhsa_uses_dynamic_stack 0
		.amdhsa_enable_private_segment 0
		.amdhsa_system_sgpr_workgroup_id_x 1
		.amdhsa_system_sgpr_workgroup_id_y 0
		.amdhsa_system_sgpr_workgroup_id_z 0
		.amdhsa_system_sgpr_workgroup_info 0
		.amdhsa_system_vgpr_workitem_id 0
		.amdhsa_next_free_vgpr 5
		.amdhsa_next_free_sgpr 16
		.amdhsa_reserve_vcc 1
		.amdhsa_float_round_mode_32 0
		.amdhsa_float_round_mode_16_64 0
		.amdhsa_float_denorm_mode_32 3
		.amdhsa_float_denorm_mode_16_64 3
		.amdhsa_dx10_clamp 1
		.amdhsa_ieee_mode 1
		.amdhsa_fp16_overflow 0
		.amdhsa_workgroup_processor_mode 1
		.amdhsa_memory_ordered 1
		.amdhsa_forward_progress 0
		.amdhsa_shared_vgpr_count 0
		.amdhsa_exception_fp_ieee_invalid_op 0
		.amdhsa_exception_fp_denorm_src 0
		.amdhsa_exception_fp_ieee_div_zero 0
		.amdhsa_exception_fp_ieee_overflow 0
		.amdhsa_exception_fp_ieee_underflow 0
		.amdhsa_exception_fp_ieee_inexact 0
		.amdhsa_exception_int_div_zero 0
	.end_amdhsa_kernel
	.section	.text._ZN7rocprim17ROCPRIM_400000_NS6detail17trampoline_kernelINS0_14default_configENS1_25transform_config_selectorIfLb1EEEZNS1_14transform_implILb1ES3_S5_PfS7_NS0_8identityIfEEEE10hipError_tT2_T3_mT4_P12ihipStream_tbEUlT_E_NS1_11comp_targetILNS1_3genE9ELNS1_11target_archE1100ELNS1_3gpuE3ELNS1_3repE0EEENS1_30default_config_static_selectorELNS0_4arch9wavefront6targetE0EEEvT1_,"axG",@progbits,_ZN7rocprim17ROCPRIM_400000_NS6detail17trampoline_kernelINS0_14default_configENS1_25transform_config_selectorIfLb1EEEZNS1_14transform_implILb1ES3_S5_PfS7_NS0_8identityIfEEEE10hipError_tT2_T3_mT4_P12ihipStream_tbEUlT_E_NS1_11comp_targetILNS1_3genE9ELNS1_11target_archE1100ELNS1_3gpuE3ELNS1_3repE0EEENS1_30default_config_static_selectorELNS0_4arch9wavefront6targetE0EEEvT1_,comdat
.Lfunc_end107:
	.size	_ZN7rocprim17ROCPRIM_400000_NS6detail17trampoline_kernelINS0_14default_configENS1_25transform_config_selectorIfLb1EEEZNS1_14transform_implILb1ES3_S5_PfS7_NS0_8identityIfEEEE10hipError_tT2_T3_mT4_P12ihipStream_tbEUlT_E_NS1_11comp_targetILNS1_3genE9ELNS1_11target_archE1100ELNS1_3gpuE3ELNS1_3repE0EEENS1_30default_config_static_selectorELNS0_4arch9wavefront6targetE0EEEvT1_, .Lfunc_end107-_ZN7rocprim17ROCPRIM_400000_NS6detail17trampoline_kernelINS0_14default_configENS1_25transform_config_selectorIfLb1EEEZNS1_14transform_implILb1ES3_S5_PfS7_NS0_8identityIfEEEE10hipError_tT2_T3_mT4_P12ihipStream_tbEUlT_E_NS1_11comp_targetILNS1_3genE9ELNS1_11target_archE1100ELNS1_3gpuE3ELNS1_3repE0EEENS1_30default_config_static_selectorELNS0_4arch9wavefront6targetE0EEEvT1_
                                        ; -- End function
	.section	.AMDGPU.csdata,"",@progbits
; Kernel info:
; codeLenInByte = 304
; NumSgprs: 18
; NumVgprs: 5
; ScratchSize: 0
; MemoryBound: 0
; FloatMode: 240
; IeeeMode: 1
; LDSByteSize: 0 bytes/workgroup (compile time only)
; SGPRBlocks: 2
; VGPRBlocks: 0
; NumSGPRsForWavesPerEU: 18
; NumVGPRsForWavesPerEU: 5
; Occupancy: 16
; WaveLimiterHint : 0
; COMPUTE_PGM_RSRC2:SCRATCH_EN: 0
; COMPUTE_PGM_RSRC2:USER_SGPR: 15
; COMPUTE_PGM_RSRC2:TRAP_HANDLER: 0
; COMPUTE_PGM_RSRC2:TGID_X_EN: 1
; COMPUTE_PGM_RSRC2:TGID_Y_EN: 0
; COMPUTE_PGM_RSRC2:TGID_Z_EN: 0
; COMPUTE_PGM_RSRC2:TIDIG_COMP_CNT: 0
	.section	.text._ZN7rocprim17ROCPRIM_400000_NS6detail17trampoline_kernelINS0_14default_configENS1_25transform_config_selectorIfLb1EEEZNS1_14transform_implILb1ES3_S5_PfS7_NS0_8identityIfEEEE10hipError_tT2_T3_mT4_P12ihipStream_tbEUlT_E_NS1_11comp_targetILNS1_3genE8ELNS1_11target_archE1030ELNS1_3gpuE2ELNS1_3repE0EEENS1_30default_config_static_selectorELNS0_4arch9wavefront6targetE0EEEvT1_,"axG",@progbits,_ZN7rocprim17ROCPRIM_400000_NS6detail17trampoline_kernelINS0_14default_configENS1_25transform_config_selectorIfLb1EEEZNS1_14transform_implILb1ES3_S5_PfS7_NS0_8identityIfEEEE10hipError_tT2_T3_mT4_P12ihipStream_tbEUlT_E_NS1_11comp_targetILNS1_3genE8ELNS1_11target_archE1030ELNS1_3gpuE2ELNS1_3repE0EEENS1_30default_config_static_selectorELNS0_4arch9wavefront6targetE0EEEvT1_,comdat
	.protected	_ZN7rocprim17ROCPRIM_400000_NS6detail17trampoline_kernelINS0_14default_configENS1_25transform_config_selectorIfLb1EEEZNS1_14transform_implILb1ES3_S5_PfS7_NS0_8identityIfEEEE10hipError_tT2_T3_mT4_P12ihipStream_tbEUlT_E_NS1_11comp_targetILNS1_3genE8ELNS1_11target_archE1030ELNS1_3gpuE2ELNS1_3repE0EEENS1_30default_config_static_selectorELNS0_4arch9wavefront6targetE0EEEvT1_ ; -- Begin function _ZN7rocprim17ROCPRIM_400000_NS6detail17trampoline_kernelINS0_14default_configENS1_25transform_config_selectorIfLb1EEEZNS1_14transform_implILb1ES3_S5_PfS7_NS0_8identityIfEEEE10hipError_tT2_T3_mT4_P12ihipStream_tbEUlT_E_NS1_11comp_targetILNS1_3genE8ELNS1_11target_archE1030ELNS1_3gpuE2ELNS1_3repE0EEENS1_30default_config_static_selectorELNS0_4arch9wavefront6targetE0EEEvT1_
	.globl	_ZN7rocprim17ROCPRIM_400000_NS6detail17trampoline_kernelINS0_14default_configENS1_25transform_config_selectorIfLb1EEEZNS1_14transform_implILb1ES3_S5_PfS7_NS0_8identityIfEEEE10hipError_tT2_T3_mT4_P12ihipStream_tbEUlT_E_NS1_11comp_targetILNS1_3genE8ELNS1_11target_archE1030ELNS1_3gpuE2ELNS1_3repE0EEENS1_30default_config_static_selectorELNS0_4arch9wavefront6targetE0EEEvT1_
	.p2align	8
	.type	_ZN7rocprim17ROCPRIM_400000_NS6detail17trampoline_kernelINS0_14default_configENS1_25transform_config_selectorIfLb1EEEZNS1_14transform_implILb1ES3_S5_PfS7_NS0_8identityIfEEEE10hipError_tT2_T3_mT4_P12ihipStream_tbEUlT_E_NS1_11comp_targetILNS1_3genE8ELNS1_11target_archE1030ELNS1_3gpuE2ELNS1_3repE0EEENS1_30default_config_static_selectorELNS0_4arch9wavefront6targetE0EEEvT1_,@function
_ZN7rocprim17ROCPRIM_400000_NS6detail17trampoline_kernelINS0_14default_configENS1_25transform_config_selectorIfLb1EEEZNS1_14transform_implILb1ES3_S5_PfS7_NS0_8identityIfEEEE10hipError_tT2_T3_mT4_P12ihipStream_tbEUlT_E_NS1_11comp_targetILNS1_3genE8ELNS1_11target_archE1030ELNS1_3gpuE2ELNS1_3repE0EEENS1_30default_config_static_selectorELNS0_4arch9wavefront6targetE0EEEvT1_: ; @_ZN7rocprim17ROCPRIM_400000_NS6detail17trampoline_kernelINS0_14default_configENS1_25transform_config_selectorIfLb1EEEZNS1_14transform_implILb1ES3_S5_PfS7_NS0_8identityIfEEEE10hipError_tT2_T3_mT4_P12ihipStream_tbEUlT_E_NS1_11comp_targetILNS1_3genE8ELNS1_11target_archE1030ELNS1_3gpuE2ELNS1_3repE0EEENS1_30default_config_static_selectorELNS0_4arch9wavefront6targetE0EEEvT1_
; %bb.0:
	.section	.rodata,"a",@progbits
	.p2align	6, 0x0
	.amdhsa_kernel _ZN7rocprim17ROCPRIM_400000_NS6detail17trampoline_kernelINS0_14default_configENS1_25transform_config_selectorIfLb1EEEZNS1_14transform_implILb1ES3_S5_PfS7_NS0_8identityIfEEEE10hipError_tT2_T3_mT4_P12ihipStream_tbEUlT_E_NS1_11comp_targetILNS1_3genE8ELNS1_11target_archE1030ELNS1_3gpuE2ELNS1_3repE0EEENS1_30default_config_static_selectorELNS0_4arch9wavefront6targetE0EEEvT1_
		.amdhsa_group_segment_fixed_size 0
		.amdhsa_private_segment_fixed_size 0
		.amdhsa_kernarg_size 40
		.amdhsa_user_sgpr_count 15
		.amdhsa_user_sgpr_dispatch_ptr 0
		.amdhsa_user_sgpr_queue_ptr 0
		.amdhsa_user_sgpr_kernarg_segment_ptr 1
		.amdhsa_user_sgpr_dispatch_id 0
		.amdhsa_user_sgpr_private_segment_size 0
		.amdhsa_wavefront_size32 1
		.amdhsa_uses_dynamic_stack 0
		.amdhsa_enable_private_segment 0
		.amdhsa_system_sgpr_workgroup_id_x 1
		.amdhsa_system_sgpr_workgroup_id_y 0
		.amdhsa_system_sgpr_workgroup_id_z 0
		.amdhsa_system_sgpr_workgroup_info 0
		.amdhsa_system_vgpr_workitem_id 0
		.amdhsa_next_free_vgpr 1
		.amdhsa_next_free_sgpr 1
		.amdhsa_reserve_vcc 0
		.amdhsa_float_round_mode_32 0
		.amdhsa_float_round_mode_16_64 0
		.amdhsa_float_denorm_mode_32 3
		.amdhsa_float_denorm_mode_16_64 3
		.amdhsa_dx10_clamp 1
		.amdhsa_ieee_mode 1
		.amdhsa_fp16_overflow 0
		.amdhsa_workgroup_processor_mode 1
		.amdhsa_memory_ordered 1
		.amdhsa_forward_progress 0
		.amdhsa_shared_vgpr_count 0
		.amdhsa_exception_fp_ieee_invalid_op 0
		.amdhsa_exception_fp_denorm_src 0
		.amdhsa_exception_fp_ieee_div_zero 0
		.amdhsa_exception_fp_ieee_overflow 0
		.amdhsa_exception_fp_ieee_underflow 0
		.amdhsa_exception_fp_ieee_inexact 0
		.amdhsa_exception_int_div_zero 0
	.end_amdhsa_kernel
	.section	.text._ZN7rocprim17ROCPRIM_400000_NS6detail17trampoline_kernelINS0_14default_configENS1_25transform_config_selectorIfLb1EEEZNS1_14transform_implILb1ES3_S5_PfS7_NS0_8identityIfEEEE10hipError_tT2_T3_mT4_P12ihipStream_tbEUlT_E_NS1_11comp_targetILNS1_3genE8ELNS1_11target_archE1030ELNS1_3gpuE2ELNS1_3repE0EEENS1_30default_config_static_selectorELNS0_4arch9wavefront6targetE0EEEvT1_,"axG",@progbits,_ZN7rocprim17ROCPRIM_400000_NS6detail17trampoline_kernelINS0_14default_configENS1_25transform_config_selectorIfLb1EEEZNS1_14transform_implILb1ES3_S5_PfS7_NS0_8identityIfEEEE10hipError_tT2_T3_mT4_P12ihipStream_tbEUlT_E_NS1_11comp_targetILNS1_3genE8ELNS1_11target_archE1030ELNS1_3gpuE2ELNS1_3repE0EEENS1_30default_config_static_selectorELNS0_4arch9wavefront6targetE0EEEvT1_,comdat
.Lfunc_end108:
	.size	_ZN7rocprim17ROCPRIM_400000_NS6detail17trampoline_kernelINS0_14default_configENS1_25transform_config_selectorIfLb1EEEZNS1_14transform_implILb1ES3_S5_PfS7_NS0_8identityIfEEEE10hipError_tT2_T3_mT4_P12ihipStream_tbEUlT_E_NS1_11comp_targetILNS1_3genE8ELNS1_11target_archE1030ELNS1_3gpuE2ELNS1_3repE0EEENS1_30default_config_static_selectorELNS0_4arch9wavefront6targetE0EEEvT1_, .Lfunc_end108-_ZN7rocprim17ROCPRIM_400000_NS6detail17trampoline_kernelINS0_14default_configENS1_25transform_config_selectorIfLb1EEEZNS1_14transform_implILb1ES3_S5_PfS7_NS0_8identityIfEEEE10hipError_tT2_T3_mT4_P12ihipStream_tbEUlT_E_NS1_11comp_targetILNS1_3genE8ELNS1_11target_archE1030ELNS1_3gpuE2ELNS1_3repE0EEENS1_30default_config_static_selectorELNS0_4arch9wavefront6targetE0EEEvT1_
                                        ; -- End function
	.section	.AMDGPU.csdata,"",@progbits
; Kernel info:
; codeLenInByte = 0
; NumSgprs: 0
; NumVgprs: 0
; ScratchSize: 0
; MemoryBound: 0
; FloatMode: 240
; IeeeMode: 1
; LDSByteSize: 0 bytes/workgroup (compile time only)
; SGPRBlocks: 0
; VGPRBlocks: 0
; NumSGPRsForWavesPerEU: 1
; NumVGPRsForWavesPerEU: 1
; Occupancy: 16
; WaveLimiterHint : 0
; COMPUTE_PGM_RSRC2:SCRATCH_EN: 0
; COMPUTE_PGM_RSRC2:USER_SGPR: 15
; COMPUTE_PGM_RSRC2:TRAP_HANDLER: 0
; COMPUTE_PGM_RSRC2:TGID_X_EN: 1
; COMPUTE_PGM_RSRC2:TGID_Y_EN: 0
; COMPUTE_PGM_RSRC2:TGID_Z_EN: 0
; COMPUTE_PGM_RSRC2:TIDIG_COMP_CNT: 0
	.section	.text._ZN7rocprim17ROCPRIM_400000_NS6detail17trampoline_kernelINS0_14default_configENS1_20scan_config_selectorIfEEZZNS1_9scan_implILNS1_25lookback_scan_determinismE0ELb0ELb0ES3_PKfPffZZZN2at6native31launch_logcumsumexp_cuda_kernelERKNSB_10TensorBaseESF_lENKUlvE_clEvENKUlvE0_clEvEUlffE_fEEDaPvRmT3_T4_T5_mT6_P12ihipStream_tbENKUlT_T0_E_clISt17integral_constantIbLb0EESW_EEDaSR_SS_EUlSR_E0_NS1_11comp_targetILNS1_3genE0ELNS1_11target_archE4294967295ELNS1_3gpuE0ELNS1_3repE0EEENS1_30default_config_static_selectorELNS0_4arch9wavefront6targetE0EEEvT1_,"axG",@progbits,_ZN7rocprim17ROCPRIM_400000_NS6detail17trampoline_kernelINS0_14default_configENS1_20scan_config_selectorIfEEZZNS1_9scan_implILNS1_25lookback_scan_determinismE0ELb0ELb0ES3_PKfPffZZZN2at6native31launch_logcumsumexp_cuda_kernelERKNSB_10TensorBaseESF_lENKUlvE_clEvENKUlvE0_clEvEUlffE_fEEDaPvRmT3_T4_T5_mT6_P12ihipStream_tbENKUlT_T0_E_clISt17integral_constantIbLb0EESW_EEDaSR_SS_EUlSR_E0_NS1_11comp_targetILNS1_3genE0ELNS1_11target_archE4294967295ELNS1_3gpuE0ELNS1_3repE0EEENS1_30default_config_static_selectorELNS0_4arch9wavefront6targetE0EEEvT1_,comdat
	.globl	_ZN7rocprim17ROCPRIM_400000_NS6detail17trampoline_kernelINS0_14default_configENS1_20scan_config_selectorIfEEZZNS1_9scan_implILNS1_25lookback_scan_determinismE0ELb0ELb0ES3_PKfPffZZZN2at6native31launch_logcumsumexp_cuda_kernelERKNSB_10TensorBaseESF_lENKUlvE_clEvENKUlvE0_clEvEUlffE_fEEDaPvRmT3_T4_T5_mT6_P12ihipStream_tbENKUlT_T0_E_clISt17integral_constantIbLb0EESW_EEDaSR_SS_EUlSR_E0_NS1_11comp_targetILNS1_3genE0ELNS1_11target_archE4294967295ELNS1_3gpuE0ELNS1_3repE0EEENS1_30default_config_static_selectorELNS0_4arch9wavefront6targetE0EEEvT1_ ; -- Begin function _ZN7rocprim17ROCPRIM_400000_NS6detail17trampoline_kernelINS0_14default_configENS1_20scan_config_selectorIfEEZZNS1_9scan_implILNS1_25lookback_scan_determinismE0ELb0ELb0ES3_PKfPffZZZN2at6native31launch_logcumsumexp_cuda_kernelERKNSB_10TensorBaseESF_lENKUlvE_clEvENKUlvE0_clEvEUlffE_fEEDaPvRmT3_T4_T5_mT6_P12ihipStream_tbENKUlT_T0_E_clISt17integral_constantIbLb0EESW_EEDaSR_SS_EUlSR_E0_NS1_11comp_targetILNS1_3genE0ELNS1_11target_archE4294967295ELNS1_3gpuE0ELNS1_3repE0EEENS1_30default_config_static_selectorELNS0_4arch9wavefront6targetE0EEEvT1_
	.p2align	8
	.type	_ZN7rocprim17ROCPRIM_400000_NS6detail17trampoline_kernelINS0_14default_configENS1_20scan_config_selectorIfEEZZNS1_9scan_implILNS1_25lookback_scan_determinismE0ELb0ELb0ES3_PKfPffZZZN2at6native31launch_logcumsumexp_cuda_kernelERKNSB_10TensorBaseESF_lENKUlvE_clEvENKUlvE0_clEvEUlffE_fEEDaPvRmT3_T4_T5_mT6_P12ihipStream_tbENKUlT_T0_E_clISt17integral_constantIbLb0EESW_EEDaSR_SS_EUlSR_E0_NS1_11comp_targetILNS1_3genE0ELNS1_11target_archE4294967295ELNS1_3gpuE0ELNS1_3repE0EEENS1_30default_config_static_selectorELNS0_4arch9wavefront6targetE0EEEvT1_,@function
_ZN7rocprim17ROCPRIM_400000_NS6detail17trampoline_kernelINS0_14default_configENS1_20scan_config_selectorIfEEZZNS1_9scan_implILNS1_25lookback_scan_determinismE0ELb0ELb0ES3_PKfPffZZZN2at6native31launch_logcumsumexp_cuda_kernelERKNSB_10TensorBaseESF_lENKUlvE_clEvENKUlvE0_clEvEUlffE_fEEDaPvRmT3_T4_T5_mT6_P12ihipStream_tbENKUlT_T0_E_clISt17integral_constantIbLb0EESW_EEDaSR_SS_EUlSR_E0_NS1_11comp_targetILNS1_3genE0ELNS1_11target_archE4294967295ELNS1_3gpuE0ELNS1_3repE0EEENS1_30default_config_static_selectorELNS0_4arch9wavefront6targetE0EEEvT1_: ; @_ZN7rocprim17ROCPRIM_400000_NS6detail17trampoline_kernelINS0_14default_configENS1_20scan_config_selectorIfEEZZNS1_9scan_implILNS1_25lookback_scan_determinismE0ELb0ELb0ES3_PKfPffZZZN2at6native31launch_logcumsumexp_cuda_kernelERKNSB_10TensorBaseESF_lENKUlvE_clEvENKUlvE0_clEvEUlffE_fEEDaPvRmT3_T4_T5_mT6_P12ihipStream_tbENKUlT_T0_E_clISt17integral_constantIbLb0EESW_EEDaSR_SS_EUlSR_E0_NS1_11comp_targetILNS1_3genE0ELNS1_11target_archE4294967295ELNS1_3gpuE0ELNS1_3repE0EEENS1_30default_config_static_selectorELNS0_4arch9wavefront6targetE0EEEvT1_
; %bb.0:
	.section	.rodata,"a",@progbits
	.p2align	6, 0x0
	.amdhsa_kernel _ZN7rocprim17ROCPRIM_400000_NS6detail17trampoline_kernelINS0_14default_configENS1_20scan_config_selectorIfEEZZNS1_9scan_implILNS1_25lookback_scan_determinismE0ELb0ELb0ES3_PKfPffZZZN2at6native31launch_logcumsumexp_cuda_kernelERKNSB_10TensorBaseESF_lENKUlvE_clEvENKUlvE0_clEvEUlffE_fEEDaPvRmT3_T4_T5_mT6_P12ihipStream_tbENKUlT_T0_E_clISt17integral_constantIbLb0EESW_EEDaSR_SS_EUlSR_E0_NS1_11comp_targetILNS1_3genE0ELNS1_11target_archE4294967295ELNS1_3gpuE0ELNS1_3repE0EEENS1_30default_config_static_selectorELNS0_4arch9wavefront6targetE0EEEvT1_
		.amdhsa_group_segment_fixed_size 0
		.amdhsa_private_segment_fixed_size 0
		.amdhsa_kernarg_size 32
		.amdhsa_user_sgpr_count 15
		.amdhsa_user_sgpr_dispatch_ptr 0
		.amdhsa_user_sgpr_queue_ptr 0
		.amdhsa_user_sgpr_kernarg_segment_ptr 1
		.amdhsa_user_sgpr_dispatch_id 0
		.amdhsa_user_sgpr_private_segment_size 0
		.amdhsa_wavefront_size32 1
		.amdhsa_uses_dynamic_stack 0
		.amdhsa_enable_private_segment 0
		.amdhsa_system_sgpr_workgroup_id_x 1
		.amdhsa_system_sgpr_workgroup_id_y 0
		.amdhsa_system_sgpr_workgroup_id_z 0
		.amdhsa_system_sgpr_workgroup_info 0
		.amdhsa_system_vgpr_workitem_id 0
		.amdhsa_next_free_vgpr 1
		.amdhsa_next_free_sgpr 1
		.amdhsa_reserve_vcc 0
		.amdhsa_float_round_mode_32 0
		.amdhsa_float_round_mode_16_64 0
		.amdhsa_float_denorm_mode_32 3
		.amdhsa_float_denorm_mode_16_64 3
		.amdhsa_dx10_clamp 1
		.amdhsa_ieee_mode 1
		.amdhsa_fp16_overflow 0
		.amdhsa_workgroup_processor_mode 1
		.amdhsa_memory_ordered 1
		.amdhsa_forward_progress 0
		.amdhsa_shared_vgpr_count 0
		.amdhsa_exception_fp_ieee_invalid_op 0
		.amdhsa_exception_fp_denorm_src 0
		.amdhsa_exception_fp_ieee_div_zero 0
		.amdhsa_exception_fp_ieee_overflow 0
		.amdhsa_exception_fp_ieee_underflow 0
		.amdhsa_exception_fp_ieee_inexact 0
		.amdhsa_exception_int_div_zero 0
	.end_amdhsa_kernel
	.section	.text._ZN7rocprim17ROCPRIM_400000_NS6detail17trampoline_kernelINS0_14default_configENS1_20scan_config_selectorIfEEZZNS1_9scan_implILNS1_25lookback_scan_determinismE0ELb0ELb0ES3_PKfPffZZZN2at6native31launch_logcumsumexp_cuda_kernelERKNSB_10TensorBaseESF_lENKUlvE_clEvENKUlvE0_clEvEUlffE_fEEDaPvRmT3_T4_T5_mT6_P12ihipStream_tbENKUlT_T0_E_clISt17integral_constantIbLb0EESW_EEDaSR_SS_EUlSR_E0_NS1_11comp_targetILNS1_3genE0ELNS1_11target_archE4294967295ELNS1_3gpuE0ELNS1_3repE0EEENS1_30default_config_static_selectorELNS0_4arch9wavefront6targetE0EEEvT1_,"axG",@progbits,_ZN7rocprim17ROCPRIM_400000_NS6detail17trampoline_kernelINS0_14default_configENS1_20scan_config_selectorIfEEZZNS1_9scan_implILNS1_25lookback_scan_determinismE0ELb0ELb0ES3_PKfPffZZZN2at6native31launch_logcumsumexp_cuda_kernelERKNSB_10TensorBaseESF_lENKUlvE_clEvENKUlvE0_clEvEUlffE_fEEDaPvRmT3_T4_T5_mT6_P12ihipStream_tbENKUlT_T0_E_clISt17integral_constantIbLb0EESW_EEDaSR_SS_EUlSR_E0_NS1_11comp_targetILNS1_3genE0ELNS1_11target_archE4294967295ELNS1_3gpuE0ELNS1_3repE0EEENS1_30default_config_static_selectorELNS0_4arch9wavefront6targetE0EEEvT1_,comdat
.Lfunc_end109:
	.size	_ZN7rocprim17ROCPRIM_400000_NS6detail17trampoline_kernelINS0_14default_configENS1_20scan_config_selectorIfEEZZNS1_9scan_implILNS1_25lookback_scan_determinismE0ELb0ELb0ES3_PKfPffZZZN2at6native31launch_logcumsumexp_cuda_kernelERKNSB_10TensorBaseESF_lENKUlvE_clEvENKUlvE0_clEvEUlffE_fEEDaPvRmT3_T4_T5_mT6_P12ihipStream_tbENKUlT_T0_E_clISt17integral_constantIbLb0EESW_EEDaSR_SS_EUlSR_E0_NS1_11comp_targetILNS1_3genE0ELNS1_11target_archE4294967295ELNS1_3gpuE0ELNS1_3repE0EEENS1_30default_config_static_selectorELNS0_4arch9wavefront6targetE0EEEvT1_, .Lfunc_end109-_ZN7rocprim17ROCPRIM_400000_NS6detail17trampoline_kernelINS0_14default_configENS1_20scan_config_selectorIfEEZZNS1_9scan_implILNS1_25lookback_scan_determinismE0ELb0ELb0ES3_PKfPffZZZN2at6native31launch_logcumsumexp_cuda_kernelERKNSB_10TensorBaseESF_lENKUlvE_clEvENKUlvE0_clEvEUlffE_fEEDaPvRmT3_T4_T5_mT6_P12ihipStream_tbENKUlT_T0_E_clISt17integral_constantIbLb0EESW_EEDaSR_SS_EUlSR_E0_NS1_11comp_targetILNS1_3genE0ELNS1_11target_archE4294967295ELNS1_3gpuE0ELNS1_3repE0EEENS1_30default_config_static_selectorELNS0_4arch9wavefront6targetE0EEEvT1_
                                        ; -- End function
	.section	.AMDGPU.csdata,"",@progbits
; Kernel info:
; codeLenInByte = 0
; NumSgprs: 0
; NumVgprs: 0
; ScratchSize: 0
; MemoryBound: 0
; FloatMode: 240
; IeeeMode: 1
; LDSByteSize: 0 bytes/workgroup (compile time only)
; SGPRBlocks: 0
; VGPRBlocks: 0
; NumSGPRsForWavesPerEU: 1
; NumVGPRsForWavesPerEU: 1
; Occupancy: 16
; WaveLimiterHint : 0
; COMPUTE_PGM_RSRC2:SCRATCH_EN: 0
; COMPUTE_PGM_RSRC2:USER_SGPR: 15
; COMPUTE_PGM_RSRC2:TRAP_HANDLER: 0
; COMPUTE_PGM_RSRC2:TGID_X_EN: 1
; COMPUTE_PGM_RSRC2:TGID_Y_EN: 0
; COMPUTE_PGM_RSRC2:TGID_Z_EN: 0
; COMPUTE_PGM_RSRC2:TIDIG_COMP_CNT: 0
	.section	.text._ZN7rocprim17ROCPRIM_400000_NS6detail17trampoline_kernelINS0_14default_configENS1_20scan_config_selectorIfEEZZNS1_9scan_implILNS1_25lookback_scan_determinismE0ELb0ELb0ES3_PKfPffZZZN2at6native31launch_logcumsumexp_cuda_kernelERKNSB_10TensorBaseESF_lENKUlvE_clEvENKUlvE0_clEvEUlffE_fEEDaPvRmT3_T4_T5_mT6_P12ihipStream_tbENKUlT_T0_E_clISt17integral_constantIbLb0EESW_EEDaSR_SS_EUlSR_E0_NS1_11comp_targetILNS1_3genE5ELNS1_11target_archE942ELNS1_3gpuE9ELNS1_3repE0EEENS1_30default_config_static_selectorELNS0_4arch9wavefront6targetE0EEEvT1_,"axG",@progbits,_ZN7rocprim17ROCPRIM_400000_NS6detail17trampoline_kernelINS0_14default_configENS1_20scan_config_selectorIfEEZZNS1_9scan_implILNS1_25lookback_scan_determinismE0ELb0ELb0ES3_PKfPffZZZN2at6native31launch_logcumsumexp_cuda_kernelERKNSB_10TensorBaseESF_lENKUlvE_clEvENKUlvE0_clEvEUlffE_fEEDaPvRmT3_T4_T5_mT6_P12ihipStream_tbENKUlT_T0_E_clISt17integral_constantIbLb0EESW_EEDaSR_SS_EUlSR_E0_NS1_11comp_targetILNS1_3genE5ELNS1_11target_archE942ELNS1_3gpuE9ELNS1_3repE0EEENS1_30default_config_static_selectorELNS0_4arch9wavefront6targetE0EEEvT1_,comdat
	.globl	_ZN7rocprim17ROCPRIM_400000_NS6detail17trampoline_kernelINS0_14default_configENS1_20scan_config_selectorIfEEZZNS1_9scan_implILNS1_25lookback_scan_determinismE0ELb0ELb0ES3_PKfPffZZZN2at6native31launch_logcumsumexp_cuda_kernelERKNSB_10TensorBaseESF_lENKUlvE_clEvENKUlvE0_clEvEUlffE_fEEDaPvRmT3_T4_T5_mT6_P12ihipStream_tbENKUlT_T0_E_clISt17integral_constantIbLb0EESW_EEDaSR_SS_EUlSR_E0_NS1_11comp_targetILNS1_3genE5ELNS1_11target_archE942ELNS1_3gpuE9ELNS1_3repE0EEENS1_30default_config_static_selectorELNS0_4arch9wavefront6targetE0EEEvT1_ ; -- Begin function _ZN7rocprim17ROCPRIM_400000_NS6detail17trampoline_kernelINS0_14default_configENS1_20scan_config_selectorIfEEZZNS1_9scan_implILNS1_25lookback_scan_determinismE0ELb0ELb0ES3_PKfPffZZZN2at6native31launch_logcumsumexp_cuda_kernelERKNSB_10TensorBaseESF_lENKUlvE_clEvENKUlvE0_clEvEUlffE_fEEDaPvRmT3_T4_T5_mT6_P12ihipStream_tbENKUlT_T0_E_clISt17integral_constantIbLb0EESW_EEDaSR_SS_EUlSR_E0_NS1_11comp_targetILNS1_3genE5ELNS1_11target_archE942ELNS1_3gpuE9ELNS1_3repE0EEENS1_30default_config_static_selectorELNS0_4arch9wavefront6targetE0EEEvT1_
	.p2align	8
	.type	_ZN7rocprim17ROCPRIM_400000_NS6detail17trampoline_kernelINS0_14default_configENS1_20scan_config_selectorIfEEZZNS1_9scan_implILNS1_25lookback_scan_determinismE0ELb0ELb0ES3_PKfPffZZZN2at6native31launch_logcumsumexp_cuda_kernelERKNSB_10TensorBaseESF_lENKUlvE_clEvENKUlvE0_clEvEUlffE_fEEDaPvRmT3_T4_T5_mT6_P12ihipStream_tbENKUlT_T0_E_clISt17integral_constantIbLb0EESW_EEDaSR_SS_EUlSR_E0_NS1_11comp_targetILNS1_3genE5ELNS1_11target_archE942ELNS1_3gpuE9ELNS1_3repE0EEENS1_30default_config_static_selectorELNS0_4arch9wavefront6targetE0EEEvT1_,@function
_ZN7rocprim17ROCPRIM_400000_NS6detail17trampoline_kernelINS0_14default_configENS1_20scan_config_selectorIfEEZZNS1_9scan_implILNS1_25lookback_scan_determinismE0ELb0ELb0ES3_PKfPffZZZN2at6native31launch_logcumsumexp_cuda_kernelERKNSB_10TensorBaseESF_lENKUlvE_clEvENKUlvE0_clEvEUlffE_fEEDaPvRmT3_T4_T5_mT6_P12ihipStream_tbENKUlT_T0_E_clISt17integral_constantIbLb0EESW_EEDaSR_SS_EUlSR_E0_NS1_11comp_targetILNS1_3genE5ELNS1_11target_archE942ELNS1_3gpuE9ELNS1_3repE0EEENS1_30default_config_static_selectorELNS0_4arch9wavefront6targetE0EEEvT1_: ; @_ZN7rocprim17ROCPRIM_400000_NS6detail17trampoline_kernelINS0_14default_configENS1_20scan_config_selectorIfEEZZNS1_9scan_implILNS1_25lookback_scan_determinismE0ELb0ELb0ES3_PKfPffZZZN2at6native31launch_logcumsumexp_cuda_kernelERKNSB_10TensorBaseESF_lENKUlvE_clEvENKUlvE0_clEvEUlffE_fEEDaPvRmT3_T4_T5_mT6_P12ihipStream_tbENKUlT_T0_E_clISt17integral_constantIbLb0EESW_EEDaSR_SS_EUlSR_E0_NS1_11comp_targetILNS1_3genE5ELNS1_11target_archE942ELNS1_3gpuE9ELNS1_3repE0EEENS1_30default_config_static_selectorELNS0_4arch9wavefront6targetE0EEEvT1_
; %bb.0:
	.section	.rodata,"a",@progbits
	.p2align	6, 0x0
	.amdhsa_kernel _ZN7rocprim17ROCPRIM_400000_NS6detail17trampoline_kernelINS0_14default_configENS1_20scan_config_selectorIfEEZZNS1_9scan_implILNS1_25lookback_scan_determinismE0ELb0ELb0ES3_PKfPffZZZN2at6native31launch_logcumsumexp_cuda_kernelERKNSB_10TensorBaseESF_lENKUlvE_clEvENKUlvE0_clEvEUlffE_fEEDaPvRmT3_T4_T5_mT6_P12ihipStream_tbENKUlT_T0_E_clISt17integral_constantIbLb0EESW_EEDaSR_SS_EUlSR_E0_NS1_11comp_targetILNS1_3genE5ELNS1_11target_archE942ELNS1_3gpuE9ELNS1_3repE0EEENS1_30default_config_static_selectorELNS0_4arch9wavefront6targetE0EEEvT1_
		.amdhsa_group_segment_fixed_size 0
		.amdhsa_private_segment_fixed_size 0
		.amdhsa_kernarg_size 32
		.amdhsa_user_sgpr_count 15
		.amdhsa_user_sgpr_dispatch_ptr 0
		.amdhsa_user_sgpr_queue_ptr 0
		.amdhsa_user_sgpr_kernarg_segment_ptr 1
		.amdhsa_user_sgpr_dispatch_id 0
		.amdhsa_user_sgpr_private_segment_size 0
		.amdhsa_wavefront_size32 1
		.amdhsa_uses_dynamic_stack 0
		.amdhsa_enable_private_segment 0
		.amdhsa_system_sgpr_workgroup_id_x 1
		.amdhsa_system_sgpr_workgroup_id_y 0
		.amdhsa_system_sgpr_workgroup_id_z 0
		.amdhsa_system_sgpr_workgroup_info 0
		.amdhsa_system_vgpr_workitem_id 0
		.amdhsa_next_free_vgpr 1
		.amdhsa_next_free_sgpr 1
		.amdhsa_reserve_vcc 0
		.amdhsa_float_round_mode_32 0
		.amdhsa_float_round_mode_16_64 0
		.amdhsa_float_denorm_mode_32 3
		.amdhsa_float_denorm_mode_16_64 3
		.amdhsa_dx10_clamp 1
		.amdhsa_ieee_mode 1
		.amdhsa_fp16_overflow 0
		.amdhsa_workgroup_processor_mode 1
		.amdhsa_memory_ordered 1
		.amdhsa_forward_progress 0
		.amdhsa_shared_vgpr_count 0
		.amdhsa_exception_fp_ieee_invalid_op 0
		.amdhsa_exception_fp_denorm_src 0
		.amdhsa_exception_fp_ieee_div_zero 0
		.amdhsa_exception_fp_ieee_overflow 0
		.amdhsa_exception_fp_ieee_underflow 0
		.amdhsa_exception_fp_ieee_inexact 0
		.amdhsa_exception_int_div_zero 0
	.end_amdhsa_kernel
	.section	.text._ZN7rocprim17ROCPRIM_400000_NS6detail17trampoline_kernelINS0_14default_configENS1_20scan_config_selectorIfEEZZNS1_9scan_implILNS1_25lookback_scan_determinismE0ELb0ELb0ES3_PKfPffZZZN2at6native31launch_logcumsumexp_cuda_kernelERKNSB_10TensorBaseESF_lENKUlvE_clEvENKUlvE0_clEvEUlffE_fEEDaPvRmT3_T4_T5_mT6_P12ihipStream_tbENKUlT_T0_E_clISt17integral_constantIbLb0EESW_EEDaSR_SS_EUlSR_E0_NS1_11comp_targetILNS1_3genE5ELNS1_11target_archE942ELNS1_3gpuE9ELNS1_3repE0EEENS1_30default_config_static_selectorELNS0_4arch9wavefront6targetE0EEEvT1_,"axG",@progbits,_ZN7rocprim17ROCPRIM_400000_NS6detail17trampoline_kernelINS0_14default_configENS1_20scan_config_selectorIfEEZZNS1_9scan_implILNS1_25lookback_scan_determinismE0ELb0ELb0ES3_PKfPffZZZN2at6native31launch_logcumsumexp_cuda_kernelERKNSB_10TensorBaseESF_lENKUlvE_clEvENKUlvE0_clEvEUlffE_fEEDaPvRmT3_T4_T5_mT6_P12ihipStream_tbENKUlT_T0_E_clISt17integral_constantIbLb0EESW_EEDaSR_SS_EUlSR_E0_NS1_11comp_targetILNS1_3genE5ELNS1_11target_archE942ELNS1_3gpuE9ELNS1_3repE0EEENS1_30default_config_static_selectorELNS0_4arch9wavefront6targetE0EEEvT1_,comdat
.Lfunc_end110:
	.size	_ZN7rocprim17ROCPRIM_400000_NS6detail17trampoline_kernelINS0_14default_configENS1_20scan_config_selectorIfEEZZNS1_9scan_implILNS1_25lookback_scan_determinismE0ELb0ELb0ES3_PKfPffZZZN2at6native31launch_logcumsumexp_cuda_kernelERKNSB_10TensorBaseESF_lENKUlvE_clEvENKUlvE0_clEvEUlffE_fEEDaPvRmT3_T4_T5_mT6_P12ihipStream_tbENKUlT_T0_E_clISt17integral_constantIbLb0EESW_EEDaSR_SS_EUlSR_E0_NS1_11comp_targetILNS1_3genE5ELNS1_11target_archE942ELNS1_3gpuE9ELNS1_3repE0EEENS1_30default_config_static_selectorELNS0_4arch9wavefront6targetE0EEEvT1_, .Lfunc_end110-_ZN7rocprim17ROCPRIM_400000_NS6detail17trampoline_kernelINS0_14default_configENS1_20scan_config_selectorIfEEZZNS1_9scan_implILNS1_25lookback_scan_determinismE0ELb0ELb0ES3_PKfPffZZZN2at6native31launch_logcumsumexp_cuda_kernelERKNSB_10TensorBaseESF_lENKUlvE_clEvENKUlvE0_clEvEUlffE_fEEDaPvRmT3_T4_T5_mT6_P12ihipStream_tbENKUlT_T0_E_clISt17integral_constantIbLb0EESW_EEDaSR_SS_EUlSR_E0_NS1_11comp_targetILNS1_3genE5ELNS1_11target_archE942ELNS1_3gpuE9ELNS1_3repE0EEENS1_30default_config_static_selectorELNS0_4arch9wavefront6targetE0EEEvT1_
                                        ; -- End function
	.section	.AMDGPU.csdata,"",@progbits
; Kernel info:
; codeLenInByte = 0
; NumSgprs: 0
; NumVgprs: 0
; ScratchSize: 0
; MemoryBound: 0
; FloatMode: 240
; IeeeMode: 1
; LDSByteSize: 0 bytes/workgroup (compile time only)
; SGPRBlocks: 0
; VGPRBlocks: 0
; NumSGPRsForWavesPerEU: 1
; NumVGPRsForWavesPerEU: 1
; Occupancy: 16
; WaveLimiterHint : 0
; COMPUTE_PGM_RSRC2:SCRATCH_EN: 0
; COMPUTE_PGM_RSRC2:USER_SGPR: 15
; COMPUTE_PGM_RSRC2:TRAP_HANDLER: 0
; COMPUTE_PGM_RSRC2:TGID_X_EN: 1
; COMPUTE_PGM_RSRC2:TGID_Y_EN: 0
; COMPUTE_PGM_RSRC2:TGID_Z_EN: 0
; COMPUTE_PGM_RSRC2:TIDIG_COMP_CNT: 0
	.section	.text._ZN7rocprim17ROCPRIM_400000_NS6detail17trampoline_kernelINS0_14default_configENS1_20scan_config_selectorIfEEZZNS1_9scan_implILNS1_25lookback_scan_determinismE0ELb0ELb0ES3_PKfPffZZZN2at6native31launch_logcumsumexp_cuda_kernelERKNSB_10TensorBaseESF_lENKUlvE_clEvENKUlvE0_clEvEUlffE_fEEDaPvRmT3_T4_T5_mT6_P12ihipStream_tbENKUlT_T0_E_clISt17integral_constantIbLb0EESW_EEDaSR_SS_EUlSR_E0_NS1_11comp_targetILNS1_3genE4ELNS1_11target_archE910ELNS1_3gpuE8ELNS1_3repE0EEENS1_30default_config_static_selectorELNS0_4arch9wavefront6targetE0EEEvT1_,"axG",@progbits,_ZN7rocprim17ROCPRIM_400000_NS6detail17trampoline_kernelINS0_14default_configENS1_20scan_config_selectorIfEEZZNS1_9scan_implILNS1_25lookback_scan_determinismE0ELb0ELb0ES3_PKfPffZZZN2at6native31launch_logcumsumexp_cuda_kernelERKNSB_10TensorBaseESF_lENKUlvE_clEvENKUlvE0_clEvEUlffE_fEEDaPvRmT3_T4_T5_mT6_P12ihipStream_tbENKUlT_T0_E_clISt17integral_constantIbLb0EESW_EEDaSR_SS_EUlSR_E0_NS1_11comp_targetILNS1_3genE4ELNS1_11target_archE910ELNS1_3gpuE8ELNS1_3repE0EEENS1_30default_config_static_selectorELNS0_4arch9wavefront6targetE0EEEvT1_,comdat
	.globl	_ZN7rocprim17ROCPRIM_400000_NS6detail17trampoline_kernelINS0_14default_configENS1_20scan_config_selectorIfEEZZNS1_9scan_implILNS1_25lookback_scan_determinismE0ELb0ELb0ES3_PKfPffZZZN2at6native31launch_logcumsumexp_cuda_kernelERKNSB_10TensorBaseESF_lENKUlvE_clEvENKUlvE0_clEvEUlffE_fEEDaPvRmT3_T4_T5_mT6_P12ihipStream_tbENKUlT_T0_E_clISt17integral_constantIbLb0EESW_EEDaSR_SS_EUlSR_E0_NS1_11comp_targetILNS1_3genE4ELNS1_11target_archE910ELNS1_3gpuE8ELNS1_3repE0EEENS1_30default_config_static_selectorELNS0_4arch9wavefront6targetE0EEEvT1_ ; -- Begin function _ZN7rocprim17ROCPRIM_400000_NS6detail17trampoline_kernelINS0_14default_configENS1_20scan_config_selectorIfEEZZNS1_9scan_implILNS1_25lookback_scan_determinismE0ELb0ELb0ES3_PKfPffZZZN2at6native31launch_logcumsumexp_cuda_kernelERKNSB_10TensorBaseESF_lENKUlvE_clEvENKUlvE0_clEvEUlffE_fEEDaPvRmT3_T4_T5_mT6_P12ihipStream_tbENKUlT_T0_E_clISt17integral_constantIbLb0EESW_EEDaSR_SS_EUlSR_E0_NS1_11comp_targetILNS1_3genE4ELNS1_11target_archE910ELNS1_3gpuE8ELNS1_3repE0EEENS1_30default_config_static_selectorELNS0_4arch9wavefront6targetE0EEEvT1_
	.p2align	8
	.type	_ZN7rocprim17ROCPRIM_400000_NS6detail17trampoline_kernelINS0_14default_configENS1_20scan_config_selectorIfEEZZNS1_9scan_implILNS1_25lookback_scan_determinismE0ELb0ELb0ES3_PKfPffZZZN2at6native31launch_logcumsumexp_cuda_kernelERKNSB_10TensorBaseESF_lENKUlvE_clEvENKUlvE0_clEvEUlffE_fEEDaPvRmT3_T4_T5_mT6_P12ihipStream_tbENKUlT_T0_E_clISt17integral_constantIbLb0EESW_EEDaSR_SS_EUlSR_E0_NS1_11comp_targetILNS1_3genE4ELNS1_11target_archE910ELNS1_3gpuE8ELNS1_3repE0EEENS1_30default_config_static_selectorELNS0_4arch9wavefront6targetE0EEEvT1_,@function
_ZN7rocprim17ROCPRIM_400000_NS6detail17trampoline_kernelINS0_14default_configENS1_20scan_config_selectorIfEEZZNS1_9scan_implILNS1_25lookback_scan_determinismE0ELb0ELb0ES3_PKfPffZZZN2at6native31launch_logcumsumexp_cuda_kernelERKNSB_10TensorBaseESF_lENKUlvE_clEvENKUlvE0_clEvEUlffE_fEEDaPvRmT3_T4_T5_mT6_P12ihipStream_tbENKUlT_T0_E_clISt17integral_constantIbLb0EESW_EEDaSR_SS_EUlSR_E0_NS1_11comp_targetILNS1_3genE4ELNS1_11target_archE910ELNS1_3gpuE8ELNS1_3repE0EEENS1_30default_config_static_selectorELNS0_4arch9wavefront6targetE0EEEvT1_: ; @_ZN7rocprim17ROCPRIM_400000_NS6detail17trampoline_kernelINS0_14default_configENS1_20scan_config_selectorIfEEZZNS1_9scan_implILNS1_25lookback_scan_determinismE0ELb0ELb0ES3_PKfPffZZZN2at6native31launch_logcumsumexp_cuda_kernelERKNSB_10TensorBaseESF_lENKUlvE_clEvENKUlvE0_clEvEUlffE_fEEDaPvRmT3_T4_T5_mT6_P12ihipStream_tbENKUlT_T0_E_clISt17integral_constantIbLb0EESW_EEDaSR_SS_EUlSR_E0_NS1_11comp_targetILNS1_3genE4ELNS1_11target_archE910ELNS1_3gpuE8ELNS1_3repE0EEENS1_30default_config_static_selectorELNS0_4arch9wavefront6targetE0EEEvT1_
; %bb.0:
	.section	.rodata,"a",@progbits
	.p2align	6, 0x0
	.amdhsa_kernel _ZN7rocprim17ROCPRIM_400000_NS6detail17trampoline_kernelINS0_14default_configENS1_20scan_config_selectorIfEEZZNS1_9scan_implILNS1_25lookback_scan_determinismE0ELb0ELb0ES3_PKfPffZZZN2at6native31launch_logcumsumexp_cuda_kernelERKNSB_10TensorBaseESF_lENKUlvE_clEvENKUlvE0_clEvEUlffE_fEEDaPvRmT3_T4_T5_mT6_P12ihipStream_tbENKUlT_T0_E_clISt17integral_constantIbLb0EESW_EEDaSR_SS_EUlSR_E0_NS1_11comp_targetILNS1_3genE4ELNS1_11target_archE910ELNS1_3gpuE8ELNS1_3repE0EEENS1_30default_config_static_selectorELNS0_4arch9wavefront6targetE0EEEvT1_
		.amdhsa_group_segment_fixed_size 0
		.amdhsa_private_segment_fixed_size 0
		.amdhsa_kernarg_size 32
		.amdhsa_user_sgpr_count 15
		.amdhsa_user_sgpr_dispatch_ptr 0
		.amdhsa_user_sgpr_queue_ptr 0
		.amdhsa_user_sgpr_kernarg_segment_ptr 1
		.amdhsa_user_sgpr_dispatch_id 0
		.amdhsa_user_sgpr_private_segment_size 0
		.amdhsa_wavefront_size32 1
		.amdhsa_uses_dynamic_stack 0
		.amdhsa_enable_private_segment 0
		.amdhsa_system_sgpr_workgroup_id_x 1
		.amdhsa_system_sgpr_workgroup_id_y 0
		.amdhsa_system_sgpr_workgroup_id_z 0
		.amdhsa_system_sgpr_workgroup_info 0
		.amdhsa_system_vgpr_workitem_id 0
		.amdhsa_next_free_vgpr 1
		.amdhsa_next_free_sgpr 1
		.amdhsa_reserve_vcc 0
		.amdhsa_float_round_mode_32 0
		.amdhsa_float_round_mode_16_64 0
		.amdhsa_float_denorm_mode_32 3
		.amdhsa_float_denorm_mode_16_64 3
		.amdhsa_dx10_clamp 1
		.amdhsa_ieee_mode 1
		.amdhsa_fp16_overflow 0
		.amdhsa_workgroup_processor_mode 1
		.amdhsa_memory_ordered 1
		.amdhsa_forward_progress 0
		.amdhsa_shared_vgpr_count 0
		.amdhsa_exception_fp_ieee_invalid_op 0
		.amdhsa_exception_fp_denorm_src 0
		.amdhsa_exception_fp_ieee_div_zero 0
		.amdhsa_exception_fp_ieee_overflow 0
		.amdhsa_exception_fp_ieee_underflow 0
		.amdhsa_exception_fp_ieee_inexact 0
		.amdhsa_exception_int_div_zero 0
	.end_amdhsa_kernel
	.section	.text._ZN7rocprim17ROCPRIM_400000_NS6detail17trampoline_kernelINS0_14default_configENS1_20scan_config_selectorIfEEZZNS1_9scan_implILNS1_25lookback_scan_determinismE0ELb0ELb0ES3_PKfPffZZZN2at6native31launch_logcumsumexp_cuda_kernelERKNSB_10TensorBaseESF_lENKUlvE_clEvENKUlvE0_clEvEUlffE_fEEDaPvRmT3_T4_T5_mT6_P12ihipStream_tbENKUlT_T0_E_clISt17integral_constantIbLb0EESW_EEDaSR_SS_EUlSR_E0_NS1_11comp_targetILNS1_3genE4ELNS1_11target_archE910ELNS1_3gpuE8ELNS1_3repE0EEENS1_30default_config_static_selectorELNS0_4arch9wavefront6targetE0EEEvT1_,"axG",@progbits,_ZN7rocprim17ROCPRIM_400000_NS6detail17trampoline_kernelINS0_14default_configENS1_20scan_config_selectorIfEEZZNS1_9scan_implILNS1_25lookback_scan_determinismE0ELb0ELb0ES3_PKfPffZZZN2at6native31launch_logcumsumexp_cuda_kernelERKNSB_10TensorBaseESF_lENKUlvE_clEvENKUlvE0_clEvEUlffE_fEEDaPvRmT3_T4_T5_mT6_P12ihipStream_tbENKUlT_T0_E_clISt17integral_constantIbLb0EESW_EEDaSR_SS_EUlSR_E0_NS1_11comp_targetILNS1_3genE4ELNS1_11target_archE910ELNS1_3gpuE8ELNS1_3repE0EEENS1_30default_config_static_selectorELNS0_4arch9wavefront6targetE0EEEvT1_,comdat
.Lfunc_end111:
	.size	_ZN7rocprim17ROCPRIM_400000_NS6detail17trampoline_kernelINS0_14default_configENS1_20scan_config_selectorIfEEZZNS1_9scan_implILNS1_25lookback_scan_determinismE0ELb0ELb0ES3_PKfPffZZZN2at6native31launch_logcumsumexp_cuda_kernelERKNSB_10TensorBaseESF_lENKUlvE_clEvENKUlvE0_clEvEUlffE_fEEDaPvRmT3_T4_T5_mT6_P12ihipStream_tbENKUlT_T0_E_clISt17integral_constantIbLb0EESW_EEDaSR_SS_EUlSR_E0_NS1_11comp_targetILNS1_3genE4ELNS1_11target_archE910ELNS1_3gpuE8ELNS1_3repE0EEENS1_30default_config_static_selectorELNS0_4arch9wavefront6targetE0EEEvT1_, .Lfunc_end111-_ZN7rocprim17ROCPRIM_400000_NS6detail17trampoline_kernelINS0_14default_configENS1_20scan_config_selectorIfEEZZNS1_9scan_implILNS1_25lookback_scan_determinismE0ELb0ELb0ES3_PKfPffZZZN2at6native31launch_logcumsumexp_cuda_kernelERKNSB_10TensorBaseESF_lENKUlvE_clEvENKUlvE0_clEvEUlffE_fEEDaPvRmT3_T4_T5_mT6_P12ihipStream_tbENKUlT_T0_E_clISt17integral_constantIbLb0EESW_EEDaSR_SS_EUlSR_E0_NS1_11comp_targetILNS1_3genE4ELNS1_11target_archE910ELNS1_3gpuE8ELNS1_3repE0EEENS1_30default_config_static_selectorELNS0_4arch9wavefront6targetE0EEEvT1_
                                        ; -- End function
	.section	.AMDGPU.csdata,"",@progbits
; Kernel info:
; codeLenInByte = 0
; NumSgprs: 0
; NumVgprs: 0
; ScratchSize: 0
; MemoryBound: 0
; FloatMode: 240
; IeeeMode: 1
; LDSByteSize: 0 bytes/workgroup (compile time only)
; SGPRBlocks: 0
; VGPRBlocks: 0
; NumSGPRsForWavesPerEU: 1
; NumVGPRsForWavesPerEU: 1
; Occupancy: 16
; WaveLimiterHint : 0
; COMPUTE_PGM_RSRC2:SCRATCH_EN: 0
; COMPUTE_PGM_RSRC2:USER_SGPR: 15
; COMPUTE_PGM_RSRC2:TRAP_HANDLER: 0
; COMPUTE_PGM_RSRC2:TGID_X_EN: 1
; COMPUTE_PGM_RSRC2:TGID_Y_EN: 0
; COMPUTE_PGM_RSRC2:TGID_Z_EN: 0
; COMPUTE_PGM_RSRC2:TIDIG_COMP_CNT: 0
	.section	.text._ZN7rocprim17ROCPRIM_400000_NS6detail17trampoline_kernelINS0_14default_configENS1_20scan_config_selectorIfEEZZNS1_9scan_implILNS1_25lookback_scan_determinismE0ELb0ELb0ES3_PKfPffZZZN2at6native31launch_logcumsumexp_cuda_kernelERKNSB_10TensorBaseESF_lENKUlvE_clEvENKUlvE0_clEvEUlffE_fEEDaPvRmT3_T4_T5_mT6_P12ihipStream_tbENKUlT_T0_E_clISt17integral_constantIbLb0EESW_EEDaSR_SS_EUlSR_E0_NS1_11comp_targetILNS1_3genE3ELNS1_11target_archE908ELNS1_3gpuE7ELNS1_3repE0EEENS1_30default_config_static_selectorELNS0_4arch9wavefront6targetE0EEEvT1_,"axG",@progbits,_ZN7rocprim17ROCPRIM_400000_NS6detail17trampoline_kernelINS0_14default_configENS1_20scan_config_selectorIfEEZZNS1_9scan_implILNS1_25lookback_scan_determinismE0ELb0ELb0ES3_PKfPffZZZN2at6native31launch_logcumsumexp_cuda_kernelERKNSB_10TensorBaseESF_lENKUlvE_clEvENKUlvE0_clEvEUlffE_fEEDaPvRmT3_T4_T5_mT6_P12ihipStream_tbENKUlT_T0_E_clISt17integral_constantIbLb0EESW_EEDaSR_SS_EUlSR_E0_NS1_11comp_targetILNS1_3genE3ELNS1_11target_archE908ELNS1_3gpuE7ELNS1_3repE0EEENS1_30default_config_static_selectorELNS0_4arch9wavefront6targetE0EEEvT1_,comdat
	.globl	_ZN7rocprim17ROCPRIM_400000_NS6detail17trampoline_kernelINS0_14default_configENS1_20scan_config_selectorIfEEZZNS1_9scan_implILNS1_25lookback_scan_determinismE0ELb0ELb0ES3_PKfPffZZZN2at6native31launch_logcumsumexp_cuda_kernelERKNSB_10TensorBaseESF_lENKUlvE_clEvENKUlvE0_clEvEUlffE_fEEDaPvRmT3_T4_T5_mT6_P12ihipStream_tbENKUlT_T0_E_clISt17integral_constantIbLb0EESW_EEDaSR_SS_EUlSR_E0_NS1_11comp_targetILNS1_3genE3ELNS1_11target_archE908ELNS1_3gpuE7ELNS1_3repE0EEENS1_30default_config_static_selectorELNS0_4arch9wavefront6targetE0EEEvT1_ ; -- Begin function _ZN7rocprim17ROCPRIM_400000_NS6detail17trampoline_kernelINS0_14default_configENS1_20scan_config_selectorIfEEZZNS1_9scan_implILNS1_25lookback_scan_determinismE0ELb0ELb0ES3_PKfPffZZZN2at6native31launch_logcumsumexp_cuda_kernelERKNSB_10TensorBaseESF_lENKUlvE_clEvENKUlvE0_clEvEUlffE_fEEDaPvRmT3_T4_T5_mT6_P12ihipStream_tbENKUlT_T0_E_clISt17integral_constantIbLb0EESW_EEDaSR_SS_EUlSR_E0_NS1_11comp_targetILNS1_3genE3ELNS1_11target_archE908ELNS1_3gpuE7ELNS1_3repE0EEENS1_30default_config_static_selectorELNS0_4arch9wavefront6targetE0EEEvT1_
	.p2align	8
	.type	_ZN7rocprim17ROCPRIM_400000_NS6detail17trampoline_kernelINS0_14default_configENS1_20scan_config_selectorIfEEZZNS1_9scan_implILNS1_25lookback_scan_determinismE0ELb0ELb0ES3_PKfPffZZZN2at6native31launch_logcumsumexp_cuda_kernelERKNSB_10TensorBaseESF_lENKUlvE_clEvENKUlvE0_clEvEUlffE_fEEDaPvRmT3_T4_T5_mT6_P12ihipStream_tbENKUlT_T0_E_clISt17integral_constantIbLb0EESW_EEDaSR_SS_EUlSR_E0_NS1_11comp_targetILNS1_3genE3ELNS1_11target_archE908ELNS1_3gpuE7ELNS1_3repE0EEENS1_30default_config_static_selectorELNS0_4arch9wavefront6targetE0EEEvT1_,@function
_ZN7rocprim17ROCPRIM_400000_NS6detail17trampoline_kernelINS0_14default_configENS1_20scan_config_selectorIfEEZZNS1_9scan_implILNS1_25lookback_scan_determinismE0ELb0ELb0ES3_PKfPffZZZN2at6native31launch_logcumsumexp_cuda_kernelERKNSB_10TensorBaseESF_lENKUlvE_clEvENKUlvE0_clEvEUlffE_fEEDaPvRmT3_T4_T5_mT6_P12ihipStream_tbENKUlT_T0_E_clISt17integral_constantIbLb0EESW_EEDaSR_SS_EUlSR_E0_NS1_11comp_targetILNS1_3genE3ELNS1_11target_archE908ELNS1_3gpuE7ELNS1_3repE0EEENS1_30default_config_static_selectorELNS0_4arch9wavefront6targetE0EEEvT1_: ; @_ZN7rocprim17ROCPRIM_400000_NS6detail17trampoline_kernelINS0_14default_configENS1_20scan_config_selectorIfEEZZNS1_9scan_implILNS1_25lookback_scan_determinismE0ELb0ELb0ES3_PKfPffZZZN2at6native31launch_logcumsumexp_cuda_kernelERKNSB_10TensorBaseESF_lENKUlvE_clEvENKUlvE0_clEvEUlffE_fEEDaPvRmT3_T4_T5_mT6_P12ihipStream_tbENKUlT_T0_E_clISt17integral_constantIbLb0EESW_EEDaSR_SS_EUlSR_E0_NS1_11comp_targetILNS1_3genE3ELNS1_11target_archE908ELNS1_3gpuE7ELNS1_3repE0EEENS1_30default_config_static_selectorELNS0_4arch9wavefront6targetE0EEEvT1_
; %bb.0:
	.section	.rodata,"a",@progbits
	.p2align	6, 0x0
	.amdhsa_kernel _ZN7rocprim17ROCPRIM_400000_NS6detail17trampoline_kernelINS0_14default_configENS1_20scan_config_selectorIfEEZZNS1_9scan_implILNS1_25lookback_scan_determinismE0ELb0ELb0ES3_PKfPffZZZN2at6native31launch_logcumsumexp_cuda_kernelERKNSB_10TensorBaseESF_lENKUlvE_clEvENKUlvE0_clEvEUlffE_fEEDaPvRmT3_T4_T5_mT6_P12ihipStream_tbENKUlT_T0_E_clISt17integral_constantIbLb0EESW_EEDaSR_SS_EUlSR_E0_NS1_11comp_targetILNS1_3genE3ELNS1_11target_archE908ELNS1_3gpuE7ELNS1_3repE0EEENS1_30default_config_static_selectorELNS0_4arch9wavefront6targetE0EEEvT1_
		.amdhsa_group_segment_fixed_size 0
		.amdhsa_private_segment_fixed_size 0
		.amdhsa_kernarg_size 32
		.amdhsa_user_sgpr_count 15
		.amdhsa_user_sgpr_dispatch_ptr 0
		.amdhsa_user_sgpr_queue_ptr 0
		.amdhsa_user_sgpr_kernarg_segment_ptr 1
		.amdhsa_user_sgpr_dispatch_id 0
		.amdhsa_user_sgpr_private_segment_size 0
		.amdhsa_wavefront_size32 1
		.amdhsa_uses_dynamic_stack 0
		.amdhsa_enable_private_segment 0
		.amdhsa_system_sgpr_workgroup_id_x 1
		.amdhsa_system_sgpr_workgroup_id_y 0
		.amdhsa_system_sgpr_workgroup_id_z 0
		.amdhsa_system_sgpr_workgroup_info 0
		.amdhsa_system_vgpr_workitem_id 0
		.amdhsa_next_free_vgpr 1
		.amdhsa_next_free_sgpr 1
		.amdhsa_reserve_vcc 0
		.amdhsa_float_round_mode_32 0
		.amdhsa_float_round_mode_16_64 0
		.amdhsa_float_denorm_mode_32 3
		.amdhsa_float_denorm_mode_16_64 3
		.amdhsa_dx10_clamp 1
		.amdhsa_ieee_mode 1
		.amdhsa_fp16_overflow 0
		.amdhsa_workgroup_processor_mode 1
		.amdhsa_memory_ordered 1
		.amdhsa_forward_progress 0
		.amdhsa_shared_vgpr_count 0
		.amdhsa_exception_fp_ieee_invalid_op 0
		.amdhsa_exception_fp_denorm_src 0
		.amdhsa_exception_fp_ieee_div_zero 0
		.amdhsa_exception_fp_ieee_overflow 0
		.amdhsa_exception_fp_ieee_underflow 0
		.amdhsa_exception_fp_ieee_inexact 0
		.amdhsa_exception_int_div_zero 0
	.end_amdhsa_kernel
	.section	.text._ZN7rocprim17ROCPRIM_400000_NS6detail17trampoline_kernelINS0_14default_configENS1_20scan_config_selectorIfEEZZNS1_9scan_implILNS1_25lookback_scan_determinismE0ELb0ELb0ES3_PKfPffZZZN2at6native31launch_logcumsumexp_cuda_kernelERKNSB_10TensorBaseESF_lENKUlvE_clEvENKUlvE0_clEvEUlffE_fEEDaPvRmT3_T4_T5_mT6_P12ihipStream_tbENKUlT_T0_E_clISt17integral_constantIbLb0EESW_EEDaSR_SS_EUlSR_E0_NS1_11comp_targetILNS1_3genE3ELNS1_11target_archE908ELNS1_3gpuE7ELNS1_3repE0EEENS1_30default_config_static_selectorELNS0_4arch9wavefront6targetE0EEEvT1_,"axG",@progbits,_ZN7rocprim17ROCPRIM_400000_NS6detail17trampoline_kernelINS0_14default_configENS1_20scan_config_selectorIfEEZZNS1_9scan_implILNS1_25lookback_scan_determinismE0ELb0ELb0ES3_PKfPffZZZN2at6native31launch_logcumsumexp_cuda_kernelERKNSB_10TensorBaseESF_lENKUlvE_clEvENKUlvE0_clEvEUlffE_fEEDaPvRmT3_T4_T5_mT6_P12ihipStream_tbENKUlT_T0_E_clISt17integral_constantIbLb0EESW_EEDaSR_SS_EUlSR_E0_NS1_11comp_targetILNS1_3genE3ELNS1_11target_archE908ELNS1_3gpuE7ELNS1_3repE0EEENS1_30default_config_static_selectorELNS0_4arch9wavefront6targetE0EEEvT1_,comdat
.Lfunc_end112:
	.size	_ZN7rocprim17ROCPRIM_400000_NS6detail17trampoline_kernelINS0_14default_configENS1_20scan_config_selectorIfEEZZNS1_9scan_implILNS1_25lookback_scan_determinismE0ELb0ELb0ES3_PKfPffZZZN2at6native31launch_logcumsumexp_cuda_kernelERKNSB_10TensorBaseESF_lENKUlvE_clEvENKUlvE0_clEvEUlffE_fEEDaPvRmT3_T4_T5_mT6_P12ihipStream_tbENKUlT_T0_E_clISt17integral_constantIbLb0EESW_EEDaSR_SS_EUlSR_E0_NS1_11comp_targetILNS1_3genE3ELNS1_11target_archE908ELNS1_3gpuE7ELNS1_3repE0EEENS1_30default_config_static_selectorELNS0_4arch9wavefront6targetE0EEEvT1_, .Lfunc_end112-_ZN7rocprim17ROCPRIM_400000_NS6detail17trampoline_kernelINS0_14default_configENS1_20scan_config_selectorIfEEZZNS1_9scan_implILNS1_25lookback_scan_determinismE0ELb0ELb0ES3_PKfPffZZZN2at6native31launch_logcumsumexp_cuda_kernelERKNSB_10TensorBaseESF_lENKUlvE_clEvENKUlvE0_clEvEUlffE_fEEDaPvRmT3_T4_T5_mT6_P12ihipStream_tbENKUlT_T0_E_clISt17integral_constantIbLb0EESW_EEDaSR_SS_EUlSR_E0_NS1_11comp_targetILNS1_3genE3ELNS1_11target_archE908ELNS1_3gpuE7ELNS1_3repE0EEENS1_30default_config_static_selectorELNS0_4arch9wavefront6targetE0EEEvT1_
                                        ; -- End function
	.section	.AMDGPU.csdata,"",@progbits
; Kernel info:
; codeLenInByte = 0
; NumSgprs: 0
; NumVgprs: 0
; ScratchSize: 0
; MemoryBound: 0
; FloatMode: 240
; IeeeMode: 1
; LDSByteSize: 0 bytes/workgroup (compile time only)
; SGPRBlocks: 0
; VGPRBlocks: 0
; NumSGPRsForWavesPerEU: 1
; NumVGPRsForWavesPerEU: 1
; Occupancy: 16
; WaveLimiterHint : 0
; COMPUTE_PGM_RSRC2:SCRATCH_EN: 0
; COMPUTE_PGM_RSRC2:USER_SGPR: 15
; COMPUTE_PGM_RSRC2:TRAP_HANDLER: 0
; COMPUTE_PGM_RSRC2:TGID_X_EN: 1
; COMPUTE_PGM_RSRC2:TGID_Y_EN: 0
; COMPUTE_PGM_RSRC2:TGID_Z_EN: 0
; COMPUTE_PGM_RSRC2:TIDIG_COMP_CNT: 0
	.section	.text._ZN7rocprim17ROCPRIM_400000_NS6detail17trampoline_kernelINS0_14default_configENS1_20scan_config_selectorIfEEZZNS1_9scan_implILNS1_25lookback_scan_determinismE0ELb0ELb0ES3_PKfPffZZZN2at6native31launch_logcumsumexp_cuda_kernelERKNSB_10TensorBaseESF_lENKUlvE_clEvENKUlvE0_clEvEUlffE_fEEDaPvRmT3_T4_T5_mT6_P12ihipStream_tbENKUlT_T0_E_clISt17integral_constantIbLb0EESW_EEDaSR_SS_EUlSR_E0_NS1_11comp_targetILNS1_3genE2ELNS1_11target_archE906ELNS1_3gpuE6ELNS1_3repE0EEENS1_30default_config_static_selectorELNS0_4arch9wavefront6targetE0EEEvT1_,"axG",@progbits,_ZN7rocprim17ROCPRIM_400000_NS6detail17trampoline_kernelINS0_14default_configENS1_20scan_config_selectorIfEEZZNS1_9scan_implILNS1_25lookback_scan_determinismE0ELb0ELb0ES3_PKfPffZZZN2at6native31launch_logcumsumexp_cuda_kernelERKNSB_10TensorBaseESF_lENKUlvE_clEvENKUlvE0_clEvEUlffE_fEEDaPvRmT3_T4_T5_mT6_P12ihipStream_tbENKUlT_T0_E_clISt17integral_constantIbLb0EESW_EEDaSR_SS_EUlSR_E0_NS1_11comp_targetILNS1_3genE2ELNS1_11target_archE906ELNS1_3gpuE6ELNS1_3repE0EEENS1_30default_config_static_selectorELNS0_4arch9wavefront6targetE0EEEvT1_,comdat
	.globl	_ZN7rocprim17ROCPRIM_400000_NS6detail17trampoline_kernelINS0_14default_configENS1_20scan_config_selectorIfEEZZNS1_9scan_implILNS1_25lookback_scan_determinismE0ELb0ELb0ES3_PKfPffZZZN2at6native31launch_logcumsumexp_cuda_kernelERKNSB_10TensorBaseESF_lENKUlvE_clEvENKUlvE0_clEvEUlffE_fEEDaPvRmT3_T4_T5_mT6_P12ihipStream_tbENKUlT_T0_E_clISt17integral_constantIbLb0EESW_EEDaSR_SS_EUlSR_E0_NS1_11comp_targetILNS1_3genE2ELNS1_11target_archE906ELNS1_3gpuE6ELNS1_3repE0EEENS1_30default_config_static_selectorELNS0_4arch9wavefront6targetE0EEEvT1_ ; -- Begin function _ZN7rocprim17ROCPRIM_400000_NS6detail17trampoline_kernelINS0_14default_configENS1_20scan_config_selectorIfEEZZNS1_9scan_implILNS1_25lookback_scan_determinismE0ELb0ELb0ES3_PKfPffZZZN2at6native31launch_logcumsumexp_cuda_kernelERKNSB_10TensorBaseESF_lENKUlvE_clEvENKUlvE0_clEvEUlffE_fEEDaPvRmT3_T4_T5_mT6_P12ihipStream_tbENKUlT_T0_E_clISt17integral_constantIbLb0EESW_EEDaSR_SS_EUlSR_E0_NS1_11comp_targetILNS1_3genE2ELNS1_11target_archE906ELNS1_3gpuE6ELNS1_3repE0EEENS1_30default_config_static_selectorELNS0_4arch9wavefront6targetE0EEEvT1_
	.p2align	8
	.type	_ZN7rocprim17ROCPRIM_400000_NS6detail17trampoline_kernelINS0_14default_configENS1_20scan_config_selectorIfEEZZNS1_9scan_implILNS1_25lookback_scan_determinismE0ELb0ELb0ES3_PKfPffZZZN2at6native31launch_logcumsumexp_cuda_kernelERKNSB_10TensorBaseESF_lENKUlvE_clEvENKUlvE0_clEvEUlffE_fEEDaPvRmT3_T4_T5_mT6_P12ihipStream_tbENKUlT_T0_E_clISt17integral_constantIbLb0EESW_EEDaSR_SS_EUlSR_E0_NS1_11comp_targetILNS1_3genE2ELNS1_11target_archE906ELNS1_3gpuE6ELNS1_3repE0EEENS1_30default_config_static_selectorELNS0_4arch9wavefront6targetE0EEEvT1_,@function
_ZN7rocprim17ROCPRIM_400000_NS6detail17trampoline_kernelINS0_14default_configENS1_20scan_config_selectorIfEEZZNS1_9scan_implILNS1_25lookback_scan_determinismE0ELb0ELb0ES3_PKfPffZZZN2at6native31launch_logcumsumexp_cuda_kernelERKNSB_10TensorBaseESF_lENKUlvE_clEvENKUlvE0_clEvEUlffE_fEEDaPvRmT3_T4_T5_mT6_P12ihipStream_tbENKUlT_T0_E_clISt17integral_constantIbLb0EESW_EEDaSR_SS_EUlSR_E0_NS1_11comp_targetILNS1_3genE2ELNS1_11target_archE906ELNS1_3gpuE6ELNS1_3repE0EEENS1_30default_config_static_selectorELNS0_4arch9wavefront6targetE0EEEvT1_: ; @_ZN7rocprim17ROCPRIM_400000_NS6detail17trampoline_kernelINS0_14default_configENS1_20scan_config_selectorIfEEZZNS1_9scan_implILNS1_25lookback_scan_determinismE0ELb0ELb0ES3_PKfPffZZZN2at6native31launch_logcumsumexp_cuda_kernelERKNSB_10TensorBaseESF_lENKUlvE_clEvENKUlvE0_clEvEUlffE_fEEDaPvRmT3_T4_T5_mT6_P12ihipStream_tbENKUlT_T0_E_clISt17integral_constantIbLb0EESW_EEDaSR_SS_EUlSR_E0_NS1_11comp_targetILNS1_3genE2ELNS1_11target_archE906ELNS1_3gpuE6ELNS1_3repE0EEENS1_30default_config_static_selectorELNS0_4arch9wavefront6targetE0EEEvT1_
; %bb.0:
	.section	.rodata,"a",@progbits
	.p2align	6, 0x0
	.amdhsa_kernel _ZN7rocprim17ROCPRIM_400000_NS6detail17trampoline_kernelINS0_14default_configENS1_20scan_config_selectorIfEEZZNS1_9scan_implILNS1_25lookback_scan_determinismE0ELb0ELb0ES3_PKfPffZZZN2at6native31launch_logcumsumexp_cuda_kernelERKNSB_10TensorBaseESF_lENKUlvE_clEvENKUlvE0_clEvEUlffE_fEEDaPvRmT3_T4_T5_mT6_P12ihipStream_tbENKUlT_T0_E_clISt17integral_constantIbLb0EESW_EEDaSR_SS_EUlSR_E0_NS1_11comp_targetILNS1_3genE2ELNS1_11target_archE906ELNS1_3gpuE6ELNS1_3repE0EEENS1_30default_config_static_selectorELNS0_4arch9wavefront6targetE0EEEvT1_
		.amdhsa_group_segment_fixed_size 0
		.amdhsa_private_segment_fixed_size 0
		.amdhsa_kernarg_size 32
		.amdhsa_user_sgpr_count 15
		.amdhsa_user_sgpr_dispatch_ptr 0
		.amdhsa_user_sgpr_queue_ptr 0
		.amdhsa_user_sgpr_kernarg_segment_ptr 1
		.amdhsa_user_sgpr_dispatch_id 0
		.amdhsa_user_sgpr_private_segment_size 0
		.amdhsa_wavefront_size32 1
		.amdhsa_uses_dynamic_stack 0
		.amdhsa_enable_private_segment 0
		.amdhsa_system_sgpr_workgroup_id_x 1
		.amdhsa_system_sgpr_workgroup_id_y 0
		.amdhsa_system_sgpr_workgroup_id_z 0
		.amdhsa_system_sgpr_workgroup_info 0
		.amdhsa_system_vgpr_workitem_id 0
		.amdhsa_next_free_vgpr 1
		.amdhsa_next_free_sgpr 1
		.amdhsa_reserve_vcc 0
		.amdhsa_float_round_mode_32 0
		.amdhsa_float_round_mode_16_64 0
		.amdhsa_float_denorm_mode_32 3
		.amdhsa_float_denorm_mode_16_64 3
		.amdhsa_dx10_clamp 1
		.amdhsa_ieee_mode 1
		.amdhsa_fp16_overflow 0
		.amdhsa_workgroup_processor_mode 1
		.amdhsa_memory_ordered 1
		.amdhsa_forward_progress 0
		.amdhsa_shared_vgpr_count 0
		.amdhsa_exception_fp_ieee_invalid_op 0
		.amdhsa_exception_fp_denorm_src 0
		.amdhsa_exception_fp_ieee_div_zero 0
		.amdhsa_exception_fp_ieee_overflow 0
		.amdhsa_exception_fp_ieee_underflow 0
		.amdhsa_exception_fp_ieee_inexact 0
		.amdhsa_exception_int_div_zero 0
	.end_amdhsa_kernel
	.section	.text._ZN7rocprim17ROCPRIM_400000_NS6detail17trampoline_kernelINS0_14default_configENS1_20scan_config_selectorIfEEZZNS1_9scan_implILNS1_25lookback_scan_determinismE0ELb0ELb0ES3_PKfPffZZZN2at6native31launch_logcumsumexp_cuda_kernelERKNSB_10TensorBaseESF_lENKUlvE_clEvENKUlvE0_clEvEUlffE_fEEDaPvRmT3_T4_T5_mT6_P12ihipStream_tbENKUlT_T0_E_clISt17integral_constantIbLb0EESW_EEDaSR_SS_EUlSR_E0_NS1_11comp_targetILNS1_3genE2ELNS1_11target_archE906ELNS1_3gpuE6ELNS1_3repE0EEENS1_30default_config_static_selectorELNS0_4arch9wavefront6targetE0EEEvT1_,"axG",@progbits,_ZN7rocprim17ROCPRIM_400000_NS6detail17trampoline_kernelINS0_14default_configENS1_20scan_config_selectorIfEEZZNS1_9scan_implILNS1_25lookback_scan_determinismE0ELb0ELb0ES3_PKfPffZZZN2at6native31launch_logcumsumexp_cuda_kernelERKNSB_10TensorBaseESF_lENKUlvE_clEvENKUlvE0_clEvEUlffE_fEEDaPvRmT3_T4_T5_mT6_P12ihipStream_tbENKUlT_T0_E_clISt17integral_constantIbLb0EESW_EEDaSR_SS_EUlSR_E0_NS1_11comp_targetILNS1_3genE2ELNS1_11target_archE906ELNS1_3gpuE6ELNS1_3repE0EEENS1_30default_config_static_selectorELNS0_4arch9wavefront6targetE0EEEvT1_,comdat
.Lfunc_end113:
	.size	_ZN7rocprim17ROCPRIM_400000_NS6detail17trampoline_kernelINS0_14default_configENS1_20scan_config_selectorIfEEZZNS1_9scan_implILNS1_25lookback_scan_determinismE0ELb0ELb0ES3_PKfPffZZZN2at6native31launch_logcumsumexp_cuda_kernelERKNSB_10TensorBaseESF_lENKUlvE_clEvENKUlvE0_clEvEUlffE_fEEDaPvRmT3_T4_T5_mT6_P12ihipStream_tbENKUlT_T0_E_clISt17integral_constantIbLb0EESW_EEDaSR_SS_EUlSR_E0_NS1_11comp_targetILNS1_3genE2ELNS1_11target_archE906ELNS1_3gpuE6ELNS1_3repE0EEENS1_30default_config_static_selectorELNS0_4arch9wavefront6targetE0EEEvT1_, .Lfunc_end113-_ZN7rocprim17ROCPRIM_400000_NS6detail17trampoline_kernelINS0_14default_configENS1_20scan_config_selectorIfEEZZNS1_9scan_implILNS1_25lookback_scan_determinismE0ELb0ELb0ES3_PKfPffZZZN2at6native31launch_logcumsumexp_cuda_kernelERKNSB_10TensorBaseESF_lENKUlvE_clEvENKUlvE0_clEvEUlffE_fEEDaPvRmT3_T4_T5_mT6_P12ihipStream_tbENKUlT_T0_E_clISt17integral_constantIbLb0EESW_EEDaSR_SS_EUlSR_E0_NS1_11comp_targetILNS1_3genE2ELNS1_11target_archE906ELNS1_3gpuE6ELNS1_3repE0EEENS1_30default_config_static_selectorELNS0_4arch9wavefront6targetE0EEEvT1_
                                        ; -- End function
	.section	.AMDGPU.csdata,"",@progbits
; Kernel info:
; codeLenInByte = 0
; NumSgprs: 0
; NumVgprs: 0
; ScratchSize: 0
; MemoryBound: 0
; FloatMode: 240
; IeeeMode: 1
; LDSByteSize: 0 bytes/workgroup (compile time only)
; SGPRBlocks: 0
; VGPRBlocks: 0
; NumSGPRsForWavesPerEU: 1
; NumVGPRsForWavesPerEU: 1
; Occupancy: 16
; WaveLimiterHint : 0
; COMPUTE_PGM_RSRC2:SCRATCH_EN: 0
; COMPUTE_PGM_RSRC2:USER_SGPR: 15
; COMPUTE_PGM_RSRC2:TRAP_HANDLER: 0
; COMPUTE_PGM_RSRC2:TGID_X_EN: 1
; COMPUTE_PGM_RSRC2:TGID_Y_EN: 0
; COMPUTE_PGM_RSRC2:TGID_Z_EN: 0
; COMPUTE_PGM_RSRC2:TIDIG_COMP_CNT: 0
	.section	.text._ZN7rocprim17ROCPRIM_400000_NS6detail17trampoline_kernelINS0_14default_configENS1_20scan_config_selectorIfEEZZNS1_9scan_implILNS1_25lookback_scan_determinismE0ELb0ELb0ES3_PKfPffZZZN2at6native31launch_logcumsumexp_cuda_kernelERKNSB_10TensorBaseESF_lENKUlvE_clEvENKUlvE0_clEvEUlffE_fEEDaPvRmT3_T4_T5_mT6_P12ihipStream_tbENKUlT_T0_E_clISt17integral_constantIbLb0EESW_EEDaSR_SS_EUlSR_E0_NS1_11comp_targetILNS1_3genE10ELNS1_11target_archE1201ELNS1_3gpuE5ELNS1_3repE0EEENS1_30default_config_static_selectorELNS0_4arch9wavefront6targetE0EEEvT1_,"axG",@progbits,_ZN7rocprim17ROCPRIM_400000_NS6detail17trampoline_kernelINS0_14default_configENS1_20scan_config_selectorIfEEZZNS1_9scan_implILNS1_25lookback_scan_determinismE0ELb0ELb0ES3_PKfPffZZZN2at6native31launch_logcumsumexp_cuda_kernelERKNSB_10TensorBaseESF_lENKUlvE_clEvENKUlvE0_clEvEUlffE_fEEDaPvRmT3_T4_T5_mT6_P12ihipStream_tbENKUlT_T0_E_clISt17integral_constantIbLb0EESW_EEDaSR_SS_EUlSR_E0_NS1_11comp_targetILNS1_3genE10ELNS1_11target_archE1201ELNS1_3gpuE5ELNS1_3repE0EEENS1_30default_config_static_selectorELNS0_4arch9wavefront6targetE0EEEvT1_,comdat
	.globl	_ZN7rocprim17ROCPRIM_400000_NS6detail17trampoline_kernelINS0_14default_configENS1_20scan_config_selectorIfEEZZNS1_9scan_implILNS1_25lookback_scan_determinismE0ELb0ELb0ES3_PKfPffZZZN2at6native31launch_logcumsumexp_cuda_kernelERKNSB_10TensorBaseESF_lENKUlvE_clEvENKUlvE0_clEvEUlffE_fEEDaPvRmT3_T4_T5_mT6_P12ihipStream_tbENKUlT_T0_E_clISt17integral_constantIbLb0EESW_EEDaSR_SS_EUlSR_E0_NS1_11comp_targetILNS1_3genE10ELNS1_11target_archE1201ELNS1_3gpuE5ELNS1_3repE0EEENS1_30default_config_static_selectorELNS0_4arch9wavefront6targetE0EEEvT1_ ; -- Begin function _ZN7rocprim17ROCPRIM_400000_NS6detail17trampoline_kernelINS0_14default_configENS1_20scan_config_selectorIfEEZZNS1_9scan_implILNS1_25lookback_scan_determinismE0ELb0ELb0ES3_PKfPffZZZN2at6native31launch_logcumsumexp_cuda_kernelERKNSB_10TensorBaseESF_lENKUlvE_clEvENKUlvE0_clEvEUlffE_fEEDaPvRmT3_T4_T5_mT6_P12ihipStream_tbENKUlT_T0_E_clISt17integral_constantIbLb0EESW_EEDaSR_SS_EUlSR_E0_NS1_11comp_targetILNS1_3genE10ELNS1_11target_archE1201ELNS1_3gpuE5ELNS1_3repE0EEENS1_30default_config_static_selectorELNS0_4arch9wavefront6targetE0EEEvT1_
	.p2align	8
	.type	_ZN7rocprim17ROCPRIM_400000_NS6detail17trampoline_kernelINS0_14default_configENS1_20scan_config_selectorIfEEZZNS1_9scan_implILNS1_25lookback_scan_determinismE0ELb0ELb0ES3_PKfPffZZZN2at6native31launch_logcumsumexp_cuda_kernelERKNSB_10TensorBaseESF_lENKUlvE_clEvENKUlvE0_clEvEUlffE_fEEDaPvRmT3_T4_T5_mT6_P12ihipStream_tbENKUlT_T0_E_clISt17integral_constantIbLb0EESW_EEDaSR_SS_EUlSR_E0_NS1_11comp_targetILNS1_3genE10ELNS1_11target_archE1201ELNS1_3gpuE5ELNS1_3repE0EEENS1_30default_config_static_selectorELNS0_4arch9wavefront6targetE0EEEvT1_,@function
_ZN7rocprim17ROCPRIM_400000_NS6detail17trampoline_kernelINS0_14default_configENS1_20scan_config_selectorIfEEZZNS1_9scan_implILNS1_25lookback_scan_determinismE0ELb0ELb0ES3_PKfPffZZZN2at6native31launch_logcumsumexp_cuda_kernelERKNSB_10TensorBaseESF_lENKUlvE_clEvENKUlvE0_clEvEUlffE_fEEDaPvRmT3_T4_T5_mT6_P12ihipStream_tbENKUlT_T0_E_clISt17integral_constantIbLb0EESW_EEDaSR_SS_EUlSR_E0_NS1_11comp_targetILNS1_3genE10ELNS1_11target_archE1201ELNS1_3gpuE5ELNS1_3repE0EEENS1_30default_config_static_selectorELNS0_4arch9wavefront6targetE0EEEvT1_: ; @_ZN7rocprim17ROCPRIM_400000_NS6detail17trampoline_kernelINS0_14default_configENS1_20scan_config_selectorIfEEZZNS1_9scan_implILNS1_25lookback_scan_determinismE0ELb0ELb0ES3_PKfPffZZZN2at6native31launch_logcumsumexp_cuda_kernelERKNSB_10TensorBaseESF_lENKUlvE_clEvENKUlvE0_clEvEUlffE_fEEDaPvRmT3_T4_T5_mT6_P12ihipStream_tbENKUlT_T0_E_clISt17integral_constantIbLb0EESW_EEDaSR_SS_EUlSR_E0_NS1_11comp_targetILNS1_3genE10ELNS1_11target_archE1201ELNS1_3gpuE5ELNS1_3repE0EEENS1_30default_config_static_selectorELNS0_4arch9wavefront6targetE0EEEvT1_
; %bb.0:
	.section	.rodata,"a",@progbits
	.p2align	6, 0x0
	.amdhsa_kernel _ZN7rocprim17ROCPRIM_400000_NS6detail17trampoline_kernelINS0_14default_configENS1_20scan_config_selectorIfEEZZNS1_9scan_implILNS1_25lookback_scan_determinismE0ELb0ELb0ES3_PKfPffZZZN2at6native31launch_logcumsumexp_cuda_kernelERKNSB_10TensorBaseESF_lENKUlvE_clEvENKUlvE0_clEvEUlffE_fEEDaPvRmT3_T4_T5_mT6_P12ihipStream_tbENKUlT_T0_E_clISt17integral_constantIbLb0EESW_EEDaSR_SS_EUlSR_E0_NS1_11comp_targetILNS1_3genE10ELNS1_11target_archE1201ELNS1_3gpuE5ELNS1_3repE0EEENS1_30default_config_static_selectorELNS0_4arch9wavefront6targetE0EEEvT1_
		.amdhsa_group_segment_fixed_size 0
		.amdhsa_private_segment_fixed_size 0
		.amdhsa_kernarg_size 32
		.amdhsa_user_sgpr_count 15
		.amdhsa_user_sgpr_dispatch_ptr 0
		.amdhsa_user_sgpr_queue_ptr 0
		.amdhsa_user_sgpr_kernarg_segment_ptr 1
		.amdhsa_user_sgpr_dispatch_id 0
		.amdhsa_user_sgpr_private_segment_size 0
		.amdhsa_wavefront_size32 1
		.amdhsa_uses_dynamic_stack 0
		.amdhsa_enable_private_segment 0
		.amdhsa_system_sgpr_workgroup_id_x 1
		.amdhsa_system_sgpr_workgroup_id_y 0
		.amdhsa_system_sgpr_workgroup_id_z 0
		.amdhsa_system_sgpr_workgroup_info 0
		.amdhsa_system_vgpr_workitem_id 0
		.amdhsa_next_free_vgpr 1
		.amdhsa_next_free_sgpr 1
		.amdhsa_reserve_vcc 0
		.amdhsa_float_round_mode_32 0
		.amdhsa_float_round_mode_16_64 0
		.amdhsa_float_denorm_mode_32 3
		.amdhsa_float_denorm_mode_16_64 3
		.amdhsa_dx10_clamp 1
		.amdhsa_ieee_mode 1
		.amdhsa_fp16_overflow 0
		.amdhsa_workgroup_processor_mode 1
		.amdhsa_memory_ordered 1
		.amdhsa_forward_progress 0
		.amdhsa_shared_vgpr_count 0
		.amdhsa_exception_fp_ieee_invalid_op 0
		.amdhsa_exception_fp_denorm_src 0
		.amdhsa_exception_fp_ieee_div_zero 0
		.amdhsa_exception_fp_ieee_overflow 0
		.amdhsa_exception_fp_ieee_underflow 0
		.amdhsa_exception_fp_ieee_inexact 0
		.amdhsa_exception_int_div_zero 0
	.end_amdhsa_kernel
	.section	.text._ZN7rocprim17ROCPRIM_400000_NS6detail17trampoline_kernelINS0_14default_configENS1_20scan_config_selectorIfEEZZNS1_9scan_implILNS1_25lookback_scan_determinismE0ELb0ELb0ES3_PKfPffZZZN2at6native31launch_logcumsumexp_cuda_kernelERKNSB_10TensorBaseESF_lENKUlvE_clEvENKUlvE0_clEvEUlffE_fEEDaPvRmT3_T4_T5_mT6_P12ihipStream_tbENKUlT_T0_E_clISt17integral_constantIbLb0EESW_EEDaSR_SS_EUlSR_E0_NS1_11comp_targetILNS1_3genE10ELNS1_11target_archE1201ELNS1_3gpuE5ELNS1_3repE0EEENS1_30default_config_static_selectorELNS0_4arch9wavefront6targetE0EEEvT1_,"axG",@progbits,_ZN7rocprim17ROCPRIM_400000_NS6detail17trampoline_kernelINS0_14default_configENS1_20scan_config_selectorIfEEZZNS1_9scan_implILNS1_25lookback_scan_determinismE0ELb0ELb0ES3_PKfPffZZZN2at6native31launch_logcumsumexp_cuda_kernelERKNSB_10TensorBaseESF_lENKUlvE_clEvENKUlvE0_clEvEUlffE_fEEDaPvRmT3_T4_T5_mT6_P12ihipStream_tbENKUlT_T0_E_clISt17integral_constantIbLb0EESW_EEDaSR_SS_EUlSR_E0_NS1_11comp_targetILNS1_3genE10ELNS1_11target_archE1201ELNS1_3gpuE5ELNS1_3repE0EEENS1_30default_config_static_selectorELNS0_4arch9wavefront6targetE0EEEvT1_,comdat
.Lfunc_end114:
	.size	_ZN7rocprim17ROCPRIM_400000_NS6detail17trampoline_kernelINS0_14default_configENS1_20scan_config_selectorIfEEZZNS1_9scan_implILNS1_25lookback_scan_determinismE0ELb0ELb0ES3_PKfPffZZZN2at6native31launch_logcumsumexp_cuda_kernelERKNSB_10TensorBaseESF_lENKUlvE_clEvENKUlvE0_clEvEUlffE_fEEDaPvRmT3_T4_T5_mT6_P12ihipStream_tbENKUlT_T0_E_clISt17integral_constantIbLb0EESW_EEDaSR_SS_EUlSR_E0_NS1_11comp_targetILNS1_3genE10ELNS1_11target_archE1201ELNS1_3gpuE5ELNS1_3repE0EEENS1_30default_config_static_selectorELNS0_4arch9wavefront6targetE0EEEvT1_, .Lfunc_end114-_ZN7rocprim17ROCPRIM_400000_NS6detail17trampoline_kernelINS0_14default_configENS1_20scan_config_selectorIfEEZZNS1_9scan_implILNS1_25lookback_scan_determinismE0ELb0ELb0ES3_PKfPffZZZN2at6native31launch_logcumsumexp_cuda_kernelERKNSB_10TensorBaseESF_lENKUlvE_clEvENKUlvE0_clEvEUlffE_fEEDaPvRmT3_T4_T5_mT6_P12ihipStream_tbENKUlT_T0_E_clISt17integral_constantIbLb0EESW_EEDaSR_SS_EUlSR_E0_NS1_11comp_targetILNS1_3genE10ELNS1_11target_archE1201ELNS1_3gpuE5ELNS1_3repE0EEENS1_30default_config_static_selectorELNS0_4arch9wavefront6targetE0EEEvT1_
                                        ; -- End function
	.section	.AMDGPU.csdata,"",@progbits
; Kernel info:
; codeLenInByte = 0
; NumSgprs: 0
; NumVgprs: 0
; ScratchSize: 0
; MemoryBound: 0
; FloatMode: 240
; IeeeMode: 1
; LDSByteSize: 0 bytes/workgroup (compile time only)
; SGPRBlocks: 0
; VGPRBlocks: 0
; NumSGPRsForWavesPerEU: 1
; NumVGPRsForWavesPerEU: 1
; Occupancy: 16
; WaveLimiterHint : 0
; COMPUTE_PGM_RSRC2:SCRATCH_EN: 0
; COMPUTE_PGM_RSRC2:USER_SGPR: 15
; COMPUTE_PGM_RSRC2:TRAP_HANDLER: 0
; COMPUTE_PGM_RSRC2:TGID_X_EN: 1
; COMPUTE_PGM_RSRC2:TGID_Y_EN: 0
; COMPUTE_PGM_RSRC2:TGID_Z_EN: 0
; COMPUTE_PGM_RSRC2:TIDIG_COMP_CNT: 0
	.section	.text._ZN7rocprim17ROCPRIM_400000_NS6detail17trampoline_kernelINS0_14default_configENS1_20scan_config_selectorIfEEZZNS1_9scan_implILNS1_25lookback_scan_determinismE0ELb0ELb0ES3_PKfPffZZZN2at6native31launch_logcumsumexp_cuda_kernelERKNSB_10TensorBaseESF_lENKUlvE_clEvENKUlvE0_clEvEUlffE_fEEDaPvRmT3_T4_T5_mT6_P12ihipStream_tbENKUlT_T0_E_clISt17integral_constantIbLb0EESW_EEDaSR_SS_EUlSR_E0_NS1_11comp_targetILNS1_3genE10ELNS1_11target_archE1200ELNS1_3gpuE4ELNS1_3repE0EEENS1_30default_config_static_selectorELNS0_4arch9wavefront6targetE0EEEvT1_,"axG",@progbits,_ZN7rocprim17ROCPRIM_400000_NS6detail17trampoline_kernelINS0_14default_configENS1_20scan_config_selectorIfEEZZNS1_9scan_implILNS1_25lookback_scan_determinismE0ELb0ELb0ES3_PKfPffZZZN2at6native31launch_logcumsumexp_cuda_kernelERKNSB_10TensorBaseESF_lENKUlvE_clEvENKUlvE0_clEvEUlffE_fEEDaPvRmT3_T4_T5_mT6_P12ihipStream_tbENKUlT_T0_E_clISt17integral_constantIbLb0EESW_EEDaSR_SS_EUlSR_E0_NS1_11comp_targetILNS1_3genE10ELNS1_11target_archE1200ELNS1_3gpuE4ELNS1_3repE0EEENS1_30default_config_static_selectorELNS0_4arch9wavefront6targetE0EEEvT1_,comdat
	.globl	_ZN7rocprim17ROCPRIM_400000_NS6detail17trampoline_kernelINS0_14default_configENS1_20scan_config_selectorIfEEZZNS1_9scan_implILNS1_25lookback_scan_determinismE0ELb0ELb0ES3_PKfPffZZZN2at6native31launch_logcumsumexp_cuda_kernelERKNSB_10TensorBaseESF_lENKUlvE_clEvENKUlvE0_clEvEUlffE_fEEDaPvRmT3_T4_T5_mT6_P12ihipStream_tbENKUlT_T0_E_clISt17integral_constantIbLb0EESW_EEDaSR_SS_EUlSR_E0_NS1_11comp_targetILNS1_3genE10ELNS1_11target_archE1200ELNS1_3gpuE4ELNS1_3repE0EEENS1_30default_config_static_selectorELNS0_4arch9wavefront6targetE0EEEvT1_ ; -- Begin function _ZN7rocprim17ROCPRIM_400000_NS6detail17trampoline_kernelINS0_14default_configENS1_20scan_config_selectorIfEEZZNS1_9scan_implILNS1_25lookback_scan_determinismE0ELb0ELb0ES3_PKfPffZZZN2at6native31launch_logcumsumexp_cuda_kernelERKNSB_10TensorBaseESF_lENKUlvE_clEvENKUlvE0_clEvEUlffE_fEEDaPvRmT3_T4_T5_mT6_P12ihipStream_tbENKUlT_T0_E_clISt17integral_constantIbLb0EESW_EEDaSR_SS_EUlSR_E0_NS1_11comp_targetILNS1_3genE10ELNS1_11target_archE1200ELNS1_3gpuE4ELNS1_3repE0EEENS1_30default_config_static_selectorELNS0_4arch9wavefront6targetE0EEEvT1_
	.p2align	8
	.type	_ZN7rocprim17ROCPRIM_400000_NS6detail17trampoline_kernelINS0_14default_configENS1_20scan_config_selectorIfEEZZNS1_9scan_implILNS1_25lookback_scan_determinismE0ELb0ELb0ES3_PKfPffZZZN2at6native31launch_logcumsumexp_cuda_kernelERKNSB_10TensorBaseESF_lENKUlvE_clEvENKUlvE0_clEvEUlffE_fEEDaPvRmT3_T4_T5_mT6_P12ihipStream_tbENKUlT_T0_E_clISt17integral_constantIbLb0EESW_EEDaSR_SS_EUlSR_E0_NS1_11comp_targetILNS1_3genE10ELNS1_11target_archE1200ELNS1_3gpuE4ELNS1_3repE0EEENS1_30default_config_static_selectorELNS0_4arch9wavefront6targetE0EEEvT1_,@function
_ZN7rocprim17ROCPRIM_400000_NS6detail17trampoline_kernelINS0_14default_configENS1_20scan_config_selectorIfEEZZNS1_9scan_implILNS1_25lookback_scan_determinismE0ELb0ELb0ES3_PKfPffZZZN2at6native31launch_logcumsumexp_cuda_kernelERKNSB_10TensorBaseESF_lENKUlvE_clEvENKUlvE0_clEvEUlffE_fEEDaPvRmT3_T4_T5_mT6_P12ihipStream_tbENKUlT_T0_E_clISt17integral_constantIbLb0EESW_EEDaSR_SS_EUlSR_E0_NS1_11comp_targetILNS1_3genE10ELNS1_11target_archE1200ELNS1_3gpuE4ELNS1_3repE0EEENS1_30default_config_static_selectorELNS0_4arch9wavefront6targetE0EEEvT1_: ; @_ZN7rocprim17ROCPRIM_400000_NS6detail17trampoline_kernelINS0_14default_configENS1_20scan_config_selectorIfEEZZNS1_9scan_implILNS1_25lookback_scan_determinismE0ELb0ELb0ES3_PKfPffZZZN2at6native31launch_logcumsumexp_cuda_kernelERKNSB_10TensorBaseESF_lENKUlvE_clEvENKUlvE0_clEvEUlffE_fEEDaPvRmT3_T4_T5_mT6_P12ihipStream_tbENKUlT_T0_E_clISt17integral_constantIbLb0EESW_EEDaSR_SS_EUlSR_E0_NS1_11comp_targetILNS1_3genE10ELNS1_11target_archE1200ELNS1_3gpuE4ELNS1_3repE0EEENS1_30default_config_static_selectorELNS0_4arch9wavefront6targetE0EEEvT1_
; %bb.0:
	.section	.rodata,"a",@progbits
	.p2align	6, 0x0
	.amdhsa_kernel _ZN7rocprim17ROCPRIM_400000_NS6detail17trampoline_kernelINS0_14default_configENS1_20scan_config_selectorIfEEZZNS1_9scan_implILNS1_25lookback_scan_determinismE0ELb0ELb0ES3_PKfPffZZZN2at6native31launch_logcumsumexp_cuda_kernelERKNSB_10TensorBaseESF_lENKUlvE_clEvENKUlvE0_clEvEUlffE_fEEDaPvRmT3_T4_T5_mT6_P12ihipStream_tbENKUlT_T0_E_clISt17integral_constantIbLb0EESW_EEDaSR_SS_EUlSR_E0_NS1_11comp_targetILNS1_3genE10ELNS1_11target_archE1200ELNS1_3gpuE4ELNS1_3repE0EEENS1_30default_config_static_selectorELNS0_4arch9wavefront6targetE0EEEvT1_
		.amdhsa_group_segment_fixed_size 0
		.amdhsa_private_segment_fixed_size 0
		.amdhsa_kernarg_size 32
		.amdhsa_user_sgpr_count 15
		.amdhsa_user_sgpr_dispatch_ptr 0
		.amdhsa_user_sgpr_queue_ptr 0
		.amdhsa_user_sgpr_kernarg_segment_ptr 1
		.amdhsa_user_sgpr_dispatch_id 0
		.amdhsa_user_sgpr_private_segment_size 0
		.amdhsa_wavefront_size32 1
		.amdhsa_uses_dynamic_stack 0
		.amdhsa_enable_private_segment 0
		.amdhsa_system_sgpr_workgroup_id_x 1
		.amdhsa_system_sgpr_workgroup_id_y 0
		.amdhsa_system_sgpr_workgroup_id_z 0
		.amdhsa_system_sgpr_workgroup_info 0
		.amdhsa_system_vgpr_workitem_id 0
		.amdhsa_next_free_vgpr 1
		.amdhsa_next_free_sgpr 1
		.amdhsa_reserve_vcc 0
		.amdhsa_float_round_mode_32 0
		.amdhsa_float_round_mode_16_64 0
		.amdhsa_float_denorm_mode_32 3
		.amdhsa_float_denorm_mode_16_64 3
		.amdhsa_dx10_clamp 1
		.amdhsa_ieee_mode 1
		.amdhsa_fp16_overflow 0
		.amdhsa_workgroup_processor_mode 1
		.amdhsa_memory_ordered 1
		.amdhsa_forward_progress 0
		.amdhsa_shared_vgpr_count 0
		.amdhsa_exception_fp_ieee_invalid_op 0
		.amdhsa_exception_fp_denorm_src 0
		.amdhsa_exception_fp_ieee_div_zero 0
		.amdhsa_exception_fp_ieee_overflow 0
		.amdhsa_exception_fp_ieee_underflow 0
		.amdhsa_exception_fp_ieee_inexact 0
		.amdhsa_exception_int_div_zero 0
	.end_amdhsa_kernel
	.section	.text._ZN7rocprim17ROCPRIM_400000_NS6detail17trampoline_kernelINS0_14default_configENS1_20scan_config_selectorIfEEZZNS1_9scan_implILNS1_25lookback_scan_determinismE0ELb0ELb0ES3_PKfPffZZZN2at6native31launch_logcumsumexp_cuda_kernelERKNSB_10TensorBaseESF_lENKUlvE_clEvENKUlvE0_clEvEUlffE_fEEDaPvRmT3_T4_T5_mT6_P12ihipStream_tbENKUlT_T0_E_clISt17integral_constantIbLb0EESW_EEDaSR_SS_EUlSR_E0_NS1_11comp_targetILNS1_3genE10ELNS1_11target_archE1200ELNS1_3gpuE4ELNS1_3repE0EEENS1_30default_config_static_selectorELNS0_4arch9wavefront6targetE0EEEvT1_,"axG",@progbits,_ZN7rocprim17ROCPRIM_400000_NS6detail17trampoline_kernelINS0_14default_configENS1_20scan_config_selectorIfEEZZNS1_9scan_implILNS1_25lookback_scan_determinismE0ELb0ELb0ES3_PKfPffZZZN2at6native31launch_logcumsumexp_cuda_kernelERKNSB_10TensorBaseESF_lENKUlvE_clEvENKUlvE0_clEvEUlffE_fEEDaPvRmT3_T4_T5_mT6_P12ihipStream_tbENKUlT_T0_E_clISt17integral_constantIbLb0EESW_EEDaSR_SS_EUlSR_E0_NS1_11comp_targetILNS1_3genE10ELNS1_11target_archE1200ELNS1_3gpuE4ELNS1_3repE0EEENS1_30default_config_static_selectorELNS0_4arch9wavefront6targetE0EEEvT1_,comdat
.Lfunc_end115:
	.size	_ZN7rocprim17ROCPRIM_400000_NS6detail17trampoline_kernelINS0_14default_configENS1_20scan_config_selectorIfEEZZNS1_9scan_implILNS1_25lookback_scan_determinismE0ELb0ELb0ES3_PKfPffZZZN2at6native31launch_logcumsumexp_cuda_kernelERKNSB_10TensorBaseESF_lENKUlvE_clEvENKUlvE0_clEvEUlffE_fEEDaPvRmT3_T4_T5_mT6_P12ihipStream_tbENKUlT_T0_E_clISt17integral_constantIbLb0EESW_EEDaSR_SS_EUlSR_E0_NS1_11comp_targetILNS1_3genE10ELNS1_11target_archE1200ELNS1_3gpuE4ELNS1_3repE0EEENS1_30default_config_static_selectorELNS0_4arch9wavefront6targetE0EEEvT1_, .Lfunc_end115-_ZN7rocprim17ROCPRIM_400000_NS6detail17trampoline_kernelINS0_14default_configENS1_20scan_config_selectorIfEEZZNS1_9scan_implILNS1_25lookback_scan_determinismE0ELb0ELb0ES3_PKfPffZZZN2at6native31launch_logcumsumexp_cuda_kernelERKNSB_10TensorBaseESF_lENKUlvE_clEvENKUlvE0_clEvEUlffE_fEEDaPvRmT3_T4_T5_mT6_P12ihipStream_tbENKUlT_T0_E_clISt17integral_constantIbLb0EESW_EEDaSR_SS_EUlSR_E0_NS1_11comp_targetILNS1_3genE10ELNS1_11target_archE1200ELNS1_3gpuE4ELNS1_3repE0EEENS1_30default_config_static_selectorELNS0_4arch9wavefront6targetE0EEEvT1_
                                        ; -- End function
	.section	.AMDGPU.csdata,"",@progbits
; Kernel info:
; codeLenInByte = 0
; NumSgprs: 0
; NumVgprs: 0
; ScratchSize: 0
; MemoryBound: 0
; FloatMode: 240
; IeeeMode: 1
; LDSByteSize: 0 bytes/workgroup (compile time only)
; SGPRBlocks: 0
; VGPRBlocks: 0
; NumSGPRsForWavesPerEU: 1
; NumVGPRsForWavesPerEU: 1
; Occupancy: 16
; WaveLimiterHint : 0
; COMPUTE_PGM_RSRC2:SCRATCH_EN: 0
; COMPUTE_PGM_RSRC2:USER_SGPR: 15
; COMPUTE_PGM_RSRC2:TRAP_HANDLER: 0
; COMPUTE_PGM_RSRC2:TGID_X_EN: 1
; COMPUTE_PGM_RSRC2:TGID_Y_EN: 0
; COMPUTE_PGM_RSRC2:TGID_Z_EN: 0
; COMPUTE_PGM_RSRC2:TIDIG_COMP_CNT: 0
	.section	.text._ZN7rocprim17ROCPRIM_400000_NS6detail17trampoline_kernelINS0_14default_configENS1_20scan_config_selectorIfEEZZNS1_9scan_implILNS1_25lookback_scan_determinismE0ELb0ELb0ES3_PKfPffZZZN2at6native31launch_logcumsumexp_cuda_kernelERKNSB_10TensorBaseESF_lENKUlvE_clEvENKUlvE0_clEvEUlffE_fEEDaPvRmT3_T4_T5_mT6_P12ihipStream_tbENKUlT_T0_E_clISt17integral_constantIbLb0EESW_EEDaSR_SS_EUlSR_E0_NS1_11comp_targetILNS1_3genE9ELNS1_11target_archE1100ELNS1_3gpuE3ELNS1_3repE0EEENS1_30default_config_static_selectorELNS0_4arch9wavefront6targetE0EEEvT1_,"axG",@progbits,_ZN7rocprim17ROCPRIM_400000_NS6detail17trampoline_kernelINS0_14default_configENS1_20scan_config_selectorIfEEZZNS1_9scan_implILNS1_25lookback_scan_determinismE0ELb0ELb0ES3_PKfPffZZZN2at6native31launch_logcumsumexp_cuda_kernelERKNSB_10TensorBaseESF_lENKUlvE_clEvENKUlvE0_clEvEUlffE_fEEDaPvRmT3_T4_T5_mT6_P12ihipStream_tbENKUlT_T0_E_clISt17integral_constantIbLb0EESW_EEDaSR_SS_EUlSR_E0_NS1_11comp_targetILNS1_3genE9ELNS1_11target_archE1100ELNS1_3gpuE3ELNS1_3repE0EEENS1_30default_config_static_selectorELNS0_4arch9wavefront6targetE0EEEvT1_,comdat
	.globl	_ZN7rocprim17ROCPRIM_400000_NS6detail17trampoline_kernelINS0_14default_configENS1_20scan_config_selectorIfEEZZNS1_9scan_implILNS1_25lookback_scan_determinismE0ELb0ELb0ES3_PKfPffZZZN2at6native31launch_logcumsumexp_cuda_kernelERKNSB_10TensorBaseESF_lENKUlvE_clEvENKUlvE0_clEvEUlffE_fEEDaPvRmT3_T4_T5_mT6_P12ihipStream_tbENKUlT_T0_E_clISt17integral_constantIbLb0EESW_EEDaSR_SS_EUlSR_E0_NS1_11comp_targetILNS1_3genE9ELNS1_11target_archE1100ELNS1_3gpuE3ELNS1_3repE0EEENS1_30default_config_static_selectorELNS0_4arch9wavefront6targetE0EEEvT1_ ; -- Begin function _ZN7rocprim17ROCPRIM_400000_NS6detail17trampoline_kernelINS0_14default_configENS1_20scan_config_selectorIfEEZZNS1_9scan_implILNS1_25lookback_scan_determinismE0ELb0ELb0ES3_PKfPffZZZN2at6native31launch_logcumsumexp_cuda_kernelERKNSB_10TensorBaseESF_lENKUlvE_clEvENKUlvE0_clEvEUlffE_fEEDaPvRmT3_T4_T5_mT6_P12ihipStream_tbENKUlT_T0_E_clISt17integral_constantIbLb0EESW_EEDaSR_SS_EUlSR_E0_NS1_11comp_targetILNS1_3genE9ELNS1_11target_archE1100ELNS1_3gpuE3ELNS1_3repE0EEENS1_30default_config_static_selectorELNS0_4arch9wavefront6targetE0EEEvT1_
	.p2align	8
	.type	_ZN7rocprim17ROCPRIM_400000_NS6detail17trampoline_kernelINS0_14default_configENS1_20scan_config_selectorIfEEZZNS1_9scan_implILNS1_25lookback_scan_determinismE0ELb0ELb0ES3_PKfPffZZZN2at6native31launch_logcumsumexp_cuda_kernelERKNSB_10TensorBaseESF_lENKUlvE_clEvENKUlvE0_clEvEUlffE_fEEDaPvRmT3_T4_T5_mT6_P12ihipStream_tbENKUlT_T0_E_clISt17integral_constantIbLb0EESW_EEDaSR_SS_EUlSR_E0_NS1_11comp_targetILNS1_3genE9ELNS1_11target_archE1100ELNS1_3gpuE3ELNS1_3repE0EEENS1_30default_config_static_selectorELNS0_4arch9wavefront6targetE0EEEvT1_,@function
_ZN7rocprim17ROCPRIM_400000_NS6detail17trampoline_kernelINS0_14default_configENS1_20scan_config_selectorIfEEZZNS1_9scan_implILNS1_25lookback_scan_determinismE0ELb0ELb0ES3_PKfPffZZZN2at6native31launch_logcumsumexp_cuda_kernelERKNSB_10TensorBaseESF_lENKUlvE_clEvENKUlvE0_clEvEUlffE_fEEDaPvRmT3_T4_T5_mT6_P12ihipStream_tbENKUlT_T0_E_clISt17integral_constantIbLb0EESW_EEDaSR_SS_EUlSR_E0_NS1_11comp_targetILNS1_3genE9ELNS1_11target_archE1100ELNS1_3gpuE3ELNS1_3repE0EEENS1_30default_config_static_selectorELNS0_4arch9wavefront6targetE0EEEvT1_: ; @_ZN7rocprim17ROCPRIM_400000_NS6detail17trampoline_kernelINS0_14default_configENS1_20scan_config_selectorIfEEZZNS1_9scan_implILNS1_25lookback_scan_determinismE0ELb0ELb0ES3_PKfPffZZZN2at6native31launch_logcumsumexp_cuda_kernelERKNSB_10TensorBaseESF_lENKUlvE_clEvENKUlvE0_clEvEUlffE_fEEDaPvRmT3_T4_T5_mT6_P12ihipStream_tbENKUlT_T0_E_clISt17integral_constantIbLb0EESW_EEDaSR_SS_EUlSR_E0_NS1_11comp_targetILNS1_3genE9ELNS1_11target_archE1100ELNS1_3gpuE3ELNS1_3repE0EEENS1_30default_config_static_selectorELNS0_4arch9wavefront6targetE0EEEvT1_
; %bb.0:
	s_load_b128 s[8:11], s[0:1], 0x0
	v_lshlrev_b32_e32 v7, 2, v0
	s_waitcnt lgkmcnt(0)
	s_load_b32 s4, s[8:9], 0x0
	v_cmp_gt_u32_e32 vcc_lo, s10, v0
	s_waitcnt lgkmcnt(0)
	s_mov_b32 s5, s4
	s_mov_b32 s6, s4
	;; [unrolled: 1-line block ×3, first 2 shown]
	s_delay_alu instid0(SALU_CYCLE_1)
	v_dual_mov_b32 v1, s4 :: v_dual_mov_b32 v4, s7
	v_dual_mov_b32 v5, s4 :: v_dual_mov_b32 v2, s5
	v_mov_b32_e32 v3, s6
	s_and_saveexec_b32 s2, vcc_lo
	s_cbranch_execz .LBB116_2
; %bb.1:
	global_load_b32 v5, v7, s[8:9]
	v_dual_mov_b32 v1, s4 :: v_dual_mov_b32 v2, s5
	v_dual_mov_b32 v3, s6 :: v_dual_mov_b32 v4, s7
                                        ; kill: def $vgpr1 killed $vgpr5 killed $exec
.LBB116_2:
	s_or_b32 exec_lo, exec_lo, s2
	v_or_b32_e32 v1, 0x100, v0
	s_delay_alu instid0(VALU_DEP_1) | instskip(NEXT) | instid1(VALU_DEP_1)
	v_cmp_gt_u32_e64 s2, s10, v1
	s_and_saveexec_b32 s3, s2
	s_cbranch_execz .LBB116_4
; %bb.3:
	global_load_b32 v2, v7, s[8:9] offset:1024
.LBB116_4:
	s_or_b32 exec_lo, exec_lo, s3
	v_or_b32_e32 v6, 0x200, v0
	s_delay_alu instid0(VALU_DEP_1) | instskip(NEXT) | instid1(VALU_DEP_1)
	v_cmp_gt_u32_e64 s3, s10, v6
	s_and_saveexec_b32 s4, s3
	s_cbranch_execz .LBB116_6
; %bb.5:
	global_load_b32 v3, v7, s[8:9] offset:2048
.LBB116_6:
	;; [unrolled: 9-line block ×3, first 2 shown]
	s_or_b32 exec_lo, exec_lo, s5
	v_lshrrev_b32_e32 v12, 3, v0
	v_lshrrev_b32_e32 v1, 3, v1
	;; [unrolled: 1-line block ×4, first 2 shown]
	s_delay_alu instid0(VALU_DEP_4) | instskip(NEXT) | instid1(VALU_DEP_4)
	v_and_b32_e32 v9, 28, v12
	v_and_b32_e32 v1, 60, v1
	s_delay_alu instid0(VALU_DEP_4) | instskip(NEXT) | instid1(VALU_DEP_4)
	v_and_b32_e32 v6, 0x7c, v6
	v_and_b32_e32 v11, 0x7c, v8
	v_add_lshl_u32 v12, v12, v7, 2
	v_add_nc_u32_e32 v8, v9, v7
	v_add_nc_u32_e32 v9, v1, v7
	;; [unrolled: 1-line block ×4, first 2 shown]
	s_waitcnt vmcnt(0)
	ds_store_b32 v8, v5
	ds_store_b32 v9, v2 offset:1024
	ds_store_b32 v10, v3 offset:2048
	;; [unrolled: 1-line block ×3, first 2 shown]
	s_waitcnt lgkmcnt(0)
	s_barrier
	buffer_gl0_inv
	ds_load_2addr_b32 v[1:2], v12 offset1:1
	ds_load_2addr_b32 v[3:4], v12 offset0:2 offset1:3
	s_waitcnt lgkmcnt(0)
	s_barrier
	buffer_gl0_inv
	v_mov_b32_e32 v19, v1
	v_dual_max_f32 v15, v2, v2 :: v_dual_max_f32 v18, v1, v1
	v_cmp_u_f32_e64 s8, v1, v1
	v_cmp_u_f32_e64 s5, v2, v2
	s_delay_alu instid0(VALU_DEP_3) | instskip(SKIP_1) | instid1(VALU_DEP_2)
	v_min_f32_e32 v16, v18, v15
	v_max_f32_e32 v17, v18, v15
	v_cndmask_b32_e64 v5, v16, v1, s8
	s_delay_alu instid0(VALU_DEP_2) | instskip(NEXT) | instid1(VALU_DEP_2)
	v_cndmask_b32_e64 v13, v17, v1, s8
	v_cndmask_b32_e64 v6, v5, v2, s5
	s_delay_alu instid0(VALU_DEP_2) | instskip(NEXT) | instid1(VALU_DEP_2)
	v_cndmask_b32_e64 v5, v13, v2, s5
	v_cmp_class_f32_e64 s7, v6, 0x1f8
	s_delay_alu instid0(VALU_DEP_2) | instskip(NEXT) | instid1(VALU_DEP_1)
	v_cmp_neq_f32_e64 s6, v6, v5
	s_or_b32 s6, s6, s7
	s_delay_alu instid0(SALU_CYCLE_1)
	s_and_saveexec_b32 s7, s6
	s_cbranch_execz .LBB116_10
; %bb.9:
	v_sub_f32_e32 v6, v6, v5
	s_delay_alu instid0(VALU_DEP_1) | instskip(NEXT) | instid1(VALU_DEP_1)
	v_mul_f32_e32 v13, 0x3fb8aa3b, v6
	v_fma_f32 v14, 0x3fb8aa3b, v6, -v13
	v_rndne_f32_e32 v19, v13
	s_delay_alu instid0(VALU_DEP_1) | instskip(SKIP_1) | instid1(VALU_DEP_2)
	v_dual_sub_f32 v13, v13, v19 :: v_dual_fmamk_f32 v14, v6, 0x32a5705f, v14
	v_cmp_ngt_f32_e64 s6, 0xc2ce8ed0, v6
	v_add_f32_e32 v13, v13, v14
	v_cvt_i32_f32_e32 v14, v19
	s_delay_alu instid0(VALU_DEP_2) | instskip(SKIP_2) | instid1(VALU_DEP_1)
	v_exp_f32_e32 v13, v13
	s_waitcnt_depctr 0xfff
	v_ldexp_f32 v13, v13, v14
	v_cndmask_b32_e64 v13, 0, v13, s6
	v_cmp_nlt_f32_e64 s6, 0x42b17218, v6
	s_delay_alu instid0(VALU_DEP_1) | instskip(NEXT) | instid1(VALU_DEP_1)
	v_cndmask_b32_e64 v6, 0x7f800000, v13, s6
	v_add_f32_e32 v19, 1.0, v6
	v_cmp_gt_f32_e64 s9, 0x33800000, |v6|
	s_delay_alu instid0(VALU_DEP_2) | instskip(NEXT) | instid1(VALU_DEP_1)
	v_cvt_f64_f32_e32 v[13:14], v19
	v_frexp_exp_i32_f64_e32 v13, v[13:14]
	v_frexp_mant_f32_e32 v14, v19
	s_delay_alu instid0(VALU_DEP_1) | instskip(SKIP_1) | instid1(VALU_DEP_1)
	v_cmp_gt_f32_e64 s6, 0x3f2aaaab, v14
	v_add_f32_e32 v14, -1.0, v19
	v_sub_f32_e32 v21, v14, v19
	s_delay_alu instid0(VALU_DEP_1) | instskip(NEXT) | instid1(VALU_DEP_4)
	v_dual_sub_f32 v14, v6, v14 :: v_dual_add_f32 v21, 1.0, v21
	v_subrev_co_ci_u32_e64 v13, s6, 0, v13, s6
	s_mov_b32 s6, 0x3e9b6dac
	s_delay_alu instid0(VALU_DEP_1) | instskip(SKIP_1) | instid1(VALU_DEP_2)
	v_sub_nc_u32_e32 v20, 0, v13
	v_cvt_f32_i32_e32 v13, v13
	v_ldexp_f32 v19, v19, v20
	s_delay_alu instid0(VALU_DEP_1) | instskip(NEXT) | instid1(VALU_DEP_1)
	v_add_f32_e32 v22, 1.0, v19
	v_dual_add_f32 v14, v14, v21 :: v_dual_add_f32 v21, -1.0, v22
	s_delay_alu instid0(VALU_DEP_1) | instskip(NEXT) | instid1(VALU_DEP_2)
	v_ldexp_f32 v14, v14, v20
	v_dual_add_f32 v20, -1.0, v19 :: v_dual_sub_f32 v21, v19, v21
	s_delay_alu instid0(VALU_DEP_1) | instskip(NEXT) | instid1(VALU_DEP_2)
	v_add_f32_e32 v23, 1.0, v20
	v_add_f32_e32 v21, v14, v21
	s_delay_alu instid0(VALU_DEP_2) | instskip(NEXT) | instid1(VALU_DEP_1)
	v_sub_f32_e32 v19, v19, v23
	v_add_f32_e32 v14, v14, v19
	s_delay_alu instid0(VALU_DEP_1) | instskip(NEXT) | instid1(VALU_DEP_1)
	v_dual_add_f32 v24, v20, v14 :: v_dual_add_f32 v23, v22, v21
	v_sub_f32_e32 v20, v20, v24
	s_delay_alu instid0(VALU_DEP_2) | instskip(SKIP_1) | instid1(VALU_DEP_1)
	v_rcp_f32_e32 v19, v23
	v_sub_f32_e32 v22, v22, v23
	v_dual_add_f32 v14, v14, v20 :: v_dual_add_f32 v21, v21, v22
	s_waitcnt_depctr 0xfff
	v_mul_f32_e32 v25, v24, v19
	s_delay_alu instid0(VALU_DEP_1) | instskip(NEXT) | instid1(VALU_DEP_1)
	v_mul_f32_e32 v26, v23, v25
	v_fma_f32 v22, v25, v23, -v26
	s_delay_alu instid0(VALU_DEP_1) | instskip(NEXT) | instid1(VALU_DEP_1)
	v_fmac_f32_e32 v22, v25, v21
	v_add_f32_e32 v27, v26, v22
	s_delay_alu instid0(VALU_DEP_1) | instskip(NEXT) | instid1(VALU_DEP_1)
	v_sub_f32_e32 v28, v24, v27
	v_sub_f32_e32 v24, v24, v28
	;; [unrolled: 1-line block ×3, first 2 shown]
	s_delay_alu instid0(VALU_DEP_2) | instskip(NEXT) | instid1(VALU_DEP_2)
	v_sub_f32_e32 v24, v24, v27
	v_sub_f32_e32 v20, v20, v22
	s_delay_alu instid0(VALU_DEP_2) | instskip(NEXT) | instid1(VALU_DEP_1)
	v_add_f32_e32 v14, v14, v24
	v_add_f32_e32 v14, v20, v14
	s_delay_alu instid0(VALU_DEP_1) | instskip(NEXT) | instid1(VALU_DEP_1)
	v_add_f32_e32 v20, v28, v14
	v_mul_f32_e32 v22, v19, v20
	s_delay_alu instid0(VALU_DEP_1) | instskip(NEXT) | instid1(VALU_DEP_1)
	v_dual_sub_f32 v27, v28, v20 :: v_dual_mul_f32 v24, v23, v22
	v_add_f32_e32 v14, v14, v27
	s_delay_alu instid0(VALU_DEP_2) | instskip(NEXT) | instid1(VALU_DEP_1)
	v_fma_f32 v23, v22, v23, -v24
	v_fmac_f32_e32 v23, v22, v21
	s_delay_alu instid0(VALU_DEP_1) | instskip(NEXT) | instid1(VALU_DEP_1)
	v_add_f32_e32 v21, v24, v23
	v_sub_f32_e32 v26, v20, v21
	v_sub_f32_e32 v24, v21, v24
	s_delay_alu instid0(VALU_DEP_2) | instskip(NEXT) | instid1(VALU_DEP_1)
	v_sub_f32_e32 v20, v20, v26
	v_sub_f32_e32 v20, v20, v21
	s_delay_alu instid0(VALU_DEP_1) | instskip(SKIP_1) | instid1(VALU_DEP_1)
	v_dual_sub_f32 v21, v24, v23 :: v_dual_add_f32 v14, v14, v20
	v_add_f32_e32 v20, v25, v22
	v_dual_add_f32 v14, v21, v14 :: v_dual_sub_f32 v21, v20, v25
	s_delay_alu instid0(VALU_DEP_1) | instskip(NEXT) | instid1(VALU_DEP_1)
	v_add_f32_e32 v14, v26, v14
	v_dual_sub_f32 v21, v22, v21 :: v_dual_mul_f32 v14, v19, v14
	s_delay_alu instid0(VALU_DEP_1) | instskip(NEXT) | instid1(VALU_DEP_1)
	v_add_f32_e32 v14, v21, v14
	v_add_f32_e32 v19, v20, v14
	s_delay_alu instid0(VALU_DEP_1) | instskip(NEXT) | instid1(VALU_DEP_1)
	v_mul_f32_e32 v21, v19, v19
	v_fmaak_f32 v22, s6, v21, 0x3ecc95a3
	v_mul_f32_e32 v23, v19, v21
	v_cmp_eq_f32_e64 s6, 0x7f800000, v6
	s_delay_alu instid0(VALU_DEP_3) | instskip(SKIP_2) | instid1(VALU_DEP_4)
	v_fmaak_f32 v21, v21, v22, 0x3f2aaada
	v_ldexp_f32 v22, v19, 1
	v_sub_f32_e32 v19, v19, v20
	s_or_b32 s6, s6, s9
	s_delay_alu instid0(VALU_DEP_3) | instskip(NEXT) | instid1(VALU_DEP_2)
	v_mul_f32_e32 v21, v23, v21
	v_dual_mul_f32 v23, 0x3f317218, v13 :: v_dual_sub_f32 v14, v14, v19
	s_delay_alu instid0(VALU_DEP_2) | instskip(NEXT) | instid1(VALU_DEP_2)
	v_add_f32_e32 v20, v22, v21
	v_ldexp_f32 v14, v14, 1
	s_delay_alu instid0(VALU_DEP_2) | instskip(NEXT) | instid1(VALU_DEP_4)
	v_sub_f32_e32 v19, v20, v22
	v_fma_f32 v22, 0x3f317218, v13, -v23
	s_delay_alu instid0(VALU_DEP_2) | instskip(NEXT) | instid1(VALU_DEP_1)
	v_sub_f32_e32 v19, v21, v19
	v_dual_fmamk_f32 v13, v13, 0xb102e308, v22 :: v_dual_add_f32 v14, v14, v19
	s_delay_alu instid0(VALU_DEP_1) | instskip(NEXT) | instid1(VALU_DEP_1)
	v_add_f32_e32 v19, v23, v13
	v_sub_f32_e32 v23, v19, v23
	s_delay_alu instid0(VALU_DEP_1) | instskip(NEXT) | instid1(VALU_DEP_4)
	v_sub_f32_e32 v13, v13, v23
	v_add_f32_e32 v21, v20, v14
	s_delay_alu instid0(VALU_DEP_1) | instskip(NEXT) | instid1(VALU_DEP_1)
	v_sub_f32_e32 v20, v21, v20
	v_sub_f32_e32 v14, v14, v20
	v_add_f32_e32 v22, v19, v21
	s_delay_alu instid0(VALU_DEP_1) | instskip(NEXT) | instid1(VALU_DEP_1)
	v_sub_f32_e32 v24, v22, v19
	v_sub_f32_e32 v20, v21, v24
	s_delay_alu instid0(VALU_DEP_4) | instskip(SKIP_1) | instid1(VALU_DEP_1)
	v_add_f32_e32 v21, v13, v14
	v_sub_f32_e32 v25, v22, v24
	v_sub_f32_e32 v19, v19, v25
	s_delay_alu instid0(VALU_DEP_1) | instskip(NEXT) | instid1(VALU_DEP_1)
	v_dual_add_f32 v19, v20, v19 :: v_dual_sub_f32 v20, v21, v13
	v_dual_add_f32 v19, v21, v19 :: v_dual_sub_f32 v14, v14, v20
	v_sub_f32_e32 v21, v21, v20
	s_delay_alu instid0(VALU_DEP_2) | instskip(NEXT) | instid1(VALU_DEP_1)
	v_add_f32_e32 v23, v22, v19
	v_dual_sub_f32 v13, v13, v21 :: v_dual_sub_f32 v20, v23, v22
	s_delay_alu instid0(VALU_DEP_1) | instskip(NEXT) | instid1(VALU_DEP_1)
	v_dual_add_f32 v13, v14, v13 :: v_dual_sub_f32 v14, v19, v20
	v_add_f32_e32 v13, v13, v14
	s_delay_alu instid0(VALU_DEP_1) | instskip(NEXT) | instid1(VALU_DEP_1)
	v_add_f32_e32 v13, v23, v13
	v_cndmask_b32_e64 v6, v13, v6, s6
	s_delay_alu instid0(VALU_DEP_1)
	v_add_f32_e32 v19, v5, v6
.LBB116_10:
	s_or_b32 exec_lo, exec_lo, s7
	s_delay_alu instid0(VALU_DEP_1) | instskip(SKIP_2) | instid1(VALU_DEP_2)
	v_max_f32_e32 v5, v19, v19
	v_max_f32_e32 v13, v3, v3
	v_cmp_u_f32_e64 s6, v19, v19
	v_min_f32_e32 v6, v5, v13
	v_max_f32_e32 v5, v5, v13
	s_delay_alu instid0(VALU_DEP_2) | instskip(NEXT) | instid1(VALU_DEP_2)
	v_cndmask_b32_e64 v6, v6, v19, s6
	v_cndmask_b32_e64 v5, v5, v19, s6
	v_cmp_u_f32_e64 s6, v3, v3
	s_delay_alu instid0(VALU_DEP_1) | instskip(NEXT) | instid1(VALU_DEP_3)
	v_cndmask_b32_e64 v6, v6, v3, s6
	v_cndmask_b32_e64 v5, v5, v3, s6
	s_delay_alu instid0(VALU_DEP_2) | instskip(NEXT) | instid1(VALU_DEP_2)
	v_cmp_class_f32_e64 s9, v6, 0x1f8
	v_cmp_neq_f32_e64 s7, v6, v5
	s_delay_alu instid0(VALU_DEP_1) | instskip(NEXT) | instid1(SALU_CYCLE_1)
	s_or_b32 s7, s7, s9
	s_and_saveexec_b32 s9, s7
	s_cbranch_execz .LBB116_12
; %bb.11:
	v_sub_f32_e32 v6, v6, v5
	s_delay_alu instid0(VALU_DEP_1) | instskip(SKIP_1) | instid1(VALU_DEP_2)
	v_mul_f32_e32 v14, 0x3fb8aa3b, v6
	v_cmp_ngt_f32_e64 s7, 0xc2ce8ed0, v6
	v_fma_f32 v19, 0x3fb8aa3b, v6, -v14
	v_rndne_f32_e32 v20, v14
	s_delay_alu instid0(VALU_DEP_2) | instskip(NEXT) | instid1(VALU_DEP_2)
	v_fmamk_f32 v19, v6, 0x32a5705f, v19
	v_sub_f32_e32 v14, v14, v20
	s_delay_alu instid0(VALU_DEP_1) | instskip(SKIP_1) | instid1(VALU_DEP_2)
	v_add_f32_e32 v14, v14, v19
	v_cvt_i32_f32_e32 v19, v20
	v_exp_f32_e32 v14, v14
	s_waitcnt_depctr 0xfff
	v_ldexp_f32 v14, v14, v19
	s_delay_alu instid0(VALU_DEP_1) | instskip(SKIP_1) | instid1(VALU_DEP_1)
	v_cndmask_b32_e64 v14, 0, v14, s7
	v_cmp_nlt_f32_e64 s7, 0x42b17218, v6
	v_cndmask_b32_e64 v6, 0x7f800000, v14, s7
	s_delay_alu instid0(VALU_DEP_1) | instskip(SKIP_1) | instid1(VALU_DEP_2)
	v_add_f32_e32 v14, 1.0, v6
	v_cmp_gt_f32_e64 s10, 0x33800000, |v6|
	v_cvt_f64_f32_e32 v[19:20], v14
	s_delay_alu instid0(VALU_DEP_1) | instskip(SKIP_1) | instid1(VALU_DEP_1)
	v_frexp_exp_i32_f64_e32 v19, v[19:20]
	v_frexp_mant_f32_e32 v20, v14
	v_cmp_gt_f32_e64 s7, 0x3f2aaaab, v20
	v_add_f32_e32 v20, -1.0, v14
	s_delay_alu instid0(VALU_DEP_1) | instskip(NEXT) | instid1(VALU_DEP_1)
	v_sub_f32_e32 v22, v20, v14
	v_add_f32_e32 v22, 1.0, v22
	s_delay_alu instid0(VALU_DEP_4) | instskip(SKIP_1) | instid1(VALU_DEP_1)
	v_subrev_co_ci_u32_e64 v19, s7, 0, v19, s7
	s_mov_b32 s7, 0x3e9b6dac
	v_sub_nc_u32_e32 v21, 0, v19
	v_cvt_f32_i32_e32 v19, v19
	s_delay_alu instid0(VALU_DEP_2) | instskip(NEXT) | instid1(VALU_DEP_1)
	v_ldexp_f32 v14, v14, v21
	v_dual_sub_f32 v20, v6, v20 :: v_dual_add_f32 v23, 1.0, v14
	s_delay_alu instid0(VALU_DEP_1) | instskip(NEXT) | instid1(VALU_DEP_1)
	v_add_f32_e32 v20, v20, v22
	v_ldexp_f32 v20, v20, v21
	s_delay_alu instid0(VALU_DEP_3) | instskip(NEXT) | instid1(VALU_DEP_1)
	v_dual_add_f32 v21, -1.0, v14 :: v_dual_add_f32 v22, -1.0, v23
	v_add_f32_e32 v24, 1.0, v21
	s_delay_alu instid0(VALU_DEP_2) | instskip(NEXT) | instid1(VALU_DEP_2)
	v_sub_f32_e32 v22, v14, v22
	v_sub_f32_e32 v14, v14, v24
	s_delay_alu instid0(VALU_DEP_2) | instskip(NEXT) | instid1(VALU_DEP_2)
	v_add_f32_e32 v22, v20, v22
	v_add_f32_e32 v14, v20, v14
	s_delay_alu instid0(VALU_DEP_2) | instskip(NEXT) | instid1(VALU_DEP_2)
	v_add_f32_e32 v24, v23, v22
	v_add_f32_e32 v25, v21, v14
	s_delay_alu instid0(VALU_DEP_2) | instskip(SKIP_1) | instid1(VALU_DEP_1)
	v_rcp_f32_e32 v20, v24
	v_sub_f32_e32 v23, v23, v24
	v_dual_sub_f32 v21, v21, v25 :: v_dual_add_f32 v22, v22, v23
	s_delay_alu instid0(VALU_DEP_1) | instskip(SKIP_2) | instid1(VALU_DEP_1)
	v_add_f32_e32 v14, v14, v21
	s_waitcnt_depctr 0xfff
	v_mul_f32_e32 v26, v25, v20
	v_mul_f32_e32 v27, v24, v26
	s_delay_alu instid0(VALU_DEP_1) | instskip(NEXT) | instid1(VALU_DEP_1)
	v_fma_f32 v23, v26, v24, -v27
	v_fmac_f32_e32 v23, v26, v22
	s_delay_alu instid0(VALU_DEP_1) | instskip(NEXT) | instid1(VALU_DEP_1)
	v_add_f32_e32 v28, v27, v23
	v_sub_f32_e32 v29, v25, v28
	v_sub_f32_e32 v21, v28, v27
	s_delay_alu instid0(VALU_DEP_2) | instskip(NEXT) | instid1(VALU_DEP_2)
	v_sub_f32_e32 v25, v25, v29
	v_sub_f32_e32 v21, v21, v23
	s_delay_alu instid0(VALU_DEP_2) | instskip(NEXT) | instid1(VALU_DEP_1)
	v_sub_f32_e32 v25, v25, v28
	v_add_f32_e32 v14, v14, v25
	s_delay_alu instid0(VALU_DEP_1) | instskip(NEXT) | instid1(VALU_DEP_1)
	v_add_f32_e32 v14, v21, v14
	v_add_f32_e32 v21, v29, v14
	s_delay_alu instid0(VALU_DEP_1) | instskip(NEXT) | instid1(VALU_DEP_1)
	v_mul_f32_e32 v23, v20, v21
	v_dual_sub_f32 v28, v29, v21 :: v_dual_mul_f32 v25, v24, v23
	s_delay_alu instid0(VALU_DEP_1) | instskip(NEXT) | instid1(VALU_DEP_2)
	v_add_f32_e32 v14, v14, v28
	v_fma_f32 v24, v23, v24, -v25
	s_delay_alu instid0(VALU_DEP_1) | instskip(NEXT) | instid1(VALU_DEP_1)
	v_fmac_f32_e32 v24, v23, v22
	v_add_f32_e32 v22, v25, v24
	s_delay_alu instid0(VALU_DEP_1) | instskip(SKIP_1) | instid1(VALU_DEP_2)
	v_sub_f32_e32 v27, v21, v22
	v_sub_f32_e32 v25, v22, v25
	;; [unrolled: 1-line block ×3, first 2 shown]
	s_delay_alu instid0(VALU_DEP_1) | instskip(NEXT) | instid1(VALU_DEP_3)
	v_sub_f32_e32 v21, v21, v22
	v_sub_f32_e32 v22, v25, v24
	s_delay_alu instid0(VALU_DEP_2) | instskip(SKIP_1) | instid1(VALU_DEP_2)
	v_add_f32_e32 v14, v14, v21
	v_add_f32_e32 v21, v26, v23
	;; [unrolled: 1-line block ×3, first 2 shown]
	s_delay_alu instid0(VALU_DEP_2) | instskip(NEXT) | instid1(VALU_DEP_2)
	v_sub_f32_e32 v22, v21, v26
	v_add_f32_e32 v14, v27, v14
	s_delay_alu instid0(VALU_DEP_2) | instskip(NEXT) | instid1(VALU_DEP_2)
	v_sub_f32_e32 v22, v23, v22
	v_mul_f32_e32 v14, v20, v14
	s_delay_alu instid0(VALU_DEP_1) | instskip(NEXT) | instid1(VALU_DEP_1)
	v_add_f32_e32 v14, v22, v14
	v_add_f32_e32 v20, v21, v14
	s_delay_alu instid0(VALU_DEP_1) | instskip(NEXT) | instid1(VALU_DEP_1)
	v_mul_f32_e32 v22, v20, v20
	v_fmaak_f32 v23, s7, v22, 0x3ecc95a3
	v_mul_f32_e32 v24, v20, v22
	v_cmp_eq_f32_e64 s7, 0x7f800000, v6
	s_delay_alu instid0(VALU_DEP_3) | instskip(SKIP_2) | instid1(VALU_DEP_4)
	v_fmaak_f32 v22, v22, v23, 0x3f2aaada
	v_ldexp_f32 v23, v20, 1
	v_sub_f32_e32 v20, v20, v21
	s_or_b32 s7, s7, s10
	s_delay_alu instid0(VALU_DEP_3) | instskip(SKIP_1) | instid1(VALU_DEP_2)
	v_mul_f32_e32 v22, v24, v22
	v_mul_f32_e32 v24, 0x3f317218, v19
	v_dual_sub_f32 v14, v14, v20 :: v_dual_add_f32 v21, v23, v22
	s_delay_alu instid0(VALU_DEP_1) | instskip(NEXT) | instid1(VALU_DEP_2)
	v_ldexp_f32 v14, v14, 1
	v_sub_f32_e32 v20, v21, v23
	s_delay_alu instid0(VALU_DEP_4) | instskip(NEXT) | instid1(VALU_DEP_1)
	v_fma_f32 v23, 0x3f317218, v19, -v24
	v_dual_sub_f32 v20, v22, v20 :: v_dual_fmamk_f32 v19, v19, 0xb102e308, v23
	s_delay_alu instid0(VALU_DEP_1) | instskip(NEXT) | instid1(VALU_DEP_2)
	v_add_f32_e32 v14, v14, v20
	v_add_f32_e32 v20, v24, v19
	s_delay_alu instid0(VALU_DEP_2) | instskip(NEXT) | instid1(VALU_DEP_2)
	v_add_f32_e32 v22, v21, v14
	v_sub_f32_e32 v24, v20, v24
	s_delay_alu instid0(VALU_DEP_2) | instskip(SKIP_1) | instid1(VALU_DEP_3)
	v_add_f32_e32 v23, v20, v22
	v_sub_f32_e32 v21, v22, v21
	v_sub_f32_e32 v19, v19, v24
	s_delay_alu instid0(VALU_DEP_2) | instskip(NEXT) | instid1(VALU_DEP_1)
	v_dual_sub_f32 v25, v23, v20 :: v_dual_sub_f32 v14, v14, v21
	v_sub_f32_e32 v26, v23, v25
	s_delay_alu instid0(VALU_DEP_2) | instskip(NEXT) | instid1(VALU_DEP_2)
	v_dual_sub_f32 v21, v22, v25 :: v_dual_add_f32 v22, v19, v14
	v_sub_f32_e32 v20, v20, v26
	s_delay_alu instid0(VALU_DEP_1) | instskip(NEXT) | instid1(VALU_DEP_1)
	v_dual_add_f32 v20, v21, v20 :: v_dual_sub_f32 v21, v22, v19
	v_add_f32_e32 v20, v22, v20
	s_delay_alu instid0(VALU_DEP_2) | instskip(SKIP_1) | instid1(VALU_DEP_3)
	v_sub_f32_e32 v22, v22, v21
	v_sub_f32_e32 v14, v14, v21
	v_add_f32_e32 v24, v23, v20
	s_delay_alu instid0(VALU_DEP_3) | instskip(NEXT) | instid1(VALU_DEP_2)
	v_sub_f32_e32 v19, v19, v22
	v_sub_f32_e32 v21, v24, v23
	s_delay_alu instid0(VALU_DEP_1) | instskip(NEXT) | instid1(VALU_DEP_1)
	v_dual_add_f32 v14, v14, v19 :: v_dual_sub_f32 v19, v20, v21
	v_add_f32_e32 v14, v14, v19
	s_delay_alu instid0(VALU_DEP_1) | instskip(NEXT) | instid1(VALU_DEP_1)
	v_add_f32_e32 v14, v24, v14
	v_cndmask_b32_e64 v6, v14, v6, s7
	s_delay_alu instid0(VALU_DEP_1)
	v_add_f32_e32 v19, v5, v6
.LBB116_12:
	s_or_b32 exec_lo, exec_lo, s9
	s_delay_alu instid0(VALU_DEP_1) | instskip(SKIP_1) | instid1(VALU_DEP_2)
	v_dual_max_f32 v5, v19, v19 :: v_dual_max_f32 v14, v4, v4
	v_cmp_u_f32_e64 s7, v19, v19
	v_min_f32_e32 v6, v5, v14
	v_max_f32_e32 v5, v5, v14
	s_delay_alu instid0(VALU_DEP_2) | instskip(NEXT) | instid1(VALU_DEP_2)
	v_cndmask_b32_e64 v6, v6, v19, s7
	v_cndmask_b32_e64 v5, v5, v19, s7
	v_cmp_u_f32_e64 s7, v4, v4
	s_delay_alu instid0(VALU_DEP_1) | instskip(NEXT) | instid1(VALU_DEP_3)
	v_cndmask_b32_e64 v6, v6, v4, s7
	v_cndmask_b32_e64 v5, v5, v4, s7
	s_delay_alu instid0(VALU_DEP_2) | instskip(NEXT) | instid1(VALU_DEP_2)
	v_cmp_class_f32_e64 s10, v6, 0x1f8
	v_cmp_neq_f32_e64 s9, v6, v5
	s_delay_alu instid0(VALU_DEP_1) | instskip(NEXT) | instid1(SALU_CYCLE_1)
	s_or_b32 s9, s9, s10
	s_and_saveexec_b32 s10, s9
	s_cbranch_execz .LBB116_14
; %bb.13:
	v_sub_f32_e32 v6, v6, v5
	s_delay_alu instid0(VALU_DEP_1) | instskip(NEXT) | instid1(VALU_DEP_1)
	v_mul_f32_e32 v19, 0x3fb8aa3b, v6
	v_fma_f32 v20, 0x3fb8aa3b, v6, -v19
	v_rndne_f32_e32 v21, v19
	s_delay_alu instid0(VALU_DEP_1) | instskip(NEXT) | instid1(VALU_DEP_1)
	v_dual_fmamk_f32 v20, v6, 0x32a5705f, v20 :: v_dual_sub_f32 v19, v19, v21
	v_add_f32_e32 v19, v19, v20
	v_cvt_i32_f32_e32 v20, v21
	v_cmp_ngt_f32_e64 s9, 0xc2ce8ed0, v6
	s_delay_alu instid0(VALU_DEP_3) | instskip(SKIP_2) | instid1(VALU_DEP_1)
	v_exp_f32_e32 v19, v19
	s_waitcnt_depctr 0xfff
	v_ldexp_f32 v19, v19, v20
	v_cndmask_b32_e64 v19, 0, v19, s9
	v_cmp_nlt_f32_e64 s9, 0x42b17218, v6
	s_delay_alu instid0(VALU_DEP_1) | instskip(NEXT) | instid1(VALU_DEP_1)
	v_cndmask_b32_e64 v6, 0x7f800000, v19, s9
	v_add_f32_e32 v21, 1.0, v6
	v_cmp_gt_f32_e64 s11, 0x33800000, |v6|
	s_delay_alu instid0(VALU_DEP_2) | instskip(NEXT) | instid1(VALU_DEP_1)
	v_cvt_f64_f32_e32 v[19:20], v21
	v_frexp_exp_i32_f64_e32 v19, v[19:20]
	v_frexp_mant_f32_e32 v20, v21
	s_delay_alu instid0(VALU_DEP_1) | instskip(SKIP_1) | instid1(VALU_DEP_1)
	v_cmp_gt_f32_e64 s9, 0x3f2aaaab, v20
	v_add_f32_e32 v20, -1.0, v21
	v_dual_sub_f32 v23, v20, v21 :: v_dual_sub_f32 v20, v6, v20
	s_delay_alu instid0(VALU_DEP_3) | instskip(SKIP_1) | instid1(VALU_DEP_1)
	v_subrev_co_ci_u32_e64 v19, s9, 0, v19, s9
	s_mov_b32 s9, 0x3e9b6dac
	v_sub_nc_u32_e32 v22, 0, v19
	v_cvt_f32_i32_e32 v19, v19
	s_delay_alu instid0(VALU_DEP_2) | instskip(NEXT) | instid1(VALU_DEP_1)
	v_ldexp_f32 v21, v21, v22
	v_dual_add_f32 v23, 1.0, v23 :: v_dual_add_f32 v24, 1.0, v21
	s_delay_alu instid0(VALU_DEP_1) | instskip(NEXT) | instid1(VALU_DEP_1)
	v_dual_add_f32 v20, v20, v23 :: v_dual_add_f32 v23, -1.0, v24
	v_ldexp_f32 v20, v20, v22
	s_delay_alu instid0(VALU_DEP_2) | instskip(NEXT) | instid1(VALU_DEP_1)
	v_dual_add_f32 v22, -1.0, v21 :: v_dual_sub_f32 v23, v21, v23
	v_add_f32_e32 v25, 1.0, v22
	s_delay_alu instid0(VALU_DEP_2) | instskip(NEXT) | instid1(VALU_DEP_2)
	v_add_f32_e32 v23, v20, v23
	v_sub_f32_e32 v21, v21, v25
	s_delay_alu instid0(VALU_DEP_1) | instskip(NEXT) | instid1(VALU_DEP_1)
	v_add_f32_e32 v20, v20, v21
	v_dual_add_f32 v26, v22, v20 :: v_dual_add_f32 v25, v24, v23
	s_delay_alu instid0(VALU_DEP_1) | instskip(NEXT) | instid1(VALU_DEP_2)
	v_sub_f32_e32 v22, v22, v26
	v_rcp_f32_e32 v21, v25
	v_sub_f32_e32 v24, v24, v25
	s_delay_alu instid0(VALU_DEP_1) | instskip(SKIP_2) | instid1(VALU_DEP_1)
	v_dual_add_f32 v20, v20, v22 :: v_dual_add_f32 v23, v23, v24
	s_waitcnt_depctr 0xfff
	v_mul_f32_e32 v27, v26, v21
	v_mul_f32_e32 v28, v25, v27
	s_delay_alu instid0(VALU_DEP_1) | instskip(NEXT) | instid1(VALU_DEP_1)
	v_fma_f32 v24, v27, v25, -v28
	v_fmac_f32_e32 v24, v27, v23
	s_delay_alu instid0(VALU_DEP_1) | instskip(NEXT) | instid1(VALU_DEP_1)
	v_add_f32_e32 v29, v28, v24
	v_sub_f32_e32 v30, v26, v29
	s_delay_alu instid0(VALU_DEP_1) | instskip(SKIP_1) | instid1(VALU_DEP_2)
	v_sub_f32_e32 v26, v26, v30
	v_sub_f32_e32 v22, v29, v28
	v_sub_f32_e32 v26, v26, v29
	s_delay_alu instid0(VALU_DEP_2) | instskip(NEXT) | instid1(VALU_DEP_2)
	v_sub_f32_e32 v22, v22, v24
	v_add_f32_e32 v20, v20, v26
	s_delay_alu instid0(VALU_DEP_1) | instskip(NEXT) | instid1(VALU_DEP_1)
	v_add_f32_e32 v20, v22, v20
	v_add_f32_e32 v22, v30, v20
	s_delay_alu instid0(VALU_DEP_1) | instskip(NEXT) | instid1(VALU_DEP_1)
	v_mul_f32_e32 v24, v21, v22
	v_dual_sub_f32 v29, v30, v22 :: v_dual_mul_f32 v26, v25, v24
	s_delay_alu instid0(VALU_DEP_1) | instskip(NEXT) | instid1(VALU_DEP_2)
	v_add_f32_e32 v20, v20, v29
	v_fma_f32 v25, v24, v25, -v26
	s_delay_alu instid0(VALU_DEP_1) | instskip(NEXT) | instid1(VALU_DEP_1)
	v_fmac_f32_e32 v25, v24, v23
	v_add_f32_e32 v23, v26, v25
	s_delay_alu instid0(VALU_DEP_1) | instskip(SKIP_1) | instid1(VALU_DEP_2)
	v_sub_f32_e32 v28, v22, v23
	v_sub_f32_e32 v26, v23, v26
	;; [unrolled: 1-line block ×3, first 2 shown]
	s_delay_alu instid0(VALU_DEP_1) | instskip(NEXT) | instid1(VALU_DEP_1)
	v_sub_f32_e32 v22, v22, v23
	v_dual_sub_f32 v23, v26, v25 :: v_dual_add_f32 v20, v20, v22
	v_add_f32_e32 v22, v27, v24
	s_delay_alu instid0(VALU_DEP_1) | instskip(NEXT) | instid1(VALU_DEP_1)
	v_dual_add_f32 v20, v23, v20 :: v_dual_sub_f32 v23, v22, v27
	v_add_f32_e32 v20, v28, v20
	s_delay_alu instid0(VALU_DEP_1) | instskip(NEXT) | instid1(VALU_DEP_1)
	v_dual_sub_f32 v23, v24, v23 :: v_dual_mul_f32 v20, v21, v20
	v_add_f32_e32 v20, v23, v20
	s_delay_alu instid0(VALU_DEP_1) | instskip(NEXT) | instid1(VALU_DEP_1)
	v_add_f32_e32 v21, v22, v20
	v_mul_f32_e32 v23, v21, v21
	s_delay_alu instid0(VALU_DEP_1) | instskip(SKIP_2) | instid1(VALU_DEP_3)
	v_fmaak_f32 v24, s9, v23, 0x3ecc95a3
	v_mul_f32_e32 v25, v21, v23
	v_cmp_eq_f32_e64 s9, 0x7f800000, v6
	v_fmaak_f32 v23, v23, v24, 0x3f2aaada
	v_ldexp_f32 v24, v21, 1
	v_sub_f32_e32 v21, v21, v22
	s_delay_alu instid0(VALU_DEP_4) | instskip(NEXT) | instid1(VALU_DEP_3)
	s_or_b32 s9, s9, s11
	v_mul_f32_e32 v23, v25, v23
	s_delay_alu instid0(VALU_DEP_2) | instskip(NEXT) | instid1(VALU_DEP_2)
	v_dual_mul_f32 v25, 0x3f317218, v19 :: v_dual_sub_f32 v20, v20, v21
	v_add_f32_e32 v22, v24, v23
	s_delay_alu instid0(VALU_DEP_2) | instskip(NEXT) | instid1(VALU_DEP_2)
	v_ldexp_f32 v20, v20, 1
	v_sub_f32_e32 v21, v22, v24
	s_delay_alu instid0(VALU_DEP_4) | instskip(NEXT) | instid1(VALU_DEP_2)
	v_fma_f32 v24, 0x3f317218, v19, -v25
	v_sub_f32_e32 v21, v23, v21
	s_delay_alu instid0(VALU_DEP_1) | instskip(NEXT) | instid1(VALU_DEP_1)
	v_dual_fmamk_f32 v19, v19, 0xb102e308, v24 :: v_dual_add_f32 v20, v20, v21
	v_add_f32_e32 v21, v25, v19
	s_delay_alu instid0(VALU_DEP_1) | instskip(NEXT) | instid1(VALU_DEP_1)
	v_sub_f32_e32 v25, v21, v25
	v_sub_f32_e32 v19, v19, v25
	s_delay_alu instid0(VALU_DEP_4) | instskip(NEXT) | instid1(VALU_DEP_1)
	v_add_f32_e32 v23, v22, v20
	v_sub_f32_e32 v22, v23, v22
	s_delay_alu instid0(VALU_DEP_1) | instskip(SKIP_1) | instid1(VALU_DEP_1)
	v_sub_f32_e32 v20, v20, v22
	v_add_f32_e32 v24, v21, v23
	v_sub_f32_e32 v26, v24, v21
	s_delay_alu instid0(VALU_DEP_1) | instskip(NEXT) | instid1(VALU_DEP_4)
	v_sub_f32_e32 v22, v23, v26
	v_add_f32_e32 v23, v19, v20
	v_sub_f32_e32 v27, v24, v26
	s_delay_alu instid0(VALU_DEP_1) | instskip(NEXT) | instid1(VALU_DEP_1)
	v_sub_f32_e32 v21, v21, v27
	v_dual_add_f32 v21, v22, v21 :: v_dual_sub_f32 v22, v23, v19
	s_delay_alu instid0(VALU_DEP_1) | instskip(SKIP_1) | instid1(VALU_DEP_2)
	v_dual_add_f32 v21, v23, v21 :: v_dual_sub_f32 v20, v20, v22
	v_sub_f32_e32 v23, v23, v22
	v_add_f32_e32 v25, v24, v21
	s_delay_alu instid0(VALU_DEP_1) | instskip(NEXT) | instid1(VALU_DEP_1)
	v_dual_sub_f32 v19, v19, v23 :: v_dual_sub_f32 v22, v25, v24
	v_dual_add_f32 v19, v20, v19 :: v_dual_sub_f32 v20, v21, v22
	s_delay_alu instid0(VALU_DEP_1) | instskip(NEXT) | instid1(VALU_DEP_1)
	v_add_f32_e32 v19, v19, v20
	v_add_f32_e32 v19, v25, v19
	s_delay_alu instid0(VALU_DEP_1) | instskip(NEXT) | instid1(VALU_DEP_1)
	v_cndmask_b32_e64 v6, v19, v6, s9
	v_add_f32_e32 v19, v5, v6
.LBB116_14:
	s_or_b32 exec_lo, exec_lo, s10
	s_load_b64 s[10:11], s[0:1], 0x18
	s_mov_b32 s9, exec_lo
	ds_store_b32 v8, v19
	s_waitcnt lgkmcnt(0)
	s_barrier
	buffer_gl0_inv
	v_cmpx_gt_u32_e32 32, v0
	s_cbranch_execz .LBB116_66
; %bb.15:
	v_and_b32_e32 v5, 0xfc, v0
	s_delay_alu instid0(VALU_DEP_1)
	v_lshl_or_b32 v20, v0, 5, v5
	ds_load_2addr_b32 v[5:6], v20 offset1:1
	s_waitcnt lgkmcnt(0)
	v_dual_max_f32 v22, v6, v6 :: v_dual_max_f32 v21, v5, v5
	v_cmp_u_f32_e64 s0, v5, v5
	v_cmp_u_f32_e64 s1, v6, v6
	s_delay_alu instid0(VALU_DEP_3) | instskip(SKIP_1) | instid1(VALU_DEP_2)
	v_min_f32_e32 v23, v21, v22
	v_max_f32_e32 v22, v21, v22
	v_cndmask_b32_e64 v23, v23, v5, s0
	s_delay_alu instid0(VALU_DEP_2) | instskip(NEXT) | instid1(VALU_DEP_2)
	v_cndmask_b32_e64 v24, v22, v5, s0
	v_cndmask_b32_e64 v22, v23, v6, s1
	s_delay_alu instid0(VALU_DEP_2) | instskip(SKIP_1) | instid1(VALU_DEP_3)
	v_cndmask_b32_e64 v6, v24, v6, s1
	v_mov_b32_e32 v23, v5
	v_cmp_class_f32_e64 s12, v22, 0x1f8
	s_delay_alu instid0(VALU_DEP_3) | instskip(NEXT) | instid1(VALU_DEP_1)
	v_cmp_neq_f32_e64 s1, v22, v6
	s_or_b32 s1, s1, s12
	s_delay_alu instid0(SALU_CYCLE_1)
	s_and_saveexec_b32 s12, s1
	s_cbranch_execz .LBB116_17
; %bb.16:
	v_sub_f32_e32 v22, v22, v6
	s_delay_alu instid0(VALU_DEP_1) | instskip(NEXT) | instid1(VALU_DEP_1)
	v_mul_f32_e32 v23, 0x3fb8aa3b, v22
	v_fma_f32 v24, 0x3fb8aa3b, v22, -v23
	v_rndne_f32_e32 v25, v23
	s_delay_alu instid0(VALU_DEP_1) | instskip(SKIP_1) | instid1(VALU_DEP_2)
	v_dual_sub_f32 v23, v23, v25 :: v_dual_fmamk_f32 v24, v22, 0x32a5705f, v24
	v_cmp_ngt_f32_e64 s1, 0xc2ce8ed0, v22
	v_add_f32_e32 v23, v23, v24
	v_cvt_i32_f32_e32 v24, v25
	s_delay_alu instid0(VALU_DEP_2) | instskip(SKIP_2) | instid1(VALU_DEP_1)
	v_exp_f32_e32 v23, v23
	s_waitcnt_depctr 0xfff
	v_ldexp_f32 v23, v23, v24
	v_cndmask_b32_e64 v23, 0, v23, s1
	v_cmp_nlt_f32_e64 s1, 0x42b17218, v22
	s_delay_alu instid0(VALU_DEP_1) | instskip(NEXT) | instid1(VALU_DEP_1)
	v_cndmask_b32_e64 v24, 0x7f800000, v23, s1
	v_add_f32_e32 v25, 1.0, v24
	v_cmp_gt_f32_e64 s13, 0x33800000, |v24|
	s_delay_alu instid0(VALU_DEP_2) | instskip(NEXT) | instid1(VALU_DEP_1)
	v_cvt_f64_f32_e32 v[22:23], v25
	v_frexp_exp_i32_f64_e32 v22, v[22:23]
	v_frexp_mant_f32_e32 v23, v25
	s_delay_alu instid0(VALU_DEP_1) | instskip(SKIP_1) | instid1(VALU_DEP_1)
	v_cmp_gt_f32_e64 s1, 0x3f2aaaab, v23
	v_add_f32_e32 v23, -1.0, v25
	v_sub_f32_e32 v27, v23, v25
	v_sub_f32_e32 v23, v24, v23
	s_delay_alu instid0(VALU_DEP_4) | instskip(SKIP_1) | instid1(VALU_DEP_1)
	v_subrev_co_ci_u32_e64 v22, s1, 0, v22, s1
	s_mov_b32 s1, 0x3e9b6dac
	v_sub_nc_u32_e32 v26, 0, v22
	v_cvt_f32_i32_e32 v22, v22
	s_delay_alu instid0(VALU_DEP_2) | instskip(NEXT) | instid1(VALU_DEP_1)
	v_ldexp_f32 v25, v25, v26
	v_dual_add_f32 v28, 1.0, v25 :: v_dual_add_f32 v27, 1.0, v27
	s_delay_alu instid0(VALU_DEP_1) | instskip(NEXT) | instid1(VALU_DEP_2)
	v_add_f32_e32 v23, v23, v27
	v_add_f32_e32 v27, -1.0, v28
	s_delay_alu instid0(VALU_DEP_2) | instskip(NEXT) | instid1(VALU_DEP_2)
	v_ldexp_f32 v23, v23, v26
	v_dual_add_f32 v26, -1.0, v25 :: v_dual_sub_f32 v27, v25, v27
	s_delay_alu instid0(VALU_DEP_1) | instskip(NEXT) | instid1(VALU_DEP_2)
	v_add_f32_e32 v29, 1.0, v26
	v_add_f32_e32 v27, v23, v27
	s_delay_alu instid0(VALU_DEP_2) | instskip(NEXT) | instid1(VALU_DEP_2)
	v_sub_f32_e32 v25, v25, v29
	v_add_f32_e32 v29, v28, v27
	s_delay_alu instid0(VALU_DEP_2) | instskip(NEXT) | instid1(VALU_DEP_2)
	v_add_f32_e32 v23, v23, v25
	v_rcp_f32_e32 v25, v29
	v_sub_f32_e32 v28, v28, v29
	s_delay_alu instid0(VALU_DEP_1) | instskip(NEXT) | instid1(VALU_DEP_1)
	v_dual_add_f32 v30, v26, v23 :: v_dual_add_f32 v27, v27, v28
	v_sub_f32_e32 v26, v26, v30
	s_waitcnt_depctr 0xfff
	v_mul_f32_e32 v31, v30, v25
	s_delay_alu instid0(VALU_DEP_1) | instskip(NEXT) | instid1(VALU_DEP_1)
	v_dual_add_f32 v23, v23, v26 :: v_dual_mul_f32 v32, v29, v31
	v_fma_f32 v28, v31, v29, -v32
	s_delay_alu instid0(VALU_DEP_1) | instskip(NEXT) | instid1(VALU_DEP_1)
	v_fmac_f32_e32 v28, v31, v27
	v_add_f32_e32 v33, v32, v28
	s_delay_alu instid0(VALU_DEP_1) | instskip(SKIP_1) | instid1(VALU_DEP_2)
	v_sub_f32_e32 v34, v30, v33
	v_sub_f32_e32 v26, v33, v32
	;; [unrolled: 1-line block ×3, first 2 shown]
	s_delay_alu instid0(VALU_DEP_2) | instskip(NEXT) | instid1(VALU_DEP_2)
	v_sub_f32_e32 v26, v26, v28
	v_sub_f32_e32 v30, v30, v33
	s_delay_alu instid0(VALU_DEP_1) | instskip(NEXT) | instid1(VALU_DEP_1)
	v_add_f32_e32 v23, v23, v30
	v_add_f32_e32 v23, v26, v23
	s_delay_alu instid0(VALU_DEP_1) | instskip(NEXT) | instid1(VALU_DEP_1)
	v_add_f32_e32 v26, v34, v23
	v_mul_f32_e32 v28, v25, v26
	s_delay_alu instid0(VALU_DEP_1) | instskip(NEXT) | instid1(VALU_DEP_1)
	v_dual_sub_f32 v33, v34, v26 :: v_dual_mul_f32 v30, v29, v28
	v_add_f32_e32 v23, v23, v33
	s_delay_alu instid0(VALU_DEP_2) | instskip(NEXT) | instid1(VALU_DEP_1)
	v_fma_f32 v29, v28, v29, -v30
	v_fmac_f32_e32 v29, v28, v27
	s_delay_alu instid0(VALU_DEP_1) | instskip(NEXT) | instid1(VALU_DEP_1)
	v_add_f32_e32 v27, v30, v29
	v_sub_f32_e32 v32, v26, v27
	v_sub_f32_e32 v30, v27, v30
	s_delay_alu instid0(VALU_DEP_2) | instskip(NEXT) | instid1(VALU_DEP_1)
	v_sub_f32_e32 v26, v26, v32
	v_sub_f32_e32 v26, v26, v27
	s_delay_alu instid0(VALU_DEP_3) | instskip(NEXT) | instid1(VALU_DEP_2)
	v_sub_f32_e32 v27, v30, v29
	v_add_f32_e32 v23, v23, v26
	v_add_f32_e32 v26, v31, v28
	s_delay_alu instid0(VALU_DEP_2) | instskip(NEXT) | instid1(VALU_DEP_2)
	v_add_f32_e32 v23, v27, v23
	v_sub_f32_e32 v27, v26, v31
	s_delay_alu instid0(VALU_DEP_2) | instskip(NEXT) | instid1(VALU_DEP_2)
	v_add_f32_e32 v23, v32, v23
	v_sub_f32_e32 v27, v28, v27
	s_delay_alu instid0(VALU_DEP_2) | instskip(NEXT) | instid1(VALU_DEP_1)
	v_mul_f32_e32 v23, v25, v23
	v_add_f32_e32 v23, v27, v23
	s_delay_alu instid0(VALU_DEP_1) | instskip(NEXT) | instid1(VALU_DEP_1)
	v_add_f32_e32 v25, v26, v23
	v_mul_f32_e32 v27, v25, v25
	s_delay_alu instid0(VALU_DEP_1) | instskip(SKIP_2) | instid1(VALU_DEP_3)
	v_fmaak_f32 v28, s1, v27, 0x3ecc95a3
	v_mul_f32_e32 v29, v25, v27
	v_cmp_eq_f32_e64 s1, 0x7f800000, v24
	v_fmaak_f32 v27, v27, v28, 0x3f2aaada
	v_ldexp_f32 v28, v25, 1
	v_sub_f32_e32 v25, v25, v26
	s_delay_alu instid0(VALU_DEP_4) | instskip(NEXT) | instid1(VALU_DEP_3)
	s_or_b32 s1, s1, s13
	v_mul_f32_e32 v27, v29, v27
	v_mul_f32_e32 v29, 0x3f317218, v22
	s_delay_alu instid0(VALU_DEP_2) | instskip(NEXT) | instid1(VALU_DEP_1)
	v_dual_sub_f32 v23, v23, v25 :: v_dual_add_f32 v26, v28, v27
	v_ldexp_f32 v23, v23, 1
	s_delay_alu instid0(VALU_DEP_2) | instskip(NEXT) | instid1(VALU_DEP_4)
	v_sub_f32_e32 v25, v26, v28
	v_fma_f32 v28, 0x3f317218, v22, -v29
	s_delay_alu instid0(VALU_DEP_1) | instskip(NEXT) | instid1(VALU_DEP_1)
	v_dual_sub_f32 v25, v27, v25 :: v_dual_fmamk_f32 v22, v22, 0xb102e308, v28
	v_add_f32_e32 v23, v23, v25
	s_delay_alu instid0(VALU_DEP_2) | instskip(NEXT) | instid1(VALU_DEP_2)
	v_add_f32_e32 v25, v29, v22
	v_add_f32_e32 v27, v26, v23
	s_delay_alu instid0(VALU_DEP_2) | instskip(NEXT) | instid1(VALU_DEP_2)
	v_sub_f32_e32 v29, v25, v29
	v_add_f32_e32 v28, v25, v27
	v_sub_f32_e32 v26, v27, v26
	s_delay_alu instid0(VALU_DEP_3) | instskip(NEXT) | instid1(VALU_DEP_2)
	v_sub_f32_e32 v22, v22, v29
	v_dual_sub_f32 v30, v28, v25 :: v_dual_sub_f32 v23, v23, v26
	s_delay_alu instid0(VALU_DEP_1) | instskip(NEXT) | instid1(VALU_DEP_2)
	v_sub_f32_e32 v31, v28, v30
	v_dual_sub_f32 v26, v27, v30 :: v_dual_add_f32 v27, v22, v23
	s_delay_alu instid0(VALU_DEP_2) | instskip(NEXT) | instid1(VALU_DEP_1)
	v_sub_f32_e32 v25, v25, v31
	v_dual_add_f32 v25, v26, v25 :: v_dual_sub_f32 v26, v27, v22
	s_delay_alu instid0(VALU_DEP_1) | instskip(NEXT) | instid1(VALU_DEP_2)
	v_add_f32_e32 v25, v27, v25
	v_sub_f32_e32 v27, v27, v26
	v_sub_f32_e32 v23, v23, v26
	s_delay_alu instid0(VALU_DEP_2) | instskip(NEXT) | instid1(VALU_DEP_1)
	v_dual_add_f32 v29, v28, v25 :: v_dual_sub_f32 v22, v22, v27
	v_sub_f32_e32 v26, v29, v28
	s_delay_alu instid0(VALU_DEP_2) | instskip(NEXT) | instid1(VALU_DEP_2)
	v_add_f32_e32 v22, v23, v22
	v_sub_f32_e32 v23, v25, v26
	s_delay_alu instid0(VALU_DEP_1) | instskip(NEXT) | instid1(VALU_DEP_1)
	v_add_f32_e32 v22, v22, v23
	v_add_f32_e32 v22, v29, v22
	s_delay_alu instid0(VALU_DEP_1) | instskip(NEXT) | instid1(VALU_DEP_1)
	v_cndmask_b32_e64 v22, v22, v24, s1
	v_add_f32_e32 v23, v6, v22
.LBB116_17:
	s_or_b32 exec_lo, exec_lo, s12
	ds_load_b32 v6, v20 offset:8
	v_max_f32_e32 v22, v23, v23
	v_cmp_u_f32_e64 s1, v23, v23
	s_waitcnt lgkmcnt(0)
	v_max_f32_e32 v24, v6, v6
	s_delay_alu instid0(VALU_DEP_1) | instskip(SKIP_1) | instid1(VALU_DEP_2)
	v_min_f32_e32 v25, v22, v24
	v_max_f32_e32 v22, v22, v24
	v_cndmask_b32_e64 v24, v25, v23, s1
	s_delay_alu instid0(VALU_DEP_2) | instskip(SKIP_1) | instid1(VALU_DEP_1)
	v_cndmask_b32_e64 v25, v22, v23, s1
	v_cmp_u_f32_e64 s1, v6, v6
	v_cndmask_b32_e64 v22, v24, v6, s1
	s_delay_alu instid0(VALU_DEP_3) | instskip(NEXT) | instid1(VALU_DEP_2)
	v_cndmask_b32_e64 v6, v25, v6, s1
	v_cmp_class_f32_e64 s12, v22, 0x1f8
	s_delay_alu instid0(VALU_DEP_2) | instskip(NEXT) | instid1(VALU_DEP_1)
	v_cmp_neq_f32_e64 s1, v22, v6
	s_or_b32 s1, s1, s12
	s_delay_alu instid0(SALU_CYCLE_1)
	s_and_saveexec_b32 s12, s1
	s_cbranch_execz .LBB116_19
; %bb.18:
	v_sub_f32_e32 v22, v22, v6
	s_delay_alu instid0(VALU_DEP_1) | instskip(NEXT) | instid1(VALU_DEP_1)
	v_mul_f32_e32 v23, 0x3fb8aa3b, v22
	v_fma_f32 v24, 0x3fb8aa3b, v22, -v23
	v_rndne_f32_e32 v25, v23
	s_delay_alu instid0(VALU_DEP_1) | instskip(SKIP_1) | instid1(VALU_DEP_2)
	v_dual_sub_f32 v23, v23, v25 :: v_dual_fmamk_f32 v24, v22, 0x32a5705f, v24
	v_cmp_ngt_f32_e64 s1, 0xc2ce8ed0, v22
	v_add_f32_e32 v23, v23, v24
	v_cvt_i32_f32_e32 v24, v25
	s_delay_alu instid0(VALU_DEP_2) | instskip(SKIP_2) | instid1(VALU_DEP_1)
	v_exp_f32_e32 v23, v23
	s_waitcnt_depctr 0xfff
	v_ldexp_f32 v23, v23, v24
	v_cndmask_b32_e64 v23, 0, v23, s1
	v_cmp_nlt_f32_e64 s1, 0x42b17218, v22
	s_delay_alu instid0(VALU_DEP_1) | instskip(NEXT) | instid1(VALU_DEP_1)
	v_cndmask_b32_e64 v24, 0x7f800000, v23, s1
	v_add_f32_e32 v25, 1.0, v24
	v_cmp_gt_f32_e64 s13, 0x33800000, |v24|
	s_delay_alu instid0(VALU_DEP_2) | instskip(NEXT) | instid1(VALU_DEP_1)
	v_cvt_f64_f32_e32 v[22:23], v25
	v_frexp_exp_i32_f64_e32 v22, v[22:23]
	v_frexp_mant_f32_e32 v23, v25
	s_delay_alu instid0(VALU_DEP_1) | instskip(SKIP_1) | instid1(VALU_DEP_1)
	v_cmp_gt_f32_e64 s1, 0x3f2aaaab, v23
	v_add_f32_e32 v23, -1.0, v25
	v_sub_f32_e32 v27, v23, v25
	v_sub_f32_e32 v23, v24, v23
	s_delay_alu instid0(VALU_DEP_4) | instskip(SKIP_1) | instid1(VALU_DEP_1)
	v_subrev_co_ci_u32_e64 v22, s1, 0, v22, s1
	s_mov_b32 s1, 0x3e9b6dac
	v_sub_nc_u32_e32 v26, 0, v22
	v_cvt_f32_i32_e32 v22, v22
	s_delay_alu instid0(VALU_DEP_2) | instskip(NEXT) | instid1(VALU_DEP_1)
	v_ldexp_f32 v25, v25, v26
	v_dual_add_f32 v28, 1.0, v25 :: v_dual_add_f32 v27, 1.0, v27
	s_delay_alu instid0(VALU_DEP_1) | instskip(NEXT) | instid1(VALU_DEP_2)
	v_add_f32_e32 v23, v23, v27
	v_add_f32_e32 v27, -1.0, v28
	s_delay_alu instid0(VALU_DEP_2) | instskip(NEXT) | instid1(VALU_DEP_2)
	v_ldexp_f32 v23, v23, v26
	v_dual_add_f32 v26, -1.0, v25 :: v_dual_sub_f32 v27, v25, v27
	s_delay_alu instid0(VALU_DEP_1) | instskip(NEXT) | instid1(VALU_DEP_2)
	v_add_f32_e32 v29, 1.0, v26
	v_add_f32_e32 v27, v23, v27
	s_delay_alu instid0(VALU_DEP_2) | instskip(NEXT) | instid1(VALU_DEP_2)
	v_sub_f32_e32 v25, v25, v29
	v_add_f32_e32 v29, v28, v27
	s_delay_alu instid0(VALU_DEP_2) | instskip(NEXT) | instid1(VALU_DEP_2)
	v_add_f32_e32 v23, v23, v25
	v_rcp_f32_e32 v25, v29
	v_sub_f32_e32 v28, v28, v29
	s_delay_alu instid0(VALU_DEP_1) | instskip(NEXT) | instid1(VALU_DEP_1)
	v_dual_add_f32 v30, v26, v23 :: v_dual_add_f32 v27, v27, v28
	v_sub_f32_e32 v26, v26, v30
	s_waitcnt_depctr 0xfff
	v_mul_f32_e32 v31, v30, v25
	s_delay_alu instid0(VALU_DEP_1) | instskip(NEXT) | instid1(VALU_DEP_1)
	v_dual_add_f32 v23, v23, v26 :: v_dual_mul_f32 v32, v29, v31
	v_fma_f32 v28, v31, v29, -v32
	s_delay_alu instid0(VALU_DEP_1) | instskip(NEXT) | instid1(VALU_DEP_1)
	v_fmac_f32_e32 v28, v31, v27
	v_add_f32_e32 v33, v32, v28
	s_delay_alu instid0(VALU_DEP_1) | instskip(SKIP_1) | instid1(VALU_DEP_2)
	v_sub_f32_e32 v34, v30, v33
	v_sub_f32_e32 v26, v33, v32
	;; [unrolled: 1-line block ×3, first 2 shown]
	s_delay_alu instid0(VALU_DEP_2) | instskip(NEXT) | instid1(VALU_DEP_2)
	v_sub_f32_e32 v26, v26, v28
	v_sub_f32_e32 v30, v30, v33
	s_delay_alu instid0(VALU_DEP_1) | instskip(NEXT) | instid1(VALU_DEP_1)
	v_add_f32_e32 v23, v23, v30
	v_add_f32_e32 v23, v26, v23
	s_delay_alu instid0(VALU_DEP_1) | instskip(NEXT) | instid1(VALU_DEP_1)
	v_add_f32_e32 v26, v34, v23
	v_mul_f32_e32 v28, v25, v26
	s_delay_alu instid0(VALU_DEP_1) | instskip(NEXT) | instid1(VALU_DEP_1)
	v_dual_sub_f32 v33, v34, v26 :: v_dual_mul_f32 v30, v29, v28
	v_add_f32_e32 v23, v23, v33
	s_delay_alu instid0(VALU_DEP_2) | instskip(NEXT) | instid1(VALU_DEP_1)
	v_fma_f32 v29, v28, v29, -v30
	v_fmac_f32_e32 v29, v28, v27
	s_delay_alu instid0(VALU_DEP_1) | instskip(NEXT) | instid1(VALU_DEP_1)
	v_add_f32_e32 v27, v30, v29
	v_sub_f32_e32 v32, v26, v27
	v_sub_f32_e32 v30, v27, v30
	s_delay_alu instid0(VALU_DEP_2) | instskip(NEXT) | instid1(VALU_DEP_1)
	v_sub_f32_e32 v26, v26, v32
	v_sub_f32_e32 v26, v26, v27
	s_delay_alu instid0(VALU_DEP_3) | instskip(NEXT) | instid1(VALU_DEP_2)
	v_sub_f32_e32 v27, v30, v29
	v_add_f32_e32 v23, v23, v26
	v_add_f32_e32 v26, v31, v28
	s_delay_alu instid0(VALU_DEP_2) | instskip(NEXT) | instid1(VALU_DEP_2)
	v_add_f32_e32 v23, v27, v23
	v_sub_f32_e32 v27, v26, v31
	s_delay_alu instid0(VALU_DEP_2) | instskip(NEXT) | instid1(VALU_DEP_2)
	v_add_f32_e32 v23, v32, v23
	v_sub_f32_e32 v27, v28, v27
	s_delay_alu instid0(VALU_DEP_2) | instskip(NEXT) | instid1(VALU_DEP_1)
	v_mul_f32_e32 v23, v25, v23
	v_add_f32_e32 v23, v27, v23
	s_delay_alu instid0(VALU_DEP_1) | instskip(NEXT) | instid1(VALU_DEP_1)
	v_add_f32_e32 v25, v26, v23
	v_mul_f32_e32 v27, v25, v25
	s_delay_alu instid0(VALU_DEP_1) | instskip(SKIP_2) | instid1(VALU_DEP_3)
	v_fmaak_f32 v28, s1, v27, 0x3ecc95a3
	v_mul_f32_e32 v29, v25, v27
	v_cmp_eq_f32_e64 s1, 0x7f800000, v24
	v_fmaak_f32 v27, v27, v28, 0x3f2aaada
	v_ldexp_f32 v28, v25, 1
	v_sub_f32_e32 v25, v25, v26
	s_delay_alu instid0(VALU_DEP_4) | instskip(NEXT) | instid1(VALU_DEP_3)
	s_or_b32 s1, s1, s13
	v_mul_f32_e32 v27, v29, v27
	v_mul_f32_e32 v29, 0x3f317218, v22
	s_delay_alu instid0(VALU_DEP_2) | instskip(NEXT) | instid1(VALU_DEP_1)
	v_dual_sub_f32 v23, v23, v25 :: v_dual_add_f32 v26, v28, v27
	v_ldexp_f32 v23, v23, 1
	s_delay_alu instid0(VALU_DEP_2) | instskip(NEXT) | instid1(VALU_DEP_4)
	v_sub_f32_e32 v25, v26, v28
	v_fma_f32 v28, 0x3f317218, v22, -v29
	s_delay_alu instid0(VALU_DEP_1) | instskip(NEXT) | instid1(VALU_DEP_1)
	v_dual_sub_f32 v25, v27, v25 :: v_dual_fmamk_f32 v22, v22, 0xb102e308, v28
	v_add_f32_e32 v23, v23, v25
	s_delay_alu instid0(VALU_DEP_2) | instskip(NEXT) | instid1(VALU_DEP_2)
	v_add_f32_e32 v25, v29, v22
	v_add_f32_e32 v27, v26, v23
	s_delay_alu instid0(VALU_DEP_2) | instskip(NEXT) | instid1(VALU_DEP_2)
	v_sub_f32_e32 v29, v25, v29
	v_add_f32_e32 v28, v25, v27
	v_sub_f32_e32 v26, v27, v26
	s_delay_alu instid0(VALU_DEP_3) | instskip(NEXT) | instid1(VALU_DEP_2)
	v_sub_f32_e32 v22, v22, v29
	v_dual_sub_f32 v30, v28, v25 :: v_dual_sub_f32 v23, v23, v26
	s_delay_alu instid0(VALU_DEP_1) | instskip(NEXT) | instid1(VALU_DEP_2)
	v_sub_f32_e32 v31, v28, v30
	v_dual_sub_f32 v26, v27, v30 :: v_dual_add_f32 v27, v22, v23
	s_delay_alu instid0(VALU_DEP_2) | instskip(NEXT) | instid1(VALU_DEP_1)
	v_sub_f32_e32 v25, v25, v31
	v_dual_add_f32 v25, v26, v25 :: v_dual_sub_f32 v26, v27, v22
	s_delay_alu instid0(VALU_DEP_1) | instskip(NEXT) | instid1(VALU_DEP_2)
	v_add_f32_e32 v25, v27, v25
	v_sub_f32_e32 v27, v27, v26
	v_sub_f32_e32 v23, v23, v26
	s_delay_alu instid0(VALU_DEP_2) | instskip(NEXT) | instid1(VALU_DEP_1)
	v_dual_add_f32 v29, v28, v25 :: v_dual_sub_f32 v22, v22, v27
	v_sub_f32_e32 v26, v29, v28
	s_delay_alu instid0(VALU_DEP_2) | instskip(NEXT) | instid1(VALU_DEP_2)
	v_add_f32_e32 v22, v23, v22
	v_sub_f32_e32 v23, v25, v26
	s_delay_alu instid0(VALU_DEP_1) | instskip(NEXT) | instid1(VALU_DEP_1)
	v_add_f32_e32 v22, v22, v23
	v_add_f32_e32 v22, v29, v22
	s_delay_alu instid0(VALU_DEP_1) | instskip(NEXT) | instid1(VALU_DEP_1)
	v_cndmask_b32_e64 v22, v22, v24, s1
	v_add_f32_e32 v23, v6, v22
.LBB116_19:
	s_or_b32 exec_lo, exec_lo, s12
	ds_load_b32 v6, v20 offset:12
	v_max_f32_e32 v22, v23, v23
	v_cmp_u_f32_e64 s1, v23, v23
	s_waitcnt lgkmcnt(0)
	v_max_f32_e32 v24, v6, v6
	s_delay_alu instid0(VALU_DEP_1) | instskip(SKIP_1) | instid1(VALU_DEP_2)
	v_min_f32_e32 v25, v22, v24
	v_max_f32_e32 v22, v22, v24
	v_cndmask_b32_e64 v24, v25, v23, s1
	s_delay_alu instid0(VALU_DEP_2) | instskip(SKIP_1) | instid1(VALU_DEP_1)
	v_cndmask_b32_e64 v25, v22, v23, s1
	v_cmp_u_f32_e64 s1, v6, v6
	v_cndmask_b32_e64 v22, v24, v6, s1
	s_delay_alu instid0(VALU_DEP_3) | instskip(NEXT) | instid1(VALU_DEP_2)
	v_cndmask_b32_e64 v6, v25, v6, s1
	v_cmp_class_f32_e64 s12, v22, 0x1f8
	s_delay_alu instid0(VALU_DEP_2) | instskip(NEXT) | instid1(VALU_DEP_1)
	v_cmp_neq_f32_e64 s1, v22, v6
	s_or_b32 s1, s1, s12
	s_delay_alu instid0(SALU_CYCLE_1)
	s_and_saveexec_b32 s12, s1
	s_cbranch_execz .LBB116_21
; %bb.20:
	v_sub_f32_e32 v22, v22, v6
	s_delay_alu instid0(VALU_DEP_1) | instskip(NEXT) | instid1(VALU_DEP_1)
	v_mul_f32_e32 v23, 0x3fb8aa3b, v22
	v_fma_f32 v24, 0x3fb8aa3b, v22, -v23
	v_rndne_f32_e32 v25, v23
	s_delay_alu instid0(VALU_DEP_1) | instskip(SKIP_1) | instid1(VALU_DEP_2)
	v_dual_sub_f32 v23, v23, v25 :: v_dual_fmamk_f32 v24, v22, 0x32a5705f, v24
	v_cmp_ngt_f32_e64 s1, 0xc2ce8ed0, v22
	v_add_f32_e32 v23, v23, v24
	v_cvt_i32_f32_e32 v24, v25
	s_delay_alu instid0(VALU_DEP_2) | instskip(SKIP_2) | instid1(VALU_DEP_1)
	v_exp_f32_e32 v23, v23
	s_waitcnt_depctr 0xfff
	v_ldexp_f32 v23, v23, v24
	v_cndmask_b32_e64 v23, 0, v23, s1
	v_cmp_nlt_f32_e64 s1, 0x42b17218, v22
	s_delay_alu instid0(VALU_DEP_1) | instskip(NEXT) | instid1(VALU_DEP_1)
	v_cndmask_b32_e64 v24, 0x7f800000, v23, s1
	v_add_f32_e32 v25, 1.0, v24
	v_cmp_gt_f32_e64 s13, 0x33800000, |v24|
	s_delay_alu instid0(VALU_DEP_2) | instskip(NEXT) | instid1(VALU_DEP_1)
	v_cvt_f64_f32_e32 v[22:23], v25
	v_frexp_exp_i32_f64_e32 v22, v[22:23]
	v_frexp_mant_f32_e32 v23, v25
	s_delay_alu instid0(VALU_DEP_1) | instskip(SKIP_1) | instid1(VALU_DEP_1)
	v_cmp_gt_f32_e64 s1, 0x3f2aaaab, v23
	v_add_f32_e32 v23, -1.0, v25
	v_sub_f32_e32 v27, v23, v25
	v_sub_f32_e32 v23, v24, v23
	s_delay_alu instid0(VALU_DEP_4) | instskip(SKIP_1) | instid1(VALU_DEP_1)
	v_subrev_co_ci_u32_e64 v22, s1, 0, v22, s1
	s_mov_b32 s1, 0x3e9b6dac
	v_sub_nc_u32_e32 v26, 0, v22
	v_cvt_f32_i32_e32 v22, v22
	s_delay_alu instid0(VALU_DEP_2) | instskip(NEXT) | instid1(VALU_DEP_1)
	v_ldexp_f32 v25, v25, v26
	v_dual_add_f32 v28, 1.0, v25 :: v_dual_add_f32 v27, 1.0, v27
	s_delay_alu instid0(VALU_DEP_1) | instskip(NEXT) | instid1(VALU_DEP_2)
	v_add_f32_e32 v23, v23, v27
	v_add_f32_e32 v27, -1.0, v28
	s_delay_alu instid0(VALU_DEP_2) | instskip(NEXT) | instid1(VALU_DEP_2)
	v_ldexp_f32 v23, v23, v26
	v_dual_add_f32 v26, -1.0, v25 :: v_dual_sub_f32 v27, v25, v27
	s_delay_alu instid0(VALU_DEP_1) | instskip(NEXT) | instid1(VALU_DEP_2)
	v_add_f32_e32 v29, 1.0, v26
	v_add_f32_e32 v27, v23, v27
	s_delay_alu instid0(VALU_DEP_2) | instskip(NEXT) | instid1(VALU_DEP_2)
	v_sub_f32_e32 v25, v25, v29
	v_add_f32_e32 v29, v28, v27
	s_delay_alu instid0(VALU_DEP_2) | instskip(NEXT) | instid1(VALU_DEP_2)
	v_add_f32_e32 v23, v23, v25
	v_rcp_f32_e32 v25, v29
	v_sub_f32_e32 v28, v28, v29
	s_delay_alu instid0(VALU_DEP_1) | instskip(NEXT) | instid1(VALU_DEP_1)
	v_dual_add_f32 v30, v26, v23 :: v_dual_add_f32 v27, v27, v28
	v_sub_f32_e32 v26, v26, v30
	s_waitcnt_depctr 0xfff
	v_mul_f32_e32 v31, v30, v25
	s_delay_alu instid0(VALU_DEP_1) | instskip(NEXT) | instid1(VALU_DEP_1)
	v_dual_add_f32 v23, v23, v26 :: v_dual_mul_f32 v32, v29, v31
	v_fma_f32 v28, v31, v29, -v32
	s_delay_alu instid0(VALU_DEP_1) | instskip(NEXT) | instid1(VALU_DEP_1)
	v_fmac_f32_e32 v28, v31, v27
	v_add_f32_e32 v33, v32, v28
	s_delay_alu instid0(VALU_DEP_1) | instskip(SKIP_1) | instid1(VALU_DEP_2)
	v_sub_f32_e32 v34, v30, v33
	v_sub_f32_e32 v26, v33, v32
	;; [unrolled: 1-line block ×3, first 2 shown]
	s_delay_alu instid0(VALU_DEP_2) | instskip(NEXT) | instid1(VALU_DEP_2)
	v_sub_f32_e32 v26, v26, v28
	v_sub_f32_e32 v30, v30, v33
	s_delay_alu instid0(VALU_DEP_1) | instskip(NEXT) | instid1(VALU_DEP_1)
	v_add_f32_e32 v23, v23, v30
	v_add_f32_e32 v23, v26, v23
	s_delay_alu instid0(VALU_DEP_1) | instskip(NEXT) | instid1(VALU_DEP_1)
	v_add_f32_e32 v26, v34, v23
	v_mul_f32_e32 v28, v25, v26
	s_delay_alu instid0(VALU_DEP_1) | instskip(NEXT) | instid1(VALU_DEP_1)
	v_dual_sub_f32 v33, v34, v26 :: v_dual_mul_f32 v30, v29, v28
	v_add_f32_e32 v23, v23, v33
	s_delay_alu instid0(VALU_DEP_2) | instskip(NEXT) | instid1(VALU_DEP_1)
	v_fma_f32 v29, v28, v29, -v30
	v_fmac_f32_e32 v29, v28, v27
	s_delay_alu instid0(VALU_DEP_1) | instskip(NEXT) | instid1(VALU_DEP_1)
	v_add_f32_e32 v27, v30, v29
	v_sub_f32_e32 v32, v26, v27
	v_sub_f32_e32 v30, v27, v30
	s_delay_alu instid0(VALU_DEP_2) | instskip(NEXT) | instid1(VALU_DEP_1)
	v_sub_f32_e32 v26, v26, v32
	v_sub_f32_e32 v26, v26, v27
	s_delay_alu instid0(VALU_DEP_3) | instskip(NEXT) | instid1(VALU_DEP_2)
	v_sub_f32_e32 v27, v30, v29
	v_add_f32_e32 v23, v23, v26
	v_add_f32_e32 v26, v31, v28
	s_delay_alu instid0(VALU_DEP_2) | instskip(NEXT) | instid1(VALU_DEP_2)
	v_add_f32_e32 v23, v27, v23
	v_sub_f32_e32 v27, v26, v31
	s_delay_alu instid0(VALU_DEP_2) | instskip(NEXT) | instid1(VALU_DEP_2)
	v_add_f32_e32 v23, v32, v23
	v_sub_f32_e32 v27, v28, v27
	s_delay_alu instid0(VALU_DEP_2) | instskip(NEXT) | instid1(VALU_DEP_1)
	v_mul_f32_e32 v23, v25, v23
	v_add_f32_e32 v23, v27, v23
	s_delay_alu instid0(VALU_DEP_1) | instskip(NEXT) | instid1(VALU_DEP_1)
	v_add_f32_e32 v25, v26, v23
	v_mul_f32_e32 v27, v25, v25
	s_delay_alu instid0(VALU_DEP_1) | instskip(SKIP_2) | instid1(VALU_DEP_3)
	v_fmaak_f32 v28, s1, v27, 0x3ecc95a3
	v_mul_f32_e32 v29, v25, v27
	v_cmp_eq_f32_e64 s1, 0x7f800000, v24
	v_fmaak_f32 v27, v27, v28, 0x3f2aaada
	v_ldexp_f32 v28, v25, 1
	v_sub_f32_e32 v25, v25, v26
	s_delay_alu instid0(VALU_DEP_4) | instskip(NEXT) | instid1(VALU_DEP_3)
	s_or_b32 s1, s1, s13
	v_mul_f32_e32 v27, v29, v27
	v_mul_f32_e32 v29, 0x3f317218, v22
	s_delay_alu instid0(VALU_DEP_2) | instskip(NEXT) | instid1(VALU_DEP_1)
	v_dual_sub_f32 v23, v23, v25 :: v_dual_add_f32 v26, v28, v27
	v_ldexp_f32 v23, v23, 1
	s_delay_alu instid0(VALU_DEP_2) | instskip(NEXT) | instid1(VALU_DEP_4)
	v_sub_f32_e32 v25, v26, v28
	v_fma_f32 v28, 0x3f317218, v22, -v29
	s_delay_alu instid0(VALU_DEP_1) | instskip(NEXT) | instid1(VALU_DEP_1)
	v_dual_sub_f32 v25, v27, v25 :: v_dual_fmamk_f32 v22, v22, 0xb102e308, v28
	v_add_f32_e32 v23, v23, v25
	s_delay_alu instid0(VALU_DEP_2) | instskip(NEXT) | instid1(VALU_DEP_2)
	v_add_f32_e32 v25, v29, v22
	v_add_f32_e32 v27, v26, v23
	s_delay_alu instid0(VALU_DEP_2) | instskip(NEXT) | instid1(VALU_DEP_2)
	v_sub_f32_e32 v29, v25, v29
	v_add_f32_e32 v28, v25, v27
	v_sub_f32_e32 v26, v27, v26
	s_delay_alu instid0(VALU_DEP_3) | instskip(NEXT) | instid1(VALU_DEP_2)
	v_sub_f32_e32 v22, v22, v29
	v_dual_sub_f32 v30, v28, v25 :: v_dual_sub_f32 v23, v23, v26
	s_delay_alu instid0(VALU_DEP_1) | instskip(NEXT) | instid1(VALU_DEP_2)
	v_sub_f32_e32 v31, v28, v30
	v_dual_sub_f32 v26, v27, v30 :: v_dual_add_f32 v27, v22, v23
	s_delay_alu instid0(VALU_DEP_2) | instskip(NEXT) | instid1(VALU_DEP_1)
	v_sub_f32_e32 v25, v25, v31
	v_dual_add_f32 v25, v26, v25 :: v_dual_sub_f32 v26, v27, v22
	s_delay_alu instid0(VALU_DEP_1) | instskip(NEXT) | instid1(VALU_DEP_2)
	v_add_f32_e32 v25, v27, v25
	v_sub_f32_e32 v27, v27, v26
	v_sub_f32_e32 v23, v23, v26
	s_delay_alu instid0(VALU_DEP_2) | instskip(NEXT) | instid1(VALU_DEP_1)
	v_dual_add_f32 v29, v28, v25 :: v_dual_sub_f32 v22, v22, v27
	v_sub_f32_e32 v26, v29, v28
	s_delay_alu instid0(VALU_DEP_2) | instskip(NEXT) | instid1(VALU_DEP_2)
	v_add_f32_e32 v22, v23, v22
	v_sub_f32_e32 v23, v25, v26
	s_delay_alu instid0(VALU_DEP_1) | instskip(NEXT) | instid1(VALU_DEP_1)
	v_add_f32_e32 v22, v22, v23
	v_add_f32_e32 v22, v29, v22
	s_delay_alu instid0(VALU_DEP_1) | instskip(NEXT) | instid1(VALU_DEP_1)
	v_cndmask_b32_e64 v22, v22, v24, s1
	v_add_f32_e32 v23, v6, v22
.LBB116_21:
	s_or_b32 exec_lo, exec_lo, s12
	ds_load_b32 v6, v20 offset:16
	v_max_f32_e32 v22, v23, v23
	v_cmp_u_f32_e64 s1, v23, v23
	s_waitcnt lgkmcnt(0)
	v_max_f32_e32 v24, v6, v6
	s_delay_alu instid0(VALU_DEP_1) | instskip(SKIP_1) | instid1(VALU_DEP_2)
	v_min_f32_e32 v25, v22, v24
	v_max_f32_e32 v22, v22, v24
	v_cndmask_b32_e64 v24, v25, v23, s1
	s_delay_alu instid0(VALU_DEP_2) | instskip(SKIP_1) | instid1(VALU_DEP_1)
	v_cndmask_b32_e64 v25, v22, v23, s1
	v_cmp_u_f32_e64 s1, v6, v6
	v_cndmask_b32_e64 v22, v24, v6, s1
	s_delay_alu instid0(VALU_DEP_3) | instskip(NEXT) | instid1(VALU_DEP_2)
	v_cndmask_b32_e64 v6, v25, v6, s1
	v_cmp_class_f32_e64 s12, v22, 0x1f8
	s_delay_alu instid0(VALU_DEP_2) | instskip(NEXT) | instid1(VALU_DEP_1)
	v_cmp_neq_f32_e64 s1, v22, v6
	s_or_b32 s1, s1, s12
	s_delay_alu instid0(SALU_CYCLE_1)
	s_and_saveexec_b32 s12, s1
	s_cbranch_execz .LBB116_23
; %bb.22:
	v_sub_f32_e32 v22, v22, v6
	s_delay_alu instid0(VALU_DEP_1) | instskip(NEXT) | instid1(VALU_DEP_1)
	v_mul_f32_e32 v23, 0x3fb8aa3b, v22
	v_fma_f32 v24, 0x3fb8aa3b, v22, -v23
	v_rndne_f32_e32 v25, v23
	s_delay_alu instid0(VALU_DEP_1) | instskip(SKIP_1) | instid1(VALU_DEP_2)
	v_dual_sub_f32 v23, v23, v25 :: v_dual_fmamk_f32 v24, v22, 0x32a5705f, v24
	v_cmp_ngt_f32_e64 s1, 0xc2ce8ed0, v22
	v_add_f32_e32 v23, v23, v24
	v_cvt_i32_f32_e32 v24, v25
	s_delay_alu instid0(VALU_DEP_2) | instskip(SKIP_2) | instid1(VALU_DEP_1)
	v_exp_f32_e32 v23, v23
	s_waitcnt_depctr 0xfff
	v_ldexp_f32 v23, v23, v24
	v_cndmask_b32_e64 v23, 0, v23, s1
	v_cmp_nlt_f32_e64 s1, 0x42b17218, v22
	s_delay_alu instid0(VALU_DEP_1) | instskip(NEXT) | instid1(VALU_DEP_1)
	v_cndmask_b32_e64 v24, 0x7f800000, v23, s1
	v_add_f32_e32 v25, 1.0, v24
	v_cmp_gt_f32_e64 s13, 0x33800000, |v24|
	s_delay_alu instid0(VALU_DEP_2) | instskip(NEXT) | instid1(VALU_DEP_1)
	v_cvt_f64_f32_e32 v[22:23], v25
	v_frexp_exp_i32_f64_e32 v22, v[22:23]
	v_frexp_mant_f32_e32 v23, v25
	s_delay_alu instid0(VALU_DEP_1) | instskip(SKIP_1) | instid1(VALU_DEP_1)
	v_cmp_gt_f32_e64 s1, 0x3f2aaaab, v23
	v_add_f32_e32 v23, -1.0, v25
	v_sub_f32_e32 v27, v23, v25
	v_sub_f32_e32 v23, v24, v23
	s_delay_alu instid0(VALU_DEP_4) | instskip(SKIP_1) | instid1(VALU_DEP_1)
	v_subrev_co_ci_u32_e64 v22, s1, 0, v22, s1
	s_mov_b32 s1, 0x3e9b6dac
	v_sub_nc_u32_e32 v26, 0, v22
	v_cvt_f32_i32_e32 v22, v22
	s_delay_alu instid0(VALU_DEP_2) | instskip(NEXT) | instid1(VALU_DEP_1)
	v_ldexp_f32 v25, v25, v26
	v_dual_add_f32 v28, 1.0, v25 :: v_dual_add_f32 v27, 1.0, v27
	s_delay_alu instid0(VALU_DEP_1) | instskip(NEXT) | instid1(VALU_DEP_2)
	v_add_f32_e32 v23, v23, v27
	v_add_f32_e32 v27, -1.0, v28
	s_delay_alu instid0(VALU_DEP_2) | instskip(NEXT) | instid1(VALU_DEP_2)
	v_ldexp_f32 v23, v23, v26
	v_dual_add_f32 v26, -1.0, v25 :: v_dual_sub_f32 v27, v25, v27
	s_delay_alu instid0(VALU_DEP_1) | instskip(NEXT) | instid1(VALU_DEP_2)
	v_add_f32_e32 v29, 1.0, v26
	v_add_f32_e32 v27, v23, v27
	s_delay_alu instid0(VALU_DEP_2) | instskip(NEXT) | instid1(VALU_DEP_2)
	v_sub_f32_e32 v25, v25, v29
	v_add_f32_e32 v29, v28, v27
	s_delay_alu instid0(VALU_DEP_2) | instskip(NEXT) | instid1(VALU_DEP_2)
	v_add_f32_e32 v23, v23, v25
	v_rcp_f32_e32 v25, v29
	v_sub_f32_e32 v28, v28, v29
	s_delay_alu instid0(VALU_DEP_1) | instskip(NEXT) | instid1(VALU_DEP_1)
	v_dual_add_f32 v30, v26, v23 :: v_dual_add_f32 v27, v27, v28
	v_sub_f32_e32 v26, v26, v30
	s_waitcnt_depctr 0xfff
	v_mul_f32_e32 v31, v30, v25
	s_delay_alu instid0(VALU_DEP_1) | instskip(NEXT) | instid1(VALU_DEP_1)
	v_dual_add_f32 v23, v23, v26 :: v_dual_mul_f32 v32, v29, v31
	v_fma_f32 v28, v31, v29, -v32
	s_delay_alu instid0(VALU_DEP_1) | instskip(NEXT) | instid1(VALU_DEP_1)
	v_fmac_f32_e32 v28, v31, v27
	v_add_f32_e32 v33, v32, v28
	s_delay_alu instid0(VALU_DEP_1) | instskip(SKIP_1) | instid1(VALU_DEP_2)
	v_sub_f32_e32 v34, v30, v33
	v_sub_f32_e32 v26, v33, v32
	;; [unrolled: 1-line block ×3, first 2 shown]
	s_delay_alu instid0(VALU_DEP_2) | instskip(NEXT) | instid1(VALU_DEP_2)
	v_sub_f32_e32 v26, v26, v28
	v_sub_f32_e32 v30, v30, v33
	s_delay_alu instid0(VALU_DEP_1) | instskip(NEXT) | instid1(VALU_DEP_1)
	v_add_f32_e32 v23, v23, v30
	v_add_f32_e32 v23, v26, v23
	s_delay_alu instid0(VALU_DEP_1) | instskip(NEXT) | instid1(VALU_DEP_1)
	v_add_f32_e32 v26, v34, v23
	v_mul_f32_e32 v28, v25, v26
	s_delay_alu instid0(VALU_DEP_1) | instskip(NEXT) | instid1(VALU_DEP_1)
	v_dual_sub_f32 v33, v34, v26 :: v_dual_mul_f32 v30, v29, v28
	v_add_f32_e32 v23, v23, v33
	s_delay_alu instid0(VALU_DEP_2) | instskip(NEXT) | instid1(VALU_DEP_1)
	v_fma_f32 v29, v28, v29, -v30
	v_fmac_f32_e32 v29, v28, v27
	s_delay_alu instid0(VALU_DEP_1) | instskip(NEXT) | instid1(VALU_DEP_1)
	v_add_f32_e32 v27, v30, v29
	v_sub_f32_e32 v32, v26, v27
	v_sub_f32_e32 v30, v27, v30
	s_delay_alu instid0(VALU_DEP_2) | instskip(NEXT) | instid1(VALU_DEP_1)
	v_sub_f32_e32 v26, v26, v32
	v_sub_f32_e32 v26, v26, v27
	s_delay_alu instid0(VALU_DEP_3) | instskip(NEXT) | instid1(VALU_DEP_2)
	v_sub_f32_e32 v27, v30, v29
	v_add_f32_e32 v23, v23, v26
	v_add_f32_e32 v26, v31, v28
	s_delay_alu instid0(VALU_DEP_2) | instskip(NEXT) | instid1(VALU_DEP_2)
	v_add_f32_e32 v23, v27, v23
	v_sub_f32_e32 v27, v26, v31
	s_delay_alu instid0(VALU_DEP_2) | instskip(NEXT) | instid1(VALU_DEP_2)
	v_add_f32_e32 v23, v32, v23
	v_sub_f32_e32 v27, v28, v27
	s_delay_alu instid0(VALU_DEP_2) | instskip(NEXT) | instid1(VALU_DEP_1)
	v_mul_f32_e32 v23, v25, v23
	v_add_f32_e32 v23, v27, v23
	s_delay_alu instid0(VALU_DEP_1) | instskip(NEXT) | instid1(VALU_DEP_1)
	v_add_f32_e32 v25, v26, v23
	v_mul_f32_e32 v27, v25, v25
	s_delay_alu instid0(VALU_DEP_1) | instskip(SKIP_2) | instid1(VALU_DEP_3)
	v_fmaak_f32 v28, s1, v27, 0x3ecc95a3
	v_mul_f32_e32 v29, v25, v27
	v_cmp_eq_f32_e64 s1, 0x7f800000, v24
	v_fmaak_f32 v27, v27, v28, 0x3f2aaada
	v_ldexp_f32 v28, v25, 1
	v_sub_f32_e32 v25, v25, v26
	s_delay_alu instid0(VALU_DEP_4) | instskip(NEXT) | instid1(VALU_DEP_3)
	s_or_b32 s1, s1, s13
	v_mul_f32_e32 v27, v29, v27
	v_mul_f32_e32 v29, 0x3f317218, v22
	s_delay_alu instid0(VALU_DEP_2) | instskip(NEXT) | instid1(VALU_DEP_1)
	v_dual_sub_f32 v23, v23, v25 :: v_dual_add_f32 v26, v28, v27
	v_ldexp_f32 v23, v23, 1
	s_delay_alu instid0(VALU_DEP_2) | instskip(NEXT) | instid1(VALU_DEP_4)
	v_sub_f32_e32 v25, v26, v28
	v_fma_f32 v28, 0x3f317218, v22, -v29
	s_delay_alu instid0(VALU_DEP_1) | instskip(NEXT) | instid1(VALU_DEP_1)
	v_dual_sub_f32 v25, v27, v25 :: v_dual_fmamk_f32 v22, v22, 0xb102e308, v28
	v_add_f32_e32 v23, v23, v25
	s_delay_alu instid0(VALU_DEP_2) | instskip(NEXT) | instid1(VALU_DEP_2)
	v_add_f32_e32 v25, v29, v22
	v_add_f32_e32 v27, v26, v23
	s_delay_alu instid0(VALU_DEP_2) | instskip(NEXT) | instid1(VALU_DEP_2)
	v_sub_f32_e32 v29, v25, v29
	v_add_f32_e32 v28, v25, v27
	v_sub_f32_e32 v26, v27, v26
	s_delay_alu instid0(VALU_DEP_3) | instskip(NEXT) | instid1(VALU_DEP_2)
	v_sub_f32_e32 v22, v22, v29
	v_dual_sub_f32 v30, v28, v25 :: v_dual_sub_f32 v23, v23, v26
	s_delay_alu instid0(VALU_DEP_1) | instskip(NEXT) | instid1(VALU_DEP_2)
	v_sub_f32_e32 v31, v28, v30
	v_dual_sub_f32 v26, v27, v30 :: v_dual_add_f32 v27, v22, v23
	s_delay_alu instid0(VALU_DEP_2) | instskip(NEXT) | instid1(VALU_DEP_1)
	v_sub_f32_e32 v25, v25, v31
	v_dual_add_f32 v25, v26, v25 :: v_dual_sub_f32 v26, v27, v22
	s_delay_alu instid0(VALU_DEP_1) | instskip(NEXT) | instid1(VALU_DEP_2)
	v_add_f32_e32 v25, v27, v25
	v_sub_f32_e32 v27, v27, v26
	v_sub_f32_e32 v23, v23, v26
	s_delay_alu instid0(VALU_DEP_2) | instskip(NEXT) | instid1(VALU_DEP_1)
	v_dual_add_f32 v29, v28, v25 :: v_dual_sub_f32 v22, v22, v27
	v_sub_f32_e32 v26, v29, v28
	s_delay_alu instid0(VALU_DEP_2) | instskip(NEXT) | instid1(VALU_DEP_2)
	v_add_f32_e32 v22, v23, v22
	v_sub_f32_e32 v23, v25, v26
	s_delay_alu instid0(VALU_DEP_1) | instskip(NEXT) | instid1(VALU_DEP_1)
	v_add_f32_e32 v22, v22, v23
	v_add_f32_e32 v22, v29, v22
	s_delay_alu instid0(VALU_DEP_1) | instskip(NEXT) | instid1(VALU_DEP_1)
	v_cndmask_b32_e64 v22, v22, v24, s1
	v_add_f32_e32 v23, v6, v22
.LBB116_23:
	s_or_b32 exec_lo, exec_lo, s12
	ds_load_b32 v6, v20 offset:20
	v_max_f32_e32 v22, v23, v23
	v_cmp_u_f32_e64 s1, v23, v23
	s_waitcnt lgkmcnt(0)
	v_max_f32_e32 v24, v6, v6
	s_delay_alu instid0(VALU_DEP_1) | instskip(SKIP_1) | instid1(VALU_DEP_2)
	v_min_f32_e32 v25, v22, v24
	v_max_f32_e32 v22, v22, v24
	v_cndmask_b32_e64 v24, v25, v23, s1
	s_delay_alu instid0(VALU_DEP_2) | instskip(SKIP_1) | instid1(VALU_DEP_1)
	v_cndmask_b32_e64 v25, v22, v23, s1
	v_cmp_u_f32_e64 s1, v6, v6
	v_cndmask_b32_e64 v22, v24, v6, s1
	s_delay_alu instid0(VALU_DEP_3) | instskip(NEXT) | instid1(VALU_DEP_2)
	v_cndmask_b32_e64 v6, v25, v6, s1
	v_cmp_class_f32_e64 s12, v22, 0x1f8
	s_delay_alu instid0(VALU_DEP_2) | instskip(NEXT) | instid1(VALU_DEP_1)
	v_cmp_neq_f32_e64 s1, v22, v6
	s_or_b32 s1, s1, s12
	s_delay_alu instid0(SALU_CYCLE_1)
	s_and_saveexec_b32 s12, s1
	s_cbranch_execz .LBB116_25
; %bb.24:
	v_sub_f32_e32 v22, v22, v6
	s_delay_alu instid0(VALU_DEP_1) | instskip(NEXT) | instid1(VALU_DEP_1)
	v_mul_f32_e32 v23, 0x3fb8aa3b, v22
	v_fma_f32 v24, 0x3fb8aa3b, v22, -v23
	v_rndne_f32_e32 v25, v23
	s_delay_alu instid0(VALU_DEP_1) | instskip(SKIP_1) | instid1(VALU_DEP_2)
	v_dual_sub_f32 v23, v23, v25 :: v_dual_fmamk_f32 v24, v22, 0x32a5705f, v24
	v_cmp_ngt_f32_e64 s1, 0xc2ce8ed0, v22
	v_add_f32_e32 v23, v23, v24
	v_cvt_i32_f32_e32 v24, v25
	s_delay_alu instid0(VALU_DEP_2) | instskip(SKIP_2) | instid1(VALU_DEP_1)
	v_exp_f32_e32 v23, v23
	s_waitcnt_depctr 0xfff
	v_ldexp_f32 v23, v23, v24
	v_cndmask_b32_e64 v23, 0, v23, s1
	v_cmp_nlt_f32_e64 s1, 0x42b17218, v22
	s_delay_alu instid0(VALU_DEP_1) | instskip(NEXT) | instid1(VALU_DEP_1)
	v_cndmask_b32_e64 v24, 0x7f800000, v23, s1
	v_add_f32_e32 v25, 1.0, v24
	v_cmp_gt_f32_e64 s13, 0x33800000, |v24|
	s_delay_alu instid0(VALU_DEP_2) | instskip(NEXT) | instid1(VALU_DEP_1)
	v_cvt_f64_f32_e32 v[22:23], v25
	v_frexp_exp_i32_f64_e32 v22, v[22:23]
	v_frexp_mant_f32_e32 v23, v25
	s_delay_alu instid0(VALU_DEP_1) | instskip(SKIP_1) | instid1(VALU_DEP_1)
	v_cmp_gt_f32_e64 s1, 0x3f2aaaab, v23
	v_add_f32_e32 v23, -1.0, v25
	v_sub_f32_e32 v27, v23, v25
	v_sub_f32_e32 v23, v24, v23
	s_delay_alu instid0(VALU_DEP_4) | instskip(SKIP_1) | instid1(VALU_DEP_1)
	v_subrev_co_ci_u32_e64 v22, s1, 0, v22, s1
	s_mov_b32 s1, 0x3e9b6dac
	v_sub_nc_u32_e32 v26, 0, v22
	v_cvt_f32_i32_e32 v22, v22
	s_delay_alu instid0(VALU_DEP_2) | instskip(NEXT) | instid1(VALU_DEP_1)
	v_ldexp_f32 v25, v25, v26
	v_dual_add_f32 v28, 1.0, v25 :: v_dual_add_f32 v27, 1.0, v27
	s_delay_alu instid0(VALU_DEP_1) | instskip(NEXT) | instid1(VALU_DEP_2)
	v_add_f32_e32 v23, v23, v27
	v_add_f32_e32 v27, -1.0, v28
	s_delay_alu instid0(VALU_DEP_2) | instskip(NEXT) | instid1(VALU_DEP_2)
	v_ldexp_f32 v23, v23, v26
	v_dual_add_f32 v26, -1.0, v25 :: v_dual_sub_f32 v27, v25, v27
	s_delay_alu instid0(VALU_DEP_1) | instskip(NEXT) | instid1(VALU_DEP_2)
	v_add_f32_e32 v29, 1.0, v26
	v_add_f32_e32 v27, v23, v27
	s_delay_alu instid0(VALU_DEP_2) | instskip(NEXT) | instid1(VALU_DEP_2)
	v_sub_f32_e32 v25, v25, v29
	v_add_f32_e32 v29, v28, v27
	s_delay_alu instid0(VALU_DEP_2) | instskip(NEXT) | instid1(VALU_DEP_2)
	v_add_f32_e32 v23, v23, v25
	v_rcp_f32_e32 v25, v29
	v_sub_f32_e32 v28, v28, v29
	s_delay_alu instid0(VALU_DEP_1) | instskip(NEXT) | instid1(VALU_DEP_1)
	v_dual_add_f32 v30, v26, v23 :: v_dual_add_f32 v27, v27, v28
	v_sub_f32_e32 v26, v26, v30
	s_waitcnt_depctr 0xfff
	v_mul_f32_e32 v31, v30, v25
	s_delay_alu instid0(VALU_DEP_1) | instskip(NEXT) | instid1(VALU_DEP_1)
	v_dual_add_f32 v23, v23, v26 :: v_dual_mul_f32 v32, v29, v31
	v_fma_f32 v28, v31, v29, -v32
	s_delay_alu instid0(VALU_DEP_1) | instskip(NEXT) | instid1(VALU_DEP_1)
	v_fmac_f32_e32 v28, v31, v27
	v_add_f32_e32 v33, v32, v28
	s_delay_alu instid0(VALU_DEP_1) | instskip(SKIP_1) | instid1(VALU_DEP_2)
	v_sub_f32_e32 v34, v30, v33
	v_sub_f32_e32 v26, v33, v32
	;; [unrolled: 1-line block ×3, first 2 shown]
	s_delay_alu instid0(VALU_DEP_2) | instskip(NEXT) | instid1(VALU_DEP_2)
	v_sub_f32_e32 v26, v26, v28
	v_sub_f32_e32 v30, v30, v33
	s_delay_alu instid0(VALU_DEP_1) | instskip(NEXT) | instid1(VALU_DEP_1)
	v_add_f32_e32 v23, v23, v30
	v_add_f32_e32 v23, v26, v23
	s_delay_alu instid0(VALU_DEP_1) | instskip(NEXT) | instid1(VALU_DEP_1)
	v_add_f32_e32 v26, v34, v23
	v_mul_f32_e32 v28, v25, v26
	s_delay_alu instid0(VALU_DEP_1) | instskip(NEXT) | instid1(VALU_DEP_1)
	v_dual_sub_f32 v33, v34, v26 :: v_dual_mul_f32 v30, v29, v28
	v_add_f32_e32 v23, v23, v33
	s_delay_alu instid0(VALU_DEP_2) | instskip(NEXT) | instid1(VALU_DEP_1)
	v_fma_f32 v29, v28, v29, -v30
	v_fmac_f32_e32 v29, v28, v27
	s_delay_alu instid0(VALU_DEP_1) | instskip(NEXT) | instid1(VALU_DEP_1)
	v_add_f32_e32 v27, v30, v29
	v_sub_f32_e32 v32, v26, v27
	v_sub_f32_e32 v30, v27, v30
	s_delay_alu instid0(VALU_DEP_2) | instskip(NEXT) | instid1(VALU_DEP_1)
	v_sub_f32_e32 v26, v26, v32
	v_sub_f32_e32 v26, v26, v27
	s_delay_alu instid0(VALU_DEP_3) | instskip(NEXT) | instid1(VALU_DEP_2)
	v_sub_f32_e32 v27, v30, v29
	v_add_f32_e32 v23, v23, v26
	v_add_f32_e32 v26, v31, v28
	s_delay_alu instid0(VALU_DEP_2) | instskip(NEXT) | instid1(VALU_DEP_2)
	v_add_f32_e32 v23, v27, v23
	v_sub_f32_e32 v27, v26, v31
	s_delay_alu instid0(VALU_DEP_2) | instskip(NEXT) | instid1(VALU_DEP_2)
	v_add_f32_e32 v23, v32, v23
	v_sub_f32_e32 v27, v28, v27
	s_delay_alu instid0(VALU_DEP_2) | instskip(NEXT) | instid1(VALU_DEP_1)
	v_mul_f32_e32 v23, v25, v23
	v_add_f32_e32 v23, v27, v23
	s_delay_alu instid0(VALU_DEP_1) | instskip(NEXT) | instid1(VALU_DEP_1)
	v_add_f32_e32 v25, v26, v23
	v_mul_f32_e32 v27, v25, v25
	s_delay_alu instid0(VALU_DEP_1) | instskip(SKIP_2) | instid1(VALU_DEP_3)
	v_fmaak_f32 v28, s1, v27, 0x3ecc95a3
	v_mul_f32_e32 v29, v25, v27
	v_cmp_eq_f32_e64 s1, 0x7f800000, v24
	v_fmaak_f32 v27, v27, v28, 0x3f2aaada
	v_ldexp_f32 v28, v25, 1
	v_sub_f32_e32 v25, v25, v26
	s_delay_alu instid0(VALU_DEP_4) | instskip(NEXT) | instid1(VALU_DEP_3)
	s_or_b32 s1, s1, s13
	v_mul_f32_e32 v27, v29, v27
	v_mul_f32_e32 v29, 0x3f317218, v22
	s_delay_alu instid0(VALU_DEP_2) | instskip(NEXT) | instid1(VALU_DEP_1)
	v_dual_sub_f32 v23, v23, v25 :: v_dual_add_f32 v26, v28, v27
	v_ldexp_f32 v23, v23, 1
	s_delay_alu instid0(VALU_DEP_2) | instskip(NEXT) | instid1(VALU_DEP_4)
	v_sub_f32_e32 v25, v26, v28
	v_fma_f32 v28, 0x3f317218, v22, -v29
	s_delay_alu instid0(VALU_DEP_1) | instskip(NEXT) | instid1(VALU_DEP_1)
	v_dual_sub_f32 v25, v27, v25 :: v_dual_fmamk_f32 v22, v22, 0xb102e308, v28
	v_add_f32_e32 v23, v23, v25
	s_delay_alu instid0(VALU_DEP_2) | instskip(NEXT) | instid1(VALU_DEP_2)
	v_add_f32_e32 v25, v29, v22
	v_add_f32_e32 v27, v26, v23
	s_delay_alu instid0(VALU_DEP_2) | instskip(NEXT) | instid1(VALU_DEP_2)
	v_sub_f32_e32 v29, v25, v29
	v_add_f32_e32 v28, v25, v27
	v_sub_f32_e32 v26, v27, v26
	s_delay_alu instid0(VALU_DEP_3) | instskip(NEXT) | instid1(VALU_DEP_2)
	v_sub_f32_e32 v22, v22, v29
	v_dual_sub_f32 v30, v28, v25 :: v_dual_sub_f32 v23, v23, v26
	s_delay_alu instid0(VALU_DEP_1) | instskip(NEXT) | instid1(VALU_DEP_2)
	v_sub_f32_e32 v31, v28, v30
	v_dual_sub_f32 v26, v27, v30 :: v_dual_add_f32 v27, v22, v23
	s_delay_alu instid0(VALU_DEP_2) | instskip(NEXT) | instid1(VALU_DEP_1)
	v_sub_f32_e32 v25, v25, v31
	v_dual_add_f32 v25, v26, v25 :: v_dual_sub_f32 v26, v27, v22
	s_delay_alu instid0(VALU_DEP_1) | instskip(NEXT) | instid1(VALU_DEP_2)
	v_add_f32_e32 v25, v27, v25
	v_sub_f32_e32 v27, v27, v26
	v_sub_f32_e32 v23, v23, v26
	s_delay_alu instid0(VALU_DEP_2) | instskip(NEXT) | instid1(VALU_DEP_1)
	v_dual_add_f32 v29, v28, v25 :: v_dual_sub_f32 v22, v22, v27
	v_sub_f32_e32 v26, v29, v28
	s_delay_alu instid0(VALU_DEP_2) | instskip(NEXT) | instid1(VALU_DEP_2)
	v_add_f32_e32 v22, v23, v22
	v_sub_f32_e32 v23, v25, v26
	s_delay_alu instid0(VALU_DEP_1) | instskip(NEXT) | instid1(VALU_DEP_1)
	v_add_f32_e32 v22, v22, v23
	v_add_f32_e32 v22, v29, v22
	s_delay_alu instid0(VALU_DEP_1) | instskip(NEXT) | instid1(VALU_DEP_1)
	v_cndmask_b32_e64 v22, v22, v24, s1
	v_add_f32_e32 v23, v6, v22
.LBB116_25:
	s_or_b32 exec_lo, exec_lo, s12
	ds_load_b32 v6, v20 offset:24
	v_max_f32_e32 v22, v23, v23
	v_cmp_u_f32_e64 s1, v23, v23
	s_waitcnt lgkmcnt(0)
	v_max_f32_e32 v24, v6, v6
	s_delay_alu instid0(VALU_DEP_1) | instskip(SKIP_1) | instid1(VALU_DEP_2)
	v_min_f32_e32 v25, v22, v24
	v_max_f32_e32 v22, v22, v24
	v_cndmask_b32_e64 v24, v25, v23, s1
	s_delay_alu instid0(VALU_DEP_2) | instskip(SKIP_1) | instid1(VALU_DEP_1)
	v_cndmask_b32_e64 v25, v22, v23, s1
	v_cmp_u_f32_e64 s1, v6, v6
	v_cndmask_b32_e64 v22, v24, v6, s1
	s_delay_alu instid0(VALU_DEP_3) | instskip(NEXT) | instid1(VALU_DEP_2)
	v_cndmask_b32_e64 v6, v25, v6, s1
	v_cmp_class_f32_e64 s12, v22, 0x1f8
	s_delay_alu instid0(VALU_DEP_2) | instskip(NEXT) | instid1(VALU_DEP_1)
	v_cmp_neq_f32_e64 s1, v22, v6
	s_or_b32 s1, s1, s12
	s_delay_alu instid0(SALU_CYCLE_1)
	s_and_saveexec_b32 s12, s1
	s_cbranch_execz .LBB116_27
; %bb.26:
	v_sub_f32_e32 v22, v22, v6
	s_delay_alu instid0(VALU_DEP_1) | instskip(NEXT) | instid1(VALU_DEP_1)
	v_mul_f32_e32 v23, 0x3fb8aa3b, v22
	v_fma_f32 v24, 0x3fb8aa3b, v22, -v23
	v_rndne_f32_e32 v25, v23
	s_delay_alu instid0(VALU_DEP_1) | instskip(SKIP_1) | instid1(VALU_DEP_2)
	v_dual_sub_f32 v23, v23, v25 :: v_dual_fmamk_f32 v24, v22, 0x32a5705f, v24
	v_cmp_ngt_f32_e64 s1, 0xc2ce8ed0, v22
	v_add_f32_e32 v23, v23, v24
	v_cvt_i32_f32_e32 v24, v25
	s_delay_alu instid0(VALU_DEP_2) | instskip(SKIP_2) | instid1(VALU_DEP_1)
	v_exp_f32_e32 v23, v23
	s_waitcnt_depctr 0xfff
	v_ldexp_f32 v23, v23, v24
	v_cndmask_b32_e64 v23, 0, v23, s1
	v_cmp_nlt_f32_e64 s1, 0x42b17218, v22
	s_delay_alu instid0(VALU_DEP_1) | instskip(NEXT) | instid1(VALU_DEP_1)
	v_cndmask_b32_e64 v24, 0x7f800000, v23, s1
	v_add_f32_e32 v25, 1.0, v24
	v_cmp_gt_f32_e64 s13, 0x33800000, |v24|
	s_delay_alu instid0(VALU_DEP_2) | instskip(NEXT) | instid1(VALU_DEP_1)
	v_cvt_f64_f32_e32 v[22:23], v25
	v_frexp_exp_i32_f64_e32 v22, v[22:23]
	v_frexp_mant_f32_e32 v23, v25
	s_delay_alu instid0(VALU_DEP_1) | instskip(SKIP_1) | instid1(VALU_DEP_1)
	v_cmp_gt_f32_e64 s1, 0x3f2aaaab, v23
	v_add_f32_e32 v23, -1.0, v25
	v_sub_f32_e32 v27, v23, v25
	v_sub_f32_e32 v23, v24, v23
	s_delay_alu instid0(VALU_DEP_4) | instskip(SKIP_1) | instid1(VALU_DEP_1)
	v_subrev_co_ci_u32_e64 v22, s1, 0, v22, s1
	s_mov_b32 s1, 0x3e9b6dac
	v_sub_nc_u32_e32 v26, 0, v22
	v_cvt_f32_i32_e32 v22, v22
	s_delay_alu instid0(VALU_DEP_2) | instskip(NEXT) | instid1(VALU_DEP_1)
	v_ldexp_f32 v25, v25, v26
	v_dual_add_f32 v28, 1.0, v25 :: v_dual_add_f32 v27, 1.0, v27
	s_delay_alu instid0(VALU_DEP_1) | instskip(NEXT) | instid1(VALU_DEP_2)
	v_add_f32_e32 v23, v23, v27
	v_add_f32_e32 v27, -1.0, v28
	s_delay_alu instid0(VALU_DEP_2) | instskip(NEXT) | instid1(VALU_DEP_2)
	v_ldexp_f32 v23, v23, v26
	v_dual_add_f32 v26, -1.0, v25 :: v_dual_sub_f32 v27, v25, v27
	s_delay_alu instid0(VALU_DEP_1) | instskip(NEXT) | instid1(VALU_DEP_2)
	v_add_f32_e32 v29, 1.0, v26
	v_add_f32_e32 v27, v23, v27
	s_delay_alu instid0(VALU_DEP_2) | instskip(NEXT) | instid1(VALU_DEP_2)
	v_sub_f32_e32 v25, v25, v29
	v_add_f32_e32 v29, v28, v27
	s_delay_alu instid0(VALU_DEP_2) | instskip(NEXT) | instid1(VALU_DEP_2)
	v_add_f32_e32 v23, v23, v25
	v_rcp_f32_e32 v25, v29
	v_sub_f32_e32 v28, v28, v29
	s_delay_alu instid0(VALU_DEP_1) | instskip(NEXT) | instid1(VALU_DEP_1)
	v_dual_add_f32 v30, v26, v23 :: v_dual_add_f32 v27, v27, v28
	v_sub_f32_e32 v26, v26, v30
	s_waitcnt_depctr 0xfff
	v_mul_f32_e32 v31, v30, v25
	s_delay_alu instid0(VALU_DEP_1) | instskip(NEXT) | instid1(VALU_DEP_1)
	v_dual_add_f32 v23, v23, v26 :: v_dual_mul_f32 v32, v29, v31
	v_fma_f32 v28, v31, v29, -v32
	s_delay_alu instid0(VALU_DEP_1) | instskip(NEXT) | instid1(VALU_DEP_1)
	v_fmac_f32_e32 v28, v31, v27
	v_add_f32_e32 v33, v32, v28
	s_delay_alu instid0(VALU_DEP_1) | instskip(SKIP_1) | instid1(VALU_DEP_2)
	v_sub_f32_e32 v34, v30, v33
	v_sub_f32_e32 v26, v33, v32
	;; [unrolled: 1-line block ×3, first 2 shown]
	s_delay_alu instid0(VALU_DEP_2) | instskip(NEXT) | instid1(VALU_DEP_2)
	v_sub_f32_e32 v26, v26, v28
	v_sub_f32_e32 v30, v30, v33
	s_delay_alu instid0(VALU_DEP_1) | instskip(NEXT) | instid1(VALU_DEP_1)
	v_add_f32_e32 v23, v23, v30
	v_add_f32_e32 v23, v26, v23
	s_delay_alu instid0(VALU_DEP_1) | instskip(NEXT) | instid1(VALU_DEP_1)
	v_add_f32_e32 v26, v34, v23
	v_mul_f32_e32 v28, v25, v26
	s_delay_alu instid0(VALU_DEP_1) | instskip(NEXT) | instid1(VALU_DEP_1)
	v_dual_sub_f32 v33, v34, v26 :: v_dual_mul_f32 v30, v29, v28
	v_add_f32_e32 v23, v23, v33
	s_delay_alu instid0(VALU_DEP_2) | instskip(NEXT) | instid1(VALU_DEP_1)
	v_fma_f32 v29, v28, v29, -v30
	v_fmac_f32_e32 v29, v28, v27
	s_delay_alu instid0(VALU_DEP_1) | instskip(NEXT) | instid1(VALU_DEP_1)
	v_add_f32_e32 v27, v30, v29
	v_sub_f32_e32 v32, v26, v27
	v_sub_f32_e32 v30, v27, v30
	s_delay_alu instid0(VALU_DEP_2) | instskip(NEXT) | instid1(VALU_DEP_1)
	v_sub_f32_e32 v26, v26, v32
	v_sub_f32_e32 v26, v26, v27
	s_delay_alu instid0(VALU_DEP_3) | instskip(NEXT) | instid1(VALU_DEP_2)
	v_sub_f32_e32 v27, v30, v29
	v_add_f32_e32 v23, v23, v26
	v_add_f32_e32 v26, v31, v28
	s_delay_alu instid0(VALU_DEP_2) | instskip(NEXT) | instid1(VALU_DEP_2)
	v_add_f32_e32 v23, v27, v23
	v_sub_f32_e32 v27, v26, v31
	s_delay_alu instid0(VALU_DEP_2) | instskip(NEXT) | instid1(VALU_DEP_2)
	v_add_f32_e32 v23, v32, v23
	v_sub_f32_e32 v27, v28, v27
	s_delay_alu instid0(VALU_DEP_2) | instskip(NEXT) | instid1(VALU_DEP_1)
	v_mul_f32_e32 v23, v25, v23
	v_add_f32_e32 v23, v27, v23
	s_delay_alu instid0(VALU_DEP_1) | instskip(NEXT) | instid1(VALU_DEP_1)
	v_add_f32_e32 v25, v26, v23
	v_mul_f32_e32 v27, v25, v25
	s_delay_alu instid0(VALU_DEP_1) | instskip(SKIP_2) | instid1(VALU_DEP_3)
	v_fmaak_f32 v28, s1, v27, 0x3ecc95a3
	v_mul_f32_e32 v29, v25, v27
	v_cmp_eq_f32_e64 s1, 0x7f800000, v24
	v_fmaak_f32 v27, v27, v28, 0x3f2aaada
	v_ldexp_f32 v28, v25, 1
	v_sub_f32_e32 v25, v25, v26
	s_delay_alu instid0(VALU_DEP_4) | instskip(NEXT) | instid1(VALU_DEP_3)
	s_or_b32 s1, s1, s13
	v_mul_f32_e32 v27, v29, v27
	v_mul_f32_e32 v29, 0x3f317218, v22
	s_delay_alu instid0(VALU_DEP_2) | instskip(NEXT) | instid1(VALU_DEP_1)
	v_dual_sub_f32 v23, v23, v25 :: v_dual_add_f32 v26, v28, v27
	v_ldexp_f32 v23, v23, 1
	s_delay_alu instid0(VALU_DEP_2) | instskip(NEXT) | instid1(VALU_DEP_4)
	v_sub_f32_e32 v25, v26, v28
	v_fma_f32 v28, 0x3f317218, v22, -v29
	s_delay_alu instid0(VALU_DEP_1) | instskip(NEXT) | instid1(VALU_DEP_1)
	v_dual_sub_f32 v25, v27, v25 :: v_dual_fmamk_f32 v22, v22, 0xb102e308, v28
	v_add_f32_e32 v23, v23, v25
	s_delay_alu instid0(VALU_DEP_2) | instskip(NEXT) | instid1(VALU_DEP_2)
	v_add_f32_e32 v25, v29, v22
	v_add_f32_e32 v27, v26, v23
	s_delay_alu instid0(VALU_DEP_2) | instskip(NEXT) | instid1(VALU_DEP_2)
	v_sub_f32_e32 v29, v25, v29
	v_add_f32_e32 v28, v25, v27
	v_sub_f32_e32 v26, v27, v26
	s_delay_alu instid0(VALU_DEP_3) | instskip(NEXT) | instid1(VALU_DEP_2)
	v_sub_f32_e32 v22, v22, v29
	v_dual_sub_f32 v30, v28, v25 :: v_dual_sub_f32 v23, v23, v26
	s_delay_alu instid0(VALU_DEP_1) | instskip(NEXT) | instid1(VALU_DEP_2)
	v_sub_f32_e32 v31, v28, v30
	v_dual_sub_f32 v26, v27, v30 :: v_dual_add_f32 v27, v22, v23
	s_delay_alu instid0(VALU_DEP_2) | instskip(NEXT) | instid1(VALU_DEP_1)
	v_sub_f32_e32 v25, v25, v31
	v_dual_add_f32 v25, v26, v25 :: v_dual_sub_f32 v26, v27, v22
	s_delay_alu instid0(VALU_DEP_1) | instskip(NEXT) | instid1(VALU_DEP_2)
	v_add_f32_e32 v25, v27, v25
	v_sub_f32_e32 v27, v27, v26
	v_sub_f32_e32 v23, v23, v26
	s_delay_alu instid0(VALU_DEP_2) | instskip(NEXT) | instid1(VALU_DEP_1)
	v_dual_add_f32 v29, v28, v25 :: v_dual_sub_f32 v22, v22, v27
	v_sub_f32_e32 v26, v29, v28
	s_delay_alu instid0(VALU_DEP_2) | instskip(NEXT) | instid1(VALU_DEP_2)
	v_add_f32_e32 v22, v23, v22
	v_sub_f32_e32 v23, v25, v26
	s_delay_alu instid0(VALU_DEP_1) | instskip(NEXT) | instid1(VALU_DEP_1)
	v_add_f32_e32 v22, v22, v23
	v_add_f32_e32 v22, v29, v22
	s_delay_alu instid0(VALU_DEP_1) | instskip(NEXT) | instid1(VALU_DEP_1)
	v_cndmask_b32_e64 v22, v22, v24, s1
	v_add_f32_e32 v23, v6, v22
.LBB116_27:
	s_or_b32 exec_lo, exec_lo, s12
	ds_load_b32 v6, v20 offset:28
	v_max_f32_e32 v22, v23, v23
	v_cmp_u_f32_e64 s1, v23, v23
	s_waitcnt lgkmcnt(0)
	v_max_f32_e32 v24, v6, v6
	s_delay_alu instid0(VALU_DEP_1) | instskip(SKIP_1) | instid1(VALU_DEP_2)
	v_min_f32_e32 v25, v22, v24
	v_max_f32_e32 v22, v22, v24
	v_cndmask_b32_e64 v24, v25, v23, s1
	s_delay_alu instid0(VALU_DEP_2) | instskip(SKIP_1) | instid1(VALU_DEP_1)
	v_cndmask_b32_e64 v25, v22, v23, s1
	v_cmp_u_f32_e64 s1, v6, v6
	v_cndmask_b32_e64 v22, v24, v6, s1
	s_delay_alu instid0(VALU_DEP_3) | instskip(NEXT) | instid1(VALU_DEP_2)
	v_cndmask_b32_e64 v6, v25, v6, s1
	v_cmp_class_f32_e64 s12, v22, 0x1f8
	s_delay_alu instid0(VALU_DEP_2) | instskip(NEXT) | instid1(VALU_DEP_1)
	v_cmp_neq_f32_e64 s1, v22, v6
	s_or_b32 s1, s1, s12
	s_delay_alu instid0(SALU_CYCLE_1)
	s_and_saveexec_b32 s12, s1
	s_cbranch_execz .LBB116_29
; %bb.28:
	v_sub_f32_e32 v22, v22, v6
	s_delay_alu instid0(VALU_DEP_1) | instskip(NEXT) | instid1(VALU_DEP_1)
	v_mul_f32_e32 v23, 0x3fb8aa3b, v22
	v_fma_f32 v24, 0x3fb8aa3b, v22, -v23
	v_rndne_f32_e32 v25, v23
	s_delay_alu instid0(VALU_DEP_1) | instskip(SKIP_1) | instid1(VALU_DEP_2)
	v_dual_sub_f32 v23, v23, v25 :: v_dual_fmamk_f32 v24, v22, 0x32a5705f, v24
	v_cmp_ngt_f32_e64 s1, 0xc2ce8ed0, v22
	v_add_f32_e32 v23, v23, v24
	v_cvt_i32_f32_e32 v24, v25
	s_delay_alu instid0(VALU_DEP_2) | instskip(SKIP_2) | instid1(VALU_DEP_1)
	v_exp_f32_e32 v23, v23
	s_waitcnt_depctr 0xfff
	v_ldexp_f32 v23, v23, v24
	v_cndmask_b32_e64 v23, 0, v23, s1
	v_cmp_nlt_f32_e64 s1, 0x42b17218, v22
	s_delay_alu instid0(VALU_DEP_1) | instskip(NEXT) | instid1(VALU_DEP_1)
	v_cndmask_b32_e64 v24, 0x7f800000, v23, s1
	v_add_f32_e32 v25, 1.0, v24
	v_cmp_gt_f32_e64 s13, 0x33800000, |v24|
	s_delay_alu instid0(VALU_DEP_2) | instskip(NEXT) | instid1(VALU_DEP_1)
	v_cvt_f64_f32_e32 v[22:23], v25
	v_frexp_exp_i32_f64_e32 v22, v[22:23]
	v_frexp_mant_f32_e32 v23, v25
	s_delay_alu instid0(VALU_DEP_1) | instskip(SKIP_1) | instid1(VALU_DEP_1)
	v_cmp_gt_f32_e64 s1, 0x3f2aaaab, v23
	v_add_f32_e32 v23, -1.0, v25
	v_sub_f32_e32 v27, v23, v25
	v_sub_f32_e32 v23, v24, v23
	s_delay_alu instid0(VALU_DEP_4) | instskip(SKIP_1) | instid1(VALU_DEP_1)
	v_subrev_co_ci_u32_e64 v22, s1, 0, v22, s1
	s_mov_b32 s1, 0x3e9b6dac
	v_sub_nc_u32_e32 v26, 0, v22
	v_cvt_f32_i32_e32 v22, v22
	s_delay_alu instid0(VALU_DEP_2) | instskip(NEXT) | instid1(VALU_DEP_1)
	v_ldexp_f32 v25, v25, v26
	v_dual_add_f32 v28, 1.0, v25 :: v_dual_add_f32 v27, 1.0, v27
	s_delay_alu instid0(VALU_DEP_1) | instskip(NEXT) | instid1(VALU_DEP_2)
	v_add_f32_e32 v23, v23, v27
	v_add_f32_e32 v27, -1.0, v28
	s_delay_alu instid0(VALU_DEP_2) | instskip(NEXT) | instid1(VALU_DEP_2)
	v_ldexp_f32 v23, v23, v26
	v_dual_add_f32 v26, -1.0, v25 :: v_dual_sub_f32 v27, v25, v27
	s_delay_alu instid0(VALU_DEP_1) | instskip(NEXT) | instid1(VALU_DEP_2)
	v_add_f32_e32 v29, 1.0, v26
	v_add_f32_e32 v27, v23, v27
	s_delay_alu instid0(VALU_DEP_2) | instskip(NEXT) | instid1(VALU_DEP_2)
	v_sub_f32_e32 v25, v25, v29
	v_add_f32_e32 v29, v28, v27
	s_delay_alu instid0(VALU_DEP_2) | instskip(NEXT) | instid1(VALU_DEP_2)
	v_add_f32_e32 v23, v23, v25
	v_rcp_f32_e32 v25, v29
	v_sub_f32_e32 v28, v28, v29
	s_delay_alu instid0(VALU_DEP_1) | instskip(NEXT) | instid1(VALU_DEP_1)
	v_dual_add_f32 v30, v26, v23 :: v_dual_add_f32 v27, v27, v28
	v_sub_f32_e32 v26, v26, v30
	s_waitcnt_depctr 0xfff
	v_mul_f32_e32 v31, v30, v25
	s_delay_alu instid0(VALU_DEP_1) | instskip(NEXT) | instid1(VALU_DEP_1)
	v_dual_add_f32 v23, v23, v26 :: v_dual_mul_f32 v32, v29, v31
	v_fma_f32 v28, v31, v29, -v32
	s_delay_alu instid0(VALU_DEP_1) | instskip(NEXT) | instid1(VALU_DEP_1)
	v_fmac_f32_e32 v28, v31, v27
	v_add_f32_e32 v33, v32, v28
	s_delay_alu instid0(VALU_DEP_1) | instskip(SKIP_1) | instid1(VALU_DEP_2)
	v_sub_f32_e32 v34, v30, v33
	v_sub_f32_e32 v26, v33, v32
	;; [unrolled: 1-line block ×3, first 2 shown]
	s_delay_alu instid0(VALU_DEP_2) | instskip(NEXT) | instid1(VALU_DEP_2)
	v_sub_f32_e32 v26, v26, v28
	v_sub_f32_e32 v30, v30, v33
	s_delay_alu instid0(VALU_DEP_1) | instskip(NEXT) | instid1(VALU_DEP_1)
	v_add_f32_e32 v23, v23, v30
	v_add_f32_e32 v23, v26, v23
	s_delay_alu instid0(VALU_DEP_1) | instskip(NEXT) | instid1(VALU_DEP_1)
	v_add_f32_e32 v26, v34, v23
	v_mul_f32_e32 v28, v25, v26
	s_delay_alu instid0(VALU_DEP_1) | instskip(NEXT) | instid1(VALU_DEP_1)
	v_dual_sub_f32 v33, v34, v26 :: v_dual_mul_f32 v30, v29, v28
	v_add_f32_e32 v23, v23, v33
	s_delay_alu instid0(VALU_DEP_2) | instskip(NEXT) | instid1(VALU_DEP_1)
	v_fma_f32 v29, v28, v29, -v30
	v_fmac_f32_e32 v29, v28, v27
	s_delay_alu instid0(VALU_DEP_1) | instskip(NEXT) | instid1(VALU_DEP_1)
	v_add_f32_e32 v27, v30, v29
	v_sub_f32_e32 v32, v26, v27
	v_sub_f32_e32 v30, v27, v30
	s_delay_alu instid0(VALU_DEP_2) | instskip(NEXT) | instid1(VALU_DEP_1)
	v_sub_f32_e32 v26, v26, v32
	v_sub_f32_e32 v26, v26, v27
	s_delay_alu instid0(VALU_DEP_3) | instskip(NEXT) | instid1(VALU_DEP_2)
	v_sub_f32_e32 v27, v30, v29
	v_add_f32_e32 v23, v23, v26
	v_add_f32_e32 v26, v31, v28
	s_delay_alu instid0(VALU_DEP_2) | instskip(NEXT) | instid1(VALU_DEP_2)
	v_add_f32_e32 v23, v27, v23
	v_sub_f32_e32 v27, v26, v31
	s_delay_alu instid0(VALU_DEP_2) | instskip(NEXT) | instid1(VALU_DEP_2)
	v_add_f32_e32 v23, v32, v23
	v_sub_f32_e32 v27, v28, v27
	s_delay_alu instid0(VALU_DEP_2) | instskip(NEXT) | instid1(VALU_DEP_1)
	v_mul_f32_e32 v23, v25, v23
	v_add_f32_e32 v23, v27, v23
	s_delay_alu instid0(VALU_DEP_1) | instskip(NEXT) | instid1(VALU_DEP_1)
	v_add_f32_e32 v25, v26, v23
	v_mul_f32_e32 v27, v25, v25
	s_delay_alu instid0(VALU_DEP_1) | instskip(SKIP_2) | instid1(VALU_DEP_3)
	v_fmaak_f32 v28, s1, v27, 0x3ecc95a3
	v_mul_f32_e32 v29, v25, v27
	v_cmp_eq_f32_e64 s1, 0x7f800000, v24
	v_fmaak_f32 v27, v27, v28, 0x3f2aaada
	v_ldexp_f32 v28, v25, 1
	v_sub_f32_e32 v25, v25, v26
	s_delay_alu instid0(VALU_DEP_4) | instskip(NEXT) | instid1(VALU_DEP_3)
	s_or_b32 s1, s1, s13
	v_mul_f32_e32 v27, v29, v27
	v_mul_f32_e32 v29, 0x3f317218, v22
	s_delay_alu instid0(VALU_DEP_2) | instskip(NEXT) | instid1(VALU_DEP_1)
	v_dual_sub_f32 v23, v23, v25 :: v_dual_add_f32 v26, v28, v27
	v_ldexp_f32 v23, v23, 1
	s_delay_alu instid0(VALU_DEP_2) | instskip(NEXT) | instid1(VALU_DEP_4)
	v_sub_f32_e32 v25, v26, v28
	v_fma_f32 v28, 0x3f317218, v22, -v29
	s_delay_alu instid0(VALU_DEP_1) | instskip(NEXT) | instid1(VALU_DEP_1)
	v_dual_sub_f32 v25, v27, v25 :: v_dual_fmamk_f32 v22, v22, 0xb102e308, v28
	v_add_f32_e32 v23, v23, v25
	s_delay_alu instid0(VALU_DEP_2) | instskip(NEXT) | instid1(VALU_DEP_2)
	v_add_f32_e32 v25, v29, v22
	v_add_f32_e32 v27, v26, v23
	s_delay_alu instid0(VALU_DEP_2) | instskip(NEXT) | instid1(VALU_DEP_2)
	v_sub_f32_e32 v29, v25, v29
	v_add_f32_e32 v28, v25, v27
	v_sub_f32_e32 v26, v27, v26
	s_delay_alu instid0(VALU_DEP_3) | instskip(NEXT) | instid1(VALU_DEP_2)
	v_sub_f32_e32 v22, v22, v29
	v_dual_sub_f32 v30, v28, v25 :: v_dual_sub_f32 v23, v23, v26
	s_delay_alu instid0(VALU_DEP_1) | instskip(NEXT) | instid1(VALU_DEP_2)
	v_sub_f32_e32 v31, v28, v30
	v_dual_sub_f32 v26, v27, v30 :: v_dual_add_f32 v27, v22, v23
	s_delay_alu instid0(VALU_DEP_2) | instskip(NEXT) | instid1(VALU_DEP_1)
	v_sub_f32_e32 v25, v25, v31
	v_dual_add_f32 v25, v26, v25 :: v_dual_sub_f32 v26, v27, v22
	s_delay_alu instid0(VALU_DEP_1) | instskip(NEXT) | instid1(VALU_DEP_2)
	v_add_f32_e32 v25, v27, v25
	v_sub_f32_e32 v27, v27, v26
	v_sub_f32_e32 v23, v23, v26
	s_delay_alu instid0(VALU_DEP_2) | instskip(NEXT) | instid1(VALU_DEP_1)
	v_dual_add_f32 v29, v28, v25 :: v_dual_sub_f32 v22, v22, v27
	v_sub_f32_e32 v26, v29, v28
	s_delay_alu instid0(VALU_DEP_2) | instskip(NEXT) | instid1(VALU_DEP_2)
	v_add_f32_e32 v22, v23, v22
	v_sub_f32_e32 v23, v25, v26
	s_delay_alu instid0(VALU_DEP_1) | instskip(NEXT) | instid1(VALU_DEP_1)
	v_add_f32_e32 v22, v22, v23
	v_add_f32_e32 v22, v29, v22
	s_delay_alu instid0(VALU_DEP_1) | instskip(NEXT) | instid1(VALU_DEP_1)
	v_cndmask_b32_e64 v22, v22, v24, s1
	v_add_f32_e32 v23, v6, v22
.LBB116_29:
	s_or_b32 exec_lo, exec_lo, s12
	v_mbcnt_lo_u32_b32 v6, -1, 0
	s_delay_alu instid0(VALU_DEP_2) | instskip(SKIP_1) | instid1(VALU_DEP_2)
	v_mov_b32_dpp v24, v23 row_shr:1 row_mask:0xf bank_mask:0xf
	s_mov_b32 s12, exec_lo
	v_and_b32_e32 v22, 15, v6
	s_delay_alu instid0(VALU_DEP_1)
	v_cmpx_ne_u32_e32 0, v22
	s_xor_b32 s12, exec_lo, s12
	s_cbranch_execz .LBB116_33
; %bb.30:
	v_dual_max_f32 v25, v23, v23 :: v_dual_max_f32 v26, v24, v24
	v_cmp_u_f32_e64 s1, v24, v24
	s_delay_alu instid0(VALU_DEP_2) | instskip(SKIP_1) | instid1(VALU_DEP_2)
	v_min_f32_e32 v27, v26, v25
	v_max_f32_e32 v25, v26, v25
	v_cndmask_b32_e64 v26, v27, v24, s1
	s_delay_alu instid0(VALU_DEP_2) | instskip(SKIP_1) | instid1(VALU_DEP_1)
	v_cndmask_b32_e64 v27, v25, v24, s1
	v_cmp_u_f32_e64 s1, v23, v23
	v_cndmask_b32_e64 v25, v26, v23, s1
	s_delay_alu instid0(VALU_DEP_3) | instskip(NEXT) | instid1(VALU_DEP_2)
	v_cndmask_b32_e64 v23, v27, v23, s1
	v_cmp_class_f32_e64 s13, v25, 0x1f8
	s_delay_alu instid0(VALU_DEP_2) | instskip(NEXT) | instid1(VALU_DEP_1)
	v_cmp_neq_f32_e64 s1, v25, v23
	s_or_b32 s1, s1, s13
	s_delay_alu instid0(SALU_CYCLE_1)
	s_and_saveexec_b32 s13, s1
	s_cbranch_execz .LBB116_32
; %bb.31:
	v_sub_f32_e32 v24, v25, v23
	s_delay_alu instid0(VALU_DEP_1) | instskip(SKIP_1) | instid1(VALU_DEP_2)
	v_mul_f32_e32 v25, 0x3fb8aa3b, v24
	v_cmp_ngt_f32_e64 s1, 0xc2ce8ed0, v24
	v_fma_f32 v26, 0x3fb8aa3b, v24, -v25
	v_rndne_f32_e32 v27, v25
	s_delay_alu instid0(VALU_DEP_1) | instskip(NEXT) | instid1(VALU_DEP_1)
	v_dual_fmamk_f32 v26, v24, 0x32a5705f, v26 :: v_dual_sub_f32 v25, v25, v27
	v_add_f32_e32 v25, v25, v26
	v_cvt_i32_f32_e32 v26, v27
	s_delay_alu instid0(VALU_DEP_2) | instskip(SKIP_2) | instid1(VALU_DEP_1)
	v_exp_f32_e32 v25, v25
	s_waitcnt_depctr 0xfff
	v_ldexp_f32 v25, v25, v26
	v_cndmask_b32_e64 v25, 0, v25, s1
	v_cmp_nlt_f32_e64 s1, 0x42b17218, v24
	s_delay_alu instid0(VALU_DEP_1) | instskip(NEXT) | instid1(VALU_DEP_1)
	v_cndmask_b32_e64 v26, 0x7f800000, v25, s1
	v_add_f32_e32 v27, 1.0, v26
	v_cmp_gt_f32_e64 s14, 0x33800000, |v26|
	s_delay_alu instid0(VALU_DEP_2) | instskip(NEXT) | instid1(VALU_DEP_1)
	v_cvt_f64_f32_e32 v[24:25], v27
	v_frexp_exp_i32_f64_e32 v24, v[24:25]
	v_frexp_mant_f32_e32 v25, v27
	s_delay_alu instid0(VALU_DEP_1) | instskip(SKIP_1) | instid1(VALU_DEP_1)
	v_cmp_gt_f32_e64 s1, 0x3f2aaaab, v25
	v_add_f32_e32 v25, -1.0, v27
	v_sub_f32_e32 v29, v25, v27
	v_sub_f32_e32 v25, v26, v25
	s_delay_alu instid0(VALU_DEP_4) | instskip(SKIP_1) | instid1(VALU_DEP_1)
	v_subrev_co_ci_u32_e64 v24, s1, 0, v24, s1
	s_mov_b32 s1, 0x3e9b6dac
	v_sub_nc_u32_e32 v28, 0, v24
	v_cvt_f32_i32_e32 v24, v24
	s_delay_alu instid0(VALU_DEP_2) | instskip(NEXT) | instid1(VALU_DEP_1)
	v_ldexp_f32 v27, v27, v28
	v_dual_add_f32 v30, 1.0, v27 :: v_dual_add_f32 v29, 1.0, v29
	s_delay_alu instid0(VALU_DEP_1) | instskip(NEXT) | instid1(VALU_DEP_2)
	v_add_f32_e32 v25, v25, v29
	v_add_f32_e32 v29, -1.0, v30
	s_delay_alu instid0(VALU_DEP_2) | instskip(NEXT) | instid1(VALU_DEP_2)
	v_ldexp_f32 v25, v25, v28
	v_dual_add_f32 v28, -1.0, v27 :: v_dual_sub_f32 v29, v27, v29
	s_delay_alu instid0(VALU_DEP_1) | instskip(NEXT) | instid1(VALU_DEP_2)
	v_add_f32_e32 v31, 1.0, v28
	v_add_f32_e32 v29, v25, v29
	s_delay_alu instid0(VALU_DEP_2) | instskip(NEXT) | instid1(VALU_DEP_2)
	v_sub_f32_e32 v27, v27, v31
	v_add_f32_e32 v31, v30, v29
	s_delay_alu instid0(VALU_DEP_2) | instskip(NEXT) | instid1(VALU_DEP_2)
	v_add_f32_e32 v25, v25, v27
	v_rcp_f32_e32 v27, v31
	v_sub_f32_e32 v30, v30, v31
	s_delay_alu instid0(VALU_DEP_1) | instskip(NEXT) | instid1(VALU_DEP_1)
	v_dual_add_f32 v32, v28, v25 :: v_dual_add_f32 v29, v29, v30
	v_sub_f32_e32 v28, v28, v32
	s_waitcnt_depctr 0xfff
	v_mul_f32_e32 v33, v32, v27
	s_delay_alu instid0(VALU_DEP_1) | instskip(NEXT) | instid1(VALU_DEP_1)
	v_dual_add_f32 v25, v25, v28 :: v_dual_mul_f32 v34, v31, v33
	v_fma_f32 v30, v33, v31, -v34
	s_delay_alu instid0(VALU_DEP_1) | instskip(NEXT) | instid1(VALU_DEP_1)
	v_fmac_f32_e32 v30, v33, v29
	v_add_f32_e32 v35, v34, v30
	s_delay_alu instid0(VALU_DEP_1) | instskip(SKIP_1) | instid1(VALU_DEP_2)
	v_sub_f32_e32 v36, v32, v35
	v_sub_f32_e32 v28, v35, v34
	;; [unrolled: 1-line block ×3, first 2 shown]
	s_delay_alu instid0(VALU_DEP_2) | instskip(NEXT) | instid1(VALU_DEP_2)
	v_sub_f32_e32 v28, v28, v30
	v_sub_f32_e32 v32, v32, v35
	s_delay_alu instid0(VALU_DEP_1) | instskip(NEXT) | instid1(VALU_DEP_1)
	v_add_f32_e32 v25, v25, v32
	v_add_f32_e32 v25, v28, v25
	s_delay_alu instid0(VALU_DEP_1) | instskip(NEXT) | instid1(VALU_DEP_1)
	v_add_f32_e32 v28, v36, v25
	v_mul_f32_e32 v30, v27, v28
	s_delay_alu instid0(VALU_DEP_1) | instskip(NEXT) | instid1(VALU_DEP_1)
	v_dual_sub_f32 v35, v36, v28 :: v_dual_mul_f32 v32, v31, v30
	v_add_f32_e32 v25, v25, v35
	s_delay_alu instid0(VALU_DEP_2) | instskip(NEXT) | instid1(VALU_DEP_1)
	v_fma_f32 v31, v30, v31, -v32
	v_fmac_f32_e32 v31, v30, v29
	s_delay_alu instid0(VALU_DEP_1) | instskip(NEXT) | instid1(VALU_DEP_1)
	v_add_f32_e32 v29, v32, v31
	v_sub_f32_e32 v34, v28, v29
	v_sub_f32_e32 v32, v29, v32
	s_delay_alu instid0(VALU_DEP_2) | instskip(NEXT) | instid1(VALU_DEP_1)
	v_sub_f32_e32 v28, v28, v34
	v_sub_f32_e32 v28, v28, v29
	s_delay_alu instid0(VALU_DEP_3) | instskip(NEXT) | instid1(VALU_DEP_2)
	v_sub_f32_e32 v29, v32, v31
	v_add_f32_e32 v25, v25, v28
	v_add_f32_e32 v28, v33, v30
	s_delay_alu instid0(VALU_DEP_2) | instskip(NEXT) | instid1(VALU_DEP_2)
	v_add_f32_e32 v25, v29, v25
	v_sub_f32_e32 v29, v28, v33
	s_delay_alu instid0(VALU_DEP_2) | instskip(NEXT) | instid1(VALU_DEP_2)
	v_add_f32_e32 v25, v34, v25
	v_sub_f32_e32 v29, v30, v29
	s_delay_alu instid0(VALU_DEP_2) | instskip(NEXT) | instid1(VALU_DEP_1)
	v_mul_f32_e32 v25, v27, v25
	v_add_f32_e32 v25, v29, v25
	s_delay_alu instid0(VALU_DEP_1) | instskip(NEXT) | instid1(VALU_DEP_1)
	v_add_f32_e32 v27, v28, v25
	v_mul_f32_e32 v29, v27, v27
	s_delay_alu instid0(VALU_DEP_1) | instskip(SKIP_2) | instid1(VALU_DEP_3)
	v_fmaak_f32 v30, s1, v29, 0x3ecc95a3
	v_mul_f32_e32 v31, v27, v29
	v_cmp_eq_f32_e64 s1, 0x7f800000, v26
	v_fmaak_f32 v29, v29, v30, 0x3f2aaada
	v_ldexp_f32 v30, v27, 1
	v_sub_f32_e32 v27, v27, v28
	s_delay_alu instid0(VALU_DEP_4) | instskip(NEXT) | instid1(VALU_DEP_3)
	s_or_b32 s1, s1, s14
	v_mul_f32_e32 v29, v31, v29
	v_mul_f32_e32 v31, 0x3f317218, v24
	s_delay_alu instid0(VALU_DEP_2) | instskip(NEXT) | instid1(VALU_DEP_1)
	v_dual_sub_f32 v25, v25, v27 :: v_dual_add_f32 v28, v30, v29
	v_ldexp_f32 v25, v25, 1
	s_delay_alu instid0(VALU_DEP_2) | instskip(NEXT) | instid1(VALU_DEP_4)
	v_sub_f32_e32 v27, v28, v30
	v_fma_f32 v30, 0x3f317218, v24, -v31
	s_delay_alu instid0(VALU_DEP_1) | instskip(NEXT) | instid1(VALU_DEP_1)
	v_dual_sub_f32 v27, v29, v27 :: v_dual_fmamk_f32 v24, v24, 0xb102e308, v30
	v_add_f32_e32 v25, v25, v27
	s_delay_alu instid0(VALU_DEP_2) | instskip(NEXT) | instid1(VALU_DEP_2)
	v_add_f32_e32 v27, v31, v24
	v_add_f32_e32 v29, v28, v25
	s_delay_alu instid0(VALU_DEP_2) | instskip(NEXT) | instid1(VALU_DEP_2)
	v_sub_f32_e32 v31, v27, v31
	v_add_f32_e32 v30, v27, v29
	v_sub_f32_e32 v28, v29, v28
	s_delay_alu instid0(VALU_DEP_3) | instskip(NEXT) | instid1(VALU_DEP_2)
	v_sub_f32_e32 v24, v24, v31
	v_dual_sub_f32 v32, v30, v27 :: v_dual_sub_f32 v25, v25, v28
	s_delay_alu instid0(VALU_DEP_1) | instskip(NEXT) | instid1(VALU_DEP_2)
	v_sub_f32_e32 v33, v30, v32
	v_dual_sub_f32 v28, v29, v32 :: v_dual_add_f32 v29, v24, v25
	s_delay_alu instid0(VALU_DEP_2) | instskip(NEXT) | instid1(VALU_DEP_1)
	v_sub_f32_e32 v27, v27, v33
	v_dual_add_f32 v27, v28, v27 :: v_dual_sub_f32 v28, v29, v24
	s_delay_alu instid0(VALU_DEP_1) | instskip(NEXT) | instid1(VALU_DEP_2)
	v_add_f32_e32 v27, v29, v27
	v_sub_f32_e32 v29, v29, v28
	v_sub_f32_e32 v25, v25, v28
	s_delay_alu instid0(VALU_DEP_2) | instskip(NEXT) | instid1(VALU_DEP_1)
	v_dual_add_f32 v31, v30, v27 :: v_dual_sub_f32 v24, v24, v29
	v_sub_f32_e32 v28, v31, v30
	s_delay_alu instid0(VALU_DEP_2) | instskip(NEXT) | instid1(VALU_DEP_2)
	v_add_f32_e32 v24, v25, v24
	v_sub_f32_e32 v25, v27, v28
	s_delay_alu instid0(VALU_DEP_1) | instskip(NEXT) | instid1(VALU_DEP_1)
	v_add_f32_e32 v24, v24, v25
	v_add_f32_e32 v24, v31, v24
	s_delay_alu instid0(VALU_DEP_1) | instskip(NEXT) | instid1(VALU_DEP_1)
	v_cndmask_b32_e64 v24, v24, v26, s1
	v_add_f32_e32 v24, v23, v24
.LBB116_32:
	s_or_b32 exec_lo, exec_lo, s13
	s_delay_alu instid0(VALU_DEP_1)
	v_mov_b32_e32 v23, v24
.LBB116_33:
	s_or_b32 exec_lo, exec_lo, s12
	s_delay_alu instid0(VALU_DEP_1)
	v_mov_b32_dpp v24, v23 row_shr:2 row_mask:0xf bank_mask:0xf
	s_mov_b32 s12, exec_lo
	v_cmpx_lt_u32_e32 1, v22
	s_cbranch_execz .LBB116_37
; %bb.34:
	s_delay_alu instid0(VALU_DEP_2) | instskip(SKIP_1) | instid1(VALU_DEP_2)
	v_dual_max_f32 v25, v23, v23 :: v_dual_max_f32 v26, v24, v24
	v_cmp_u_f32_e64 s1, v24, v24
	v_min_f32_e32 v27, v26, v25
	v_max_f32_e32 v25, v26, v25
	s_delay_alu instid0(VALU_DEP_2) | instskip(NEXT) | instid1(VALU_DEP_2)
	v_cndmask_b32_e64 v26, v27, v24, s1
	v_cndmask_b32_e64 v27, v25, v24, s1
	v_cmp_u_f32_e64 s1, v23, v23
	s_delay_alu instid0(VALU_DEP_1) | instskip(NEXT) | instid1(VALU_DEP_3)
	v_cndmask_b32_e64 v25, v26, v23, s1
	v_cndmask_b32_e64 v23, v27, v23, s1
	s_delay_alu instid0(VALU_DEP_2) | instskip(NEXT) | instid1(VALU_DEP_2)
	v_cmp_class_f32_e64 s13, v25, 0x1f8
	v_cmp_neq_f32_e64 s1, v25, v23
	s_delay_alu instid0(VALU_DEP_1) | instskip(NEXT) | instid1(SALU_CYCLE_1)
	s_or_b32 s1, s1, s13
	s_and_saveexec_b32 s13, s1
	s_cbranch_execz .LBB116_36
; %bb.35:
	v_sub_f32_e32 v24, v25, v23
	s_delay_alu instid0(VALU_DEP_1) | instskip(SKIP_1) | instid1(VALU_DEP_2)
	v_mul_f32_e32 v25, 0x3fb8aa3b, v24
	v_cmp_ngt_f32_e64 s1, 0xc2ce8ed0, v24
	v_fma_f32 v26, 0x3fb8aa3b, v24, -v25
	v_rndne_f32_e32 v27, v25
	s_delay_alu instid0(VALU_DEP_1) | instskip(NEXT) | instid1(VALU_DEP_1)
	v_dual_fmamk_f32 v26, v24, 0x32a5705f, v26 :: v_dual_sub_f32 v25, v25, v27
	v_add_f32_e32 v25, v25, v26
	v_cvt_i32_f32_e32 v26, v27
	s_delay_alu instid0(VALU_DEP_2) | instskip(SKIP_2) | instid1(VALU_DEP_1)
	v_exp_f32_e32 v25, v25
	s_waitcnt_depctr 0xfff
	v_ldexp_f32 v25, v25, v26
	v_cndmask_b32_e64 v25, 0, v25, s1
	v_cmp_nlt_f32_e64 s1, 0x42b17218, v24
	s_delay_alu instid0(VALU_DEP_1) | instskip(NEXT) | instid1(VALU_DEP_1)
	v_cndmask_b32_e64 v26, 0x7f800000, v25, s1
	v_add_f32_e32 v27, 1.0, v26
	v_cmp_gt_f32_e64 s14, 0x33800000, |v26|
	s_delay_alu instid0(VALU_DEP_2) | instskip(NEXT) | instid1(VALU_DEP_1)
	v_cvt_f64_f32_e32 v[24:25], v27
	v_frexp_exp_i32_f64_e32 v24, v[24:25]
	v_frexp_mant_f32_e32 v25, v27
	s_delay_alu instid0(VALU_DEP_1) | instskip(SKIP_1) | instid1(VALU_DEP_1)
	v_cmp_gt_f32_e64 s1, 0x3f2aaaab, v25
	v_add_f32_e32 v25, -1.0, v27
	v_sub_f32_e32 v29, v25, v27
	v_sub_f32_e32 v25, v26, v25
	s_delay_alu instid0(VALU_DEP_4) | instskip(SKIP_1) | instid1(VALU_DEP_1)
	v_subrev_co_ci_u32_e64 v24, s1, 0, v24, s1
	s_mov_b32 s1, 0x3e9b6dac
	v_sub_nc_u32_e32 v28, 0, v24
	v_cvt_f32_i32_e32 v24, v24
	s_delay_alu instid0(VALU_DEP_2) | instskip(NEXT) | instid1(VALU_DEP_1)
	v_ldexp_f32 v27, v27, v28
	v_dual_add_f32 v30, 1.0, v27 :: v_dual_add_f32 v29, 1.0, v29
	s_delay_alu instid0(VALU_DEP_1) | instskip(NEXT) | instid1(VALU_DEP_2)
	v_add_f32_e32 v25, v25, v29
	v_add_f32_e32 v29, -1.0, v30
	s_delay_alu instid0(VALU_DEP_2) | instskip(NEXT) | instid1(VALU_DEP_2)
	v_ldexp_f32 v25, v25, v28
	v_dual_add_f32 v28, -1.0, v27 :: v_dual_sub_f32 v29, v27, v29
	s_delay_alu instid0(VALU_DEP_1) | instskip(NEXT) | instid1(VALU_DEP_2)
	v_add_f32_e32 v31, 1.0, v28
	v_add_f32_e32 v29, v25, v29
	s_delay_alu instid0(VALU_DEP_2) | instskip(NEXT) | instid1(VALU_DEP_2)
	v_sub_f32_e32 v27, v27, v31
	v_add_f32_e32 v31, v30, v29
	s_delay_alu instid0(VALU_DEP_2) | instskip(NEXT) | instid1(VALU_DEP_2)
	v_add_f32_e32 v25, v25, v27
	v_rcp_f32_e32 v27, v31
	v_sub_f32_e32 v30, v30, v31
	s_delay_alu instid0(VALU_DEP_1) | instskip(NEXT) | instid1(VALU_DEP_1)
	v_dual_add_f32 v32, v28, v25 :: v_dual_add_f32 v29, v29, v30
	v_sub_f32_e32 v28, v28, v32
	s_waitcnt_depctr 0xfff
	v_mul_f32_e32 v33, v32, v27
	s_delay_alu instid0(VALU_DEP_1) | instskip(NEXT) | instid1(VALU_DEP_1)
	v_dual_add_f32 v25, v25, v28 :: v_dual_mul_f32 v34, v31, v33
	v_fma_f32 v30, v33, v31, -v34
	s_delay_alu instid0(VALU_DEP_1) | instskip(NEXT) | instid1(VALU_DEP_1)
	v_fmac_f32_e32 v30, v33, v29
	v_add_f32_e32 v35, v34, v30
	s_delay_alu instid0(VALU_DEP_1) | instskip(SKIP_1) | instid1(VALU_DEP_2)
	v_sub_f32_e32 v36, v32, v35
	v_sub_f32_e32 v28, v35, v34
	;; [unrolled: 1-line block ×3, first 2 shown]
	s_delay_alu instid0(VALU_DEP_2) | instskip(NEXT) | instid1(VALU_DEP_2)
	v_sub_f32_e32 v28, v28, v30
	v_sub_f32_e32 v32, v32, v35
	s_delay_alu instid0(VALU_DEP_1) | instskip(NEXT) | instid1(VALU_DEP_1)
	v_add_f32_e32 v25, v25, v32
	v_add_f32_e32 v25, v28, v25
	s_delay_alu instid0(VALU_DEP_1) | instskip(NEXT) | instid1(VALU_DEP_1)
	v_add_f32_e32 v28, v36, v25
	v_mul_f32_e32 v30, v27, v28
	s_delay_alu instid0(VALU_DEP_1) | instskip(NEXT) | instid1(VALU_DEP_1)
	v_dual_sub_f32 v35, v36, v28 :: v_dual_mul_f32 v32, v31, v30
	v_add_f32_e32 v25, v25, v35
	s_delay_alu instid0(VALU_DEP_2) | instskip(NEXT) | instid1(VALU_DEP_1)
	v_fma_f32 v31, v30, v31, -v32
	v_fmac_f32_e32 v31, v30, v29
	s_delay_alu instid0(VALU_DEP_1) | instskip(NEXT) | instid1(VALU_DEP_1)
	v_add_f32_e32 v29, v32, v31
	v_sub_f32_e32 v34, v28, v29
	v_sub_f32_e32 v32, v29, v32
	s_delay_alu instid0(VALU_DEP_2) | instskip(NEXT) | instid1(VALU_DEP_1)
	v_sub_f32_e32 v28, v28, v34
	v_sub_f32_e32 v28, v28, v29
	s_delay_alu instid0(VALU_DEP_3) | instskip(NEXT) | instid1(VALU_DEP_2)
	v_sub_f32_e32 v29, v32, v31
	v_add_f32_e32 v25, v25, v28
	v_add_f32_e32 v28, v33, v30
	s_delay_alu instid0(VALU_DEP_2) | instskip(NEXT) | instid1(VALU_DEP_2)
	v_add_f32_e32 v25, v29, v25
	v_sub_f32_e32 v29, v28, v33
	s_delay_alu instid0(VALU_DEP_2) | instskip(NEXT) | instid1(VALU_DEP_2)
	v_add_f32_e32 v25, v34, v25
	v_sub_f32_e32 v29, v30, v29
	s_delay_alu instid0(VALU_DEP_2) | instskip(NEXT) | instid1(VALU_DEP_1)
	v_mul_f32_e32 v25, v27, v25
	v_add_f32_e32 v25, v29, v25
	s_delay_alu instid0(VALU_DEP_1) | instskip(NEXT) | instid1(VALU_DEP_1)
	v_add_f32_e32 v27, v28, v25
	v_mul_f32_e32 v29, v27, v27
	s_delay_alu instid0(VALU_DEP_1) | instskip(SKIP_2) | instid1(VALU_DEP_3)
	v_fmaak_f32 v30, s1, v29, 0x3ecc95a3
	v_mul_f32_e32 v31, v27, v29
	v_cmp_eq_f32_e64 s1, 0x7f800000, v26
	v_fmaak_f32 v29, v29, v30, 0x3f2aaada
	v_ldexp_f32 v30, v27, 1
	v_sub_f32_e32 v27, v27, v28
	s_delay_alu instid0(VALU_DEP_4) | instskip(NEXT) | instid1(VALU_DEP_3)
	s_or_b32 s1, s1, s14
	v_mul_f32_e32 v29, v31, v29
	v_mul_f32_e32 v31, 0x3f317218, v24
	s_delay_alu instid0(VALU_DEP_2) | instskip(NEXT) | instid1(VALU_DEP_1)
	v_dual_sub_f32 v25, v25, v27 :: v_dual_add_f32 v28, v30, v29
	v_ldexp_f32 v25, v25, 1
	s_delay_alu instid0(VALU_DEP_2) | instskip(NEXT) | instid1(VALU_DEP_4)
	v_sub_f32_e32 v27, v28, v30
	v_fma_f32 v30, 0x3f317218, v24, -v31
	s_delay_alu instid0(VALU_DEP_1) | instskip(NEXT) | instid1(VALU_DEP_1)
	v_dual_sub_f32 v27, v29, v27 :: v_dual_fmamk_f32 v24, v24, 0xb102e308, v30
	v_add_f32_e32 v25, v25, v27
	s_delay_alu instid0(VALU_DEP_2) | instskip(NEXT) | instid1(VALU_DEP_2)
	v_add_f32_e32 v27, v31, v24
	v_add_f32_e32 v29, v28, v25
	s_delay_alu instid0(VALU_DEP_2) | instskip(NEXT) | instid1(VALU_DEP_2)
	v_sub_f32_e32 v31, v27, v31
	v_add_f32_e32 v30, v27, v29
	v_sub_f32_e32 v28, v29, v28
	s_delay_alu instid0(VALU_DEP_3) | instskip(NEXT) | instid1(VALU_DEP_2)
	v_sub_f32_e32 v24, v24, v31
	v_dual_sub_f32 v32, v30, v27 :: v_dual_sub_f32 v25, v25, v28
	s_delay_alu instid0(VALU_DEP_1) | instskip(NEXT) | instid1(VALU_DEP_2)
	v_sub_f32_e32 v33, v30, v32
	v_dual_sub_f32 v28, v29, v32 :: v_dual_add_f32 v29, v24, v25
	s_delay_alu instid0(VALU_DEP_2) | instskip(NEXT) | instid1(VALU_DEP_1)
	v_sub_f32_e32 v27, v27, v33
	v_dual_add_f32 v27, v28, v27 :: v_dual_sub_f32 v28, v29, v24
	s_delay_alu instid0(VALU_DEP_1) | instskip(NEXT) | instid1(VALU_DEP_2)
	v_add_f32_e32 v27, v29, v27
	v_sub_f32_e32 v29, v29, v28
	v_sub_f32_e32 v25, v25, v28
	s_delay_alu instid0(VALU_DEP_2) | instskip(NEXT) | instid1(VALU_DEP_1)
	v_dual_add_f32 v31, v30, v27 :: v_dual_sub_f32 v24, v24, v29
	v_sub_f32_e32 v28, v31, v30
	s_delay_alu instid0(VALU_DEP_2) | instskip(NEXT) | instid1(VALU_DEP_2)
	v_add_f32_e32 v24, v25, v24
	v_sub_f32_e32 v25, v27, v28
	s_delay_alu instid0(VALU_DEP_1) | instskip(NEXT) | instid1(VALU_DEP_1)
	v_add_f32_e32 v24, v24, v25
	v_add_f32_e32 v24, v31, v24
	s_delay_alu instid0(VALU_DEP_1) | instskip(NEXT) | instid1(VALU_DEP_1)
	v_cndmask_b32_e64 v24, v24, v26, s1
	v_add_f32_e32 v24, v23, v24
.LBB116_36:
	s_or_b32 exec_lo, exec_lo, s13
	s_delay_alu instid0(VALU_DEP_1)
	v_mov_b32_e32 v23, v24
.LBB116_37:
	s_or_b32 exec_lo, exec_lo, s12
	s_delay_alu instid0(VALU_DEP_1)
	v_mov_b32_dpp v24, v23 row_shr:4 row_mask:0xf bank_mask:0xf
	s_mov_b32 s12, exec_lo
	v_cmpx_lt_u32_e32 3, v22
	s_cbranch_execz .LBB116_41
; %bb.38:
	s_delay_alu instid0(VALU_DEP_2) | instskip(SKIP_1) | instid1(VALU_DEP_2)
	v_dual_max_f32 v25, v23, v23 :: v_dual_max_f32 v26, v24, v24
	v_cmp_u_f32_e64 s1, v24, v24
	v_min_f32_e32 v27, v26, v25
	v_max_f32_e32 v25, v26, v25
	s_delay_alu instid0(VALU_DEP_2) | instskip(NEXT) | instid1(VALU_DEP_2)
	v_cndmask_b32_e64 v26, v27, v24, s1
	v_cndmask_b32_e64 v27, v25, v24, s1
	v_cmp_u_f32_e64 s1, v23, v23
	s_delay_alu instid0(VALU_DEP_1) | instskip(NEXT) | instid1(VALU_DEP_3)
	v_cndmask_b32_e64 v25, v26, v23, s1
	v_cndmask_b32_e64 v23, v27, v23, s1
	s_delay_alu instid0(VALU_DEP_2) | instskip(NEXT) | instid1(VALU_DEP_2)
	v_cmp_class_f32_e64 s13, v25, 0x1f8
	v_cmp_neq_f32_e64 s1, v25, v23
	s_delay_alu instid0(VALU_DEP_1) | instskip(NEXT) | instid1(SALU_CYCLE_1)
	s_or_b32 s1, s1, s13
	s_and_saveexec_b32 s13, s1
	s_cbranch_execz .LBB116_40
; %bb.39:
	v_sub_f32_e32 v24, v25, v23
	s_delay_alu instid0(VALU_DEP_1) | instskip(SKIP_1) | instid1(VALU_DEP_2)
	v_mul_f32_e32 v25, 0x3fb8aa3b, v24
	v_cmp_ngt_f32_e64 s1, 0xc2ce8ed0, v24
	v_fma_f32 v26, 0x3fb8aa3b, v24, -v25
	v_rndne_f32_e32 v27, v25
	s_delay_alu instid0(VALU_DEP_1) | instskip(NEXT) | instid1(VALU_DEP_1)
	v_dual_fmamk_f32 v26, v24, 0x32a5705f, v26 :: v_dual_sub_f32 v25, v25, v27
	v_add_f32_e32 v25, v25, v26
	v_cvt_i32_f32_e32 v26, v27
	s_delay_alu instid0(VALU_DEP_2) | instskip(SKIP_2) | instid1(VALU_DEP_1)
	v_exp_f32_e32 v25, v25
	s_waitcnt_depctr 0xfff
	v_ldexp_f32 v25, v25, v26
	v_cndmask_b32_e64 v25, 0, v25, s1
	v_cmp_nlt_f32_e64 s1, 0x42b17218, v24
	s_delay_alu instid0(VALU_DEP_1) | instskip(NEXT) | instid1(VALU_DEP_1)
	v_cndmask_b32_e64 v26, 0x7f800000, v25, s1
	v_add_f32_e32 v27, 1.0, v26
	v_cmp_gt_f32_e64 s14, 0x33800000, |v26|
	s_delay_alu instid0(VALU_DEP_2) | instskip(NEXT) | instid1(VALU_DEP_1)
	v_cvt_f64_f32_e32 v[24:25], v27
	v_frexp_exp_i32_f64_e32 v24, v[24:25]
	v_frexp_mant_f32_e32 v25, v27
	s_delay_alu instid0(VALU_DEP_1) | instskip(SKIP_1) | instid1(VALU_DEP_1)
	v_cmp_gt_f32_e64 s1, 0x3f2aaaab, v25
	v_add_f32_e32 v25, -1.0, v27
	v_sub_f32_e32 v29, v25, v27
	v_sub_f32_e32 v25, v26, v25
	s_delay_alu instid0(VALU_DEP_4) | instskip(SKIP_1) | instid1(VALU_DEP_1)
	v_subrev_co_ci_u32_e64 v24, s1, 0, v24, s1
	s_mov_b32 s1, 0x3e9b6dac
	v_sub_nc_u32_e32 v28, 0, v24
	v_cvt_f32_i32_e32 v24, v24
	s_delay_alu instid0(VALU_DEP_2) | instskip(NEXT) | instid1(VALU_DEP_1)
	v_ldexp_f32 v27, v27, v28
	v_dual_add_f32 v30, 1.0, v27 :: v_dual_add_f32 v29, 1.0, v29
	s_delay_alu instid0(VALU_DEP_1) | instskip(NEXT) | instid1(VALU_DEP_2)
	v_add_f32_e32 v25, v25, v29
	v_add_f32_e32 v29, -1.0, v30
	s_delay_alu instid0(VALU_DEP_2) | instskip(NEXT) | instid1(VALU_DEP_2)
	v_ldexp_f32 v25, v25, v28
	v_dual_add_f32 v28, -1.0, v27 :: v_dual_sub_f32 v29, v27, v29
	s_delay_alu instid0(VALU_DEP_1) | instskip(NEXT) | instid1(VALU_DEP_2)
	v_add_f32_e32 v31, 1.0, v28
	v_add_f32_e32 v29, v25, v29
	s_delay_alu instid0(VALU_DEP_2) | instskip(NEXT) | instid1(VALU_DEP_2)
	v_sub_f32_e32 v27, v27, v31
	v_add_f32_e32 v31, v30, v29
	s_delay_alu instid0(VALU_DEP_2) | instskip(NEXT) | instid1(VALU_DEP_2)
	v_add_f32_e32 v25, v25, v27
	v_rcp_f32_e32 v27, v31
	v_sub_f32_e32 v30, v30, v31
	s_delay_alu instid0(VALU_DEP_1) | instskip(NEXT) | instid1(VALU_DEP_1)
	v_dual_add_f32 v32, v28, v25 :: v_dual_add_f32 v29, v29, v30
	v_sub_f32_e32 v28, v28, v32
	s_waitcnt_depctr 0xfff
	v_mul_f32_e32 v33, v32, v27
	s_delay_alu instid0(VALU_DEP_1) | instskip(NEXT) | instid1(VALU_DEP_1)
	v_dual_add_f32 v25, v25, v28 :: v_dual_mul_f32 v34, v31, v33
	v_fma_f32 v30, v33, v31, -v34
	s_delay_alu instid0(VALU_DEP_1) | instskip(NEXT) | instid1(VALU_DEP_1)
	v_fmac_f32_e32 v30, v33, v29
	v_add_f32_e32 v35, v34, v30
	s_delay_alu instid0(VALU_DEP_1) | instskip(SKIP_1) | instid1(VALU_DEP_2)
	v_sub_f32_e32 v36, v32, v35
	v_sub_f32_e32 v28, v35, v34
	;; [unrolled: 1-line block ×3, first 2 shown]
	s_delay_alu instid0(VALU_DEP_2) | instskip(NEXT) | instid1(VALU_DEP_2)
	v_sub_f32_e32 v28, v28, v30
	v_sub_f32_e32 v32, v32, v35
	s_delay_alu instid0(VALU_DEP_1) | instskip(NEXT) | instid1(VALU_DEP_1)
	v_add_f32_e32 v25, v25, v32
	v_add_f32_e32 v25, v28, v25
	s_delay_alu instid0(VALU_DEP_1) | instskip(NEXT) | instid1(VALU_DEP_1)
	v_add_f32_e32 v28, v36, v25
	v_mul_f32_e32 v30, v27, v28
	s_delay_alu instid0(VALU_DEP_1) | instskip(NEXT) | instid1(VALU_DEP_1)
	v_dual_sub_f32 v35, v36, v28 :: v_dual_mul_f32 v32, v31, v30
	v_add_f32_e32 v25, v25, v35
	s_delay_alu instid0(VALU_DEP_2) | instskip(NEXT) | instid1(VALU_DEP_1)
	v_fma_f32 v31, v30, v31, -v32
	v_fmac_f32_e32 v31, v30, v29
	s_delay_alu instid0(VALU_DEP_1) | instskip(NEXT) | instid1(VALU_DEP_1)
	v_add_f32_e32 v29, v32, v31
	v_sub_f32_e32 v34, v28, v29
	v_sub_f32_e32 v32, v29, v32
	s_delay_alu instid0(VALU_DEP_2) | instskip(NEXT) | instid1(VALU_DEP_1)
	v_sub_f32_e32 v28, v28, v34
	v_sub_f32_e32 v28, v28, v29
	s_delay_alu instid0(VALU_DEP_3) | instskip(NEXT) | instid1(VALU_DEP_2)
	v_sub_f32_e32 v29, v32, v31
	v_add_f32_e32 v25, v25, v28
	v_add_f32_e32 v28, v33, v30
	s_delay_alu instid0(VALU_DEP_2) | instskip(NEXT) | instid1(VALU_DEP_2)
	v_add_f32_e32 v25, v29, v25
	v_sub_f32_e32 v29, v28, v33
	s_delay_alu instid0(VALU_DEP_2) | instskip(NEXT) | instid1(VALU_DEP_2)
	v_add_f32_e32 v25, v34, v25
	v_sub_f32_e32 v29, v30, v29
	s_delay_alu instid0(VALU_DEP_2) | instskip(NEXT) | instid1(VALU_DEP_1)
	v_mul_f32_e32 v25, v27, v25
	v_add_f32_e32 v25, v29, v25
	s_delay_alu instid0(VALU_DEP_1) | instskip(NEXT) | instid1(VALU_DEP_1)
	v_add_f32_e32 v27, v28, v25
	v_mul_f32_e32 v29, v27, v27
	s_delay_alu instid0(VALU_DEP_1) | instskip(SKIP_2) | instid1(VALU_DEP_3)
	v_fmaak_f32 v30, s1, v29, 0x3ecc95a3
	v_mul_f32_e32 v31, v27, v29
	v_cmp_eq_f32_e64 s1, 0x7f800000, v26
	v_fmaak_f32 v29, v29, v30, 0x3f2aaada
	v_ldexp_f32 v30, v27, 1
	v_sub_f32_e32 v27, v27, v28
	s_delay_alu instid0(VALU_DEP_4) | instskip(NEXT) | instid1(VALU_DEP_3)
	s_or_b32 s1, s1, s14
	v_mul_f32_e32 v29, v31, v29
	v_mul_f32_e32 v31, 0x3f317218, v24
	s_delay_alu instid0(VALU_DEP_2) | instskip(NEXT) | instid1(VALU_DEP_1)
	v_dual_sub_f32 v25, v25, v27 :: v_dual_add_f32 v28, v30, v29
	v_ldexp_f32 v25, v25, 1
	s_delay_alu instid0(VALU_DEP_2) | instskip(NEXT) | instid1(VALU_DEP_4)
	v_sub_f32_e32 v27, v28, v30
	v_fma_f32 v30, 0x3f317218, v24, -v31
	s_delay_alu instid0(VALU_DEP_1) | instskip(NEXT) | instid1(VALU_DEP_1)
	v_dual_sub_f32 v27, v29, v27 :: v_dual_fmamk_f32 v24, v24, 0xb102e308, v30
	v_add_f32_e32 v25, v25, v27
	s_delay_alu instid0(VALU_DEP_2) | instskip(NEXT) | instid1(VALU_DEP_2)
	v_add_f32_e32 v27, v31, v24
	v_add_f32_e32 v29, v28, v25
	s_delay_alu instid0(VALU_DEP_2) | instskip(NEXT) | instid1(VALU_DEP_2)
	v_sub_f32_e32 v31, v27, v31
	v_add_f32_e32 v30, v27, v29
	v_sub_f32_e32 v28, v29, v28
	s_delay_alu instid0(VALU_DEP_3) | instskip(NEXT) | instid1(VALU_DEP_2)
	v_sub_f32_e32 v24, v24, v31
	v_dual_sub_f32 v32, v30, v27 :: v_dual_sub_f32 v25, v25, v28
	s_delay_alu instid0(VALU_DEP_1) | instskip(NEXT) | instid1(VALU_DEP_2)
	v_sub_f32_e32 v33, v30, v32
	v_dual_sub_f32 v28, v29, v32 :: v_dual_add_f32 v29, v24, v25
	s_delay_alu instid0(VALU_DEP_2) | instskip(NEXT) | instid1(VALU_DEP_1)
	v_sub_f32_e32 v27, v27, v33
	v_dual_add_f32 v27, v28, v27 :: v_dual_sub_f32 v28, v29, v24
	s_delay_alu instid0(VALU_DEP_1) | instskip(NEXT) | instid1(VALU_DEP_2)
	v_add_f32_e32 v27, v29, v27
	v_sub_f32_e32 v29, v29, v28
	v_sub_f32_e32 v25, v25, v28
	s_delay_alu instid0(VALU_DEP_2) | instskip(NEXT) | instid1(VALU_DEP_1)
	v_dual_add_f32 v31, v30, v27 :: v_dual_sub_f32 v24, v24, v29
	v_sub_f32_e32 v28, v31, v30
	s_delay_alu instid0(VALU_DEP_2) | instskip(NEXT) | instid1(VALU_DEP_2)
	v_add_f32_e32 v24, v25, v24
	v_sub_f32_e32 v25, v27, v28
	s_delay_alu instid0(VALU_DEP_1) | instskip(NEXT) | instid1(VALU_DEP_1)
	v_add_f32_e32 v24, v24, v25
	v_add_f32_e32 v24, v31, v24
	s_delay_alu instid0(VALU_DEP_1) | instskip(NEXT) | instid1(VALU_DEP_1)
	v_cndmask_b32_e64 v24, v24, v26, s1
	v_add_f32_e32 v24, v23, v24
.LBB116_40:
	s_or_b32 exec_lo, exec_lo, s13
	s_delay_alu instid0(VALU_DEP_1)
	v_mov_b32_e32 v23, v24
.LBB116_41:
	s_or_b32 exec_lo, exec_lo, s12
	s_delay_alu instid0(VALU_DEP_1)
	v_mov_b32_dpp v24, v23 row_shr:8 row_mask:0xf bank_mask:0xf
	s_mov_b32 s12, exec_lo
	v_cmpx_lt_u32_e32 7, v22
	s_cbranch_execz .LBB116_45
; %bb.42:
	s_delay_alu instid0(VALU_DEP_2) | instskip(SKIP_1) | instid1(VALU_DEP_2)
	v_dual_max_f32 v22, v23, v23 :: v_dual_max_f32 v25, v24, v24
	v_cmp_u_f32_e64 s1, v24, v24
	v_min_f32_e32 v26, v25, v22
	v_max_f32_e32 v22, v25, v22
	s_delay_alu instid0(VALU_DEP_2) | instskip(NEXT) | instid1(VALU_DEP_2)
	v_cndmask_b32_e64 v25, v26, v24, s1
	v_cndmask_b32_e64 v22, v22, v24, s1
	v_cmp_u_f32_e64 s1, v23, v23
	s_delay_alu instid0(VALU_DEP_1) | instskip(NEXT) | instid1(VALU_DEP_3)
	v_cndmask_b32_e64 v25, v25, v23, s1
	v_cndmask_b32_e64 v22, v22, v23, s1
	s_delay_alu instid0(VALU_DEP_2) | instskip(NEXT) | instid1(VALU_DEP_2)
	v_cmp_class_f32_e64 s13, v25, 0x1f8
	v_cmp_neq_f32_e64 s1, v25, v22
	s_delay_alu instid0(VALU_DEP_1) | instskip(NEXT) | instid1(SALU_CYCLE_1)
	s_or_b32 s1, s1, s13
	s_and_saveexec_b32 s13, s1
	s_cbranch_execz .LBB116_44
; %bb.43:
	v_sub_f32_e32 v23, v25, v22
	s_delay_alu instid0(VALU_DEP_1) | instskip(NEXT) | instid1(VALU_DEP_1)
	v_mul_f32_e32 v24, 0x3fb8aa3b, v23
	v_fma_f32 v25, 0x3fb8aa3b, v23, -v24
	v_rndne_f32_e32 v26, v24
	s_delay_alu instid0(VALU_DEP_1) | instskip(NEXT) | instid1(VALU_DEP_1)
	v_dual_fmamk_f32 v25, v23, 0x32a5705f, v25 :: v_dual_sub_f32 v24, v24, v26
	v_add_f32_e32 v24, v24, v25
	v_cvt_i32_f32_e32 v25, v26
	v_cmp_ngt_f32_e64 s1, 0xc2ce8ed0, v23
	s_delay_alu instid0(VALU_DEP_3) | instskip(SKIP_2) | instid1(VALU_DEP_1)
	v_exp_f32_e32 v24, v24
	s_waitcnt_depctr 0xfff
	v_ldexp_f32 v24, v24, v25
	v_cndmask_b32_e64 v24, 0, v24, s1
	v_cmp_nlt_f32_e64 s1, 0x42b17218, v23
	s_delay_alu instid0(VALU_DEP_1) | instskip(NEXT) | instid1(VALU_DEP_1)
	v_cndmask_b32_e64 v25, 0x7f800000, v24, s1
	v_add_f32_e32 v26, 1.0, v25
	v_cmp_gt_f32_e64 s14, 0x33800000, |v25|
	s_delay_alu instid0(VALU_DEP_2) | instskip(NEXT) | instid1(VALU_DEP_1)
	v_cvt_f64_f32_e32 v[23:24], v26
	v_frexp_exp_i32_f64_e32 v23, v[23:24]
	v_frexp_mant_f32_e32 v24, v26
	s_delay_alu instid0(VALU_DEP_1) | instskip(SKIP_1) | instid1(VALU_DEP_1)
	v_cmp_gt_f32_e64 s1, 0x3f2aaaab, v24
	v_add_f32_e32 v24, -1.0, v26
	v_sub_f32_e32 v28, v24, v26
	s_delay_alu instid0(VALU_DEP_3) | instskip(SKIP_1) | instid1(VALU_DEP_1)
	v_subrev_co_ci_u32_e64 v23, s1, 0, v23, s1
	s_mov_b32 s1, 0x3e9b6dac
	v_sub_nc_u32_e32 v27, 0, v23
	v_cvt_f32_i32_e32 v23, v23
	s_delay_alu instid0(VALU_DEP_2) | instskip(NEXT) | instid1(VALU_DEP_1)
	v_ldexp_f32 v26, v26, v27
	v_dual_sub_f32 v24, v25, v24 :: v_dual_add_f32 v29, 1.0, v26
	v_add_f32_e32 v28, 1.0, v28
	s_delay_alu instid0(VALU_DEP_1) | instskip(NEXT) | instid1(VALU_DEP_3)
	v_add_f32_e32 v24, v24, v28
	v_add_f32_e32 v28, -1.0, v29
	s_delay_alu instid0(VALU_DEP_2) | instskip(NEXT) | instid1(VALU_DEP_2)
	v_ldexp_f32 v24, v24, v27
	v_dual_add_f32 v27, -1.0, v26 :: v_dual_sub_f32 v28, v26, v28
	s_delay_alu instid0(VALU_DEP_1) | instskip(NEXT) | instid1(VALU_DEP_2)
	v_add_f32_e32 v30, 1.0, v27
	v_add_f32_e32 v28, v24, v28
	s_delay_alu instid0(VALU_DEP_2) | instskip(NEXT) | instid1(VALU_DEP_2)
	v_sub_f32_e32 v26, v26, v30
	v_add_f32_e32 v30, v29, v28
	s_delay_alu instid0(VALU_DEP_2) | instskip(NEXT) | instid1(VALU_DEP_2)
	v_add_f32_e32 v24, v24, v26
	v_rcp_f32_e32 v26, v30
	v_sub_f32_e32 v29, v29, v30
	s_delay_alu instid0(VALU_DEP_1) | instskip(NEXT) | instid1(VALU_DEP_1)
	v_dual_add_f32 v31, v27, v24 :: v_dual_add_f32 v28, v28, v29
	v_sub_f32_e32 v27, v27, v31
	s_waitcnt_depctr 0xfff
	v_mul_f32_e32 v32, v31, v26
	s_delay_alu instid0(VALU_DEP_1) | instskip(NEXT) | instid1(VALU_DEP_1)
	v_dual_add_f32 v24, v24, v27 :: v_dual_mul_f32 v33, v30, v32
	v_fma_f32 v29, v32, v30, -v33
	s_delay_alu instid0(VALU_DEP_1) | instskip(NEXT) | instid1(VALU_DEP_1)
	v_fmac_f32_e32 v29, v32, v28
	v_add_f32_e32 v34, v33, v29
	s_delay_alu instid0(VALU_DEP_1) | instskip(SKIP_1) | instid1(VALU_DEP_2)
	v_sub_f32_e32 v35, v31, v34
	v_sub_f32_e32 v27, v34, v33
	;; [unrolled: 1-line block ×3, first 2 shown]
	s_delay_alu instid0(VALU_DEP_2) | instskip(NEXT) | instid1(VALU_DEP_2)
	v_sub_f32_e32 v27, v27, v29
	v_sub_f32_e32 v31, v31, v34
	s_delay_alu instid0(VALU_DEP_1) | instskip(NEXT) | instid1(VALU_DEP_1)
	v_add_f32_e32 v24, v24, v31
	v_add_f32_e32 v24, v27, v24
	s_delay_alu instid0(VALU_DEP_1) | instskip(NEXT) | instid1(VALU_DEP_1)
	v_add_f32_e32 v27, v35, v24
	v_mul_f32_e32 v29, v26, v27
	s_delay_alu instid0(VALU_DEP_1) | instskip(NEXT) | instid1(VALU_DEP_1)
	v_dual_sub_f32 v34, v35, v27 :: v_dual_mul_f32 v31, v30, v29
	v_add_f32_e32 v24, v24, v34
	s_delay_alu instid0(VALU_DEP_2) | instskip(NEXT) | instid1(VALU_DEP_1)
	v_fma_f32 v30, v29, v30, -v31
	v_fmac_f32_e32 v30, v29, v28
	s_delay_alu instid0(VALU_DEP_1) | instskip(NEXT) | instid1(VALU_DEP_1)
	v_add_f32_e32 v28, v31, v30
	v_sub_f32_e32 v33, v27, v28
	v_sub_f32_e32 v31, v28, v31
	s_delay_alu instid0(VALU_DEP_2) | instskip(NEXT) | instid1(VALU_DEP_1)
	v_sub_f32_e32 v27, v27, v33
	v_sub_f32_e32 v27, v27, v28
	s_delay_alu instid0(VALU_DEP_3) | instskip(NEXT) | instid1(VALU_DEP_2)
	v_sub_f32_e32 v28, v31, v30
	v_add_f32_e32 v24, v24, v27
	v_add_f32_e32 v27, v32, v29
	s_delay_alu instid0(VALU_DEP_2) | instskip(NEXT) | instid1(VALU_DEP_2)
	v_add_f32_e32 v24, v28, v24
	v_sub_f32_e32 v28, v27, v32
	s_delay_alu instid0(VALU_DEP_2) | instskip(NEXT) | instid1(VALU_DEP_2)
	v_add_f32_e32 v24, v33, v24
	v_sub_f32_e32 v28, v29, v28
	s_delay_alu instid0(VALU_DEP_2) | instskip(NEXT) | instid1(VALU_DEP_1)
	v_mul_f32_e32 v24, v26, v24
	v_add_f32_e32 v24, v28, v24
	s_delay_alu instid0(VALU_DEP_1) | instskip(NEXT) | instid1(VALU_DEP_1)
	v_add_f32_e32 v26, v27, v24
	v_mul_f32_e32 v28, v26, v26
	s_delay_alu instid0(VALU_DEP_1) | instskip(SKIP_2) | instid1(VALU_DEP_3)
	v_fmaak_f32 v29, s1, v28, 0x3ecc95a3
	v_mul_f32_e32 v30, v26, v28
	v_cmp_eq_f32_e64 s1, 0x7f800000, v25
	v_fmaak_f32 v28, v28, v29, 0x3f2aaada
	v_ldexp_f32 v29, v26, 1
	v_sub_f32_e32 v26, v26, v27
	s_delay_alu instid0(VALU_DEP_4) | instskip(NEXT) | instid1(VALU_DEP_3)
	s_or_b32 s1, s1, s14
	v_mul_f32_e32 v28, v30, v28
	v_mul_f32_e32 v30, 0x3f317218, v23
	s_delay_alu instid0(VALU_DEP_2) | instskip(NEXT) | instid1(VALU_DEP_1)
	v_dual_sub_f32 v24, v24, v26 :: v_dual_add_f32 v27, v29, v28
	v_ldexp_f32 v24, v24, 1
	s_delay_alu instid0(VALU_DEP_2) | instskip(NEXT) | instid1(VALU_DEP_4)
	v_sub_f32_e32 v26, v27, v29
	v_fma_f32 v29, 0x3f317218, v23, -v30
	s_delay_alu instid0(VALU_DEP_1) | instskip(NEXT) | instid1(VALU_DEP_1)
	v_dual_sub_f32 v26, v28, v26 :: v_dual_fmamk_f32 v23, v23, 0xb102e308, v29
	v_add_f32_e32 v24, v24, v26
	s_delay_alu instid0(VALU_DEP_2) | instskip(NEXT) | instid1(VALU_DEP_2)
	v_add_f32_e32 v26, v30, v23
	v_add_f32_e32 v28, v27, v24
	s_delay_alu instid0(VALU_DEP_2) | instskip(NEXT) | instid1(VALU_DEP_2)
	v_sub_f32_e32 v30, v26, v30
	v_add_f32_e32 v29, v26, v28
	v_sub_f32_e32 v27, v28, v27
	s_delay_alu instid0(VALU_DEP_3) | instskip(NEXT) | instid1(VALU_DEP_2)
	v_sub_f32_e32 v23, v23, v30
	v_dual_sub_f32 v31, v29, v26 :: v_dual_sub_f32 v24, v24, v27
	s_delay_alu instid0(VALU_DEP_1) | instskip(NEXT) | instid1(VALU_DEP_2)
	v_sub_f32_e32 v32, v29, v31
	v_dual_sub_f32 v27, v28, v31 :: v_dual_add_f32 v28, v23, v24
	s_delay_alu instid0(VALU_DEP_2) | instskip(NEXT) | instid1(VALU_DEP_1)
	v_sub_f32_e32 v26, v26, v32
	v_dual_add_f32 v26, v27, v26 :: v_dual_sub_f32 v27, v28, v23
	s_delay_alu instid0(VALU_DEP_1) | instskip(NEXT) | instid1(VALU_DEP_2)
	v_add_f32_e32 v26, v28, v26
	v_sub_f32_e32 v28, v28, v27
	v_sub_f32_e32 v24, v24, v27
	s_delay_alu instid0(VALU_DEP_2) | instskip(NEXT) | instid1(VALU_DEP_1)
	v_dual_add_f32 v30, v29, v26 :: v_dual_sub_f32 v23, v23, v28
	v_sub_f32_e32 v27, v30, v29
	s_delay_alu instid0(VALU_DEP_2) | instskip(NEXT) | instid1(VALU_DEP_2)
	v_add_f32_e32 v23, v24, v23
	v_sub_f32_e32 v24, v26, v27
	s_delay_alu instid0(VALU_DEP_1) | instskip(NEXT) | instid1(VALU_DEP_1)
	v_add_f32_e32 v23, v23, v24
	v_add_f32_e32 v23, v30, v23
	s_delay_alu instid0(VALU_DEP_1) | instskip(NEXT) | instid1(VALU_DEP_1)
	v_cndmask_b32_e64 v23, v23, v25, s1
	v_add_f32_e32 v24, v22, v23
.LBB116_44:
	s_or_b32 exec_lo, exec_lo, s13
	s_delay_alu instid0(VALU_DEP_1)
	v_mov_b32_e32 v23, v24
.LBB116_45:
	s_or_b32 exec_lo, exec_lo, s12
	ds_swizzle_b32 v24, v23 offset:swizzle(BROADCAST,32,15)
	v_and_b32_e32 v22, 16, v6
	s_mov_b32 s12, exec_lo
	s_delay_alu instid0(VALU_DEP_1)
	v_cmpx_ne_u32_e32 0, v22
	s_cbranch_execz .LBB116_49
; %bb.46:
	s_waitcnt lgkmcnt(0)
	v_dual_max_f32 v22, v23, v23 :: v_dual_max_f32 v25, v24, v24
	v_cmp_u_f32_e64 s1, v24, v24
	s_delay_alu instid0(VALU_DEP_2) | instskip(SKIP_1) | instid1(VALU_DEP_2)
	v_min_f32_e32 v26, v25, v22
	v_max_f32_e32 v22, v25, v22
	v_cndmask_b32_e64 v25, v26, v24, s1
	s_delay_alu instid0(VALU_DEP_2) | instskip(SKIP_1) | instid1(VALU_DEP_1)
	v_cndmask_b32_e64 v22, v22, v24, s1
	v_cmp_u_f32_e64 s1, v23, v23
	v_cndmask_b32_e64 v25, v25, v23, s1
	s_delay_alu instid0(VALU_DEP_3) | instskip(NEXT) | instid1(VALU_DEP_2)
	v_cndmask_b32_e64 v22, v22, v23, s1
	v_cmp_class_f32_e64 s13, v25, 0x1f8
	s_delay_alu instid0(VALU_DEP_2) | instskip(NEXT) | instid1(VALU_DEP_1)
	v_cmp_neq_f32_e64 s1, v25, v22
	s_or_b32 s1, s1, s13
	s_delay_alu instid0(SALU_CYCLE_1)
	s_and_saveexec_b32 s13, s1
	s_cbranch_execz .LBB116_48
; %bb.47:
	v_sub_f32_e32 v23, v25, v22
	s_delay_alu instid0(VALU_DEP_1) | instskip(NEXT) | instid1(VALU_DEP_1)
	v_mul_f32_e32 v24, 0x3fb8aa3b, v23
	v_fma_f32 v25, 0x3fb8aa3b, v23, -v24
	v_rndne_f32_e32 v26, v24
	s_delay_alu instid0(VALU_DEP_1) | instskip(NEXT) | instid1(VALU_DEP_1)
	v_dual_fmamk_f32 v25, v23, 0x32a5705f, v25 :: v_dual_sub_f32 v24, v24, v26
	v_add_f32_e32 v24, v24, v25
	v_cvt_i32_f32_e32 v25, v26
	v_cmp_ngt_f32_e64 s1, 0xc2ce8ed0, v23
	s_delay_alu instid0(VALU_DEP_3) | instskip(SKIP_2) | instid1(VALU_DEP_1)
	v_exp_f32_e32 v24, v24
	s_waitcnt_depctr 0xfff
	v_ldexp_f32 v24, v24, v25
	v_cndmask_b32_e64 v24, 0, v24, s1
	v_cmp_nlt_f32_e64 s1, 0x42b17218, v23
	s_delay_alu instid0(VALU_DEP_1) | instskip(NEXT) | instid1(VALU_DEP_1)
	v_cndmask_b32_e64 v25, 0x7f800000, v24, s1
	v_add_f32_e32 v26, 1.0, v25
	v_cmp_gt_f32_e64 s14, 0x33800000, |v25|
	s_delay_alu instid0(VALU_DEP_2) | instskip(NEXT) | instid1(VALU_DEP_1)
	v_cvt_f64_f32_e32 v[23:24], v26
	v_frexp_exp_i32_f64_e32 v23, v[23:24]
	v_frexp_mant_f32_e32 v24, v26
	s_delay_alu instid0(VALU_DEP_1) | instskip(SKIP_1) | instid1(VALU_DEP_1)
	v_cmp_gt_f32_e64 s1, 0x3f2aaaab, v24
	v_add_f32_e32 v24, -1.0, v26
	v_sub_f32_e32 v28, v24, v26
	s_delay_alu instid0(VALU_DEP_3) | instskip(SKIP_1) | instid1(VALU_DEP_1)
	v_subrev_co_ci_u32_e64 v23, s1, 0, v23, s1
	s_mov_b32 s1, 0x3e9b6dac
	v_sub_nc_u32_e32 v27, 0, v23
	v_cvt_f32_i32_e32 v23, v23
	s_delay_alu instid0(VALU_DEP_2) | instskip(NEXT) | instid1(VALU_DEP_1)
	v_ldexp_f32 v26, v26, v27
	v_dual_sub_f32 v24, v25, v24 :: v_dual_add_f32 v29, 1.0, v26
	v_add_f32_e32 v28, 1.0, v28
	s_delay_alu instid0(VALU_DEP_1) | instskip(NEXT) | instid1(VALU_DEP_3)
	v_add_f32_e32 v24, v24, v28
	v_add_f32_e32 v28, -1.0, v29
	s_delay_alu instid0(VALU_DEP_2) | instskip(NEXT) | instid1(VALU_DEP_2)
	v_ldexp_f32 v24, v24, v27
	v_dual_add_f32 v27, -1.0, v26 :: v_dual_sub_f32 v28, v26, v28
	s_delay_alu instid0(VALU_DEP_1) | instskip(NEXT) | instid1(VALU_DEP_2)
	v_add_f32_e32 v30, 1.0, v27
	v_add_f32_e32 v28, v24, v28
	s_delay_alu instid0(VALU_DEP_2) | instskip(NEXT) | instid1(VALU_DEP_2)
	v_sub_f32_e32 v26, v26, v30
	v_add_f32_e32 v30, v29, v28
	s_delay_alu instid0(VALU_DEP_2) | instskip(NEXT) | instid1(VALU_DEP_2)
	v_add_f32_e32 v24, v24, v26
	v_rcp_f32_e32 v26, v30
	v_sub_f32_e32 v29, v29, v30
	s_delay_alu instid0(VALU_DEP_1) | instskip(NEXT) | instid1(VALU_DEP_1)
	v_dual_add_f32 v31, v27, v24 :: v_dual_add_f32 v28, v28, v29
	v_sub_f32_e32 v27, v27, v31
	s_waitcnt_depctr 0xfff
	v_mul_f32_e32 v32, v31, v26
	s_delay_alu instid0(VALU_DEP_1) | instskip(NEXT) | instid1(VALU_DEP_1)
	v_dual_add_f32 v24, v24, v27 :: v_dual_mul_f32 v33, v30, v32
	v_fma_f32 v29, v32, v30, -v33
	s_delay_alu instid0(VALU_DEP_1) | instskip(NEXT) | instid1(VALU_DEP_1)
	v_fmac_f32_e32 v29, v32, v28
	v_add_f32_e32 v34, v33, v29
	s_delay_alu instid0(VALU_DEP_1) | instskip(SKIP_1) | instid1(VALU_DEP_2)
	v_sub_f32_e32 v35, v31, v34
	v_sub_f32_e32 v27, v34, v33
	;; [unrolled: 1-line block ×3, first 2 shown]
	s_delay_alu instid0(VALU_DEP_2) | instskip(NEXT) | instid1(VALU_DEP_2)
	v_sub_f32_e32 v27, v27, v29
	v_sub_f32_e32 v31, v31, v34
	s_delay_alu instid0(VALU_DEP_1) | instskip(NEXT) | instid1(VALU_DEP_1)
	v_add_f32_e32 v24, v24, v31
	v_add_f32_e32 v24, v27, v24
	s_delay_alu instid0(VALU_DEP_1) | instskip(NEXT) | instid1(VALU_DEP_1)
	v_add_f32_e32 v27, v35, v24
	v_mul_f32_e32 v29, v26, v27
	s_delay_alu instid0(VALU_DEP_1) | instskip(NEXT) | instid1(VALU_DEP_1)
	v_dual_sub_f32 v34, v35, v27 :: v_dual_mul_f32 v31, v30, v29
	v_add_f32_e32 v24, v24, v34
	s_delay_alu instid0(VALU_DEP_2) | instskip(NEXT) | instid1(VALU_DEP_1)
	v_fma_f32 v30, v29, v30, -v31
	v_fmac_f32_e32 v30, v29, v28
	s_delay_alu instid0(VALU_DEP_1) | instskip(NEXT) | instid1(VALU_DEP_1)
	v_add_f32_e32 v28, v31, v30
	v_sub_f32_e32 v33, v27, v28
	v_sub_f32_e32 v31, v28, v31
	s_delay_alu instid0(VALU_DEP_2) | instskip(NEXT) | instid1(VALU_DEP_1)
	v_sub_f32_e32 v27, v27, v33
	v_sub_f32_e32 v27, v27, v28
	s_delay_alu instid0(VALU_DEP_3) | instskip(NEXT) | instid1(VALU_DEP_2)
	v_sub_f32_e32 v28, v31, v30
	v_add_f32_e32 v24, v24, v27
	v_add_f32_e32 v27, v32, v29
	s_delay_alu instid0(VALU_DEP_2) | instskip(NEXT) | instid1(VALU_DEP_2)
	v_add_f32_e32 v24, v28, v24
	v_sub_f32_e32 v28, v27, v32
	s_delay_alu instid0(VALU_DEP_2) | instskip(NEXT) | instid1(VALU_DEP_2)
	v_add_f32_e32 v24, v33, v24
	v_sub_f32_e32 v28, v29, v28
	s_delay_alu instid0(VALU_DEP_2) | instskip(NEXT) | instid1(VALU_DEP_1)
	v_mul_f32_e32 v24, v26, v24
	v_add_f32_e32 v24, v28, v24
	s_delay_alu instid0(VALU_DEP_1) | instskip(NEXT) | instid1(VALU_DEP_1)
	v_add_f32_e32 v26, v27, v24
	v_mul_f32_e32 v28, v26, v26
	s_delay_alu instid0(VALU_DEP_1) | instskip(SKIP_2) | instid1(VALU_DEP_3)
	v_fmaak_f32 v29, s1, v28, 0x3ecc95a3
	v_mul_f32_e32 v30, v26, v28
	v_cmp_eq_f32_e64 s1, 0x7f800000, v25
	v_fmaak_f32 v28, v28, v29, 0x3f2aaada
	v_ldexp_f32 v29, v26, 1
	v_sub_f32_e32 v26, v26, v27
	s_delay_alu instid0(VALU_DEP_4) | instskip(NEXT) | instid1(VALU_DEP_3)
	s_or_b32 s1, s1, s14
	v_mul_f32_e32 v28, v30, v28
	v_mul_f32_e32 v30, 0x3f317218, v23
	s_delay_alu instid0(VALU_DEP_2) | instskip(NEXT) | instid1(VALU_DEP_1)
	v_dual_sub_f32 v24, v24, v26 :: v_dual_add_f32 v27, v29, v28
	v_ldexp_f32 v24, v24, 1
	s_delay_alu instid0(VALU_DEP_2) | instskip(NEXT) | instid1(VALU_DEP_4)
	v_sub_f32_e32 v26, v27, v29
	v_fma_f32 v29, 0x3f317218, v23, -v30
	s_delay_alu instid0(VALU_DEP_1) | instskip(NEXT) | instid1(VALU_DEP_1)
	v_dual_sub_f32 v26, v28, v26 :: v_dual_fmamk_f32 v23, v23, 0xb102e308, v29
	v_add_f32_e32 v24, v24, v26
	s_delay_alu instid0(VALU_DEP_2) | instskip(NEXT) | instid1(VALU_DEP_2)
	v_add_f32_e32 v26, v30, v23
	v_add_f32_e32 v28, v27, v24
	s_delay_alu instid0(VALU_DEP_2) | instskip(NEXT) | instid1(VALU_DEP_2)
	v_sub_f32_e32 v30, v26, v30
	v_add_f32_e32 v29, v26, v28
	v_sub_f32_e32 v27, v28, v27
	s_delay_alu instid0(VALU_DEP_3) | instskip(NEXT) | instid1(VALU_DEP_2)
	v_sub_f32_e32 v23, v23, v30
	v_dual_sub_f32 v31, v29, v26 :: v_dual_sub_f32 v24, v24, v27
	s_delay_alu instid0(VALU_DEP_1) | instskip(NEXT) | instid1(VALU_DEP_2)
	v_sub_f32_e32 v32, v29, v31
	v_dual_sub_f32 v27, v28, v31 :: v_dual_add_f32 v28, v23, v24
	s_delay_alu instid0(VALU_DEP_2) | instskip(NEXT) | instid1(VALU_DEP_1)
	v_sub_f32_e32 v26, v26, v32
	v_dual_add_f32 v26, v27, v26 :: v_dual_sub_f32 v27, v28, v23
	s_delay_alu instid0(VALU_DEP_1) | instskip(NEXT) | instid1(VALU_DEP_2)
	v_add_f32_e32 v26, v28, v26
	v_sub_f32_e32 v28, v28, v27
	v_sub_f32_e32 v24, v24, v27
	s_delay_alu instid0(VALU_DEP_2) | instskip(NEXT) | instid1(VALU_DEP_1)
	v_dual_add_f32 v30, v29, v26 :: v_dual_sub_f32 v23, v23, v28
	v_sub_f32_e32 v27, v30, v29
	s_delay_alu instid0(VALU_DEP_2) | instskip(NEXT) | instid1(VALU_DEP_2)
	v_add_f32_e32 v23, v24, v23
	v_sub_f32_e32 v24, v26, v27
	s_delay_alu instid0(VALU_DEP_1) | instskip(NEXT) | instid1(VALU_DEP_1)
	v_add_f32_e32 v23, v23, v24
	v_add_f32_e32 v23, v30, v23
	s_delay_alu instid0(VALU_DEP_1) | instskip(NEXT) | instid1(VALU_DEP_1)
	v_cndmask_b32_e64 v23, v23, v25, s1
	v_add_f32_e32 v24, v22, v23
.LBB116_48:
	s_or_b32 exec_lo, exec_lo, s13
	s_delay_alu instid0(VALU_DEP_1)
	v_mov_b32_e32 v23, v24
.LBB116_49:
	s_or_b32 exec_lo, exec_lo, s12
	v_add_nc_u32_e32 v22, -1, v6
	s_delay_alu instid0(VALU_DEP_1) | instskip(NEXT) | instid1(VALU_DEP_1)
	v_cmp_gt_i32_e64 s1, 0, v22
	v_cndmask_b32_e64 v6, v22, v6, s1
	s_delay_alu instid0(VALU_DEP_1) | instskip(SKIP_4) | instid1(VALU_DEP_2)
	v_lshlrev_b32_e32 v6, 2, v6
	ds_bpermute_b32 v6, v6, v23
	s_waitcnt lgkmcnt(0)
	v_max_f32_e32 v22, v6, v6
	v_cmp_u_f32_e64 s1, v6, v6
	v_min_f32_e32 v23, v22, v21
	v_max_f32_e32 v21, v22, v21
	s_delay_alu instid0(VALU_DEP_2) | instskip(NEXT) | instid1(VALU_DEP_2)
	v_cndmask_b32_e64 v22, v23, v6, s1
	v_cndmask_b32_e64 v23, v21, v6, s1
	s_delay_alu instid0(VALU_DEP_2) | instskip(NEXT) | instid1(VALU_DEP_2)
	v_cndmask_b32_e64 v21, v22, v5, s0
	v_cndmask_b32_e64 v5, v23, v5, s0
	s_delay_alu instid0(VALU_DEP_2) | instskip(NEXT) | instid1(VALU_DEP_2)
	v_cmp_class_f32_e64 s1, v21, 0x1f8
	v_cmp_neq_f32_e64 s0, v21, v5
	s_delay_alu instid0(VALU_DEP_1) | instskip(NEXT) | instid1(SALU_CYCLE_1)
	s_or_b32 s0, s0, s1
	s_and_saveexec_b32 s1, s0
	s_cbranch_execz .LBB116_51
; %bb.50:
	v_sub_f32_e32 v6, v21, v5
	s_delay_alu instid0(VALU_DEP_1) | instskip(SKIP_1) | instid1(VALU_DEP_2)
	v_mul_f32_e32 v21, 0x3fb8aa3b, v6
	v_cmp_ngt_f32_e64 s0, 0xc2ce8ed0, v6
	v_fma_f32 v22, 0x3fb8aa3b, v6, -v21
	v_rndne_f32_e32 v23, v21
	s_delay_alu instid0(VALU_DEP_1) | instskip(NEXT) | instid1(VALU_DEP_1)
	v_dual_fmamk_f32 v22, v6, 0x32a5705f, v22 :: v_dual_sub_f32 v21, v21, v23
	v_add_f32_e32 v21, v21, v22
	v_cvt_i32_f32_e32 v22, v23
	s_delay_alu instid0(VALU_DEP_2) | instskip(SKIP_2) | instid1(VALU_DEP_1)
	v_exp_f32_e32 v21, v21
	s_waitcnt_depctr 0xfff
	v_ldexp_f32 v21, v21, v22
	v_cndmask_b32_e64 v21, 0, v21, s0
	v_cmp_nlt_f32_e64 s0, 0x42b17218, v6
	s_delay_alu instid0(VALU_DEP_1) | instskip(NEXT) | instid1(VALU_DEP_1)
	v_cndmask_b32_e64 v6, 0x7f800000, v21, s0
	v_add_f32_e32 v23, 1.0, v6
	v_cmp_gt_f32_e64 s12, 0x33800000, |v6|
	s_delay_alu instid0(VALU_DEP_2) | instskip(NEXT) | instid1(VALU_DEP_1)
	v_cvt_f64_f32_e32 v[21:22], v23
	v_frexp_exp_i32_f64_e32 v21, v[21:22]
	v_frexp_mant_f32_e32 v22, v23
	s_delay_alu instid0(VALU_DEP_1) | instskip(SKIP_1) | instid1(VALU_DEP_1)
	v_cmp_gt_f32_e64 s0, 0x3f2aaaab, v22
	v_add_f32_e32 v22, -1.0, v23
	v_sub_f32_e32 v25, v22, v23
	s_delay_alu instid0(VALU_DEP_1) | instskip(NEXT) | instid1(VALU_DEP_1)
	v_dual_sub_f32 v22, v6, v22 :: v_dual_add_f32 v25, 1.0, v25
	v_add_f32_e32 v22, v22, v25
	v_subrev_co_ci_u32_e64 v21, s0, 0, v21, s0
	s_mov_b32 s0, 0x3e9b6dac
	s_delay_alu instid0(VALU_DEP_1) | instskip(SKIP_1) | instid1(VALU_DEP_2)
	v_sub_nc_u32_e32 v24, 0, v21
	v_cvt_f32_i32_e32 v21, v21
	v_ldexp_f32 v23, v23, v24
	v_ldexp_f32 v22, v22, v24
	s_delay_alu instid0(VALU_DEP_2) | instskip(NEXT) | instid1(VALU_DEP_1)
	v_add_f32_e32 v26, 1.0, v23
	v_dual_add_f32 v24, -1.0, v23 :: v_dual_add_f32 v25, -1.0, v26
	s_delay_alu instid0(VALU_DEP_1) | instskip(NEXT) | instid1(VALU_DEP_2)
	v_add_f32_e32 v27, 1.0, v24
	v_sub_f32_e32 v25, v23, v25
	s_delay_alu instid0(VALU_DEP_2) | instskip(NEXT) | instid1(VALU_DEP_2)
	v_sub_f32_e32 v23, v23, v27
	v_add_f32_e32 v25, v22, v25
	s_delay_alu instid0(VALU_DEP_2) | instskip(NEXT) | instid1(VALU_DEP_1)
	v_add_f32_e32 v22, v22, v23
	v_dual_add_f32 v28, v24, v22 :: v_dual_add_f32 v27, v26, v25
	s_delay_alu instid0(VALU_DEP_1) | instskip(NEXT) | instid1(VALU_DEP_2)
	v_sub_f32_e32 v24, v24, v28
	v_rcp_f32_e32 v23, v27
	v_sub_f32_e32 v26, v26, v27
	s_delay_alu instid0(VALU_DEP_1) | instskip(SKIP_2) | instid1(VALU_DEP_1)
	v_dual_add_f32 v22, v22, v24 :: v_dual_add_f32 v25, v25, v26
	s_waitcnt_depctr 0xfff
	v_mul_f32_e32 v29, v28, v23
	v_mul_f32_e32 v30, v27, v29
	s_delay_alu instid0(VALU_DEP_1) | instskip(NEXT) | instid1(VALU_DEP_1)
	v_fma_f32 v26, v29, v27, -v30
	v_fmac_f32_e32 v26, v29, v25
	s_delay_alu instid0(VALU_DEP_1) | instskip(NEXT) | instid1(VALU_DEP_1)
	v_add_f32_e32 v31, v30, v26
	v_sub_f32_e32 v32, v28, v31
	s_delay_alu instid0(VALU_DEP_1) | instskip(SKIP_1) | instid1(VALU_DEP_2)
	v_sub_f32_e32 v28, v28, v32
	v_sub_f32_e32 v24, v31, v30
	;; [unrolled: 1-line block ×3, first 2 shown]
	s_delay_alu instid0(VALU_DEP_2) | instskip(NEXT) | instid1(VALU_DEP_2)
	v_sub_f32_e32 v24, v24, v26
	v_add_f32_e32 v22, v22, v28
	s_delay_alu instid0(VALU_DEP_1) | instskip(NEXT) | instid1(VALU_DEP_1)
	v_add_f32_e32 v22, v24, v22
	v_add_f32_e32 v24, v32, v22
	s_delay_alu instid0(VALU_DEP_1) | instskip(NEXT) | instid1(VALU_DEP_1)
	v_mul_f32_e32 v26, v23, v24
	v_dual_sub_f32 v31, v32, v24 :: v_dual_mul_f32 v28, v27, v26
	s_delay_alu instid0(VALU_DEP_1) | instskip(NEXT) | instid1(VALU_DEP_2)
	v_add_f32_e32 v22, v22, v31
	v_fma_f32 v27, v26, v27, -v28
	s_delay_alu instid0(VALU_DEP_1) | instskip(NEXT) | instid1(VALU_DEP_1)
	v_fmac_f32_e32 v27, v26, v25
	v_add_f32_e32 v25, v28, v27
	s_delay_alu instid0(VALU_DEP_1) | instskip(SKIP_1) | instid1(VALU_DEP_2)
	v_sub_f32_e32 v30, v24, v25
	v_sub_f32_e32 v28, v25, v28
	;; [unrolled: 1-line block ×3, first 2 shown]
	s_delay_alu instid0(VALU_DEP_1) | instskip(NEXT) | instid1(VALU_DEP_1)
	v_sub_f32_e32 v24, v24, v25
	v_dual_sub_f32 v25, v28, v27 :: v_dual_add_f32 v22, v22, v24
	v_add_f32_e32 v24, v29, v26
	s_delay_alu instid0(VALU_DEP_1) | instskip(NEXT) | instid1(VALU_DEP_1)
	v_dual_add_f32 v22, v25, v22 :: v_dual_sub_f32 v25, v24, v29
	v_add_f32_e32 v22, v30, v22
	s_delay_alu instid0(VALU_DEP_1) | instskip(NEXT) | instid1(VALU_DEP_1)
	v_dual_sub_f32 v25, v26, v25 :: v_dual_mul_f32 v22, v23, v22
	v_add_f32_e32 v22, v25, v22
	s_delay_alu instid0(VALU_DEP_1) | instskip(NEXT) | instid1(VALU_DEP_1)
	v_add_f32_e32 v23, v24, v22
	v_mul_f32_e32 v25, v23, v23
	s_delay_alu instid0(VALU_DEP_1) | instskip(SKIP_2) | instid1(VALU_DEP_3)
	v_fmaak_f32 v26, s0, v25, 0x3ecc95a3
	v_mul_f32_e32 v27, v23, v25
	v_cmp_eq_f32_e64 s0, 0x7f800000, v6
	v_fmaak_f32 v25, v25, v26, 0x3f2aaada
	v_ldexp_f32 v26, v23, 1
	v_sub_f32_e32 v23, v23, v24
	s_delay_alu instid0(VALU_DEP_4) | instskip(NEXT) | instid1(VALU_DEP_3)
	s_or_b32 s0, s0, s12
	v_mul_f32_e32 v25, v27, v25
	s_delay_alu instid0(VALU_DEP_2) | instskip(NEXT) | instid1(VALU_DEP_2)
	v_dual_mul_f32 v27, 0x3f317218, v21 :: v_dual_sub_f32 v22, v22, v23
	v_add_f32_e32 v24, v26, v25
	s_delay_alu instid0(VALU_DEP_2) | instskip(NEXT) | instid1(VALU_DEP_2)
	v_ldexp_f32 v22, v22, 1
	v_sub_f32_e32 v23, v24, v26
	s_delay_alu instid0(VALU_DEP_4) | instskip(NEXT) | instid1(VALU_DEP_2)
	v_fma_f32 v26, 0x3f317218, v21, -v27
	v_sub_f32_e32 v23, v25, v23
	s_delay_alu instid0(VALU_DEP_1) | instskip(NEXT) | instid1(VALU_DEP_1)
	v_dual_fmamk_f32 v21, v21, 0xb102e308, v26 :: v_dual_add_f32 v22, v22, v23
	v_add_f32_e32 v23, v27, v21
	s_delay_alu instid0(VALU_DEP_1) | instskip(NEXT) | instid1(VALU_DEP_1)
	v_sub_f32_e32 v27, v23, v27
	v_sub_f32_e32 v21, v21, v27
	s_delay_alu instid0(VALU_DEP_4) | instskip(NEXT) | instid1(VALU_DEP_1)
	v_add_f32_e32 v25, v24, v22
	v_sub_f32_e32 v24, v25, v24
	s_delay_alu instid0(VALU_DEP_1) | instskip(SKIP_1) | instid1(VALU_DEP_1)
	v_sub_f32_e32 v22, v22, v24
	v_add_f32_e32 v26, v23, v25
	v_sub_f32_e32 v28, v26, v23
	s_delay_alu instid0(VALU_DEP_1) | instskip(NEXT) | instid1(VALU_DEP_4)
	v_sub_f32_e32 v24, v25, v28
	v_add_f32_e32 v25, v21, v22
	v_sub_f32_e32 v29, v26, v28
	s_delay_alu instid0(VALU_DEP_1) | instskip(NEXT) | instid1(VALU_DEP_1)
	v_sub_f32_e32 v23, v23, v29
	v_dual_add_f32 v23, v24, v23 :: v_dual_sub_f32 v24, v25, v21
	s_delay_alu instid0(VALU_DEP_1) | instskip(SKIP_1) | instid1(VALU_DEP_2)
	v_dual_add_f32 v23, v25, v23 :: v_dual_sub_f32 v22, v22, v24
	v_sub_f32_e32 v25, v25, v24
	v_add_f32_e32 v27, v26, v23
	s_delay_alu instid0(VALU_DEP_1) | instskip(NEXT) | instid1(VALU_DEP_1)
	v_dual_sub_f32 v21, v21, v25 :: v_dual_sub_f32 v24, v27, v26
	v_dual_add_f32 v21, v22, v21 :: v_dual_sub_f32 v22, v23, v24
	s_delay_alu instid0(VALU_DEP_1) | instskip(NEXT) | instid1(VALU_DEP_1)
	v_add_f32_e32 v21, v21, v22
	v_add_f32_e32 v21, v27, v21
	s_delay_alu instid0(VALU_DEP_1) | instskip(NEXT) | instid1(VALU_DEP_1)
	v_cndmask_b32_e64 v6, v21, v6, s0
	v_add_f32_e32 v6, v5, v6
.LBB116_51:
	s_or_b32 exec_lo, exec_lo, s1
	v_cmp_eq_u32_e64 s0, 0, v0
	; wave barrier
	s_delay_alu instid0(VALU_DEP_1)
	v_cndmask_b32_e64 v5, v6, v19, s0
	ds_store_b32 v20, v5
	; wave barrier
	ds_load_b32 v6, v20 offset:4
	v_max_f32_e32 v21, v5, v5
	v_cmp_u_f32_e64 s0, v5, v5
	s_waitcnt lgkmcnt(0)
	v_max_f32_e32 v22, v6, v6
	s_delay_alu instid0(VALU_DEP_1) | instskip(SKIP_1) | instid1(VALU_DEP_2)
	v_min_f32_e32 v23, v21, v22
	v_max_f32_e32 v21, v21, v22
	v_cndmask_b32_e64 v22, v23, v5, s0
	s_delay_alu instid0(VALU_DEP_2) | instskip(SKIP_1) | instid1(VALU_DEP_1)
	v_cndmask_b32_e64 v23, v21, v5, s0
	v_cmp_u_f32_e64 s0, v6, v6
	v_cndmask_b32_e64 v21, v22, v6, s0
	s_delay_alu instid0(VALU_DEP_3) | instskip(NEXT) | instid1(VALU_DEP_2)
	v_cndmask_b32_e64 v6, v23, v6, s0
	v_cmp_class_f32_e64 s1, v21, 0x1f8
	s_delay_alu instid0(VALU_DEP_2) | instskip(NEXT) | instid1(VALU_DEP_1)
	v_cmp_neq_f32_e64 s0, v21, v6
	s_or_b32 s0, s0, s1
	s_delay_alu instid0(SALU_CYCLE_1)
	s_and_saveexec_b32 s1, s0
	s_cbranch_execz .LBB116_53
; %bb.52:
	v_sub_f32_e32 v5, v21, v6
	s_delay_alu instid0(VALU_DEP_1) | instskip(SKIP_1) | instid1(VALU_DEP_2)
	v_mul_f32_e32 v21, 0x3fb8aa3b, v5
	v_cmp_ngt_f32_e64 s0, 0xc2ce8ed0, v5
	v_fma_f32 v22, 0x3fb8aa3b, v5, -v21
	v_rndne_f32_e32 v23, v21
	s_delay_alu instid0(VALU_DEP_2) | instskip(NEXT) | instid1(VALU_DEP_2)
	v_fmamk_f32 v22, v5, 0x32a5705f, v22
	v_sub_f32_e32 v21, v21, v23
	s_delay_alu instid0(VALU_DEP_1) | instskip(SKIP_1) | instid1(VALU_DEP_2)
	v_add_f32_e32 v21, v21, v22
	v_cvt_i32_f32_e32 v22, v23
	v_exp_f32_e32 v21, v21
	s_waitcnt_depctr 0xfff
	v_ldexp_f32 v21, v21, v22
	s_delay_alu instid0(VALU_DEP_1) | instskip(SKIP_1) | instid1(VALU_DEP_1)
	v_cndmask_b32_e64 v21, 0, v21, s0
	v_cmp_nlt_f32_e64 s0, 0x42b17218, v5
	v_cndmask_b32_e64 v5, 0x7f800000, v21, s0
	s_delay_alu instid0(VALU_DEP_1) | instskip(SKIP_1) | instid1(VALU_DEP_2)
	v_add_f32_e32 v23, 1.0, v5
	v_cmp_gt_f32_e64 s12, 0x33800000, |v5|
	v_cvt_f64_f32_e32 v[21:22], v23
	s_delay_alu instid0(VALU_DEP_1) | instskip(SKIP_1) | instid1(VALU_DEP_1)
	v_frexp_exp_i32_f64_e32 v21, v[21:22]
	v_frexp_mant_f32_e32 v22, v23
	v_cmp_gt_f32_e64 s0, 0x3f2aaaab, v22
	v_add_f32_e32 v22, -1.0, v23
	s_delay_alu instid0(VALU_DEP_1) | instskip(NEXT) | instid1(VALU_DEP_3)
	v_dual_sub_f32 v25, v22, v23 :: v_dual_sub_f32 v22, v5, v22
	v_subrev_co_ci_u32_e64 v21, s0, 0, v21, s0
	s_mov_b32 s0, 0x3e9b6dac
	s_delay_alu instid0(VALU_DEP_1) | instskip(SKIP_1) | instid1(VALU_DEP_2)
	v_sub_nc_u32_e32 v24, 0, v21
	v_cvt_f32_i32_e32 v21, v21
	v_ldexp_f32 v23, v23, v24
	s_delay_alu instid0(VALU_DEP_1) | instskip(NEXT) | instid1(VALU_DEP_1)
	v_dual_add_f32 v25, 1.0, v25 :: v_dual_add_f32 v26, 1.0, v23
	v_add_f32_e32 v22, v22, v25
	s_delay_alu instid0(VALU_DEP_1) | instskip(NEXT) | instid1(VALU_DEP_3)
	v_ldexp_f32 v22, v22, v24
	v_dual_add_f32 v24, -1.0, v23 :: v_dual_add_f32 v25, -1.0, v26
	s_delay_alu instid0(VALU_DEP_1) | instskip(NEXT) | instid1(VALU_DEP_2)
	v_add_f32_e32 v27, 1.0, v24
	v_sub_f32_e32 v25, v23, v25
	s_delay_alu instid0(VALU_DEP_2) | instskip(NEXT) | instid1(VALU_DEP_2)
	v_sub_f32_e32 v23, v23, v27
	v_add_f32_e32 v25, v22, v25
	s_delay_alu instid0(VALU_DEP_2) | instskip(NEXT) | instid1(VALU_DEP_1)
	v_add_f32_e32 v22, v22, v23
	v_dual_add_f32 v28, v24, v22 :: v_dual_add_f32 v27, v26, v25
	s_delay_alu instid0(VALU_DEP_1) | instskip(NEXT) | instid1(VALU_DEP_2)
	v_sub_f32_e32 v24, v24, v28
	v_rcp_f32_e32 v23, v27
	v_sub_f32_e32 v26, v26, v27
	s_delay_alu instid0(VALU_DEP_1) | instskip(SKIP_2) | instid1(VALU_DEP_1)
	v_dual_add_f32 v22, v22, v24 :: v_dual_add_f32 v25, v25, v26
	s_waitcnt_depctr 0xfff
	v_mul_f32_e32 v29, v28, v23
	v_mul_f32_e32 v30, v27, v29
	s_delay_alu instid0(VALU_DEP_1) | instskip(NEXT) | instid1(VALU_DEP_1)
	v_fma_f32 v26, v29, v27, -v30
	v_fmac_f32_e32 v26, v29, v25
	s_delay_alu instid0(VALU_DEP_1) | instskip(NEXT) | instid1(VALU_DEP_1)
	v_add_f32_e32 v31, v30, v26
	v_sub_f32_e32 v32, v28, v31
	v_sub_f32_e32 v24, v31, v30
	s_delay_alu instid0(VALU_DEP_2) | instskip(NEXT) | instid1(VALU_DEP_2)
	v_sub_f32_e32 v28, v28, v32
	v_sub_f32_e32 v24, v24, v26
	s_delay_alu instid0(VALU_DEP_2) | instskip(NEXT) | instid1(VALU_DEP_1)
	v_sub_f32_e32 v28, v28, v31
	v_add_f32_e32 v22, v22, v28
	s_delay_alu instid0(VALU_DEP_1) | instskip(NEXT) | instid1(VALU_DEP_1)
	v_add_f32_e32 v22, v24, v22
	v_add_f32_e32 v24, v32, v22
	s_delay_alu instid0(VALU_DEP_1) | instskip(NEXT) | instid1(VALU_DEP_1)
	v_mul_f32_e32 v26, v23, v24
	v_dual_sub_f32 v31, v32, v24 :: v_dual_mul_f32 v28, v27, v26
	s_delay_alu instid0(VALU_DEP_1) | instskip(NEXT) | instid1(VALU_DEP_2)
	v_add_f32_e32 v22, v22, v31
	v_fma_f32 v27, v26, v27, -v28
	s_delay_alu instid0(VALU_DEP_1) | instskip(NEXT) | instid1(VALU_DEP_1)
	v_fmac_f32_e32 v27, v26, v25
	v_add_f32_e32 v25, v28, v27
	s_delay_alu instid0(VALU_DEP_1) | instskip(NEXT) | instid1(VALU_DEP_1)
	v_sub_f32_e32 v30, v24, v25
	v_sub_f32_e32 v24, v24, v30
	s_delay_alu instid0(VALU_DEP_1) | instskip(NEXT) | instid1(VALU_DEP_1)
	v_sub_f32_e32 v24, v24, v25
	v_add_f32_e32 v22, v22, v24
	v_add_f32_e32 v24, v29, v26
	v_sub_f32_e32 v28, v25, v28
	s_delay_alu instid0(VALU_DEP_1) | instskip(NEXT) | instid1(VALU_DEP_1)
	v_sub_f32_e32 v25, v28, v27
	v_dual_add_f32 v22, v25, v22 :: v_dual_sub_f32 v25, v24, v29
	s_delay_alu instid0(VALU_DEP_1) | instskip(NEXT) | instid1(VALU_DEP_1)
	v_add_f32_e32 v22, v30, v22
	v_dual_sub_f32 v25, v26, v25 :: v_dual_mul_f32 v22, v23, v22
	s_delay_alu instid0(VALU_DEP_1) | instskip(NEXT) | instid1(VALU_DEP_1)
	v_add_f32_e32 v22, v25, v22
	v_add_f32_e32 v23, v24, v22
	s_delay_alu instid0(VALU_DEP_1) | instskip(NEXT) | instid1(VALU_DEP_1)
	v_mul_f32_e32 v25, v23, v23
	v_fmaak_f32 v26, s0, v25, 0x3ecc95a3
	v_mul_f32_e32 v27, v23, v25
	v_cmp_eq_f32_e64 s0, 0x7f800000, v5
	s_delay_alu instid0(VALU_DEP_3) | instskip(SKIP_2) | instid1(VALU_DEP_4)
	v_fmaak_f32 v25, v25, v26, 0x3f2aaada
	v_ldexp_f32 v26, v23, 1
	v_sub_f32_e32 v23, v23, v24
	s_or_b32 s0, s0, s12
	s_delay_alu instid0(VALU_DEP_3) | instskip(NEXT) | instid1(VALU_DEP_2)
	v_mul_f32_e32 v25, v27, v25
	v_dual_mul_f32 v27, 0x3f317218, v21 :: v_dual_sub_f32 v22, v22, v23
	s_delay_alu instid0(VALU_DEP_2) | instskip(NEXT) | instid1(VALU_DEP_2)
	v_add_f32_e32 v24, v26, v25
	v_ldexp_f32 v22, v22, 1
	s_delay_alu instid0(VALU_DEP_2) | instskip(NEXT) | instid1(VALU_DEP_4)
	v_sub_f32_e32 v23, v24, v26
	v_fma_f32 v26, 0x3f317218, v21, -v27
	s_delay_alu instid0(VALU_DEP_2) | instskip(NEXT) | instid1(VALU_DEP_1)
	v_sub_f32_e32 v23, v25, v23
	v_dual_fmamk_f32 v21, v21, 0xb102e308, v26 :: v_dual_add_f32 v22, v22, v23
	s_delay_alu instid0(VALU_DEP_1) | instskip(NEXT) | instid1(VALU_DEP_1)
	v_add_f32_e32 v23, v27, v21
	v_sub_f32_e32 v27, v23, v27
	s_delay_alu instid0(VALU_DEP_1) | instskip(NEXT) | instid1(VALU_DEP_4)
	v_sub_f32_e32 v21, v21, v27
	v_add_f32_e32 v25, v24, v22
	s_delay_alu instid0(VALU_DEP_1) | instskip(NEXT) | instid1(VALU_DEP_1)
	v_sub_f32_e32 v24, v25, v24
	v_sub_f32_e32 v22, v22, v24
	v_add_f32_e32 v26, v23, v25
	s_delay_alu instid0(VALU_DEP_1) | instskip(NEXT) | instid1(VALU_DEP_1)
	v_sub_f32_e32 v28, v26, v23
	v_sub_f32_e32 v24, v25, v28
	s_delay_alu instid0(VALU_DEP_4) | instskip(SKIP_1) | instid1(VALU_DEP_1)
	v_add_f32_e32 v25, v21, v22
	v_sub_f32_e32 v29, v26, v28
	v_sub_f32_e32 v23, v23, v29
	s_delay_alu instid0(VALU_DEP_1) | instskip(NEXT) | instid1(VALU_DEP_1)
	v_dual_add_f32 v23, v24, v23 :: v_dual_sub_f32 v24, v25, v21
	v_dual_add_f32 v23, v25, v23 :: v_dual_sub_f32 v22, v22, v24
	v_sub_f32_e32 v25, v25, v24
	s_delay_alu instid0(VALU_DEP_2) | instskip(NEXT) | instid1(VALU_DEP_1)
	v_add_f32_e32 v27, v26, v23
	v_dual_sub_f32 v21, v21, v25 :: v_dual_sub_f32 v24, v27, v26
	s_delay_alu instid0(VALU_DEP_1) | instskip(NEXT) | instid1(VALU_DEP_1)
	v_dual_add_f32 v21, v22, v21 :: v_dual_sub_f32 v22, v23, v24
	v_add_f32_e32 v21, v21, v22
	s_delay_alu instid0(VALU_DEP_1) | instskip(NEXT) | instid1(VALU_DEP_1)
	v_add_f32_e32 v21, v27, v21
	v_cndmask_b32_e64 v5, v21, v5, s0
	s_delay_alu instid0(VALU_DEP_1)
	v_add_f32_e32 v5, v6, v5
.LBB116_53:
	s_or_b32 exec_lo, exec_lo, s1
	ds_load_b32 v6, v20 offset:8
	v_max_f32_e32 v21, v5, v5
	v_cmp_u_f32_e64 s0, v5, v5
	ds_store_b32 v20, v5 offset:4
	s_waitcnt lgkmcnt(1)
	v_max_f32_e32 v22, v6, v6
	s_delay_alu instid0(VALU_DEP_1) | instskip(SKIP_1) | instid1(VALU_DEP_2)
	v_min_f32_e32 v23, v21, v22
	v_max_f32_e32 v21, v21, v22
	v_cndmask_b32_e64 v22, v23, v5, s0
	s_delay_alu instid0(VALU_DEP_2) | instskip(SKIP_1) | instid1(VALU_DEP_1)
	v_cndmask_b32_e64 v23, v21, v5, s0
	v_cmp_u_f32_e64 s0, v6, v6
	v_cndmask_b32_e64 v21, v22, v6, s0
	s_delay_alu instid0(VALU_DEP_3) | instskip(NEXT) | instid1(VALU_DEP_2)
	v_cndmask_b32_e64 v6, v23, v6, s0
	v_cmp_class_f32_e64 s1, v21, 0x1f8
	s_delay_alu instid0(VALU_DEP_2) | instskip(NEXT) | instid1(VALU_DEP_1)
	v_cmp_neq_f32_e64 s0, v21, v6
	s_or_b32 s0, s0, s1
	s_delay_alu instid0(SALU_CYCLE_1)
	s_and_saveexec_b32 s1, s0
	s_cbranch_execz .LBB116_55
; %bb.54:
	v_sub_f32_e32 v5, v21, v6
	s_delay_alu instid0(VALU_DEP_1) | instskip(SKIP_1) | instid1(VALU_DEP_2)
	v_mul_f32_e32 v21, 0x3fb8aa3b, v5
	v_cmp_ngt_f32_e64 s0, 0xc2ce8ed0, v5
	v_fma_f32 v22, 0x3fb8aa3b, v5, -v21
	v_rndne_f32_e32 v23, v21
	s_delay_alu instid0(VALU_DEP_2) | instskip(NEXT) | instid1(VALU_DEP_2)
	v_fmamk_f32 v22, v5, 0x32a5705f, v22
	v_sub_f32_e32 v21, v21, v23
	s_delay_alu instid0(VALU_DEP_1) | instskip(SKIP_1) | instid1(VALU_DEP_2)
	v_add_f32_e32 v21, v21, v22
	v_cvt_i32_f32_e32 v22, v23
	v_exp_f32_e32 v21, v21
	s_waitcnt_depctr 0xfff
	v_ldexp_f32 v21, v21, v22
	s_delay_alu instid0(VALU_DEP_1) | instskip(SKIP_1) | instid1(VALU_DEP_1)
	v_cndmask_b32_e64 v21, 0, v21, s0
	v_cmp_nlt_f32_e64 s0, 0x42b17218, v5
	v_cndmask_b32_e64 v5, 0x7f800000, v21, s0
	s_delay_alu instid0(VALU_DEP_1) | instskip(SKIP_1) | instid1(VALU_DEP_2)
	v_add_f32_e32 v23, 1.0, v5
	v_cmp_gt_f32_e64 s12, 0x33800000, |v5|
	v_cvt_f64_f32_e32 v[21:22], v23
	s_delay_alu instid0(VALU_DEP_1) | instskip(SKIP_1) | instid1(VALU_DEP_1)
	v_frexp_exp_i32_f64_e32 v21, v[21:22]
	v_frexp_mant_f32_e32 v22, v23
	v_cmp_gt_f32_e64 s0, 0x3f2aaaab, v22
	v_add_f32_e32 v22, -1.0, v23
	s_delay_alu instid0(VALU_DEP_1) | instskip(NEXT) | instid1(VALU_DEP_3)
	v_dual_sub_f32 v25, v22, v23 :: v_dual_sub_f32 v22, v5, v22
	v_subrev_co_ci_u32_e64 v21, s0, 0, v21, s0
	s_mov_b32 s0, 0x3e9b6dac
	s_delay_alu instid0(VALU_DEP_1) | instskip(SKIP_1) | instid1(VALU_DEP_2)
	v_sub_nc_u32_e32 v24, 0, v21
	v_cvt_f32_i32_e32 v21, v21
	v_ldexp_f32 v23, v23, v24
	s_delay_alu instid0(VALU_DEP_1) | instskip(NEXT) | instid1(VALU_DEP_1)
	v_dual_add_f32 v25, 1.0, v25 :: v_dual_add_f32 v26, 1.0, v23
	v_add_f32_e32 v22, v22, v25
	s_delay_alu instid0(VALU_DEP_1) | instskip(NEXT) | instid1(VALU_DEP_3)
	v_ldexp_f32 v22, v22, v24
	v_dual_add_f32 v24, -1.0, v23 :: v_dual_add_f32 v25, -1.0, v26
	s_delay_alu instid0(VALU_DEP_1) | instskip(NEXT) | instid1(VALU_DEP_2)
	v_add_f32_e32 v27, 1.0, v24
	v_sub_f32_e32 v25, v23, v25
	s_delay_alu instid0(VALU_DEP_2) | instskip(NEXT) | instid1(VALU_DEP_2)
	v_sub_f32_e32 v23, v23, v27
	v_add_f32_e32 v25, v22, v25
	s_delay_alu instid0(VALU_DEP_2) | instskip(NEXT) | instid1(VALU_DEP_1)
	v_add_f32_e32 v22, v22, v23
	v_dual_add_f32 v28, v24, v22 :: v_dual_add_f32 v27, v26, v25
	s_delay_alu instid0(VALU_DEP_1) | instskip(NEXT) | instid1(VALU_DEP_2)
	v_sub_f32_e32 v24, v24, v28
	v_rcp_f32_e32 v23, v27
	v_sub_f32_e32 v26, v26, v27
	s_delay_alu instid0(VALU_DEP_1) | instskip(SKIP_2) | instid1(VALU_DEP_1)
	v_dual_add_f32 v22, v22, v24 :: v_dual_add_f32 v25, v25, v26
	s_waitcnt_depctr 0xfff
	v_mul_f32_e32 v29, v28, v23
	v_mul_f32_e32 v30, v27, v29
	s_delay_alu instid0(VALU_DEP_1) | instskip(NEXT) | instid1(VALU_DEP_1)
	v_fma_f32 v26, v29, v27, -v30
	v_fmac_f32_e32 v26, v29, v25
	s_delay_alu instid0(VALU_DEP_1) | instskip(NEXT) | instid1(VALU_DEP_1)
	v_add_f32_e32 v31, v30, v26
	v_sub_f32_e32 v32, v28, v31
	v_sub_f32_e32 v24, v31, v30
	s_delay_alu instid0(VALU_DEP_2) | instskip(NEXT) | instid1(VALU_DEP_2)
	v_sub_f32_e32 v28, v28, v32
	v_sub_f32_e32 v24, v24, v26
	s_delay_alu instid0(VALU_DEP_2) | instskip(NEXT) | instid1(VALU_DEP_1)
	v_sub_f32_e32 v28, v28, v31
	v_add_f32_e32 v22, v22, v28
	s_delay_alu instid0(VALU_DEP_1) | instskip(NEXT) | instid1(VALU_DEP_1)
	v_add_f32_e32 v22, v24, v22
	v_add_f32_e32 v24, v32, v22
	s_delay_alu instid0(VALU_DEP_1) | instskip(NEXT) | instid1(VALU_DEP_1)
	v_mul_f32_e32 v26, v23, v24
	v_dual_sub_f32 v31, v32, v24 :: v_dual_mul_f32 v28, v27, v26
	s_delay_alu instid0(VALU_DEP_1) | instskip(NEXT) | instid1(VALU_DEP_2)
	v_add_f32_e32 v22, v22, v31
	v_fma_f32 v27, v26, v27, -v28
	s_delay_alu instid0(VALU_DEP_1) | instskip(NEXT) | instid1(VALU_DEP_1)
	v_fmac_f32_e32 v27, v26, v25
	v_add_f32_e32 v25, v28, v27
	s_delay_alu instid0(VALU_DEP_1) | instskip(NEXT) | instid1(VALU_DEP_1)
	v_sub_f32_e32 v30, v24, v25
	v_sub_f32_e32 v24, v24, v30
	s_delay_alu instid0(VALU_DEP_1) | instskip(NEXT) | instid1(VALU_DEP_1)
	v_sub_f32_e32 v24, v24, v25
	v_add_f32_e32 v22, v22, v24
	v_add_f32_e32 v24, v29, v26
	v_sub_f32_e32 v28, v25, v28
	s_delay_alu instid0(VALU_DEP_1) | instskip(NEXT) | instid1(VALU_DEP_1)
	v_sub_f32_e32 v25, v28, v27
	v_dual_add_f32 v22, v25, v22 :: v_dual_sub_f32 v25, v24, v29
	s_delay_alu instid0(VALU_DEP_1) | instskip(NEXT) | instid1(VALU_DEP_1)
	v_add_f32_e32 v22, v30, v22
	v_dual_sub_f32 v25, v26, v25 :: v_dual_mul_f32 v22, v23, v22
	s_delay_alu instid0(VALU_DEP_1) | instskip(NEXT) | instid1(VALU_DEP_1)
	v_add_f32_e32 v22, v25, v22
	v_add_f32_e32 v23, v24, v22
	s_delay_alu instid0(VALU_DEP_1) | instskip(NEXT) | instid1(VALU_DEP_1)
	v_mul_f32_e32 v25, v23, v23
	v_fmaak_f32 v26, s0, v25, 0x3ecc95a3
	v_mul_f32_e32 v27, v23, v25
	v_cmp_eq_f32_e64 s0, 0x7f800000, v5
	s_delay_alu instid0(VALU_DEP_3) | instskip(SKIP_2) | instid1(VALU_DEP_4)
	v_fmaak_f32 v25, v25, v26, 0x3f2aaada
	v_ldexp_f32 v26, v23, 1
	v_sub_f32_e32 v23, v23, v24
	s_or_b32 s0, s0, s12
	s_delay_alu instid0(VALU_DEP_3) | instskip(NEXT) | instid1(VALU_DEP_2)
	v_mul_f32_e32 v25, v27, v25
	v_dual_mul_f32 v27, 0x3f317218, v21 :: v_dual_sub_f32 v22, v22, v23
	s_delay_alu instid0(VALU_DEP_2) | instskip(NEXT) | instid1(VALU_DEP_2)
	v_add_f32_e32 v24, v26, v25
	v_ldexp_f32 v22, v22, 1
	s_delay_alu instid0(VALU_DEP_2) | instskip(NEXT) | instid1(VALU_DEP_4)
	v_sub_f32_e32 v23, v24, v26
	v_fma_f32 v26, 0x3f317218, v21, -v27
	s_delay_alu instid0(VALU_DEP_2) | instskip(NEXT) | instid1(VALU_DEP_1)
	v_sub_f32_e32 v23, v25, v23
	v_dual_fmamk_f32 v21, v21, 0xb102e308, v26 :: v_dual_add_f32 v22, v22, v23
	s_delay_alu instid0(VALU_DEP_1) | instskip(NEXT) | instid1(VALU_DEP_1)
	v_add_f32_e32 v23, v27, v21
	v_sub_f32_e32 v27, v23, v27
	s_delay_alu instid0(VALU_DEP_1) | instskip(NEXT) | instid1(VALU_DEP_4)
	v_sub_f32_e32 v21, v21, v27
	v_add_f32_e32 v25, v24, v22
	s_delay_alu instid0(VALU_DEP_1) | instskip(NEXT) | instid1(VALU_DEP_1)
	v_sub_f32_e32 v24, v25, v24
	v_sub_f32_e32 v22, v22, v24
	v_add_f32_e32 v26, v23, v25
	s_delay_alu instid0(VALU_DEP_1) | instskip(NEXT) | instid1(VALU_DEP_1)
	v_sub_f32_e32 v28, v26, v23
	v_sub_f32_e32 v24, v25, v28
	s_delay_alu instid0(VALU_DEP_4) | instskip(SKIP_1) | instid1(VALU_DEP_1)
	v_add_f32_e32 v25, v21, v22
	v_sub_f32_e32 v29, v26, v28
	v_sub_f32_e32 v23, v23, v29
	s_delay_alu instid0(VALU_DEP_1) | instskip(NEXT) | instid1(VALU_DEP_1)
	v_dual_add_f32 v23, v24, v23 :: v_dual_sub_f32 v24, v25, v21
	v_dual_add_f32 v23, v25, v23 :: v_dual_sub_f32 v22, v22, v24
	v_sub_f32_e32 v25, v25, v24
	s_delay_alu instid0(VALU_DEP_2) | instskip(NEXT) | instid1(VALU_DEP_1)
	v_add_f32_e32 v27, v26, v23
	v_dual_sub_f32 v21, v21, v25 :: v_dual_sub_f32 v24, v27, v26
	s_delay_alu instid0(VALU_DEP_1) | instskip(NEXT) | instid1(VALU_DEP_1)
	v_dual_add_f32 v21, v22, v21 :: v_dual_sub_f32 v22, v23, v24
	v_add_f32_e32 v21, v21, v22
	s_delay_alu instid0(VALU_DEP_1) | instskip(NEXT) | instid1(VALU_DEP_1)
	v_add_f32_e32 v21, v27, v21
	v_cndmask_b32_e64 v5, v21, v5, s0
	s_delay_alu instid0(VALU_DEP_1)
	v_add_f32_e32 v5, v6, v5
.LBB116_55:
	s_or_b32 exec_lo, exec_lo, s1
	ds_load_b32 v6, v20 offset:12
	v_max_f32_e32 v21, v5, v5
	v_cmp_u_f32_e64 s0, v5, v5
	ds_store_b32 v20, v5 offset:8
	s_waitcnt lgkmcnt(1)
	v_max_f32_e32 v22, v6, v6
	s_delay_alu instid0(VALU_DEP_1) | instskip(SKIP_1) | instid1(VALU_DEP_2)
	v_min_f32_e32 v23, v21, v22
	v_max_f32_e32 v21, v21, v22
	v_cndmask_b32_e64 v22, v23, v5, s0
	s_delay_alu instid0(VALU_DEP_2) | instskip(SKIP_1) | instid1(VALU_DEP_1)
	v_cndmask_b32_e64 v23, v21, v5, s0
	v_cmp_u_f32_e64 s0, v6, v6
	v_cndmask_b32_e64 v21, v22, v6, s0
	s_delay_alu instid0(VALU_DEP_3) | instskip(NEXT) | instid1(VALU_DEP_2)
	v_cndmask_b32_e64 v6, v23, v6, s0
	v_cmp_class_f32_e64 s1, v21, 0x1f8
	s_delay_alu instid0(VALU_DEP_2) | instskip(NEXT) | instid1(VALU_DEP_1)
	v_cmp_neq_f32_e64 s0, v21, v6
	s_or_b32 s0, s0, s1
	s_delay_alu instid0(SALU_CYCLE_1)
	s_and_saveexec_b32 s1, s0
	s_cbranch_execz .LBB116_57
; %bb.56:
	v_sub_f32_e32 v5, v21, v6
	s_delay_alu instid0(VALU_DEP_1) | instskip(SKIP_1) | instid1(VALU_DEP_2)
	v_mul_f32_e32 v21, 0x3fb8aa3b, v5
	v_cmp_ngt_f32_e64 s0, 0xc2ce8ed0, v5
	v_fma_f32 v22, 0x3fb8aa3b, v5, -v21
	v_rndne_f32_e32 v23, v21
	s_delay_alu instid0(VALU_DEP_2) | instskip(NEXT) | instid1(VALU_DEP_2)
	v_fmamk_f32 v22, v5, 0x32a5705f, v22
	v_sub_f32_e32 v21, v21, v23
	s_delay_alu instid0(VALU_DEP_1) | instskip(SKIP_1) | instid1(VALU_DEP_2)
	v_add_f32_e32 v21, v21, v22
	v_cvt_i32_f32_e32 v22, v23
	v_exp_f32_e32 v21, v21
	s_waitcnt_depctr 0xfff
	v_ldexp_f32 v21, v21, v22
	s_delay_alu instid0(VALU_DEP_1) | instskip(SKIP_1) | instid1(VALU_DEP_1)
	v_cndmask_b32_e64 v21, 0, v21, s0
	v_cmp_nlt_f32_e64 s0, 0x42b17218, v5
	v_cndmask_b32_e64 v5, 0x7f800000, v21, s0
	s_delay_alu instid0(VALU_DEP_1) | instskip(SKIP_1) | instid1(VALU_DEP_2)
	v_add_f32_e32 v23, 1.0, v5
	v_cmp_gt_f32_e64 s12, 0x33800000, |v5|
	v_cvt_f64_f32_e32 v[21:22], v23
	s_delay_alu instid0(VALU_DEP_1) | instskip(SKIP_1) | instid1(VALU_DEP_1)
	v_frexp_exp_i32_f64_e32 v21, v[21:22]
	v_frexp_mant_f32_e32 v22, v23
	v_cmp_gt_f32_e64 s0, 0x3f2aaaab, v22
	v_add_f32_e32 v22, -1.0, v23
	s_delay_alu instid0(VALU_DEP_1) | instskip(NEXT) | instid1(VALU_DEP_3)
	v_dual_sub_f32 v25, v22, v23 :: v_dual_sub_f32 v22, v5, v22
	v_subrev_co_ci_u32_e64 v21, s0, 0, v21, s0
	s_mov_b32 s0, 0x3e9b6dac
	s_delay_alu instid0(VALU_DEP_1) | instskip(SKIP_1) | instid1(VALU_DEP_2)
	v_sub_nc_u32_e32 v24, 0, v21
	v_cvt_f32_i32_e32 v21, v21
	v_ldexp_f32 v23, v23, v24
	s_delay_alu instid0(VALU_DEP_1) | instskip(NEXT) | instid1(VALU_DEP_1)
	v_dual_add_f32 v25, 1.0, v25 :: v_dual_add_f32 v26, 1.0, v23
	v_add_f32_e32 v22, v22, v25
	s_delay_alu instid0(VALU_DEP_1) | instskip(NEXT) | instid1(VALU_DEP_3)
	v_ldexp_f32 v22, v22, v24
	v_dual_add_f32 v24, -1.0, v23 :: v_dual_add_f32 v25, -1.0, v26
	s_delay_alu instid0(VALU_DEP_1) | instskip(NEXT) | instid1(VALU_DEP_2)
	v_add_f32_e32 v27, 1.0, v24
	v_sub_f32_e32 v25, v23, v25
	s_delay_alu instid0(VALU_DEP_2) | instskip(NEXT) | instid1(VALU_DEP_2)
	v_sub_f32_e32 v23, v23, v27
	v_add_f32_e32 v25, v22, v25
	s_delay_alu instid0(VALU_DEP_2) | instskip(NEXT) | instid1(VALU_DEP_1)
	v_add_f32_e32 v22, v22, v23
	v_dual_add_f32 v28, v24, v22 :: v_dual_add_f32 v27, v26, v25
	s_delay_alu instid0(VALU_DEP_1) | instskip(NEXT) | instid1(VALU_DEP_2)
	v_sub_f32_e32 v24, v24, v28
	v_rcp_f32_e32 v23, v27
	v_sub_f32_e32 v26, v26, v27
	s_delay_alu instid0(VALU_DEP_1) | instskip(SKIP_2) | instid1(VALU_DEP_1)
	v_dual_add_f32 v22, v22, v24 :: v_dual_add_f32 v25, v25, v26
	s_waitcnt_depctr 0xfff
	v_mul_f32_e32 v29, v28, v23
	v_mul_f32_e32 v30, v27, v29
	s_delay_alu instid0(VALU_DEP_1) | instskip(NEXT) | instid1(VALU_DEP_1)
	v_fma_f32 v26, v29, v27, -v30
	v_fmac_f32_e32 v26, v29, v25
	s_delay_alu instid0(VALU_DEP_1) | instskip(NEXT) | instid1(VALU_DEP_1)
	v_add_f32_e32 v31, v30, v26
	v_sub_f32_e32 v32, v28, v31
	v_sub_f32_e32 v24, v31, v30
	s_delay_alu instid0(VALU_DEP_2) | instskip(NEXT) | instid1(VALU_DEP_2)
	v_sub_f32_e32 v28, v28, v32
	v_sub_f32_e32 v24, v24, v26
	s_delay_alu instid0(VALU_DEP_2) | instskip(NEXT) | instid1(VALU_DEP_1)
	v_sub_f32_e32 v28, v28, v31
	v_add_f32_e32 v22, v22, v28
	s_delay_alu instid0(VALU_DEP_1) | instskip(NEXT) | instid1(VALU_DEP_1)
	v_add_f32_e32 v22, v24, v22
	v_add_f32_e32 v24, v32, v22
	s_delay_alu instid0(VALU_DEP_1) | instskip(NEXT) | instid1(VALU_DEP_1)
	v_mul_f32_e32 v26, v23, v24
	v_dual_sub_f32 v31, v32, v24 :: v_dual_mul_f32 v28, v27, v26
	s_delay_alu instid0(VALU_DEP_1) | instskip(NEXT) | instid1(VALU_DEP_2)
	v_add_f32_e32 v22, v22, v31
	v_fma_f32 v27, v26, v27, -v28
	s_delay_alu instid0(VALU_DEP_1) | instskip(NEXT) | instid1(VALU_DEP_1)
	v_fmac_f32_e32 v27, v26, v25
	v_add_f32_e32 v25, v28, v27
	s_delay_alu instid0(VALU_DEP_1) | instskip(NEXT) | instid1(VALU_DEP_1)
	v_sub_f32_e32 v30, v24, v25
	v_sub_f32_e32 v24, v24, v30
	s_delay_alu instid0(VALU_DEP_1) | instskip(NEXT) | instid1(VALU_DEP_1)
	v_sub_f32_e32 v24, v24, v25
	v_add_f32_e32 v22, v22, v24
	v_add_f32_e32 v24, v29, v26
	v_sub_f32_e32 v28, v25, v28
	s_delay_alu instid0(VALU_DEP_1) | instskip(NEXT) | instid1(VALU_DEP_1)
	v_sub_f32_e32 v25, v28, v27
	v_dual_add_f32 v22, v25, v22 :: v_dual_sub_f32 v25, v24, v29
	s_delay_alu instid0(VALU_DEP_1) | instskip(NEXT) | instid1(VALU_DEP_1)
	v_add_f32_e32 v22, v30, v22
	v_dual_sub_f32 v25, v26, v25 :: v_dual_mul_f32 v22, v23, v22
	s_delay_alu instid0(VALU_DEP_1) | instskip(NEXT) | instid1(VALU_DEP_1)
	v_add_f32_e32 v22, v25, v22
	v_add_f32_e32 v23, v24, v22
	s_delay_alu instid0(VALU_DEP_1) | instskip(NEXT) | instid1(VALU_DEP_1)
	v_mul_f32_e32 v25, v23, v23
	v_fmaak_f32 v26, s0, v25, 0x3ecc95a3
	v_mul_f32_e32 v27, v23, v25
	v_cmp_eq_f32_e64 s0, 0x7f800000, v5
	s_delay_alu instid0(VALU_DEP_3) | instskip(SKIP_2) | instid1(VALU_DEP_4)
	v_fmaak_f32 v25, v25, v26, 0x3f2aaada
	v_ldexp_f32 v26, v23, 1
	v_sub_f32_e32 v23, v23, v24
	s_or_b32 s0, s0, s12
	s_delay_alu instid0(VALU_DEP_3) | instskip(NEXT) | instid1(VALU_DEP_2)
	v_mul_f32_e32 v25, v27, v25
	v_dual_mul_f32 v27, 0x3f317218, v21 :: v_dual_sub_f32 v22, v22, v23
	s_delay_alu instid0(VALU_DEP_2) | instskip(NEXT) | instid1(VALU_DEP_2)
	v_add_f32_e32 v24, v26, v25
	v_ldexp_f32 v22, v22, 1
	s_delay_alu instid0(VALU_DEP_2) | instskip(NEXT) | instid1(VALU_DEP_4)
	v_sub_f32_e32 v23, v24, v26
	v_fma_f32 v26, 0x3f317218, v21, -v27
	s_delay_alu instid0(VALU_DEP_2) | instskip(NEXT) | instid1(VALU_DEP_1)
	v_sub_f32_e32 v23, v25, v23
	v_dual_fmamk_f32 v21, v21, 0xb102e308, v26 :: v_dual_add_f32 v22, v22, v23
	s_delay_alu instid0(VALU_DEP_1) | instskip(NEXT) | instid1(VALU_DEP_1)
	v_add_f32_e32 v23, v27, v21
	v_sub_f32_e32 v27, v23, v27
	s_delay_alu instid0(VALU_DEP_1) | instskip(NEXT) | instid1(VALU_DEP_4)
	v_sub_f32_e32 v21, v21, v27
	v_add_f32_e32 v25, v24, v22
	s_delay_alu instid0(VALU_DEP_1) | instskip(NEXT) | instid1(VALU_DEP_1)
	v_sub_f32_e32 v24, v25, v24
	v_sub_f32_e32 v22, v22, v24
	v_add_f32_e32 v26, v23, v25
	s_delay_alu instid0(VALU_DEP_1) | instskip(NEXT) | instid1(VALU_DEP_1)
	v_sub_f32_e32 v28, v26, v23
	v_sub_f32_e32 v24, v25, v28
	s_delay_alu instid0(VALU_DEP_4) | instskip(SKIP_1) | instid1(VALU_DEP_1)
	v_add_f32_e32 v25, v21, v22
	v_sub_f32_e32 v29, v26, v28
	v_sub_f32_e32 v23, v23, v29
	s_delay_alu instid0(VALU_DEP_1) | instskip(NEXT) | instid1(VALU_DEP_1)
	v_dual_add_f32 v23, v24, v23 :: v_dual_sub_f32 v24, v25, v21
	v_dual_add_f32 v23, v25, v23 :: v_dual_sub_f32 v22, v22, v24
	v_sub_f32_e32 v25, v25, v24
	s_delay_alu instid0(VALU_DEP_2) | instskip(NEXT) | instid1(VALU_DEP_1)
	v_add_f32_e32 v27, v26, v23
	v_dual_sub_f32 v21, v21, v25 :: v_dual_sub_f32 v24, v27, v26
	s_delay_alu instid0(VALU_DEP_1) | instskip(NEXT) | instid1(VALU_DEP_1)
	v_dual_add_f32 v21, v22, v21 :: v_dual_sub_f32 v22, v23, v24
	v_add_f32_e32 v21, v21, v22
	s_delay_alu instid0(VALU_DEP_1) | instskip(NEXT) | instid1(VALU_DEP_1)
	v_add_f32_e32 v21, v27, v21
	v_cndmask_b32_e64 v5, v21, v5, s0
	s_delay_alu instid0(VALU_DEP_1)
	v_add_f32_e32 v5, v6, v5
.LBB116_57:
	s_or_b32 exec_lo, exec_lo, s1
	ds_load_b32 v6, v20 offset:16
	v_max_f32_e32 v21, v5, v5
	v_cmp_u_f32_e64 s0, v5, v5
	ds_store_b32 v20, v5 offset:12
	s_waitcnt lgkmcnt(1)
	v_max_f32_e32 v22, v6, v6
	s_delay_alu instid0(VALU_DEP_1) | instskip(SKIP_1) | instid1(VALU_DEP_2)
	v_min_f32_e32 v23, v21, v22
	v_max_f32_e32 v21, v21, v22
	v_cndmask_b32_e64 v22, v23, v5, s0
	s_delay_alu instid0(VALU_DEP_2) | instskip(SKIP_1) | instid1(VALU_DEP_1)
	v_cndmask_b32_e64 v23, v21, v5, s0
	v_cmp_u_f32_e64 s0, v6, v6
	v_cndmask_b32_e64 v21, v22, v6, s0
	s_delay_alu instid0(VALU_DEP_3) | instskip(NEXT) | instid1(VALU_DEP_2)
	v_cndmask_b32_e64 v6, v23, v6, s0
	v_cmp_class_f32_e64 s1, v21, 0x1f8
	s_delay_alu instid0(VALU_DEP_2) | instskip(NEXT) | instid1(VALU_DEP_1)
	v_cmp_neq_f32_e64 s0, v21, v6
	s_or_b32 s0, s0, s1
	s_delay_alu instid0(SALU_CYCLE_1)
	s_and_saveexec_b32 s1, s0
	s_cbranch_execz .LBB116_59
; %bb.58:
	v_sub_f32_e32 v5, v21, v6
	s_delay_alu instid0(VALU_DEP_1) | instskip(SKIP_1) | instid1(VALU_DEP_2)
	v_mul_f32_e32 v21, 0x3fb8aa3b, v5
	v_cmp_ngt_f32_e64 s0, 0xc2ce8ed0, v5
	v_fma_f32 v22, 0x3fb8aa3b, v5, -v21
	v_rndne_f32_e32 v23, v21
	s_delay_alu instid0(VALU_DEP_2) | instskip(NEXT) | instid1(VALU_DEP_2)
	v_fmamk_f32 v22, v5, 0x32a5705f, v22
	v_sub_f32_e32 v21, v21, v23
	s_delay_alu instid0(VALU_DEP_1) | instskip(SKIP_1) | instid1(VALU_DEP_2)
	v_add_f32_e32 v21, v21, v22
	v_cvt_i32_f32_e32 v22, v23
	v_exp_f32_e32 v21, v21
	s_waitcnt_depctr 0xfff
	v_ldexp_f32 v21, v21, v22
	s_delay_alu instid0(VALU_DEP_1) | instskip(SKIP_1) | instid1(VALU_DEP_1)
	v_cndmask_b32_e64 v21, 0, v21, s0
	v_cmp_nlt_f32_e64 s0, 0x42b17218, v5
	v_cndmask_b32_e64 v5, 0x7f800000, v21, s0
	s_delay_alu instid0(VALU_DEP_1) | instskip(SKIP_1) | instid1(VALU_DEP_2)
	v_add_f32_e32 v23, 1.0, v5
	v_cmp_gt_f32_e64 s12, 0x33800000, |v5|
	v_cvt_f64_f32_e32 v[21:22], v23
	s_delay_alu instid0(VALU_DEP_1) | instskip(SKIP_1) | instid1(VALU_DEP_1)
	v_frexp_exp_i32_f64_e32 v21, v[21:22]
	v_frexp_mant_f32_e32 v22, v23
	v_cmp_gt_f32_e64 s0, 0x3f2aaaab, v22
	v_add_f32_e32 v22, -1.0, v23
	s_delay_alu instid0(VALU_DEP_1) | instskip(NEXT) | instid1(VALU_DEP_3)
	v_dual_sub_f32 v25, v22, v23 :: v_dual_sub_f32 v22, v5, v22
	v_subrev_co_ci_u32_e64 v21, s0, 0, v21, s0
	s_mov_b32 s0, 0x3e9b6dac
	s_delay_alu instid0(VALU_DEP_1) | instskip(SKIP_1) | instid1(VALU_DEP_2)
	v_sub_nc_u32_e32 v24, 0, v21
	v_cvt_f32_i32_e32 v21, v21
	v_ldexp_f32 v23, v23, v24
	s_delay_alu instid0(VALU_DEP_1) | instskip(NEXT) | instid1(VALU_DEP_1)
	v_dual_add_f32 v25, 1.0, v25 :: v_dual_add_f32 v26, 1.0, v23
	v_add_f32_e32 v22, v22, v25
	s_delay_alu instid0(VALU_DEP_1) | instskip(NEXT) | instid1(VALU_DEP_3)
	v_ldexp_f32 v22, v22, v24
	v_dual_add_f32 v24, -1.0, v23 :: v_dual_add_f32 v25, -1.0, v26
	s_delay_alu instid0(VALU_DEP_1) | instskip(NEXT) | instid1(VALU_DEP_2)
	v_add_f32_e32 v27, 1.0, v24
	v_sub_f32_e32 v25, v23, v25
	s_delay_alu instid0(VALU_DEP_2) | instskip(NEXT) | instid1(VALU_DEP_2)
	v_sub_f32_e32 v23, v23, v27
	v_add_f32_e32 v25, v22, v25
	s_delay_alu instid0(VALU_DEP_2) | instskip(NEXT) | instid1(VALU_DEP_1)
	v_add_f32_e32 v22, v22, v23
	v_dual_add_f32 v28, v24, v22 :: v_dual_add_f32 v27, v26, v25
	s_delay_alu instid0(VALU_DEP_1) | instskip(NEXT) | instid1(VALU_DEP_2)
	v_sub_f32_e32 v24, v24, v28
	v_rcp_f32_e32 v23, v27
	v_sub_f32_e32 v26, v26, v27
	s_delay_alu instid0(VALU_DEP_1) | instskip(SKIP_2) | instid1(VALU_DEP_1)
	v_dual_add_f32 v22, v22, v24 :: v_dual_add_f32 v25, v25, v26
	s_waitcnt_depctr 0xfff
	v_mul_f32_e32 v29, v28, v23
	v_mul_f32_e32 v30, v27, v29
	s_delay_alu instid0(VALU_DEP_1) | instskip(NEXT) | instid1(VALU_DEP_1)
	v_fma_f32 v26, v29, v27, -v30
	v_fmac_f32_e32 v26, v29, v25
	s_delay_alu instid0(VALU_DEP_1) | instskip(NEXT) | instid1(VALU_DEP_1)
	v_add_f32_e32 v31, v30, v26
	v_sub_f32_e32 v32, v28, v31
	v_sub_f32_e32 v24, v31, v30
	s_delay_alu instid0(VALU_DEP_2) | instskip(NEXT) | instid1(VALU_DEP_2)
	v_sub_f32_e32 v28, v28, v32
	v_sub_f32_e32 v24, v24, v26
	s_delay_alu instid0(VALU_DEP_2) | instskip(NEXT) | instid1(VALU_DEP_1)
	v_sub_f32_e32 v28, v28, v31
	v_add_f32_e32 v22, v22, v28
	s_delay_alu instid0(VALU_DEP_1) | instskip(NEXT) | instid1(VALU_DEP_1)
	v_add_f32_e32 v22, v24, v22
	v_add_f32_e32 v24, v32, v22
	s_delay_alu instid0(VALU_DEP_1) | instskip(NEXT) | instid1(VALU_DEP_1)
	v_mul_f32_e32 v26, v23, v24
	v_dual_sub_f32 v31, v32, v24 :: v_dual_mul_f32 v28, v27, v26
	s_delay_alu instid0(VALU_DEP_1) | instskip(NEXT) | instid1(VALU_DEP_2)
	v_add_f32_e32 v22, v22, v31
	v_fma_f32 v27, v26, v27, -v28
	s_delay_alu instid0(VALU_DEP_1) | instskip(NEXT) | instid1(VALU_DEP_1)
	v_fmac_f32_e32 v27, v26, v25
	v_add_f32_e32 v25, v28, v27
	s_delay_alu instid0(VALU_DEP_1) | instskip(NEXT) | instid1(VALU_DEP_1)
	v_sub_f32_e32 v30, v24, v25
	v_sub_f32_e32 v24, v24, v30
	s_delay_alu instid0(VALU_DEP_1) | instskip(NEXT) | instid1(VALU_DEP_1)
	v_sub_f32_e32 v24, v24, v25
	v_add_f32_e32 v22, v22, v24
	v_add_f32_e32 v24, v29, v26
	v_sub_f32_e32 v28, v25, v28
	s_delay_alu instid0(VALU_DEP_1) | instskip(NEXT) | instid1(VALU_DEP_1)
	v_sub_f32_e32 v25, v28, v27
	v_dual_add_f32 v22, v25, v22 :: v_dual_sub_f32 v25, v24, v29
	s_delay_alu instid0(VALU_DEP_1) | instskip(NEXT) | instid1(VALU_DEP_1)
	v_add_f32_e32 v22, v30, v22
	v_dual_sub_f32 v25, v26, v25 :: v_dual_mul_f32 v22, v23, v22
	s_delay_alu instid0(VALU_DEP_1) | instskip(NEXT) | instid1(VALU_DEP_1)
	v_add_f32_e32 v22, v25, v22
	v_add_f32_e32 v23, v24, v22
	s_delay_alu instid0(VALU_DEP_1) | instskip(NEXT) | instid1(VALU_DEP_1)
	v_mul_f32_e32 v25, v23, v23
	v_fmaak_f32 v26, s0, v25, 0x3ecc95a3
	v_mul_f32_e32 v27, v23, v25
	v_cmp_eq_f32_e64 s0, 0x7f800000, v5
	s_delay_alu instid0(VALU_DEP_3) | instskip(SKIP_2) | instid1(VALU_DEP_4)
	v_fmaak_f32 v25, v25, v26, 0x3f2aaada
	v_ldexp_f32 v26, v23, 1
	v_sub_f32_e32 v23, v23, v24
	s_or_b32 s0, s0, s12
	s_delay_alu instid0(VALU_DEP_3) | instskip(NEXT) | instid1(VALU_DEP_2)
	v_mul_f32_e32 v25, v27, v25
	v_dual_mul_f32 v27, 0x3f317218, v21 :: v_dual_sub_f32 v22, v22, v23
	s_delay_alu instid0(VALU_DEP_2) | instskip(NEXT) | instid1(VALU_DEP_2)
	v_add_f32_e32 v24, v26, v25
	v_ldexp_f32 v22, v22, 1
	s_delay_alu instid0(VALU_DEP_2) | instskip(NEXT) | instid1(VALU_DEP_4)
	v_sub_f32_e32 v23, v24, v26
	v_fma_f32 v26, 0x3f317218, v21, -v27
	s_delay_alu instid0(VALU_DEP_2) | instskip(NEXT) | instid1(VALU_DEP_1)
	v_sub_f32_e32 v23, v25, v23
	v_dual_fmamk_f32 v21, v21, 0xb102e308, v26 :: v_dual_add_f32 v22, v22, v23
	s_delay_alu instid0(VALU_DEP_1) | instskip(NEXT) | instid1(VALU_DEP_1)
	v_add_f32_e32 v23, v27, v21
	v_sub_f32_e32 v27, v23, v27
	s_delay_alu instid0(VALU_DEP_1) | instskip(NEXT) | instid1(VALU_DEP_4)
	v_sub_f32_e32 v21, v21, v27
	v_add_f32_e32 v25, v24, v22
	s_delay_alu instid0(VALU_DEP_1) | instskip(NEXT) | instid1(VALU_DEP_1)
	v_sub_f32_e32 v24, v25, v24
	v_sub_f32_e32 v22, v22, v24
	v_add_f32_e32 v26, v23, v25
	s_delay_alu instid0(VALU_DEP_1) | instskip(NEXT) | instid1(VALU_DEP_1)
	v_sub_f32_e32 v28, v26, v23
	v_sub_f32_e32 v24, v25, v28
	s_delay_alu instid0(VALU_DEP_4) | instskip(SKIP_1) | instid1(VALU_DEP_1)
	v_add_f32_e32 v25, v21, v22
	v_sub_f32_e32 v29, v26, v28
	v_sub_f32_e32 v23, v23, v29
	s_delay_alu instid0(VALU_DEP_1) | instskip(NEXT) | instid1(VALU_DEP_1)
	v_dual_add_f32 v23, v24, v23 :: v_dual_sub_f32 v24, v25, v21
	v_dual_add_f32 v23, v25, v23 :: v_dual_sub_f32 v22, v22, v24
	v_sub_f32_e32 v25, v25, v24
	s_delay_alu instid0(VALU_DEP_2) | instskip(NEXT) | instid1(VALU_DEP_1)
	v_add_f32_e32 v27, v26, v23
	v_dual_sub_f32 v21, v21, v25 :: v_dual_sub_f32 v24, v27, v26
	s_delay_alu instid0(VALU_DEP_1) | instskip(NEXT) | instid1(VALU_DEP_1)
	v_dual_add_f32 v21, v22, v21 :: v_dual_sub_f32 v22, v23, v24
	v_add_f32_e32 v21, v21, v22
	s_delay_alu instid0(VALU_DEP_1) | instskip(NEXT) | instid1(VALU_DEP_1)
	v_add_f32_e32 v21, v27, v21
	v_cndmask_b32_e64 v5, v21, v5, s0
	s_delay_alu instid0(VALU_DEP_1)
	v_add_f32_e32 v5, v6, v5
.LBB116_59:
	s_or_b32 exec_lo, exec_lo, s1
	ds_load_b32 v6, v20 offset:20
	v_max_f32_e32 v21, v5, v5
	v_cmp_u_f32_e64 s0, v5, v5
	ds_store_b32 v20, v5 offset:16
	s_waitcnt lgkmcnt(1)
	v_max_f32_e32 v22, v6, v6
	s_delay_alu instid0(VALU_DEP_1) | instskip(SKIP_1) | instid1(VALU_DEP_2)
	v_min_f32_e32 v23, v21, v22
	v_max_f32_e32 v21, v21, v22
	v_cndmask_b32_e64 v22, v23, v5, s0
	s_delay_alu instid0(VALU_DEP_2) | instskip(SKIP_1) | instid1(VALU_DEP_1)
	v_cndmask_b32_e64 v23, v21, v5, s0
	v_cmp_u_f32_e64 s0, v6, v6
	v_cndmask_b32_e64 v21, v22, v6, s0
	s_delay_alu instid0(VALU_DEP_3) | instskip(NEXT) | instid1(VALU_DEP_2)
	v_cndmask_b32_e64 v6, v23, v6, s0
	v_cmp_class_f32_e64 s1, v21, 0x1f8
	s_delay_alu instid0(VALU_DEP_2) | instskip(NEXT) | instid1(VALU_DEP_1)
	v_cmp_neq_f32_e64 s0, v21, v6
	s_or_b32 s0, s0, s1
	s_delay_alu instid0(SALU_CYCLE_1)
	s_and_saveexec_b32 s1, s0
	s_cbranch_execz .LBB116_61
; %bb.60:
	v_sub_f32_e32 v5, v21, v6
	s_delay_alu instid0(VALU_DEP_1) | instskip(SKIP_1) | instid1(VALU_DEP_2)
	v_mul_f32_e32 v21, 0x3fb8aa3b, v5
	v_cmp_ngt_f32_e64 s0, 0xc2ce8ed0, v5
	v_fma_f32 v22, 0x3fb8aa3b, v5, -v21
	v_rndne_f32_e32 v23, v21
	s_delay_alu instid0(VALU_DEP_2) | instskip(NEXT) | instid1(VALU_DEP_2)
	v_fmamk_f32 v22, v5, 0x32a5705f, v22
	v_sub_f32_e32 v21, v21, v23
	s_delay_alu instid0(VALU_DEP_1) | instskip(SKIP_1) | instid1(VALU_DEP_2)
	v_add_f32_e32 v21, v21, v22
	v_cvt_i32_f32_e32 v22, v23
	v_exp_f32_e32 v21, v21
	s_waitcnt_depctr 0xfff
	v_ldexp_f32 v21, v21, v22
	s_delay_alu instid0(VALU_DEP_1) | instskip(SKIP_1) | instid1(VALU_DEP_1)
	v_cndmask_b32_e64 v21, 0, v21, s0
	v_cmp_nlt_f32_e64 s0, 0x42b17218, v5
	v_cndmask_b32_e64 v5, 0x7f800000, v21, s0
	s_delay_alu instid0(VALU_DEP_1) | instskip(SKIP_1) | instid1(VALU_DEP_2)
	v_add_f32_e32 v23, 1.0, v5
	v_cmp_gt_f32_e64 s12, 0x33800000, |v5|
	v_cvt_f64_f32_e32 v[21:22], v23
	s_delay_alu instid0(VALU_DEP_1) | instskip(SKIP_1) | instid1(VALU_DEP_1)
	v_frexp_exp_i32_f64_e32 v21, v[21:22]
	v_frexp_mant_f32_e32 v22, v23
	v_cmp_gt_f32_e64 s0, 0x3f2aaaab, v22
	v_add_f32_e32 v22, -1.0, v23
	s_delay_alu instid0(VALU_DEP_1) | instskip(NEXT) | instid1(VALU_DEP_3)
	v_dual_sub_f32 v25, v22, v23 :: v_dual_sub_f32 v22, v5, v22
	v_subrev_co_ci_u32_e64 v21, s0, 0, v21, s0
	s_mov_b32 s0, 0x3e9b6dac
	s_delay_alu instid0(VALU_DEP_1) | instskip(SKIP_1) | instid1(VALU_DEP_2)
	v_sub_nc_u32_e32 v24, 0, v21
	v_cvt_f32_i32_e32 v21, v21
	v_ldexp_f32 v23, v23, v24
	s_delay_alu instid0(VALU_DEP_1) | instskip(NEXT) | instid1(VALU_DEP_1)
	v_dual_add_f32 v25, 1.0, v25 :: v_dual_add_f32 v26, 1.0, v23
	v_add_f32_e32 v22, v22, v25
	s_delay_alu instid0(VALU_DEP_1) | instskip(NEXT) | instid1(VALU_DEP_3)
	v_ldexp_f32 v22, v22, v24
	v_dual_add_f32 v24, -1.0, v23 :: v_dual_add_f32 v25, -1.0, v26
	s_delay_alu instid0(VALU_DEP_1) | instskip(NEXT) | instid1(VALU_DEP_2)
	v_add_f32_e32 v27, 1.0, v24
	v_sub_f32_e32 v25, v23, v25
	s_delay_alu instid0(VALU_DEP_2) | instskip(NEXT) | instid1(VALU_DEP_2)
	v_sub_f32_e32 v23, v23, v27
	v_add_f32_e32 v25, v22, v25
	s_delay_alu instid0(VALU_DEP_2) | instskip(NEXT) | instid1(VALU_DEP_1)
	v_add_f32_e32 v22, v22, v23
	v_dual_add_f32 v28, v24, v22 :: v_dual_add_f32 v27, v26, v25
	s_delay_alu instid0(VALU_DEP_1) | instskip(NEXT) | instid1(VALU_DEP_2)
	v_sub_f32_e32 v24, v24, v28
	v_rcp_f32_e32 v23, v27
	v_sub_f32_e32 v26, v26, v27
	s_delay_alu instid0(VALU_DEP_1) | instskip(SKIP_2) | instid1(VALU_DEP_1)
	v_dual_add_f32 v22, v22, v24 :: v_dual_add_f32 v25, v25, v26
	s_waitcnt_depctr 0xfff
	v_mul_f32_e32 v29, v28, v23
	v_mul_f32_e32 v30, v27, v29
	s_delay_alu instid0(VALU_DEP_1) | instskip(NEXT) | instid1(VALU_DEP_1)
	v_fma_f32 v26, v29, v27, -v30
	v_fmac_f32_e32 v26, v29, v25
	s_delay_alu instid0(VALU_DEP_1) | instskip(NEXT) | instid1(VALU_DEP_1)
	v_add_f32_e32 v31, v30, v26
	v_sub_f32_e32 v32, v28, v31
	v_sub_f32_e32 v24, v31, v30
	s_delay_alu instid0(VALU_DEP_2) | instskip(NEXT) | instid1(VALU_DEP_2)
	v_sub_f32_e32 v28, v28, v32
	v_sub_f32_e32 v24, v24, v26
	s_delay_alu instid0(VALU_DEP_2) | instskip(NEXT) | instid1(VALU_DEP_1)
	v_sub_f32_e32 v28, v28, v31
	v_add_f32_e32 v22, v22, v28
	s_delay_alu instid0(VALU_DEP_1) | instskip(NEXT) | instid1(VALU_DEP_1)
	v_add_f32_e32 v22, v24, v22
	v_add_f32_e32 v24, v32, v22
	s_delay_alu instid0(VALU_DEP_1) | instskip(NEXT) | instid1(VALU_DEP_1)
	v_mul_f32_e32 v26, v23, v24
	v_dual_sub_f32 v31, v32, v24 :: v_dual_mul_f32 v28, v27, v26
	s_delay_alu instid0(VALU_DEP_1) | instskip(NEXT) | instid1(VALU_DEP_2)
	v_add_f32_e32 v22, v22, v31
	v_fma_f32 v27, v26, v27, -v28
	s_delay_alu instid0(VALU_DEP_1) | instskip(NEXT) | instid1(VALU_DEP_1)
	v_fmac_f32_e32 v27, v26, v25
	v_add_f32_e32 v25, v28, v27
	s_delay_alu instid0(VALU_DEP_1) | instskip(NEXT) | instid1(VALU_DEP_1)
	v_sub_f32_e32 v30, v24, v25
	v_sub_f32_e32 v24, v24, v30
	s_delay_alu instid0(VALU_DEP_1) | instskip(NEXT) | instid1(VALU_DEP_1)
	v_sub_f32_e32 v24, v24, v25
	v_add_f32_e32 v22, v22, v24
	v_add_f32_e32 v24, v29, v26
	v_sub_f32_e32 v28, v25, v28
	s_delay_alu instid0(VALU_DEP_1) | instskip(NEXT) | instid1(VALU_DEP_1)
	v_sub_f32_e32 v25, v28, v27
	v_dual_add_f32 v22, v25, v22 :: v_dual_sub_f32 v25, v24, v29
	s_delay_alu instid0(VALU_DEP_1) | instskip(NEXT) | instid1(VALU_DEP_1)
	v_add_f32_e32 v22, v30, v22
	v_dual_sub_f32 v25, v26, v25 :: v_dual_mul_f32 v22, v23, v22
	s_delay_alu instid0(VALU_DEP_1) | instskip(NEXT) | instid1(VALU_DEP_1)
	v_add_f32_e32 v22, v25, v22
	v_add_f32_e32 v23, v24, v22
	s_delay_alu instid0(VALU_DEP_1) | instskip(NEXT) | instid1(VALU_DEP_1)
	v_mul_f32_e32 v25, v23, v23
	v_fmaak_f32 v26, s0, v25, 0x3ecc95a3
	v_mul_f32_e32 v27, v23, v25
	v_cmp_eq_f32_e64 s0, 0x7f800000, v5
	s_delay_alu instid0(VALU_DEP_3) | instskip(SKIP_2) | instid1(VALU_DEP_4)
	v_fmaak_f32 v25, v25, v26, 0x3f2aaada
	v_ldexp_f32 v26, v23, 1
	v_sub_f32_e32 v23, v23, v24
	s_or_b32 s0, s0, s12
	s_delay_alu instid0(VALU_DEP_3) | instskip(NEXT) | instid1(VALU_DEP_2)
	v_mul_f32_e32 v25, v27, v25
	v_dual_mul_f32 v27, 0x3f317218, v21 :: v_dual_sub_f32 v22, v22, v23
	s_delay_alu instid0(VALU_DEP_2) | instskip(NEXT) | instid1(VALU_DEP_2)
	v_add_f32_e32 v24, v26, v25
	v_ldexp_f32 v22, v22, 1
	s_delay_alu instid0(VALU_DEP_2) | instskip(NEXT) | instid1(VALU_DEP_4)
	v_sub_f32_e32 v23, v24, v26
	v_fma_f32 v26, 0x3f317218, v21, -v27
	s_delay_alu instid0(VALU_DEP_2) | instskip(NEXT) | instid1(VALU_DEP_1)
	v_sub_f32_e32 v23, v25, v23
	v_dual_fmamk_f32 v21, v21, 0xb102e308, v26 :: v_dual_add_f32 v22, v22, v23
	s_delay_alu instid0(VALU_DEP_1) | instskip(NEXT) | instid1(VALU_DEP_1)
	v_add_f32_e32 v23, v27, v21
	v_sub_f32_e32 v27, v23, v27
	s_delay_alu instid0(VALU_DEP_1) | instskip(NEXT) | instid1(VALU_DEP_4)
	v_sub_f32_e32 v21, v21, v27
	v_add_f32_e32 v25, v24, v22
	s_delay_alu instid0(VALU_DEP_1) | instskip(NEXT) | instid1(VALU_DEP_1)
	v_sub_f32_e32 v24, v25, v24
	v_sub_f32_e32 v22, v22, v24
	v_add_f32_e32 v26, v23, v25
	s_delay_alu instid0(VALU_DEP_1) | instskip(NEXT) | instid1(VALU_DEP_1)
	v_sub_f32_e32 v28, v26, v23
	v_sub_f32_e32 v24, v25, v28
	s_delay_alu instid0(VALU_DEP_4) | instskip(SKIP_1) | instid1(VALU_DEP_1)
	v_add_f32_e32 v25, v21, v22
	v_sub_f32_e32 v29, v26, v28
	v_sub_f32_e32 v23, v23, v29
	s_delay_alu instid0(VALU_DEP_1) | instskip(NEXT) | instid1(VALU_DEP_1)
	v_dual_add_f32 v23, v24, v23 :: v_dual_sub_f32 v24, v25, v21
	v_dual_add_f32 v23, v25, v23 :: v_dual_sub_f32 v22, v22, v24
	v_sub_f32_e32 v25, v25, v24
	s_delay_alu instid0(VALU_DEP_2) | instskip(NEXT) | instid1(VALU_DEP_1)
	v_add_f32_e32 v27, v26, v23
	v_dual_sub_f32 v21, v21, v25 :: v_dual_sub_f32 v24, v27, v26
	s_delay_alu instid0(VALU_DEP_1) | instskip(NEXT) | instid1(VALU_DEP_1)
	v_dual_add_f32 v21, v22, v21 :: v_dual_sub_f32 v22, v23, v24
	v_add_f32_e32 v21, v21, v22
	s_delay_alu instid0(VALU_DEP_1) | instskip(NEXT) | instid1(VALU_DEP_1)
	v_add_f32_e32 v21, v27, v21
	v_cndmask_b32_e64 v5, v21, v5, s0
	s_delay_alu instid0(VALU_DEP_1)
	v_add_f32_e32 v5, v6, v5
.LBB116_61:
	s_or_b32 exec_lo, exec_lo, s1
	ds_load_b32 v6, v20 offset:24
	v_max_f32_e32 v21, v5, v5
	v_cmp_u_f32_e64 s0, v5, v5
	ds_store_b32 v20, v5 offset:20
	s_waitcnt lgkmcnt(1)
	v_max_f32_e32 v22, v6, v6
	s_delay_alu instid0(VALU_DEP_1) | instskip(SKIP_1) | instid1(VALU_DEP_2)
	v_min_f32_e32 v23, v21, v22
	v_max_f32_e32 v21, v21, v22
	v_cndmask_b32_e64 v22, v23, v5, s0
	s_delay_alu instid0(VALU_DEP_2) | instskip(SKIP_1) | instid1(VALU_DEP_1)
	v_cndmask_b32_e64 v23, v21, v5, s0
	v_cmp_u_f32_e64 s0, v6, v6
	v_cndmask_b32_e64 v21, v22, v6, s0
	s_delay_alu instid0(VALU_DEP_3) | instskip(NEXT) | instid1(VALU_DEP_2)
	v_cndmask_b32_e64 v6, v23, v6, s0
	v_cmp_class_f32_e64 s1, v21, 0x1f8
	s_delay_alu instid0(VALU_DEP_2) | instskip(NEXT) | instid1(VALU_DEP_1)
	v_cmp_neq_f32_e64 s0, v21, v6
	s_or_b32 s0, s0, s1
	s_delay_alu instid0(SALU_CYCLE_1)
	s_and_saveexec_b32 s1, s0
	s_cbranch_execz .LBB116_63
; %bb.62:
	v_sub_f32_e32 v5, v21, v6
	s_delay_alu instid0(VALU_DEP_1) | instskip(SKIP_1) | instid1(VALU_DEP_2)
	v_mul_f32_e32 v21, 0x3fb8aa3b, v5
	v_cmp_ngt_f32_e64 s0, 0xc2ce8ed0, v5
	v_fma_f32 v22, 0x3fb8aa3b, v5, -v21
	v_rndne_f32_e32 v23, v21
	s_delay_alu instid0(VALU_DEP_2) | instskip(NEXT) | instid1(VALU_DEP_2)
	v_fmamk_f32 v22, v5, 0x32a5705f, v22
	v_sub_f32_e32 v21, v21, v23
	s_delay_alu instid0(VALU_DEP_1) | instskip(SKIP_1) | instid1(VALU_DEP_2)
	v_add_f32_e32 v21, v21, v22
	v_cvt_i32_f32_e32 v22, v23
	v_exp_f32_e32 v21, v21
	s_waitcnt_depctr 0xfff
	v_ldexp_f32 v21, v21, v22
	s_delay_alu instid0(VALU_DEP_1) | instskip(SKIP_1) | instid1(VALU_DEP_1)
	v_cndmask_b32_e64 v21, 0, v21, s0
	v_cmp_nlt_f32_e64 s0, 0x42b17218, v5
	v_cndmask_b32_e64 v5, 0x7f800000, v21, s0
	s_delay_alu instid0(VALU_DEP_1) | instskip(SKIP_1) | instid1(VALU_DEP_2)
	v_add_f32_e32 v23, 1.0, v5
	v_cmp_gt_f32_e64 s12, 0x33800000, |v5|
	v_cvt_f64_f32_e32 v[21:22], v23
	s_delay_alu instid0(VALU_DEP_1) | instskip(SKIP_1) | instid1(VALU_DEP_1)
	v_frexp_exp_i32_f64_e32 v21, v[21:22]
	v_frexp_mant_f32_e32 v22, v23
	v_cmp_gt_f32_e64 s0, 0x3f2aaaab, v22
	v_add_f32_e32 v22, -1.0, v23
	s_delay_alu instid0(VALU_DEP_1) | instskip(NEXT) | instid1(VALU_DEP_3)
	v_dual_sub_f32 v25, v22, v23 :: v_dual_sub_f32 v22, v5, v22
	v_subrev_co_ci_u32_e64 v21, s0, 0, v21, s0
	s_mov_b32 s0, 0x3e9b6dac
	s_delay_alu instid0(VALU_DEP_1) | instskip(SKIP_1) | instid1(VALU_DEP_2)
	v_sub_nc_u32_e32 v24, 0, v21
	v_cvt_f32_i32_e32 v21, v21
	v_ldexp_f32 v23, v23, v24
	s_delay_alu instid0(VALU_DEP_1) | instskip(NEXT) | instid1(VALU_DEP_1)
	v_dual_add_f32 v25, 1.0, v25 :: v_dual_add_f32 v26, 1.0, v23
	v_add_f32_e32 v22, v22, v25
	s_delay_alu instid0(VALU_DEP_1) | instskip(NEXT) | instid1(VALU_DEP_3)
	v_ldexp_f32 v22, v22, v24
	v_dual_add_f32 v24, -1.0, v23 :: v_dual_add_f32 v25, -1.0, v26
	s_delay_alu instid0(VALU_DEP_1) | instskip(NEXT) | instid1(VALU_DEP_2)
	v_add_f32_e32 v27, 1.0, v24
	v_sub_f32_e32 v25, v23, v25
	s_delay_alu instid0(VALU_DEP_2) | instskip(NEXT) | instid1(VALU_DEP_2)
	v_sub_f32_e32 v23, v23, v27
	v_add_f32_e32 v25, v22, v25
	s_delay_alu instid0(VALU_DEP_2) | instskip(NEXT) | instid1(VALU_DEP_1)
	v_add_f32_e32 v22, v22, v23
	v_dual_add_f32 v28, v24, v22 :: v_dual_add_f32 v27, v26, v25
	s_delay_alu instid0(VALU_DEP_1) | instskip(NEXT) | instid1(VALU_DEP_2)
	v_sub_f32_e32 v24, v24, v28
	v_rcp_f32_e32 v23, v27
	v_sub_f32_e32 v26, v26, v27
	s_delay_alu instid0(VALU_DEP_1) | instskip(SKIP_2) | instid1(VALU_DEP_1)
	v_dual_add_f32 v22, v22, v24 :: v_dual_add_f32 v25, v25, v26
	s_waitcnt_depctr 0xfff
	v_mul_f32_e32 v29, v28, v23
	v_mul_f32_e32 v30, v27, v29
	s_delay_alu instid0(VALU_DEP_1) | instskip(NEXT) | instid1(VALU_DEP_1)
	v_fma_f32 v26, v29, v27, -v30
	v_fmac_f32_e32 v26, v29, v25
	s_delay_alu instid0(VALU_DEP_1) | instskip(NEXT) | instid1(VALU_DEP_1)
	v_add_f32_e32 v31, v30, v26
	v_sub_f32_e32 v32, v28, v31
	v_sub_f32_e32 v24, v31, v30
	s_delay_alu instid0(VALU_DEP_2) | instskip(NEXT) | instid1(VALU_DEP_2)
	v_sub_f32_e32 v28, v28, v32
	v_sub_f32_e32 v24, v24, v26
	s_delay_alu instid0(VALU_DEP_2) | instskip(NEXT) | instid1(VALU_DEP_1)
	v_sub_f32_e32 v28, v28, v31
	v_add_f32_e32 v22, v22, v28
	s_delay_alu instid0(VALU_DEP_1) | instskip(NEXT) | instid1(VALU_DEP_1)
	v_add_f32_e32 v22, v24, v22
	v_add_f32_e32 v24, v32, v22
	s_delay_alu instid0(VALU_DEP_1) | instskip(NEXT) | instid1(VALU_DEP_1)
	v_mul_f32_e32 v26, v23, v24
	v_dual_sub_f32 v31, v32, v24 :: v_dual_mul_f32 v28, v27, v26
	s_delay_alu instid0(VALU_DEP_1) | instskip(NEXT) | instid1(VALU_DEP_2)
	v_add_f32_e32 v22, v22, v31
	v_fma_f32 v27, v26, v27, -v28
	s_delay_alu instid0(VALU_DEP_1) | instskip(NEXT) | instid1(VALU_DEP_1)
	v_fmac_f32_e32 v27, v26, v25
	v_add_f32_e32 v25, v28, v27
	s_delay_alu instid0(VALU_DEP_1) | instskip(NEXT) | instid1(VALU_DEP_1)
	v_sub_f32_e32 v30, v24, v25
	v_sub_f32_e32 v24, v24, v30
	s_delay_alu instid0(VALU_DEP_1) | instskip(NEXT) | instid1(VALU_DEP_1)
	v_sub_f32_e32 v24, v24, v25
	v_add_f32_e32 v22, v22, v24
	v_add_f32_e32 v24, v29, v26
	v_sub_f32_e32 v28, v25, v28
	s_delay_alu instid0(VALU_DEP_1) | instskip(NEXT) | instid1(VALU_DEP_1)
	v_sub_f32_e32 v25, v28, v27
	v_dual_add_f32 v22, v25, v22 :: v_dual_sub_f32 v25, v24, v29
	s_delay_alu instid0(VALU_DEP_1) | instskip(NEXT) | instid1(VALU_DEP_1)
	v_add_f32_e32 v22, v30, v22
	v_dual_sub_f32 v25, v26, v25 :: v_dual_mul_f32 v22, v23, v22
	s_delay_alu instid0(VALU_DEP_1) | instskip(NEXT) | instid1(VALU_DEP_1)
	v_add_f32_e32 v22, v25, v22
	v_add_f32_e32 v23, v24, v22
	s_delay_alu instid0(VALU_DEP_1) | instskip(NEXT) | instid1(VALU_DEP_1)
	v_mul_f32_e32 v25, v23, v23
	v_fmaak_f32 v26, s0, v25, 0x3ecc95a3
	v_mul_f32_e32 v27, v23, v25
	v_cmp_eq_f32_e64 s0, 0x7f800000, v5
	s_delay_alu instid0(VALU_DEP_3) | instskip(SKIP_2) | instid1(VALU_DEP_4)
	v_fmaak_f32 v25, v25, v26, 0x3f2aaada
	v_ldexp_f32 v26, v23, 1
	v_sub_f32_e32 v23, v23, v24
	s_or_b32 s0, s0, s12
	s_delay_alu instid0(VALU_DEP_3) | instskip(NEXT) | instid1(VALU_DEP_2)
	v_mul_f32_e32 v25, v27, v25
	v_dual_mul_f32 v27, 0x3f317218, v21 :: v_dual_sub_f32 v22, v22, v23
	s_delay_alu instid0(VALU_DEP_2) | instskip(NEXT) | instid1(VALU_DEP_2)
	v_add_f32_e32 v24, v26, v25
	v_ldexp_f32 v22, v22, 1
	s_delay_alu instid0(VALU_DEP_2) | instskip(NEXT) | instid1(VALU_DEP_4)
	v_sub_f32_e32 v23, v24, v26
	v_fma_f32 v26, 0x3f317218, v21, -v27
	s_delay_alu instid0(VALU_DEP_2) | instskip(NEXT) | instid1(VALU_DEP_1)
	v_sub_f32_e32 v23, v25, v23
	v_dual_fmamk_f32 v21, v21, 0xb102e308, v26 :: v_dual_add_f32 v22, v22, v23
	s_delay_alu instid0(VALU_DEP_1) | instskip(NEXT) | instid1(VALU_DEP_1)
	v_add_f32_e32 v23, v27, v21
	v_sub_f32_e32 v27, v23, v27
	s_delay_alu instid0(VALU_DEP_1) | instskip(NEXT) | instid1(VALU_DEP_4)
	v_sub_f32_e32 v21, v21, v27
	v_add_f32_e32 v25, v24, v22
	s_delay_alu instid0(VALU_DEP_1) | instskip(NEXT) | instid1(VALU_DEP_1)
	v_sub_f32_e32 v24, v25, v24
	v_sub_f32_e32 v22, v22, v24
	v_add_f32_e32 v26, v23, v25
	s_delay_alu instid0(VALU_DEP_1) | instskip(NEXT) | instid1(VALU_DEP_1)
	v_sub_f32_e32 v28, v26, v23
	v_sub_f32_e32 v24, v25, v28
	s_delay_alu instid0(VALU_DEP_4) | instskip(SKIP_1) | instid1(VALU_DEP_1)
	v_add_f32_e32 v25, v21, v22
	v_sub_f32_e32 v29, v26, v28
	v_sub_f32_e32 v23, v23, v29
	s_delay_alu instid0(VALU_DEP_1) | instskip(NEXT) | instid1(VALU_DEP_1)
	v_dual_add_f32 v23, v24, v23 :: v_dual_sub_f32 v24, v25, v21
	v_dual_add_f32 v23, v25, v23 :: v_dual_sub_f32 v22, v22, v24
	v_sub_f32_e32 v25, v25, v24
	s_delay_alu instid0(VALU_DEP_2) | instskip(NEXT) | instid1(VALU_DEP_1)
	v_add_f32_e32 v27, v26, v23
	v_dual_sub_f32 v21, v21, v25 :: v_dual_sub_f32 v24, v27, v26
	s_delay_alu instid0(VALU_DEP_1) | instskip(NEXT) | instid1(VALU_DEP_1)
	v_dual_add_f32 v21, v22, v21 :: v_dual_sub_f32 v22, v23, v24
	v_add_f32_e32 v21, v21, v22
	s_delay_alu instid0(VALU_DEP_1) | instskip(NEXT) | instid1(VALU_DEP_1)
	v_add_f32_e32 v21, v27, v21
	v_cndmask_b32_e64 v5, v21, v5, s0
	s_delay_alu instid0(VALU_DEP_1)
	v_add_f32_e32 v5, v6, v5
.LBB116_63:
	s_or_b32 exec_lo, exec_lo, s1
	ds_load_b32 v6, v20 offset:28
	v_max_f32_e32 v21, v5, v5
	v_cmp_u_f32_e64 s0, v5, v5
	ds_store_b32 v20, v5 offset:24
	s_waitcnt lgkmcnt(1)
	v_max_f32_e32 v22, v6, v6
	s_delay_alu instid0(VALU_DEP_1) | instskip(SKIP_1) | instid1(VALU_DEP_2)
	v_min_f32_e32 v23, v21, v22
	v_max_f32_e32 v21, v21, v22
	v_cndmask_b32_e64 v22, v23, v5, s0
	s_delay_alu instid0(VALU_DEP_2) | instskip(SKIP_1) | instid1(VALU_DEP_1)
	v_cndmask_b32_e64 v23, v21, v5, s0
	v_cmp_u_f32_e64 s0, v6, v6
	v_cndmask_b32_e64 v21, v22, v6, s0
	s_delay_alu instid0(VALU_DEP_3) | instskip(NEXT) | instid1(VALU_DEP_2)
	v_cndmask_b32_e64 v6, v23, v6, s0
	v_cmp_class_f32_e64 s1, v21, 0x1f8
	s_delay_alu instid0(VALU_DEP_2) | instskip(NEXT) | instid1(VALU_DEP_1)
	v_cmp_neq_f32_e64 s0, v21, v6
	s_or_b32 s0, s0, s1
	s_delay_alu instid0(SALU_CYCLE_1)
	s_and_saveexec_b32 s1, s0
	s_cbranch_execz .LBB116_65
; %bb.64:
	v_sub_f32_e32 v5, v21, v6
	s_delay_alu instid0(VALU_DEP_1) | instskip(SKIP_1) | instid1(VALU_DEP_2)
	v_mul_f32_e32 v21, 0x3fb8aa3b, v5
	v_cmp_ngt_f32_e64 s0, 0xc2ce8ed0, v5
	v_fma_f32 v22, 0x3fb8aa3b, v5, -v21
	v_rndne_f32_e32 v23, v21
	s_delay_alu instid0(VALU_DEP_2) | instskip(NEXT) | instid1(VALU_DEP_2)
	v_fmamk_f32 v22, v5, 0x32a5705f, v22
	v_sub_f32_e32 v21, v21, v23
	s_delay_alu instid0(VALU_DEP_1) | instskip(SKIP_1) | instid1(VALU_DEP_2)
	v_add_f32_e32 v21, v21, v22
	v_cvt_i32_f32_e32 v22, v23
	v_exp_f32_e32 v21, v21
	s_waitcnt_depctr 0xfff
	v_ldexp_f32 v21, v21, v22
	s_delay_alu instid0(VALU_DEP_1) | instskip(SKIP_1) | instid1(VALU_DEP_1)
	v_cndmask_b32_e64 v21, 0, v21, s0
	v_cmp_nlt_f32_e64 s0, 0x42b17218, v5
	v_cndmask_b32_e64 v5, 0x7f800000, v21, s0
	s_delay_alu instid0(VALU_DEP_1) | instskip(SKIP_1) | instid1(VALU_DEP_2)
	v_add_f32_e32 v23, 1.0, v5
	v_cmp_gt_f32_e64 s12, 0x33800000, |v5|
	v_cvt_f64_f32_e32 v[21:22], v23
	s_delay_alu instid0(VALU_DEP_1) | instskip(SKIP_1) | instid1(VALU_DEP_1)
	v_frexp_exp_i32_f64_e32 v21, v[21:22]
	v_frexp_mant_f32_e32 v22, v23
	v_cmp_gt_f32_e64 s0, 0x3f2aaaab, v22
	v_add_f32_e32 v22, -1.0, v23
	s_delay_alu instid0(VALU_DEP_1) | instskip(NEXT) | instid1(VALU_DEP_3)
	v_dual_sub_f32 v25, v22, v23 :: v_dual_sub_f32 v22, v5, v22
	v_subrev_co_ci_u32_e64 v21, s0, 0, v21, s0
	s_mov_b32 s0, 0x3e9b6dac
	s_delay_alu instid0(VALU_DEP_1) | instskip(SKIP_1) | instid1(VALU_DEP_2)
	v_sub_nc_u32_e32 v24, 0, v21
	v_cvt_f32_i32_e32 v21, v21
	v_ldexp_f32 v23, v23, v24
	s_delay_alu instid0(VALU_DEP_1) | instskip(NEXT) | instid1(VALU_DEP_1)
	v_dual_add_f32 v25, 1.0, v25 :: v_dual_add_f32 v26, 1.0, v23
	v_add_f32_e32 v22, v22, v25
	s_delay_alu instid0(VALU_DEP_1) | instskip(NEXT) | instid1(VALU_DEP_3)
	v_ldexp_f32 v22, v22, v24
	v_dual_add_f32 v24, -1.0, v23 :: v_dual_add_f32 v25, -1.0, v26
	s_delay_alu instid0(VALU_DEP_1) | instskip(NEXT) | instid1(VALU_DEP_2)
	v_add_f32_e32 v27, 1.0, v24
	v_sub_f32_e32 v25, v23, v25
	s_delay_alu instid0(VALU_DEP_2) | instskip(NEXT) | instid1(VALU_DEP_2)
	v_sub_f32_e32 v23, v23, v27
	v_add_f32_e32 v25, v22, v25
	s_delay_alu instid0(VALU_DEP_2) | instskip(NEXT) | instid1(VALU_DEP_1)
	v_add_f32_e32 v22, v22, v23
	v_dual_add_f32 v28, v24, v22 :: v_dual_add_f32 v27, v26, v25
	s_delay_alu instid0(VALU_DEP_1) | instskip(NEXT) | instid1(VALU_DEP_2)
	v_sub_f32_e32 v24, v24, v28
	v_rcp_f32_e32 v23, v27
	v_sub_f32_e32 v26, v26, v27
	s_delay_alu instid0(VALU_DEP_1) | instskip(SKIP_2) | instid1(VALU_DEP_1)
	v_dual_add_f32 v22, v22, v24 :: v_dual_add_f32 v25, v25, v26
	s_waitcnt_depctr 0xfff
	v_mul_f32_e32 v29, v28, v23
	v_mul_f32_e32 v30, v27, v29
	s_delay_alu instid0(VALU_DEP_1) | instskip(NEXT) | instid1(VALU_DEP_1)
	v_fma_f32 v26, v29, v27, -v30
	v_fmac_f32_e32 v26, v29, v25
	s_delay_alu instid0(VALU_DEP_1) | instskip(NEXT) | instid1(VALU_DEP_1)
	v_add_f32_e32 v31, v30, v26
	v_sub_f32_e32 v32, v28, v31
	v_sub_f32_e32 v24, v31, v30
	s_delay_alu instid0(VALU_DEP_2) | instskip(NEXT) | instid1(VALU_DEP_2)
	v_sub_f32_e32 v28, v28, v32
	v_sub_f32_e32 v24, v24, v26
	s_delay_alu instid0(VALU_DEP_2) | instskip(NEXT) | instid1(VALU_DEP_1)
	v_sub_f32_e32 v28, v28, v31
	v_add_f32_e32 v22, v22, v28
	s_delay_alu instid0(VALU_DEP_1) | instskip(NEXT) | instid1(VALU_DEP_1)
	v_add_f32_e32 v22, v24, v22
	v_add_f32_e32 v24, v32, v22
	s_delay_alu instid0(VALU_DEP_1) | instskip(NEXT) | instid1(VALU_DEP_1)
	v_mul_f32_e32 v26, v23, v24
	v_dual_sub_f32 v31, v32, v24 :: v_dual_mul_f32 v28, v27, v26
	s_delay_alu instid0(VALU_DEP_1) | instskip(NEXT) | instid1(VALU_DEP_2)
	v_add_f32_e32 v22, v22, v31
	v_fma_f32 v27, v26, v27, -v28
	s_delay_alu instid0(VALU_DEP_1) | instskip(NEXT) | instid1(VALU_DEP_1)
	v_fmac_f32_e32 v27, v26, v25
	v_add_f32_e32 v25, v28, v27
	s_delay_alu instid0(VALU_DEP_1) | instskip(NEXT) | instid1(VALU_DEP_1)
	v_sub_f32_e32 v30, v24, v25
	v_sub_f32_e32 v24, v24, v30
	s_delay_alu instid0(VALU_DEP_1) | instskip(NEXT) | instid1(VALU_DEP_1)
	v_sub_f32_e32 v24, v24, v25
	v_add_f32_e32 v22, v22, v24
	v_add_f32_e32 v24, v29, v26
	v_sub_f32_e32 v28, v25, v28
	s_delay_alu instid0(VALU_DEP_1) | instskip(NEXT) | instid1(VALU_DEP_1)
	v_sub_f32_e32 v25, v28, v27
	v_dual_add_f32 v22, v25, v22 :: v_dual_sub_f32 v25, v24, v29
	s_delay_alu instid0(VALU_DEP_1) | instskip(NEXT) | instid1(VALU_DEP_1)
	v_add_f32_e32 v22, v30, v22
	v_dual_sub_f32 v25, v26, v25 :: v_dual_mul_f32 v22, v23, v22
	s_delay_alu instid0(VALU_DEP_1) | instskip(NEXT) | instid1(VALU_DEP_1)
	v_add_f32_e32 v22, v25, v22
	v_add_f32_e32 v23, v24, v22
	s_delay_alu instid0(VALU_DEP_1) | instskip(NEXT) | instid1(VALU_DEP_1)
	v_mul_f32_e32 v25, v23, v23
	v_fmaak_f32 v26, s0, v25, 0x3ecc95a3
	v_mul_f32_e32 v27, v23, v25
	v_cmp_eq_f32_e64 s0, 0x7f800000, v5
	s_delay_alu instid0(VALU_DEP_3) | instskip(SKIP_2) | instid1(VALU_DEP_4)
	v_fmaak_f32 v25, v25, v26, 0x3f2aaada
	v_ldexp_f32 v26, v23, 1
	v_sub_f32_e32 v23, v23, v24
	s_or_b32 s0, s0, s12
	s_delay_alu instid0(VALU_DEP_3) | instskip(NEXT) | instid1(VALU_DEP_2)
	v_mul_f32_e32 v25, v27, v25
	v_dual_mul_f32 v27, 0x3f317218, v21 :: v_dual_sub_f32 v22, v22, v23
	s_delay_alu instid0(VALU_DEP_2) | instskip(NEXT) | instid1(VALU_DEP_2)
	v_add_f32_e32 v24, v26, v25
	v_ldexp_f32 v22, v22, 1
	s_delay_alu instid0(VALU_DEP_2) | instskip(NEXT) | instid1(VALU_DEP_4)
	v_sub_f32_e32 v23, v24, v26
	v_fma_f32 v26, 0x3f317218, v21, -v27
	s_delay_alu instid0(VALU_DEP_2) | instskip(NEXT) | instid1(VALU_DEP_1)
	v_sub_f32_e32 v23, v25, v23
	v_dual_fmamk_f32 v21, v21, 0xb102e308, v26 :: v_dual_add_f32 v22, v22, v23
	s_delay_alu instid0(VALU_DEP_1) | instskip(NEXT) | instid1(VALU_DEP_1)
	v_add_f32_e32 v23, v27, v21
	v_sub_f32_e32 v27, v23, v27
	s_delay_alu instid0(VALU_DEP_1) | instskip(NEXT) | instid1(VALU_DEP_4)
	v_sub_f32_e32 v21, v21, v27
	v_add_f32_e32 v25, v24, v22
	s_delay_alu instid0(VALU_DEP_1) | instskip(NEXT) | instid1(VALU_DEP_1)
	v_sub_f32_e32 v24, v25, v24
	v_sub_f32_e32 v22, v22, v24
	v_add_f32_e32 v26, v23, v25
	s_delay_alu instid0(VALU_DEP_1) | instskip(NEXT) | instid1(VALU_DEP_1)
	v_sub_f32_e32 v28, v26, v23
	v_sub_f32_e32 v24, v25, v28
	s_delay_alu instid0(VALU_DEP_4) | instskip(SKIP_1) | instid1(VALU_DEP_1)
	v_add_f32_e32 v25, v21, v22
	v_sub_f32_e32 v29, v26, v28
	v_sub_f32_e32 v23, v23, v29
	s_delay_alu instid0(VALU_DEP_1) | instskip(NEXT) | instid1(VALU_DEP_1)
	v_dual_add_f32 v23, v24, v23 :: v_dual_sub_f32 v24, v25, v21
	v_dual_add_f32 v23, v25, v23 :: v_dual_sub_f32 v22, v22, v24
	v_sub_f32_e32 v25, v25, v24
	s_delay_alu instid0(VALU_DEP_2) | instskip(NEXT) | instid1(VALU_DEP_1)
	v_add_f32_e32 v27, v26, v23
	v_dual_sub_f32 v21, v21, v25 :: v_dual_sub_f32 v24, v27, v26
	s_delay_alu instid0(VALU_DEP_1) | instskip(NEXT) | instid1(VALU_DEP_1)
	v_dual_add_f32 v21, v22, v21 :: v_dual_sub_f32 v22, v23, v24
	v_add_f32_e32 v21, v21, v22
	s_delay_alu instid0(VALU_DEP_1) | instskip(NEXT) | instid1(VALU_DEP_1)
	v_add_f32_e32 v21, v27, v21
	v_cndmask_b32_e64 v5, v21, v5, s0
	s_delay_alu instid0(VALU_DEP_1)
	v_add_f32_e32 v5, v6, v5
.LBB116_65:
	s_or_b32 exec_lo, exec_lo, s1
	ds_store_b32 v20, v5 offset:28
.LBB116_66:
	s_or_b32 exec_lo, exec_lo, s9
	v_cmp_ne_u32_e64 s0, 0, v0
	s_waitcnt lgkmcnt(0)
	s_barrier
	buffer_gl0_inv
	s_and_saveexec_b32 s1, s0
	s_cbranch_execz .LBB116_68
; %bb.67:
	v_add_nc_u32_e32 v0, -1, v0
	s_delay_alu instid0(VALU_DEP_1) | instskip(NEXT) | instid1(VALU_DEP_1)
	v_lshrrev_b32_e32 v5, 5, v0
	v_add_lshl_u32 v0, v5, v0, 2
	ds_load_b32 v19, v0
.LBB116_68:
	s_or_b32 exec_lo, exec_lo, s1
	s_and_saveexec_b32 s1, s0
	s_cbranch_execz .LBB116_72
; %bb.69:
	s_waitcnt lgkmcnt(0)
	v_max_f32_e32 v0, v19, v19
	v_cmp_u_f32_e64 s0, v19, v19
	s_delay_alu instid0(VALU_DEP_2) | instskip(SKIP_1) | instid1(VALU_DEP_2)
	v_min_f32_e32 v5, v0, v18
	v_max_f32_e32 v0, v0, v18
	v_cndmask_b32_e64 v5, v5, v19, s0
	s_delay_alu instid0(VALU_DEP_2) | instskip(NEXT) | instid1(VALU_DEP_2)
	v_cndmask_b32_e64 v0, v0, v19, s0
	v_cndmask_b32_e64 v5, v5, v1, s8
	s_delay_alu instid0(VALU_DEP_2) | instskip(NEXT) | instid1(VALU_DEP_2)
	v_cndmask_b32_e64 v0, v0, v1, s8
	v_cmp_class_f32_e64 s8, v5, 0x1f8
	s_delay_alu instid0(VALU_DEP_2) | instskip(NEXT) | instid1(VALU_DEP_1)
	v_cmp_neq_f32_e64 s0, v5, v0
	s_or_b32 s0, s0, s8
	s_delay_alu instid0(SALU_CYCLE_1)
	s_and_saveexec_b32 s8, s0
	s_cbranch_execz .LBB116_71
; %bb.70:
	v_sub_f32_e32 v1, v5, v0
	s_delay_alu instid0(VALU_DEP_1) | instskip(SKIP_1) | instid1(VALU_DEP_2)
	v_mul_f32_e32 v5, 0x3fb8aa3b, v1
	v_cmp_ngt_f32_e64 s0, 0xc2ce8ed0, v1
	v_fma_f32 v6, 0x3fb8aa3b, v1, -v5
	v_rndne_f32_e32 v16, v5
	s_delay_alu instid0(VALU_DEP_2) | instskip(NEXT) | instid1(VALU_DEP_2)
	v_fmamk_f32 v6, v1, 0x32a5705f, v6
	v_sub_f32_e32 v5, v5, v16
	s_delay_alu instid0(VALU_DEP_1) | instskip(SKIP_1) | instid1(VALU_DEP_2)
	v_add_f32_e32 v5, v5, v6
	v_cvt_i32_f32_e32 v6, v16
	v_exp_f32_e32 v5, v5
	s_waitcnt_depctr 0xfff
	v_ldexp_f32 v5, v5, v6
	s_delay_alu instid0(VALU_DEP_1) | instskip(SKIP_1) | instid1(VALU_DEP_1)
	v_cndmask_b32_e64 v5, 0, v5, s0
	v_cmp_nlt_f32_e64 s0, 0x42b17218, v1
	v_cndmask_b32_e64 v1, 0x7f800000, v5, s0
	s_delay_alu instid0(VALU_DEP_1) | instskip(SKIP_1) | instid1(VALU_DEP_2)
	v_add_f32_e32 v16, 1.0, v1
	v_cmp_gt_f32_e64 s9, 0x33800000, |v1|
	v_cvt_f64_f32_e32 v[5:6], v16
	s_delay_alu instid0(VALU_DEP_1) | instskip(SKIP_1) | instid1(VALU_DEP_1)
	v_frexp_exp_i32_f64_e32 v5, v[5:6]
	v_frexp_mant_f32_e32 v6, v16
	v_cmp_gt_f32_e64 s0, 0x3f2aaaab, v6
	v_add_f32_e32 v6, -1.0, v16
	s_delay_alu instid0(VALU_DEP_1) | instskip(NEXT) | instid1(VALU_DEP_1)
	v_sub_f32_e32 v18, v6, v16
	v_add_f32_e32 v18, 1.0, v18
	s_delay_alu instid0(VALU_DEP_4) | instskip(SKIP_1) | instid1(VALU_DEP_1)
	v_subrev_co_ci_u32_e64 v5, s0, 0, v5, s0
	s_mov_b32 s0, 0x3e9b6dac
	v_sub_nc_u32_e32 v17, 0, v5
	v_cvt_f32_i32_e32 v5, v5
	s_delay_alu instid0(VALU_DEP_2) | instskip(NEXT) | instid1(VALU_DEP_1)
	v_ldexp_f32 v16, v16, v17
	v_dual_sub_f32 v6, v1, v6 :: v_dual_add_f32 v19, 1.0, v16
	s_delay_alu instid0(VALU_DEP_1) | instskip(NEXT) | instid1(VALU_DEP_1)
	v_add_f32_e32 v6, v6, v18
	v_ldexp_f32 v6, v6, v17
	s_delay_alu instid0(VALU_DEP_3) | instskip(NEXT) | instid1(VALU_DEP_1)
	v_dual_add_f32 v17, -1.0, v16 :: v_dual_add_f32 v18, -1.0, v19
	v_add_f32_e32 v20, 1.0, v17
	s_delay_alu instid0(VALU_DEP_2) | instskip(NEXT) | instid1(VALU_DEP_2)
	v_sub_f32_e32 v18, v16, v18
	v_sub_f32_e32 v16, v16, v20
	s_delay_alu instid0(VALU_DEP_2) | instskip(NEXT) | instid1(VALU_DEP_2)
	v_add_f32_e32 v18, v6, v18
	v_add_f32_e32 v6, v6, v16
	s_delay_alu instid0(VALU_DEP_1) | instskip(NEXT) | instid1(VALU_DEP_1)
	v_add_f32_e32 v21, v17, v6
	v_dual_sub_f32 v17, v17, v21 :: v_dual_add_f32 v20, v19, v18
	s_delay_alu instid0(VALU_DEP_1) | instskip(SKIP_1) | instid1(VALU_DEP_1)
	v_rcp_f32_e32 v16, v20
	v_sub_f32_e32 v19, v19, v20
	v_add_f32_e32 v18, v18, v19
	s_waitcnt_depctr 0xfff
	v_mul_f32_e32 v22, v21, v16
	s_delay_alu instid0(VALU_DEP_1) | instskip(NEXT) | instid1(VALU_DEP_1)
	v_mul_f32_e32 v23, v20, v22
	v_fma_f32 v19, v22, v20, -v23
	s_delay_alu instid0(VALU_DEP_1) | instskip(SKIP_1) | instid1(VALU_DEP_2)
	v_fmac_f32_e32 v19, v22, v18
	v_add_f32_e32 v6, v6, v17
	v_add_f32_e32 v24, v23, v19
	s_delay_alu instid0(VALU_DEP_1) | instskip(SKIP_1) | instid1(VALU_DEP_2)
	v_sub_f32_e32 v25, v21, v24
	v_sub_f32_e32 v17, v24, v23
	;; [unrolled: 1-line block ×3, first 2 shown]
	s_delay_alu instid0(VALU_DEP_2) | instskip(NEXT) | instid1(VALU_DEP_2)
	v_sub_f32_e32 v17, v17, v19
	v_sub_f32_e32 v21, v21, v24
	s_delay_alu instid0(VALU_DEP_1) | instskip(NEXT) | instid1(VALU_DEP_1)
	v_add_f32_e32 v6, v6, v21
	v_add_f32_e32 v6, v17, v6
	s_delay_alu instid0(VALU_DEP_1) | instskip(NEXT) | instid1(VALU_DEP_1)
	v_add_f32_e32 v17, v25, v6
	v_mul_f32_e32 v19, v16, v17
	s_delay_alu instid0(VALU_DEP_1) | instskip(NEXT) | instid1(VALU_DEP_1)
	v_dual_sub_f32 v24, v25, v17 :: v_dual_mul_f32 v21, v20, v19
	v_fma_f32 v20, v19, v20, -v21
	s_delay_alu instid0(VALU_DEP_1) | instskip(NEXT) | instid1(VALU_DEP_1)
	v_fmac_f32_e32 v20, v19, v18
	v_add_f32_e32 v18, v21, v20
	s_delay_alu instid0(VALU_DEP_1) | instskip(SKIP_1) | instid1(VALU_DEP_1)
	v_sub_f32_e32 v21, v18, v21
	v_dual_sub_f32 v23, v17, v18 :: v_dual_add_f32 v6, v6, v24
	v_sub_f32_e32 v17, v17, v23
	s_delay_alu instid0(VALU_DEP_1) | instskip(NEXT) | instid1(VALU_DEP_4)
	v_sub_f32_e32 v17, v17, v18
	v_sub_f32_e32 v18, v21, v20
	s_delay_alu instid0(VALU_DEP_2) | instskip(SKIP_1) | instid1(VALU_DEP_2)
	v_add_f32_e32 v6, v6, v17
	v_add_f32_e32 v17, v22, v19
	;; [unrolled: 1-line block ×3, first 2 shown]
	s_delay_alu instid0(VALU_DEP_2) | instskip(NEXT) | instid1(VALU_DEP_2)
	v_sub_f32_e32 v18, v17, v22
	v_add_f32_e32 v6, v23, v6
	s_delay_alu instid0(VALU_DEP_2) | instskip(NEXT) | instid1(VALU_DEP_2)
	v_sub_f32_e32 v18, v19, v18
	v_mul_f32_e32 v6, v16, v6
	s_delay_alu instid0(VALU_DEP_1) | instskip(NEXT) | instid1(VALU_DEP_1)
	v_add_f32_e32 v6, v18, v6
	v_add_f32_e32 v16, v17, v6
	s_delay_alu instid0(VALU_DEP_1) | instskip(NEXT) | instid1(VALU_DEP_1)
	v_mul_f32_e32 v18, v16, v16
	v_fmaak_f32 v19, s0, v18, 0x3ecc95a3
	v_mul_f32_e32 v20, v16, v18
	v_cmp_eq_f32_e64 s0, 0x7f800000, v1
	s_delay_alu instid0(VALU_DEP_3) | instskip(SKIP_2) | instid1(VALU_DEP_4)
	v_fmaak_f32 v18, v18, v19, 0x3f2aaada
	v_ldexp_f32 v19, v16, 1
	v_sub_f32_e32 v16, v16, v17
	s_or_b32 s0, s0, s9
	s_delay_alu instid0(VALU_DEP_3) | instskip(NEXT) | instid1(VALU_DEP_1)
	v_mul_f32_e32 v18, v20, v18
	v_dual_sub_f32 v6, v6, v16 :: v_dual_add_f32 v17, v19, v18
	s_delay_alu instid0(VALU_DEP_1) | instskip(NEXT) | instid1(VALU_DEP_2)
	v_ldexp_f32 v6, v6, 1
	v_sub_f32_e32 v16, v17, v19
	s_delay_alu instid0(VALU_DEP_1) | instskip(NEXT) | instid1(VALU_DEP_1)
	v_sub_f32_e32 v16, v18, v16
	v_add_f32_e32 v6, v6, v16
	s_delay_alu instid0(VALU_DEP_1) | instskip(SKIP_1) | instid1(VALU_DEP_2)
	v_add_f32_e32 v18, v17, v6
	v_mul_f32_e32 v20, 0x3f317218, v5
	v_sub_f32_e32 v17, v18, v17
	s_delay_alu instid0(VALU_DEP_2) | instskip(NEXT) | instid1(VALU_DEP_1)
	v_fma_f32 v19, 0x3f317218, v5, -v20
	v_dual_sub_f32 v6, v6, v17 :: v_dual_fmamk_f32 v5, v5, 0xb102e308, v19
	s_delay_alu instid0(VALU_DEP_1) | instskip(NEXT) | instid1(VALU_DEP_1)
	v_add_f32_e32 v16, v20, v5
	v_add_f32_e32 v19, v16, v18
	v_sub_f32_e32 v20, v16, v20
	s_delay_alu instid0(VALU_DEP_2) | instskip(NEXT) | instid1(VALU_DEP_1)
	v_sub_f32_e32 v21, v19, v16
	v_dual_sub_f32 v5, v5, v20 :: v_dual_sub_f32 v22, v19, v21
	s_delay_alu instid0(VALU_DEP_1) | instskip(NEXT) | instid1(VALU_DEP_2)
	v_dual_sub_f32 v17, v18, v21 :: v_dual_add_f32 v18, v5, v6
	v_sub_f32_e32 v16, v16, v22
	s_delay_alu instid0(VALU_DEP_1) | instskip(NEXT) | instid1(VALU_DEP_1)
	v_dual_add_f32 v16, v17, v16 :: v_dual_sub_f32 v17, v18, v5
	v_add_f32_e32 v16, v18, v16
	s_delay_alu instid0(VALU_DEP_2) | instskip(SKIP_1) | instid1(VALU_DEP_2)
	v_sub_f32_e32 v18, v18, v17
	v_sub_f32_e32 v6, v6, v17
	v_dual_add_f32 v20, v19, v16 :: v_dual_sub_f32 v5, v5, v18
	s_delay_alu instid0(VALU_DEP_1) | instskip(NEXT) | instid1(VALU_DEP_2)
	v_sub_f32_e32 v17, v20, v19
	v_add_f32_e32 v5, v6, v5
	s_delay_alu instid0(VALU_DEP_2) | instskip(NEXT) | instid1(VALU_DEP_1)
	v_sub_f32_e32 v6, v16, v17
	v_add_f32_e32 v5, v5, v6
	s_delay_alu instid0(VALU_DEP_1) | instskip(NEXT) | instid1(VALU_DEP_1)
	v_add_f32_e32 v5, v20, v5
	v_cndmask_b32_e64 v1, v5, v1, s0
	s_delay_alu instid0(VALU_DEP_1)
	v_add_f32_e32 v19, v0, v1
.LBB116_71:
	s_or_b32 exec_lo, exec_lo, s8
	s_delay_alu instid0(VALU_DEP_1) | instskip(SKIP_1) | instid1(VALU_DEP_1)
	v_max_f32_e32 v0, v19, v19
	;;#ASMSTART
	;;#ASMEND
	v_dual_mov_b32 v1, v19 :: v_dual_min_f32 v16, v0, v15
	v_max_f32_e32 v17, v0, v15
.LBB116_72:
	s_or_b32 exec_lo, exec_lo, s1
	s_delay_alu instid0(VALU_DEP_2) | instskip(NEXT) | instid1(VALU_DEP_1)
	v_cmp_u_f32_e64 s0, v1, v1
	v_cndmask_b32_e64 v0, v16, v1, s0
	s_delay_alu instid0(VALU_DEP_3) | instskip(NEXT) | instid1(VALU_DEP_2)
	v_cndmask_b32_e64 v6, v17, v1, s0
	v_cndmask_b32_e64 v5, v0, v2, s5
	s_delay_alu instid0(VALU_DEP_2) | instskip(SKIP_1) | instid1(VALU_DEP_3)
	v_cndmask_b32_e64 v2, v6, v2, s5
	v_mov_b32_e32 v0, v1
	v_cmp_class_f32_e64 s1, v5, 0x1f8
	s_delay_alu instid0(VALU_DEP_3) | instskip(NEXT) | instid1(VALU_DEP_1)
	v_cmp_neq_f32_e64 s0, v5, v2
	s_or_b32 s0, s0, s1
	s_delay_alu instid0(SALU_CYCLE_1)
	s_and_saveexec_b32 s1, s0
	s_cbranch_execz .LBB116_74
; %bb.73:
	v_sub_f32_e32 v0, v5, v2
	s_delay_alu instid0(VALU_DEP_1) | instskip(SKIP_1) | instid1(VALU_DEP_2)
	v_mul_f32_e32 v5, 0x3fb8aa3b, v0
	v_cmp_ngt_f32_e64 s0, 0xc2ce8ed0, v0
	v_fma_f32 v6, 0x3fb8aa3b, v0, -v5
	v_rndne_f32_e32 v15, v5
	s_delay_alu instid0(VALU_DEP_1) | instskip(NEXT) | instid1(VALU_DEP_1)
	v_dual_fmamk_f32 v6, v0, 0x32a5705f, v6 :: v_dual_sub_f32 v5, v5, v15
	v_add_f32_e32 v5, v5, v6
	v_cvt_i32_f32_e32 v6, v15
	s_delay_alu instid0(VALU_DEP_2) | instskip(SKIP_2) | instid1(VALU_DEP_1)
	v_exp_f32_e32 v5, v5
	s_waitcnt_depctr 0xfff
	v_ldexp_f32 v5, v5, v6
	v_cndmask_b32_e64 v5, 0, v5, s0
	v_cmp_nlt_f32_e64 s0, 0x42b17218, v0
	s_delay_alu instid0(VALU_DEP_1) | instskip(NEXT) | instid1(VALU_DEP_1)
	v_cndmask_b32_e64 v0, 0x7f800000, v5, s0
	v_add_f32_e32 v15, 1.0, v0
	v_cmp_gt_f32_e64 s5, 0x33800000, |v0|
	s_delay_alu instid0(VALU_DEP_2) | instskip(NEXT) | instid1(VALU_DEP_1)
	v_cvt_f64_f32_e32 v[5:6], v15
	v_frexp_exp_i32_f64_e32 v5, v[5:6]
	v_frexp_mant_f32_e32 v6, v15
	s_delay_alu instid0(VALU_DEP_1) | instskip(SKIP_1) | instid1(VALU_DEP_1)
	v_cmp_gt_f32_e64 s0, 0x3f2aaaab, v6
	v_add_f32_e32 v6, -1.0, v15
	v_dual_sub_f32 v17, v6, v15 :: v_dual_sub_f32 v6, v0, v6
	s_delay_alu instid0(VALU_DEP_3) | instskip(SKIP_1) | instid1(VALU_DEP_1)
	v_subrev_co_ci_u32_e64 v5, s0, 0, v5, s0
	s_mov_b32 s0, 0x3e9b6dac
	v_sub_nc_u32_e32 v16, 0, v5
	v_cvt_f32_i32_e32 v5, v5
	s_delay_alu instid0(VALU_DEP_2) | instskip(NEXT) | instid1(VALU_DEP_1)
	v_ldexp_f32 v15, v15, v16
	v_dual_add_f32 v17, 1.0, v17 :: v_dual_add_f32 v18, 1.0, v15
	s_delay_alu instid0(VALU_DEP_1) | instskip(NEXT) | instid1(VALU_DEP_1)
	v_dual_add_f32 v6, v6, v17 :: v_dual_add_f32 v17, -1.0, v18
	v_ldexp_f32 v6, v6, v16
	s_delay_alu instid0(VALU_DEP_2) | instskip(SKIP_1) | instid1(VALU_DEP_1)
	v_dual_add_f32 v16, -1.0, v15 :: v_dual_sub_f32 v17, v15, v17
	s_waitcnt lgkmcnt(0)
	v_add_f32_e32 v19, 1.0, v16
	s_delay_alu instid0(VALU_DEP_2) | instskip(NEXT) | instid1(VALU_DEP_2)
	v_add_f32_e32 v17, v6, v17
	v_sub_f32_e32 v15, v15, v19
	s_delay_alu instid0(VALU_DEP_1) | instskip(NEXT) | instid1(VALU_DEP_1)
	v_add_f32_e32 v6, v6, v15
	v_dual_add_f32 v20, v16, v6 :: v_dual_add_f32 v19, v18, v17
	s_delay_alu instid0(VALU_DEP_1) | instskip(NEXT) | instid1(VALU_DEP_2)
	v_sub_f32_e32 v16, v16, v20
	v_rcp_f32_e32 v15, v19
	v_sub_f32_e32 v18, v18, v19
	s_delay_alu instid0(VALU_DEP_1) | instskip(SKIP_2) | instid1(VALU_DEP_1)
	v_dual_add_f32 v6, v6, v16 :: v_dual_add_f32 v17, v17, v18
	s_waitcnt_depctr 0xfff
	v_mul_f32_e32 v21, v20, v15
	v_mul_f32_e32 v22, v19, v21
	s_delay_alu instid0(VALU_DEP_1) | instskip(NEXT) | instid1(VALU_DEP_1)
	v_fma_f32 v18, v21, v19, -v22
	v_fmac_f32_e32 v18, v21, v17
	s_delay_alu instid0(VALU_DEP_1) | instskip(NEXT) | instid1(VALU_DEP_1)
	v_add_f32_e32 v23, v22, v18
	v_sub_f32_e32 v24, v20, v23
	s_delay_alu instid0(VALU_DEP_1) | instskip(SKIP_1) | instid1(VALU_DEP_2)
	v_sub_f32_e32 v20, v20, v24
	v_sub_f32_e32 v16, v23, v22
	;; [unrolled: 1-line block ×3, first 2 shown]
	s_delay_alu instid0(VALU_DEP_2) | instskip(NEXT) | instid1(VALU_DEP_2)
	v_sub_f32_e32 v16, v16, v18
	v_add_f32_e32 v6, v6, v20
	s_delay_alu instid0(VALU_DEP_1) | instskip(NEXT) | instid1(VALU_DEP_1)
	v_add_f32_e32 v6, v16, v6
	v_add_f32_e32 v16, v24, v6
	s_delay_alu instid0(VALU_DEP_1) | instskip(NEXT) | instid1(VALU_DEP_1)
	v_mul_f32_e32 v18, v15, v16
	v_dual_sub_f32 v23, v24, v16 :: v_dual_mul_f32 v20, v19, v18
	s_delay_alu instid0(VALU_DEP_1) | instskip(NEXT) | instid1(VALU_DEP_2)
	v_add_f32_e32 v6, v6, v23
	v_fma_f32 v19, v18, v19, -v20
	s_delay_alu instid0(VALU_DEP_1) | instskip(NEXT) | instid1(VALU_DEP_1)
	v_fmac_f32_e32 v19, v18, v17
	v_add_f32_e32 v17, v20, v19
	s_delay_alu instid0(VALU_DEP_1) | instskip(SKIP_1) | instid1(VALU_DEP_2)
	v_sub_f32_e32 v22, v16, v17
	v_sub_f32_e32 v20, v17, v20
	;; [unrolled: 1-line block ×3, first 2 shown]
	s_delay_alu instid0(VALU_DEP_1) | instskip(NEXT) | instid1(VALU_DEP_1)
	v_sub_f32_e32 v16, v16, v17
	v_dual_sub_f32 v17, v20, v19 :: v_dual_add_f32 v6, v6, v16
	v_add_f32_e32 v16, v21, v18
	s_delay_alu instid0(VALU_DEP_1) | instskip(NEXT) | instid1(VALU_DEP_1)
	v_dual_add_f32 v6, v17, v6 :: v_dual_sub_f32 v17, v16, v21
	v_add_f32_e32 v6, v22, v6
	s_delay_alu instid0(VALU_DEP_1) | instskip(NEXT) | instid1(VALU_DEP_1)
	v_dual_sub_f32 v17, v18, v17 :: v_dual_mul_f32 v6, v15, v6
	v_add_f32_e32 v6, v17, v6
	s_delay_alu instid0(VALU_DEP_1) | instskip(NEXT) | instid1(VALU_DEP_1)
	v_add_f32_e32 v15, v16, v6
	v_mul_f32_e32 v17, v15, v15
	s_delay_alu instid0(VALU_DEP_1) | instskip(SKIP_2) | instid1(VALU_DEP_3)
	v_fmaak_f32 v18, s0, v17, 0x3ecc95a3
	v_mul_f32_e32 v19, v15, v17
	v_cmp_eq_f32_e64 s0, 0x7f800000, v0
	v_fmaak_f32 v17, v17, v18, 0x3f2aaada
	v_ldexp_f32 v18, v15, 1
	v_sub_f32_e32 v15, v15, v16
	s_delay_alu instid0(VALU_DEP_4) | instskip(NEXT) | instid1(VALU_DEP_3)
	s_or_b32 s0, s0, s5
	v_mul_f32_e32 v17, v19, v17
	s_delay_alu instid0(VALU_DEP_2) | instskip(NEXT) | instid1(VALU_DEP_2)
	v_dual_mul_f32 v19, 0x3f317218, v5 :: v_dual_sub_f32 v6, v6, v15
	v_add_f32_e32 v16, v18, v17
	s_delay_alu instid0(VALU_DEP_2) | instskip(NEXT) | instid1(VALU_DEP_2)
	v_ldexp_f32 v6, v6, 1
	v_sub_f32_e32 v15, v16, v18
	s_delay_alu instid0(VALU_DEP_4) | instskip(NEXT) | instid1(VALU_DEP_2)
	v_fma_f32 v18, 0x3f317218, v5, -v19
	v_sub_f32_e32 v15, v17, v15
	s_delay_alu instid0(VALU_DEP_1) | instskip(NEXT) | instid1(VALU_DEP_1)
	v_dual_fmamk_f32 v5, v5, 0xb102e308, v18 :: v_dual_add_f32 v6, v6, v15
	v_add_f32_e32 v15, v19, v5
	s_delay_alu instid0(VALU_DEP_1) | instskip(NEXT) | instid1(VALU_DEP_1)
	v_sub_f32_e32 v19, v15, v19
	v_sub_f32_e32 v5, v5, v19
	s_delay_alu instid0(VALU_DEP_4) | instskip(NEXT) | instid1(VALU_DEP_1)
	v_add_f32_e32 v17, v16, v6
	v_sub_f32_e32 v16, v17, v16
	s_delay_alu instid0(VALU_DEP_1) | instskip(SKIP_1) | instid1(VALU_DEP_1)
	v_sub_f32_e32 v6, v6, v16
	v_add_f32_e32 v18, v15, v17
	v_sub_f32_e32 v20, v18, v15
	s_delay_alu instid0(VALU_DEP_1) | instskip(NEXT) | instid1(VALU_DEP_4)
	v_sub_f32_e32 v16, v17, v20
	v_add_f32_e32 v17, v5, v6
	v_sub_f32_e32 v21, v18, v20
	s_delay_alu instid0(VALU_DEP_1) | instskip(NEXT) | instid1(VALU_DEP_1)
	v_sub_f32_e32 v15, v15, v21
	v_dual_add_f32 v15, v16, v15 :: v_dual_sub_f32 v16, v17, v5
	s_delay_alu instid0(VALU_DEP_1) | instskip(SKIP_1) | instid1(VALU_DEP_2)
	v_dual_add_f32 v15, v17, v15 :: v_dual_sub_f32 v6, v6, v16
	v_sub_f32_e32 v17, v17, v16
	v_add_f32_e32 v19, v18, v15
	s_delay_alu instid0(VALU_DEP_1) | instskip(NEXT) | instid1(VALU_DEP_1)
	v_dual_sub_f32 v5, v5, v17 :: v_dual_sub_f32 v16, v19, v18
	v_dual_add_f32 v5, v6, v5 :: v_dual_sub_f32 v6, v15, v16
	s_delay_alu instid0(VALU_DEP_1) | instskip(NEXT) | instid1(VALU_DEP_1)
	v_add_f32_e32 v5, v5, v6
	v_add_f32_e32 v5, v19, v5
	s_delay_alu instid0(VALU_DEP_1) | instskip(NEXT) | instid1(VALU_DEP_1)
	v_cndmask_b32_e64 v0, v5, v0, s0
	v_add_f32_e32 v0, v2, v0
.LBB116_74:
	s_or_b32 exec_lo, exec_lo, s1
	s_delay_alu instid0(VALU_DEP_1) | instskip(SKIP_1) | instid1(VALU_DEP_2)
	v_max_f32_e32 v2, v0, v0
	v_cmp_u_f32_e64 s0, v0, v0
	v_min_f32_e32 v5, v2, v13
	v_max_f32_e32 v2, v2, v13
	s_delay_alu instid0(VALU_DEP_2) | instskip(NEXT) | instid1(VALU_DEP_2)
	v_cndmask_b32_e64 v5, v5, v0, s0
	v_cndmask_b32_e64 v2, v2, v0, s0
	s_delay_alu instid0(VALU_DEP_2) | instskip(NEXT) | instid1(VALU_DEP_2)
	v_cndmask_b32_e64 v5, v5, v3, s6
	v_cndmask_b32_e64 v3, v2, v3, s6
	v_mov_b32_e32 v2, v0
	s_delay_alu instid0(VALU_DEP_3) | instskip(NEXT) | instid1(VALU_DEP_3)
	v_cmp_class_f32_e64 s1, v5, 0x1f8
	v_cmp_neq_f32_e64 s0, v5, v3
	s_delay_alu instid0(VALU_DEP_1) | instskip(NEXT) | instid1(SALU_CYCLE_1)
	s_or_b32 s0, s0, s1
	s_and_saveexec_b32 s1, s0
	s_cbranch_execz .LBB116_76
; %bb.75:
	v_sub_f32_e32 v2, v5, v3
	s_delay_alu instid0(VALU_DEP_1) | instskip(SKIP_1) | instid1(VALU_DEP_2)
	v_mul_f32_e32 v5, 0x3fb8aa3b, v2
	v_cmp_ngt_f32_e64 s0, 0xc2ce8ed0, v2
	v_fma_f32 v6, 0x3fb8aa3b, v2, -v5
	v_rndne_f32_e32 v13, v5
	s_delay_alu instid0(VALU_DEP_1) | instskip(NEXT) | instid1(VALU_DEP_1)
	v_dual_fmamk_f32 v6, v2, 0x32a5705f, v6 :: v_dual_sub_f32 v5, v5, v13
	v_add_f32_e32 v5, v5, v6
	v_cvt_i32_f32_e32 v6, v13
	s_delay_alu instid0(VALU_DEP_2) | instskip(SKIP_2) | instid1(VALU_DEP_1)
	v_exp_f32_e32 v5, v5
	s_waitcnt_depctr 0xfff
	v_ldexp_f32 v5, v5, v6
	v_cndmask_b32_e64 v5, 0, v5, s0
	v_cmp_nlt_f32_e64 s0, 0x42b17218, v2
	s_delay_alu instid0(VALU_DEP_1) | instskip(NEXT) | instid1(VALU_DEP_1)
	v_cndmask_b32_e64 v2, 0x7f800000, v5, s0
	v_add_f32_e32 v13, 1.0, v2
	v_cmp_gt_f32_e64 s5, 0x33800000, |v2|
	s_delay_alu instid0(VALU_DEP_2) | instskip(NEXT) | instid1(VALU_DEP_1)
	v_cvt_f64_f32_e32 v[5:6], v13
	v_frexp_exp_i32_f64_e32 v5, v[5:6]
	v_frexp_mant_f32_e32 v6, v13
	s_delay_alu instid0(VALU_DEP_1) | instskip(SKIP_1) | instid1(VALU_DEP_1)
	v_cmp_gt_f32_e64 s0, 0x3f2aaaab, v6
	v_add_f32_e32 v6, -1.0, v13
	v_sub_f32_e32 v16, v6, v13
	s_delay_alu instid0(VALU_DEP_1) | instskip(NEXT) | instid1(VALU_DEP_4)
	v_add_f32_e32 v16, 1.0, v16
	v_subrev_co_ci_u32_e64 v5, s0, 0, v5, s0
	s_mov_b32 s0, 0x3e9b6dac
	s_delay_alu instid0(VALU_DEP_1) | instskip(SKIP_1) | instid1(VALU_DEP_2)
	v_sub_nc_u32_e32 v15, 0, v5
	v_cvt_f32_i32_e32 v5, v5
	v_ldexp_f32 v13, v13, v15
	s_delay_alu instid0(VALU_DEP_1) | instskip(NEXT) | instid1(VALU_DEP_1)
	v_dual_sub_f32 v6, v2, v6 :: v_dual_add_f32 v17, 1.0, v13
	v_add_f32_e32 v6, v6, v16
	s_delay_alu instid0(VALU_DEP_1) | instskip(SKIP_1) | instid1(VALU_DEP_4)
	v_ldexp_f32 v6, v6, v15
	v_add_f32_e32 v15, -1.0, v13
	v_add_f32_e32 v16, -1.0, v17
	s_delay_alu instid0(VALU_DEP_2) | instskip(NEXT) | instid1(VALU_DEP_2)
	v_add_f32_e32 v18, 1.0, v15
	v_sub_f32_e32 v16, v13, v16
	s_delay_alu instid0(VALU_DEP_1) | instskip(NEXT) | instid1(VALU_DEP_1)
	v_dual_sub_f32 v13, v13, v18 :: v_dual_add_f32 v16, v6, v16
	v_add_f32_e32 v6, v6, v13
	s_waitcnt lgkmcnt(0)
	s_delay_alu instid0(VALU_DEP_1) | instskip(NEXT) | instid1(VALU_DEP_1)
	v_dual_add_f32 v19, v15, v6 :: v_dual_add_f32 v18, v17, v16
	v_sub_f32_e32 v15, v15, v19
	s_delay_alu instid0(VALU_DEP_2) | instskip(SKIP_1) | instid1(VALU_DEP_1)
	v_rcp_f32_e32 v13, v18
	v_sub_f32_e32 v17, v17, v18
	v_add_f32_e32 v16, v16, v17
	s_waitcnt_depctr 0xfff
	v_mul_f32_e32 v20, v19, v13
	s_delay_alu instid0(VALU_DEP_1) | instskip(NEXT) | instid1(VALU_DEP_1)
	v_mul_f32_e32 v21, v18, v20
	v_fma_f32 v17, v20, v18, -v21
	s_delay_alu instid0(VALU_DEP_1) | instskip(NEXT) | instid1(VALU_DEP_1)
	v_fmac_f32_e32 v17, v20, v16
	v_add_f32_e32 v22, v21, v17
	s_delay_alu instid0(VALU_DEP_1) | instskip(NEXT) | instid1(VALU_DEP_1)
	v_sub_f32_e32 v23, v19, v22
	v_sub_f32_e32 v19, v19, v23
	v_add_f32_e32 v6, v6, v15
	v_sub_f32_e32 v15, v22, v21
	s_delay_alu instid0(VALU_DEP_3) | instskip(NEXT) | instid1(VALU_DEP_1)
	v_sub_f32_e32 v19, v19, v22
	v_dual_sub_f32 v15, v15, v17 :: v_dual_add_f32 v6, v6, v19
	s_delay_alu instid0(VALU_DEP_1) | instskip(NEXT) | instid1(VALU_DEP_1)
	v_add_f32_e32 v6, v15, v6
	v_add_f32_e32 v15, v23, v6
	s_delay_alu instid0(VALU_DEP_1) | instskip(NEXT) | instid1(VALU_DEP_1)
	v_mul_f32_e32 v17, v13, v15
	v_dual_sub_f32 v22, v23, v15 :: v_dual_mul_f32 v19, v18, v17
	s_delay_alu instid0(VALU_DEP_1) | instskip(NEXT) | instid1(VALU_DEP_2)
	v_add_f32_e32 v6, v6, v22
	v_fma_f32 v18, v17, v18, -v19
	s_delay_alu instid0(VALU_DEP_1) | instskip(NEXT) | instid1(VALU_DEP_1)
	v_fmac_f32_e32 v18, v17, v16
	v_add_f32_e32 v16, v19, v18
	s_delay_alu instid0(VALU_DEP_1) | instskip(NEXT) | instid1(VALU_DEP_1)
	v_sub_f32_e32 v21, v15, v16
	v_sub_f32_e32 v15, v15, v21
	s_delay_alu instid0(VALU_DEP_1) | instskip(NEXT) | instid1(VALU_DEP_1)
	v_sub_f32_e32 v15, v15, v16
	v_dual_add_f32 v6, v6, v15 :: v_dual_add_f32 v15, v20, v17
	v_sub_f32_e32 v19, v16, v19
	s_delay_alu instid0(VALU_DEP_1) | instskip(NEXT) | instid1(VALU_DEP_1)
	v_sub_f32_e32 v16, v19, v18
	v_add_f32_e32 v6, v16, v6
	s_delay_alu instid0(VALU_DEP_4) | instskip(NEXT) | instid1(VALU_DEP_2)
	v_sub_f32_e32 v16, v15, v20
	v_add_f32_e32 v6, v21, v6
	s_delay_alu instid0(VALU_DEP_2) | instskip(NEXT) | instid1(VALU_DEP_2)
	v_sub_f32_e32 v16, v17, v16
	v_mul_f32_e32 v6, v13, v6
	s_delay_alu instid0(VALU_DEP_1) | instskip(NEXT) | instid1(VALU_DEP_1)
	v_add_f32_e32 v6, v16, v6
	v_add_f32_e32 v13, v15, v6
	s_delay_alu instid0(VALU_DEP_1) | instskip(NEXT) | instid1(VALU_DEP_1)
	v_mul_f32_e32 v16, v13, v13
	v_fmaak_f32 v17, s0, v16, 0x3ecc95a3
	v_mul_f32_e32 v18, v13, v16
	v_cmp_eq_f32_e64 s0, 0x7f800000, v2
	s_delay_alu instid0(VALU_DEP_3) | instskip(SKIP_2) | instid1(VALU_DEP_4)
	v_fmaak_f32 v16, v16, v17, 0x3f2aaada
	v_ldexp_f32 v17, v13, 1
	v_sub_f32_e32 v13, v13, v15
	s_or_b32 s0, s0, s5
	s_delay_alu instid0(VALU_DEP_3) | instskip(NEXT) | instid1(VALU_DEP_1)
	v_mul_f32_e32 v16, v18, v16
	v_dual_add_f32 v15, v17, v16 :: v_dual_sub_f32 v6, v6, v13
	s_delay_alu instid0(VALU_DEP_1) | instskip(NEXT) | instid1(VALU_DEP_2)
	v_sub_f32_e32 v13, v15, v17
	v_ldexp_f32 v6, v6, 1
	s_delay_alu instid0(VALU_DEP_2) | instskip(NEXT) | instid1(VALU_DEP_1)
	v_sub_f32_e32 v13, v16, v13
	v_add_f32_e32 v6, v6, v13
	s_delay_alu instid0(VALU_DEP_1) | instskip(NEXT) | instid1(VALU_DEP_1)
	v_add_f32_e32 v16, v15, v6
	v_dual_mul_f32 v18, 0x3f317218, v5 :: v_dual_sub_f32 v15, v16, v15
	s_delay_alu instid0(VALU_DEP_1) | instskip(NEXT) | instid1(VALU_DEP_1)
	v_fma_f32 v17, 0x3f317218, v5, -v18
	v_fmamk_f32 v5, v5, 0xb102e308, v17
	s_delay_alu instid0(VALU_DEP_1) | instskip(NEXT) | instid1(VALU_DEP_1)
	v_add_f32_e32 v13, v18, v5
	v_add_f32_e32 v17, v13, v16
	s_delay_alu instid0(VALU_DEP_1) | instskip(NEXT) | instid1(VALU_DEP_1)
	v_sub_f32_e32 v19, v17, v13
	v_sub_f32_e32 v20, v17, v19
	v_sub_f32_e32 v18, v13, v18
	s_delay_alu instid0(VALU_DEP_2) | instskip(SKIP_1) | instid1(VALU_DEP_3)
	v_dual_sub_f32 v13, v13, v20 :: v_dual_sub_f32 v6, v6, v15
	v_sub_f32_e32 v15, v16, v19
	v_sub_f32_e32 v5, v5, v18
	s_delay_alu instid0(VALU_DEP_1) | instskip(NEXT) | instid1(VALU_DEP_1)
	v_dual_add_f32 v13, v15, v13 :: v_dual_add_f32 v16, v5, v6
	v_sub_f32_e32 v15, v16, v5
	s_delay_alu instid0(VALU_DEP_1) | instskip(SKIP_1) | instid1(VALU_DEP_2)
	v_dual_add_f32 v13, v16, v13 :: v_dual_sub_f32 v6, v6, v15
	v_sub_f32_e32 v16, v16, v15
	v_add_f32_e32 v18, v17, v13
	s_delay_alu instid0(VALU_DEP_2) | instskip(NEXT) | instid1(VALU_DEP_2)
	v_sub_f32_e32 v5, v5, v16
	v_sub_f32_e32 v15, v18, v17
	s_delay_alu instid0(VALU_DEP_1) | instskip(NEXT) | instid1(VALU_DEP_1)
	v_dual_add_f32 v5, v6, v5 :: v_dual_sub_f32 v6, v13, v15
	v_add_f32_e32 v5, v5, v6
	s_delay_alu instid0(VALU_DEP_1) | instskip(NEXT) | instid1(VALU_DEP_1)
	v_add_f32_e32 v5, v18, v5
	v_cndmask_b32_e64 v2, v5, v2, s0
	s_delay_alu instid0(VALU_DEP_1)
	v_add_f32_e32 v2, v3, v2
.LBB116_76:
	s_or_b32 exec_lo, exec_lo, s1
	s_delay_alu instid0(VALU_DEP_1) | instskip(SKIP_1) | instid1(VALU_DEP_2)
	v_max_f32_e32 v3, v2, v2
	v_cmp_u_f32_e64 s0, v2, v2
	v_min_f32_e32 v5, v3, v14
	v_max_f32_e32 v3, v3, v14
	s_delay_alu instid0(VALU_DEP_2) | instskip(NEXT) | instid1(VALU_DEP_2)
	v_cndmask_b32_e64 v5, v5, v2, s0
	v_cndmask_b32_e64 v3, v3, v2, s0
	s_delay_alu instid0(VALU_DEP_2) | instskip(NEXT) | instid1(VALU_DEP_2)
	v_cndmask_b32_e64 v5, v5, v4, s7
	v_cndmask_b32_e64 v3, v3, v4, s7
	v_mov_b32_e32 v4, v2
	s_delay_alu instid0(VALU_DEP_3) | instskip(NEXT) | instid1(VALU_DEP_3)
	v_cmp_class_f32_e64 s1, v5, 0x1f8
	v_cmp_neq_f32_e64 s0, v5, v3
	s_delay_alu instid0(VALU_DEP_1) | instskip(NEXT) | instid1(SALU_CYCLE_1)
	s_or_b32 s0, s0, s1
	s_and_saveexec_b32 s1, s0
	s_cbranch_execz .LBB116_78
; %bb.77:
	v_sub_f32_e32 v4, v5, v3
	s_delay_alu instid0(VALU_DEP_1) | instskip(SKIP_1) | instid1(VALU_DEP_2)
	v_mul_f32_e32 v5, 0x3fb8aa3b, v4
	v_cmp_ngt_f32_e64 s0, 0xc2ce8ed0, v4
	v_fma_f32 v6, 0x3fb8aa3b, v4, -v5
	v_rndne_f32_e32 v13, v5
	s_delay_alu instid0(VALU_DEP_1) | instskip(NEXT) | instid1(VALU_DEP_1)
	v_dual_fmamk_f32 v6, v4, 0x32a5705f, v6 :: v_dual_sub_f32 v5, v5, v13
	v_add_f32_e32 v5, v5, v6
	v_cvt_i32_f32_e32 v6, v13
	s_delay_alu instid0(VALU_DEP_2) | instskip(SKIP_2) | instid1(VALU_DEP_1)
	v_exp_f32_e32 v5, v5
	s_waitcnt_depctr 0xfff
	v_ldexp_f32 v5, v5, v6
	v_cndmask_b32_e64 v5, 0, v5, s0
	v_cmp_nlt_f32_e64 s0, 0x42b17218, v4
	s_delay_alu instid0(VALU_DEP_1) | instskip(NEXT) | instid1(VALU_DEP_1)
	v_cndmask_b32_e64 v6, 0x7f800000, v5, s0
	v_add_f32_e32 v13, 1.0, v6
	v_cmp_gt_f32_e64 s5, 0x33800000, |v6|
	s_delay_alu instid0(VALU_DEP_2) | instskip(NEXT) | instid1(VALU_DEP_1)
	v_cvt_f64_f32_e32 v[4:5], v13
	v_frexp_exp_i32_f64_e32 v4, v[4:5]
	v_frexp_mant_f32_e32 v5, v13
	s_delay_alu instid0(VALU_DEP_1) | instskip(SKIP_1) | instid1(VALU_DEP_1)
	v_cmp_gt_f32_e64 s0, 0x3f2aaaab, v5
	v_add_f32_e32 v5, -1.0, v13
	v_sub_f32_e32 v15, v5, v13
	v_sub_f32_e32 v5, v6, v5
	s_delay_alu instid0(VALU_DEP_2) | instskip(SKIP_2) | instid1(VALU_DEP_1)
	v_add_f32_e32 v15, 1.0, v15
	v_subrev_co_ci_u32_e64 v4, s0, 0, v4, s0
	s_mov_b32 s0, 0x3e9b6dac
	v_sub_nc_u32_e32 v14, 0, v4
	v_cvt_f32_i32_e32 v4, v4
	s_delay_alu instid0(VALU_DEP_2) | instskip(NEXT) | instid1(VALU_DEP_1)
	v_ldexp_f32 v13, v13, v14
	v_dual_add_f32 v16, 1.0, v13 :: v_dual_add_f32 v5, v5, v15
	s_delay_alu instid0(VALU_DEP_1) | instskip(NEXT) | instid1(VALU_DEP_2)
	v_add_f32_e32 v15, -1.0, v16
	v_ldexp_f32 v5, v5, v14
	s_delay_alu instid0(VALU_DEP_2) | instskip(NEXT) | instid1(VALU_DEP_1)
	v_dual_add_f32 v14, -1.0, v13 :: v_dual_sub_f32 v15, v13, v15
	v_add_f32_e32 v17, 1.0, v14
	s_delay_alu instid0(VALU_DEP_2) | instskip(NEXT) | instid1(VALU_DEP_2)
	v_add_f32_e32 v15, v5, v15
	v_sub_f32_e32 v13, v13, v17
	s_delay_alu instid0(VALU_DEP_2) | instskip(NEXT) | instid1(VALU_DEP_2)
	v_add_f32_e32 v17, v16, v15
	v_add_f32_e32 v5, v5, v13
	s_delay_alu instid0(VALU_DEP_2) | instskip(SKIP_1) | instid1(VALU_DEP_1)
	v_rcp_f32_e32 v13, v17
	v_sub_f32_e32 v16, v16, v17
	v_dual_add_f32 v18, v14, v5 :: v_dual_add_f32 v15, v15, v16
	s_delay_alu instid0(VALU_DEP_1) | instskip(SKIP_4) | instid1(VALU_DEP_2)
	v_sub_f32_e32 v14, v14, v18
	s_waitcnt lgkmcnt(0)
	s_waitcnt_depctr 0xfff
	v_mul_f32_e32 v19, v18, v13
	v_add_f32_e32 v5, v5, v14
	v_mul_f32_e32 v20, v17, v19
	s_delay_alu instid0(VALU_DEP_1) | instskip(NEXT) | instid1(VALU_DEP_1)
	v_fma_f32 v16, v19, v17, -v20
	v_fmac_f32_e32 v16, v19, v15
	s_delay_alu instid0(VALU_DEP_1) | instskip(NEXT) | instid1(VALU_DEP_1)
	v_add_f32_e32 v21, v20, v16
	v_sub_f32_e32 v22, v18, v21
	v_sub_f32_e32 v14, v21, v20
	s_delay_alu instid0(VALU_DEP_2) | instskip(NEXT) | instid1(VALU_DEP_2)
	v_sub_f32_e32 v18, v18, v22
	v_sub_f32_e32 v14, v14, v16
	s_delay_alu instid0(VALU_DEP_2) | instskip(NEXT) | instid1(VALU_DEP_1)
	v_sub_f32_e32 v18, v18, v21
	v_add_f32_e32 v5, v5, v18
	s_delay_alu instid0(VALU_DEP_1) | instskip(NEXT) | instid1(VALU_DEP_1)
	v_add_f32_e32 v5, v14, v5
	v_add_f32_e32 v14, v22, v5
	s_delay_alu instid0(VALU_DEP_1) | instskip(NEXT) | instid1(VALU_DEP_1)
	v_mul_f32_e32 v16, v13, v14
	v_dual_sub_f32 v21, v22, v14 :: v_dual_mul_f32 v18, v17, v16
	s_delay_alu instid0(VALU_DEP_1) | instskip(NEXT) | instid1(VALU_DEP_2)
	v_add_f32_e32 v5, v5, v21
	v_fma_f32 v17, v16, v17, -v18
	s_delay_alu instid0(VALU_DEP_1) | instskip(NEXT) | instid1(VALU_DEP_1)
	v_fmac_f32_e32 v17, v16, v15
	v_add_f32_e32 v15, v18, v17
	s_delay_alu instid0(VALU_DEP_1) | instskip(SKIP_1) | instid1(VALU_DEP_2)
	v_sub_f32_e32 v20, v14, v15
	v_sub_f32_e32 v18, v15, v18
	;; [unrolled: 1-line block ×3, first 2 shown]
	s_delay_alu instid0(VALU_DEP_1) | instskip(NEXT) | instid1(VALU_DEP_1)
	v_sub_f32_e32 v14, v14, v15
	v_dual_add_f32 v5, v5, v14 :: v_dual_add_f32 v14, v19, v16
	s_delay_alu instid0(VALU_DEP_4) | instskip(NEXT) | instid1(VALU_DEP_1)
	v_sub_f32_e32 v15, v18, v17
	v_add_f32_e32 v5, v15, v5
	s_delay_alu instid0(VALU_DEP_3) | instskip(NEXT) | instid1(VALU_DEP_2)
	v_sub_f32_e32 v15, v14, v19
	v_add_f32_e32 v5, v20, v5
	s_delay_alu instid0(VALU_DEP_2) | instskip(NEXT) | instid1(VALU_DEP_2)
	v_sub_f32_e32 v15, v16, v15
	v_mul_f32_e32 v5, v13, v5
	s_delay_alu instid0(VALU_DEP_1) | instskip(NEXT) | instid1(VALU_DEP_1)
	v_add_f32_e32 v5, v15, v5
	v_add_f32_e32 v13, v14, v5
	s_delay_alu instid0(VALU_DEP_1) | instskip(NEXT) | instid1(VALU_DEP_1)
	v_mul_f32_e32 v15, v13, v13
	v_fmaak_f32 v16, s0, v15, 0x3ecc95a3
	v_mul_f32_e32 v17, v13, v15
	v_cmp_eq_f32_e64 s0, 0x7f800000, v6
	s_delay_alu instid0(VALU_DEP_3) | instskip(SKIP_2) | instid1(VALU_DEP_4)
	v_fmaak_f32 v15, v15, v16, 0x3f2aaada
	v_ldexp_f32 v16, v13, 1
	v_sub_f32_e32 v13, v13, v14
	s_or_b32 s0, s0, s5
	s_delay_alu instid0(VALU_DEP_3) | instskip(SKIP_1) | instid1(VALU_DEP_2)
	v_mul_f32_e32 v15, v17, v15
	v_mul_f32_e32 v17, 0x3f317218, v4
	v_dual_sub_f32 v5, v5, v13 :: v_dual_add_f32 v14, v16, v15
	s_delay_alu instid0(VALU_DEP_1) | instskip(NEXT) | instid1(VALU_DEP_2)
	v_ldexp_f32 v5, v5, 1
	v_sub_f32_e32 v13, v14, v16
	s_delay_alu instid0(VALU_DEP_4) | instskip(NEXT) | instid1(VALU_DEP_1)
	v_fma_f32 v16, 0x3f317218, v4, -v17
	v_dual_sub_f32 v13, v15, v13 :: v_dual_fmamk_f32 v4, v4, 0xb102e308, v16
	s_delay_alu instid0(VALU_DEP_1) | instskip(NEXT) | instid1(VALU_DEP_2)
	v_add_f32_e32 v5, v5, v13
	v_add_f32_e32 v13, v17, v4
	s_delay_alu instid0(VALU_DEP_2) | instskip(NEXT) | instid1(VALU_DEP_2)
	v_add_f32_e32 v15, v14, v5
	v_sub_f32_e32 v17, v13, v17
	s_delay_alu instid0(VALU_DEP_2) | instskip(SKIP_1) | instid1(VALU_DEP_3)
	v_add_f32_e32 v16, v13, v15
	v_sub_f32_e32 v14, v15, v14
	v_sub_f32_e32 v4, v4, v17
	s_delay_alu instid0(VALU_DEP_2) | instskip(NEXT) | instid1(VALU_DEP_1)
	v_dual_sub_f32 v18, v16, v13 :: v_dual_sub_f32 v5, v5, v14
	v_sub_f32_e32 v19, v16, v18
	s_delay_alu instid0(VALU_DEP_2) | instskip(NEXT) | instid1(VALU_DEP_2)
	v_dual_sub_f32 v14, v15, v18 :: v_dual_add_f32 v15, v4, v5
	v_sub_f32_e32 v13, v13, v19
	s_delay_alu instid0(VALU_DEP_1) | instskip(NEXT) | instid1(VALU_DEP_1)
	v_dual_add_f32 v13, v14, v13 :: v_dual_sub_f32 v14, v15, v4
	v_add_f32_e32 v13, v15, v13
	s_delay_alu instid0(VALU_DEP_2) | instskip(SKIP_1) | instid1(VALU_DEP_3)
	v_sub_f32_e32 v15, v15, v14
	v_sub_f32_e32 v5, v5, v14
	v_add_f32_e32 v17, v16, v13
	s_delay_alu instid0(VALU_DEP_3) | instskip(NEXT) | instid1(VALU_DEP_2)
	v_sub_f32_e32 v4, v4, v15
	v_sub_f32_e32 v14, v17, v16
	s_delay_alu instid0(VALU_DEP_2) | instskip(NEXT) | instid1(VALU_DEP_2)
	v_add_f32_e32 v4, v5, v4
	v_sub_f32_e32 v5, v13, v14
	s_delay_alu instid0(VALU_DEP_1) | instskip(NEXT) | instid1(VALU_DEP_1)
	v_add_f32_e32 v4, v4, v5
	v_add_f32_e32 v4, v17, v4
	s_delay_alu instid0(VALU_DEP_1) | instskip(NEXT) | instid1(VALU_DEP_1)
	v_cndmask_b32_e64 v4, v4, v6, s0
	v_add_f32_e32 v4, v3, v4
.LBB116_78:
	s_or_b32 exec_lo, exec_lo, s1
	s_waitcnt lgkmcnt(0)
	s_barrier
	buffer_gl0_inv
	ds_store_2addr_b32 v12, v1, v0 offset1:1
	ds_store_2addr_b32 v12, v2, v4 offset0:2 offset1:3
	s_waitcnt lgkmcnt(0)
	s_barrier
	buffer_gl0_inv
	ds_load_b32 v4, v9 offset:1024
	ds_load_b32 v3, v10 offset:2048
	;; [unrolled: 1-line block ×3, first 2 shown]
	v_add_co_u32 v0, s0, s10, v7
	s_delay_alu instid0(VALU_DEP_1)
	v_add_co_ci_u32_e64 v1, null, s11, 0, s0
	s_and_saveexec_b32 s0, vcc_lo
	s_cbranch_execnz .LBB116_83
; %bb.79:
	s_or_b32 exec_lo, exec_lo, s0
	s_and_saveexec_b32 s0, s2
	s_cbranch_execnz .LBB116_84
.LBB116_80:
	s_or_b32 exec_lo, exec_lo, s0
	s_and_saveexec_b32 s0, s3
	s_cbranch_execnz .LBB116_85
.LBB116_81:
	s_or_b32 exec_lo, exec_lo, s0
	s_and_saveexec_b32 s0, s4
	s_cbranch_execnz .LBB116_86
.LBB116_82:
	s_nop 0
	s_sendmsg sendmsg(MSG_DEALLOC_VGPRS)
	s_endpgm
.LBB116_83:
	ds_load_b32 v5, v8
	s_waitcnt lgkmcnt(0)
	global_store_b32 v[0:1], v5, off
	s_or_b32 exec_lo, exec_lo, s0
	s_and_saveexec_b32 s0, s2
	s_cbranch_execz .LBB116_80
.LBB116_84:
	s_waitcnt lgkmcnt(2)
	global_store_b32 v[0:1], v4, off offset:1024
	s_or_b32 exec_lo, exec_lo, s0
	s_and_saveexec_b32 s0, s3
	s_cbranch_execz .LBB116_81
.LBB116_85:
	s_waitcnt lgkmcnt(1)
	global_store_b32 v[0:1], v3, off offset:2048
	s_or_b32 exec_lo, exec_lo, s0
	s_and_saveexec_b32 s0, s4
	s_cbranch_execz .LBB116_82
.LBB116_86:
	s_waitcnt lgkmcnt(0)
	global_store_b32 v[0:1], v2, off offset:3072
	s_nop 0
	s_sendmsg sendmsg(MSG_DEALLOC_VGPRS)
	s_endpgm
	.section	.rodata,"a",@progbits
	.p2align	6, 0x0
	.amdhsa_kernel _ZN7rocprim17ROCPRIM_400000_NS6detail17trampoline_kernelINS0_14default_configENS1_20scan_config_selectorIfEEZZNS1_9scan_implILNS1_25lookback_scan_determinismE0ELb0ELb0ES3_PKfPffZZZN2at6native31launch_logcumsumexp_cuda_kernelERKNSB_10TensorBaseESF_lENKUlvE_clEvENKUlvE0_clEvEUlffE_fEEDaPvRmT3_T4_T5_mT6_P12ihipStream_tbENKUlT_T0_E_clISt17integral_constantIbLb0EESW_EEDaSR_SS_EUlSR_E0_NS1_11comp_targetILNS1_3genE9ELNS1_11target_archE1100ELNS1_3gpuE3ELNS1_3repE0EEENS1_30default_config_static_selectorELNS0_4arch9wavefront6targetE0EEEvT1_
		.amdhsa_group_segment_fixed_size 4224
		.amdhsa_private_segment_fixed_size 0
		.amdhsa_kernarg_size 32
		.amdhsa_user_sgpr_count 15
		.amdhsa_user_sgpr_dispatch_ptr 0
		.amdhsa_user_sgpr_queue_ptr 0
		.amdhsa_user_sgpr_kernarg_segment_ptr 1
		.amdhsa_user_sgpr_dispatch_id 0
		.amdhsa_user_sgpr_private_segment_size 0
		.amdhsa_wavefront_size32 1
		.amdhsa_uses_dynamic_stack 0
		.amdhsa_enable_private_segment 0
		.amdhsa_system_sgpr_workgroup_id_x 1
		.amdhsa_system_sgpr_workgroup_id_y 0
		.amdhsa_system_sgpr_workgroup_id_z 0
		.amdhsa_system_sgpr_workgroup_info 0
		.amdhsa_system_vgpr_workitem_id 0
		.amdhsa_next_free_vgpr 37
		.amdhsa_next_free_sgpr 15
		.amdhsa_reserve_vcc 1
		.amdhsa_float_round_mode_32 0
		.amdhsa_float_round_mode_16_64 0
		.amdhsa_float_denorm_mode_32 3
		.amdhsa_float_denorm_mode_16_64 3
		.amdhsa_dx10_clamp 1
		.amdhsa_ieee_mode 1
		.amdhsa_fp16_overflow 0
		.amdhsa_workgroup_processor_mode 1
		.amdhsa_memory_ordered 1
		.amdhsa_forward_progress 0
		.amdhsa_shared_vgpr_count 0
		.amdhsa_exception_fp_ieee_invalid_op 0
		.amdhsa_exception_fp_denorm_src 0
		.amdhsa_exception_fp_ieee_div_zero 0
		.amdhsa_exception_fp_ieee_overflow 0
		.amdhsa_exception_fp_ieee_underflow 0
		.amdhsa_exception_fp_ieee_inexact 0
		.amdhsa_exception_int_div_zero 0
	.end_amdhsa_kernel
	.section	.text._ZN7rocprim17ROCPRIM_400000_NS6detail17trampoline_kernelINS0_14default_configENS1_20scan_config_selectorIfEEZZNS1_9scan_implILNS1_25lookback_scan_determinismE0ELb0ELb0ES3_PKfPffZZZN2at6native31launch_logcumsumexp_cuda_kernelERKNSB_10TensorBaseESF_lENKUlvE_clEvENKUlvE0_clEvEUlffE_fEEDaPvRmT3_T4_T5_mT6_P12ihipStream_tbENKUlT_T0_E_clISt17integral_constantIbLb0EESW_EEDaSR_SS_EUlSR_E0_NS1_11comp_targetILNS1_3genE9ELNS1_11target_archE1100ELNS1_3gpuE3ELNS1_3repE0EEENS1_30default_config_static_selectorELNS0_4arch9wavefront6targetE0EEEvT1_,"axG",@progbits,_ZN7rocprim17ROCPRIM_400000_NS6detail17trampoline_kernelINS0_14default_configENS1_20scan_config_selectorIfEEZZNS1_9scan_implILNS1_25lookback_scan_determinismE0ELb0ELb0ES3_PKfPffZZZN2at6native31launch_logcumsumexp_cuda_kernelERKNSB_10TensorBaseESF_lENKUlvE_clEvENKUlvE0_clEvEUlffE_fEEDaPvRmT3_T4_T5_mT6_P12ihipStream_tbENKUlT_T0_E_clISt17integral_constantIbLb0EESW_EEDaSR_SS_EUlSR_E0_NS1_11comp_targetILNS1_3genE9ELNS1_11target_archE1100ELNS1_3gpuE3ELNS1_3repE0EEENS1_30default_config_static_selectorELNS0_4arch9wavefront6targetE0EEEvT1_,comdat
.Lfunc_end116:
	.size	_ZN7rocprim17ROCPRIM_400000_NS6detail17trampoline_kernelINS0_14default_configENS1_20scan_config_selectorIfEEZZNS1_9scan_implILNS1_25lookback_scan_determinismE0ELb0ELb0ES3_PKfPffZZZN2at6native31launch_logcumsumexp_cuda_kernelERKNSB_10TensorBaseESF_lENKUlvE_clEvENKUlvE0_clEvEUlffE_fEEDaPvRmT3_T4_T5_mT6_P12ihipStream_tbENKUlT_T0_E_clISt17integral_constantIbLb0EESW_EEDaSR_SS_EUlSR_E0_NS1_11comp_targetILNS1_3genE9ELNS1_11target_archE1100ELNS1_3gpuE3ELNS1_3repE0EEENS1_30default_config_static_selectorELNS0_4arch9wavefront6targetE0EEEvT1_, .Lfunc_end116-_ZN7rocprim17ROCPRIM_400000_NS6detail17trampoline_kernelINS0_14default_configENS1_20scan_config_selectorIfEEZZNS1_9scan_implILNS1_25lookback_scan_determinismE0ELb0ELb0ES3_PKfPffZZZN2at6native31launch_logcumsumexp_cuda_kernelERKNSB_10TensorBaseESF_lENKUlvE_clEvENKUlvE0_clEvEUlffE_fEEDaPvRmT3_T4_T5_mT6_P12ihipStream_tbENKUlT_T0_E_clISt17integral_constantIbLb0EESW_EEDaSR_SS_EUlSR_E0_NS1_11comp_targetILNS1_3genE9ELNS1_11target_archE1100ELNS1_3gpuE3ELNS1_3repE0EEENS1_30default_config_static_selectorELNS0_4arch9wavefront6targetE0EEEvT1_
                                        ; -- End function
	.section	.AMDGPU.csdata,"",@progbits
; Kernel info:
; codeLenInByte = 26408
; NumSgprs: 17
; NumVgprs: 37
; ScratchSize: 0
; MemoryBound: 0
; FloatMode: 240
; IeeeMode: 1
; LDSByteSize: 4224 bytes/workgroup (compile time only)
; SGPRBlocks: 2
; VGPRBlocks: 4
; NumSGPRsForWavesPerEU: 17
; NumVGPRsForWavesPerEU: 37
; Occupancy: 16
; WaveLimiterHint : 0
; COMPUTE_PGM_RSRC2:SCRATCH_EN: 0
; COMPUTE_PGM_RSRC2:USER_SGPR: 15
; COMPUTE_PGM_RSRC2:TRAP_HANDLER: 0
; COMPUTE_PGM_RSRC2:TGID_X_EN: 1
; COMPUTE_PGM_RSRC2:TGID_Y_EN: 0
; COMPUTE_PGM_RSRC2:TGID_Z_EN: 0
; COMPUTE_PGM_RSRC2:TIDIG_COMP_CNT: 0
	.section	.text._ZN7rocprim17ROCPRIM_400000_NS6detail17trampoline_kernelINS0_14default_configENS1_20scan_config_selectorIfEEZZNS1_9scan_implILNS1_25lookback_scan_determinismE0ELb0ELb0ES3_PKfPffZZZN2at6native31launch_logcumsumexp_cuda_kernelERKNSB_10TensorBaseESF_lENKUlvE_clEvENKUlvE0_clEvEUlffE_fEEDaPvRmT3_T4_T5_mT6_P12ihipStream_tbENKUlT_T0_E_clISt17integral_constantIbLb0EESW_EEDaSR_SS_EUlSR_E0_NS1_11comp_targetILNS1_3genE8ELNS1_11target_archE1030ELNS1_3gpuE2ELNS1_3repE0EEENS1_30default_config_static_selectorELNS0_4arch9wavefront6targetE0EEEvT1_,"axG",@progbits,_ZN7rocprim17ROCPRIM_400000_NS6detail17trampoline_kernelINS0_14default_configENS1_20scan_config_selectorIfEEZZNS1_9scan_implILNS1_25lookback_scan_determinismE0ELb0ELb0ES3_PKfPffZZZN2at6native31launch_logcumsumexp_cuda_kernelERKNSB_10TensorBaseESF_lENKUlvE_clEvENKUlvE0_clEvEUlffE_fEEDaPvRmT3_T4_T5_mT6_P12ihipStream_tbENKUlT_T0_E_clISt17integral_constantIbLb0EESW_EEDaSR_SS_EUlSR_E0_NS1_11comp_targetILNS1_3genE8ELNS1_11target_archE1030ELNS1_3gpuE2ELNS1_3repE0EEENS1_30default_config_static_selectorELNS0_4arch9wavefront6targetE0EEEvT1_,comdat
	.globl	_ZN7rocprim17ROCPRIM_400000_NS6detail17trampoline_kernelINS0_14default_configENS1_20scan_config_selectorIfEEZZNS1_9scan_implILNS1_25lookback_scan_determinismE0ELb0ELb0ES3_PKfPffZZZN2at6native31launch_logcumsumexp_cuda_kernelERKNSB_10TensorBaseESF_lENKUlvE_clEvENKUlvE0_clEvEUlffE_fEEDaPvRmT3_T4_T5_mT6_P12ihipStream_tbENKUlT_T0_E_clISt17integral_constantIbLb0EESW_EEDaSR_SS_EUlSR_E0_NS1_11comp_targetILNS1_3genE8ELNS1_11target_archE1030ELNS1_3gpuE2ELNS1_3repE0EEENS1_30default_config_static_selectorELNS0_4arch9wavefront6targetE0EEEvT1_ ; -- Begin function _ZN7rocprim17ROCPRIM_400000_NS6detail17trampoline_kernelINS0_14default_configENS1_20scan_config_selectorIfEEZZNS1_9scan_implILNS1_25lookback_scan_determinismE0ELb0ELb0ES3_PKfPffZZZN2at6native31launch_logcumsumexp_cuda_kernelERKNSB_10TensorBaseESF_lENKUlvE_clEvENKUlvE0_clEvEUlffE_fEEDaPvRmT3_T4_T5_mT6_P12ihipStream_tbENKUlT_T0_E_clISt17integral_constantIbLb0EESW_EEDaSR_SS_EUlSR_E0_NS1_11comp_targetILNS1_3genE8ELNS1_11target_archE1030ELNS1_3gpuE2ELNS1_3repE0EEENS1_30default_config_static_selectorELNS0_4arch9wavefront6targetE0EEEvT1_
	.p2align	8
	.type	_ZN7rocprim17ROCPRIM_400000_NS6detail17trampoline_kernelINS0_14default_configENS1_20scan_config_selectorIfEEZZNS1_9scan_implILNS1_25lookback_scan_determinismE0ELb0ELb0ES3_PKfPffZZZN2at6native31launch_logcumsumexp_cuda_kernelERKNSB_10TensorBaseESF_lENKUlvE_clEvENKUlvE0_clEvEUlffE_fEEDaPvRmT3_T4_T5_mT6_P12ihipStream_tbENKUlT_T0_E_clISt17integral_constantIbLb0EESW_EEDaSR_SS_EUlSR_E0_NS1_11comp_targetILNS1_3genE8ELNS1_11target_archE1030ELNS1_3gpuE2ELNS1_3repE0EEENS1_30default_config_static_selectorELNS0_4arch9wavefront6targetE0EEEvT1_,@function
_ZN7rocprim17ROCPRIM_400000_NS6detail17trampoline_kernelINS0_14default_configENS1_20scan_config_selectorIfEEZZNS1_9scan_implILNS1_25lookback_scan_determinismE0ELb0ELb0ES3_PKfPffZZZN2at6native31launch_logcumsumexp_cuda_kernelERKNSB_10TensorBaseESF_lENKUlvE_clEvENKUlvE0_clEvEUlffE_fEEDaPvRmT3_T4_T5_mT6_P12ihipStream_tbENKUlT_T0_E_clISt17integral_constantIbLb0EESW_EEDaSR_SS_EUlSR_E0_NS1_11comp_targetILNS1_3genE8ELNS1_11target_archE1030ELNS1_3gpuE2ELNS1_3repE0EEENS1_30default_config_static_selectorELNS0_4arch9wavefront6targetE0EEEvT1_: ; @_ZN7rocprim17ROCPRIM_400000_NS6detail17trampoline_kernelINS0_14default_configENS1_20scan_config_selectorIfEEZZNS1_9scan_implILNS1_25lookback_scan_determinismE0ELb0ELb0ES3_PKfPffZZZN2at6native31launch_logcumsumexp_cuda_kernelERKNSB_10TensorBaseESF_lENKUlvE_clEvENKUlvE0_clEvEUlffE_fEEDaPvRmT3_T4_T5_mT6_P12ihipStream_tbENKUlT_T0_E_clISt17integral_constantIbLb0EESW_EEDaSR_SS_EUlSR_E0_NS1_11comp_targetILNS1_3genE8ELNS1_11target_archE1030ELNS1_3gpuE2ELNS1_3repE0EEENS1_30default_config_static_selectorELNS0_4arch9wavefront6targetE0EEEvT1_
; %bb.0:
	.section	.rodata,"a",@progbits
	.p2align	6, 0x0
	.amdhsa_kernel _ZN7rocprim17ROCPRIM_400000_NS6detail17trampoline_kernelINS0_14default_configENS1_20scan_config_selectorIfEEZZNS1_9scan_implILNS1_25lookback_scan_determinismE0ELb0ELb0ES3_PKfPffZZZN2at6native31launch_logcumsumexp_cuda_kernelERKNSB_10TensorBaseESF_lENKUlvE_clEvENKUlvE0_clEvEUlffE_fEEDaPvRmT3_T4_T5_mT6_P12ihipStream_tbENKUlT_T0_E_clISt17integral_constantIbLb0EESW_EEDaSR_SS_EUlSR_E0_NS1_11comp_targetILNS1_3genE8ELNS1_11target_archE1030ELNS1_3gpuE2ELNS1_3repE0EEENS1_30default_config_static_selectorELNS0_4arch9wavefront6targetE0EEEvT1_
		.amdhsa_group_segment_fixed_size 0
		.amdhsa_private_segment_fixed_size 0
		.amdhsa_kernarg_size 32
		.amdhsa_user_sgpr_count 15
		.amdhsa_user_sgpr_dispatch_ptr 0
		.amdhsa_user_sgpr_queue_ptr 0
		.amdhsa_user_sgpr_kernarg_segment_ptr 1
		.amdhsa_user_sgpr_dispatch_id 0
		.amdhsa_user_sgpr_private_segment_size 0
		.amdhsa_wavefront_size32 1
		.amdhsa_uses_dynamic_stack 0
		.amdhsa_enable_private_segment 0
		.amdhsa_system_sgpr_workgroup_id_x 1
		.amdhsa_system_sgpr_workgroup_id_y 0
		.amdhsa_system_sgpr_workgroup_id_z 0
		.amdhsa_system_sgpr_workgroup_info 0
		.amdhsa_system_vgpr_workitem_id 0
		.amdhsa_next_free_vgpr 1
		.amdhsa_next_free_sgpr 1
		.amdhsa_reserve_vcc 0
		.amdhsa_float_round_mode_32 0
		.amdhsa_float_round_mode_16_64 0
		.amdhsa_float_denorm_mode_32 3
		.amdhsa_float_denorm_mode_16_64 3
		.amdhsa_dx10_clamp 1
		.amdhsa_ieee_mode 1
		.amdhsa_fp16_overflow 0
		.amdhsa_workgroup_processor_mode 1
		.amdhsa_memory_ordered 1
		.amdhsa_forward_progress 0
		.amdhsa_shared_vgpr_count 0
		.amdhsa_exception_fp_ieee_invalid_op 0
		.amdhsa_exception_fp_denorm_src 0
		.amdhsa_exception_fp_ieee_div_zero 0
		.amdhsa_exception_fp_ieee_overflow 0
		.amdhsa_exception_fp_ieee_underflow 0
		.amdhsa_exception_fp_ieee_inexact 0
		.amdhsa_exception_int_div_zero 0
	.end_amdhsa_kernel
	.section	.text._ZN7rocprim17ROCPRIM_400000_NS6detail17trampoline_kernelINS0_14default_configENS1_20scan_config_selectorIfEEZZNS1_9scan_implILNS1_25lookback_scan_determinismE0ELb0ELb0ES3_PKfPffZZZN2at6native31launch_logcumsumexp_cuda_kernelERKNSB_10TensorBaseESF_lENKUlvE_clEvENKUlvE0_clEvEUlffE_fEEDaPvRmT3_T4_T5_mT6_P12ihipStream_tbENKUlT_T0_E_clISt17integral_constantIbLb0EESW_EEDaSR_SS_EUlSR_E0_NS1_11comp_targetILNS1_3genE8ELNS1_11target_archE1030ELNS1_3gpuE2ELNS1_3repE0EEENS1_30default_config_static_selectorELNS0_4arch9wavefront6targetE0EEEvT1_,"axG",@progbits,_ZN7rocprim17ROCPRIM_400000_NS6detail17trampoline_kernelINS0_14default_configENS1_20scan_config_selectorIfEEZZNS1_9scan_implILNS1_25lookback_scan_determinismE0ELb0ELb0ES3_PKfPffZZZN2at6native31launch_logcumsumexp_cuda_kernelERKNSB_10TensorBaseESF_lENKUlvE_clEvENKUlvE0_clEvEUlffE_fEEDaPvRmT3_T4_T5_mT6_P12ihipStream_tbENKUlT_T0_E_clISt17integral_constantIbLb0EESW_EEDaSR_SS_EUlSR_E0_NS1_11comp_targetILNS1_3genE8ELNS1_11target_archE1030ELNS1_3gpuE2ELNS1_3repE0EEENS1_30default_config_static_selectorELNS0_4arch9wavefront6targetE0EEEvT1_,comdat
.Lfunc_end117:
	.size	_ZN7rocprim17ROCPRIM_400000_NS6detail17trampoline_kernelINS0_14default_configENS1_20scan_config_selectorIfEEZZNS1_9scan_implILNS1_25lookback_scan_determinismE0ELb0ELb0ES3_PKfPffZZZN2at6native31launch_logcumsumexp_cuda_kernelERKNSB_10TensorBaseESF_lENKUlvE_clEvENKUlvE0_clEvEUlffE_fEEDaPvRmT3_T4_T5_mT6_P12ihipStream_tbENKUlT_T0_E_clISt17integral_constantIbLb0EESW_EEDaSR_SS_EUlSR_E0_NS1_11comp_targetILNS1_3genE8ELNS1_11target_archE1030ELNS1_3gpuE2ELNS1_3repE0EEENS1_30default_config_static_selectorELNS0_4arch9wavefront6targetE0EEEvT1_, .Lfunc_end117-_ZN7rocprim17ROCPRIM_400000_NS6detail17trampoline_kernelINS0_14default_configENS1_20scan_config_selectorIfEEZZNS1_9scan_implILNS1_25lookback_scan_determinismE0ELb0ELb0ES3_PKfPffZZZN2at6native31launch_logcumsumexp_cuda_kernelERKNSB_10TensorBaseESF_lENKUlvE_clEvENKUlvE0_clEvEUlffE_fEEDaPvRmT3_T4_T5_mT6_P12ihipStream_tbENKUlT_T0_E_clISt17integral_constantIbLb0EESW_EEDaSR_SS_EUlSR_E0_NS1_11comp_targetILNS1_3genE8ELNS1_11target_archE1030ELNS1_3gpuE2ELNS1_3repE0EEENS1_30default_config_static_selectorELNS0_4arch9wavefront6targetE0EEEvT1_
                                        ; -- End function
	.section	.AMDGPU.csdata,"",@progbits
; Kernel info:
; codeLenInByte = 0
; NumSgprs: 0
; NumVgprs: 0
; ScratchSize: 0
; MemoryBound: 0
; FloatMode: 240
; IeeeMode: 1
; LDSByteSize: 0 bytes/workgroup (compile time only)
; SGPRBlocks: 0
; VGPRBlocks: 0
; NumSGPRsForWavesPerEU: 1
; NumVGPRsForWavesPerEU: 1
; Occupancy: 16
; WaveLimiterHint : 0
; COMPUTE_PGM_RSRC2:SCRATCH_EN: 0
; COMPUTE_PGM_RSRC2:USER_SGPR: 15
; COMPUTE_PGM_RSRC2:TRAP_HANDLER: 0
; COMPUTE_PGM_RSRC2:TGID_X_EN: 1
; COMPUTE_PGM_RSRC2:TGID_Y_EN: 0
; COMPUTE_PGM_RSRC2:TGID_Z_EN: 0
; COMPUTE_PGM_RSRC2:TIDIG_COMP_CNT: 0
	.section	.text._ZN7rocprim17ROCPRIM_400000_NS6detail31init_lookback_scan_state_kernelINS1_19lookback_scan_stateIfLb1ELb1EEENS1_16block_id_wrapperIjLb1EEEEEvT_jT0_jPNS7_10value_typeE,"axG",@progbits,_ZN7rocprim17ROCPRIM_400000_NS6detail31init_lookback_scan_state_kernelINS1_19lookback_scan_stateIfLb1ELb1EEENS1_16block_id_wrapperIjLb1EEEEEvT_jT0_jPNS7_10value_typeE,comdat
	.protected	_ZN7rocprim17ROCPRIM_400000_NS6detail31init_lookback_scan_state_kernelINS1_19lookback_scan_stateIfLb1ELb1EEENS1_16block_id_wrapperIjLb1EEEEEvT_jT0_jPNS7_10value_typeE ; -- Begin function _ZN7rocprim17ROCPRIM_400000_NS6detail31init_lookback_scan_state_kernelINS1_19lookback_scan_stateIfLb1ELb1EEENS1_16block_id_wrapperIjLb1EEEEEvT_jT0_jPNS7_10value_typeE
	.globl	_ZN7rocprim17ROCPRIM_400000_NS6detail31init_lookback_scan_state_kernelINS1_19lookback_scan_stateIfLb1ELb1EEENS1_16block_id_wrapperIjLb1EEEEEvT_jT0_jPNS7_10value_typeE
	.p2align	8
	.type	_ZN7rocprim17ROCPRIM_400000_NS6detail31init_lookback_scan_state_kernelINS1_19lookback_scan_stateIfLb1ELb1EEENS1_16block_id_wrapperIjLb1EEEEEvT_jT0_jPNS7_10value_typeE,@function
_ZN7rocprim17ROCPRIM_400000_NS6detail31init_lookback_scan_state_kernelINS1_19lookback_scan_stateIfLb1ELb1EEENS1_16block_id_wrapperIjLb1EEEEEvT_jT0_jPNS7_10value_typeE: ; @_ZN7rocprim17ROCPRIM_400000_NS6detail31init_lookback_scan_state_kernelINS1_19lookback_scan_stateIfLb1ELb1EEENS1_16block_id_wrapperIjLb1EEEEEvT_jT0_jPNS7_10value_typeE
; %bb.0:
	s_clause 0x3
	s_load_b32 s6, s[0:1], 0x34
	s_load_b64 s[4:5], s[0:1], 0x20
	s_load_b64 s[2:3], s[0:1], 0x0
	s_load_b32 s8, s[0:1], 0x8
	s_waitcnt lgkmcnt(0)
	s_and_b32 s6, s6, 0xffff
	s_cmp_eq_u64 s[4:5], 0
	v_mad_u64_u32 v[1:2], null, s15, s6, v[0:1]
	s_cbranch_scc1 .LBB118_9
; %bb.1:
	s_load_b32 s6, s[0:1], 0x18
	s_waitcnt lgkmcnt(0)
	s_cmp_lt_u32 s6, s8
	s_cselect_b32 s7, s6, 0
	s_delay_alu instid0(VALU_DEP_1) | instid1(SALU_CYCLE_1)
	v_cmp_eq_u32_e32 vcc_lo, s7, v1
	s_mov_b32 s7, 0
	s_and_saveexec_b32 s9, vcc_lo
	s_cbranch_execz .LBB118_8
; %bb.2:
	s_add_i32 s6, s6, 32
	v_mov_b32_e32 v2, 0
	s_lshl_b64 s[6:7], s[6:7], 3
	s_delay_alu instid0(SALU_CYCLE_1) | instskip(SKIP_4) | instid1(VALU_DEP_1)
	s_add_u32 s6, s2, s6
	s_addc_u32 s7, s3, s7
	global_load_b64 v[4:5], v2, s[6:7] glc
	s_waitcnt vmcnt(0)
	v_and_b32_e32 v3, 0xff, v5
	v_cmp_ne_u64_e32 vcc_lo, 0, v[2:3]
	s_cbranch_vccnz .LBB118_7
; %bb.3:
	s_mov_b32 s10, 1
.LBB118_4:                              ; =>This Loop Header: Depth=1
                                        ;     Child Loop BB118_5 Depth 2
	s_delay_alu instid0(SALU_CYCLE_1)
	s_max_u32 s11, s10, 1
.LBB118_5:                              ;   Parent Loop BB118_4 Depth=1
                                        ; =>  This Inner Loop Header: Depth=2
	s_delay_alu instid0(SALU_CYCLE_1)
	s_add_i32 s11, s11, -1
	s_sleep 1
	s_cmp_eq_u32 s11, 0
	s_cbranch_scc0 .LBB118_5
; %bb.6:                                ;   in Loop: Header=BB118_4 Depth=1
	global_load_b64 v[4:5], v2, s[6:7] glc
	s_cmp_lt_u32 s10, 32
	s_cselect_b32 s11, -1, 0
	s_delay_alu instid0(SALU_CYCLE_1) | instskip(SKIP_3) | instid1(VALU_DEP_1)
	s_cmp_lg_u32 s11, 0
	s_addc_u32 s10, s10, 0
	s_waitcnt vmcnt(0)
	v_and_b32_e32 v3, 0xff, v5
	v_cmp_ne_u64_e32 vcc_lo, 0, v[2:3]
	s_cbranch_vccz .LBB118_4
.LBB118_7:
	v_mov_b32_e32 v0, 0
	global_store_b32 v0, v4, s[4:5]
.LBB118_8:
	s_or_b32 exec_lo, exec_lo, s9
.LBB118_9:
	s_delay_alu instid0(SALU_CYCLE_1) | instskip(NEXT) | instid1(VALU_DEP_1)
	s_mov_b32 s4, exec_lo
	v_cmpx_eq_u32_e32 0, v1
	s_cbranch_execz .LBB118_11
; %bb.10:
	s_load_b64 s[0:1], s[0:1], 0x10
	v_mov_b32_e32 v0, 0
	s_waitcnt lgkmcnt(0)
	global_store_b32 v0, v0, s[0:1]
.LBB118_11:
	s_or_b32 exec_lo, exec_lo, s4
	s_delay_alu instid0(SALU_CYCLE_1)
	s_mov_b32 s0, exec_lo
	v_cmpx_gt_u32_e64 s8, v1
	s_cbranch_execz .LBB118_13
; %bb.12:
	v_dual_mov_b32 v3, 0 :: v_dual_add_nc_u32 v2, 32, v1
	s_delay_alu instid0(VALU_DEP_1) | instskip(SKIP_1) | instid1(VALU_DEP_2)
	v_lshlrev_b64 v[4:5], 3, v[2:3]
	v_mov_b32_e32 v2, v3
	v_add_co_u32 v4, vcc_lo, s2, v4
	s_delay_alu instid0(VALU_DEP_3)
	v_add_co_ci_u32_e32 v5, vcc_lo, s3, v5, vcc_lo
	global_store_b64 v[4:5], v[2:3], off
.LBB118_13:
	s_or_b32 exec_lo, exec_lo, s0
	s_delay_alu instid0(SALU_CYCLE_1)
	s_mov_b32 s0, exec_lo
	v_cmpx_gt_u32_e32 32, v1
	s_cbranch_execz .LBB118_15
; %bb.14:
	v_dual_mov_b32 v2, 0 :: v_dual_mov_b32 v3, 0xff
	s_delay_alu instid0(VALU_DEP_1) | instskip(NEXT) | instid1(VALU_DEP_1)
	v_lshlrev_b64 v[0:1], 3, v[1:2]
	v_add_co_u32 v0, vcc_lo, s2, v0
	s_delay_alu instid0(VALU_DEP_2)
	v_add_co_ci_u32_e32 v1, vcc_lo, s3, v1, vcc_lo
	global_store_b64 v[0:1], v[2:3], off
.LBB118_15:
	s_nop 0
	s_sendmsg sendmsg(MSG_DEALLOC_VGPRS)
	s_endpgm
	.section	.rodata,"a",@progbits
	.p2align	6, 0x0
	.amdhsa_kernel _ZN7rocprim17ROCPRIM_400000_NS6detail31init_lookback_scan_state_kernelINS1_19lookback_scan_stateIfLb1ELb1EEENS1_16block_id_wrapperIjLb1EEEEEvT_jT0_jPNS7_10value_typeE
		.amdhsa_group_segment_fixed_size 0
		.amdhsa_private_segment_fixed_size 0
		.amdhsa_kernarg_size 296
		.amdhsa_user_sgpr_count 15
		.amdhsa_user_sgpr_dispatch_ptr 0
		.amdhsa_user_sgpr_queue_ptr 0
		.amdhsa_user_sgpr_kernarg_segment_ptr 1
		.amdhsa_user_sgpr_dispatch_id 0
		.amdhsa_user_sgpr_private_segment_size 0
		.amdhsa_wavefront_size32 1
		.amdhsa_uses_dynamic_stack 0
		.amdhsa_enable_private_segment 0
		.amdhsa_system_sgpr_workgroup_id_x 1
		.amdhsa_system_sgpr_workgroup_id_y 0
		.amdhsa_system_sgpr_workgroup_id_z 0
		.amdhsa_system_sgpr_workgroup_info 0
		.amdhsa_system_vgpr_workitem_id 0
		.amdhsa_next_free_vgpr 6
		.amdhsa_next_free_sgpr 16
		.amdhsa_reserve_vcc 1
		.amdhsa_float_round_mode_32 0
		.amdhsa_float_round_mode_16_64 0
		.amdhsa_float_denorm_mode_32 3
		.amdhsa_float_denorm_mode_16_64 3
		.amdhsa_dx10_clamp 1
		.amdhsa_ieee_mode 1
		.amdhsa_fp16_overflow 0
		.amdhsa_workgroup_processor_mode 1
		.amdhsa_memory_ordered 1
		.amdhsa_forward_progress 0
		.amdhsa_shared_vgpr_count 0
		.amdhsa_exception_fp_ieee_invalid_op 0
		.amdhsa_exception_fp_denorm_src 0
		.amdhsa_exception_fp_ieee_div_zero 0
		.amdhsa_exception_fp_ieee_overflow 0
		.amdhsa_exception_fp_ieee_underflow 0
		.amdhsa_exception_fp_ieee_inexact 0
		.amdhsa_exception_int_div_zero 0
	.end_amdhsa_kernel
	.section	.text._ZN7rocprim17ROCPRIM_400000_NS6detail31init_lookback_scan_state_kernelINS1_19lookback_scan_stateIfLb1ELb1EEENS1_16block_id_wrapperIjLb1EEEEEvT_jT0_jPNS7_10value_typeE,"axG",@progbits,_ZN7rocprim17ROCPRIM_400000_NS6detail31init_lookback_scan_state_kernelINS1_19lookback_scan_stateIfLb1ELb1EEENS1_16block_id_wrapperIjLb1EEEEEvT_jT0_jPNS7_10value_typeE,comdat
.Lfunc_end118:
	.size	_ZN7rocprim17ROCPRIM_400000_NS6detail31init_lookback_scan_state_kernelINS1_19lookback_scan_stateIfLb1ELb1EEENS1_16block_id_wrapperIjLb1EEEEEvT_jT0_jPNS7_10value_typeE, .Lfunc_end118-_ZN7rocprim17ROCPRIM_400000_NS6detail31init_lookback_scan_state_kernelINS1_19lookback_scan_stateIfLb1ELb1EEENS1_16block_id_wrapperIjLb1EEEEEvT_jT0_jPNS7_10value_typeE
                                        ; -- End function
	.section	.AMDGPU.csdata,"",@progbits
; Kernel info:
; codeLenInByte = 444
; NumSgprs: 18
; NumVgprs: 6
; ScratchSize: 0
; MemoryBound: 0
; FloatMode: 240
; IeeeMode: 1
; LDSByteSize: 0 bytes/workgroup (compile time only)
; SGPRBlocks: 2
; VGPRBlocks: 0
; NumSGPRsForWavesPerEU: 18
; NumVGPRsForWavesPerEU: 6
; Occupancy: 16
; WaveLimiterHint : 0
; COMPUTE_PGM_RSRC2:SCRATCH_EN: 0
; COMPUTE_PGM_RSRC2:USER_SGPR: 15
; COMPUTE_PGM_RSRC2:TRAP_HANDLER: 0
; COMPUTE_PGM_RSRC2:TGID_X_EN: 1
; COMPUTE_PGM_RSRC2:TGID_Y_EN: 0
; COMPUTE_PGM_RSRC2:TGID_Z_EN: 0
; COMPUTE_PGM_RSRC2:TIDIG_COMP_CNT: 0
	.section	.text._ZN7rocprim17ROCPRIM_400000_NS6detail17trampoline_kernelINS0_14default_configENS1_20scan_config_selectorIfEEZZNS1_9scan_implILNS1_25lookback_scan_determinismE0ELb0ELb0ES3_PKfPffZZZN2at6native31launch_logcumsumexp_cuda_kernelERKNSB_10TensorBaseESF_lENKUlvE_clEvENKUlvE0_clEvEUlffE_fEEDaPvRmT3_T4_T5_mT6_P12ihipStream_tbENKUlT_T0_E_clISt17integral_constantIbLb1EESW_EEDaSR_SS_EUlSR_E_NS1_11comp_targetILNS1_3genE0ELNS1_11target_archE4294967295ELNS1_3gpuE0ELNS1_3repE0EEENS1_30default_config_static_selectorELNS0_4arch9wavefront6targetE0EEEvT1_,"axG",@progbits,_ZN7rocprim17ROCPRIM_400000_NS6detail17trampoline_kernelINS0_14default_configENS1_20scan_config_selectorIfEEZZNS1_9scan_implILNS1_25lookback_scan_determinismE0ELb0ELb0ES3_PKfPffZZZN2at6native31launch_logcumsumexp_cuda_kernelERKNSB_10TensorBaseESF_lENKUlvE_clEvENKUlvE0_clEvEUlffE_fEEDaPvRmT3_T4_T5_mT6_P12ihipStream_tbENKUlT_T0_E_clISt17integral_constantIbLb1EESW_EEDaSR_SS_EUlSR_E_NS1_11comp_targetILNS1_3genE0ELNS1_11target_archE4294967295ELNS1_3gpuE0ELNS1_3repE0EEENS1_30default_config_static_selectorELNS0_4arch9wavefront6targetE0EEEvT1_,comdat
	.globl	_ZN7rocprim17ROCPRIM_400000_NS6detail17trampoline_kernelINS0_14default_configENS1_20scan_config_selectorIfEEZZNS1_9scan_implILNS1_25lookback_scan_determinismE0ELb0ELb0ES3_PKfPffZZZN2at6native31launch_logcumsumexp_cuda_kernelERKNSB_10TensorBaseESF_lENKUlvE_clEvENKUlvE0_clEvEUlffE_fEEDaPvRmT3_T4_T5_mT6_P12ihipStream_tbENKUlT_T0_E_clISt17integral_constantIbLb1EESW_EEDaSR_SS_EUlSR_E_NS1_11comp_targetILNS1_3genE0ELNS1_11target_archE4294967295ELNS1_3gpuE0ELNS1_3repE0EEENS1_30default_config_static_selectorELNS0_4arch9wavefront6targetE0EEEvT1_ ; -- Begin function _ZN7rocprim17ROCPRIM_400000_NS6detail17trampoline_kernelINS0_14default_configENS1_20scan_config_selectorIfEEZZNS1_9scan_implILNS1_25lookback_scan_determinismE0ELb0ELb0ES3_PKfPffZZZN2at6native31launch_logcumsumexp_cuda_kernelERKNSB_10TensorBaseESF_lENKUlvE_clEvENKUlvE0_clEvEUlffE_fEEDaPvRmT3_T4_T5_mT6_P12ihipStream_tbENKUlT_T0_E_clISt17integral_constantIbLb1EESW_EEDaSR_SS_EUlSR_E_NS1_11comp_targetILNS1_3genE0ELNS1_11target_archE4294967295ELNS1_3gpuE0ELNS1_3repE0EEENS1_30default_config_static_selectorELNS0_4arch9wavefront6targetE0EEEvT1_
	.p2align	8
	.type	_ZN7rocprim17ROCPRIM_400000_NS6detail17trampoline_kernelINS0_14default_configENS1_20scan_config_selectorIfEEZZNS1_9scan_implILNS1_25lookback_scan_determinismE0ELb0ELb0ES3_PKfPffZZZN2at6native31launch_logcumsumexp_cuda_kernelERKNSB_10TensorBaseESF_lENKUlvE_clEvENKUlvE0_clEvEUlffE_fEEDaPvRmT3_T4_T5_mT6_P12ihipStream_tbENKUlT_T0_E_clISt17integral_constantIbLb1EESW_EEDaSR_SS_EUlSR_E_NS1_11comp_targetILNS1_3genE0ELNS1_11target_archE4294967295ELNS1_3gpuE0ELNS1_3repE0EEENS1_30default_config_static_selectorELNS0_4arch9wavefront6targetE0EEEvT1_,@function
_ZN7rocprim17ROCPRIM_400000_NS6detail17trampoline_kernelINS0_14default_configENS1_20scan_config_selectorIfEEZZNS1_9scan_implILNS1_25lookback_scan_determinismE0ELb0ELb0ES3_PKfPffZZZN2at6native31launch_logcumsumexp_cuda_kernelERKNSB_10TensorBaseESF_lENKUlvE_clEvENKUlvE0_clEvEUlffE_fEEDaPvRmT3_T4_T5_mT6_P12ihipStream_tbENKUlT_T0_E_clISt17integral_constantIbLb1EESW_EEDaSR_SS_EUlSR_E_NS1_11comp_targetILNS1_3genE0ELNS1_11target_archE4294967295ELNS1_3gpuE0ELNS1_3repE0EEENS1_30default_config_static_selectorELNS0_4arch9wavefront6targetE0EEEvT1_: ; @_ZN7rocprim17ROCPRIM_400000_NS6detail17trampoline_kernelINS0_14default_configENS1_20scan_config_selectorIfEEZZNS1_9scan_implILNS1_25lookback_scan_determinismE0ELb0ELb0ES3_PKfPffZZZN2at6native31launch_logcumsumexp_cuda_kernelERKNSB_10TensorBaseESF_lENKUlvE_clEvENKUlvE0_clEvEUlffE_fEEDaPvRmT3_T4_T5_mT6_P12ihipStream_tbENKUlT_T0_E_clISt17integral_constantIbLb1EESW_EEDaSR_SS_EUlSR_E_NS1_11comp_targetILNS1_3genE0ELNS1_11target_archE4294967295ELNS1_3gpuE0ELNS1_3repE0EEENS1_30default_config_static_selectorELNS0_4arch9wavefront6targetE0EEEvT1_
; %bb.0:
	.section	.rodata,"a",@progbits
	.p2align	6, 0x0
	.amdhsa_kernel _ZN7rocprim17ROCPRIM_400000_NS6detail17trampoline_kernelINS0_14default_configENS1_20scan_config_selectorIfEEZZNS1_9scan_implILNS1_25lookback_scan_determinismE0ELb0ELb0ES3_PKfPffZZZN2at6native31launch_logcumsumexp_cuda_kernelERKNSB_10TensorBaseESF_lENKUlvE_clEvENKUlvE0_clEvEUlffE_fEEDaPvRmT3_T4_T5_mT6_P12ihipStream_tbENKUlT_T0_E_clISt17integral_constantIbLb1EESW_EEDaSR_SS_EUlSR_E_NS1_11comp_targetILNS1_3genE0ELNS1_11target_archE4294967295ELNS1_3gpuE0ELNS1_3repE0EEENS1_30default_config_static_selectorELNS0_4arch9wavefront6targetE0EEEvT1_
		.amdhsa_group_segment_fixed_size 0
		.amdhsa_private_segment_fixed_size 0
		.amdhsa_kernarg_size 96
		.amdhsa_user_sgpr_count 15
		.amdhsa_user_sgpr_dispatch_ptr 0
		.amdhsa_user_sgpr_queue_ptr 0
		.amdhsa_user_sgpr_kernarg_segment_ptr 1
		.amdhsa_user_sgpr_dispatch_id 0
		.amdhsa_user_sgpr_private_segment_size 0
		.amdhsa_wavefront_size32 1
		.amdhsa_uses_dynamic_stack 0
		.amdhsa_enable_private_segment 0
		.amdhsa_system_sgpr_workgroup_id_x 1
		.amdhsa_system_sgpr_workgroup_id_y 0
		.amdhsa_system_sgpr_workgroup_id_z 0
		.amdhsa_system_sgpr_workgroup_info 0
		.amdhsa_system_vgpr_workitem_id 0
		.amdhsa_next_free_vgpr 1
		.amdhsa_next_free_sgpr 1
		.amdhsa_reserve_vcc 0
		.amdhsa_float_round_mode_32 0
		.amdhsa_float_round_mode_16_64 0
		.amdhsa_float_denorm_mode_32 3
		.amdhsa_float_denorm_mode_16_64 3
		.amdhsa_dx10_clamp 1
		.amdhsa_ieee_mode 1
		.amdhsa_fp16_overflow 0
		.amdhsa_workgroup_processor_mode 1
		.amdhsa_memory_ordered 1
		.amdhsa_forward_progress 0
		.amdhsa_shared_vgpr_count 0
		.amdhsa_exception_fp_ieee_invalid_op 0
		.amdhsa_exception_fp_denorm_src 0
		.amdhsa_exception_fp_ieee_div_zero 0
		.amdhsa_exception_fp_ieee_overflow 0
		.amdhsa_exception_fp_ieee_underflow 0
		.amdhsa_exception_fp_ieee_inexact 0
		.amdhsa_exception_int_div_zero 0
	.end_amdhsa_kernel
	.section	.text._ZN7rocprim17ROCPRIM_400000_NS6detail17trampoline_kernelINS0_14default_configENS1_20scan_config_selectorIfEEZZNS1_9scan_implILNS1_25lookback_scan_determinismE0ELb0ELb0ES3_PKfPffZZZN2at6native31launch_logcumsumexp_cuda_kernelERKNSB_10TensorBaseESF_lENKUlvE_clEvENKUlvE0_clEvEUlffE_fEEDaPvRmT3_T4_T5_mT6_P12ihipStream_tbENKUlT_T0_E_clISt17integral_constantIbLb1EESW_EEDaSR_SS_EUlSR_E_NS1_11comp_targetILNS1_3genE0ELNS1_11target_archE4294967295ELNS1_3gpuE0ELNS1_3repE0EEENS1_30default_config_static_selectorELNS0_4arch9wavefront6targetE0EEEvT1_,"axG",@progbits,_ZN7rocprim17ROCPRIM_400000_NS6detail17trampoline_kernelINS0_14default_configENS1_20scan_config_selectorIfEEZZNS1_9scan_implILNS1_25lookback_scan_determinismE0ELb0ELb0ES3_PKfPffZZZN2at6native31launch_logcumsumexp_cuda_kernelERKNSB_10TensorBaseESF_lENKUlvE_clEvENKUlvE0_clEvEUlffE_fEEDaPvRmT3_T4_T5_mT6_P12ihipStream_tbENKUlT_T0_E_clISt17integral_constantIbLb1EESW_EEDaSR_SS_EUlSR_E_NS1_11comp_targetILNS1_3genE0ELNS1_11target_archE4294967295ELNS1_3gpuE0ELNS1_3repE0EEENS1_30default_config_static_selectorELNS0_4arch9wavefront6targetE0EEEvT1_,comdat
.Lfunc_end119:
	.size	_ZN7rocprim17ROCPRIM_400000_NS6detail17trampoline_kernelINS0_14default_configENS1_20scan_config_selectorIfEEZZNS1_9scan_implILNS1_25lookback_scan_determinismE0ELb0ELb0ES3_PKfPffZZZN2at6native31launch_logcumsumexp_cuda_kernelERKNSB_10TensorBaseESF_lENKUlvE_clEvENKUlvE0_clEvEUlffE_fEEDaPvRmT3_T4_T5_mT6_P12ihipStream_tbENKUlT_T0_E_clISt17integral_constantIbLb1EESW_EEDaSR_SS_EUlSR_E_NS1_11comp_targetILNS1_3genE0ELNS1_11target_archE4294967295ELNS1_3gpuE0ELNS1_3repE0EEENS1_30default_config_static_selectorELNS0_4arch9wavefront6targetE0EEEvT1_, .Lfunc_end119-_ZN7rocprim17ROCPRIM_400000_NS6detail17trampoline_kernelINS0_14default_configENS1_20scan_config_selectorIfEEZZNS1_9scan_implILNS1_25lookback_scan_determinismE0ELb0ELb0ES3_PKfPffZZZN2at6native31launch_logcumsumexp_cuda_kernelERKNSB_10TensorBaseESF_lENKUlvE_clEvENKUlvE0_clEvEUlffE_fEEDaPvRmT3_T4_T5_mT6_P12ihipStream_tbENKUlT_T0_E_clISt17integral_constantIbLb1EESW_EEDaSR_SS_EUlSR_E_NS1_11comp_targetILNS1_3genE0ELNS1_11target_archE4294967295ELNS1_3gpuE0ELNS1_3repE0EEENS1_30default_config_static_selectorELNS0_4arch9wavefront6targetE0EEEvT1_
                                        ; -- End function
	.section	.AMDGPU.csdata,"",@progbits
; Kernel info:
; codeLenInByte = 0
; NumSgprs: 0
; NumVgprs: 0
; ScratchSize: 0
; MemoryBound: 0
; FloatMode: 240
; IeeeMode: 1
; LDSByteSize: 0 bytes/workgroup (compile time only)
; SGPRBlocks: 0
; VGPRBlocks: 0
; NumSGPRsForWavesPerEU: 1
; NumVGPRsForWavesPerEU: 1
; Occupancy: 16
; WaveLimiterHint : 0
; COMPUTE_PGM_RSRC2:SCRATCH_EN: 0
; COMPUTE_PGM_RSRC2:USER_SGPR: 15
; COMPUTE_PGM_RSRC2:TRAP_HANDLER: 0
; COMPUTE_PGM_RSRC2:TGID_X_EN: 1
; COMPUTE_PGM_RSRC2:TGID_Y_EN: 0
; COMPUTE_PGM_RSRC2:TGID_Z_EN: 0
; COMPUTE_PGM_RSRC2:TIDIG_COMP_CNT: 0
	.section	.text._ZN7rocprim17ROCPRIM_400000_NS6detail17trampoline_kernelINS0_14default_configENS1_20scan_config_selectorIfEEZZNS1_9scan_implILNS1_25lookback_scan_determinismE0ELb0ELb0ES3_PKfPffZZZN2at6native31launch_logcumsumexp_cuda_kernelERKNSB_10TensorBaseESF_lENKUlvE_clEvENKUlvE0_clEvEUlffE_fEEDaPvRmT3_T4_T5_mT6_P12ihipStream_tbENKUlT_T0_E_clISt17integral_constantIbLb1EESW_EEDaSR_SS_EUlSR_E_NS1_11comp_targetILNS1_3genE5ELNS1_11target_archE942ELNS1_3gpuE9ELNS1_3repE0EEENS1_30default_config_static_selectorELNS0_4arch9wavefront6targetE0EEEvT1_,"axG",@progbits,_ZN7rocprim17ROCPRIM_400000_NS6detail17trampoline_kernelINS0_14default_configENS1_20scan_config_selectorIfEEZZNS1_9scan_implILNS1_25lookback_scan_determinismE0ELb0ELb0ES3_PKfPffZZZN2at6native31launch_logcumsumexp_cuda_kernelERKNSB_10TensorBaseESF_lENKUlvE_clEvENKUlvE0_clEvEUlffE_fEEDaPvRmT3_T4_T5_mT6_P12ihipStream_tbENKUlT_T0_E_clISt17integral_constantIbLb1EESW_EEDaSR_SS_EUlSR_E_NS1_11comp_targetILNS1_3genE5ELNS1_11target_archE942ELNS1_3gpuE9ELNS1_3repE0EEENS1_30default_config_static_selectorELNS0_4arch9wavefront6targetE0EEEvT1_,comdat
	.globl	_ZN7rocprim17ROCPRIM_400000_NS6detail17trampoline_kernelINS0_14default_configENS1_20scan_config_selectorIfEEZZNS1_9scan_implILNS1_25lookback_scan_determinismE0ELb0ELb0ES3_PKfPffZZZN2at6native31launch_logcumsumexp_cuda_kernelERKNSB_10TensorBaseESF_lENKUlvE_clEvENKUlvE0_clEvEUlffE_fEEDaPvRmT3_T4_T5_mT6_P12ihipStream_tbENKUlT_T0_E_clISt17integral_constantIbLb1EESW_EEDaSR_SS_EUlSR_E_NS1_11comp_targetILNS1_3genE5ELNS1_11target_archE942ELNS1_3gpuE9ELNS1_3repE0EEENS1_30default_config_static_selectorELNS0_4arch9wavefront6targetE0EEEvT1_ ; -- Begin function _ZN7rocprim17ROCPRIM_400000_NS6detail17trampoline_kernelINS0_14default_configENS1_20scan_config_selectorIfEEZZNS1_9scan_implILNS1_25lookback_scan_determinismE0ELb0ELb0ES3_PKfPffZZZN2at6native31launch_logcumsumexp_cuda_kernelERKNSB_10TensorBaseESF_lENKUlvE_clEvENKUlvE0_clEvEUlffE_fEEDaPvRmT3_T4_T5_mT6_P12ihipStream_tbENKUlT_T0_E_clISt17integral_constantIbLb1EESW_EEDaSR_SS_EUlSR_E_NS1_11comp_targetILNS1_3genE5ELNS1_11target_archE942ELNS1_3gpuE9ELNS1_3repE0EEENS1_30default_config_static_selectorELNS0_4arch9wavefront6targetE0EEEvT1_
	.p2align	8
	.type	_ZN7rocprim17ROCPRIM_400000_NS6detail17trampoline_kernelINS0_14default_configENS1_20scan_config_selectorIfEEZZNS1_9scan_implILNS1_25lookback_scan_determinismE0ELb0ELb0ES3_PKfPffZZZN2at6native31launch_logcumsumexp_cuda_kernelERKNSB_10TensorBaseESF_lENKUlvE_clEvENKUlvE0_clEvEUlffE_fEEDaPvRmT3_T4_T5_mT6_P12ihipStream_tbENKUlT_T0_E_clISt17integral_constantIbLb1EESW_EEDaSR_SS_EUlSR_E_NS1_11comp_targetILNS1_3genE5ELNS1_11target_archE942ELNS1_3gpuE9ELNS1_3repE0EEENS1_30default_config_static_selectorELNS0_4arch9wavefront6targetE0EEEvT1_,@function
_ZN7rocprim17ROCPRIM_400000_NS6detail17trampoline_kernelINS0_14default_configENS1_20scan_config_selectorIfEEZZNS1_9scan_implILNS1_25lookback_scan_determinismE0ELb0ELb0ES3_PKfPffZZZN2at6native31launch_logcumsumexp_cuda_kernelERKNSB_10TensorBaseESF_lENKUlvE_clEvENKUlvE0_clEvEUlffE_fEEDaPvRmT3_T4_T5_mT6_P12ihipStream_tbENKUlT_T0_E_clISt17integral_constantIbLb1EESW_EEDaSR_SS_EUlSR_E_NS1_11comp_targetILNS1_3genE5ELNS1_11target_archE942ELNS1_3gpuE9ELNS1_3repE0EEENS1_30default_config_static_selectorELNS0_4arch9wavefront6targetE0EEEvT1_: ; @_ZN7rocprim17ROCPRIM_400000_NS6detail17trampoline_kernelINS0_14default_configENS1_20scan_config_selectorIfEEZZNS1_9scan_implILNS1_25lookback_scan_determinismE0ELb0ELb0ES3_PKfPffZZZN2at6native31launch_logcumsumexp_cuda_kernelERKNSB_10TensorBaseESF_lENKUlvE_clEvENKUlvE0_clEvEUlffE_fEEDaPvRmT3_T4_T5_mT6_P12ihipStream_tbENKUlT_T0_E_clISt17integral_constantIbLb1EESW_EEDaSR_SS_EUlSR_E_NS1_11comp_targetILNS1_3genE5ELNS1_11target_archE942ELNS1_3gpuE9ELNS1_3repE0EEENS1_30default_config_static_selectorELNS0_4arch9wavefront6targetE0EEEvT1_
; %bb.0:
	.section	.rodata,"a",@progbits
	.p2align	6, 0x0
	.amdhsa_kernel _ZN7rocprim17ROCPRIM_400000_NS6detail17trampoline_kernelINS0_14default_configENS1_20scan_config_selectorIfEEZZNS1_9scan_implILNS1_25lookback_scan_determinismE0ELb0ELb0ES3_PKfPffZZZN2at6native31launch_logcumsumexp_cuda_kernelERKNSB_10TensorBaseESF_lENKUlvE_clEvENKUlvE0_clEvEUlffE_fEEDaPvRmT3_T4_T5_mT6_P12ihipStream_tbENKUlT_T0_E_clISt17integral_constantIbLb1EESW_EEDaSR_SS_EUlSR_E_NS1_11comp_targetILNS1_3genE5ELNS1_11target_archE942ELNS1_3gpuE9ELNS1_3repE0EEENS1_30default_config_static_selectorELNS0_4arch9wavefront6targetE0EEEvT1_
		.amdhsa_group_segment_fixed_size 0
		.amdhsa_private_segment_fixed_size 0
		.amdhsa_kernarg_size 96
		.amdhsa_user_sgpr_count 15
		.amdhsa_user_sgpr_dispatch_ptr 0
		.amdhsa_user_sgpr_queue_ptr 0
		.amdhsa_user_sgpr_kernarg_segment_ptr 1
		.amdhsa_user_sgpr_dispatch_id 0
		.amdhsa_user_sgpr_private_segment_size 0
		.amdhsa_wavefront_size32 1
		.amdhsa_uses_dynamic_stack 0
		.amdhsa_enable_private_segment 0
		.amdhsa_system_sgpr_workgroup_id_x 1
		.amdhsa_system_sgpr_workgroup_id_y 0
		.amdhsa_system_sgpr_workgroup_id_z 0
		.amdhsa_system_sgpr_workgroup_info 0
		.amdhsa_system_vgpr_workitem_id 0
		.amdhsa_next_free_vgpr 1
		.amdhsa_next_free_sgpr 1
		.amdhsa_reserve_vcc 0
		.amdhsa_float_round_mode_32 0
		.amdhsa_float_round_mode_16_64 0
		.amdhsa_float_denorm_mode_32 3
		.amdhsa_float_denorm_mode_16_64 3
		.amdhsa_dx10_clamp 1
		.amdhsa_ieee_mode 1
		.amdhsa_fp16_overflow 0
		.amdhsa_workgroup_processor_mode 1
		.amdhsa_memory_ordered 1
		.amdhsa_forward_progress 0
		.amdhsa_shared_vgpr_count 0
		.amdhsa_exception_fp_ieee_invalid_op 0
		.amdhsa_exception_fp_denorm_src 0
		.amdhsa_exception_fp_ieee_div_zero 0
		.amdhsa_exception_fp_ieee_overflow 0
		.amdhsa_exception_fp_ieee_underflow 0
		.amdhsa_exception_fp_ieee_inexact 0
		.amdhsa_exception_int_div_zero 0
	.end_amdhsa_kernel
	.section	.text._ZN7rocprim17ROCPRIM_400000_NS6detail17trampoline_kernelINS0_14default_configENS1_20scan_config_selectorIfEEZZNS1_9scan_implILNS1_25lookback_scan_determinismE0ELb0ELb0ES3_PKfPffZZZN2at6native31launch_logcumsumexp_cuda_kernelERKNSB_10TensorBaseESF_lENKUlvE_clEvENKUlvE0_clEvEUlffE_fEEDaPvRmT3_T4_T5_mT6_P12ihipStream_tbENKUlT_T0_E_clISt17integral_constantIbLb1EESW_EEDaSR_SS_EUlSR_E_NS1_11comp_targetILNS1_3genE5ELNS1_11target_archE942ELNS1_3gpuE9ELNS1_3repE0EEENS1_30default_config_static_selectorELNS0_4arch9wavefront6targetE0EEEvT1_,"axG",@progbits,_ZN7rocprim17ROCPRIM_400000_NS6detail17trampoline_kernelINS0_14default_configENS1_20scan_config_selectorIfEEZZNS1_9scan_implILNS1_25lookback_scan_determinismE0ELb0ELb0ES3_PKfPffZZZN2at6native31launch_logcumsumexp_cuda_kernelERKNSB_10TensorBaseESF_lENKUlvE_clEvENKUlvE0_clEvEUlffE_fEEDaPvRmT3_T4_T5_mT6_P12ihipStream_tbENKUlT_T0_E_clISt17integral_constantIbLb1EESW_EEDaSR_SS_EUlSR_E_NS1_11comp_targetILNS1_3genE5ELNS1_11target_archE942ELNS1_3gpuE9ELNS1_3repE0EEENS1_30default_config_static_selectorELNS0_4arch9wavefront6targetE0EEEvT1_,comdat
.Lfunc_end120:
	.size	_ZN7rocprim17ROCPRIM_400000_NS6detail17trampoline_kernelINS0_14default_configENS1_20scan_config_selectorIfEEZZNS1_9scan_implILNS1_25lookback_scan_determinismE0ELb0ELb0ES3_PKfPffZZZN2at6native31launch_logcumsumexp_cuda_kernelERKNSB_10TensorBaseESF_lENKUlvE_clEvENKUlvE0_clEvEUlffE_fEEDaPvRmT3_T4_T5_mT6_P12ihipStream_tbENKUlT_T0_E_clISt17integral_constantIbLb1EESW_EEDaSR_SS_EUlSR_E_NS1_11comp_targetILNS1_3genE5ELNS1_11target_archE942ELNS1_3gpuE9ELNS1_3repE0EEENS1_30default_config_static_selectorELNS0_4arch9wavefront6targetE0EEEvT1_, .Lfunc_end120-_ZN7rocprim17ROCPRIM_400000_NS6detail17trampoline_kernelINS0_14default_configENS1_20scan_config_selectorIfEEZZNS1_9scan_implILNS1_25lookback_scan_determinismE0ELb0ELb0ES3_PKfPffZZZN2at6native31launch_logcumsumexp_cuda_kernelERKNSB_10TensorBaseESF_lENKUlvE_clEvENKUlvE0_clEvEUlffE_fEEDaPvRmT3_T4_T5_mT6_P12ihipStream_tbENKUlT_T0_E_clISt17integral_constantIbLb1EESW_EEDaSR_SS_EUlSR_E_NS1_11comp_targetILNS1_3genE5ELNS1_11target_archE942ELNS1_3gpuE9ELNS1_3repE0EEENS1_30default_config_static_selectorELNS0_4arch9wavefront6targetE0EEEvT1_
                                        ; -- End function
	.section	.AMDGPU.csdata,"",@progbits
; Kernel info:
; codeLenInByte = 0
; NumSgprs: 0
; NumVgprs: 0
; ScratchSize: 0
; MemoryBound: 0
; FloatMode: 240
; IeeeMode: 1
; LDSByteSize: 0 bytes/workgroup (compile time only)
; SGPRBlocks: 0
; VGPRBlocks: 0
; NumSGPRsForWavesPerEU: 1
; NumVGPRsForWavesPerEU: 1
; Occupancy: 16
; WaveLimiterHint : 0
; COMPUTE_PGM_RSRC2:SCRATCH_EN: 0
; COMPUTE_PGM_RSRC2:USER_SGPR: 15
; COMPUTE_PGM_RSRC2:TRAP_HANDLER: 0
; COMPUTE_PGM_RSRC2:TGID_X_EN: 1
; COMPUTE_PGM_RSRC2:TGID_Y_EN: 0
; COMPUTE_PGM_RSRC2:TGID_Z_EN: 0
; COMPUTE_PGM_RSRC2:TIDIG_COMP_CNT: 0
	.section	.text._ZN7rocprim17ROCPRIM_400000_NS6detail17trampoline_kernelINS0_14default_configENS1_20scan_config_selectorIfEEZZNS1_9scan_implILNS1_25lookback_scan_determinismE0ELb0ELb0ES3_PKfPffZZZN2at6native31launch_logcumsumexp_cuda_kernelERKNSB_10TensorBaseESF_lENKUlvE_clEvENKUlvE0_clEvEUlffE_fEEDaPvRmT3_T4_T5_mT6_P12ihipStream_tbENKUlT_T0_E_clISt17integral_constantIbLb1EESW_EEDaSR_SS_EUlSR_E_NS1_11comp_targetILNS1_3genE4ELNS1_11target_archE910ELNS1_3gpuE8ELNS1_3repE0EEENS1_30default_config_static_selectorELNS0_4arch9wavefront6targetE0EEEvT1_,"axG",@progbits,_ZN7rocprim17ROCPRIM_400000_NS6detail17trampoline_kernelINS0_14default_configENS1_20scan_config_selectorIfEEZZNS1_9scan_implILNS1_25lookback_scan_determinismE0ELb0ELb0ES3_PKfPffZZZN2at6native31launch_logcumsumexp_cuda_kernelERKNSB_10TensorBaseESF_lENKUlvE_clEvENKUlvE0_clEvEUlffE_fEEDaPvRmT3_T4_T5_mT6_P12ihipStream_tbENKUlT_T0_E_clISt17integral_constantIbLb1EESW_EEDaSR_SS_EUlSR_E_NS1_11comp_targetILNS1_3genE4ELNS1_11target_archE910ELNS1_3gpuE8ELNS1_3repE0EEENS1_30default_config_static_selectorELNS0_4arch9wavefront6targetE0EEEvT1_,comdat
	.globl	_ZN7rocprim17ROCPRIM_400000_NS6detail17trampoline_kernelINS0_14default_configENS1_20scan_config_selectorIfEEZZNS1_9scan_implILNS1_25lookback_scan_determinismE0ELb0ELb0ES3_PKfPffZZZN2at6native31launch_logcumsumexp_cuda_kernelERKNSB_10TensorBaseESF_lENKUlvE_clEvENKUlvE0_clEvEUlffE_fEEDaPvRmT3_T4_T5_mT6_P12ihipStream_tbENKUlT_T0_E_clISt17integral_constantIbLb1EESW_EEDaSR_SS_EUlSR_E_NS1_11comp_targetILNS1_3genE4ELNS1_11target_archE910ELNS1_3gpuE8ELNS1_3repE0EEENS1_30default_config_static_selectorELNS0_4arch9wavefront6targetE0EEEvT1_ ; -- Begin function _ZN7rocprim17ROCPRIM_400000_NS6detail17trampoline_kernelINS0_14default_configENS1_20scan_config_selectorIfEEZZNS1_9scan_implILNS1_25lookback_scan_determinismE0ELb0ELb0ES3_PKfPffZZZN2at6native31launch_logcumsumexp_cuda_kernelERKNSB_10TensorBaseESF_lENKUlvE_clEvENKUlvE0_clEvEUlffE_fEEDaPvRmT3_T4_T5_mT6_P12ihipStream_tbENKUlT_T0_E_clISt17integral_constantIbLb1EESW_EEDaSR_SS_EUlSR_E_NS1_11comp_targetILNS1_3genE4ELNS1_11target_archE910ELNS1_3gpuE8ELNS1_3repE0EEENS1_30default_config_static_selectorELNS0_4arch9wavefront6targetE0EEEvT1_
	.p2align	8
	.type	_ZN7rocprim17ROCPRIM_400000_NS6detail17trampoline_kernelINS0_14default_configENS1_20scan_config_selectorIfEEZZNS1_9scan_implILNS1_25lookback_scan_determinismE0ELb0ELb0ES3_PKfPffZZZN2at6native31launch_logcumsumexp_cuda_kernelERKNSB_10TensorBaseESF_lENKUlvE_clEvENKUlvE0_clEvEUlffE_fEEDaPvRmT3_T4_T5_mT6_P12ihipStream_tbENKUlT_T0_E_clISt17integral_constantIbLb1EESW_EEDaSR_SS_EUlSR_E_NS1_11comp_targetILNS1_3genE4ELNS1_11target_archE910ELNS1_3gpuE8ELNS1_3repE0EEENS1_30default_config_static_selectorELNS0_4arch9wavefront6targetE0EEEvT1_,@function
_ZN7rocprim17ROCPRIM_400000_NS6detail17trampoline_kernelINS0_14default_configENS1_20scan_config_selectorIfEEZZNS1_9scan_implILNS1_25lookback_scan_determinismE0ELb0ELb0ES3_PKfPffZZZN2at6native31launch_logcumsumexp_cuda_kernelERKNSB_10TensorBaseESF_lENKUlvE_clEvENKUlvE0_clEvEUlffE_fEEDaPvRmT3_T4_T5_mT6_P12ihipStream_tbENKUlT_T0_E_clISt17integral_constantIbLb1EESW_EEDaSR_SS_EUlSR_E_NS1_11comp_targetILNS1_3genE4ELNS1_11target_archE910ELNS1_3gpuE8ELNS1_3repE0EEENS1_30default_config_static_selectorELNS0_4arch9wavefront6targetE0EEEvT1_: ; @_ZN7rocprim17ROCPRIM_400000_NS6detail17trampoline_kernelINS0_14default_configENS1_20scan_config_selectorIfEEZZNS1_9scan_implILNS1_25lookback_scan_determinismE0ELb0ELb0ES3_PKfPffZZZN2at6native31launch_logcumsumexp_cuda_kernelERKNSB_10TensorBaseESF_lENKUlvE_clEvENKUlvE0_clEvEUlffE_fEEDaPvRmT3_T4_T5_mT6_P12ihipStream_tbENKUlT_T0_E_clISt17integral_constantIbLb1EESW_EEDaSR_SS_EUlSR_E_NS1_11comp_targetILNS1_3genE4ELNS1_11target_archE910ELNS1_3gpuE8ELNS1_3repE0EEENS1_30default_config_static_selectorELNS0_4arch9wavefront6targetE0EEEvT1_
; %bb.0:
	.section	.rodata,"a",@progbits
	.p2align	6, 0x0
	.amdhsa_kernel _ZN7rocprim17ROCPRIM_400000_NS6detail17trampoline_kernelINS0_14default_configENS1_20scan_config_selectorIfEEZZNS1_9scan_implILNS1_25lookback_scan_determinismE0ELb0ELb0ES3_PKfPffZZZN2at6native31launch_logcumsumexp_cuda_kernelERKNSB_10TensorBaseESF_lENKUlvE_clEvENKUlvE0_clEvEUlffE_fEEDaPvRmT3_T4_T5_mT6_P12ihipStream_tbENKUlT_T0_E_clISt17integral_constantIbLb1EESW_EEDaSR_SS_EUlSR_E_NS1_11comp_targetILNS1_3genE4ELNS1_11target_archE910ELNS1_3gpuE8ELNS1_3repE0EEENS1_30default_config_static_selectorELNS0_4arch9wavefront6targetE0EEEvT1_
		.amdhsa_group_segment_fixed_size 0
		.amdhsa_private_segment_fixed_size 0
		.amdhsa_kernarg_size 96
		.amdhsa_user_sgpr_count 15
		.amdhsa_user_sgpr_dispatch_ptr 0
		.amdhsa_user_sgpr_queue_ptr 0
		.amdhsa_user_sgpr_kernarg_segment_ptr 1
		.amdhsa_user_sgpr_dispatch_id 0
		.amdhsa_user_sgpr_private_segment_size 0
		.amdhsa_wavefront_size32 1
		.amdhsa_uses_dynamic_stack 0
		.amdhsa_enable_private_segment 0
		.amdhsa_system_sgpr_workgroup_id_x 1
		.amdhsa_system_sgpr_workgroup_id_y 0
		.amdhsa_system_sgpr_workgroup_id_z 0
		.amdhsa_system_sgpr_workgroup_info 0
		.amdhsa_system_vgpr_workitem_id 0
		.amdhsa_next_free_vgpr 1
		.amdhsa_next_free_sgpr 1
		.amdhsa_reserve_vcc 0
		.amdhsa_float_round_mode_32 0
		.amdhsa_float_round_mode_16_64 0
		.amdhsa_float_denorm_mode_32 3
		.amdhsa_float_denorm_mode_16_64 3
		.amdhsa_dx10_clamp 1
		.amdhsa_ieee_mode 1
		.amdhsa_fp16_overflow 0
		.amdhsa_workgroup_processor_mode 1
		.amdhsa_memory_ordered 1
		.amdhsa_forward_progress 0
		.amdhsa_shared_vgpr_count 0
		.amdhsa_exception_fp_ieee_invalid_op 0
		.amdhsa_exception_fp_denorm_src 0
		.amdhsa_exception_fp_ieee_div_zero 0
		.amdhsa_exception_fp_ieee_overflow 0
		.amdhsa_exception_fp_ieee_underflow 0
		.amdhsa_exception_fp_ieee_inexact 0
		.amdhsa_exception_int_div_zero 0
	.end_amdhsa_kernel
	.section	.text._ZN7rocprim17ROCPRIM_400000_NS6detail17trampoline_kernelINS0_14default_configENS1_20scan_config_selectorIfEEZZNS1_9scan_implILNS1_25lookback_scan_determinismE0ELb0ELb0ES3_PKfPffZZZN2at6native31launch_logcumsumexp_cuda_kernelERKNSB_10TensorBaseESF_lENKUlvE_clEvENKUlvE0_clEvEUlffE_fEEDaPvRmT3_T4_T5_mT6_P12ihipStream_tbENKUlT_T0_E_clISt17integral_constantIbLb1EESW_EEDaSR_SS_EUlSR_E_NS1_11comp_targetILNS1_3genE4ELNS1_11target_archE910ELNS1_3gpuE8ELNS1_3repE0EEENS1_30default_config_static_selectorELNS0_4arch9wavefront6targetE0EEEvT1_,"axG",@progbits,_ZN7rocprim17ROCPRIM_400000_NS6detail17trampoline_kernelINS0_14default_configENS1_20scan_config_selectorIfEEZZNS1_9scan_implILNS1_25lookback_scan_determinismE0ELb0ELb0ES3_PKfPffZZZN2at6native31launch_logcumsumexp_cuda_kernelERKNSB_10TensorBaseESF_lENKUlvE_clEvENKUlvE0_clEvEUlffE_fEEDaPvRmT3_T4_T5_mT6_P12ihipStream_tbENKUlT_T0_E_clISt17integral_constantIbLb1EESW_EEDaSR_SS_EUlSR_E_NS1_11comp_targetILNS1_3genE4ELNS1_11target_archE910ELNS1_3gpuE8ELNS1_3repE0EEENS1_30default_config_static_selectorELNS0_4arch9wavefront6targetE0EEEvT1_,comdat
.Lfunc_end121:
	.size	_ZN7rocprim17ROCPRIM_400000_NS6detail17trampoline_kernelINS0_14default_configENS1_20scan_config_selectorIfEEZZNS1_9scan_implILNS1_25lookback_scan_determinismE0ELb0ELb0ES3_PKfPffZZZN2at6native31launch_logcumsumexp_cuda_kernelERKNSB_10TensorBaseESF_lENKUlvE_clEvENKUlvE0_clEvEUlffE_fEEDaPvRmT3_T4_T5_mT6_P12ihipStream_tbENKUlT_T0_E_clISt17integral_constantIbLb1EESW_EEDaSR_SS_EUlSR_E_NS1_11comp_targetILNS1_3genE4ELNS1_11target_archE910ELNS1_3gpuE8ELNS1_3repE0EEENS1_30default_config_static_selectorELNS0_4arch9wavefront6targetE0EEEvT1_, .Lfunc_end121-_ZN7rocprim17ROCPRIM_400000_NS6detail17trampoline_kernelINS0_14default_configENS1_20scan_config_selectorIfEEZZNS1_9scan_implILNS1_25lookback_scan_determinismE0ELb0ELb0ES3_PKfPffZZZN2at6native31launch_logcumsumexp_cuda_kernelERKNSB_10TensorBaseESF_lENKUlvE_clEvENKUlvE0_clEvEUlffE_fEEDaPvRmT3_T4_T5_mT6_P12ihipStream_tbENKUlT_T0_E_clISt17integral_constantIbLb1EESW_EEDaSR_SS_EUlSR_E_NS1_11comp_targetILNS1_3genE4ELNS1_11target_archE910ELNS1_3gpuE8ELNS1_3repE0EEENS1_30default_config_static_selectorELNS0_4arch9wavefront6targetE0EEEvT1_
                                        ; -- End function
	.section	.AMDGPU.csdata,"",@progbits
; Kernel info:
; codeLenInByte = 0
; NumSgprs: 0
; NumVgprs: 0
; ScratchSize: 0
; MemoryBound: 0
; FloatMode: 240
; IeeeMode: 1
; LDSByteSize: 0 bytes/workgroup (compile time only)
; SGPRBlocks: 0
; VGPRBlocks: 0
; NumSGPRsForWavesPerEU: 1
; NumVGPRsForWavesPerEU: 1
; Occupancy: 16
; WaveLimiterHint : 0
; COMPUTE_PGM_RSRC2:SCRATCH_EN: 0
; COMPUTE_PGM_RSRC2:USER_SGPR: 15
; COMPUTE_PGM_RSRC2:TRAP_HANDLER: 0
; COMPUTE_PGM_RSRC2:TGID_X_EN: 1
; COMPUTE_PGM_RSRC2:TGID_Y_EN: 0
; COMPUTE_PGM_RSRC2:TGID_Z_EN: 0
; COMPUTE_PGM_RSRC2:TIDIG_COMP_CNT: 0
	.section	.text._ZN7rocprim17ROCPRIM_400000_NS6detail17trampoline_kernelINS0_14default_configENS1_20scan_config_selectorIfEEZZNS1_9scan_implILNS1_25lookback_scan_determinismE0ELb0ELb0ES3_PKfPffZZZN2at6native31launch_logcumsumexp_cuda_kernelERKNSB_10TensorBaseESF_lENKUlvE_clEvENKUlvE0_clEvEUlffE_fEEDaPvRmT3_T4_T5_mT6_P12ihipStream_tbENKUlT_T0_E_clISt17integral_constantIbLb1EESW_EEDaSR_SS_EUlSR_E_NS1_11comp_targetILNS1_3genE3ELNS1_11target_archE908ELNS1_3gpuE7ELNS1_3repE0EEENS1_30default_config_static_selectorELNS0_4arch9wavefront6targetE0EEEvT1_,"axG",@progbits,_ZN7rocprim17ROCPRIM_400000_NS6detail17trampoline_kernelINS0_14default_configENS1_20scan_config_selectorIfEEZZNS1_9scan_implILNS1_25lookback_scan_determinismE0ELb0ELb0ES3_PKfPffZZZN2at6native31launch_logcumsumexp_cuda_kernelERKNSB_10TensorBaseESF_lENKUlvE_clEvENKUlvE0_clEvEUlffE_fEEDaPvRmT3_T4_T5_mT6_P12ihipStream_tbENKUlT_T0_E_clISt17integral_constantIbLb1EESW_EEDaSR_SS_EUlSR_E_NS1_11comp_targetILNS1_3genE3ELNS1_11target_archE908ELNS1_3gpuE7ELNS1_3repE0EEENS1_30default_config_static_selectorELNS0_4arch9wavefront6targetE0EEEvT1_,comdat
	.globl	_ZN7rocprim17ROCPRIM_400000_NS6detail17trampoline_kernelINS0_14default_configENS1_20scan_config_selectorIfEEZZNS1_9scan_implILNS1_25lookback_scan_determinismE0ELb0ELb0ES3_PKfPffZZZN2at6native31launch_logcumsumexp_cuda_kernelERKNSB_10TensorBaseESF_lENKUlvE_clEvENKUlvE0_clEvEUlffE_fEEDaPvRmT3_T4_T5_mT6_P12ihipStream_tbENKUlT_T0_E_clISt17integral_constantIbLb1EESW_EEDaSR_SS_EUlSR_E_NS1_11comp_targetILNS1_3genE3ELNS1_11target_archE908ELNS1_3gpuE7ELNS1_3repE0EEENS1_30default_config_static_selectorELNS0_4arch9wavefront6targetE0EEEvT1_ ; -- Begin function _ZN7rocprim17ROCPRIM_400000_NS6detail17trampoline_kernelINS0_14default_configENS1_20scan_config_selectorIfEEZZNS1_9scan_implILNS1_25lookback_scan_determinismE0ELb0ELb0ES3_PKfPffZZZN2at6native31launch_logcumsumexp_cuda_kernelERKNSB_10TensorBaseESF_lENKUlvE_clEvENKUlvE0_clEvEUlffE_fEEDaPvRmT3_T4_T5_mT6_P12ihipStream_tbENKUlT_T0_E_clISt17integral_constantIbLb1EESW_EEDaSR_SS_EUlSR_E_NS1_11comp_targetILNS1_3genE3ELNS1_11target_archE908ELNS1_3gpuE7ELNS1_3repE0EEENS1_30default_config_static_selectorELNS0_4arch9wavefront6targetE0EEEvT1_
	.p2align	8
	.type	_ZN7rocprim17ROCPRIM_400000_NS6detail17trampoline_kernelINS0_14default_configENS1_20scan_config_selectorIfEEZZNS1_9scan_implILNS1_25lookback_scan_determinismE0ELb0ELb0ES3_PKfPffZZZN2at6native31launch_logcumsumexp_cuda_kernelERKNSB_10TensorBaseESF_lENKUlvE_clEvENKUlvE0_clEvEUlffE_fEEDaPvRmT3_T4_T5_mT6_P12ihipStream_tbENKUlT_T0_E_clISt17integral_constantIbLb1EESW_EEDaSR_SS_EUlSR_E_NS1_11comp_targetILNS1_3genE3ELNS1_11target_archE908ELNS1_3gpuE7ELNS1_3repE0EEENS1_30default_config_static_selectorELNS0_4arch9wavefront6targetE0EEEvT1_,@function
_ZN7rocprim17ROCPRIM_400000_NS6detail17trampoline_kernelINS0_14default_configENS1_20scan_config_selectorIfEEZZNS1_9scan_implILNS1_25lookback_scan_determinismE0ELb0ELb0ES3_PKfPffZZZN2at6native31launch_logcumsumexp_cuda_kernelERKNSB_10TensorBaseESF_lENKUlvE_clEvENKUlvE0_clEvEUlffE_fEEDaPvRmT3_T4_T5_mT6_P12ihipStream_tbENKUlT_T0_E_clISt17integral_constantIbLb1EESW_EEDaSR_SS_EUlSR_E_NS1_11comp_targetILNS1_3genE3ELNS1_11target_archE908ELNS1_3gpuE7ELNS1_3repE0EEENS1_30default_config_static_selectorELNS0_4arch9wavefront6targetE0EEEvT1_: ; @_ZN7rocprim17ROCPRIM_400000_NS6detail17trampoline_kernelINS0_14default_configENS1_20scan_config_selectorIfEEZZNS1_9scan_implILNS1_25lookback_scan_determinismE0ELb0ELb0ES3_PKfPffZZZN2at6native31launch_logcumsumexp_cuda_kernelERKNSB_10TensorBaseESF_lENKUlvE_clEvENKUlvE0_clEvEUlffE_fEEDaPvRmT3_T4_T5_mT6_P12ihipStream_tbENKUlT_T0_E_clISt17integral_constantIbLb1EESW_EEDaSR_SS_EUlSR_E_NS1_11comp_targetILNS1_3genE3ELNS1_11target_archE908ELNS1_3gpuE7ELNS1_3repE0EEENS1_30default_config_static_selectorELNS0_4arch9wavefront6targetE0EEEvT1_
; %bb.0:
	.section	.rodata,"a",@progbits
	.p2align	6, 0x0
	.amdhsa_kernel _ZN7rocprim17ROCPRIM_400000_NS6detail17trampoline_kernelINS0_14default_configENS1_20scan_config_selectorIfEEZZNS1_9scan_implILNS1_25lookback_scan_determinismE0ELb0ELb0ES3_PKfPffZZZN2at6native31launch_logcumsumexp_cuda_kernelERKNSB_10TensorBaseESF_lENKUlvE_clEvENKUlvE0_clEvEUlffE_fEEDaPvRmT3_T4_T5_mT6_P12ihipStream_tbENKUlT_T0_E_clISt17integral_constantIbLb1EESW_EEDaSR_SS_EUlSR_E_NS1_11comp_targetILNS1_3genE3ELNS1_11target_archE908ELNS1_3gpuE7ELNS1_3repE0EEENS1_30default_config_static_selectorELNS0_4arch9wavefront6targetE0EEEvT1_
		.amdhsa_group_segment_fixed_size 0
		.amdhsa_private_segment_fixed_size 0
		.amdhsa_kernarg_size 96
		.amdhsa_user_sgpr_count 15
		.amdhsa_user_sgpr_dispatch_ptr 0
		.amdhsa_user_sgpr_queue_ptr 0
		.amdhsa_user_sgpr_kernarg_segment_ptr 1
		.amdhsa_user_sgpr_dispatch_id 0
		.amdhsa_user_sgpr_private_segment_size 0
		.amdhsa_wavefront_size32 1
		.amdhsa_uses_dynamic_stack 0
		.amdhsa_enable_private_segment 0
		.amdhsa_system_sgpr_workgroup_id_x 1
		.amdhsa_system_sgpr_workgroup_id_y 0
		.amdhsa_system_sgpr_workgroup_id_z 0
		.amdhsa_system_sgpr_workgroup_info 0
		.amdhsa_system_vgpr_workitem_id 0
		.amdhsa_next_free_vgpr 1
		.amdhsa_next_free_sgpr 1
		.amdhsa_reserve_vcc 0
		.amdhsa_float_round_mode_32 0
		.amdhsa_float_round_mode_16_64 0
		.amdhsa_float_denorm_mode_32 3
		.amdhsa_float_denorm_mode_16_64 3
		.amdhsa_dx10_clamp 1
		.amdhsa_ieee_mode 1
		.amdhsa_fp16_overflow 0
		.amdhsa_workgroup_processor_mode 1
		.amdhsa_memory_ordered 1
		.amdhsa_forward_progress 0
		.amdhsa_shared_vgpr_count 0
		.amdhsa_exception_fp_ieee_invalid_op 0
		.amdhsa_exception_fp_denorm_src 0
		.amdhsa_exception_fp_ieee_div_zero 0
		.amdhsa_exception_fp_ieee_overflow 0
		.amdhsa_exception_fp_ieee_underflow 0
		.amdhsa_exception_fp_ieee_inexact 0
		.amdhsa_exception_int_div_zero 0
	.end_amdhsa_kernel
	.section	.text._ZN7rocprim17ROCPRIM_400000_NS6detail17trampoline_kernelINS0_14default_configENS1_20scan_config_selectorIfEEZZNS1_9scan_implILNS1_25lookback_scan_determinismE0ELb0ELb0ES3_PKfPffZZZN2at6native31launch_logcumsumexp_cuda_kernelERKNSB_10TensorBaseESF_lENKUlvE_clEvENKUlvE0_clEvEUlffE_fEEDaPvRmT3_T4_T5_mT6_P12ihipStream_tbENKUlT_T0_E_clISt17integral_constantIbLb1EESW_EEDaSR_SS_EUlSR_E_NS1_11comp_targetILNS1_3genE3ELNS1_11target_archE908ELNS1_3gpuE7ELNS1_3repE0EEENS1_30default_config_static_selectorELNS0_4arch9wavefront6targetE0EEEvT1_,"axG",@progbits,_ZN7rocprim17ROCPRIM_400000_NS6detail17trampoline_kernelINS0_14default_configENS1_20scan_config_selectorIfEEZZNS1_9scan_implILNS1_25lookback_scan_determinismE0ELb0ELb0ES3_PKfPffZZZN2at6native31launch_logcumsumexp_cuda_kernelERKNSB_10TensorBaseESF_lENKUlvE_clEvENKUlvE0_clEvEUlffE_fEEDaPvRmT3_T4_T5_mT6_P12ihipStream_tbENKUlT_T0_E_clISt17integral_constantIbLb1EESW_EEDaSR_SS_EUlSR_E_NS1_11comp_targetILNS1_3genE3ELNS1_11target_archE908ELNS1_3gpuE7ELNS1_3repE0EEENS1_30default_config_static_selectorELNS0_4arch9wavefront6targetE0EEEvT1_,comdat
.Lfunc_end122:
	.size	_ZN7rocprim17ROCPRIM_400000_NS6detail17trampoline_kernelINS0_14default_configENS1_20scan_config_selectorIfEEZZNS1_9scan_implILNS1_25lookback_scan_determinismE0ELb0ELb0ES3_PKfPffZZZN2at6native31launch_logcumsumexp_cuda_kernelERKNSB_10TensorBaseESF_lENKUlvE_clEvENKUlvE0_clEvEUlffE_fEEDaPvRmT3_T4_T5_mT6_P12ihipStream_tbENKUlT_T0_E_clISt17integral_constantIbLb1EESW_EEDaSR_SS_EUlSR_E_NS1_11comp_targetILNS1_3genE3ELNS1_11target_archE908ELNS1_3gpuE7ELNS1_3repE0EEENS1_30default_config_static_selectorELNS0_4arch9wavefront6targetE0EEEvT1_, .Lfunc_end122-_ZN7rocprim17ROCPRIM_400000_NS6detail17trampoline_kernelINS0_14default_configENS1_20scan_config_selectorIfEEZZNS1_9scan_implILNS1_25lookback_scan_determinismE0ELb0ELb0ES3_PKfPffZZZN2at6native31launch_logcumsumexp_cuda_kernelERKNSB_10TensorBaseESF_lENKUlvE_clEvENKUlvE0_clEvEUlffE_fEEDaPvRmT3_T4_T5_mT6_P12ihipStream_tbENKUlT_T0_E_clISt17integral_constantIbLb1EESW_EEDaSR_SS_EUlSR_E_NS1_11comp_targetILNS1_3genE3ELNS1_11target_archE908ELNS1_3gpuE7ELNS1_3repE0EEENS1_30default_config_static_selectorELNS0_4arch9wavefront6targetE0EEEvT1_
                                        ; -- End function
	.section	.AMDGPU.csdata,"",@progbits
; Kernel info:
; codeLenInByte = 0
; NumSgprs: 0
; NumVgprs: 0
; ScratchSize: 0
; MemoryBound: 0
; FloatMode: 240
; IeeeMode: 1
; LDSByteSize: 0 bytes/workgroup (compile time only)
; SGPRBlocks: 0
; VGPRBlocks: 0
; NumSGPRsForWavesPerEU: 1
; NumVGPRsForWavesPerEU: 1
; Occupancy: 16
; WaveLimiterHint : 0
; COMPUTE_PGM_RSRC2:SCRATCH_EN: 0
; COMPUTE_PGM_RSRC2:USER_SGPR: 15
; COMPUTE_PGM_RSRC2:TRAP_HANDLER: 0
; COMPUTE_PGM_RSRC2:TGID_X_EN: 1
; COMPUTE_PGM_RSRC2:TGID_Y_EN: 0
; COMPUTE_PGM_RSRC2:TGID_Z_EN: 0
; COMPUTE_PGM_RSRC2:TIDIG_COMP_CNT: 0
	.section	.text._ZN7rocprim17ROCPRIM_400000_NS6detail17trampoline_kernelINS0_14default_configENS1_20scan_config_selectorIfEEZZNS1_9scan_implILNS1_25lookback_scan_determinismE0ELb0ELb0ES3_PKfPffZZZN2at6native31launch_logcumsumexp_cuda_kernelERKNSB_10TensorBaseESF_lENKUlvE_clEvENKUlvE0_clEvEUlffE_fEEDaPvRmT3_T4_T5_mT6_P12ihipStream_tbENKUlT_T0_E_clISt17integral_constantIbLb1EESW_EEDaSR_SS_EUlSR_E_NS1_11comp_targetILNS1_3genE2ELNS1_11target_archE906ELNS1_3gpuE6ELNS1_3repE0EEENS1_30default_config_static_selectorELNS0_4arch9wavefront6targetE0EEEvT1_,"axG",@progbits,_ZN7rocprim17ROCPRIM_400000_NS6detail17trampoline_kernelINS0_14default_configENS1_20scan_config_selectorIfEEZZNS1_9scan_implILNS1_25lookback_scan_determinismE0ELb0ELb0ES3_PKfPffZZZN2at6native31launch_logcumsumexp_cuda_kernelERKNSB_10TensorBaseESF_lENKUlvE_clEvENKUlvE0_clEvEUlffE_fEEDaPvRmT3_T4_T5_mT6_P12ihipStream_tbENKUlT_T0_E_clISt17integral_constantIbLb1EESW_EEDaSR_SS_EUlSR_E_NS1_11comp_targetILNS1_3genE2ELNS1_11target_archE906ELNS1_3gpuE6ELNS1_3repE0EEENS1_30default_config_static_selectorELNS0_4arch9wavefront6targetE0EEEvT1_,comdat
	.globl	_ZN7rocprim17ROCPRIM_400000_NS6detail17trampoline_kernelINS0_14default_configENS1_20scan_config_selectorIfEEZZNS1_9scan_implILNS1_25lookback_scan_determinismE0ELb0ELb0ES3_PKfPffZZZN2at6native31launch_logcumsumexp_cuda_kernelERKNSB_10TensorBaseESF_lENKUlvE_clEvENKUlvE0_clEvEUlffE_fEEDaPvRmT3_T4_T5_mT6_P12ihipStream_tbENKUlT_T0_E_clISt17integral_constantIbLb1EESW_EEDaSR_SS_EUlSR_E_NS1_11comp_targetILNS1_3genE2ELNS1_11target_archE906ELNS1_3gpuE6ELNS1_3repE0EEENS1_30default_config_static_selectorELNS0_4arch9wavefront6targetE0EEEvT1_ ; -- Begin function _ZN7rocprim17ROCPRIM_400000_NS6detail17trampoline_kernelINS0_14default_configENS1_20scan_config_selectorIfEEZZNS1_9scan_implILNS1_25lookback_scan_determinismE0ELb0ELb0ES3_PKfPffZZZN2at6native31launch_logcumsumexp_cuda_kernelERKNSB_10TensorBaseESF_lENKUlvE_clEvENKUlvE0_clEvEUlffE_fEEDaPvRmT3_T4_T5_mT6_P12ihipStream_tbENKUlT_T0_E_clISt17integral_constantIbLb1EESW_EEDaSR_SS_EUlSR_E_NS1_11comp_targetILNS1_3genE2ELNS1_11target_archE906ELNS1_3gpuE6ELNS1_3repE0EEENS1_30default_config_static_selectorELNS0_4arch9wavefront6targetE0EEEvT1_
	.p2align	8
	.type	_ZN7rocprim17ROCPRIM_400000_NS6detail17trampoline_kernelINS0_14default_configENS1_20scan_config_selectorIfEEZZNS1_9scan_implILNS1_25lookback_scan_determinismE0ELb0ELb0ES3_PKfPffZZZN2at6native31launch_logcumsumexp_cuda_kernelERKNSB_10TensorBaseESF_lENKUlvE_clEvENKUlvE0_clEvEUlffE_fEEDaPvRmT3_T4_T5_mT6_P12ihipStream_tbENKUlT_T0_E_clISt17integral_constantIbLb1EESW_EEDaSR_SS_EUlSR_E_NS1_11comp_targetILNS1_3genE2ELNS1_11target_archE906ELNS1_3gpuE6ELNS1_3repE0EEENS1_30default_config_static_selectorELNS0_4arch9wavefront6targetE0EEEvT1_,@function
_ZN7rocprim17ROCPRIM_400000_NS6detail17trampoline_kernelINS0_14default_configENS1_20scan_config_selectorIfEEZZNS1_9scan_implILNS1_25lookback_scan_determinismE0ELb0ELb0ES3_PKfPffZZZN2at6native31launch_logcumsumexp_cuda_kernelERKNSB_10TensorBaseESF_lENKUlvE_clEvENKUlvE0_clEvEUlffE_fEEDaPvRmT3_T4_T5_mT6_P12ihipStream_tbENKUlT_T0_E_clISt17integral_constantIbLb1EESW_EEDaSR_SS_EUlSR_E_NS1_11comp_targetILNS1_3genE2ELNS1_11target_archE906ELNS1_3gpuE6ELNS1_3repE0EEENS1_30default_config_static_selectorELNS0_4arch9wavefront6targetE0EEEvT1_: ; @_ZN7rocprim17ROCPRIM_400000_NS6detail17trampoline_kernelINS0_14default_configENS1_20scan_config_selectorIfEEZZNS1_9scan_implILNS1_25lookback_scan_determinismE0ELb0ELb0ES3_PKfPffZZZN2at6native31launch_logcumsumexp_cuda_kernelERKNSB_10TensorBaseESF_lENKUlvE_clEvENKUlvE0_clEvEUlffE_fEEDaPvRmT3_T4_T5_mT6_P12ihipStream_tbENKUlT_T0_E_clISt17integral_constantIbLb1EESW_EEDaSR_SS_EUlSR_E_NS1_11comp_targetILNS1_3genE2ELNS1_11target_archE906ELNS1_3gpuE6ELNS1_3repE0EEENS1_30default_config_static_selectorELNS0_4arch9wavefront6targetE0EEEvT1_
; %bb.0:
	.section	.rodata,"a",@progbits
	.p2align	6, 0x0
	.amdhsa_kernel _ZN7rocprim17ROCPRIM_400000_NS6detail17trampoline_kernelINS0_14default_configENS1_20scan_config_selectorIfEEZZNS1_9scan_implILNS1_25lookback_scan_determinismE0ELb0ELb0ES3_PKfPffZZZN2at6native31launch_logcumsumexp_cuda_kernelERKNSB_10TensorBaseESF_lENKUlvE_clEvENKUlvE0_clEvEUlffE_fEEDaPvRmT3_T4_T5_mT6_P12ihipStream_tbENKUlT_T0_E_clISt17integral_constantIbLb1EESW_EEDaSR_SS_EUlSR_E_NS1_11comp_targetILNS1_3genE2ELNS1_11target_archE906ELNS1_3gpuE6ELNS1_3repE0EEENS1_30default_config_static_selectorELNS0_4arch9wavefront6targetE0EEEvT1_
		.amdhsa_group_segment_fixed_size 0
		.amdhsa_private_segment_fixed_size 0
		.amdhsa_kernarg_size 96
		.amdhsa_user_sgpr_count 15
		.amdhsa_user_sgpr_dispatch_ptr 0
		.amdhsa_user_sgpr_queue_ptr 0
		.amdhsa_user_sgpr_kernarg_segment_ptr 1
		.amdhsa_user_sgpr_dispatch_id 0
		.amdhsa_user_sgpr_private_segment_size 0
		.amdhsa_wavefront_size32 1
		.amdhsa_uses_dynamic_stack 0
		.amdhsa_enable_private_segment 0
		.amdhsa_system_sgpr_workgroup_id_x 1
		.amdhsa_system_sgpr_workgroup_id_y 0
		.amdhsa_system_sgpr_workgroup_id_z 0
		.amdhsa_system_sgpr_workgroup_info 0
		.amdhsa_system_vgpr_workitem_id 0
		.amdhsa_next_free_vgpr 1
		.amdhsa_next_free_sgpr 1
		.amdhsa_reserve_vcc 0
		.amdhsa_float_round_mode_32 0
		.amdhsa_float_round_mode_16_64 0
		.amdhsa_float_denorm_mode_32 3
		.amdhsa_float_denorm_mode_16_64 3
		.amdhsa_dx10_clamp 1
		.amdhsa_ieee_mode 1
		.amdhsa_fp16_overflow 0
		.amdhsa_workgroup_processor_mode 1
		.amdhsa_memory_ordered 1
		.amdhsa_forward_progress 0
		.amdhsa_shared_vgpr_count 0
		.amdhsa_exception_fp_ieee_invalid_op 0
		.amdhsa_exception_fp_denorm_src 0
		.amdhsa_exception_fp_ieee_div_zero 0
		.amdhsa_exception_fp_ieee_overflow 0
		.amdhsa_exception_fp_ieee_underflow 0
		.amdhsa_exception_fp_ieee_inexact 0
		.amdhsa_exception_int_div_zero 0
	.end_amdhsa_kernel
	.section	.text._ZN7rocprim17ROCPRIM_400000_NS6detail17trampoline_kernelINS0_14default_configENS1_20scan_config_selectorIfEEZZNS1_9scan_implILNS1_25lookback_scan_determinismE0ELb0ELb0ES3_PKfPffZZZN2at6native31launch_logcumsumexp_cuda_kernelERKNSB_10TensorBaseESF_lENKUlvE_clEvENKUlvE0_clEvEUlffE_fEEDaPvRmT3_T4_T5_mT6_P12ihipStream_tbENKUlT_T0_E_clISt17integral_constantIbLb1EESW_EEDaSR_SS_EUlSR_E_NS1_11comp_targetILNS1_3genE2ELNS1_11target_archE906ELNS1_3gpuE6ELNS1_3repE0EEENS1_30default_config_static_selectorELNS0_4arch9wavefront6targetE0EEEvT1_,"axG",@progbits,_ZN7rocprim17ROCPRIM_400000_NS6detail17trampoline_kernelINS0_14default_configENS1_20scan_config_selectorIfEEZZNS1_9scan_implILNS1_25lookback_scan_determinismE0ELb0ELb0ES3_PKfPffZZZN2at6native31launch_logcumsumexp_cuda_kernelERKNSB_10TensorBaseESF_lENKUlvE_clEvENKUlvE0_clEvEUlffE_fEEDaPvRmT3_T4_T5_mT6_P12ihipStream_tbENKUlT_T0_E_clISt17integral_constantIbLb1EESW_EEDaSR_SS_EUlSR_E_NS1_11comp_targetILNS1_3genE2ELNS1_11target_archE906ELNS1_3gpuE6ELNS1_3repE0EEENS1_30default_config_static_selectorELNS0_4arch9wavefront6targetE0EEEvT1_,comdat
.Lfunc_end123:
	.size	_ZN7rocprim17ROCPRIM_400000_NS6detail17trampoline_kernelINS0_14default_configENS1_20scan_config_selectorIfEEZZNS1_9scan_implILNS1_25lookback_scan_determinismE0ELb0ELb0ES3_PKfPffZZZN2at6native31launch_logcumsumexp_cuda_kernelERKNSB_10TensorBaseESF_lENKUlvE_clEvENKUlvE0_clEvEUlffE_fEEDaPvRmT3_T4_T5_mT6_P12ihipStream_tbENKUlT_T0_E_clISt17integral_constantIbLb1EESW_EEDaSR_SS_EUlSR_E_NS1_11comp_targetILNS1_3genE2ELNS1_11target_archE906ELNS1_3gpuE6ELNS1_3repE0EEENS1_30default_config_static_selectorELNS0_4arch9wavefront6targetE0EEEvT1_, .Lfunc_end123-_ZN7rocprim17ROCPRIM_400000_NS6detail17trampoline_kernelINS0_14default_configENS1_20scan_config_selectorIfEEZZNS1_9scan_implILNS1_25lookback_scan_determinismE0ELb0ELb0ES3_PKfPffZZZN2at6native31launch_logcumsumexp_cuda_kernelERKNSB_10TensorBaseESF_lENKUlvE_clEvENKUlvE0_clEvEUlffE_fEEDaPvRmT3_T4_T5_mT6_P12ihipStream_tbENKUlT_T0_E_clISt17integral_constantIbLb1EESW_EEDaSR_SS_EUlSR_E_NS1_11comp_targetILNS1_3genE2ELNS1_11target_archE906ELNS1_3gpuE6ELNS1_3repE0EEENS1_30default_config_static_selectorELNS0_4arch9wavefront6targetE0EEEvT1_
                                        ; -- End function
	.section	.AMDGPU.csdata,"",@progbits
; Kernel info:
; codeLenInByte = 0
; NumSgprs: 0
; NumVgprs: 0
; ScratchSize: 0
; MemoryBound: 0
; FloatMode: 240
; IeeeMode: 1
; LDSByteSize: 0 bytes/workgroup (compile time only)
; SGPRBlocks: 0
; VGPRBlocks: 0
; NumSGPRsForWavesPerEU: 1
; NumVGPRsForWavesPerEU: 1
; Occupancy: 16
; WaveLimiterHint : 0
; COMPUTE_PGM_RSRC2:SCRATCH_EN: 0
; COMPUTE_PGM_RSRC2:USER_SGPR: 15
; COMPUTE_PGM_RSRC2:TRAP_HANDLER: 0
; COMPUTE_PGM_RSRC2:TGID_X_EN: 1
; COMPUTE_PGM_RSRC2:TGID_Y_EN: 0
; COMPUTE_PGM_RSRC2:TGID_Z_EN: 0
; COMPUTE_PGM_RSRC2:TIDIG_COMP_CNT: 0
	.section	.text._ZN7rocprim17ROCPRIM_400000_NS6detail17trampoline_kernelINS0_14default_configENS1_20scan_config_selectorIfEEZZNS1_9scan_implILNS1_25lookback_scan_determinismE0ELb0ELb0ES3_PKfPffZZZN2at6native31launch_logcumsumexp_cuda_kernelERKNSB_10TensorBaseESF_lENKUlvE_clEvENKUlvE0_clEvEUlffE_fEEDaPvRmT3_T4_T5_mT6_P12ihipStream_tbENKUlT_T0_E_clISt17integral_constantIbLb1EESW_EEDaSR_SS_EUlSR_E_NS1_11comp_targetILNS1_3genE10ELNS1_11target_archE1201ELNS1_3gpuE5ELNS1_3repE0EEENS1_30default_config_static_selectorELNS0_4arch9wavefront6targetE0EEEvT1_,"axG",@progbits,_ZN7rocprim17ROCPRIM_400000_NS6detail17trampoline_kernelINS0_14default_configENS1_20scan_config_selectorIfEEZZNS1_9scan_implILNS1_25lookback_scan_determinismE0ELb0ELb0ES3_PKfPffZZZN2at6native31launch_logcumsumexp_cuda_kernelERKNSB_10TensorBaseESF_lENKUlvE_clEvENKUlvE0_clEvEUlffE_fEEDaPvRmT3_T4_T5_mT6_P12ihipStream_tbENKUlT_T0_E_clISt17integral_constantIbLb1EESW_EEDaSR_SS_EUlSR_E_NS1_11comp_targetILNS1_3genE10ELNS1_11target_archE1201ELNS1_3gpuE5ELNS1_3repE0EEENS1_30default_config_static_selectorELNS0_4arch9wavefront6targetE0EEEvT1_,comdat
	.globl	_ZN7rocprim17ROCPRIM_400000_NS6detail17trampoline_kernelINS0_14default_configENS1_20scan_config_selectorIfEEZZNS1_9scan_implILNS1_25lookback_scan_determinismE0ELb0ELb0ES3_PKfPffZZZN2at6native31launch_logcumsumexp_cuda_kernelERKNSB_10TensorBaseESF_lENKUlvE_clEvENKUlvE0_clEvEUlffE_fEEDaPvRmT3_T4_T5_mT6_P12ihipStream_tbENKUlT_T0_E_clISt17integral_constantIbLb1EESW_EEDaSR_SS_EUlSR_E_NS1_11comp_targetILNS1_3genE10ELNS1_11target_archE1201ELNS1_3gpuE5ELNS1_3repE0EEENS1_30default_config_static_selectorELNS0_4arch9wavefront6targetE0EEEvT1_ ; -- Begin function _ZN7rocprim17ROCPRIM_400000_NS6detail17trampoline_kernelINS0_14default_configENS1_20scan_config_selectorIfEEZZNS1_9scan_implILNS1_25lookback_scan_determinismE0ELb0ELb0ES3_PKfPffZZZN2at6native31launch_logcumsumexp_cuda_kernelERKNSB_10TensorBaseESF_lENKUlvE_clEvENKUlvE0_clEvEUlffE_fEEDaPvRmT3_T4_T5_mT6_P12ihipStream_tbENKUlT_T0_E_clISt17integral_constantIbLb1EESW_EEDaSR_SS_EUlSR_E_NS1_11comp_targetILNS1_3genE10ELNS1_11target_archE1201ELNS1_3gpuE5ELNS1_3repE0EEENS1_30default_config_static_selectorELNS0_4arch9wavefront6targetE0EEEvT1_
	.p2align	8
	.type	_ZN7rocprim17ROCPRIM_400000_NS6detail17trampoline_kernelINS0_14default_configENS1_20scan_config_selectorIfEEZZNS1_9scan_implILNS1_25lookback_scan_determinismE0ELb0ELb0ES3_PKfPffZZZN2at6native31launch_logcumsumexp_cuda_kernelERKNSB_10TensorBaseESF_lENKUlvE_clEvENKUlvE0_clEvEUlffE_fEEDaPvRmT3_T4_T5_mT6_P12ihipStream_tbENKUlT_T0_E_clISt17integral_constantIbLb1EESW_EEDaSR_SS_EUlSR_E_NS1_11comp_targetILNS1_3genE10ELNS1_11target_archE1201ELNS1_3gpuE5ELNS1_3repE0EEENS1_30default_config_static_selectorELNS0_4arch9wavefront6targetE0EEEvT1_,@function
_ZN7rocprim17ROCPRIM_400000_NS6detail17trampoline_kernelINS0_14default_configENS1_20scan_config_selectorIfEEZZNS1_9scan_implILNS1_25lookback_scan_determinismE0ELb0ELb0ES3_PKfPffZZZN2at6native31launch_logcumsumexp_cuda_kernelERKNSB_10TensorBaseESF_lENKUlvE_clEvENKUlvE0_clEvEUlffE_fEEDaPvRmT3_T4_T5_mT6_P12ihipStream_tbENKUlT_T0_E_clISt17integral_constantIbLb1EESW_EEDaSR_SS_EUlSR_E_NS1_11comp_targetILNS1_3genE10ELNS1_11target_archE1201ELNS1_3gpuE5ELNS1_3repE0EEENS1_30default_config_static_selectorELNS0_4arch9wavefront6targetE0EEEvT1_: ; @_ZN7rocprim17ROCPRIM_400000_NS6detail17trampoline_kernelINS0_14default_configENS1_20scan_config_selectorIfEEZZNS1_9scan_implILNS1_25lookback_scan_determinismE0ELb0ELb0ES3_PKfPffZZZN2at6native31launch_logcumsumexp_cuda_kernelERKNSB_10TensorBaseESF_lENKUlvE_clEvENKUlvE0_clEvEUlffE_fEEDaPvRmT3_T4_T5_mT6_P12ihipStream_tbENKUlT_T0_E_clISt17integral_constantIbLb1EESW_EEDaSR_SS_EUlSR_E_NS1_11comp_targetILNS1_3genE10ELNS1_11target_archE1201ELNS1_3gpuE5ELNS1_3repE0EEENS1_30default_config_static_selectorELNS0_4arch9wavefront6targetE0EEEvT1_
; %bb.0:
	.section	.rodata,"a",@progbits
	.p2align	6, 0x0
	.amdhsa_kernel _ZN7rocprim17ROCPRIM_400000_NS6detail17trampoline_kernelINS0_14default_configENS1_20scan_config_selectorIfEEZZNS1_9scan_implILNS1_25lookback_scan_determinismE0ELb0ELb0ES3_PKfPffZZZN2at6native31launch_logcumsumexp_cuda_kernelERKNSB_10TensorBaseESF_lENKUlvE_clEvENKUlvE0_clEvEUlffE_fEEDaPvRmT3_T4_T5_mT6_P12ihipStream_tbENKUlT_T0_E_clISt17integral_constantIbLb1EESW_EEDaSR_SS_EUlSR_E_NS1_11comp_targetILNS1_3genE10ELNS1_11target_archE1201ELNS1_3gpuE5ELNS1_3repE0EEENS1_30default_config_static_selectorELNS0_4arch9wavefront6targetE0EEEvT1_
		.amdhsa_group_segment_fixed_size 0
		.amdhsa_private_segment_fixed_size 0
		.amdhsa_kernarg_size 96
		.amdhsa_user_sgpr_count 15
		.amdhsa_user_sgpr_dispatch_ptr 0
		.amdhsa_user_sgpr_queue_ptr 0
		.amdhsa_user_sgpr_kernarg_segment_ptr 1
		.amdhsa_user_sgpr_dispatch_id 0
		.amdhsa_user_sgpr_private_segment_size 0
		.amdhsa_wavefront_size32 1
		.amdhsa_uses_dynamic_stack 0
		.amdhsa_enable_private_segment 0
		.amdhsa_system_sgpr_workgroup_id_x 1
		.amdhsa_system_sgpr_workgroup_id_y 0
		.amdhsa_system_sgpr_workgroup_id_z 0
		.amdhsa_system_sgpr_workgroup_info 0
		.amdhsa_system_vgpr_workitem_id 0
		.amdhsa_next_free_vgpr 1
		.amdhsa_next_free_sgpr 1
		.amdhsa_reserve_vcc 0
		.amdhsa_float_round_mode_32 0
		.amdhsa_float_round_mode_16_64 0
		.amdhsa_float_denorm_mode_32 3
		.amdhsa_float_denorm_mode_16_64 3
		.amdhsa_dx10_clamp 1
		.amdhsa_ieee_mode 1
		.amdhsa_fp16_overflow 0
		.amdhsa_workgroup_processor_mode 1
		.amdhsa_memory_ordered 1
		.amdhsa_forward_progress 0
		.amdhsa_shared_vgpr_count 0
		.amdhsa_exception_fp_ieee_invalid_op 0
		.amdhsa_exception_fp_denorm_src 0
		.amdhsa_exception_fp_ieee_div_zero 0
		.amdhsa_exception_fp_ieee_overflow 0
		.amdhsa_exception_fp_ieee_underflow 0
		.amdhsa_exception_fp_ieee_inexact 0
		.amdhsa_exception_int_div_zero 0
	.end_amdhsa_kernel
	.section	.text._ZN7rocprim17ROCPRIM_400000_NS6detail17trampoline_kernelINS0_14default_configENS1_20scan_config_selectorIfEEZZNS1_9scan_implILNS1_25lookback_scan_determinismE0ELb0ELb0ES3_PKfPffZZZN2at6native31launch_logcumsumexp_cuda_kernelERKNSB_10TensorBaseESF_lENKUlvE_clEvENKUlvE0_clEvEUlffE_fEEDaPvRmT3_T4_T5_mT6_P12ihipStream_tbENKUlT_T0_E_clISt17integral_constantIbLb1EESW_EEDaSR_SS_EUlSR_E_NS1_11comp_targetILNS1_3genE10ELNS1_11target_archE1201ELNS1_3gpuE5ELNS1_3repE0EEENS1_30default_config_static_selectorELNS0_4arch9wavefront6targetE0EEEvT1_,"axG",@progbits,_ZN7rocprim17ROCPRIM_400000_NS6detail17trampoline_kernelINS0_14default_configENS1_20scan_config_selectorIfEEZZNS1_9scan_implILNS1_25lookback_scan_determinismE0ELb0ELb0ES3_PKfPffZZZN2at6native31launch_logcumsumexp_cuda_kernelERKNSB_10TensorBaseESF_lENKUlvE_clEvENKUlvE0_clEvEUlffE_fEEDaPvRmT3_T4_T5_mT6_P12ihipStream_tbENKUlT_T0_E_clISt17integral_constantIbLb1EESW_EEDaSR_SS_EUlSR_E_NS1_11comp_targetILNS1_3genE10ELNS1_11target_archE1201ELNS1_3gpuE5ELNS1_3repE0EEENS1_30default_config_static_selectorELNS0_4arch9wavefront6targetE0EEEvT1_,comdat
.Lfunc_end124:
	.size	_ZN7rocprim17ROCPRIM_400000_NS6detail17trampoline_kernelINS0_14default_configENS1_20scan_config_selectorIfEEZZNS1_9scan_implILNS1_25lookback_scan_determinismE0ELb0ELb0ES3_PKfPffZZZN2at6native31launch_logcumsumexp_cuda_kernelERKNSB_10TensorBaseESF_lENKUlvE_clEvENKUlvE0_clEvEUlffE_fEEDaPvRmT3_T4_T5_mT6_P12ihipStream_tbENKUlT_T0_E_clISt17integral_constantIbLb1EESW_EEDaSR_SS_EUlSR_E_NS1_11comp_targetILNS1_3genE10ELNS1_11target_archE1201ELNS1_3gpuE5ELNS1_3repE0EEENS1_30default_config_static_selectorELNS0_4arch9wavefront6targetE0EEEvT1_, .Lfunc_end124-_ZN7rocprim17ROCPRIM_400000_NS6detail17trampoline_kernelINS0_14default_configENS1_20scan_config_selectorIfEEZZNS1_9scan_implILNS1_25lookback_scan_determinismE0ELb0ELb0ES3_PKfPffZZZN2at6native31launch_logcumsumexp_cuda_kernelERKNSB_10TensorBaseESF_lENKUlvE_clEvENKUlvE0_clEvEUlffE_fEEDaPvRmT3_T4_T5_mT6_P12ihipStream_tbENKUlT_T0_E_clISt17integral_constantIbLb1EESW_EEDaSR_SS_EUlSR_E_NS1_11comp_targetILNS1_3genE10ELNS1_11target_archE1201ELNS1_3gpuE5ELNS1_3repE0EEENS1_30default_config_static_selectorELNS0_4arch9wavefront6targetE0EEEvT1_
                                        ; -- End function
	.section	.AMDGPU.csdata,"",@progbits
; Kernel info:
; codeLenInByte = 0
; NumSgprs: 0
; NumVgprs: 0
; ScratchSize: 0
; MemoryBound: 0
; FloatMode: 240
; IeeeMode: 1
; LDSByteSize: 0 bytes/workgroup (compile time only)
; SGPRBlocks: 0
; VGPRBlocks: 0
; NumSGPRsForWavesPerEU: 1
; NumVGPRsForWavesPerEU: 1
; Occupancy: 16
; WaveLimiterHint : 0
; COMPUTE_PGM_RSRC2:SCRATCH_EN: 0
; COMPUTE_PGM_RSRC2:USER_SGPR: 15
; COMPUTE_PGM_RSRC2:TRAP_HANDLER: 0
; COMPUTE_PGM_RSRC2:TGID_X_EN: 1
; COMPUTE_PGM_RSRC2:TGID_Y_EN: 0
; COMPUTE_PGM_RSRC2:TGID_Z_EN: 0
; COMPUTE_PGM_RSRC2:TIDIG_COMP_CNT: 0
	.section	.text._ZN7rocprim17ROCPRIM_400000_NS6detail17trampoline_kernelINS0_14default_configENS1_20scan_config_selectorIfEEZZNS1_9scan_implILNS1_25lookback_scan_determinismE0ELb0ELb0ES3_PKfPffZZZN2at6native31launch_logcumsumexp_cuda_kernelERKNSB_10TensorBaseESF_lENKUlvE_clEvENKUlvE0_clEvEUlffE_fEEDaPvRmT3_T4_T5_mT6_P12ihipStream_tbENKUlT_T0_E_clISt17integral_constantIbLb1EESW_EEDaSR_SS_EUlSR_E_NS1_11comp_targetILNS1_3genE10ELNS1_11target_archE1200ELNS1_3gpuE4ELNS1_3repE0EEENS1_30default_config_static_selectorELNS0_4arch9wavefront6targetE0EEEvT1_,"axG",@progbits,_ZN7rocprim17ROCPRIM_400000_NS6detail17trampoline_kernelINS0_14default_configENS1_20scan_config_selectorIfEEZZNS1_9scan_implILNS1_25lookback_scan_determinismE0ELb0ELb0ES3_PKfPffZZZN2at6native31launch_logcumsumexp_cuda_kernelERKNSB_10TensorBaseESF_lENKUlvE_clEvENKUlvE0_clEvEUlffE_fEEDaPvRmT3_T4_T5_mT6_P12ihipStream_tbENKUlT_T0_E_clISt17integral_constantIbLb1EESW_EEDaSR_SS_EUlSR_E_NS1_11comp_targetILNS1_3genE10ELNS1_11target_archE1200ELNS1_3gpuE4ELNS1_3repE0EEENS1_30default_config_static_selectorELNS0_4arch9wavefront6targetE0EEEvT1_,comdat
	.globl	_ZN7rocprim17ROCPRIM_400000_NS6detail17trampoline_kernelINS0_14default_configENS1_20scan_config_selectorIfEEZZNS1_9scan_implILNS1_25lookback_scan_determinismE0ELb0ELb0ES3_PKfPffZZZN2at6native31launch_logcumsumexp_cuda_kernelERKNSB_10TensorBaseESF_lENKUlvE_clEvENKUlvE0_clEvEUlffE_fEEDaPvRmT3_T4_T5_mT6_P12ihipStream_tbENKUlT_T0_E_clISt17integral_constantIbLb1EESW_EEDaSR_SS_EUlSR_E_NS1_11comp_targetILNS1_3genE10ELNS1_11target_archE1200ELNS1_3gpuE4ELNS1_3repE0EEENS1_30default_config_static_selectorELNS0_4arch9wavefront6targetE0EEEvT1_ ; -- Begin function _ZN7rocprim17ROCPRIM_400000_NS6detail17trampoline_kernelINS0_14default_configENS1_20scan_config_selectorIfEEZZNS1_9scan_implILNS1_25lookback_scan_determinismE0ELb0ELb0ES3_PKfPffZZZN2at6native31launch_logcumsumexp_cuda_kernelERKNSB_10TensorBaseESF_lENKUlvE_clEvENKUlvE0_clEvEUlffE_fEEDaPvRmT3_T4_T5_mT6_P12ihipStream_tbENKUlT_T0_E_clISt17integral_constantIbLb1EESW_EEDaSR_SS_EUlSR_E_NS1_11comp_targetILNS1_3genE10ELNS1_11target_archE1200ELNS1_3gpuE4ELNS1_3repE0EEENS1_30default_config_static_selectorELNS0_4arch9wavefront6targetE0EEEvT1_
	.p2align	8
	.type	_ZN7rocprim17ROCPRIM_400000_NS6detail17trampoline_kernelINS0_14default_configENS1_20scan_config_selectorIfEEZZNS1_9scan_implILNS1_25lookback_scan_determinismE0ELb0ELb0ES3_PKfPffZZZN2at6native31launch_logcumsumexp_cuda_kernelERKNSB_10TensorBaseESF_lENKUlvE_clEvENKUlvE0_clEvEUlffE_fEEDaPvRmT3_T4_T5_mT6_P12ihipStream_tbENKUlT_T0_E_clISt17integral_constantIbLb1EESW_EEDaSR_SS_EUlSR_E_NS1_11comp_targetILNS1_3genE10ELNS1_11target_archE1200ELNS1_3gpuE4ELNS1_3repE0EEENS1_30default_config_static_selectorELNS0_4arch9wavefront6targetE0EEEvT1_,@function
_ZN7rocprim17ROCPRIM_400000_NS6detail17trampoline_kernelINS0_14default_configENS1_20scan_config_selectorIfEEZZNS1_9scan_implILNS1_25lookback_scan_determinismE0ELb0ELb0ES3_PKfPffZZZN2at6native31launch_logcumsumexp_cuda_kernelERKNSB_10TensorBaseESF_lENKUlvE_clEvENKUlvE0_clEvEUlffE_fEEDaPvRmT3_T4_T5_mT6_P12ihipStream_tbENKUlT_T0_E_clISt17integral_constantIbLb1EESW_EEDaSR_SS_EUlSR_E_NS1_11comp_targetILNS1_3genE10ELNS1_11target_archE1200ELNS1_3gpuE4ELNS1_3repE0EEENS1_30default_config_static_selectorELNS0_4arch9wavefront6targetE0EEEvT1_: ; @_ZN7rocprim17ROCPRIM_400000_NS6detail17trampoline_kernelINS0_14default_configENS1_20scan_config_selectorIfEEZZNS1_9scan_implILNS1_25lookback_scan_determinismE0ELb0ELb0ES3_PKfPffZZZN2at6native31launch_logcumsumexp_cuda_kernelERKNSB_10TensorBaseESF_lENKUlvE_clEvENKUlvE0_clEvEUlffE_fEEDaPvRmT3_T4_T5_mT6_P12ihipStream_tbENKUlT_T0_E_clISt17integral_constantIbLb1EESW_EEDaSR_SS_EUlSR_E_NS1_11comp_targetILNS1_3genE10ELNS1_11target_archE1200ELNS1_3gpuE4ELNS1_3repE0EEENS1_30default_config_static_selectorELNS0_4arch9wavefront6targetE0EEEvT1_
; %bb.0:
	.section	.rodata,"a",@progbits
	.p2align	6, 0x0
	.amdhsa_kernel _ZN7rocprim17ROCPRIM_400000_NS6detail17trampoline_kernelINS0_14default_configENS1_20scan_config_selectorIfEEZZNS1_9scan_implILNS1_25lookback_scan_determinismE0ELb0ELb0ES3_PKfPffZZZN2at6native31launch_logcumsumexp_cuda_kernelERKNSB_10TensorBaseESF_lENKUlvE_clEvENKUlvE0_clEvEUlffE_fEEDaPvRmT3_T4_T5_mT6_P12ihipStream_tbENKUlT_T0_E_clISt17integral_constantIbLb1EESW_EEDaSR_SS_EUlSR_E_NS1_11comp_targetILNS1_3genE10ELNS1_11target_archE1200ELNS1_3gpuE4ELNS1_3repE0EEENS1_30default_config_static_selectorELNS0_4arch9wavefront6targetE0EEEvT1_
		.amdhsa_group_segment_fixed_size 0
		.amdhsa_private_segment_fixed_size 0
		.amdhsa_kernarg_size 96
		.amdhsa_user_sgpr_count 15
		.amdhsa_user_sgpr_dispatch_ptr 0
		.amdhsa_user_sgpr_queue_ptr 0
		.amdhsa_user_sgpr_kernarg_segment_ptr 1
		.amdhsa_user_sgpr_dispatch_id 0
		.amdhsa_user_sgpr_private_segment_size 0
		.amdhsa_wavefront_size32 1
		.amdhsa_uses_dynamic_stack 0
		.amdhsa_enable_private_segment 0
		.amdhsa_system_sgpr_workgroup_id_x 1
		.amdhsa_system_sgpr_workgroup_id_y 0
		.amdhsa_system_sgpr_workgroup_id_z 0
		.amdhsa_system_sgpr_workgroup_info 0
		.amdhsa_system_vgpr_workitem_id 0
		.amdhsa_next_free_vgpr 1
		.amdhsa_next_free_sgpr 1
		.amdhsa_reserve_vcc 0
		.amdhsa_float_round_mode_32 0
		.amdhsa_float_round_mode_16_64 0
		.amdhsa_float_denorm_mode_32 3
		.amdhsa_float_denorm_mode_16_64 3
		.amdhsa_dx10_clamp 1
		.amdhsa_ieee_mode 1
		.amdhsa_fp16_overflow 0
		.amdhsa_workgroup_processor_mode 1
		.amdhsa_memory_ordered 1
		.amdhsa_forward_progress 0
		.amdhsa_shared_vgpr_count 0
		.amdhsa_exception_fp_ieee_invalid_op 0
		.amdhsa_exception_fp_denorm_src 0
		.amdhsa_exception_fp_ieee_div_zero 0
		.amdhsa_exception_fp_ieee_overflow 0
		.amdhsa_exception_fp_ieee_underflow 0
		.amdhsa_exception_fp_ieee_inexact 0
		.amdhsa_exception_int_div_zero 0
	.end_amdhsa_kernel
	.section	.text._ZN7rocprim17ROCPRIM_400000_NS6detail17trampoline_kernelINS0_14default_configENS1_20scan_config_selectorIfEEZZNS1_9scan_implILNS1_25lookback_scan_determinismE0ELb0ELb0ES3_PKfPffZZZN2at6native31launch_logcumsumexp_cuda_kernelERKNSB_10TensorBaseESF_lENKUlvE_clEvENKUlvE0_clEvEUlffE_fEEDaPvRmT3_T4_T5_mT6_P12ihipStream_tbENKUlT_T0_E_clISt17integral_constantIbLb1EESW_EEDaSR_SS_EUlSR_E_NS1_11comp_targetILNS1_3genE10ELNS1_11target_archE1200ELNS1_3gpuE4ELNS1_3repE0EEENS1_30default_config_static_selectorELNS0_4arch9wavefront6targetE0EEEvT1_,"axG",@progbits,_ZN7rocprim17ROCPRIM_400000_NS6detail17trampoline_kernelINS0_14default_configENS1_20scan_config_selectorIfEEZZNS1_9scan_implILNS1_25lookback_scan_determinismE0ELb0ELb0ES3_PKfPffZZZN2at6native31launch_logcumsumexp_cuda_kernelERKNSB_10TensorBaseESF_lENKUlvE_clEvENKUlvE0_clEvEUlffE_fEEDaPvRmT3_T4_T5_mT6_P12ihipStream_tbENKUlT_T0_E_clISt17integral_constantIbLb1EESW_EEDaSR_SS_EUlSR_E_NS1_11comp_targetILNS1_3genE10ELNS1_11target_archE1200ELNS1_3gpuE4ELNS1_3repE0EEENS1_30default_config_static_selectorELNS0_4arch9wavefront6targetE0EEEvT1_,comdat
.Lfunc_end125:
	.size	_ZN7rocprim17ROCPRIM_400000_NS6detail17trampoline_kernelINS0_14default_configENS1_20scan_config_selectorIfEEZZNS1_9scan_implILNS1_25lookback_scan_determinismE0ELb0ELb0ES3_PKfPffZZZN2at6native31launch_logcumsumexp_cuda_kernelERKNSB_10TensorBaseESF_lENKUlvE_clEvENKUlvE0_clEvEUlffE_fEEDaPvRmT3_T4_T5_mT6_P12ihipStream_tbENKUlT_T0_E_clISt17integral_constantIbLb1EESW_EEDaSR_SS_EUlSR_E_NS1_11comp_targetILNS1_3genE10ELNS1_11target_archE1200ELNS1_3gpuE4ELNS1_3repE0EEENS1_30default_config_static_selectorELNS0_4arch9wavefront6targetE0EEEvT1_, .Lfunc_end125-_ZN7rocprim17ROCPRIM_400000_NS6detail17trampoline_kernelINS0_14default_configENS1_20scan_config_selectorIfEEZZNS1_9scan_implILNS1_25lookback_scan_determinismE0ELb0ELb0ES3_PKfPffZZZN2at6native31launch_logcumsumexp_cuda_kernelERKNSB_10TensorBaseESF_lENKUlvE_clEvENKUlvE0_clEvEUlffE_fEEDaPvRmT3_T4_T5_mT6_P12ihipStream_tbENKUlT_T0_E_clISt17integral_constantIbLb1EESW_EEDaSR_SS_EUlSR_E_NS1_11comp_targetILNS1_3genE10ELNS1_11target_archE1200ELNS1_3gpuE4ELNS1_3repE0EEENS1_30default_config_static_selectorELNS0_4arch9wavefront6targetE0EEEvT1_
                                        ; -- End function
	.section	.AMDGPU.csdata,"",@progbits
; Kernel info:
; codeLenInByte = 0
; NumSgprs: 0
; NumVgprs: 0
; ScratchSize: 0
; MemoryBound: 0
; FloatMode: 240
; IeeeMode: 1
; LDSByteSize: 0 bytes/workgroup (compile time only)
; SGPRBlocks: 0
; VGPRBlocks: 0
; NumSGPRsForWavesPerEU: 1
; NumVGPRsForWavesPerEU: 1
; Occupancy: 16
; WaveLimiterHint : 0
; COMPUTE_PGM_RSRC2:SCRATCH_EN: 0
; COMPUTE_PGM_RSRC2:USER_SGPR: 15
; COMPUTE_PGM_RSRC2:TRAP_HANDLER: 0
; COMPUTE_PGM_RSRC2:TGID_X_EN: 1
; COMPUTE_PGM_RSRC2:TGID_Y_EN: 0
; COMPUTE_PGM_RSRC2:TGID_Z_EN: 0
; COMPUTE_PGM_RSRC2:TIDIG_COMP_CNT: 0
	.section	.text._ZN7rocprim17ROCPRIM_400000_NS6detail17trampoline_kernelINS0_14default_configENS1_20scan_config_selectorIfEEZZNS1_9scan_implILNS1_25lookback_scan_determinismE0ELb0ELb0ES3_PKfPffZZZN2at6native31launch_logcumsumexp_cuda_kernelERKNSB_10TensorBaseESF_lENKUlvE_clEvENKUlvE0_clEvEUlffE_fEEDaPvRmT3_T4_T5_mT6_P12ihipStream_tbENKUlT_T0_E_clISt17integral_constantIbLb1EESW_EEDaSR_SS_EUlSR_E_NS1_11comp_targetILNS1_3genE9ELNS1_11target_archE1100ELNS1_3gpuE3ELNS1_3repE0EEENS1_30default_config_static_selectorELNS0_4arch9wavefront6targetE0EEEvT1_,"axG",@progbits,_ZN7rocprim17ROCPRIM_400000_NS6detail17trampoline_kernelINS0_14default_configENS1_20scan_config_selectorIfEEZZNS1_9scan_implILNS1_25lookback_scan_determinismE0ELb0ELb0ES3_PKfPffZZZN2at6native31launch_logcumsumexp_cuda_kernelERKNSB_10TensorBaseESF_lENKUlvE_clEvENKUlvE0_clEvEUlffE_fEEDaPvRmT3_T4_T5_mT6_P12ihipStream_tbENKUlT_T0_E_clISt17integral_constantIbLb1EESW_EEDaSR_SS_EUlSR_E_NS1_11comp_targetILNS1_3genE9ELNS1_11target_archE1100ELNS1_3gpuE3ELNS1_3repE0EEENS1_30default_config_static_selectorELNS0_4arch9wavefront6targetE0EEEvT1_,comdat
	.globl	_ZN7rocprim17ROCPRIM_400000_NS6detail17trampoline_kernelINS0_14default_configENS1_20scan_config_selectorIfEEZZNS1_9scan_implILNS1_25lookback_scan_determinismE0ELb0ELb0ES3_PKfPffZZZN2at6native31launch_logcumsumexp_cuda_kernelERKNSB_10TensorBaseESF_lENKUlvE_clEvENKUlvE0_clEvEUlffE_fEEDaPvRmT3_T4_T5_mT6_P12ihipStream_tbENKUlT_T0_E_clISt17integral_constantIbLb1EESW_EEDaSR_SS_EUlSR_E_NS1_11comp_targetILNS1_3genE9ELNS1_11target_archE1100ELNS1_3gpuE3ELNS1_3repE0EEENS1_30default_config_static_selectorELNS0_4arch9wavefront6targetE0EEEvT1_ ; -- Begin function _ZN7rocprim17ROCPRIM_400000_NS6detail17trampoline_kernelINS0_14default_configENS1_20scan_config_selectorIfEEZZNS1_9scan_implILNS1_25lookback_scan_determinismE0ELb0ELb0ES3_PKfPffZZZN2at6native31launch_logcumsumexp_cuda_kernelERKNSB_10TensorBaseESF_lENKUlvE_clEvENKUlvE0_clEvEUlffE_fEEDaPvRmT3_T4_T5_mT6_P12ihipStream_tbENKUlT_T0_E_clISt17integral_constantIbLb1EESW_EEDaSR_SS_EUlSR_E_NS1_11comp_targetILNS1_3genE9ELNS1_11target_archE1100ELNS1_3gpuE3ELNS1_3repE0EEENS1_30default_config_static_selectorELNS0_4arch9wavefront6targetE0EEEvT1_
	.p2align	8
	.type	_ZN7rocprim17ROCPRIM_400000_NS6detail17trampoline_kernelINS0_14default_configENS1_20scan_config_selectorIfEEZZNS1_9scan_implILNS1_25lookback_scan_determinismE0ELb0ELb0ES3_PKfPffZZZN2at6native31launch_logcumsumexp_cuda_kernelERKNSB_10TensorBaseESF_lENKUlvE_clEvENKUlvE0_clEvEUlffE_fEEDaPvRmT3_T4_T5_mT6_P12ihipStream_tbENKUlT_T0_E_clISt17integral_constantIbLb1EESW_EEDaSR_SS_EUlSR_E_NS1_11comp_targetILNS1_3genE9ELNS1_11target_archE1100ELNS1_3gpuE3ELNS1_3repE0EEENS1_30default_config_static_selectorELNS0_4arch9wavefront6targetE0EEEvT1_,@function
_ZN7rocprim17ROCPRIM_400000_NS6detail17trampoline_kernelINS0_14default_configENS1_20scan_config_selectorIfEEZZNS1_9scan_implILNS1_25lookback_scan_determinismE0ELb0ELb0ES3_PKfPffZZZN2at6native31launch_logcumsumexp_cuda_kernelERKNSB_10TensorBaseESF_lENKUlvE_clEvENKUlvE0_clEvEUlffE_fEEDaPvRmT3_T4_T5_mT6_P12ihipStream_tbENKUlT_T0_E_clISt17integral_constantIbLb1EESW_EEDaSR_SS_EUlSR_E_NS1_11comp_targetILNS1_3genE9ELNS1_11target_archE1100ELNS1_3gpuE3ELNS1_3repE0EEENS1_30default_config_static_selectorELNS0_4arch9wavefront6targetE0EEEvT1_: ; @_ZN7rocprim17ROCPRIM_400000_NS6detail17trampoline_kernelINS0_14default_configENS1_20scan_config_selectorIfEEZZNS1_9scan_implILNS1_25lookback_scan_determinismE0ELb0ELb0ES3_PKfPffZZZN2at6native31launch_logcumsumexp_cuda_kernelERKNSB_10TensorBaseESF_lENKUlvE_clEvENKUlvE0_clEvEUlffE_fEEDaPvRmT3_T4_T5_mT6_P12ihipStream_tbENKUlT_T0_E_clISt17integral_constantIbLb1EESW_EEDaSR_SS_EUlSR_E_NS1_11comp_targetILNS1_3genE9ELNS1_11target_archE1100ELNS1_3gpuE3ELNS1_3repE0EEENS1_30default_config_static_selectorELNS0_4arch9wavefront6targetE0EEEvT1_
; %bb.0:
	s_load_b64 s[10:11], s[0:1], 0x28
	v_cmp_ne_u32_e64 s2, 0, v0
	v_cmp_eq_u32_e64 s3, 0, v0
	s_delay_alu instid0(VALU_DEP_1)
	s_and_saveexec_b32 s4, s3
	s_cbranch_execz .LBB126_4
; %bb.1:
	s_mov_b32 s6, exec_lo
	s_mov_b32 s5, exec_lo
	v_mbcnt_lo_u32_b32 v1, s6, 0
                                        ; implicit-def: $vgpr2
	s_delay_alu instid0(VALU_DEP_1)
	v_cmpx_eq_u32_e32 0, v1
	s_cbranch_execz .LBB126_3
; %bb.2:
	s_load_b64 s[8:9], s[0:1], 0x58
	s_bcnt1_i32_b32 s6, s6
	s_delay_alu instid0(SALU_CYCLE_1)
	v_dual_mov_b32 v2, 0 :: v_dual_mov_b32 v3, s6
	s_waitcnt lgkmcnt(0)
	global_atomic_add_u32 v2, v2, v3, s[8:9] glc
.LBB126_3:
	s_or_b32 exec_lo, exec_lo, s5
	s_waitcnt vmcnt(0)
	v_readfirstlane_b32 s5, v2
	s_delay_alu instid0(VALU_DEP_1)
	v_dual_mov_b32 v2, 0 :: v_dual_add_nc_u32 v1, s5, v1
	ds_store_b32 v2, v1
.LBB126_4:
	s_or_b32 exec_lo, exec_lo, s4
	v_dual_mov_b32 v1, 0 :: v_dual_lshlrev_b32 v16, 2, v0
	s_clause 0x2
	s_load_b256 s[20:27], s[0:1], 0x0
	s_load_b32 s4, s[0:1], 0x30
	s_load_b256 s[12:19], s[0:1], 0x38
	s_waitcnt lgkmcnt(0)
	s_barrier
	buffer_gl0_inv
	ds_load_b32 v1, v1
	s_mov_b32 s5, 0
	v_lshrrev_b32_e32 v17, 3, v0
	v_or_b32_e32 v15, 0x100, v0
	v_or_b32_e32 v13, 0x200, v0
	;; [unrolled: 1-line block ×3, first 2 shown]
	s_waitcnt lgkmcnt(0)
	s_barrier
	buffer_gl0_inv
	s_lshl_b64 s[22:23], s[22:23], 2
	s_delay_alu instid0(SALU_CYCLE_1)
	s_add_u32 s1, s20, s22
	s_addc_u32 s6, s21, s23
	s_add_i32 s4, s4, -1
	v_readfirstlane_b32 s28, v1
	s_lshl_b32 s7, s4, 10
	v_cmp_ne_u32_e64 s0, s4, v1
	s_delay_alu instid0(VALU_DEP_2) | instskip(SKIP_3) | instid1(SALU_CYCLE_1)
	s_lshl_b32 s4, s28, 10
	s_sub_u32 s26, s26, s7
	s_subb_u32 s27, s27, 0
	s_lshl_b64 s[20:21], s[4:5], 2
	s_add_u32 s4, s1, s20
	s_addc_u32 s5, s6, s21
	s_and_b32 vcc_lo, exec_lo, s0
	s_mov_b32 s6, -1
	s_cbranch_vccz .LBB126_6
; %bb.5:
	s_clause 0x3
	global_load_b32 v1, v16, s[4:5]
	global_load_b32 v2, v16, s[4:5] offset:1024
	global_load_b32 v3, v16, s[4:5] offset:2048
	;; [unrolled: 1-line block ×3, first 2 shown]
	v_lshrrev_b32_e32 v5, 3, v15
	v_lshrrev_b32_e32 v6, 3, v13
	v_lshrrev_b32_e32 v7, 3, v14
	v_and_b32_e32 v8, 28, v17
	s_mov_b32 s6, 0
	v_and_b32_e32 v5, 60, v5
	v_and_b32_e32 v6, 0x5c, v6
	;; [unrolled: 1-line block ×3, first 2 shown]
	v_add_nc_u32_e32 v8, v8, v16
	s_delay_alu instid0(VALU_DEP_4) | instskip(NEXT) | instid1(VALU_DEP_4)
	v_add_nc_u32_e32 v5, v5, v16
	v_add_nc_u32_e32 v6, v6, v16
	s_delay_alu instid0(VALU_DEP_4)
	v_add_nc_u32_e32 v7, v7, v16
	s_waitcnt vmcnt(3)
	ds_store_b32 v8, v1
	s_waitcnt vmcnt(2)
	ds_store_b32 v5, v2 offset:1024
	s_waitcnt vmcnt(1)
	ds_store_b32 v6, v3 offset:2048
	;; [unrolled: 2-line block ×3, first 2 shown]
	s_waitcnt lgkmcnt(0)
	s_barrier
.LBB126_6:
	v_cmp_gt_u32_e64 s1, s26, v0
	s_and_not1_b32 vcc_lo, exec_lo, s6
	s_cbranch_vccnz .LBB126_13
; %bb.7:
	v_mov_b32_e32 v1, 0
	global_load_b32 v1, v1, s[4:5]
	s_waitcnt vmcnt(0)
	v_mov_b32_e32 v3, v1
	v_mov_b32_e32 v2, v1
	;; [unrolled: 1-line block ×3, first 2 shown]
	s_and_saveexec_b32 s6, s1
	s_cbranch_execnz .LBB126_241
; %bb.8:
	s_or_b32 exec_lo, exec_lo, s6
	s_delay_alu instid0(SALU_CYCLE_1)
	s_mov_b32 s1, exec_lo
	v_cmpx_gt_u32_e64 s26, v15
	s_cbranch_execnz .LBB126_242
.LBB126_9:
	s_or_b32 exec_lo, exec_lo, s1
	s_delay_alu instid0(SALU_CYCLE_1)
	s_mov_b32 s1, exec_lo
	v_cmpx_gt_u32_e64 s26, v13
	s_cbranch_execnz .LBB126_243
.LBB126_10:
	s_or_b32 exec_lo, exec_lo, s1
	s_delay_alu instid0(SALU_CYCLE_1)
	s_mov_b32 s1, exec_lo
	v_cmpx_gt_u32_e64 s26, v14
	s_cbranch_execz .LBB126_12
.LBB126_11:
	global_load_b32 v2, v16, s[4:5] offset:3072
.LBB126_12:
	s_or_b32 exec_lo, exec_lo, s1
	v_lshrrev_b32_e32 v5, 3, v15
	v_lshrrev_b32_e32 v6, 3, v13
	;; [unrolled: 1-line block ×3, first 2 shown]
	v_and_b32_e32 v8, 28, v17
	s_delay_alu instid0(VALU_DEP_4) | instskip(NEXT) | instid1(VALU_DEP_4)
	v_and_b32_e32 v5, 60, v5
	v_and_b32_e32 v6, 0x7c, v6
	s_delay_alu instid0(VALU_DEP_4) | instskip(NEXT) | instid1(VALU_DEP_4)
	v_and_b32_e32 v7, 0x7c, v7
	v_add_nc_u32_e32 v8, v8, v16
	s_delay_alu instid0(VALU_DEP_4) | instskip(NEXT) | instid1(VALU_DEP_4)
	v_add_nc_u32_e32 v5, v5, v16
	v_add_nc_u32_e32 v6, v6, v16
	s_delay_alu instid0(VALU_DEP_4)
	v_add_nc_u32_e32 v7, v7, v16
	s_waitcnt vmcnt(0)
	ds_store_b32 v8, v4
	ds_store_b32 v5, v1 offset:1024
	ds_store_b32 v6, v3 offset:2048
	;; [unrolled: 1-line block ×3, first 2 shown]
	s_waitcnt lgkmcnt(0)
	s_barrier
.LBB126_13:
	v_add_lshl_u32 v3, v17, v16, 2
	buffer_gl0_inv
	s_cmp_lg_u32 s28, 0
	ds_load_2addr_b32 v[1:2], v3 offset1:1
	ds_load_2addr_b32 v[7:8], v3 offset0:2 offset1:3
	s_waitcnt lgkmcnt(0)
	s_barrier
	buffer_gl0_inv
	v_cmp_u_f32_e64 s1, v2, v2
	v_max_f32_e32 v18, v2, v2
	s_cbranch_scc0 .LBB126_154
; %bb.14:
	v_max_f32_e32 v21, v1, v1
	v_cmp_u_f32_e64 s6, v1, v1
	v_mov_b32_e32 v22, v1
	s_delay_alu instid0(VALU_DEP_3) | instskip(SKIP_1) | instid1(VALU_DEP_2)
	v_min_f32_e32 v3, v21, v18
	v_max_f32_e32 v4, v21, v18
	v_cndmask_b32_e64 v3, v3, v1, s6
	s_delay_alu instid0(VALU_DEP_2) | instskip(NEXT) | instid1(VALU_DEP_2)
	v_cndmask_b32_e64 v5, v4, v1, s6
	v_cndmask_b32_e64 v4, v3, v2, s1
	s_delay_alu instid0(VALU_DEP_2) | instskip(NEXT) | instid1(VALU_DEP_2)
	v_cndmask_b32_e64 v3, v5, v2, s1
	v_cmp_class_f32_e64 s4, v4, 0x1f8
	s_delay_alu instid0(VALU_DEP_2) | instskip(NEXT) | instid1(VALU_DEP_2)
	v_cmp_neq_f32_e32 vcc_lo, v4, v3
	s_or_b32 s5, vcc_lo, s4
	s_delay_alu instid0(SALU_CYCLE_1)
	s_and_saveexec_b32 s4, s5
	s_cbranch_execz .LBB126_16
; %bb.15:
	v_sub_f32_e32 v4, v4, v3
	s_mov_b32 s5, 0x3e9b6dac
	s_delay_alu instid0(VALU_DEP_1) | instskip(NEXT) | instid1(VALU_DEP_1)
	v_mul_f32_e32 v5, 0x3fb8aa3b, v4
	v_fma_f32 v6, 0x3fb8aa3b, v4, -v5
	v_rndne_f32_e32 v9, v5
	s_delay_alu instid0(VALU_DEP_1) | instskip(SKIP_1) | instid1(VALU_DEP_4)
	v_sub_f32_e32 v5, v5, v9
	v_cmp_ngt_f32_e32 vcc_lo, 0xc2ce8ed0, v4
	v_fmamk_f32 v6, v4, 0x32a5705f, v6
	s_delay_alu instid0(VALU_DEP_1) | instskip(SKIP_1) | instid1(VALU_DEP_2)
	v_add_f32_e32 v5, v5, v6
	v_cvt_i32_f32_e32 v6, v9
	v_exp_f32_e32 v5, v5
	s_waitcnt_depctr 0xfff
	v_ldexp_f32 v5, v5, v6
	s_delay_alu instid0(VALU_DEP_1) | instskip(SKIP_1) | instid1(VALU_DEP_2)
	v_cndmask_b32_e32 v5, 0, v5, vcc_lo
	v_cmp_nlt_f32_e32 vcc_lo, 0x42b17218, v4
	v_cndmask_b32_e32 v6, 0x7f800000, v5, vcc_lo
	s_delay_alu instid0(VALU_DEP_1) | instskip(NEXT) | instid1(VALU_DEP_1)
	v_add_f32_e32 v9, 1.0, v6
	v_cvt_f64_f32_e32 v[4:5], v9
	s_delay_alu instid0(VALU_DEP_1) | instskip(SKIP_1) | instid1(VALU_DEP_1)
	v_frexp_exp_i32_f64_e32 v4, v[4:5]
	v_frexp_mant_f32_e32 v5, v9
	v_cmp_gt_f32_e32 vcc_lo, 0x3f2aaaab, v5
	v_add_f32_e32 v5, -1.0, v9
	s_delay_alu instid0(VALU_DEP_1) | instskip(NEXT) | instid1(VALU_DEP_1)
	v_sub_f32_e32 v11, v5, v9
	v_add_f32_e32 v11, 1.0, v11
	v_sub_f32_e32 v5, v6, v5
	s_delay_alu instid0(VALU_DEP_1) | instskip(SKIP_2) | instid1(VALU_DEP_2)
	v_add_f32_e32 v5, v5, v11
	v_subrev_co_ci_u32_e32 v4, vcc_lo, 0, v4, vcc_lo
	v_cmp_eq_f32_e32 vcc_lo, 0x7f800000, v6
	v_sub_nc_u32_e32 v10, 0, v4
	v_cvt_f32_i32_e32 v4, v4
	s_delay_alu instid0(VALU_DEP_2) | instskip(SKIP_1) | instid1(VALU_DEP_2)
	v_ldexp_f32 v9, v9, v10
	v_ldexp_f32 v5, v5, v10
	v_add_f32_e32 v12, 1.0, v9
	s_delay_alu instid0(VALU_DEP_1) | instskip(NEXT) | instid1(VALU_DEP_1)
	v_dual_add_f32 v10, -1.0, v9 :: v_dual_add_f32 v11, -1.0, v12
	v_add_f32_e32 v19, 1.0, v10
	s_delay_alu instid0(VALU_DEP_2) | instskip(NEXT) | instid1(VALU_DEP_2)
	v_sub_f32_e32 v11, v9, v11
	v_sub_f32_e32 v9, v9, v19
	s_delay_alu instid0(VALU_DEP_2) | instskip(NEXT) | instid1(VALU_DEP_1)
	v_add_f32_e32 v11, v5, v11
	v_add_f32_e32 v19, v12, v11
	s_delay_alu instid0(VALU_DEP_3) | instskip(NEXT) | instid1(VALU_DEP_2)
	v_add_f32_e32 v5, v5, v9
	v_rcp_f32_e32 v9, v19
	s_delay_alu instid0(VALU_DEP_1) | instskip(SKIP_1) | instid1(VALU_DEP_2)
	v_add_f32_e32 v20, v10, v5
	v_sub_f32_e32 v12, v12, v19
	v_sub_f32_e32 v10, v10, v20
	s_waitcnt_depctr 0xfff
	v_dual_add_f32 v11, v11, v12 :: v_dual_mul_f32 v22, v20, v9
	v_add_f32_e32 v5, v5, v10
	s_delay_alu instid0(VALU_DEP_2) | instskip(NEXT) | instid1(VALU_DEP_1)
	v_mul_f32_e32 v23, v19, v22
	v_fma_f32 v12, v22, v19, -v23
	s_delay_alu instid0(VALU_DEP_1) | instskip(NEXT) | instid1(VALU_DEP_1)
	v_fmac_f32_e32 v12, v22, v11
	v_add_f32_e32 v24, v23, v12
	s_delay_alu instid0(VALU_DEP_1) | instskip(SKIP_1) | instid1(VALU_DEP_2)
	v_sub_f32_e32 v25, v20, v24
	v_sub_f32_e32 v10, v24, v23
	;; [unrolled: 1-line block ×3, first 2 shown]
	s_delay_alu instid0(VALU_DEP_2) | instskip(NEXT) | instid1(VALU_DEP_2)
	v_sub_f32_e32 v10, v10, v12
	v_sub_f32_e32 v20, v20, v24
	s_delay_alu instid0(VALU_DEP_1) | instskip(NEXT) | instid1(VALU_DEP_1)
	v_add_f32_e32 v5, v5, v20
	v_add_f32_e32 v5, v10, v5
	s_delay_alu instid0(VALU_DEP_1) | instskip(NEXT) | instid1(VALU_DEP_1)
	v_add_f32_e32 v10, v25, v5
	v_sub_f32_e32 v24, v25, v10
	v_mul_f32_e32 v12, v9, v10
	s_delay_alu instid0(VALU_DEP_2) | instskip(NEXT) | instid1(VALU_DEP_2)
	v_add_f32_e32 v5, v5, v24
	v_mul_f32_e32 v20, v19, v12
	s_delay_alu instid0(VALU_DEP_1) | instskip(NEXT) | instid1(VALU_DEP_1)
	v_fma_f32 v19, v12, v19, -v20
	v_fmac_f32_e32 v19, v12, v11
	s_delay_alu instid0(VALU_DEP_1) | instskip(NEXT) | instid1(VALU_DEP_1)
	v_add_f32_e32 v11, v20, v19
	v_dual_sub_f32 v23, v10, v11 :: v_dual_sub_f32 v20, v11, v20
	s_delay_alu instid0(VALU_DEP_1) | instskip(NEXT) | instid1(VALU_DEP_1)
	v_sub_f32_e32 v10, v10, v23
	v_sub_f32_e32 v10, v10, v11
	s_delay_alu instid0(VALU_DEP_1) | instskip(NEXT) | instid1(VALU_DEP_4)
	v_dual_add_f32 v5, v5, v10 :: v_dual_add_f32 v10, v22, v12
	v_sub_f32_e32 v11, v20, v19
	s_delay_alu instid0(VALU_DEP_1) | instskip(NEXT) | instid1(VALU_DEP_3)
	v_add_f32_e32 v5, v11, v5
	v_sub_f32_e32 v11, v10, v22
	s_delay_alu instid0(VALU_DEP_2) | instskip(NEXT) | instid1(VALU_DEP_2)
	v_add_f32_e32 v5, v23, v5
	v_sub_f32_e32 v11, v12, v11
	s_delay_alu instid0(VALU_DEP_2) | instskip(NEXT) | instid1(VALU_DEP_1)
	v_mul_f32_e32 v5, v9, v5
	v_add_f32_e32 v5, v11, v5
	s_delay_alu instid0(VALU_DEP_1) | instskip(NEXT) | instid1(VALU_DEP_1)
	v_add_f32_e32 v9, v10, v5
	v_mul_f32_e32 v11, v9, v9
	s_delay_alu instid0(VALU_DEP_1) | instskip(SKIP_2) | instid1(VALU_DEP_3)
	v_fmaak_f32 v12, s5, v11, 0x3ecc95a3
	v_mul_f32_e32 v19, v9, v11
	v_cmp_gt_f32_e64 s5, 0x33800000, |v6|
	v_fmaak_f32 v11, v11, v12, 0x3f2aaada
	v_ldexp_f32 v12, v9, 1
	v_sub_f32_e32 v9, v9, v10
	s_delay_alu instid0(VALU_DEP_4) | instskip(NEXT) | instid1(VALU_DEP_3)
	s_or_b32 vcc_lo, vcc_lo, s5
	v_mul_f32_e32 v11, v19, v11
	v_mul_f32_e32 v19, 0x3f317218, v4
	s_delay_alu instid0(VALU_DEP_2) | instskip(NEXT) | instid1(VALU_DEP_1)
	v_dual_sub_f32 v5, v5, v9 :: v_dual_add_f32 v10, v12, v11
	v_ldexp_f32 v5, v5, 1
	s_delay_alu instid0(VALU_DEP_2) | instskip(NEXT) | instid1(VALU_DEP_4)
	v_sub_f32_e32 v9, v10, v12
	v_fma_f32 v12, 0x3f317218, v4, -v19
	s_delay_alu instid0(VALU_DEP_1) | instskip(NEXT) | instid1(VALU_DEP_1)
	v_dual_sub_f32 v9, v11, v9 :: v_dual_fmamk_f32 v4, v4, 0xb102e308, v12
	v_add_f32_e32 v5, v5, v9
	s_delay_alu instid0(VALU_DEP_2) | instskip(NEXT) | instid1(VALU_DEP_2)
	v_add_f32_e32 v9, v19, v4
	v_add_f32_e32 v11, v10, v5
	s_delay_alu instid0(VALU_DEP_2) | instskip(NEXT) | instid1(VALU_DEP_2)
	v_sub_f32_e32 v19, v9, v19
	v_add_f32_e32 v12, v9, v11
	v_sub_f32_e32 v10, v11, v10
	s_delay_alu instid0(VALU_DEP_3) | instskip(NEXT) | instid1(VALU_DEP_2)
	v_sub_f32_e32 v4, v4, v19
	v_dual_sub_f32 v20, v12, v9 :: v_dual_sub_f32 v5, v5, v10
	s_delay_alu instid0(VALU_DEP_1) | instskip(NEXT) | instid1(VALU_DEP_2)
	v_sub_f32_e32 v22, v12, v20
	v_dual_sub_f32 v10, v11, v20 :: v_dual_add_f32 v11, v4, v5
	s_delay_alu instid0(VALU_DEP_2) | instskip(NEXT) | instid1(VALU_DEP_1)
	v_sub_f32_e32 v9, v9, v22
	v_dual_add_f32 v9, v10, v9 :: v_dual_sub_f32 v10, v11, v4
	s_delay_alu instid0(VALU_DEP_1) | instskip(NEXT) | instid1(VALU_DEP_2)
	v_add_f32_e32 v9, v11, v9
	v_sub_f32_e32 v11, v11, v10
	v_sub_f32_e32 v5, v5, v10
	s_delay_alu instid0(VALU_DEP_3) | instskip(NEXT) | instid1(VALU_DEP_3)
	v_add_f32_e32 v19, v12, v9
	v_sub_f32_e32 v4, v4, v11
	s_delay_alu instid0(VALU_DEP_2) | instskip(NEXT) | instid1(VALU_DEP_2)
	v_sub_f32_e32 v10, v19, v12
	v_add_f32_e32 v4, v5, v4
	s_delay_alu instid0(VALU_DEP_2) | instskip(NEXT) | instid1(VALU_DEP_1)
	v_sub_f32_e32 v5, v9, v10
	v_add_f32_e32 v4, v4, v5
	s_delay_alu instid0(VALU_DEP_1) | instskip(NEXT) | instid1(VALU_DEP_1)
	v_add_f32_e32 v4, v19, v4
	v_cndmask_b32_e32 v4, v4, v6, vcc_lo
	s_delay_alu instid0(VALU_DEP_1)
	v_add_f32_e32 v22, v3, v4
.LBB126_16:
	s_or_b32 exec_lo, exec_lo, s4
	s_delay_alu instid0(VALU_DEP_1) | instskip(SKIP_3) | instid1(VALU_DEP_2)
	v_max_f32_e32 v3, v22, v22
	v_cmp_u_f32_e32 vcc_lo, v22, v22
	v_max_f32_e32 v19, v7, v7
	v_cmp_u_f32_e64 s4, v7, v7
	v_min_f32_e32 v4, v3, v19
	s_delay_alu instid0(VALU_DEP_1) | instskip(NEXT) | instid1(VALU_DEP_1)
	v_dual_cndmask_b32 v4, v4, v22 :: v_dual_max_f32 v3, v3, v19
	v_cndmask_b32_e64 v4, v4, v7, s4
	s_delay_alu instid0(VALU_DEP_2) | instskip(NEXT) | instid1(VALU_DEP_2)
	v_cndmask_b32_e32 v3, v3, v22, vcc_lo
	v_cmp_class_f32_e64 s5, v4, 0x1f8
	s_delay_alu instid0(VALU_DEP_2) | instskip(NEXT) | instid1(VALU_DEP_1)
	v_cndmask_b32_e64 v3, v3, v7, s4
	v_cmp_neq_f32_e32 vcc_lo, v4, v3
	s_delay_alu instid0(VALU_DEP_3) | instskip(NEXT) | instid1(SALU_CYCLE_1)
	s_or_b32 s7, vcc_lo, s5
	s_and_saveexec_b32 s5, s7
	s_cbranch_execz .LBB126_18
; %bb.17:
	v_sub_f32_e32 v4, v4, v3
	s_mov_b32 s7, 0x3e9b6dac
	s_delay_alu instid0(VALU_DEP_1) | instskip(NEXT) | instid1(VALU_DEP_1)
	v_mul_f32_e32 v5, 0x3fb8aa3b, v4
	v_fma_f32 v6, 0x3fb8aa3b, v4, -v5
	v_rndne_f32_e32 v9, v5
	s_delay_alu instid0(VALU_DEP_1) | instskip(SKIP_1) | instid1(VALU_DEP_4)
	v_sub_f32_e32 v5, v5, v9
	v_cmp_ngt_f32_e32 vcc_lo, 0xc2ce8ed0, v4
	v_fmamk_f32 v6, v4, 0x32a5705f, v6
	s_delay_alu instid0(VALU_DEP_1) | instskip(SKIP_1) | instid1(VALU_DEP_2)
	v_add_f32_e32 v5, v5, v6
	v_cvt_i32_f32_e32 v6, v9
	v_exp_f32_e32 v5, v5
	s_waitcnt_depctr 0xfff
	v_ldexp_f32 v5, v5, v6
	s_delay_alu instid0(VALU_DEP_1) | instskip(SKIP_1) | instid1(VALU_DEP_2)
	v_cndmask_b32_e32 v5, 0, v5, vcc_lo
	v_cmp_nlt_f32_e32 vcc_lo, 0x42b17218, v4
	v_cndmask_b32_e32 v6, 0x7f800000, v5, vcc_lo
	s_delay_alu instid0(VALU_DEP_1) | instskip(NEXT) | instid1(VALU_DEP_1)
	v_add_f32_e32 v9, 1.0, v6
	v_cvt_f64_f32_e32 v[4:5], v9
	s_delay_alu instid0(VALU_DEP_1) | instskip(SKIP_1) | instid1(VALU_DEP_1)
	v_frexp_exp_i32_f64_e32 v4, v[4:5]
	v_frexp_mant_f32_e32 v5, v9
	v_cmp_gt_f32_e32 vcc_lo, 0x3f2aaaab, v5
	v_add_f32_e32 v5, -1.0, v9
	s_delay_alu instid0(VALU_DEP_1) | instskip(NEXT) | instid1(VALU_DEP_1)
	v_sub_f32_e32 v11, v5, v9
	v_add_f32_e32 v11, 1.0, v11
	v_sub_f32_e32 v5, v6, v5
	s_delay_alu instid0(VALU_DEP_1) | instskip(SKIP_2) | instid1(VALU_DEP_2)
	v_add_f32_e32 v5, v5, v11
	v_subrev_co_ci_u32_e32 v4, vcc_lo, 0, v4, vcc_lo
	v_cmp_eq_f32_e32 vcc_lo, 0x7f800000, v6
	v_sub_nc_u32_e32 v10, 0, v4
	v_cvt_f32_i32_e32 v4, v4
	s_delay_alu instid0(VALU_DEP_2) | instskip(SKIP_1) | instid1(VALU_DEP_2)
	v_ldexp_f32 v9, v9, v10
	v_ldexp_f32 v5, v5, v10
	v_add_f32_e32 v12, 1.0, v9
	s_delay_alu instid0(VALU_DEP_1) | instskip(NEXT) | instid1(VALU_DEP_1)
	v_dual_add_f32 v10, -1.0, v9 :: v_dual_add_f32 v11, -1.0, v12
	v_dual_add_f32 v20, 1.0, v10 :: v_dual_sub_f32 v11, v9, v11
	s_delay_alu instid0(VALU_DEP_1) | instskip(NEXT) | instid1(VALU_DEP_2)
	v_sub_f32_e32 v9, v9, v20
	v_add_f32_e32 v11, v5, v11
	s_delay_alu instid0(VALU_DEP_1) | instskip(NEXT) | instid1(VALU_DEP_1)
	v_dual_add_f32 v5, v5, v9 :: v_dual_add_f32 v20, v12, v11
	v_add_f32_e32 v22, v10, v5
	s_delay_alu instid0(VALU_DEP_2) | instskip(SKIP_1) | instid1(VALU_DEP_1)
	v_rcp_f32_e32 v9, v20
	v_sub_f32_e32 v12, v12, v20
	v_dual_sub_f32 v10, v10, v22 :: v_dual_add_f32 v11, v11, v12
	s_delay_alu instid0(VALU_DEP_1) | instskip(SKIP_2) | instid1(VALU_DEP_1)
	v_add_f32_e32 v5, v5, v10
	s_waitcnt_depctr 0xfff
	v_mul_f32_e32 v23, v22, v9
	v_mul_f32_e32 v24, v20, v23
	s_delay_alu instid0(VALU_DEP_1) | instskip(NEXT) | instid1(VALU_DEP_1)
	v_fma_f32 v12, v23, v20, -v24
	v_fmac_f32_e32 v12, v23, v11
	s_delay_alu instid0(VALU_DEP_1) | instskip(NEXT) | instid1(VALU_DEP_1)
	v_add_f32_e32 v25, v24, v12
	v_sub_f32_e32 v26, v22, v25
	v_sub_f32_e32 v10, v25, v24
	s_delay_alu instid0(VALU_DEP_2) | instskip(NEXT) | instid1(VALU_DEP_2)
	v_sub_f32_e32 v22, v22, v26
	v_sub_f32_e32 v10, v10, v12
	s_delay_alu instid0(VALU_DEP_2) | instskip(NEXT) | instid1(VALU_DEP_1)
	v_sub_f32_e32 v22, v22, v25
	v_add_f32_e32 v5, v5, v22
	s_delay_alu instid0(VALU_DEP_1) | instskip(NEXT) | instid1(VALU_DEP_1)
	v_add_f32_e32 v5, v10, v5
	v_add_f32_e32 v10, v26, v5
	s_delay_alu instid0(VALU_DEP_1) | instskip(NEXT) | instid1(VALU_DEP_1)
	v_mul_f32_e32 v12, v9, v10
	v_dual_sub_f32 v25, v26, v10 :: v_dual_mul_f32 v22, v20, v12
	s_delay_alu instid0(VALU_DEP_1) | instskip(NEXT) | instid1(VALU_DEP_2)
	v_add_f32_e32 v5, v5, v25
	v_fma_f32 v20, v12, v20, -v22
	s_delay_alu instid0(VALU_DEP_1) | instskip(NEXT) | instid1(VALU_DEP_1)
	v_fmac_f32_e32 v20, v12, v11
	v_add_f32_e32 v11, v22, v20
	s_delay_alu instid0(VALU_DEP_1) | instskip(NEXT) | instid1(VALU_DEP_1)
	v_sub_f32_e32 v24, v10, v11
	v_sub_f32_e32 v10, v10, v24
	s_delay_alu instid0(VALU_DEP_1) | instskip(NEXT) | instid1(VALU_DEP_1)
	v_sub_f32_e32 v10, v10, v11
	v_dual_add_f32 v5, v5, v10 :: v_dual_add_f32 v10, v23, v12
	v_sub_f32_e32 v22, v11, v22
	s_delay_alu instid0(VALU_DEP_1) | instskip(NEXT) | instid1(VALU_DEP_1)
	v_sub_f32_e32 v11, v22, v20
	v_add_f32_e32 v5, v11, v5
	s_delay_alu instid0(VALU_DEP_4) | instskip(NEXT) | instid1(VALU_DEP_2)
	v_sub_f32_e32 v11, v10, v23
	v_add_f32_e32 v5, v24, v5
	s_delay_alu instid0(VALU_DEP_2) | instskip(NEXT) | instid1(VALU_DEP_2)
	v_sub_f32_e32 v11, v12, v11
	v_mul_f32_e32 v5, v9, v5
	s_delay_alu instid0(VALU_DEP_1) | instskip(NEXT) | instid1(VALU_DEP_1)
	v_add_f32_e32 v5, v11, v5
	v_add_f32_e32 v9, v10, v5
	s_delay_alu instid0(VALU_DEP_1) | instskip(NEXT) | instid1(VALU_DEP_1)
	v_mul_f32_e32 v11, v9, v9
	v_fmaak_f32 v12, s7, v11, 0x3ecc95a3
	v_mul_f32_e32 v20, v9, v11
	v_cmp_gt_f32_e64 s7, 0x33800000, |v6|
	s_delay_alu instid0(VALU_DEP_3) | instskip(SKIP_2) | instid1(VALU_DEP_4)
	v_fmaak_f32 v11, v11, v12, 0x3f2aaada
	v_ldexp_f32 v12, v9, 1
	v_sub_f32_e32 v9, v9, v10
	s_or_b32 vcc_lo, vcc_lo, s7
	s_delay_alu instid0(VALU_DEP_3) | instskip(NEXT) | instid1(VALU_DEP_1)
	v_dual_mul_f32 v11, v20, v11 :: v_dual_mul_f32 v20, 0x3f317218, v4
	v_dual_sub_f32 v5, v5, v9 :: v_dual_add_f32 v10, v12, v11
	s_delay_alu instid0(VALU_DEP_1) | instskip(NEXT) | instid1(VALU_DEP_2)
	v_ldexp_f32 v5, v5, 1
	v_sub_f32_e32 v9, v10, v12
	s_delay_alu instid0(VALU_DEP_4) | instskip(NEXT) | instid1(VALU_DEP_1)
	v_fma_f32 v12, 0x3f317218, v4, -v20
	v_dual_sub_f32 v9, v11, v9 :: v_dual_fmamk_f32 v4, v4, 0xb102e308, v12
	s_delay_alu instid0(VALU_DEP_1) | instskip(NEXT) | instid1(VALU_DEP_2)
	v_add_f32_e32 v5, v5, v9
	v_add_f32_e32 v9, v20, v4
	s_delay_alu instid0(VALU_DEP_1) | instskip(NEXT) | instid1(VALU_DEP_1)
	v_dual_add_f32 v11, v10, v5 :: v_dual_sub_f32 v20, v9, v20
	v_sub_f32_e32 v10, v11, v10
	s_delay_alu instid0(VALU_DEP_1) | instskip(SKIP_1) | instid1(VALU_DEP_1)
	v_dual_sub_f32 v4, v4, v20 :: v_dual_sub_f32 v5, v5, v10
	v_add_f32_e32 v12, v9, v11
	v_sub_f32_e32 v22, v12, v9
	s_delay_alu instid0(VALU_DEP_1) | instskip(SKIP_1) | instid1(VALU_DEP_1)
	v_dual_sub_f32 v10, v11, v22 :: v_dual_add_f32 v11, v4, v5
	v_sub_f32_e32 v23, v12, v22
	v_sub_f32_e32 v9, v9, v23
	s_delay_alu instid0(VALU_DEP_1) | instskip(NEXT) | instid1(VALU_DEP_1)
	v_dual_add_f32 v9, v10, v9 :: v_dual_sub_f32 v10, v11, v4
	v_add_f32_e32 v9, v11, v9
	s_delay_alu instid0(VALU_DEP_2) | instskip(NEXT) | instid1(VALU_DEP_2)
	v_sub_f32_e32 v11, v11, v10
	v_dual_sub_f32 v5, v5, v10 :: v_dual_add_f32 v20, v12, v9
	s_delay_alu instid0(VALU_DEP_2) | instskip(NEXT) | instid1(VALU_DEP_2)
	v_sub_f32_e32 v4, v4, v11
	v_sub_f32_e32 v10, v20, v12
	s_delay_alu instid0(VALU_DEP_2) | instskip(NEXT) | instid1(VALU_DEP_2)
	v_add_f32_e32 v4, v5, v4
	v_sub_f32_e32 v5, v9, v10
	s_delay_alu instid0(VALU_DEP_1) | instskip(NEXT) | instid1(VALU_DEP_1)
	v_add_f32_e32 v4, v4, v5
	v_add_f32_e32 v4, v20, v4
	s_delay_alu instid0(VALU_DEP_1) | instskip(NEXT) | instid1(VALU_DEP_1)
	v_cndmask_b32_e32 v4, v4, v6, vcc_lo
	v_add_f32_e32 v22, v3, v4
.LBB126_18:
	s_or_b32 exec_lo, exec_lo, s5
	s_delay_alu instid0(VALU_DEP_1) | instskip(SKIP_2) | instid1(VALU_DEP_3)
	v_dual_max_f32 v20, v8, v8 :: v_dual_max_f32 v3, v22, v22
	v_cmp_u_f32_e32 vcc_lo, v22, v22
	v_cmp_u_f32_e64 s5, v8, v8
	v_min_f32_e32 v4, v3, v20
	s_delay_alu instid0(VALU_DEP_1) | instskip(NEXT) | instid1(VALU_DEP_1)
	v_dual_max_f32 v3, v3, v20 :: v_dual_cndmask_b32 v4, v4, v22
	v_cndmask_b32_e32 v3, v3, v22, vcc_lo
	s_delay_alu instid0(VALU_DEP_2) | instskip(NEXT) | instid1(VALU_DEP_2)
	v_cndmask_b32_e64 v4, v4, v8, s5
	v_cndmask_b32_e64 v3, v3, v8, s5
	s_delay_alu instid0(VALU_DEP_2) | instskip(NEXT) | instid1(VALU_DEP_2)
	v_cmp_class_f32_e64 s7, v4, 0x1f8
	v_cmp_neq_f32_e32 vcc_lo, v4, v3
	s_delay_alu instid0(VALU_DEP_2) | instskip(NEXT) | instid1(SALU_CYCLE_1)
	s_or_b32 s8, vcc_lo, s7
	s_and_saveexec_b32 s7, s8
	s_cbranch_execz .LBB126_20
; %bb.19:
	v_sub_f32_e32 v4, v4, v3
	s_mov_b32 s8, 0x3e9b6dac
	s_delay_alu instid0(VALU_DEP_1) | instskip(NEXT) | instid1(VALU_DEP_1)
	v_mul_f32_e32 v5, 0x3fb8aa3b, v4
	v_fma_f32 v6, 0x3fb8aa3b, v4, -v5
	v_rndne_f32_e32 v9, v5
	s_delay_alu instid0(VALU_DEP_1) | instskip(SKIP_1) | instid1(VALU_DEP_4)
	v_sub_f32_e32 v5, v5, v9
	v_cmp_ngt_f32_e32 vcc_lo, 0xc2ce8ed0, v4
	v_fmamk_f32 v6, v4, 0x32a5705f, v6
	s_delay_alu instid0(VALU_DEP_1) | instskip(SKIP_1) | instid1(VALU_DEP_2)
	v_add_f32_e32 v5, v5, v6
	v_cvt_i32_f32_e32 v6, v9
	v_exp_f32_e32 v5, v5
	s_waitcnt_depctr 0xfff
	v_ldexp_f32 v5, v5, v6
	s_delay_alu instid0(VALU_DEP_1) | instskip(SKIP_1) | instid1(VALU_DEP_2)
	v_cndmask_b32_e32 v5, 0, v5, vcc_lo
	v_cmp_nlt_f32_e32 vcc_lo, 0x42b17218, v4
	v_cndmask_b32_e32 v6, 0x7f800000, v5, vcc_lo
	s_delay_alu instid0(VALU_DEP_1) | instskip(NEXT) | instid1(VALU_DEP_1)
	v_add_f32_e32 v9, 1.0, v6
	v_cvt_f64_f32_e32 v[4:5], v9
	s_delay_alu instid0(VALU_DEP_1) | instskip(SKIP_1) | instid1(VALU_DEP_1)
	v_frexp_exp_i32_f64_e32 v4, v[4:5]
	v_frexp_mant_f32_e32 v5, v9
	v_cmp_gt_f32_e32 vcc_lo, 0x3f2aaaab, v5
	v_add_f32_e32 v5, -1.0, v9
	s_delay_alu instid0(VALU_DEP_1) | instskip(NEXT) | instid1(VALU_DEP_1)
	v_sub_f32_e32 v11, v5, v9
	v_add_f32_e32 v11, 1.0, v11
	v_sub_f32_e32 v5, v6, v5
	s_delay_alu instid0(VALU_DEP_1) | instskip(SKIP_2) | instid1(VALU_DEP_2)
	v_add_f32_e32 v5, v5, v11
	v_subrev_co_ci_u32_e32 v4, vcc_lo, 0, v4, vcc_lo
	v_cmp_eq_f32_e32 vcc_lo, 0x7f800000, v6
	v_sub_nc_u32_e32 v10, 0, v4
	v_cvt_f32_i32_e32 v4, v4
	s_delay_alu instid0(VALU_DEP_2) | instskip(SKIP_1) | instid1(VALU_DEP_2)
	v_ldexp_f32 v9, v9, v10
	v_ldexp_f32 v5, v5, v10
	v_add_f32_e32 v12, 1.0, v9
	s_delay_alu instid0(VALU_DEP_1) | instskip(NEXT) | instid1(VALU_DEP_1)
	v_dual_add_f32 v10, -1.0, v9 :: v_dual_add_f32 v11, -1.0, v12
	v_dual_add_f32 v22, 1.0, v10 :: v_dual_sub_f32 v11, v9, v11
	s_delay_alu instid0(VALU_DEP_1) | instskip(NEXT) | instid1(VALU_DEP_2)
	v_sub_f32_e32 v9, v9, v22
	v_add_f32_e32 v11, v5, v11
	s_delay_alu instid0(VALU_DEP_1) | instskip(NEXT) | instid1(VALU_DEP_1)
	v_add_f32_e32 v22, v12, v11
	v_sub_f32_e32 v12, v12, v22
	s_delay_alu instid0(VALU_DEP_1) | instskip(SKIP_2) | instid1(VALU_DEP_1)
	v_add_f32_e32 v11, v11, v12
	v_add_f32_e32 v5, v5, v9
	v_rcp_f32_e32 v9, v22
	v_add_f32_e32 v23, v10, v5
	s_waitcnt_depctr 0xfff
	v_mul_f32_e32 v24, v23, v9
	s_delay_alu instid0(VALU_DEP_1) | instskip(NEXT) | instid1(VALU_DEP_1)
	v_mul_f32_e32 v25, v22, v24
	v_fma_f32 v12, v24, v22, -v25
	s_delay_alu instid0(VALU_DEP_1) | instskip(NEXT) | instid1(VALU_DEP_1)
	v_fmac_f32_e32 v12, v24, v11
	v_add_f32_e32 v26, v25, v12
	s_delay_alu instid0(VALU_DEP_1) | instskip(NEXT) | instid1(VALU_DEP_1)
	v_dual_sub_f32 v10, v10, v23 :: v_dual_sub_f32 v27, v23, v26
	v_dual_add_f32 v5, v5, v10 :: v_dual_sub_f32 v10, v26, v25
	s_delay_alu instid0(VALU_DEP_1) | instskip(NEXT) | instid1(VALU_DEP_1)
	v_dual_sub_f32 v23, v23, v27 :: v_dual_sub_f32 v10, v10, v12
	v_sub_f32_e32 v23, v23, v26
	s_delay_alu instid0(VALU_DEP_1) | instskip(NEXT) | instid1(VALU_DEP_1)
	v_add_f32_e32 v5, v5, v23
	v_add_f32_e32 v5, v10, v5
	s_delay_alu instid0(VALU_DEP_1) | instskip(NEXT) | instid1(VALU_DEP_1)
	v_add_f32_e32 v10, v27, v5
	v_mul_f32_e32 v12, v9, v10
	s_delay_alu instid0(VALU_DEP_1) | instskip(NEXT) | instid1(VALU_DEP_1)
	v_dual_sub_f32 v26, v27, v10 :: v_dual_mul_f32 v23, v22, v12
	v_add_f32_e32 v5, v5, v26
	s_delay_alu instid0(VALU_DEP_2) | instskip(NEXT) | instid1(VALU_DEP_1)
	v_fma_f32 v22, v12, v22, -v23
	v_fmac_f32_e32 v22, v12, v11
	s_delay_alu instid0(VALU_DEP_1) | instskip(NEXT) | instid1(VALU_DEP_1)
	v_add_f32_e32 v11, v23, v22
	v_sub_f32_e32 v25, v10, v11
	s_delay_alu instid0(VALU_DEP_1) | instskip(NEXT) | instid1(VALU_DEP_1)
	v_dual_sub_f32 v23, v11, v23 :: v_dual_sub_f32 v10, v10, v25
	v_dual_sub_f32 v10, v10, v11 :: v_dual_sub_f32 v11, v23, v22
	s_delay_alu instid0(VALU_DEP_1) | instskip(NEXT) | instid1(VALU_DEP_1)
	v_dual_add_f32 v5, v5, v10 :: v_dual_add_f32 v10, v24, v12
	v_add_f32_e32 v5, v11, v5
	s_delay_alu instid0(VALU_DEP_2) | instskip(NEXT) | instid1(VALU_DEP_2)
	v_sub_f32_e32 v11, v10, v24
	v_add_f32_e32 v5, v25, v5
	s_delay_alu instid0(VALU_DEP_2) | instskip(NEXT) | instid1(VALU_DEP_2)
	v_sub_f32_e32 v11, v12, v11
	v_mul_f32_e32 v5, v9, v5
	s_delay_alu instid0(VALU_DEP_1) | instskip(NEXT) | instid1(VALU_DEP_1)
	v_add_f32_e32 v5, v11, v5
	v_add_f32_e32 v9, v10, v5
	s_delay_alu instid0(VALU_DEP_1) | instskip(NEXT) | instid1(VALU_DEP_1)
	v_mul_f32_e32 v11, v9, v9
	v_fmaak_f32 v12, s8, v11, 0x3ecc95a3
	v_cmp_gt_f32_e64 s8, 0x33800000, |v6|
	v_mul_f32_e32 v22, v9, v11
	s_delay_alu instid0(VALU_DEP_2) | instskip(NEXT) | instid1(VALU_DEP_3)
	s_or_b32 vcc_lo, vcc_lo, s8
	v_fmaak_f32 v11, v11, v12, 0x3f2aaada
	v_ldexp_f32 v12, v9, 1
	v_sub_f32_e32 v9, v9, v10
	s_delay_alu instid0(VALU_DEP_3) | instskip(NEXT) | instid1(VALU_DEP_1)
	v_dual_mul_f32 v11, v22, v11 :: v_dual_mul_f32 v22, 0x3f317218, v4
	v_dual_sub_f32 v5, v5, v9 :: v_dual_add_f32 v10, v12, v11
	s_delay_alu instid0(VALU_DEP_1) | instskip(NEXT) | instid1(VALU_DEP_2)
	v_ldexp_f32 v5, v5, 1
	v_sub_f32_e32 v9, v10, v12
	s_delay_alu instid0(VALU_DEP_4) | instskip(NEXT) | instid1(VALU_DEP_1)
	v_fma_f32 v12, 0x3f317218, v4, -v22
	v_dual_sub_f32 v9, v11, v9 :: v_dual_fmamk_f32 v4, v4, 0xb102e308, v12
	s_delay_alu instid0(VALU_DEP_1) | instskip(NEXT) | instid1(VALU_DEP_2)
	v_add_f32_e32 v5, v5, v9
	v_add_f32_e32 v9, v22, v4
	s_delay_alu instid0(VALU_DEP_1) | instskip(NEXT) | instid1(VALU_DEP_1)
	v_dual_add_f32 v11, v10, v5 :: v_dual_sub_f32 v22, v9, v22
	v_add_f32_e32 v12, v9, v11
	v_sub_f32_e32 v10, v11, v10
	s_delay_alu instid0(VALU_DEP_3) | instskip(NEXT) | instid1(VALU_DEP_3)
	v_sub_f32_e32 v4, v4, v22
	v_sub_f32_e32 v23, v12, v9
	s_delay_alu instid0(VALU_DEP_1) | instskip(NEXT) | instid1(VALU_DEP_1)
	v_dual_sub_f32 v5, v5, v10 :: v_dual_sub_f32 v24, v12, v23
	v_dual_sub_f32 v10, v11, v23 :: v_dual_add_f32 v11, v4, v5
	s_delay_alu instid0(VALU_DEP_2) | instskip(NEXT) | instid1(VALU_DEP_1)
	v_sub_f32_e32 v9, v9, v24
	v_dual_add_f32 v9, v10, v9 :: v_dual_sub_f32 v10, v11, v4
	s_delay_alu instid0(VALU_DEP_1) | instskip(NEXT) | instid1(VALU_DEP_2)
	v_add_f32_e32 v9, v11, v9
	v_sub_f32_e32 v11, v11, v10
	s_delay_alu instid0(VALU_DEP_2) | instskip(NEXT) | instid1(VALU_DEP_2)
	v_dual_sub_f32 v5, v5, v10 :: v_dual_add_f32 v22, v12, v9
	v_sub_f32_e32 v4, v4, v11
	s_delay_alu instid0(VALU_DEP_2) | instskip(NEXT) | instid1(VALU_DEP_2)
	v_sub_f32_e32 v10, v22, v12
	v_add_f32_e32 v4, v5, v4
	s_delay_alu instid0(VALU_DEP_2) | instskip(NEXT) | instid1(VALU_DEP_1)
	v_sub_f32_e32 v5, v9, v10
	v_add_f32_e32 v4, v4, v5
	s_delay_alu instid0(VALU_DEP_1) | instskip(NEXT) | instid1(VALU_DEP_1)
	v_add_f32_e32 v4, v22, v4
	v_cndmask_b32_e32 v4, v4, v6, vcc_lo
	s_delay_alu instid0(VALU_DEP_1)
	v_add_f32_e32 v22, v3, v4
.LBB126_20:
	s_or_b32 exec_lo, exec_lo, s7
	v_lshrrev_b32_e32 v3, 5, v0
	v_cmp_gt_u32_e32 vcc_lo, 32, v0
	s_delay_alu instid0(VALU_DEP_2)
	v_add_lshl_u32 v3, v3, v0, 2
	ds_store_b32 v3, v22
	s_waitcnt lgkmcnt(0)
	s_barrier
	buffer_gl0_inv
	s_and_saveexec_b32 s9, vcc_lo
	s_cbranch_execz .LBB126_72
; %bb.21:
	v_and_b32_e32 v3, 0xfc, v0
	s_delay_alu instid0(VALU_DEP_1)
	v_lshl_or_b32 v5, v0, 5, v3
	ds_load_2addr_b32 v[3:4], v5 offset1:1
	s_waitcnt lgkmcnt(0)
	v_dual_max_f32 v9, v4, v4 :: v_dual_max_f32 v6, v3, v3
	v_cmp_u_f32_e64 s7, v3, v3
	v_cmp_u_f32_e64 s8, v4, v4
	s_delay_alu instid0(VALU_DEP_3) | instskip(SKIP_1) | instid1(VALU_DEP_2)
	v_min_f32_e32 v10, v6, v9
	v_max_f32_e32 v9, v6, v9
	v_cndmask_b32_e64 v10, v10, v3, s7
	s_delay_alu instid0(VALU_DEP_2) | instskip(NEXT) | instid1(VALU_DEP_2)
	v_cndmask_b32_e64 v11, v9, v3, s7
	v_cndmask_b32_e64 v9, v10, v4, s8
	v_mov_b32_e32 v10, v3
	s_delay_alu instid0(VALU_DEP_3) | instskip(NEXT) | instid1(VALU_DEP_3)
	v_cndmask_b32_e64 v4, v11, v4, s8
	v_cmp_class_f32_e64 s29, v9, 0x1f8
	s_delay_alu instid0(VALU_DEP_2) | instskip(NEXT) | instid1(VALU_DEP_1)
	v_cmp_neq_f32_e64 s8, v9, v4
	s_or_b32 s8, s8, s29
	s_delay_alu instid0(SALU_CYCLE_1)
	s_and_saveexec_b32 s29, s8
	s_cbranch_execz .LBB126_23
; %bb.22:
	v_sub_f32_e32 v9, v9, v4
	s_delay_alu instid0(VALU_DEP_1) | instskip(NEXT) | instid1(VALU_DEP_1)
	v_mul_f32_e32 v10, 0x3fb8aa3b, v9
	v_fma_f32 v11, 0x3fb8aa3b, v9, -v10
	v_rndne_f32_e32 v12, v10
	s_delay_alu instid0(VALU_DEP_1) | instskip(NEXT) | instid1(VALU_DEP_1)
	v_dual_fmamk_f32 v11, v9, 0x32a5705f, v11 :: v_dual_sub_f32 v10, v10, v12
	v_add_f32_e32 v10, v10, v11
	v_cvt_i32_f32_e32 v11, v12
	v_cmp_ngt_f32_e64 s8, 0xc2ce8ed0, v9
	s_delay_alu instid0(VALU_DEP_3) | instskip(SKIP_2) | instid1(VALU_DEP_1)
	v_exp_f32_e32 v10, v10
	s_waitcnt_depctr 0xfff
	v_ldexp_f32 v10, v10, v11
	v_cndmask_b32_e64 v10, 0, v10, s8
	v_cmp_nlt_f32_e64 s8, 0x42b17218, v9
	s_delay_alu instid0(VALU_DEP_1) | instskip(NEXT) | instid1(VALU_DEP_1)
	v_cndmask_b32_e64 v11, 0x7f800000, v10, s8
	v_add_f32_e32 v12, 1.0, v11
	v_cmp_gt_f32_e64 s30, 0x33800000, |v11|
	s_delay_alu instid0(VALU_DEP_2) | instskip(NEXT) | instid1(VALU_DEP_1)
	v_cvt_f64_f32_e32 v[9:10], v12
	v_frexp_exp_i32_f64_e32 v9, v[9:10]
	v_frexp_mant_f32_e32 v10, v12
	s_delay_alu instid0(VALU_DEP_1) | instskip(SKIP_1) | instid1(VALU_DEP_1)
	v_cmp_gt_f32_e64 s8, 0x3f2aaaab, v10
	v_add_f32_e32 v10, -1.0, v12
	v_sub_f32_e32 v24, v10, v12
	s_delay_alu instid0(VALU_DEP_1) | instskip(NEXT) | instid1(VALU_DEP_4)
	v_add_f32_e32 v24, 1.0, v24
	v_subrev_co_ci_u32_e64 v9, s8, 0, v9, s8
	s_mov_b32 s8, 0x3e9b6dac
	s_delay_alu instid0(VALU_DEP_1) | instskip(SKIP_1) | instid1(VALU_DEP_2)
	v_sub_nc_u32_e32 v23, 0, v9
	v_cvt_f32_i32_e32 v9, v9
	v_ldexp_f32 v12, v12, v23
	s_delay_alu instid0(VALU_DEP_1) | instskip(NEXT) | instid1(VALU_DEP_1)
	v_dual_sub_f32 v10, v11, v10 :: v_dual_add_f32 v25, 1.0, v12
	v_add_f32_e32 v10, v10, v24
	s_delay_alu instid0(VALU_DEP_2) | instskip(NEXT) | instid1(VALU_DEP_2)
	v_add_f32_e32 v24, -1.0, v25
	v_ldexp_f32 v10, v10, v23
	v_add_f32_e32 v23, -1.0, v12
	s_delay_alu instid0(VALU_DEP_3) | instskip(NEXT) | instid1(VALU_DEP_2)
	v_sub_f32_e32 v24, v12, v24
	v_add_f32_e32 v26, 1.0, v23
	s_delay_alu instid0(VALU_DEP_2) | instskip(NEXT) | instid1(VALU_DEP_2)
	v_add_f32_e32 v24, v10, v24
	v_sub_f32_e32 v12, v12, v26
	s_delay_alu instid0(VALU_DEP_2) | instskip(NEXT) | instid1(VALU_DEP_2)
	v_add_f32_e32 v26, v25, v24
	v_add_f32_e32 v10, v10, v12
	s_delay_alu instid0(VALU_DEP_2) | instskip(SKIP_1) | instid1(VALU_DEP_1)
	v_rcp_f32_e32 v12, v26
	v_sub_f32_e32 v25, v25, v26
	v_dual_add_f32 v27, v23, v10 :: v_dual_add_f32 v24, v24, v25
	s_delay_alu instid0(VALU_DEP_1) | instskip(SKIP_3) | instid1(VALU_DEP_2)
	v_sub_f32_e32 v23, v23, v27
	s_waitcnt_depctr 0xfff
	v_mul_f32_e32 v28, v27, v12
	v_add_f32_e32 v10, v10, v23
	v_mul_f32_e32 v29, v26, v28
	s_delay_alu instid0(VALU_DEP_1) | instskip(NEXT) | instid1(VALU_DEP_1)
	v_fma_f32 v25, v28, v26, -v29
	v_fmac_f32_e32 v25, v28, v24
	s_delay_alu instid0(VALU_DEP_1) | instskip(NEXT) | instid1(VALU_DEP_1)
	v_add_f32_e32 v30, v29, v25
	v_sub_f32_e32 v31, v27, v30
	v_sub_f32_e32 v23, v30, v29
	s_delay_alu instid0(VALU_DEP_2) | instskip(NEXT) | instid1(VALU_DEP_2)
	v_sub_f32_e32 v27, v27, v31
	v_sub_f32_e32 v23, v23, v25
	s_delay_alu instid0(VALU_DEP_2) | instskip(NEXT) | instid1(VALU_DEP_1)
	v_sub_f32_e32 v27, v27, v30
	v_add_f32_e32 v10, v10, v27
	s_delay_alu instid0(VALU_DEP_1) | instskip(NEXT) | instid1(VALU_DEP_1)
	v_add_f32_e32 v10, v23, v10
	v_add_f32_e32 v23, v31, v10
	s_delay_alu instid0(VALU_DEP_1) | instskip(NEXT) | instid1(VALU_DEP_1)
	v_mul_f32_e32 v25, v12, v23
	v_dual_sub_f32 v30, v31, v23 :: v_dual_mul_f32 v27, v26, v25
	s_delay_alu instid0(VALU_DEP_1) | instskip(NEXT) | instid1(VALU_DEP_1)
	v_fma_f32 v26, v25, v26, -v27
	v_fmac_f32_e32 v26, v25, v24
	s_delay_alu instid0(VALU_DEP_1) | instskip(NEXT) | instid1(VALU_DEP_1)
	v_add_f32_e32 v24, v27, v26
	v_sub_f32_e32 v29, v23, v24
	v_dual_sub_f32 v27, v24, v27 :: v_dual_add_f32 v10, v10, v30
	s_delay_alu instid0(VALU_DEP_2) | instskip(NEXT) | instid1(VALU_DEP_1)
	v_sub_f32_e32 v23, v23, v29
	v_sub_f32_e32 v23, v23, v24
	s_delay_alu instid0(VALU_DEP_1) | instskip(NEXT) | instid1(VALU_DEP_4)
	v_dual_add_f32 v10, v10, v23 :: v_dual_add_f32 v23, v28, v25
	v_sub_f32_e32 v24, v27, v26
	s_delay_alu instid0(VALU_DEP_1) | instskip(NEXT) | instid1(VALU_DEP_3)
	v_add_f32_e32 v10, v24, v10
	v_sub_f32_e32 v24, v23, v28
	s_delay_alu instid0(VALU_DEP_2) | instskip(NEXT) | instid1(VALU_DEP_2)
	v_add_f32_e32 v10, v29, v10
	v_sub_f32_e32 v24, v25, v24
	s_delay_alu instid0(VALU_DEP_2) | instskip(NEXT) | instid1(VALU_DEP_1)
	v_mul_f32_e32 v10, v12, v10
	v_add_f32_e32 v10, v24, v10
	s_delay_alu instid0(VALU_DEP_1) | instskip(NEXT) | instid1(VALU_DEP_1)
	v_add_f32_e32 v12, v23, v10
	v_mul_f32_e32 v24, v12, v12
	s_delay_alu instid0(VALU_DEP_1) | instskip(SKIP_2) | instid1(VALU_DEP_3)
	v_fmaak_f32 v25, s8, v24, 0x3ecc95a3
	v_mul_f32_e32 v26, v12, v24
	v_cmp_eq_f32_e64 s8, 0x7f800000, v11
	v_fmaak_f32 v24, v24, v25, 0x3f2aaada
	v_ldexp_f32 v25, v12, 1
	v_sub_f32_e32 v12, v12, v23
	s_delay_alu instid0(VALU_DEP_4) | instskip(NEXT) | instid1(VALU_DEP_3)
	s_or_b32 s8, s8, s30
	v_mul_f32_e32 v24, v26, v24
	v_mul_f32_e32 v26, 0x3f317218, v9
	s_delay_alu instid0(VALU_DEP_3) | instskip(NEXT) | instid1(VALU_DEP_3)
	v_sub_f32_e32 v10, v10, v12
	v_add_f32_e32 v23, v25, v24
	s_delay_alu instid0(VALU_DEP_2) | instskip(NEXT) | instid1(VALU_DEP_2)
	v_ldexp_f32 v10, v10, 1
	v_sub_f32_e32 v12, v23, v25
	v_fma_f32 v25, 0x3f317218, v9, -v26
	s_delay_alu instid0(VALU_DEP_1) | instskip(NEXT) | instid1(VALU_DEP_1)
	v_dual_sub_f32 v12, v24, v12 :: v_dual_fmamk_f32 v9, v9, 0xb102e308, v25
	v_add_f32_e32 v10, v10, v12
	s_delay_alu instid0(VALU_DEP_2) | instskip(NEXT) | instid1(VALU_DEP_2)
	v_add_f32_e32 v12, v26, v9
	v_add_f32_e32 v24, v23, v10
	s_delay_alu instid0(VALU_DEP_2) | instskip(NEXT) | instid1(VALU_DEP_2)
	v_sub_f32_e32 v26, v12, v26
	v_add_f32_e32 v25, v12, v24
	v_sub_f32_e32 v23, v24, v23
	s_delay_alu instid0(VALU_DEP_3) | instskip(NEXT) | instid1(VALU_DEP_2)
	v_sub_f32_e32 v9, v9, v26
	v_dual_sub_f32 v27, v25, v12 :: v_dual_sub_f32 v10, v10, v23
	s_delay_alu instid0(VALU_DEP_1) | instskip(NEXT) | instid1(VALU_DEP_2)
	v_sub_f32_e32 v28, v25, v27
	v_dual_sub_f32 v23, v24, v27 :: v_dual_add_f32 v24, v9, v10
	s_delay_alu instid0(VALU_DEP_2) | instskip(NEXT) | instid1(VALU_DEP_1)
	v_sub_f32_e32 v12, v12, v28
	v_dual_add_f32 v12, v23, v12 :: v_dual_sub_f32 v23, v24, v9
	s_delay_alu instid0(VALU_DEP_1) | instskip(NEXT) | instid1(VALU_DEP_2)
	v_add_f32_e32 v12, v24, v12
	v_sub_f32_e32 v24, v24, v23
	v_sub_f32_e32 v10, v10, v23
	s_delay_alu instid0(VALU_DEP_3) | instskip(NEXT) | instid1(VALU_DEP_3)
	v_add_f32_e32 v26, v25, v12
	v_sub_f32_e32 v9, v9, v24
	s_delay_alu instid0(VALU_DEP_2) | instskip(NEXT) | instid1(VALU_DEP_1)
	v_sub_f32_e32 v23, v26, v25
	v_dual_add_f32 v9, v10, v9 :: v_dual_sub_f32 v10, v12, v23
	s_delay_alu instid0(VALU_DEP_1) | instskip(NEXT) | instid1(VALU_DEP_1)
	v_add_f32_e32 v9, v9, v10
	v_add_f32_e32 v9, v26, v9
	s_delay_alu instid0(VALU_DEP_1) | instskip(NEXT) | instid1(VALU_DEP_1)
	v_cndmask_b32_e64 v9, v9, v11, s8
	v_add_f32_e32 v10, v4, v9
.LBB126_23:
	s_or_b32 exec_lo, exec_lo, s29
	ds_load_b32 v4, v5 offset:8
	v_max_f32_e32 v9, v10, v10
	v_cmp_u_f32_e64 s8, v10, v10
	s_waitcnt lgkmcnt(0)
	v_max_f32_e32 v11, v4, v4
	s_delay_alu instid0(VALU_DEP_1) | instskip(SKIP_1) | instid1(VALU_DEP_2)
	v_min_f32_e32 v12, v9, v11
	v_max_f32_e32 v9, v9, v11
	v_cndmask_b32_e64 v11, v12, v10, s8
	s_delay_alu instid0(VALU_DEP_2) | instskip(SKIP_1) | instid1(VALU_DEP_1)
	v_cndmask_b32_e64 v12, v9, v10, s8
	v_cmp_u_f32_e64 s8, v4, v4
	v_cndmask_b32_e64 v9, v11, v4, s8
	s_delay_alu instid0(VALU_DEP_3) | instskip(NEXT) | instid1(VALU_DEP_2)
	v_cndmask_b32_e64 v4, v12, v4, s8
	v_cmp_class_f32_e64 s29, v9, 0x1f8
	s_delay_alu instid0(VALU_DEP_2) | instskip(NEXT) | instid1(VALU_DEP_1)
	v_cmp_neq_f32_e64 s8, v9, v4
	s_or_b32 s8, s8, s29
	s_delay_alu instid0(SALU_CYCLE_1)
	s_and_saveexec_b32 s29, s8
	s_cbranch_execz .LBB126_25
; %bb.24:
	v_sub_f32_e32 v9, v9, v4
	s_delay_alu instid0(VALU_DEP_1) | instskip(NEXT) | instid1(VALU_DEP_1)
	v_mul_f32_e32 v10, 0x3fb8aa3b, v9
	v_fma_f32 v11, 0x3fb8aa3b, v9, -v10
	v_rndne_f32_e32 v12, v10
	s_delay_alu instid0(VALU_DEP_1) | instskip(NEXT) | instid1(VALU_DEP_1)
	v_dual_fmamk_f32 v11, v9, 0x32a5705f, v11 :: v_dual_sub_f32 v10, v10, v12
	v_add_f32_e32 v10, v10, v11
	v_cvt_i32_f32_e32 v11, v12
	v_cmp_ngt_f32_e64 s8, 0xc2ce8ed0, v9
	s_delay_alu instid0(VALU_DEP_3) | instskip(SKIP_2) | instid1(VALU_DEP_1)
	v_exp_f32_e32 v10, v10
	s_waitcnt_depctr 0xfff
	v_ldexp_f32 v10, v10, v11
	v_cndmask_b32_e64 v10, 0, v10, s8
	v_cmp_nlt_f32_e64 s8, 0x42b17218, v9
	s_delay_alu instid0(VALU_DEP_1) | instskip(NEXT) | instid1(VALU_DEP_1)
	v_cndmask_b32_e64 v11, 0x7f800000, v10, s8
	v_add_f32_e32 v12, 1.0, v11
	v_cmp_gt_f32_e64 s30, 0x33800000, |v11|
	s_delay_alu instid0(VALU_DEP_2) | instskip(NEXT) | instid1(VALU_DEP_1)
	v_cvt_f64_f32_e32 v[9:10], v12
	v_frexp_exp_i32_f64_e32 v9, v[9:10]
	v_frexp_mant_f32_e32 v10, v12
	s_delay_alu instid0(VALU_DEP_1) | instskip(SKIP_1) | instid1(VALU_DEP_1)
	v_cmp_gt_f32_e64 s8, 0x3f2aaaab, v10
	v_add_f32_e32 v10, -1.0, v12
	v_sub_f32_e32 v24, v10, v12
	s_delay_alu instid0(VALU_DEP_1) | instskip(NEXT) | instid1(VALU_DEP_4)
	v_add_f32_e32 v24, 1.0, v24
	v_subrev_co_ci_u32_e64 v9, s8, 0, v9, s8
	s_mov_b32 s8, 0x3e9b6dac
	s_delay_alu instid0(VALU_DEP_1) | instskip(SKIP_1) | instid1(VALU_DEP_2)
	v_sub_nc_u32_e32 v23, 0, v9
	v_cvt_f32_i32_e32 v9, v9
	v_ldexp_f32 v12, v12, v23
	s_delay_alu instid0(VALU_DEP_1) | instskip(NEXT) | instid1(VALU_DEP_1)
	v_dual_sub_f32 v10, v11, v10 :: v_dual_add_f32 v25, 1.0, v12
	v_add_f32_e32 v10, v10, v24
	s_delay_alu instid0(VALU_DEP_2) | instskip(NEXT) | instid1(VALU_DEP_2)
	v_add_f32_e32 v24, -1.0, v25
	v_ldexp_f32 v10, v10, v23
	v_add_f32_e32 v23, -1.0, v12
	s_delay_alu instid0(VALU_DEP_3) | instskip(NEXT) | instid1(VALU_DEP_2)
	v_sub_f32_e32 v24, v12, v24
	v_add_f32_e32 v26, 1.0, v23
	s_delay_alu instid0(VALU_DEP_2) | instskip(NEXT) | instid1(VALU_DEP_2)
	v_add_f32_e32 v24, v10, v24
	v_sub_f32_e32 v12, v12, v26
	s_delay_alu instid0(VALU_DEP_2) | instskip(NEXT) | instid1(VALU_DEP_2)
	v_add_f32_e32 v26, v25, v24
	v_add_f32_e32 v10, v10, v12
	s_delay_alu instid0(VALU_DEP_2) | instskip(SKIP_1) | instid1(VALU_DEP_1)
	v_rcp_f32_e32 v12, v26
	v_sub_f32_e32 v25, v25, v26
	v_dual_add_f32 v27, v23, v10 :: v_dual_add_f32 v24, v24, v25
	s_delay_alu instid0(VALU_DEP_1) | instskip(SKIP_3) | instid1(VALU_DEP_2)
	v_sub_f32_e32 v23, v23, v27
	s_waitcnt_depctr 0xfff
	v_mul_f32_e32 v28, v27, v12
	v_add_f32_e32 v10, v10, v23
	v_mul_f32_e32 v29, v26, v28
	s_delay_alu instid0(VALU_DEP_1) | instskip(NEXT) | instid1(VALU_DEP_1)
	v_fma_f32 v25, v28, v26, -v29
	v_fmac_f32_e32 v25, v28, v24
	s_delay_alu instid0(VALU_DEP_1) | instskip(NEXT) | instid1(VALU_DEP_1)
	v_add_f32_e32 v30, v29, v25
	v_sub_f32_e32 v31, v27, v30
	v_sub_f32_e32 v23, v30, v29
	s_delay_alu instid0(VALU_DEP_2) | instskip(NEXT) | instid1(VALU_DEP_2)
	v_sub_f32_e32 v27, v27, v31
	v_sub_f32_e32 v23, v23, v25
	s_delay_alu instid0(VALU_DEP_2) | instskip(NEXT) | instid1(VALU_DEP_1)
	v_sub_f32_e32 v27, v27, v30
	v_add_f32_e32 v10, v10, v27
	s_delay_alu instid0(VALU_DEP_1) | instskip(NEXT) | instid1(VALU_DEP_1)
	v_add_f32_e32 v10, v23, v10
	v_add_f32_e32 v23, v31, v10
	s_delay_alu instid0(VALU_DEP_1) | instskip(NEXT) | instid1(VALU_DEP_1)
	v_mul_f32_e32 v25, v12, v23
	v_dual_sub_f32 v30, v31, v23 :: v_dual_mul_f32 v27, v26, v25
	s_delay_alu instid0(VALU_DEP_1) | instskip(NEXT) | instid1(VALU_DEP_1)
	v_fma_f32 v26, v25, v26, -v27
	v_fmac_f32_e32 v26, v25, v24
	s_delay_alu instid0(VALU_DEP_1) | instskip(NEXT) | instid1(VALU_DEP_1)
	v_add_f32_e32 v24, v27, v26
	v_sub_f32_e32 v29, v23, v24
	v_dual_sub_f32 v27, v24, v27 :: v_dual_add_f32 v10, v10, v30
	s_delay_alu instid0(VALU_DEP_2) | instskip(NEXT) | instid1(VALU_DEP_1)
	v_sub_f32_e32 v23, v23, v29
	v_sub_f32_e32 v23, v23, v24
	s_delay_alu instid0(VALU_DEP_1) | instskip(NEXT) | instid1(VALU_DEP_4)
	v_dual_add_f32 v10, v10, v23 :: v_dual_add_f32 v23, v28, v25
	v_sub_f32_e32 v24, v27, v26
	s_delay_alu instid0(VALU_DEP_1) | instskip(NEXT) | instid1(VALU_DEP_3)
	v_add_f32_e32 v10, v24, v10
	v_sub_f32_e32 v24, v23, v28
	s_delay_alu instid0(VALU_DEP_2) | instskip(NEXT) | instid1(VALU_DEP_2)
	v_add_f32_e32 v10, v29, v10
	v_sub_f32_e32 v24, v25, v24
	s_delay_alu instid0(VALU_DEP_2) | instskip(NEXT) | instid1(VALU_DEP_1)
	v_mul_f32_e32 v10, v12, v10
	v_add_f32_e32 v10, v24, v10
	s_delay_alu instid0(VALU_DEP_1) | instskip(NEXT) | instid1(VALU_DEP_1)
	v_add_f32_e32 v12, v23, v10
	v_mul_f32_e32 v24, v12, v12
	s_delay_alu instid0(VALU_DEP_1) | instskip(SKIP_2) | instid1(VALU_DEP_3)
	v_fmaak_f32 v25, s8, v24, 0x3ecc95a3
	v_mul_f32_e32 v26, v12, v24
	v_cmp_eq_f32_e64 s8, 0x7f800000, v11
	v_fmaak_f32 v24, v24, v25, 0x3f2aaada
	v_ldexp_f32 v25, v12, 1
	v_sub_f32_e32 v12, v12, v23
	s_delay_alu instid0(VALU_DEP_4) | instskip(NEXT) | instid1(VALU_DEP_3)
	s_or_b32 s8, s8, s30
	v_mul_f32_e32 v24, v26, v24
	v_mul_f32_e32 v26, 0x3f317218, v9
	s_delay_alu instid0(VALU_DEP_3) | instskip(NEXT) | instid1(VALU_DEP_3)
	v_sub_f32_e32 v10, v10, v12
	v_add_f32_e32 v23, v25, v24
	s_delay_alu instid0(VALU_DEP_2) | instskip(NEXT) | instid1(VALU_DEP_2)
	v_ldexp_f32 v10, v10, 1
	v_sub_f32_e32 v12, v23, v25
	v_fma_f32 v25, 0x3f317218, v9, -v26
	s_delay_alu instid0(VALU_DEP_1) | instskip(NEXT) | instid1(VALU_DEP_1)
	v_dual_sub_f32 v12, v24, v12 :: v_dual_fmamk_f32 v9, v9, 0xb102e308, v25
	v_add_f32_e32 v10, v10, v12
	s_delay_alu instid0(VALU_DEP_2) | instskip(NEXT) | instid1(VALU_DEP_2)
	v_add_f32_e32 v12, v26, v9
	v_add_f32_e32 v24, v23, v10
	s_delay_alu instid0(VALU_DEP_2) | instskip(NEXT) | instid1(VALU_DEP_2)
	v_sub_f32_e32 v26, v12, v26
	v_add_f32_e32 v25, v12, v24
	v_sub_f32_e32 v23, v24, v23
	s_delay_alu instid0(VALU_DEP_3) | instskip(NEXT) | instid1(VALU_DEP_2)
	v_sub_f32_e32 v9, v9, v26
	v_dual_sub_f32 v27, v25, v12 :: v_dual_sub_f32 v10, v10, v23
	s_delay_alu instid0(VALU_DEP_1) | instskip(NEXT) | instid1(VALU_DEP_2)
	v_sub_f32_e32 v28, v25, v27
	v_dual_sub_f32 v23, v24, v27 :: v_dual_add_f32 v24, v9, v10
	s_delay_alu instid0(VALU_DEP_2) | instskip(NEXT) | instid1(VALU_DEP_1)
	v_sub_f32_e32 v12, v12, v28
	v_dual_add_f32 v12, v23, v12 :: v_dual_sub_f32 v23, v24, v9
	s_delay_alu instid0(VALU_DEP_1) | instskip(NEXT) | instid1(VALU_DEP_2)
	v_add_f32_e32 v12, v24, v12
	v_sub_f32_e32 v24, v24, v23
	v_sub_f32_e32 v10, v10, v23
	s_delay_alu instid0(VALU_DEP_3) | instskip(NEXT) | instid1(VALU_DEP_3)
	v_add_f32_e32 v26, v25, v12
	v_sub_f32_e32 v9, v9, v24
	s_delay_alu instid0(VALU_DEP_2) | instskip(NEXT) | instid1(VALU_DEP_1)
	v_sub_f32_e32 v23, v26, v25
	v_dual_add_f32 v9, v10, v9 :: v_dual_sub_f32 v10, v12, v23
	s_delay_alu instid0(VALU_DEP_1) | instskip(NEXT) | instid1(VALU_DEP_1)
	v_add_f32_e32 v9, v9, v10
	v_add_f32_e32 v9, v26, v9
	s_delay_alu instid0(VALU_DEP_1) | instskip(NEXT) | instid1(VALU_DEP_1)
	v_cndmask_b32_e64 v9, v9, v11, s8
	v_add_f32_e32 v10, v4, v9
.LBB126_25:
	s_or_b32 exec_lo, exec_lo, s29
	ds_load_b32 v4, v5 offset:12
	v_max_f32_e32 v9, v10, v10
	v_cmp_u_f32_e64 s8, v10, v10
	s_waitcnt lgkmcnt(0)
	v_max_f32_e32 v11, v4, v4
	s_delay_alu instid0(VALU_DEP_1) | instskip(SKIP_1) | instid1(VALU_DEP_2)
	v_min_f32_e32 v12, v9, v11
	v_max_f32_e32 v9, v9, v11
	v_cndmask_b32_e64 v11, v12, v10, s8
	s_delay_alu instid0(VALU_DEP_2) | instskip(SKIP_1) | instid1(VALU_DEP_1)
	v_cndmask_b32_e64 v12, v9, v10, s8
	v_cmp_u_f32_e64 s8, v4, v4
	v_cndmask_b32_e64 v9, v11, v4, s8
	s_delay_alu instid0(VALU_DEP_3) | instskip(NEXT) | instid1(VALU_DEP_2)
	v_cndmask_b32_e64 v4, v12, v4, s8
	v_cmp_class_f32_e64 s29, v9, 0x1f8
	s_delay_alu instid0(VALU_DEP_2) | instskip(NEXT) | instid1(VALU_DEP_1)
	v_cmp_neq_f32_e64 s8, v9, v4
	s_or_b32 s8, s8, s29
	s_delay_alu instid0(SALU_CYCLE_1)
	s_and_saveexec_b32 s29, s8
	s_cbranch_execz .LBB126_27
; %bb.26:
	v_sub_f32_e32 v9, v9, v4
	s_delay_alu instid0(VALU_DEP_1) | instskip(NEXT) | instid1(VALU_DEP_1)
	v_mul_f32_e32 v10, 0x3fb8aa3b, v9
	v_fma_f32 v11, 0x3fb8aa3b, v9, -v10
	v_rndne_f32_e32 v12, v10
	s_delay_alu instid0(VALU_DEP_1) | instskip(NEXT) | instid1(VALU_DEP_1)
	v_dual_fmamk_f32 v11, v9, 0x32a5705f, v11 :: v_dual_sub_f32 v10, v10, v12
	v_add_f32_e32 v10, v10, v11
	v_cvt_i32_f32_e32 v11, v12
	v_cmp_ngt_f32_e64 s8, 0xc2ce8ed0, v9
	s_delay_alu instid0(VALU_DEP_3) | instskip(SKIP_2) | instid1(VALU_DEP_1)
	v_exp_f32_e32 v10, v10
	s_waitcnt_depctr 0xfff
	v_ldexp_f32 v10, v10, v11
	v_cndmask_b32_e64 v10, 0, v10, s8
	v_cmp_nlt_f32_e64 s8, 0x42b17218, v9
	s_delay_alu instid0(VALU_DEP_1) | instskip(NEXT) | instid1(VALU_DEP_1)
	v_cndmask_b32_e64 v11, 0x7f800000, v10, s8
	v_add_f32_e32 v12, 1.0, v11
	v_cmp_gt_f32_e64 s30, 0x33800000, |v11|
	s_delay_alu instid0(VALU_DEP_2) | instskip(NEXT) | instid1(VALU_DEP_1)
	v_cvt_f64_f32_e32 v[9:10], v12
	v_frexp_exp_i32_f64_e32 v9, v[9:10]
	v_frexp_mant_f32_e32 v10, v12
	s_delay_alu instid0(VALU_DEP_1) | instskip(SKIP_1) | instid1(VALU_DEP_1)
	v_cmp_gt_f32_e64 s8, 0x3f2aaaab, v10
	v_add_f32_e32 v10, -1.0, v12
	v_sub_f32_e32 v24, v10, v12
	s_delay_alu instid0(VALU_DEP_1) | instskip(NEXT) | instid1(VALU_DEP_4)
	v_add_f32_e32 v24, 1.0, v24
	v_subrev_co_ci_u32_e64 v9, s8, 0, v9, s8
	s_mov_b32 s8, 0x3e9b6dac
	s_delay_alu instid0(VALU_DEP_1) | instskip(SKIP_1) | instid1(VALU_DEP_2)
	v_sub_nc_u32_e32 v23, 0, v9
	v_cvt_f32_i32_e32 v9, v9
	v_ldexp_f32 v12, v12, v23
	s_delay_alu instid0(VALU_DEP_1) | instskip(NEXT) | instid1(VALU_DEP_1)
	v_dual_sub_f32 v10, v11, v10 :: v_dual_add_f32 v25, 1.0, v12
	v_add_f32_e32 v10, v10, v24
	s_delay_alu instid0(VALU_DEP_2) | instskip(NEXT) | instid1(VALU_DEP_2)
	v_add_f32_e32 v24, -1.0, v25
	v_ldexp_f32 v10, v10, v23
	v_add_f32_e32 v23, -1.0, v12
	s_delay_alu instid0(VALU_DEP_3) | instskip(NEXT) | instid1(VALU_DEP_2)
	v_sub_f32_e32 v24, v12, v24
	v_add_f32_e32 v26, 1.0, v23
	s_delay_alu instid0(VALU_DEP_2) | instskip(NEXT) | instid1(VALU_DEP_2)
	v_add_f32_e32 v24, v10, v24
	v_sub_f32_e32 v12, v12, v26
	s_delay_alu instid0(VALU_DEP_2) | instskip(NEXT) | instid1(VALU_DEP_2)
	v_add_f32_e32 v26, v25, v24
	v_add_f32_e32 v10, v10, v12
	s_delay_alu instid0(VALU_DEP_2) | instskip(SKIP_1) | instid1(VALU_DEP_1)
	v_rcp_f32_e32 v12, v26
	v_sub_f32_e32 v25, v25, v26
	v_dual_add_f32 v27, v23, v10 :: v_dual_add_f32 v24, v24, v25
	s_delay_alu instid0(VALU_DEP_1) | instskip(SKIP_3) | instid1(VALU_DEP_2)
	v_sub_f32_e32 v23, v23, v27
	s_waitcnt_depctr 0xfff
	v_mul_f32_e32 v28, v27, v12
	v_add_f32_e32 v10, v10, v23
	v_mul_f32_e32 v29, v26, v28
	s_delay_alu instid0(VALU_DEP_1) | instskip(NEXT) | instid1(VALU_DEP_1)
	v_fma_f32 v25, v28, v26, -v29
	v_fmac_f32_e32 v25, v28, v24
	s_delay_alu instid0(VALU_DEP_1) | instskip(NEXT) | instid1(VALU_DEP_1)
	v_add_f32_e32 v30, v29, v25
	v_sub_f32_e32 v31, v27, v30
	v_sub_f32_e32 v23, v30, v29
	s_delay_alu instid0(VALU_DEP_2) | instskip(NEXT) | instid1(VALU_DEP_2)
	v_sub_f32_e32 v27, v27, v31
	v_sub_f32_e32 v23, v23, v25
	s_delay_alu instid0(VALU_DEP_2) | instskip(NEXT) | instid1(VALU_DEP_1)
	v_sub_f32_e32 v27, v27, v30
	v_add_f32_e32 v10, v10, v27
	s_delay_alu instid0(VALU_DEP_1) | instskip(NEXT) | instid1(VALU_DEP_1)
	v_add_f32_e32 v10, v23, v10
	v_add_f32_e32 v23, v31, v10
	s_delay_alu instid0(VALU_DEP_1) | instskip(NEXT) | instid1(VALU_DEP_1)
	v_mul_f32_e32 v25, v12, v23
	v_dual_sub_f32 v30, v31, v23 :: v_dual_mul_f32 v27, v26, v25
	s_delay_alu instid0(VALU_DEP_1) | instskip(NEXT) | instid1(VALU_DEP_1)
	v_fma_f32 v26, v25, v26, -v27
	v_fmac_f32_e32 v26, v25, v24
	s_delay_alu instid0(VALU_DEP_1) | instskip(NEXT) | instid1(VALU_DEP_1)
	v_add_f32_e32 v24, v27, v26
	v_sub_f32_e32 v29, v23, v24
	v_dual_sub_f32 v27, v24, v27 :: v_dual_add_f32 v10, v10, v30
	s_delay_alu instid0(VALU_DEP_2) | instskip(NEXT) | instid1(VALU_DEP_1)
	v_sub_f32_e32 v23, v23, v29
	v_sub_f32_e32 v23, v23, v24
	s_delay_alu instid0(VALU_DEP_1) | instskip(NEXT) | instid1(VALU_DEP_4)
	v_dual_add_f32 v10, v10, v23 :: v_dual_add_f32 v23, v28, v25
	v_sub_f32_e32 v24, v27, v26
	s_delay_alu instid0(VALU_DEP_1) | instskip(NEXT) | instid1(VALU_DEP_3)
	v_add_f32_e32 v10, v24, v10
	v_sub_f32_e32 v24, v23, v28
	s_delay_alu instid0(VALU_DEP_2) | instskip(NEXT) | instid1(VALU_DEP_2)
	v_add_f32_e32 v10, v29, v10
	v_sub_f32_e32 v24, v25, v24
	s_delay_alu instid0(VALU_DEP_2) | instskip(NEXT) | instid1(VALU_DEP_1)
	v_mul_f32_e32 v10, v12, v10
	v_add_f32_e32 v10, v24, v10
	s_delay_alu instid0(VALU_DEP_1) | instskip(NEXT) | instid1(VALU_DEP_1)
	v_add_f32_e32 v12, v23, v10
	v_mul_f32_e32 v24, v12, v12
	s_delay_alu instid0(VALU_DEP_1) | instskip(SKIP_2) | instid1(VALU_DEP_3)
	v_fmaak_f32 v25, s8, v24, 0x3ecc95a3
	v_mul_f32_e32 v26, v12, v24
	v_cmp_eq_f32_e64 s8, 0x7f800000, v11
	v_fmaak_f32 v24, v24, v25, 0x3f2aaada
	v_ldexp_f32 v25, v12, 1
	v_sub_f32_e32 v12, v12, v23
	s_delay_alu instid0(VALU_DEP_4) | instskip(NEXT) | instid1(VALU_DEP_3)
	s_or_b32 s8, s8, s30
	v_mul_f32_e32 v24, v26, v24
	v_mul_f32_e32 v26, 0x3f317218, v9
	s_delay_alu instid0(VALU_DEP_3) | instskip(NEXT) | instid1(VALU_DEP_3)
	v_sub_f32_e32 v10, v10, v12
	v_add_f32_e32 v23, v25, v24
	s_delay_alu instid0(VALU_DEP_2) | instskip(NEXT) | instid1(VALU_DEP_2)
	v_ldexp_f32 v10, v10, 1
	v_sub_f32_e32 v12, v23, v25
	v_fma_f32 v25, 0x3f317218, v9, -v26
	s_delay_alu instid0(VALU_DEP_1) | instskip(NEXT) | instid1(VALU_DEP_1)
	v_dual_sub_f32 v12, v24, v12 :: v_dual_fmamk_f32 v9, v9, 0xb102e308, v25
	v_add_f32_e32 v10, v10, v12
	s_delay_alu instid0(VALU_DEP_2) | instskip(NEXT) | instid1(VALU_DEP_2)
	v_add_f32_e32 v12, v26, v9
	v_add_f32_e32 v24, v23, v10
	s_delay_alu instid0(VALU_DEP_2) | instskip(NEXT) | instid1(VALU_DEP_2)
	v_sub_f32_e32 v26, v12, v26
	v_add_f32_e32 v25, v12, v24
	v_sub_f32_e32 v23, v24, v23
	s_delay_alu instid0(VALU_DEP_3) | instskip(NEXT) | instid1(VALU_DEP_2)
	v_sub_f32_e32 v9, v9, v26
	v_dual_sub_f32 v27, v25, v12 :: v_dual_sub_f32 v10, v10, v23
	s_delay_alu instid0(VALU_DEP_1) | instskip(NEXT) | instid1(VALU_DEP_2)
	v_sub_f32_e32 v28, v25, v27
	v_dual_sub_f32 v23, v24, v27 :: v_dual_add_f32 v24, v9, v10
	s_delay_alu instid0(VALU_DEP_2) | instskip(NEXT) | instid1(VALU_DEP_1)
	v_sub_f32_e32 v12, v12, v28
	v_dual_add_f32 v12, v23, v12 :: v_dual_sub_f32 v23, v24, v9
	s_delay_alu instid0(VALU_DEP_1) | instskip(NEXT) | instid1(VALU_DEP_2)
	v_add_f32_e32 v12, v24, v12
	v_sub_f32_e32 v24, v24, v23
	v_sub_f32_e32 v10, v10, v23
	s_delay_alu instid0(VALU_DEP_3) | instskip(NEXT) | instid1(VALU_DEP_3)
	v_add_f32_e32 v26, v25, v12
	v_sub_f32_e32 v9, v9, v24
	s_delay_alu instid0(VALU_DEP_2) | instskip(NEXT) | instid1(VALU_DEP_1)
	v_sub_f32_e32 v23, v26, v25
	v_dual_add_f32 v9, v10, v9 :: v_dual_sub_f32 v10, v12, v23
	s_delay_alu instid0(VALU_DEP_1) | instskip(NEXT) | instid1(VALU_DEP_1)
	v_add_f32_e32 v9, v9, v10
	v_add_f32_e32 v9, v26, v9
	s_delay_alu instid0(VALU_DEP_1) | instskip(NEXT) | instid1(VALU_DEP_1)
	v_cndmask_b32_e64 v9, v9, v11, s8
	v_add_f32_e32 v10, v4, v9
.LBB126_27:
	s_or_b32 exec_lo, exec_lo, s29
	ds_load_b32 v4, v5 offset:16
	v_max_f32_e32 v9, v10, v10
	v_cmp_u_f32_e64 s8, v10, v10
	s_waitcnt lgkmcnt(0)
	v_max_f32_e32 v11, v4, v4
	s_delay_alu instid0(VALU_DEP_1) | instskip(SKIP_1) | instid1(VALU_DEP_2)
	v_min_f32_e32 v12, v9, v11
	v_max_f32_e32 v9, v9, v11
	v_cndmask_b32_e64 v11, v12, v10, s8
	s_delay_alu instid0(VALU_DEP_2) | instskip(SKIP_1) | instid1(VALU_DEP_1)
	v_cndmask_b32_e64 v12, v9, v10, s8
	v_cmp_u_f32_e64 s8, v4, v4
	v_cndmask_b32_e64 v9, v11, v4, s8
	s_delay_alu instid0(VALU_DEP_3) | instskip(NEXT) | instid1(VALU_DEP_2)
	v_cndmask_b32_e64 v4, v12, v4, s8
	v_cmp_class_f32_e64 s29, v9, 0x1f8
	s_delay_alu instid0(VALU_DEP_2) | instskip(NEXT) | instid1(VALU_DEP_1)
	v_cmp_neq_f32_e64 s8, v9, v4
	s_or_b32 s8, s8, s29
	s_delay_alu instid0(SALU_CYCLE_1)
	s_and_saveexec_b32 s29, s8
	s_cbranch_execz .LBB126_29
; %bb.28:
	v_sub_f32_e32 v9, v9, v4
	s_delay_alu instid0(VALU_DEP_1) | instskip(NEXT) | instid1(VALU_DEP_1)
	v_mul_f32_e32 v10, 0x3fb8aa3b, v9
	v_fma_f32 v11, 0x3fb8aa3b, v9, -v10
	v_rndne_f32_e32 v12, v10
	s_delay_alu instid0(VALU_DEP_1) | instskip(NEXT) | instid1(VALU_DEP_1)
	v_dual_fmamk_f32 v11, v9, 0x32a5705f, v11 :: v_dual_sub_f32 v10, v10, v12
	v_add_f32_e32 v10, v10, v11
	v_cvt_i32_f32_e32 v11, v12
	v_cmp_ngt_f32_e64 s8, 0xc2ce8ed0, v9
	s_delay_alu instid0(VALU_DEP_3) | instskip(SKIP_2) | instid1(VALU_DEP_1)
	v_exp_f32_e32 v10, v10
	s_waitcnt_depctr 0xfff
	v_ldexp_f32 v10, v10, v11
	v_cndmask_b32_e64 v10, 0, v10, s8
	v_cmp_nlt_f32_e64 s8, 0x42b17218, v9
	s_delay_alu instid0(VALU_DEP_1) | instskip(NEXT) | instid1(VALU_DEP_1)
	v_cndmask_b32_e64 v11, 0x7f800000, v10, s8
	v_add_f32_e32 v12, 1.0, v11
	v_cmp_gt_f32_e64 s30, 0x33800000, |v11|
	s_delay_alu instid0(VALU_DEP_2) | instskip(NEXT) | instid1(VALU_DEP_1)
	v_cvt_f64_f32_e32 v[9:10], v12
	v_frexp_exp_i32_f64_e32 v9, v[9:10]
	v_frexp_mant_f32_e32 v10, v12
	s_delay_alu instid0(VALU_DEP_1) | instskip(SKIP_1) | instid1(VALU_DEP_1)
	v_cmp_gt_f32_e64 s8, 0x3f2aaaab, v10
	v_add_f32_e32 v10, -1.0, v12
	v_sub_f32_e32 v24, v10, v12
	s_delay_alu instid0(VALU_DEP_1) | instskip(NEXT) | instid1(VALU_DEP_4)
	v_add_f32_e32 v24, 1.0, v24
	v_subrev_co_ci_u32_e64 v9, s8, 0, v9, s8
	s_mov_b32 s8, 0x3e9b6dac
	s_delay_alu instid0(VALU_DEP_1) | instskip(SKIP_1) | instid1(VALU_DEP_2)
	v_sub_nc_u32_e32 v23, 0, v9
	v_cvt_f32_i32_e32 v9, v9
	v_ldexp_f32 v12, v12, v23
	s_delay_alu instid0(VALU_DEP_1) | instskip(NEXT) | instid1(VALU_DEP_1)
	v_dual_sub_f32 v10, v11, v10 :: v_dual_add_f32 v25, 1.0, v12
	v_add_f32_e32 v10, v10, v24
	s_delay_alu instid0(VALU_DEP_2) | instskip(NEXT) | instid1(VALU_DEP_2)
	v_add_f32_e32 v24, -1.0, v25
	v_ldexp_f32 v10, v10, v23
	v_add_f32_e32 v23, -1.0, v12
	s_delay_alu instid0(VALU_DEP_3) | instskip(NEXT) | instid1(VALU_DEP_2)
	v_sub_f32_e32 v24, v12, v24
	v_add_f32_e32 v26, 1.0, v23
	s_delay_alu instid0(VALU_DEP_2) | instskip(NEXT) | instid1(VALU_DEP_2)
	v_add_f32_e32 v24, v10, v24
	v_sub_f32_e32 v12, v12, v26
	s_delay_alu instid0(VALU_DEP_2) | instskip(NEXT) | instid1(VALU_DEP_2)
	v_add_f32_e32 v26, v25, v24
	v_add_f32_e32 v10, v10, v12
	s_delay_alu instid0(VALU_DEP_2) | instskip(SKIP_1) | instid1(VALU_DEP_1)
	v_rcp_f32_e32 v12, v26
	v_sub_f32_e32 v25, v25, v26
	v_dual_add_f32 v27, v23, v10 :: v_dual_add_f32 v24, v24, v25
	s_delay_alu instid0(VALU_DEP_1) | instskip(SKIP_3) | instid1(VALU_DEP_2)
	v_sub_f32_e32 v23, v23, v27
	s_waitcnt_depctr 0xfff
	v_mul_f32_e32 v28, v27, v12
	v_add_f32_e32 v10, v10, v23
	v_mul_f32_e32 v29, v26, v28
	s_delay_alu instid0(VALU_DEP_1) | instskip(NEXT) | instid1(VALU_DEP_1)
	v_fma_f32 v25, v28, v26, -v29
	v_fmac_f32_e32 v25, v28, v24
	s_delay_alu instid0(VALU_DEP_1) | instskip(NEXT) | instid1(VALU_DEP_1)
	v_add_f32_e32 v30, v29, v25
	v_sub_f32_e32 v31, v27, v30
	v_sub_f32_e32 v23, v30, v29
	s_delay_alu instid0(VALU_DEP_2) | instskip(NEXT) | instid1(VALU_DEP_2)
	v_sub_f32_e32 v27, v27, v31
	v_sub_f32_e32 v23, v23, v25
	s_delay_alu instid0(VALU_DEP_2) | instskip(NEXT) | instid1(VALU_DEP_1)
	v_sub_f32_e32 v27, v27, v30
	v_add_f32_e32 v10, v10, v27
	s_delay_alu instid0(VALU_DEP_1) | instskip(NEXT) | instid1(VALU_DEP_1)
	v_add_f32_e32 v10, v23, v10
	v_add_f32_e32 v23, v31, v10
	s_delay_alu instid0(VALU_DEP_1) | instskip(NEXT) | instid1(VALU_DEP_1)
	v_mul_f32_e32 v25, v12, v23
	v_dual_sub_f32 v30, v31, v23 :: v_dual_mul_f32 v27, v26, v25
	s_delay_alu instid0(VALU_DEP_1) | instskip(NEXT) | instid1(VALU_DEP_1)
	v_fma_f32 v26, v25, v26, -v27
	v_fmac_f32_e32 v26, v25, v24
	s_delay_alu instid0(VALU_DEP_1) | instskip(NEXT) | instid1(VALU_DEP_1)
	v_add_f32_e32 v24, v27, v26
	v_sub_f32_e32 v29, v23, v24
	v_dual_sub_f32 v27, v24, v27 :: v_dual_add_f32 v10, v10, v30
	s_delay_alu instid0(VALU_DEP_2) | instskip(NEXT) | instid1(VALU_DEP_1)
	v_sub_f32_e32 v23, v23, v29
	v_sub_f32_e32 v23, v23, v24
	s_delay_alu instid0(VALU_DEP_1) | instskip(NEXT) | instid1(VALU_DEP_4)
	v_dual_add_f32 v10, v10, v23 :: v_dual_add_f32 v23, v28, v25
	v_sub_f32_e32 v24, v27, v26
	s_delay_alu instid0(VALU_DEP_1) | instskip(NEXT) | instid1(VALU_DEP_3)
	v_add_f32_e32 v10, v24, v10
	v_sub_f32_e32 v24, v23, v28
	s_delay_alu instid0(VALU_DEP_2) | instskip(NEXT) | instid1(VALU_DEP_2)
	v_add_f32_e32 v10, v29, v10
	v_sub_f32_e32 v24, v25, v24
	s_delay_alu instid0(VALU_DEP_2) | instskip(NEXT) | instid1(VALU_DEP_1)
	v_mul_f32_e32 v10, v12, v10
	v_add_f32_e32 v10, v24, v10
	s_delay_alu instid0(VALU_DEP_1) | instskip(NEXT) | instid1(VALU_DEP_1)
	v_add_f32_e32 v12, v23, v10
	v_mul_f32_e32 v24, v12, v12
	s_delay_alu instid0(VALU_DEP_1) | instskip(SKIP_2) | instid1(VALU_DEP_3)
	v_fmaak_f32 v25, s8, v24, 0x3ecc95a3
	v_mul_f32_e32 v26, v12, v24
	v_cmp_eq_f32_e64 s8, 0x7f800000, v11
	v_fmaak_f32 v24, v24, v25, 0x3f2aaada
	v_ldexp_f32 v25, v12, 1
	v_sub_f32_e32 v12, v12, v23
	s_delay_alu instid0(VALU_DEP_4) | instskip(NEXT) | instid1(VALU_DEP_3)
	s_or_b32 s8, s8, s30
	v_mul_f32_e32 v24, v26, v24
	v_mul_f32_e32 v26, 0x3f317218, v9
	s_delay_alu instid0(VALU_DEP_3) | instskip(NEXT) | instid1(VALU_DEP_3)
	v_sub_f32_e32 v10, v10, v12
	v_add_f32_e32 v23, v25, v24
	s_delay_alu instid0(VALU_DEP_2) | instskip(NEXT) | instid1(VALU_DEP_2)
	v_ldexp_f32 v10, v10, 1
	v_sub_f32_e32 v12, v23, v25
	v_fma_f32 v25, 0x3f317218, v9, -v26
	s_delay_alu instid0(VALU_DEP_1) | instskip(NEXT) | instid1(VALU_DEP_1)
	v_dual_sub_f32 v12, v24, v12 :: v_dual_fmamk_f32 v9, v9, 0xb102e308, v25
	v_add_f32_e32 v10, v10, v12
	s_delay_alu instid0(VALU_DEP_2) | instskip(NEXT) | instid1(VALU_DEP_2)
	v_add_f32_e32 v12, v26, v9
	v_add_f32_e32 v24, v23, v10
	s_delay_alu instid0(VALU_DEP_2) | instskip(NEXT) | instid1(VALU_DEP_2)
	v_sub_f32_e32 v26, v12, v26
	v_add_f32_e32 v25, v12, v24
	v_sub_f32_e32 v23, v24, v23
	s_delay_alu instid0(VALU_DEP_3) | instskip(NEXT) | instid1(VALU_DEP_2)
	v_sub_f32_e32 v9, v9, v26
	v_dual_sub_f32 v27, v25, v12 :: v_dual_sub_f32 v10, v10, v23
	s_delay_alu instid0(VALU_DEP_1) | instskip(NEXT) | instid1(VALU_DEP_2)
	v_sub_f32_e32 v28, v25, v27
	v_dual_sub_f32 v23, v24, v27 :: v_dual_add_f32 v24, v9, v10
	s_delay_alu instid0(VALU_DEP_2) | instskip(NEXT) | instid1(VALU_DEP_1)
	v_sub_f32_e32 v12, v12, v28
	v_dual_add_f32 v12, v23, v12 :: v_dual_sub_f32 v23, v24, v9
	s_delay_alu instid0(VALU_DEP_1) | instskip(NEXT) | instid1(VALU_DEP_2)
	v_add_f32_e32 v12, v24, v12
	v_sub_f32_e32 v24, v24, v23
	v_sub_f32_e32 v10, v10, v23
	s_delay_alu instid0(VALU_DEP_3) | instskip(NEXT) | instid1(VALU_DEP_3)
	v_add_f32_e32 v26, v25, v12
	v_sub_f32_e32 v9, v9, v24
	s_delay_alu instid0(VALU_DEP_2) | instskip(NEXT) | instid1(VALU_DEP_1)
	v_sub_f32_e32 v23, v26, v25
	v_dual_add_f32 v9, v10, v9 :: v_dual_sub_f32 v10, v12, v23
	s_delay_alu instid0(VALU_DEP_1) | instskip(NEXT) | instid1(VALU_DEP_1)
	v_add_f32_e32 v9, v9, v10
	v_add_f32_e32 v9, v26, v9
	s_delay_alu instid0(VALU_DEP_1) | instskip(NEXT) | instid1(VALU_DEP_1)
	v_cndmask_b32_e64 v9, v9, v11, s8
	v_add_f32_e32 v10, v4, v9
.LBB126_29:
	s_or_b32 exec_lo, exec_lo, s29
	ds_load_b32 v4, v5 offset:20
	v_max_f32_e32 v9, v10, v10
	v_cmp_u_f32_e64 s8, v10, v10
	s_waitcnt lgkmcnt(0)
	v_max_f32_e32 v11, v4, v4
	s_delay_alu instid0(VALU_DEP_1) | instskip(SKIP_1) | instid1(VALU_DEP_2)
	v_min_f32_e32 v12, v9, v11
	v_max_f32_e32 v9, v9, v11
	v_cndmask_b32_e64 v11, v12, v10, s8
	s_delay_alu instid0(VALU_DEP_2) | instskip(SKIP_1) | instid1(VALU_DEP_1)
	v_cndmask_b32_e64 v12, v9, v10, s8
	v_cmp_u_f32_e64 s8, v4, v4
	v_cndmask_b32_e64 v9, v11, v4, s8
	s_delay_alu instid0(VALU_DEP_3) | instskip(NEXT) | instid1(VALU_DEP_2)
	v_cndmask_b32_e64 v4, v12, v4, s8
	v_cmp_class_f32_e64 s29, v9, 0x1f8
	s_delay_alu instid0(VALU_DEP_2) | instskip(NEXT) | instid1(VALU_DEP_1)
	v_cmp_neq_f32_e64 s8, v9, v4
	s_or_b32 s8, s8, s29
	s_delay_alu instid0(SALU_CYCLE_1)
	s_and_saveexec_b32 s29, s8
	s_cbranch_execz .LBB126_31
; %bb.30:
	v_sub_f32_e32 v9, v9, v4
	s_delay_alu instid0(VALU_DEP_1) | instskip(NEXT) | instid1(VALU_DEP_1)
	v_mul_f32_e32 v10, 0x3fb8aa3b, v9
	v_fma_f32 v11, 0x3fb8aa3b, v9, -v10
	v_rndne_f32_e32 v12, v10
	s_delay_alu instid0(VALU_DEP_1) | instskip(NEXT) | instid1(VALU_DEP_1)
	v_dual_fmamk_f32 v11, v9, 0x32a5705f, v11 :: v_dual_sub_f32 v10, v10, v12
	v_add_f32_e32 v10, v10, v11
	v_cvt_i32_f32_e32 v11, v12
	v_cmp_ngt_f32_e64 s8, 0xc2ce8ed0, v9
	s_delay_alu instid0(VALU_DEP_3) | instskip(SKIP_2) | instid1(VALU_DEP_1)
	v_exp_f32_e32 v10, v10
	s_waitcnt_depctr 0xfff
	v_ldexp_f32 v10, v10, v11
	v_cndmask_b32_e64 v10, 0, v10, s8
	v_cmp_nlt_f32_e64 s8, 0x42b17218, v9
	s_delay_alu instid0(VALU_DEP_1) | instskip(NEXT) | instid1(VALU_DEP_1)
	v_cndmask_b32_e64 v11, 0x7f800000, v10, s8
	v_add_f32_e32 v12, 1.0, v11
	v_cmp_gt_f32_e64 s30, 0x33800000, |v11|
	s_delay_alu instid0(VALU_DEP_2) | instskip(NEXT) | instid1(VALU_DEP_1)
	v_cvt_f64_f32_e32 v[9:10], v12
	v_frexp_exp_i32_f64_e32 v9, v[9:10]
	v_frexp_mant_f32_e32 v10, v12
	s_delay_alu instid0(VALU_DEP_1) | instskip(SKIP_1) | instid1(VALU_DEP_1)
	v_cmp_gt_f32_e64 s8, 0x3f2aaaab, v10
	v_add_f32_e32 v10, -1.0, v12
	v_sub_f32_e32 v24, v10, v12
	s_delay_alu instid0(VALU_DEP_1) | instskip(NEXT) | instid1(VALU_DEP_4)
	v_add_f32_e32 v24, 1.0, v24
	v_subrev_co_ci_u32_e64 v9, s8, 0, v9, s8
	s_mov_b32 s8, 0x3e9b6dac
	s_delay_alu instid0(VALU_DEP_1) | instskip(SKIP_1) | instid1(VALU_DEP_2)
	v_sub_nc_u32_e32 v23, 0, v9
	v_cvt_f32_i32_e32 v9, v9
	v_ldexp_f32 v12, v12, v23
	s_delay_alu instid0(VALU_DEP_1) | instskip(NEXT) | instid1(VALU_DEP_1)
	v_dual_sub_f32 v10, v11, v10 :: v_dual_add_f32 v25, 1.0, v12
	v_add_f32_e32 v10, v10, v24
	s_delay_alu instid0(VALU_DEP_2) | instskip(NEXT) | instid1(VALU_DEP_2)
	v_add_f32_e32 v24, -1.0, v25
	v_ldexp_f32 v10, v10, v23
	v_add_f32_e32 v23, -1.0, v12
	s_delay_alu instid0(VALU_DEP_3) | instskip(NEXT) | instid1(VALU_DEP_2)
	v_sub_f32_e32 v24, v12, v24
	v_add_f32_e32 v26, 1.0, v23
	s_delay_alu instid0(VALU_DEP_2) | instskip(NEXT) | instid1(VALU_DEP_2)
	v_add_f32_e32 v24, v10, v24
	v_sub_f32_e32 v12, v12, v26
	s_delay_alu instid0(VALU_DEP_2) | instskip(NEXT) | instid1(VALU_DEP_2)
	v_add_f32_e32 v26, v25, v24
	v_add_f32_e32 v10, v10, v12
	s_delay_alu instid0(VALU_DEP_2) | instskip(SKIP_1) | instid1(VALU_DEP_1)
	v_rcp_f32_e32 v12, v26
	v_sub_f32_e32 v25, v25, v26
	v_dual_add_f32 v27, v23, v10 :: v_dual_add_f32 v24, v24, v25
	s_delay_alu instid0(VALU_DEP_1) | instskip(SKIP_3) | instid1(VALU_DEP_2)
	v_sub_f32_e32 v23, v23, v27
	s_waitcnt_depctr 0xfff
	v_mul_f32_e32 v28, v27, v12
	v_add_f32_e32 v10, v10, v23
	v_mul_f32_e32 v29, v26, v28
	s_delay_alu instid0(VALU_DEP_1) | instskip(NEXT) | instid1(VALU_DEP_1)
	v_fma_f32 v25, v28, v26, -v29
	v_fmac_f32_e32 v25, v28, v24
	s_delay_alu instid0(VALU_DEP_1) | instskip(NEXT) | instid1(VALU_DEP_1)
	v_add_f32_e32 v30, v29, v25
	v_sub_f32_e32 v31, v27, v30
	v_sub_f32_e32 v23, v30, v29
	s_delay_alu instid0(VALU_DEP_2) | instskip(NEXT) | instid1(VALU_DEP_2)
	v_sub_f32_e32 v27, v27, v31
	v_sub_f32_e32 v23, v23, v25
	s_delay_alu instid0(VALU_DEP_2) | instskip(NEXT) | instid1(VALU_DEP_1)
	v_sub_f32_e32 v27, v27, v30
	v_add_f32_e32 v10, v10, v27
	s_delay_alu instid0(VALU_DEP_1) | instskip(NEXT) | instid1(VALU_DEP_1)
	v_add_f32_e32 v10, v23, v10
	v_add_f32_e32 v23, v31, v10
	s_delay_alu instid0(VALU_DEP_1) | instskip(NEXT) | instid1(VALU_DEP_1)
	v_mul_f32_e32 v25, v12, v23
	v_dual_sub_f32 v30, v31, v23 :: v_dual_mul_f32 v27, v26, v25
	s_delay_alu instid0(VALU_DEP_1) | instskip(NEXT) | instid1(VALU_DEP_1)
	v_fma_f32 v26, v25, v26, -v27
	v_fmac_f32_e32 v26, v25, v24
	s_delay_alu instid0(VALU_DEP_1) | instskip(NEXT) | instid1(VALU_DEP_1)
	v_add_f32_e32 v24, v27, v26
	v_sub_f32_e32 v29, v23, v24
	v_dual_sub_f32 v27, v24, v27 :: v_dual_add_f32 v10, v10, v30
	s_delay_alu instid0(VALU_DEP_2) | instskip(NEXT) | instid1(VALU_DEP_1)
	v_sub_f32_e32 v23, v23, v29
	v_sub_f32_e32 v23, v23, v24
	s_delay_alu instid0(VALU_DEP_1) | instskip(NEXT) | instid1(VALU_DEP_4)
	v_dual_add_f32 v10, v10, v23 :: v_dual_add_f32 v23, v28, v25
	v_sub_f32_e32 v24, v27, v26
	s_delay_alu instid0(VALU_DEP_1) | instskip(NEXT) | instid1(VALU_DEP_3)
	v_add_f32_e32 v10, v24, v10
	v_sub_f32_e32 v24, v23, v28
	s_delay_alu instid0(VALU_DEP_2) | instskip(NEXT) | instid1(VALU_DEP_2)
	v_add_f32_e32 v10, v29, v10
	v_sub_f32_e32 v24, v25, v24
	s_delay_alu instid0(VALU_DEP_2) | instskip(NEXT) | instid1(VALU_DEP_1)
	v_mul_f32_e32 v10, v12, v10
	v_add_f32_e32 v10, v24, v10
	s_delay_alu instid0(VALU_DEP_1) | instskip(NEXT) | instid1(VALU_DEP_1)
	v_add_f32_e32 v12, v23, v10
	v_mul_f32_e32 v24, v12, v12
	s_delay_alu instid0(VALU_DEP_1) | instskip(SKIP_2) | instid1(VALU_DEP_3)
	v_fmaak_f32 v25, s8, v24, 0x3ecc95a3
	v_mul_f32_e32 v26, v12, v24
	v_cmp_eq_f32_e64 s8, 0x7f800000, v11
	v_fmaak_f32 v24, v24, v25, 0x3f2aaada
	v_ldexp_f32 v25, v12, 1
	v_sub_f32_e32 v12, v12, v23
	s_delay_alu instid0(VALU_DEP_4) | instskip(NEXT) | instid1(VALU_DEP_3)
	s_or_b32 s8, s8, s30
	v_mul_f32_e32 v24, v26, v24
	v_mul_f32_e32 v26, 0x3f317218, v9
	s_delay_alu instid0(VALU_DEP_3) | instskip(NEXT) | instid1(VALU_DEP_3)
	v_sub_f32_e32 v10, v10, v12
	v_add_f32_e32 v23, v25, v24
	s_delay_alu instid0(VALU_DEP_2) | instskip(NEXT) | instid1(VALU_DEP_2)
	v_ldexp_f32 v10, v10, 1
	v_sub_f32_e32 v12, v23, v25
	v_fma_f32 v25, 0x3f317218, v9, -v26
	s_delay_alu instid0(VALU_DEP_1) | instskip(NEXT) | instid1(VALU_DEP_1)
	v_dual_sub_f32 v12, v24, v12 :: v_dual_fmamk_f32 v9, v9, 0xb102e308, v25
	v_add_f32_e32 v10, v10, v12
	s_delay_alu instid0(VALU_DEP_2) | instskip(NEXT) | instid1(VALU_DEP_2)
	v_add_f32_e32 v12, v26, v9
	v_add_f32_e32 v24, v23, v10
	s_delay_alu instid0(VALU_DEP_2) | instskip(NEXT) | instid1(VALU_DEP_2)
	v_sub_f32_e32 v26, v12, v26
	v_add_f32_e32 v25, v12, v24
	v_sub_f32_e32 v23, v24, v23
	s_delay_alu instid0(VALU_DEP_3) | instskip(NEXT) | instid1(VALU_DEP_2)
	v_sub_f32_e32 v9, v9, v26
	v_dual_sub_f32 v27, v25, v12 :: v_dual_sub_f32 v10, v10, v23
	s_delay_alu instid0(VALU_DEP_1) | instskip(NEXT) | instid1(VALU_DEP_2)
	v_sub_f32_e32 v28, v25, v27
	v_dual_sub_f32 v23, v24, v27 :: v_dual_add_f32 v24, v9, v10
	s_delay_alu instid0(VALU_DEP_2) | instskip(NEXT) | instid1(VALU_DEP_1)
	v_sub_f32_e32 v12, v12, v28
	v_dual_add_f32 v12, v23, v12 :: v_dual_sub_f32 v23, v24, v9
	s_delay_alu instid0(VALU_DEP_1) | instskip(NEXT) | instid1(VALU_DEP_2)
	v_add_f32_e32 v12, v24, v12
	v_sub_f32_e32 v24, v24, v23
	v_sub_f32_e32 v10, v10, v23
	s_delay_alu instid0(VALU_DEP_3) | instskip(NEXT) | instid1(VALU_DEP_3)
	v_add_f32_e32 v26, v25, v12
	v_sub_f32_e32 v9, v9, v24
	s_delay_alu instid0(VALU_DEP_2) | instskip(NEXT) | instid1(VALU_DEP_1)
	v_sub_f32_e32 v23, v26, v25
	v_dual_add_f32 v9, v10, v9 :: v_dual_sub_f32 v10, v12, v23
	s_delay_alu instid0(VALU_DEP_1) | instskip(NEXT) | instid1(VALU_DEP_1)
	v_add_f32_e32 v9, v9, v10
	v_add_f32_e32 v9, v26, v9
	s_delay_alu instid0(VALU_DEP_1) | instskip(NEXT) | instid1(VALU_DEP_1)
	v_cndmask_b32_e64 v9, v9, v11, s8
	v_add_f32_e32 v10, v4, v9
.LBB126_31:
	s_or_b32 exec_lo, exec_lo, s29
	ds_load_b32 v4, v5 offset:24
	v_max_f32_e32 v9, v10, v10
	v_cmp_u_f32_e64 s8, v10, v10
	s_waitcnt lgkmcnt(0)
	v_max_f32_e32 v11, v4, v4
	s_delay_alu instid0(VALU_DEP_1) | instskip(SKIP_1) | instid1(VALU_DEP_2)
	v_min_f32_e32 v12, v9, v11
	v_max_f32_e32 v9, v9, v11
	v_cndmask_b32_e64 v11, v12, v10, s8
	s_delay_alu instid0(VALU_DEP_2) | instskip(SKIP_1) | instid1(VALU_DEP_1)
	v_cndmask_b32_e64 v12, v9, v10, s8
	v_cmp_u_f32_e64 s8, v4, v4
	v_cndmask_b32_e64 v9, v11, v4, s8
	s_delay_alu instid0(VALU_DEP_3) | instskip(NEXT) | instid1(VALU_DEP_2)
	v_cndmask_b32_e64 v4, v12, v4, s8
	v_cmp_class_f32_e64 s29, v9, 0x1f8
	s_delay_alu instid0(VALU_DEP_2) | instskip(NEXT) | instid1(VALU_DEP_1)
	v_cmp_neq_f32_e64 s8, v9, v4
	s_or_b32 s8, s8, s29
	s_delay_alu instid0(SALU_CYCLE_1)
	s_and_saveexec_b32 s29, s8
	s_cbranch_execz .LBB126_33
; %bb.32:
	v_sub_f32_e32 v9, v9, v4
	s_delay_alu instid0(VALU_DEP_1) | instskip(NEXT) | instid1(VALU_DEP_1)
	v_mul_f32_e32 v10, 0x3fb8aa3b, v9
	v_fma_f32 v11, 0x3fb8aa3b, v9, -v10
	v_rndne_f32_e32 v12, v10
	s_delay_alu instid0(VALU_DEP_1) | instskip(NEXT) | instid1(VALU_DEP_1)
	v_dual_fmamk_f32 v11, v9, 0x32a5705f, v11 :: v_dual_sub_f32 v10, v10, v12
	v_add_f32_e32 v10, v10, v11
	v_cvt_i32_f32_e32 v11, v12
	v_cmp_ngt_f32_e64 s8, 0xc2ce8ed0, v9
	s_delay_alu instid0(VALU_DEP_3) | instskip(SKIP_2) | instid1(VALU_DEP_1)
	v_exp_f32_e32 v10, v10
	s_waitcnt_depctr 0xfff
	v_ldexp_f32 v10, v10, v11
	v_cndmask_b32_e64 v10, 0, v10, s8
	v_cmp_nlt_f32_e64 s8, 0x42b17218, v9
	s_delay_alu instid0(VALU_DEP_1) | instskip(NEXT) | instid1(VALU_DEP_1)
	v_cndmask_b32_e64 v11, 0x7f800000, v10, s8
	v_add_f32_e32 v12, 1.0, v11
	v_cmp_gt_f32_e64 s30, 0x33800000, |v11|
	s_delay_alu instid0(VALU_DEP_2) | instskip(NEXT) | instid1(VALU_DEP_1)
	v_cvt_f64_f32_e32 v[9:10], v12
	v_frexp_exp_i32_f64_e32 v9, v[9:10]
	v_frexp_mant_f32_e32 v10, v12
	s_delay_alu instid0(VALU_DEP_1) | instskip(SKIP_1) | instid1(VALU_DEP_1)
	v_cmp_gt_f32_e64 s8, 0x3f2aaaab, v10
	v_add_f32_e32 v10, -1.0, v12
	v_sub_f32_e32 v24, v10, v12
	s_delay_alu instid0(VALU_DEP_1) | instskip(NEXT) | instid1(VALU_DEP_4)
	v_add_f32_e32 v24, 1.0, v24
	v_subrev_co_ci_u32_e64 v9, s8, 0, v9, s8
	s_mov_b32 s8, 0x3e9b6dac
	s_delay_alu instid0(VALU_DEP_1) | instskip(SKIP_1) | instid1(VALU_DEP_2)
	v_sub_nc_u32_e32 v23, 0, v9
	v_cvt_f32_i32_e32 v9, v9
	v_ldexp_f32 v12, v12, v23
	s_delay_alu instid0(VALU_DEP_1) | instskip(NEXT) | instid1(VALU_DEP_1)
	v_dual_sub_f32 v10, v11, v10 :: v_dual_add_f32 v25, 1.0, v12
	v_add_f32_e32 v10, v10, v24
	s_delay_alu instid0(VALU_DEP_2) | instskip(NEXT) | instid1(VALU_DEP_2)
	v_add_f32_e32 v24, -1.0, v25
	v_ldexp_f32 v10, v10, v23
	v_add_f32_e32 v23, -1.0, v12
	s_delay_alu instid0(VALU_DEP_3) | instskip(NEXT) | instid1(VALU_DEP_2)
	v_sub_f32_e32 v24, v12, v24
	v_add_f32_e32 v26, 1.0, v23
	s_delay_alu instid0(VALU_DEP_2) | instskip(NEXT) | instid1(VALU_DEP_2)
	v_add_f32_e32 v24, v10, v24
	v_sub_f32_e32 v12, v12, v26
	s_delay_alu instid0(VALU_DEP_2) | instskip(NEXT) | instid1(VALU_DEP_2)
	v_add_f32_e32 v26, v25, v24
	v_add_f32_e32 v10, v10, v12
	s_delay_alu instid0(VALU_DEP_2) | instskip(SKIP_1) | instid1(VALU_DEP_1)
	v_rcp_f32_e32 v12, v26
	v_sub_f32_e32 v25, v25, v26
	v_dual_add_f32 v27, v23, v10 :: v_dual_add_f32 v24, v24, v25
	s_delay_alu instid0(VALU_DEP_1) | instskip(SKIP_3) | instid1(VALU_DEP_2)
	v_sub_f32_e32 v23, v23, v27
	s_waitcnt_depctr 0xfff
	v_mul_f32_e32 v28, v27, v12
	v_add_f32_e32 v10, v10, v23
	v_mul_f32_e32 v29, v26, v28
	s_delay_alu instid0(VALU_DEP_1) | instskip(NEXT) | instid1(VALU_DEP_1)
	v_fma_f32 v25, v28, v26, -v29
	v_fmac_f32_e32 v25, v28, v24
	s_delay_alu instid0(VALU_DEP_1) | instskip(NEXT) | instid1(VALU_DEP_1)
	v_add_f32_e32 v30, v29, v25
	v_sub_f32_e32 v31, v27, v30
	v_sub_f32_e32 v23, v30, v29
	s_delay_alu instid0(VALU_DEP_2) | instskip(NEXT) | instid1(VALU_DEP_2)
	v_sub_f32_e32 v27, v27, v31
	v_sub_f32_e32 v23, v23, v25
	s_delay_alu instid0(VALU_DEP_2) | instskip(NEXT) | instid1(VALU_DEP_1)
	v_sub_f32_e32 v27, v27, v30
	v_add_f32_e32 v10, v10, v27
	s_delay_alu instid0(VALU_DEP_1) | instskip(NEXT) | instid1(VALU_DEP_1)
	v_add_f32_e32 v10, v23, v10
	v_add_f32_e32 v23, v31, v10
	s_delay_alu instid0(VALU_DEP_1) | instskip(NEXT) | instid1(VALU_DEP_1)
	v_mul_f32_e32 v25, v12, v23
	v_dual_sub_f32 v30, v31, v23 :: v_dual_mul_f32 v27, v26, v25
	s_delay_alu instid0(VALU_DEP_1) | instskip(NEXT) | instid1(VALU_DEP_1)
	v_fma_f32 v26, v25, v26, -v27
	v_fmac_f32_e32 v26, v25, v24
	s_delay_alu instid0(VALU_DEP_1) | instskip(NEXT) | instid1(VALU_DEP_1)
	v_add_f32_e32 v24, v27, v26
	v_sub_f32_e32 v29, v23, v24
	v_dual_sub_f32 v27, v24, v27 :: v_dual_add_f32 v10, v10, v30
	s_delay_alu instid0(VALU_DEP_2) | instskip(NEXT) | instid1(VALU_DEP_1)
	v_sub_f32_e32 v23, v23, v29
	v_sub_f32_e32 v23, v23, v24
	s_delay_alu instid0(VALU_DEP_1) | instskip(NEXT) | instid1(VALU_DEP_4)
	v_dual_add_f32 v10, v10, v23 :: v_dual_add_f32 v23, v28, v25
	v_sub_f32_e32 v24, v27, v26
	s_delay_alu instid0(VALU_DEP_1) | instskip(NEXT) | instid1(VALU_DEP_3)
	v_add_f32_e32 v10, v24, v10
	v_sub_f32_e32 v24, v23, v28
	s_delay_alu instid0(VALU_DEP_2) | instskip(NEXT) | instid1(VALU_DEP_2)
	v_add_f32_e32 v10, v29, v10
	v_sub_f32_e32 v24, v25, v24
	s_delay_alu instid0(VALU_DEP_2) | instskip(NEXT) | instid1(VALU_DEP_1)
	v_mul_f32_e32 v10, v12, v10
	v_add_f32_e32 v10, v24, v10
	s_delay_alu instid0(VALU_DEP_1) | instskip(NEXT) | instid1(VALU_DEP_1)
	v_add_f32_e32 v12, v23, v10
	v_mul_f32_e32 v24, v12, v12
	s_delay_alu instid0(VALU_DEP_1) | instskip(SKIP_2) | instid1(VALU_DEP_3)
	v_fmaak_f32 v25, s8, v24, 0x3ecc95a3
	v_mul_f32_e32 v26, v12, v24
	v_cmp_eq_f32_e64 s8, 0x7f800000, v11
	v_fmaak_f32 v24, v24, v25, 0x3f2aaada
	v_ldexp_f32 v25, v12, 1
	v_sub_f32_e32 v12, v12, v23
	s_delay_alu instid0(VALU_DEP_4) | instskip(NEXT) | instid1(VALU_DEP_3)
	s_or_b32 s8, s8, s30
	v_mul_f32_e32 v24, v26, v24
	v_mul_f32_e32 v26, 0x3f317218, v9
	s_delay_alu instid0(VALU_DEP_3) | instskip(NEXT) | instid1(VALU_DEP_3)
	v_sub_f32_e32 v10, v10, v12
	v_add_f32_e32 v23, v25, v24
	s_delay_alu instid0(VALU_DEP_2) | instskip(NEXT) | instid1(VALU_DEP_2)
	v_ldexp_f32 v10, v10, 1
	v_sub_f32_e32 v12, v23, v25
	v_fma_f32 v25, 0x3f317218, v9, -v26
	s_delay_alu instid0(VALU_DEP_1) | instskip(NEXT) | instid1(VALU_DEP_1)
	v_dual_sub_f32 v12, v24, v12 :: v_dual_fmamk_f32 v9, v9, 0xb102e308, v25
	v_add_f32_e32 v10, v10, v12
	s_delay_alu instid0(VALU_DEP_2) | instskip(NEXT) | instid1(VALU_DEP_2)
	v_add_f32_e32 v12, v26, v9
	v_add_f32_e32 v24, v23, v10
	s_delay_alu instid0(VALU_DEP_2) | instskip(NEXT) | instid1(VALU_DEP_2)
	v_sub_f32_e32 v26, v12, v26
	v_add_f32_e32 v25, v12, v24
	v_sub_f32_e32 v23, v24, v23
	s_delay_alu instid0(VALU_DEP_3) | instskip(NEXT) | instid1(VALU_DEP_2)
	v_sub_f32_e32 v9, v9, v26
	v_dual_sub_f32 v27, v25, v12 :: v_dual_sub_f32 v10, v10, v23
	s_delay_alu instid0(VALU_DEP_1) | instskip(NEXT) | instid1(VALU_DEP_2)
	v_sub_f32_e32 v28, v25, v27
	v_dual_sub_f32 v23, v24, v27 :: v_dual_add_f32 v24, v9, v10
	s_delay_alu instid0(VALU_DEP_2) | instskip(NEXT) | instid1(VALU_DEP_1)
	v_sub_f32_e32 v12, v12, v28
	v_dual_add_f32 v12, v23, v12 :: v_dual_sub_f32 v23, v24, v9
	s_delay_alu instid0(VALU_DEP_1) | instskip(NEXT) | instid1(VALU_DEP_2)
	v_add_f32_e32 v12, v24, v12
	v_sub_f32_e32 v24, v24, v23
	v_sub_f32_e32 v10, v10, v23
	s_delay_alu instid0(VALU_DEP_3) | instskip(NEXT) | instid1(VALU_DEP_3)
	v_add_f32_e32 v26, v25, v12
	v_sub_f32_e32 v9, v9, v24
	s_delay_alu instid0(VALU_DEP_2) | instskip(NEXT) | instid1(VALU_DEP_1)
	v_sub_f32_e32 v23, v26, v25
	v_dual_add_f32 v9, v10, v9 :: v_dual_sub_f32 v10, v12, v23
	s_delay_alu instid0(VALU_DEP_1) | instskip(NEXT) | instid1(VALU_DEP_1)
	v_add_f32_e32 v9, v9, v10
	v_add_f32_e32 v9, v26, v9
	s_delay_alu instid0(VALU_DEP_1) | instskip(NEXT) | instid1(VALU_DEP_1)
	v_cndmask_b32_e64 v9, v9, v11, s8
	v_add_f32_e32 v10, v4, v9
.LBB126_33:
	s_or_b32 exec_lo, exec_lo, s29
	ds_load_b32 v4, v5 offset:28
	v_max_f32_e32 v9, v10, v10
	v_cmp_u_f32_e64 s8, v10, v10
	s_waitcnt lgkmcnt(0)
	v_max_f32_e32 v11, v4, v4
	s_delay_alu instid0(VALU_DEP_1) | instskip(SKIP_1) | instid1(VALU_DEP_2)
	v_min_f32_e32 v12, v9, v11
	v_max_f32_e32 v9, v9, v11
	v_cndmask_b32_e64 v11, v12, v10, s8
	s_delay_alu instid0(VALU_DEP_2) | instskip(SKIP_1) | instid1(VALU_DEP_1)
	v_cndmask_b32_e64 v12, v9, v10, s8
	v_cmp_u_f32_e64 s8, v4, v4
	v_cndmask_b32_e64 v9, v11, v4, s8
	s_delay_alu instid0(VALU_DEP_3) | instskip(NEXT) | instid1(VALU_DEP_2)
	v_cndmask_b32_e64 v4, v12, v4, s8
	v_cmp_class_f32_e64 s29, v9, 0x1f8
	s_delay_alu instid0(VALU_DEP_2) | instskip(NEXT) | instid1(VALU_DEP_1)
	v_cmp_neq_f32_e64 s8, v9, v4
	s_or_b32 s8, s8, s29
	s_delay_alu instid0(SALU_CYCLE_1)
	s_and_saveexec_b32 s29, s8
	s_cbranch_execz .LBB126_35
; %bb.34:
	v_sub_f32_e32 v9, v9, v4
	s_delay_alu instid0(VALU_DEP_1) | instskip(NEXT) | instid1(VALU_DEP_1)
	v_mul_f32_e32 v10, 0x3fb8aa3b, v9
	v_fma_f32 v11, 0x3fb8aa3b, v9, -v10
	v_rndne_f32_e32 v12, v10
	s_delay_alu instid0(VALU_DEP_1) | instskip(NEXT) | instid1(VALU_DEP_1)
	v_dual_fmamk_f32 v11, v9, 0x32a5705f, v11 :: v_dual_sub_f32 v10, v10, v12
	v_add_f32_e32 v10, v10, v11
	v_cvt_i32_f32_e32 v11, v12
	v_cmp_ngt_f32_e64 s8, 0xc2ce8ed0, v9
	s_delay_alu instid0(VALU_DEP_3) | instskip(SKIP_2) | instid1(VALU_DEP_1)
	v_exp_f32_e32 v10, v10
	s_waitcnt_depctr 0xfff
	v_ldexp_f32 v10, v10, v11
	v_cndmask_b32_e64 v10, 0, v10, s8
	v_cmp_nlt_f32_e64 s8, 0x42b17218, v9
	s_delay_alu instid0(VALU_DEP_1) | instskip(NEXT) | instid1(VALU_DEP_1)
	v_cndmask_b32_e64 v11, 0x7f800000, v10, s8
	v_add_f32_e32 v12, 1.0, v11
	v_cmp_gt_f32_e64 s30, 0x33800000, |v11|
	s_delay_alu instid0(VALU_DEP_2) | instskip(NEXT) | instid1(VALU_DEP_1)
	v_cvt_f64_f32_e32 v[9:10], v12
	v_frexp_exp_i32_f64_e32 v9, v[9:10]
	v_frexp_mant_f32_e32 v10, v12
	s_delay_alu instid0(VALU_DEP_1) | instskip(SKIP_1) | instid1(VALU_DEP_1)
	v_cmp_gt_f32_e64 s8, 0x3f2aaaab, v10
	v_add_f32_e32 v10, -1.0, v12
	v_sub_f32_e32 v24, v10, v12
	s_delay_alu instid0(VALU_DEP_1) | instskip(NEXT) | instid1(VALU_DEP_4)
	v_add_f32_e32 v24, 1.0, v24
	v_subrev_co_ci_u32_e64 v9, s8, 0, v9, s8
	s_mov_b32 s8, 0x3e9b6dac
	s_delay_alu instid0(VALU_DEP_1) | instskip(SKIP_1) | instid1(VALU_DEP_2)
	v_sub_nc_u32_e32 v23, 0, v9
	v_cvt_f32_i32_e32 v9, v9
	v_ldexp_f32 v12, v12, v23
	s_delay_alu instid0(VALU_DEP_1) | instskip(NEXT) | instid1(VALU_DEP_1)
	v_dual_sub_f32 v10, v11, v10 :: v_dual_add_f32 v25, 1.0, v12
	v_add_f32_e32 v10, v10, v24
	s_delay_alu instid0(VALU_DEP_2) | instskip(NEXT) | instid1(VALU_DEP_2)
	v_add_f32_e32 v24, -1.0, v25
	v_ldexp_f32 v10, v10, v23
	v_add_f32_e32 v23, -1.0, v12
	s_delay_alu instid0(VALU_DEP_3) | instskip(NEXT) | instid1(VALU_DEP_2)
	v_sub_f32_e32 v24, v12, v24
	v_add_f32_e32 v26, 1.0, v23
	s_delay_alu instid0(VALU_DEP_2) | instskip(NEXT) | instid1(VALU_DEP_2)
	v_add_f32_e32 v24, v10, v24
	v_sub_f32_e32 v12, v12, v26
	s_delay_alu instid0(VALU_DEP_2) | instskip(NEXT) | instid1(VALU_DEP_2)
	v_add_f32_e32 v26, v25, v24
	v_add_f32_e32 v10, v10, v12
	s_delay_alu instid0(VALU_DEP_2) | instskip(SKIP_1) | instid1(VALU_DEP_1)
	v_rcp_f32_e32 v12, v26
	v_sub_f32_e32 v25, v25, v26
	v_dual_add_f32 v27, v23, v10 :: v_dual_add_f32 v24, v24, v25
	s_delay_alu instid0(VALU_DEP_1) | instskip(SKIP_3) | instid1(VALU_DEP_2)
	v_sub_f32_e32 v23, v23, v27
	s_waitcnt_depctr 0xfff
	v_mul_f32_e32 v28, v27, v12
	v_add_f32_e32 v10, v10, v23
	v_mul_f32_e32 v29, v26, v28
	s_delay_alu instid0(VALU_DEP_1) | instskip(NEXT) | instid1(VALU_DEP_1)
	v_fma_f32 v25, v28, v26, -v29
	v_fmac_f32_e32 v25, v28, v24
	s_delay_alu instid0(VALU_DEP_1) | instskip(NEXT) | instid1(VALU_DEP_1)
	v_add_f32_e32 v30, v29, v25
	v_sub_f32_e32 v31, v27, v30
	v_sub_f32_e32 v23, v30, v29
	s_delay_alu instid0(VALU_DEP_2) | instskip(NEXT) | instid1(VALU_DEP_2)
	v_sub_f32_e32 v27, v27, v31
	v_sub_f32_e32 v23, v23, v25
	s_delay_alu instid0(VALU_DEP_2) | instskip(NEXT) | instid1(VALU_DEP_1)
	v_sub_f32_e32 v27, v27, v30
	v_add_f32_e32 v10, v10, v27
	s_delay_alu instid0(VALU_DEP_1) | instskip(NEXT) | instid1(VALU_DEP_1)
	v_add_f32_e32 v10, v23, v10
	v_add_f32_e32 v23, v31, v10
	s_delay_alu instid0(VALU_DEP_1) | instskip(NEXT) | instid1(VALU_DEP_1)
	v_mul_f32_e32 v25, v12, v23
	v_dual_sub_f32 v30, v31, v23 :: v_dual_mul_f32 v27, v26, v25
	s_delay_alu instid0(VALU_DEP_1) | instskip(NEXT) | instid1(VALU_DEP_1)
	v_fma_f32 v26, v25, v26, -v27
	v_fmac_f32_e32 v26, v25, v24
	s_delay_alu instid0(VALU_DEP_1) | instskip(NEXT) | instid1(VALU_DEP_1)
	v_add_f32_e32 v24, v27, v26
	v_sub_f32_e32 v29, v23, v24
	v_dual_sub_f32 v27, v24, v27 :: v_dual_add_f32 v10, v10, v30
	s_delay_alu instid0(VALU_DEP_2) | instskip(NEXT) | instid1(VALU_DEP_1)
	v_sub_f32_e32 v23, v23, v29
	v_sub_f32_e32 v23, v23, v24
	s_delay_alu instid0(VALU_DEP_1) | instskip(NEXT) | instid1(VALU_DEP_4)
	v_dual_add_f32 v10, v10, v23 :: v_dual_add_f32 v23, v28, v25
	v_sub_f32_e32 v24, v27, v26
	s_delay_alu instid0(VALU_DEP_1) | instskip(NEXT) | instid1(VALU_DEP_3)
	v_add_f32_e32 v10, v24, v10
	v_sub_f32_e32 v24, v23, v28
	s_delay_alu instid0(VALU_DEP_2) | instskip(NEXT) | instid1(VALU_DEP_2)
	v_add_f32_e32 v10, v29, v10
	v_sub_f32_e32 v24, v25, v24
	s_delay_alu instid0(VALU_DEP_2) | instskip(NEXT) | instid1(VALU_DEP_1)
	v_mul_f32_e32 v10, v12, v10
	v_add_f32_e32 v10, v24, v10
	s_delay_alu instid0(VALU_DEP_1) | instskip(NEXT) | instid1(VALU_DEP_1)
	v_add_f32_e32 v12, v23, v10
	v_mul_f32_e32 v24, v12, v12
	s_delay_alu instid0(VALU_DEP_1) | instskip(SKIP_2) | instid1(VALU_DEP_3)
	v_fmaak_f32 v25, s8, v24, 0x3ecc95a3
	v_mul_f32_e32 v26, v12, v24
	v_cmp_eq_f32_e64 s8, 0x7f800000, v11
	v_fmaak_f32 v24, v24, v25, 0x3f2aaada
	v_ldexp_f32 v25, v12, 1
	v_sub_f32_e32 v12, v12, v23
	s_delay_alu instid0(VALU_DEP_4) | instskip(NEXT) | instid1(VALU_DEP_3)
	s_or_b32 s8, s8, s30
	v_mul_f32_e32 v24, v26, v24
	v_mul_f32_e32 v26, 0x3f317218, v9
	s_delay_alu instid0(VALU_DEP_3) | instskip(NEXT) | instid1(VALU_DEP_3)
	v_sub_f32_e32 v10, v10, v12
	v_add_f32_e32 v23, v25, v24
	s_delay_alu instid0(VALU_DEP_2) | instskip(NEXT) | instid1(VALU_DEP_2)
	v_ldexp_f32 v10, v10, 1
	v_sub_f32_e32 v12, v23, v25
	v_fma_f32 v25, 0x3f317218, v9, -v26
	s_delay_alu instid0(VALU_DEP_1) | instskip(NEXT) | instid1(VALU_DEP_1)
	v_dual_sub_f32 v12, v24, v12 :: v_dual_fmamk_f32 v9, v9, 0xb102e308, v25
	v_add_f32_e32 v10, v10, v12
	s_delay_alu instid0(VALU_DEP_2) | instskip(NEXT) | instid1(VALU_DEP_2)
	v_add_f32_e32 v12, v26, v9
	v_add_f32_e32 v24, v23, v10
	s_delay_alu instid0(VALU_DEP_2) | instskip(NEXT) | instid1(VALU_DEP_2)
	v_sub_f32_e32 v26, v12, v26
	v_add_f32_e32 v25, v12, v24
	v_sub_f32_e32 v23, v24, v23
	s_delay_alu instid0(VALU_DEP_3) | instskip(NEXT) | instid1(VALU_DEP_2)
	v_sub_f32_e32 v9, v9, v26
	v_dual_sub_f32 v27, v25, v12 :: v_dual_sub_f32 v10, v10, v23
	s_delay_alu instid0(VALU_DEP_1) | instskip(NEXT) | instid1(VALU_DEP_2)
	v_sub_f32_e32 v28, v25, v27
	v_dual_sub_f32 v23, v24, v27 :: v_dual_add_f32 v24, v9, v10
	s_delay_alu instid0(VALU_DEP_2) | instskip(NEXT) | instid1(VALU_DEP_1)
	v_sub_f32_e32 v12, v12, v28
	v_dual_add_f32 v12, v23, v12 :: v_dual_sub_f32 v23, v24, v9
	s_delay_alu instid0(VALU_DEP_1) | instskip(NEXT) | instid1(VALU_DEP_2)
	v_add_f32_e32 v12, v24, v12
	v_sub_f32_e32 v24, v24, v23
	v_sub_f32_e32 v10, v10, v23
	s_delay_alu instid0(VALU_DEP_3) | instskip(NEXT) | instid1(VALU_DEP_3)
	v_add_f32_e32 v26, v25, v12
	v_sub_f32_e32 v9, v9, v24
	s_delay_alu instid0(VALU_DEP_2) | instskip(NEXT) | instid1(VALU_DEP_1)
	v_sub_f32_e32 v23, v26, v25
	v_dual_add_f32 v9, v10, v9 :: v_dual_sub_f32 v10, v12, v23
	s_delay_alu instid0(VALU_DEP_1) | instskip(NEXT) | instid1(VALU_DEP_1)
	v_add_f32_e32 v9, v9, v10
	v_add_f32_e32 v9, v26, v9
	s_delay_alu instid0(VALU_DEP_1) | instskip(NEXT) | instid1(VALU_DEP_1)
	v_cndmask_b32_e64 v9, v9, v11, s8
	v_add_f32_e32 v10, v4, v9
.LBB126_35:
	s_or_b32 exec_lo, exec_lo, s29
	v_mbcnt_lo_u32_b32 v4, -1, 0
	s_delay_alu instid0(VALU_DEP_2) | instskip(SKIP_1) | instid1(VALU_DEP_2)
	v_mov_b32_dpp v11, v10 row_shr:1 row_mask:0xf bank_mask:0xf
	s_mov_b32 s29, exec_lo
	v_and_b32_e32 v9, 15, v4
	s_delay_alu instid0(VALU_DEP_1)
	v_cmpx_ne_u32_e32 0, v9
	s_xor_b32 s29, exec_lo, s29
	s_cbranch_execz .LBB126_39
; %bb.36:
	v_dual_max_f32 v12, v10, v10 :: v_dual_max_f32 v23, v11, v11
	v_cmp_u_f32_e64 s8, v11, v11
	s_delay_alu instid0(VALU_DEP_2) | instskip(SKIP_1) | instid1(VALU_DEP_2)
	v_min_f32_e32 v24, v23, v12
	v_max_f32_e32 v12, v23, v12
	v_cndmask_b32_e64 v23, v24, v11, s8
	s_delay_alu instid0(VALU_DEP_2) | instskip(SKIP_1) | instid1(VALU_DEP_1)
	v_cndmask_b32_e64 v24, v12, v11, s8
	v_cmp_u_f32_e64 s8, v10, v10
	v_cndmask_b32_e64 v12, v23, v10, s8
	s_delay_alu instid0(VALU_DEP_3) | instskip(NEXT) | instid1(VALU_DEP_2)
	v_cndmask_b32_e64 v10, v24, v10, s8
	v_cmp_class_f32_e64 s30, v12, 0x1f8
	s_delay_alu instid0(VALU_DEP_2) | instskip(NEXT) | instid1(VALU_DEP_1)
	v_cmp_neq_f32_e64 s8, v12, v10
	s_or_b32 s8, s8, s30
	s_delay_alu instid0(SALU_CYCLE_1)
	s_and_saveexec_b32 s30, s8
	s_cbranch_execz .LBB126_38
; %bb.37:
	v_sub_f32_e32 v11, v12, v10
	s_delay_alu instid0(VALU_DEP_1) | instskip(SKIP_1) | instid1(VALU_DEP_2)
	v_mul_f32_e32 v12, 0x3fb8aa3b, v11
	v_cmp_ngt_f32_e64 s8, 0xc2ce8ed0, v11
	v_fma_f32 v23, 0x3fb8aa3b, v11, -v12
	v_rndne_f32_e32 v24, v12
	s_delay_alu instid0(VALU_DEP_1) | instskip(NEXT) | instid1(VALU_DEP_1)
	v_dual_fmamk_f32 v23, v11, 0x32a5705f, v23 :: v_dual_sub_f32 v12, v12, v24
	v_add_f32_e32 v12, v12, v23
	v_cvt_i32_f32_e32 v23, v24
	s_delay_alu instid0(VALU_DEP_2) | instskip(SKIP_2) | instid1(VALU_DEP_1)
	v_exp_f32_e32 v12, v12
	s_waitcnt_depctr 0xfff
	v_ldexp_f32 v12, v12, v23
	v_cndmask_b32_e64 v12, 0, v12, s8
	v_cmp_nlt_f32_e64 s8, 0x42b17218, v11
	s_delay_alu instid0(VALU_DEP_1) | instskip(NEXT) | instid1(VALU_DEP_1)
	v_cndmask_b32_e64 v23, 0x7f800000, v12, s8
	v_add_f32_e32 v24, 1.0, v23
	v_cmp_gt_f32_e64 s31, 0x33800000, |v23|
	s_delay_alu instid0(VALU_DEP_2) | instskip(NEXT) | instid1(VALU_DEP_1)
	v_cvt_f64_f32_e32 v[11:12], v24
	v_frexp_exp_i32_f64_e32 v11, v[11:12]
	v_frexp_mant_f32_e32 v12, v24
	s_delay_alu instid0(VALU_DEP_1) | instskip(SKIP_1) | instid1(VALU_DEP_1)
	v_cmp_gt_f32_e64 s8, 0x3f2aaaab, v12
	v_add_f32_e32 v12, -1.0, v24
	v_sub_f32_e32 v26, v12, v24
	v_sub_f32_e32 v12, v23, v12
	s_delay_alu instid0(VALU_DEP_2) | instskip(SKIP_2) | instid1(VALU_DEP_1)
	v_add_f32_e32 v26, 1.0, v26
	v_subrev_co_ci_u32_e64 v11, s8, 0, v11, s8
	s_mov_b32 s8, 0x3e9b6dac
	v_sub_nc_u32_e32 v25, 0, v11
	v_cvt_f32_i32_e32 v11, v11
	s_delay_alu instid0(VALU_DEP_2) | instskip(NEXT) | instid1(VALU_DEP_1)
	v_ldexp_f32 v24, v24, v25
	v_dual_add_f32 v27, 1.0, v24 :: v_dual_add_f32 v12, v12, v26
	s_delay_alu instid0(VALU_DEP_1) | instskip(NEXT) | instid1(VALU_DEP_2)
	v_add_f32_e32 v26, -1.0, v27
	v_ldexp_f32 v12, v12, v25
	s_delay_alu instid0(VALU_DEP_2) | instskip(NEXT) | instid1(VALU_DEP_1)
	v_dual_add_f32 v25, -1.0, v24 :: v_dual_sub_f32 v26, v24, v26
	v_add_f32_e32 v28, 1.0, v25
	s_delay_alu instid0(VALU_DEP_2) | instskip(NEXT) | instid1(VALU_DEP_2)
	v_add_f32_e32 v26, v12, v26
	v_sub_f32_e32 v24, v24, v28
	s_delay_alu instid0(VALU_DEP_2) | instskip(NEXT) | instid1(VALU_DEP_2)
	v_add_f32_e32 v28, v27, v26
	v_add_f32_e32 v12, v12, v24
	s_delay_alu instid0(VALU_DEP_2) | instskip(SKIP_1) | instid1(VALU_DEP_1)
	v_rcp_f32_e32 v24, v28
	v_sub_f32_e32 v27, v27, v28
	v_dual_add_f32 v29, v25, v12 :: v_dual_add_f32 v26, v26, v27
	s_delay_alu instid0(VALU_DEP_1) | instskip(SKIP_3) | instid1(VALU_DEP_2)
	v_sub_f32_e32 v25, v25, v29
	s_waitcnt_depctr 0xfff
	v_mul_f32_e32 v30, v29, v24
	v_add_f32_e32 v12, v12, v25
	v_mul_f32_e32 v31, v28, v30
	s_delay_alu instid0(VALU_DEP_1) | instskip(NEXT) | instid1(VALU_DEP_1)
	v_fma_f32 v27, v30, v28, -v31
	v_fmac_f32_e32 v27, v30, v26
	s_delay_alu instid0(VALU_DEP_1) | instskip(NEXT) | instid1(VALU_DEP_1)
	v_add_f32_e32 v32, v31, v27
	v_sub_f32_e32 v33, v29, v32
	v_sub_f32_e32 v25, v32, v31
	s_delay_alu instid0(VALU_DEP_2) | instskip(NEXT) | instid1(VALU_DEP_2)
	v_sub_f32_e32 v29, v29, v33
	v_sub_f32_e32 v25, v25, v27
	s_delay_alu instid0(VALU_DEP_2) | instskip(NEXT) | instid1(VALU_DEP_1)
	v_sub_f32_e32 v29, v29, v32
	v_add_f32_e32 v12, v12, v29
	s_delay_alu instid0(VALU_DEP_1) | instskip(NEXT) | instid1(VALU_DEP_1)
	v_add_f32_e32 v12, v25, v12
	v_add_f32_e32 v25, v33, v12
	s_delay_alu instid0(VALU_DEP_1) | instskip(NEXT) | instid1(VALU_DEP_1)
	v_mul_f32_e32 v27, v24, v25
	v_dual_sub_f32 v32, v33, v25 :: v_dual_mul_f32 v29, v28, v27
	s_delay_alu instid0(VALU_DEP_1) | instskip(NEXT) | instid1(VALU_DEP_2)
	v_add_f32_e32 v12, v12, v32
	v_fma_f32 v28, v27, v28, -v29
	s_delay_alu instid0(VALU_DEP_1) | instskip(NEXT) | instid1(VALU_DEP_1)
	v_fmac_f32_e32 v28, v27, v26
	v_add_f32_e32 v26, v29, v28
	s_delay_alu instid0(VALU_DEP_1) | instskip(SKIP_1) | instid1(VALU_DEP_2)
	v_sub_f32_e32 v31, v25, v26
	v_sub_f32_e32 v29, v26, v29
	v_sub_f32_e32 v25, v25, v31
	s_delay_alu instid0(VALU_DEP_1) | instskip(NEXT) | instid1(VALU_DEP_1)
	v_sub_f32_e32 v25, v25, v26
	v_dual_add_f32 v12, v12, v25 :: v_dual_add_f32 v25, v30, v27
	s_delay_alu instid0(VALU_DEP_4) | instskip(NEXT) | instid1(VALU_DEP_1)
	v_sub_f32_e32 v26, v29, v28
	v_add_f32_e32 v12, v26, v12
	s_delay_alu instid0(VALU_DEP_3) | instskip(NEXT) | instid1(VALU_DEP_2)
	v_sub_f32_e32 v26, v25, v30
	v_add_f32_e32 v12, v31, v12
	s_delay_alu instid0(VALU_DEP_2) | instskip(NEXT) | instid1(VALU_DEP_2)
	v_sub_f32_e32 v26, v27, v26
	v_mul_f32_e32 v12, v24, v12
	s_delay_alu instid0(VALU_DEP_1) | instskip(NEXT) | instid1(VALU_DEP_1)
	v_add_f32_e32 v12, v26, v12
	v_add_f32_e32 v24, v25, v12
	s_delay_alu instid0(VALU_DEP_1) | instskip(NEXT) | instid1(VALU_DEP_1)
	v_mul_f32_e32 v26, v24, v24
	v_fmaak_f32 v27, s8, v26, 0x3ecc95a3
	v_mul_f32_e32 v28, v24, v26
	v_cmp_eq_f32_e64 s8, 0x7f800000, v23
	s_delay_alu instid0(VALU_DEP_3) | instskip(SKIP_2) | instid1(VALU_DEP_4)
	v_fmaak_f32 v26, v26, v27, 0x3f2aaada
	v_ldexp_f32 v27, v24, 1
	v_sub_f32_e32 v24, v24, v25
	s_or_b32 s8, s8, s31
	s_delay_alu instid0(VALU_DEP_3) | instskip(SKIP_1) | instid1(VALU_DEP_2)
	v_mul_f32_e32 v26, v28, v26
	v_mul_f32_e32 v28, 0x3f317218, v11
	v_dual_sub_f32 v12, v12, v24 :: v_dual_add_f32 v25, v27, v26
	s_delay_alu instid0(VALU_DEP_1) | instskip(NEXT) | instid1(VALU_DEP_2)
	v_ldexp_f32 v12, v12, 1
	v_sub_f32_e32 v24, v25, v27
	s_delay_alu instid0(VALU_DEP_4) | instskip(NEXT) | instid1(VALU_DEP_1)
	v_fma_f32 v27, 0x3f317218, v11, -v28
	v_dual_sub_f32 v24, v26, v24 :: v_dual_fmamk_f32 v11, v11, 0xb102e308, v27
	s_delay_alu instid0(VALU_DEP_1) | instskip(NEXT) | instid1(VALU_DEP_2)
	v_add_f32_e32 v12, v12, v24
	v_add_f32_e32 v24, v28, v11
	s_delay_alu instid0(VALU_DEP_2) | instskip(NEXT) | instid1(VALU_DEP_2)
	v_add_f32_e32 v26, v25, v12
	v_sub_f32_e32 v28, v24, v28
	s_delay_alu instid0(VALU_DEP_2) | instskip(SKIP_1) | instid1(VALU_DEP_3)
	v_add_f32_e32 v27, v24, v26
	v_sub_f32_e32 v25, v26, v25
	v_sub_f32_e32 v11, v11, v28
	s_delay_alu instid0(VALU_DEP_2) | instskip(NEXT) | instid1(VALU_DEP_1)
	v_dual_sub_f32 v29, v27, v24 :: v_dual_sub_f32 v12, v12, v25
	v_sub_f32_e32 v30, v27, v29
	s_delay_alu instid0(VALU_DEP_2) | instskip(NEXT) | instid1(VALU_DEP_2)
	v_dual_sub_f32 v25, v26, v29 :: v_dual_add_f32 v26, v11, v12
	v_sub_f32_e32 v24, v24, v30
	s_delay_alu instid0(VALU_DEP_1) | instskip(NEXT) | instid1(VALU_DEP_1)
	v_dual_add_f32 v24, v25, v24 :: v_dual_sub_f32 v25, v26, v11
	v_add_f32_e32 v24, v26, v24
	s_delay_alu instid0(VALU_DEP_2) | instskip(SKIP_1) | instid1(VALU_DEP_3)
	v_sub_f32_e32 v26, v26, v25
	v_sub_f32_e32 v12, v12, v25
	v_add_f32_e32 v28, v27, v24
	s_delay_alu instid0(VALU_DEP_3) | instskip(NEXT) | instid1(VALU_DEP_2)
	v_sub_f32_e32 v11, v11, v26
	v_sub_f32_e32 v25, v28, v27
	s_delay_alu instid0(VALU_DEP_2) | instskip(NEXT) | instid1(VALU_DEP_2)
	v_add_f32_e32 v11, v12, v11
	v_sub_f32_e32 v12, v24, v25
	s_delay_alu instid0(VALU_DEP_1) | instskip(NEXT) | instid1(VALU_DEP_1)
	v_add_f32_e32 v11, v11, v12
	v_add_f32_e32 v11, v28, v11
	s_delay_alu instid0(VALU_DEP_1) | instskip(NEXT) | instid1(VALU_DEP_1)
	v_cndmask_b32_e64 v11, v11, v23, s8
	v_add_f32_e32 v11, v10, v11
.LBB126_38:
	s_or_b32 exec_lo, exec_lo, s30
	s_delay_alu instid0(VALU_DEP_1)
	v_mov_b32_e32 v10, v11
.LBB126_39:
	s_or_b32 exec_lo, exec_lo, s29
	s_delay_alu instid0(VALU_DEP_1)
	v_mov_b32_dpp v11, v10 row_shr:2 row_mask:0xf bank_mask:0xf
	s_mov_b32 s29, exec_lo
	v_cmpx_lt_u32_e32 1, v9
	s_cbranch_execz .LBB126_43
; %bb.40:
	s_delay_alu instid0(VALU_DEP_2) | instskip(SKIP_1) | instid1(VALU_DEP_2)
	v_dual_max_f32 v12, v10, v10 :: v_dual_max_f32 v23, v11, v11
	v_cmp_u_f32_e64 s8, v11, v11
	v_min_f32_e32 v24, v23, v12
	v_max_f32_e32 v12, v23, v12
	s_delay_alu instid0(VALU_DEP_2) | instskip(NEXT) | instid1(VALU_DEP_2)
	v_cndmask_b32_e64 v23, v24, v11, s8
	v_cndmask_b32_e64 v24, v12, v11, s8
	v_cmp_u_f32_e64 s8, v10, v10
	s_delay_alu instid0(VALU_DEP_1) | instskip(NEXT) | instid1(VALU_DEP_3)
	v_cndmask_b32_e64 v12, v23, v10, s8
	v_cndmask_b32_e64 v10, v24, v10, s8
	s_delay_alu instid0(VALU_DEP_2) | instskip(NEXT) | instid1(VALU_DEP_2)
	v_cmp_class_f32_e64 s30, v12, 0x1f8
	v_cmp_neq_f32_e64 s8, v12, v10
	s_delay_alu instid0(VALU_DEP_1) | instskip(NEXT) | instid1(SALU_CYCLE_1)
	s_or_b32 s8, s8, s30
	s_and_saveexec_b32 s30, s8
	s_cbranch_execz .LBB126_42
; %bb.41:
	v_sub_f32_e32 v11, v12, v10
	s_delay_alu instid0(VALU_DEP_1) | instskip(SKIP_1) | instid1(VALU_DEP_2)
	v_mul_f32_e32 v12, 0x3fb8aa3b, v11
	v_cmp_ngt_f32_e64 s8, 0xc2ce8ed0, v11
	v_fma_f32 v23, 0x3fb8aa3b, v11, -v12
	v_rndne_f32_e32 v24, v12
	s_delay_alu instid0(VALU_DEP_1) | instskip(NEXT) | instid1(VALU_DEP_1)
	v_dual_fmamk_f32 v23, v11, 0x32a5705f, v23 :: v_dual_sub_f32 v12, v12, v24
	v_add_f32_e32 v12, v12, v23
	v_cvt_i32_f32_e32 v23, v24
	s_delay_alu instid0(VALU_DEP_2) | instskip(SKIP_2) | instid1(VALU_DEP_1)
	v_exp_f32_e32 v12, v12
	s_waitcnt_depctr 0xfff
	v_ldexp_f32 v12, v12, v23
	v_cndmask_b32_e64 v12, 0, v12, s8
	v_cmp_nlt_f32_e64 s8, 0x42b17218, v11
	s_delay_alu instid0(VALU_DEP_1) | instskip(NEXT) | instid1(VALU_DEP_1)
	v_cndmask_b32_e64 v23, 0x7f800000, v12, s8
	v_add_f32_e32 v24, 1.0, v23
	v_cmp_gt_f32_e64 s31, 0x33800000, |v23|
	s_delay_alu instid0(VALU_DEP_2) | instskip(NEXT) | instid1(VALU_DEP_1)
	v_cvt_f64_f32_e32 v[11:12], v24
	v_frexp_exp_i32_f64_e32 v11, v[11:12]
	v_frexp_mant_f32_e32 v12, v24
	s_delay_alu instid0(VALU_DEP_1) | instskip(SKIP_1) | instid1(VALU_DEP_1)
	v_cmp_gt_f32_e64 s8, 0x3f2aaaab, v12
	v_add_f32_e32 v12, -1.0, v24
	v_sub_f32_e32 v26, v12, v24
	v_sub_f32_e32 v12, v23, v12
	s_delay_alu instid0(VALU_DEP_2) | instskip(SKIP_2) | instid1(VALU_DEP_1)
	v_add_f32_e32 v26, 1.0, v26
	v_subrev_co_ci_u32_e64 v11, s8, 0, v11, s8
	s_mov_b32 s8, 0x3e9b6dac
	v_sub_nc_u32_e32 v25, 0, v11
	v_cvt_f32_i32_e32 v11, v11
	s_delay_alu instid0(VALU_DEP_2) | instskip(NEXT) | instid1(VALU_DEP_1)
	v_ldexp_f32 v24, v24, v25
	v_dual_add_f32 v27, 1.0, v24 :: v_dual_add_f32 v12, v12, v26
	s_delay_alu instid0(VALU_DEP_1) | instskip(NEXT) | instid1(VALU_DEP_2)
	v_add_f32_e32 v26, -1.0, v27
	v_ldexp_f32 v12, v12, v25
	s_delay_alu instid0(VALU_DEP_2) | instskip(NEXT) | instid1(VALU_DEP_1)
	v_dual_add_f32 v25, -1.0, v24 :: v_dual_sub_f32 v26, v24, v26
	v_add_f32_e32 v28, 1.0, v25
	s_delay_alu instid0(VALU_DEP_2) | instskip(NEXT) | instid1(VALU_DEP_2)
	v_add_f32_e32 v26, v12, v26
	v_sub_f32_e32 v24, v24, v28
	s_delay_alu instid0(VALU_DEP_2) | instskip(NEXT) | instid1(VALU_DEP_2)
	v_add_f32_e32 v28, v27, v26
	v_add_f32_e32 v12, v12, v24
	s_delay_alu instid0(VALU_DEP_2) | instskip(SKIP_1) | instid1(VALU_DEP_1)
	v_rcp_f32_e32 v24, v28
	v_sub_f32_e32 v27, v27, v28
	v_dual_add_f32 v29, v25, v12 :: v_dual_add_f32 v26, v26, v27
	s_delay_alu instid0(VALU_DEP_1) | instskip(SKIP_3) | instid1(VALU_DEP_2)
	v_sub_f32_e32 v25, v25, v29
	s_waitcnt_depctr 0xfff
	v_mul_f32_e32 v30, v29, v24
	v_add_f32_e32 v12, v12, v25
	v_mul_f32_e32 v31, v28, v30
	s_delay_alu instid0(VALU_DEP_1) | instskip(NEXT) | instid1(VALU_DEP_1)
	v_fma_f32 v27, v30, v28, -v31
	v_fmac_f32_e32 v27, v30, v26
	s_delay_alu instid0(VALU_DEP_1) | instskip(NEXT) | instid1(VALU_DEP_1)
	v_add_f32_e32 v32, v31, v27
	v_sub_f32_e32 v33, v29, v32
	v_sub_f32_e32 v25, v32, v31
	s_delay_alu instid0(VALU_DEP_2) | instskip(NEXT) | instid1(VALU_DEP_2)
	v_sub_f32_e32 v29, v29, v33
	v_sub_f32_e32 v25, v25, v27
	s_delay_alu instid0(VALU_DEP_2) | instskip(NEXT) | instid1(VALU_DEP_1)
	v_sub_f32_e32 v29, v29, v32
	v_add_f32_e32 v12, v12, v29
	s_delay_alu instid0(VALU_DEP_1) | instskip(NEXT) | instid1(VALU_DEP_1)
	v_add_f32_e32 v12, v25, v12
	v_add_f32_e32 v25, v33, v12
	s_delay_alu instid0(VALU_DEP_1) | instskip(NEXT) | instid1(VALU_DEP_1)
	v_mul_f32_e32 v27, v24, v25
	v_dual_sub_f32 v32, v33, v25 :: v_dual_mul_f32 v29, v28, v27
	s_delay_alu instid0(VALU_DEP_1) | instskip(NEXT) | instid1(VALU_DEP_2)
	v_add_f32_e32 v12, v12, v32
	v_fma_f32 v28, v27, v28, -v29
	s_delay_alu instid0(VALU_DEP_1) | instskip(NEXT) | instid1(VALU_DEP_1)
	v_fmac_f32_e32 v28, v27, v26
	v_add_f32_e32 v26, v29, v28
	s_delay_alu instid0(VALU_DEP_1) | instskip(SKIP_1) | instid1(VALU_DEP_2)
	v_sub_f32_e32 v31, v25, v26
	v_sub_f32_e32 v29, v26, v29
	;; [unrolled: 1-line block ×3, first 2 shown]
	s_delay_alu instid0(VALU_DEP_1) | instskip(NEXT) | instid1(VALU_DEP_1)
	v_sub_f32_e32 v25, v25, v26
	v_dual_add_f32 v12, v12, v25 :: v_dual_add_f32 v25, v30, v27
	s_delay_alu instid0(VALU_DEP_4) | instskip(NEXT) | instid1(VALU_DEP_1)
	v_sub_f32_e32 v26, v29, v28
	v_add_f32_e32 v12, v26, v12
	s_delay_alu instid0(VALU_DEP_3) | instskip(NEXT) | instid1(VALU_DEP_2)
	v_sub_f32_e32 v26, v25, v30
	v_add_f32_e32 v12, v31, v12
	s_delay_alu instid0(VALU_DEP_2) | instskip(NEXT) | instid1(VALU_DEP_2)
	v_sub_f32_e32 v26, v27, v26
	v_mul_f32_e32 v12, v24, v12
	s_delay_alu instid0(VALU_DEP_1) | instskip(NEXT) | instid1(VALU_DEP_1)
	v_add_f32_e32 v12, v26, v12
	v_add_f32_e32 v24, v25, v12
	s_delay_alu instid0(VALU_DEP_1) | instskip(NEXT) | instid1(VALU_DEP_1)
	v_mul_f32_e32 v26, v24, v24
	v_fmaak_f32 v27, s8, v26, 0x3ecc95a3
	v_mul_f32_e32 v28, v24, v26
	v_cmp_eq_f32_e64 s8, 0x7f800000, v23
	s_delay_alu instid0(VALU_DEP_3) | instskip(SKIP_2) | instid1(VALU_DEP_4)
	v_fmaak_f32 v26, v26, v27, 0x3f2aaada
	v_ldexp_f32 v27, v24, 1
	v_sub_f32_e32 v24, v24, v25
	s_or_b32 s8, s8, s31
	s_delay_alu instid0(VALU_DEP_3) | instskip(SKIP_1) | instid1(VALU_DEP_2)
	v_mul_f32_e32 v26, v28, v26
	v_mul_f32_e32 v28, 0x3f317218, v11
	v_dual_sub_f32 v12, v12, v24 :: v_dual_add_f32 v25, v27, v26
	s_delay_alu instid0(VALU_DEP_1) | instskip(NEXT) | instid1(VALU_DEP_2)
	v_ldexp_f32 v12, v12, 1
	v_sub_f32_e32 v24, v25, v27
	s_delay_alu instid0(VALU_DEP_4) | instskip(NEXT) | instid1(VALU_DEP_1)
	v_fma_f32 v27, 0x3f317218, v11, -v28
	v_dual_sub_f32 v24, v26, v24 :: v_dual_fmamk_f32 v11, v11, 0xb102e308, v27
	s_delay_alu instid0(VALU_DEP_1) | instskip(NEXT) | instid1(VALU_DEP_2)
	v_add_f32_e32 v12, v12, v24
	v_add_f32_e32 v24, v28, v11
	s_delay_alu instid0(VALU_DEP_2) | instskip(NEXT) | instid1(VALU_DEP_2)
	v_add_f32_e32 v26, v25, v12
	v_sub_f32_e32 v28, v24, v28
	s_delay_alu instid0(VALU_DEP_2) | instskip(SKIP_1) | instid1(VALU_DEP_3)
	v_add_f32_e32 v27, v24, v26
	v_sub_f32_e32 v25, v26, v25
	v_sub_f32_e32 v11, v11, v28
	s_delay_alu instid0(VALU_DEP_2) | instskip(NEXT) | instid1(VALU_DEP_1)
	v_dual_sub_f32 v29, v27, v24 :: v_dual_sub_f32 v12, v12, v25
	v_sub_f32_e32 v30, v27, v29
	s_delay_alu instid0(VALU_DEP_2) | instskip(NEXT) | instid1(VALU_DEP_2)
	v_dual_sub_f32 v25, v26, v29 :: v_dual_add_f32 v26, v11, v12
	v_sub_f32_e32 v24, v24, v30
	s_delay_alu instid0(VALU_DEP_1) | instskip(NEXT) | instid1(VALU_DEP_1)
	v_dual_add_f32 v24, v25, v24 :: v_dual_sub_f32 v25, v26, v11
	v_add_f32_e32 v24, v26, v24
	s_delay_alu instid0(VALU_DEP_2) | instskip(SKIP_1) | instid1(VALU_DEP_3)
	v_sub_f32_e32 v26, v26, v25
	v_sub_f32_e32 v12, v12, v25
	v_add_f32_e32 v28, v27, v24
	s_delay_alu instid0(VALU_DEP_3) | instskip(NEXT) | instid1(VALU_DEP_2)
	v_sub_f32_e32 v11, v11, v26
	v_sub_f32_e32 v25, v28, v27
	s_delay_alu instid0(VALU_DEP_2) | instskip(NEXT) | instid1(VALU_DEP_2)
	v_add_f32_e32 v11, v12, v11
	v_sub_f32_e32 v12, v24, v25
	s_delay_alu instid0(VALU_DEP_1) | instskip(NEXT) | instid1(VALU_DEP_1)
	v_add_f32_e32 v11, v11, v12
	v_add_f32_e32 v11, v28, v11
	s_delay_alu instid0(VALU_DEP_1) | instskip(NEXT) | instid1(VALU_DEP_1)
	v_cndmask_b32_e64 v11, v11, v23, s8
	v_add_f32_e32 v11, v10, v11
.LBB126_42:
	s_or_b32 exec_lo, exec_lo, s30
	s_delay_alu instid0(VALU_DEP_1)
	v_mov_b32_e32 v10, v11
.LBB126_43:
	s_or_b32 exec_lo, exec_lo, s29
	s_delay_alu instid0(VALU_DEP_1)
	v_mov_b32_dpp v11, v10 row_shr:4 row_mask:0xf bank_mask:0xf
	s_mov_b32 s29, exec_lo
	v_cmpx_lt_u32_e32 3, v9
	s_cbranch_execz .LBB126_47
; %bb.44:
	s_delay_alu instid0(VALU_DEP_2) | instskip(SKIP_1) | instid1(VALU_DEP_2)
	v_dual_max_f32 v12, v10, v10 :: v_dual_max_f32 v23, v11, v11
	v_cmp_u_f32_e64 s8, v11, v11
	v_min_f32_e32 v24, v23, v12
	v_max_f32_e32 v12, v23, v12
	s_delay_alu instid0(VALU_DEP_2) | instskip(NEXT) | instid1(VALU_DEP_2)
	v_cndmask_b32_e64 v23, v24, v11, s8
	v_cndmask_b32_e64 v24, v12, v11, s8
	v_cmp_u_f32_e64 s8, v10, v10
	s_delay_alu instid0(VALU_DEP_1) | instskip(NEXT) | instid1(VALU_DEP_3)
	v_cndmask_b32_e64 v12, v23, v10, s8
	v_cndmask_b32_e64 v10, v24, v10, s8
	s_delay_alu instid0(VALU_DEP_2) | instskip(NEXT) | instid1(VALU_DEP_2)
	v_cmp_class_f32_e64 s30, v12, 0x1f8
	v_cmp_neq_f32_e64 s8, v12, v10
	s_delay_alu instid0(VALU_DEP_1) | instskip(NEXT) | instid1(SALU_CYCLE_1)
	s_or_b32 s8, s8, s30
	s_and_saveexec_b32 s30, s8
	s_cbranch_execz .LBB126_46
; %bb.45:
	v_sub_f32_e32 v11, v12, v10
	s_delay_alu instid0(VALU_DEP_1) | instskip(SKIP_1) | instid1(VALU_DEP_2)
	v_mul_f32_e32 v12, 0x3fb8aa3b, v11
	v_cmp_ngt_f32_e64 s8, 0xc2ce8ed0, v11
	v_fma_f32 v23, 0x3fb8aa3b, v11, -v12
	v_rndne_f32_e32 v24, v12
	s_delay_alu instid0(VALU_DEP_1) | instskip(NEXT) | instid1(VALU_DEP_1)
	v_dual_fmamk_f32 v23, v11, 0x32a5705f, v23 :: v_dual_sub_f32 v12, v12, v24
	v_add_f32_e32 v12, v12, v23
	v_cvt_i32_f32_e32 v23, v24
	s_delay_alu instid0(VALU_DEP_2) | instskip(SKIP_2) | instid1(VALU_DEP_1)
	v_exp_f32_e32 v12, v12
	s_waitcnt_depctr 0xfff
	v_ldexp_f32 v12, v12, v23
	v_cndmask_b32_e64 v12, 0, v12, s8
	v_cmp_nlt_f32_e64 s8, 0x42b17218, v11
	s_delay_alu instid0(VALU_DEP_1) | instskip(NEXT) | instid1(VALU_DEP_1)
	v_cndmask_b32_e64 v23, 0x7f800000, v12, s8
	v_add_f32_e32 v24, 1.0, v23
	v_cmp_gt_f32_e64 s31, 0x33800000, |v23|
	s_delay_alu instid0(VALU_DEP_2) | instskip(NEXT) | instid1(VALU_DEP_1)
	v_cvt_f64_f32_e32 v[11:12], v24
	v_frexp_exp_i32_f64_e32 v11, v[11:12]
	v_frexp_mant_f32_e32 v12, v24
	s_delay_alu instid0(VALU_DEP_1) | instskip(SKIP_1) | instid1(VALU_DEP_1)
	v_cmp_gt_f32_e64 s8, 0x3f2aaaab, v12
	v_add_f32_e32 v12, -1.0, v24
	v_sub_f32_e32 v26, v12, v24
	v_sub_f32_e32 v12, v23, v12
	s_delay_alu instid0(VALU_DEP_2) | instskip(SKIP_2) | instid1(VALU_DEP_1)
	v_add_f32_e32 v26, 1.0, v26
	v_subrev_co_ci_u32_e64 v11, s8, 0, v11, s8
	s_mov_b32 s8, 0x3e9b6dac
	v_sub_nc_u32_e32 v25, 0, v11
	v_cvt_f32_i32_e32 v11, v11
	s_delay_alu instid0(VALU_DEP_2) | instskip(NEXT) | instid1(VALU_DEP_1)
	v_ldexp_f32 v24, v24, v25
	v_dual_add_f32 v27, 1.0, v24 :: v_dual_add_f32 v12, v12, v26
	s_delay_alu instid0(VALU_DEP_1) | instskip(NEXT) | instid1(VALU_DEP_2)
	v_add_f32_e32 v26, -1.0, v27
	v_ldexp_f32 v12, v12, v25
	s_delay_alu instid0(VALU_DEP_2) | instskip(NEXT) | instid1(VALU_DEP_1)
	v_dual_add_f32 v25, -1.0, v24 :: v_dual_sub_f32 v26, v24, v26
	v_add_f32_e32 v28, 1.0, v25
	s_delay_alu instid0(VALU_DEP_2) | instskip(NEXT) | instid1(VALU_DEP_2)
	v_add_f32_e32 v26, v12, v26
	v_sub_f32_e32 v24, v24, v28
	s_delay_alu instid0(VALU_DEP_2) | instskip(NEXT) | instid1(VALU_DEP_2)
	v_add_f32_e32 v28, v27, v26
	v_add_f32_e32 v12, v12, v24
	s_delay_alu instid0(VALU_DEP_2) | instskip(SKIP_1) | instid1(VALU_DEP_1)
	v_rcp_f32_e32 v24, v28
	v_sub_f32_e32 v27, v27, v28
	v_dual_add_f32 v29, v25, v12 :: v_dual_add_f32 v26, v26, v27
	s_delay_alu instid0(VALU_DEP_1) | instskip(SKIP_3) | instid1(VALU_DEP_2)
	v_sub_f32_e32 v25, v25, v29
	s_waitcnt_depctr 0xfff
	v_mul_f32_e32 v30, v29, v24
	v_add_f32_e32 v12, v12, v25
	v_mul_f32_e32 v31, v28, v30
	s_delay_alu instid0(VALU_DEP_1) | instskip(NEXT) | instid1(VALU_DEP_1)
	v_fma_f32 v27, v30, v28, -v31
	v_fmac_f32_e32 v27, v30, v26
	s_delay_alu instid0(VALU_DEP_1) | instskip(NEXT) | instid1(VALU_DEP_1)
	v_add_f32_e32 v32, v31, v27
	v_sub_f32_e32 v33, v29, v32
	v_sub_f32_e32 v25, v32, v31
	s_delay_alu instid0(VALU_DEP_2) | instskip(NEXT) | instid1(VALU_DEP_2)
	v_sub_f32_e32 v29, v29, v33
	v_sub_f32_e32 v25, v25, v27
	s_delay_alu instid0(VALU_DEP_2) | instskip(NEXT) | instid1(VALU_DEP_1)
	v_sub_f32_e32 v29, v29, v32
	v_add_f32_e32 v12, v12, v29
	s_delay_alu instid0(VALU_DEP_1) | instskip(NEXT) | instid1(VALU_DEP_1)
	v_add_f32_e32 v12, v25, v12
	v_add_f32_e32 v25, v33, v12
	s_delay_alu instid0(VALU_DEP_1) | instskip(NEXT) | instid1(VALU_DEP_1)
	v_mul_f32_e32 v27, v24, v25
	v_dual_sub_f32 v32, v33, v25 :: v_dual_mul_f32 v29, v28, v27
	s_delay_alu instid0(VALU_DEP_1) | instskip(NEXT) | instid1(VALU_DEP_2)
	v_add_f32_e32 v12, v12, v32
	v_fma_f32 v28, v27, v28, -v29
	s_delay_alu instid0(VALU_DEP_1) | instskip(NEXT) | instid1(VALU_DEP_1)
	v_fmac_f32_e32 v28, v27, v26
	v_add_f32_e32 v26, v29, v28
	s_delay_alu instid0(VALU_DEP_1) | instskip(SKIP_1) | instid1(VALU_DEP_2)
	v_sub_f32_e32 v31, v25, v26
	v_sub_f32_e32 v29, v26, v29
	;; [unrolled: 1-line block ×3, first 2 shown]
	s_delay_alu instid0(VALU_DEP_1) | instskip(NEXT) | instid1(VALU_DEP_1)
	v_sub_f32_e32 v25, v25, v26
	v_dual_add_f32 v12, v12, v25 :: v_dual_add_f32 v25, v30, v27
	s_delay_alu instid0(VALU_DEP_4) | instskip(NEXT) | instid1(VALU_DEP_1)
	v_sub_f32_e32 v26, v29, v28
	v_add_f32_e32 v12, v26, v12
	s_delay_alu instid0(VALU_DEP_3) | instskip(NEXT) | instid1(VALU_DEP_2)
	v_sub_f32_e32 v26, v25, v30
	v_add_f32_e32 v12, v31, v12
	s_delay_alu instid0(VALU_DEP_2) | instskip(NEXT) | instid1(VALU_DEP_2)
	v_sub_f32_e32 v26, v27, v26
	v_mul_f32_e32 v12, v24, v12
	s_delay_alu instid0(VALU_DEP_1) | instskip(NEXT) | instid1(VALU_DEP_1)
	v_add_f32_e32 v12, v26, v12
	v_add_f32_e32 v24, v25, v12
	s_delay_alu instid0(VALU_DEP_1) | instskip(NEXT) | instid1(VALU_DEP_1)
	v_mul_f32_e32 v26, v24, v24
	v_fmaak_f32 v27, s8, v26, 0x3ecc95a3
	v_mul_f32_e32 v28, v24, v26
	v_cmp_eq_f32_e64 s8, 0x7f800000, v23
	s_delay_alu instid0(VALU_DEP_3) | instskip(SKIP_2) | instid1(VALU_DEP_4)
	v_fmaak_f32 v26, v26, v27, 0x3f2aaada
	v_ldexp_f32 v27, v24, 1
	v_sub_f32_e32 v24, v24, v25
	s_or_b32 s8, s8, s31
	s_delay_alu instid0(VALU_DEP_3) | instskip(SKIP_1) | instid1(VALU_DEP_2)
	v_mul_f32_e32 v26, v28, v26
	v_mul_f32_e32 v28, 0x3f317218, v11
	v_dual_sub_f32 v12, v12, v24 :: v_dual_add_f32 v25, v27, v26
	s_delay_alu instid0(VALU_DEP_1) | instskip(NEXT) | instid1(VALU_DEP_2)
	v_ldexp_f32 v12, v12, 1
	v_sub_f32_e32 v24, v25, v27
	s_delay_alu instid0(VALU_DEP_4) | instskip(NEXT) | instid1(VALU_DEP_1)
	v_fma_f32 v27, 0x3f317218, v11, -v28
	v_dual_sub_f32 v24, v26, v24 :: v_dual_fmamk_f32 v11, v11, 0xb102e308, v27
	s_delay_alu instid0(VALU_DEP_1) | instskip(NEXT) | instid1(VALU_DEP_2)
	v_add_f32_e32 v12, v12, v24
	v_add_f32_e32 v24, v28, v11
	s_delay_alu instid0(VALU_DEP_2) | instskip(NEXT) | instid1(VALU_DEP_2)
	v_add_f32_e32 v26, v25, v12
	v_sub_f32_e32 v28, v24, v28
	s_delay_alu instid0(VALU_DEP_2) | instskip(SKIP_1) | instid1(VALU_DEP_3)
	v_add_f32_e32 v27, v24, v26
	v_sub_f32_e32 v25, v26, v25
	v_sub_f32_e32 v11, v11, v28
	s_delay_alu instid0(VALU_DEP_2) | instskip(NEXT) | instid1(VALU_DEP_1)
	v_dual_sub_f32 v29, v27, v24 :: v_dual_sub_f32 v12, v12, v25
	v_sub_f32_e32 v30, v27, v29
	s_delay_alu instid0(VALU_DEP_2) | instskip(NEXT) | instid1(VALU_DEP_2)
	v_dual_sub_f32 v25, v26, v29 :: v_dual_add_f32 v26, v11, v12
	v_sub_f32_e32 v24, v24, v30
	s_delay_alu instid0(VALU_DEP_1) | instskip(NEXT) | instid1(VALU_DEP_1)
	v_dual_add_f32 v24, v25, v24 :: v_dual_sub_f32 v25, v26, v11
	v_add_f32_e32 v24, v26, v24
	s_delay_alu instid0(VALU_DEP_2) | instskip(SKIP_1) | instid1(VALU_DEP_3)
	v_sub_f32_e32 v26, v26, v25
	v_sub_f32_e32 v12, v12, v25
	v_add_f32_e32 v28, v27, v24
	s_delay_alu instid0(VALU_DEP_3) | instskip(NEXT) | instid1(VALU_DEP_2)
	v_sub_f32_e32 v11, v11, v26
	v_sub_f32_e32 v25, v28, v27
	s_delay_alu instid0(VALU_DEP_2) | instskip(NEXT) | instid1(VALU_DEP_2)
	v_add_f32_e32 v11, v12, v11
	v_sub_f32_e32 v12, v24, v25
	s_delay_alu instid0(VALU_DEP_1) | instskip(NEXT) | instid1(VALU_DEP_1)
	v_add_f32_e32 v11, v11, v12
	v_add_f32_e32 v11, v28, v11
	s_delay_alu instid0(VALU_DEP_1) | instskip(NEXT) | instid1(VALU_DEP_1)
	v_cndmask_b32_e64 v11, v11, v23, s8
	v_add_f32_e32 v11, v10, v11
.LBB126_46:
	s_or_b32 exec_lo, exec_lo, s30
	s_delay_alu instid0(VALU_DEP_1)
	v_mov_b32_e32 v10, v11
.LBB126_47:
	s_or_b32 exec_lo, exec_lo, s29
	s_delay_alu instid0(VALU_DEP_1)
	v_mov_b32_dpp v11, v10 row_shr:8 row_mask:0xf bank_mask:0xf
	s_mov_b32 s29, exec_lo
	v_cmpx_lt_u32_e32 7, v9
	s_cbranch_execz .LBB126_51
; %bb.48:
	s_delay_alu instid0(VALU_DEP_2) | instskip(SKIP_1) | instid1(VALU_DEP_2)
	v_dual_max_f32 v9, v10, v10 :: v_dual_max_f32 v12, v11, v11
	v_cmp_u_f32_e64 s8, v11, v11
	v_min_f32_e32 v23, v12, v9
	v_max_f32_e32 v9, v12, v9
	s_delay_alu instid0(VALU_DEP_2) | instskip(NEXT) | instid1(VALU_DEP_2)
	v_cndmask_b32_e64 v12, v23, v11, s8
	v_cndmask_b32_e64 v9, v9, v11, s8
	v_cmp_u_f32_e64 s8, v10, v10
	s_delay_alu instid0(VALU_DEP_1) | instskip(NEXT) | instid1(VALU_DEP_3)
	v_cndmask_b32_e64 v12, v12, v10, s8
	v_cndmask_b32_e64 v9, v9, v10, s8
	s_delay_alu instid0(VALU_DEP_2) | instskip(NEXT) | instid1(VALU_DEP_2)
	v_cmp_class_f32_e64 s30, v12, 0x1f8
	v_cmp_neq_f32_e64 s8, v12, v9
	s_delay_alu instid0(VALU_DEP_1) | instskip(NEXT) | instid1(SALU_CYCLE_1)
	s_or_b32 s8, s8, s30
	s_and_saveexec_b32 s30, s8
	s_cbranch_execz .LBB126_50
; %bb.49:
	v_sub_f32_e32 v10, v12, v9
	s_delay_alu instid0(VALU_DEP_1) | instskip(NEXT) | instid1(VALU_DEP_1)
	v_mul_f32_e32 v11, 0x3fb8aa3b, v10
	v_fma_f32 v12, 0x3fb8aa3b, v10, -v11
	v_rndne_f32_e32 v23, v11
	s_delay_alu instid0(VALU_DEP_1) | instskip(SKIP_1) | instid1(VALU_DEP_2)
	v_dual_sub_f32 v11, v11, v23 :: v_dual_fmamk_f32 v12, v10, 0x32a5705f, v12
	v_cmp_ngt_f32_e64 s8, 0xc2ce8ed0, v10
	v_add_f32_e32 v11, v11, v12
	v_cvt_i32_f32_e32 v12, v23
	s_delay_alu instid0(VALU_DEP_2) | instskip(SKIP_2) | instid1(VALU_DEP_1)
	v_exp_f32_e32 v11, v11
	s_waitcnt_depctr 0xfff
	v_ldexp_f32 v11, v11, v12
	v_cndmask_b32_e64 v11, 0, v11, s8
	v_cmp_nlt_f32_e64 s8, 0x42b17218, v10
	s_delay_alu instid0(VALU_DEP_1) | instskip(NEXT) | instid1(VALU_DEP_1)
	v_cndmask_b32_e64 v12, 0x7f800000, v11, s8
	v_add_f32_e32 v23, 1.0, v12
	v_cmp_gt_f32_e64 s31, 0x33800000, |v12|
	s_delay_alu instid0(VALU_DEP_2) | instskip(NEXT) | instid1(VALU_DEP_1)
	v_cvt_f64_f32_e32 v[10:11], v23
	v_frexp_exp_i32_f64_e32 v10, v[10:11]
	v_frexp_mant_f32_e32 v11, v23
	s_delay_alu instid0(VALU_DEP_1) | instskip(SKIP_1) | instid1(VALU_DEP_1)
	v_cmp_gt_f32_e64 s8, 0x3f2aaaab, v11
	v_add_f32_e32 v11, -1.0, v23
	v_sub_f32_e32 v25, v11, v23
	v_sub_f32_e32 v11, v12, v11
	s_delay_alu instid0(VALU_DEP_4) | instskip(SKIP_1) | instid1(VALU_DEP_1)
	v_subrev_co_ci_u32_e64 v10, s8, 0, v10, s8
	s_mov_b32 s8, 0x3e9b6dac
	v_sub_nc_u32_e32 v24, 0, v10
	v_cvt_f32_i32_e32 v10, v10
	s_delay_alu instid0(VALU_DEP_2) | instskip(NEXT) | instid1(VALU_DEP_1)
	v_ldexp_f32 v23, v23, v24
	v_dual_add_f32 v26, 1.0, v23 :: v_dual_add_f32 v25, 1.0, v25
	s_delay_alu instid0(VALU_DEP_1) | instskip(NEXT) | instid1(VALU_DEP_2)
	v_add_f32_e32 v11, v11, v25
	v_add_f32_e32 v25, -1.0, v26
	s_delay_alu instid0(VALU_DEP_2) | instskip(NEXT) | instid1(VALU_DEP_2)
	v_ldexp_f32 v11, v11, v24
	v_dual_add_f32 v24, -1.0, v23 :: v_dual_sub_f32 v25, v23, v25
	s_delay_alu instid0(VALU_DEP_1) | instskip(NEXT) | instid1(VALU_DEP_2)
	v_add_f32_e32 v27, 1.0, v24
	v_add_f32_e32 v25, v11, v25
	s_delay_alu instid0(VALU_DEP_2) | instskip(NEXT) | instid1(VALU_DEP_2)
	v_sub_f32_e32 v23, v23, v27
	v_add_f32_e32 v27, v26, v25
	s_delay_alu instid0(VALU_DEP_2) | instskip(NEXT) | instid1(VALU_DEP_2)
	v_add_f32_e32 v11, v11, v23
	v_rcp_f32_e32 v23, v27
	v_sub_f32_e32 v26, v26, v27
	s_delay_alu instid0(VALU_DEP_1) | instskip(NEXT) | instid1(VALU_DEP_1)
	v_dual_add_f32 v28, v24, v11 :: v_dual_add_f32 v25, v25, v26
	v_sub_f32_e32 v24, v24, v28
	s_waitcnt_depctr 0xfff
	v_mul_f32_e32 v29, v28, v23
	v_add_f32_e32 v11, v11, v24
	s_delay_alu instid0(VALU_DEP_2) | instskip(NEXT) | instid1(VALU_DEP_1)
	v_mul_f32_e32 v30, v27, v29
	v_fma_f32 v26, v29, v27, -v30
	s_delay_alu instid0(VALU_DEP_1) | instskip(NEXT) | instid1(VALU_DEP_1)
	v_fmac_f32_e32 v26, v29, v25
	v_add_f32_e32 v31, v30, v26
	s_delay_alu instid0(VALU_DEP_1) | instskip(SKIP_1) | instid1(VALU_DEP_2)
	v_sub_f32_e32 v32, v28, v31
	v_sub_f32_e32 v24, v31, v30
	;; [unrolled: 1-line block ×3, first 2 shown]
	s_delay_alu instid0(VALU_DEP_2) | instskip(NEXT) | instid1(VALU_DEP_2)
	v_sub_f32_e32 v24, v24, v26
	v_sub_f32_e32 v28, v28, v31
	s_delay_alu instid0(VALU_DEP_1) | instskip(NEXT) | instid1(VALU_DEP_1)
	v_add_f32_e32 v11, v11, v28
	v_add_f32_e32 v11, v24, v11
	s_delay_alu instid0(VALU_DEP_1) | instskip(NEXT) | instid1(VALU_DEP_1)
	v_add_f32_e32 v24, v32, v11
	v_mul_f32_e32 v26, v23, v24
	s_delay_alu instid0(VALU_DEP_1) | instskip(NEXT) | instid1(VALU_DEP_1)
	v_dual_sub_f32 v31, v32, v24 :: v_dual_mul_f32 v28, v27, v26
	v_add_f32_e32 v11, v11, v31
	s_delay_alu instid0(VALU_DEP_2) | instskip(NEXT) | instid1(VALU_DEP_1)
	v_fma_f32 v27, v26, v27, -v28
	v_fmac_f32_e32 v27, v26, v25
	s_delay_alu instid0(VALU_DEP_1) | instskip(NEXT) | instid1(VALU_DEP_1)
	v_add_f32_e32 v25, v28, v27
	v_sub_f32_e32 v30, v24, v25
	v_sub_f32_e32 v28, v25, v28
	s_delay_alu instid0(VALU_DEP_2) | instskip(NEXT) | instid1(VALU_DEP_1)
	v_sub_f32_e32 v24, v24, v30
	v_sub_f32_e32 v24, v24, v25
	s_delay_alu instid0(VALU_DEP_3) | instskip(NEXT) | instid1(VALU_DEP_2)
	v_sub_f32_e32 v25, v28, v27
	v_dual_add_f32 v11, v11, v24 :: v_dual_add_f32 v24, v29, v26
	s_delay_alu instid0(VALU_DEP_1) | instskip(NEXT) | instid1(VALU_DEP_2)
	v_add_f32_e32 v11, v25, v11
	v_sub_f32_e32 v25, v24, v29
	s_delay_alu instid0(VALU_DEP_2) | instskip(NEXT) | instid1(VALU_DEP_2)
	v_add_f32_e32 v11, v30, v11
	v_sub_f32_e32 v25, v26, v25
	s_delay_alu instid0(VALU_DEP_2) | instskip(NEXT) | instid1(VALU_DEP_1)
	v_mul_f32_e32 v11, v23, v11
	v_add_f32_e32 v11, v25, v11
	s_delay_alu instid0(VALU_DEP_1) | instskip(NEXT) | instid1(VALU_DEP_1)
	v_add_f32_e32 v23, v24, v11
	v_mul_f32_e32 v25, v23, v23
	s_delay_alu instid0(VALU_DEP_1) | instskip(SKIP_2) | instid1(VALU_DEP_3)
	v_fmaak_f32 v26, s8, v25, 0x3ecc95a3
	v_mul_f32_e32 v27, v23, v25
	v_cmp_eq_f32_e64 s8, 0x7f800000, v12
	v_fmaak_f32 v25, v25, v26, 0x3f2aaada
	v_ldexp_f32 v26, v23, 1
	v_sub_f32_e32 v23, v23, v24
	s_delay_alu instid0(VALU_DEP_4) | instskip(NEXT) | instid1(VALU_DEP_3)
	s_or_b32 s8, s8, s31
	v_mul_f32_e32 v25, v27, v25
	v_mul_f32_e32 v27, 0x3f317218, v10
	s_delay_alu instid0(VALU_DEP_2) | instskip(NEXT) | instid1(VALU_DEP_1)
	v_dual_sub_f32 v11, v11, v23 :: v_dual_add_f32 v24, v26, v25
	v_ldexp_f32 v11, v11, 1
	s_delay_alu instid0(VALU_DEP_2) | instskip(NEXT) | instid1(VALU_DEP_4)
	v_sub_f32_e32 v23, v24, v26
	v_fma_f32 v26, 0x3f317218, v10, -v27
	s_delay_alu instid0(VALU_DEP_1) | instskip(NEXT) | instid1(VALU_DEP_1)
	v_dual_sub_f32 v23, v25, v23 :: v_dual_fmamk_f32 v10, v10, 0xb102e308, v26
	v_add_f32_e32 v11, v11, v23
	s_delay_alu instid0(VALU_DEP_2) | instskip(NEXT) | instid1(VALU_DEP_2)
	v_add_f32_e32 v23, v27, v10
	v_add_f32_e32 v25, v24, v11
	s_delay_alu instid0(VALU_DEP_2) | instskip(NEXT) | instid1(VALU_DEP_2)
	v_sub_f32_e32 v27, v23, v27
	v_add_f32_e32 v26, v23, v25
	v_sub_f32_e32 v24, v25, v24
	s_delay_alu instid0(VALU_DEP_3) | instskip(NEXT) | instid1(VALU_DEP_2)
	v_sub_f32_e32 v10, v10, v27
	v_dual_sub_f32 v28, v26, v23 :: v_dual_sub_f32 v11, v11, v24
	s_delay_alu instid0(VALU_DEP_1) | instskip(NEXT) | instid1(VALU_DEP_2)
	v_sub_f32_e32 v29, v26, v28
	v_dual_sub_f32 v24, v25, v28 :: v_dual_add_f32 v25, v10, v11
	s_delay_alu instid0(VALU_DEP_2) | instskip(NEXT) | instid1(VALU_DEP_1)
	v_sub_f32_e32 v23, v23, v29
	v_dual_add_f32 v23, v24, v23 :: v_dual_sub_f32 v24, v25, v10
	s_delay_alu instid0(VALU_DEP_1) | instskip(NEXT) | instid1(VALU_DEP_2)
	v_add_f32_e32 v23, v25, v23
	v_sub_f32_e32 v25, v25, v24
	v_sub_f32_e32 v11, v11, v24
	s_delay_alu instid0(VALU_DEP_3) | instskip(NEXT) | instid1(VALU_DEP_3)
	v_add_f32_e32 v27, v26, v23
	v_sub_f32_e32 v10, v10, v25
	s_delay_alu instid0(VALU_DEP_2) | instskip(NEXT) | instid1(VALU_DEP_2)
	v_sub_f32_e32 v24, v27, v26
	v_add_f32_e32 v10, v11, v10
	s_delay_alu instid0(VALU_DEP_2) | instskip(NEXT) | instid1(VALU_DEP_1)
	v_sub_f32_e32 v11, v23, v24
	v_add_f32_e32 v10, v10, v11
	s_delay_alu instid0(VALU_DEP_1) | instskip(NEXT) | instid1(VALU_DEP_1)
	v_add_f32_e32 v10, v27, v10
	v_cndmask_b32_e64 v10, v10, v12, s8
	s_delay_alu instid0(VALU_DEP_1)
	v_add_f32_e32 v11, v9, v10
.LBB126_50:
	s_or_b32 exec_lo, exec_lo, s30
	s_delay_alu instid0(VALU_DEP_1)
	v_mov_b32_e32 v10, v11
.LBB126_51:
	s_or_b32 exec_lo, exec_lo, s29
	ds_swizzle_b32 v11, v10 offset:swizzle(BROADCAST,32,15)
	v_and_b32_e32 v9, 16, v4
	s_mov_b32 s29, exec_lo
	s_delay_alu instid0(VALU_DEP_1)
	v_cmpx_ne_u32_e32 0, v9
	s_cbranch_execz .LBB126_55
; %bb.52:
	s_waitcnt lgkmcnt(0)
	v_dual_max_f32 v9, v10, v10 :: v_dual_max_f32 v12, v11, v11
	v_cmp_u_f32_e64 s8, v11, v11
	s_delay_alu instid0(VALU_DEP_2) | instskip(SKIP_1) | instid1(VALU_DEP_2)
	v_min_f32_e32 v23, v12, v9
	v_max_f32_e32 v9, v12, v9
	v_cndmask_b32_e64 v12, v23, v11, s8
	s_delay_alu instid0(VALU_DEP_2) | instskip(SKIP_1) | instid1(VALU_DEP_1)
	v_cndmask_b32_e64 v9, v9, v11, s8
	v_cmp_u_f32_e64 s8, v10, v10
	v_cndmask_b32_e64 v12, v12, v10, s8
	s_delay_alu instid0(VALU_DEP_3) | instskip(NEXT) | instid1(VALU_DEP_2)
	v_cndmask_b32_e64 v9, v9, v10, s8
	v_cmp_class_f32_e64 s30, v12, 0x1f8
	s_delay_alu instid0(VALU_DEP_2) | instskip(NEXT) | instid1(VALU_DEP_1)
	v_cmp_neq_f32_e64 s8, v12, v9
	s_or_b32 s8, s8, s30
	s_delay_alu instid0(SALU_CYCLE_1)
	s_and_saveexec_b32 s30, s8
	s_cbranch_execz .LBB126_54
; %bb.53:
	v_sub_f32_e32 v10, v12, v9
	s_delay_alu instid0(VALU_DEP_1) | instskip(NEXT) | instid1(VALU_DEP_1)
	v_mul_f32_e32 v11, 0x3fb8aa3b, v10
	v_fma_f32 v12, 0x3fb8aa3b, v10, -v11
	v_rndne_f32_e32 v23, v11
	s_delay_alu instid0(VALU_DEP_1) | instskip(SKIP_1) | instid1(VALU_DEP_2)
	v_dual_sub_f32 v11, v11, v23 :: v_dual_fmamk_f32 v12, v10, 0x32a5705f, v12
	v_cmp_ngt_f32_e64 s8, 0xc2ce8ed0, v10
	v_add_f32_e32 v11, v11, v12
	v_cvt_i32_f32_e32 v12, v23
	s_delay_alu instid0(VALU_DEP_2) | instskip(SKIP_2) | instid1(VALU_DEP_1)
	v_exp_f32_e32 v11, v11
	s_waitcnt_depctr 0xfff
	v_ldexp_f32 v11, v11, v12
	v_cndmask_b32_e64 v11, 0, v11, s8
	v_cmp_nlt_f32_e64 s8, 0x42b17218, v10
	s_delay_alu instid0(VALU_DEP_1) | instskip(NEXT) | instid1(VALU_DEP_1)
	v_cndmask_b32_e64 v12, 0x7f800000, v11, s8
	v_add_f32_e32 v23, 1.0, v12
	v_cmp_gt_f32_e64 s31, 0x33800000, |v12|
	s_delay_alu instid0(VALU_DEP_2) | instskip(NEXT) | instid1(VALU_DEP_1)
	v_cvt_f64_f32_e32 v[10:11], v23
	v_frexp_exp_i32_f64_e32 v10, v[10:11]
	v_frexp_mant_f32_e32 v11, v23
	s_delay_alu instid0(VALU_DEP_1) | instskip(SKIP_1) | instid1(VALU_DEP_1)
	v_cmp_gt_f32_e64 s8, 0x3f2aaaab, v11
	v_add_f32_e32 v11, -1.0, v23
	v_sub_f32_e32 v25, v11, v23
	v_sub_f32_e32 v11, v12, v11
	s_delay_alu instid0(VALU_DEP_4) | instskip(SKIP_1) | instid1(VALU_DEP_1)
	v_subrev_co_ci_u32_e64 v10, s8, 0, v10, s8
	s_mov_b32 s8, 0x3e9b6dac
	v_sub_nc_u32_e32 v24, 0, v10
	v_cvt_f32_i32_e32 v10, v10
	s_delay_alu instid0(VALU_DEP_2) | instskip(NEXT) | instid1(VALU_DEP_1)
	v_ldexp_f32 v23, v23, v24
	v_dual_add_f32 v26, 1.0, v23 :: v_dual_add_f32 v25, 1.0, v25
	s_delay_alu instid0(VALU_DEP_1) | instskip(NEXT) | instid1(VALU_DEP_2)
	v_add_f32_e32 v11, v11, v25
	v_add_f32_e32 v25, -1.0, v26
	s_delay_alu instid0(VALU_DEP_2) | instskip(NEXT) | instid1(VALU_DEP_2)
	v_ldexp_f32 v11, v11, v24
	v_dual_add_f32 v24, -1.0, v23 :: v_dual_sub_f32 v25, v23, v25
	s_delay_alu instid0(VALU_DEP_1) | instskip(NEXT) | instid1(VALU_DEP_2)
	v_add_f32_e32 v27, 1.0, v24
	v_add_f32_e32 v25, v11, v25
	s_delay_alu instid0(VALU_DEP_2) | instskip(NEXT) | instid1(VALU_DEP_2)
	v_sub_f32_e32 v23, v23, v27
	v_add_f32_e32 v27, v26, v25
	s_delay_alu instid0(VALU_DEP_2) | instskip(NEXT) | instid1(VALU_DEP_2)
	v_add_f32_e32 v11, v11, v23
	v_rcp_f32_e32 v23, v27
	v_sub_f32_e32 v26, v26, v27
	s_delay_alu instid0(VALU_DEP_1) | instskip(NEXT) | instid1(VALU_DEP_1)
	v_dual_add_f32 v28, v24, v11 :: v_dual_add_f32 v25, v25, v26
	v_sub_f32_e32 v24, v24, v28
	s_waitcnt_depctr 0xfff
	v_mul_f32_e32 v29, v28, v23
	v_add_f32_e32 v11, v11, v24
	s_delay_alu instid0(VALU_DEP_2) | instskip(NEXT) | instid1(VALU_DEP_1)
	v_mul_f32_e32 v30, v27, v29
	v_fma_f32 v26, v29, v27, -v30
	s_delay_alu instid0(VALU_DEP_1) | instskip(NEXT) | instid1(VALU_DEP_1)
	v_fmac_f32_e32 v26, v29, v25
	v_add_f32_e32 v31, v30, v26
	s_delay_alu instid0(VALU_DEP_1) | instskip(SKIP_1) | instid1(VALU_DEP_2)
	v_sub_f32_e32 v32, v28, v31
	v_sub_f32_e32 v24, v31, v30
	;; [unrolled: 1-line block ×3, first 2 shown]
	s_delay_alu instid0(VALU_DEP_2) | instskip(NEXT) | instid1(VALU_DEP_2)
	v_sub_f32_e32 v24, v24, v26
	v_sub_f32_e32 v28, v28, v31
	s_delay_alu instid0(VALU_DEP_1) | instskip(NEXT) | instid1(VALU_DEP_1)
	v_add_f32_e32 v11, v11, v28
	v_add_f32_e32 v11, v24, v11
	s_delay_alu instid0(VALU_DEP_1) | instskip(NEXT) | instid1(VALU_DEP_1)
	v_add_f32_e32 v24, v32, v11
	v_mul_f32_e32 v26, v23, v24
	s_delay_alu instid0(VALU_DEP_1) | instskip(NEXT) | instid1(VALU_DEP_1)
	v_dual_sub_f32 v31, v32, v24 :: v_dual_mul_f32 v28, v27, v26
	v_add_f32_e32 v11, v11, v31
	s_delay_alu instid0(VALU_DEP_2) | instskip(NEXT) | instid1(VALU_DEP_1)
	v_fma_f32 v27, v26, v27, -v28
	v_fmac_f32_e32 v27, v26, v25
	s_delay_alu instid0(VALU_DEP_1) | instskip(NEXT) | instid1(VALU_DEP_1)
	v_add_f32_e32 v25, v28, v27
	v_sub_f32_e32 v30, v24, v25
	v_sub_f32_e32 v28, v25, v28
	s_delay_alu instid0(VALU_DEP_2) | instskip(NEXT) | instid1(VALU_DEP_1)
	v_sub_f32_e32 v24, v24, v30
	v_sub_f32_e32 v24, v24, v25
	s_delay_alu instid0(VALU_DEP_3) | instskip(NEXT) | instid1(VALU_DEP_2)
	v_sub_f32_e32 v25, v28, v27
	v_dual_add_f32 v11, v11, v24 :: v_dual_add_f32 v24, v29, v26
	s_delay_alu instid0(VALU_DEP_1) | instskip(NEXT) | instid1(VALU_DEP_2)
	v_add_f32_e32 v11, v25, v11
	v_sub_f32_e32 v25, v24, v29
	s_delay_alu instid0(VALU_DEP_2) | instskip(NEXT) | instid1(VALU_DEP_2)
	v_add_f32_e32 v11, v30, v11
	v_sub_f32_e32 v25, v26, v25
	s_delay_alu instid0(VALU_DEP_2) | instskip(NEXT) | instid1(VALU_DEP_1)
	v_mul_f32_e32 v11, v23, v11
	v_add_f32_e32 v11, v25, v11
	s_delay_alu instid0(VALU_DEP_1) | instskip(NEXT) | instid1(VALU_DEP_1)
	v_add_f32_e32 v23, v24, v11
	v_mul_f32_e32 v25, v23, v23
	s_delay_alu instid0(VALU_DEP_1) | instskip(SKIP_2) | instid1(VALU_DEP_3)
	v_fmaak_f32 v26, s8, v25, 0x3ecc95a3
	v_mul_f32_e32 v27, v23, v25
	v_cmp_eq_f32_e64 s8, 0x7f800000, v12
	v_fmaak_f32 v25, v25, v26, 0x3f2aaada
	v_ldexp_f32 v26, v23, 1
	v_sub_f32_e32 v23, v23, v24
	s_delay_alu instid0(VALU_DEP_4) | instskip(NEXT) | instid1(VALU_DEP_3)
	s_or_b32 s8, s8, s31
	v_mul_f32_e32 v25, v27, v25
	v_mul_f32_e32 v27, 0x3f317218, v10
	s_delay_alu instid0(VALU_DEP_2) | instskip(NEXT) | instid1(VALU_DEP_1)
	v_dual_sub_f32 v11, v11, v23 :: v_dual_add_f32 v24, v26, v25
	v_ldexp_f32 v11, v11, 1
	s_delay_alu instid0(VALU_DEP_2) | instskip(NEXT) | instid1(VALU_DEP_4)
	v_sub_f32_e32 v23, v24, v26
	v_fma_f32 v26, 0x3f317218, v10, -v27
	s_delay_alu instid0(VALU_DEP_1) | instskip(NEXT) | instid1(VALU_DEP_1)
	v_dual_sub_f32 v23, v25, v23 :: v_dual_fmamk_f32 v10, v10, 0xb102e308, v26
	v_add_f32_e32 v11, v11, v23
	s_delay_alu instid0(VALU_DEP_2) | instskip(NEXT) | instid1(VALU_DEP_2)
	v_add_f32_e32 v23, v27, v10
	v_add_f32_e32 v25, v24, v11
	s_delay_alu instid0(VALU_DEP_2) | instskip(NEXT) | instid1(VALU_DEP_2)
	v_sub_f32_e32 v27, v23, v27
	v_add_f32_e32 v26, v23, v25
	v_sub_f32_e32 v24, v25, v24
	s_delay_alu instid0(VALU_DEP_3) | instskip(NEXT) | instid1(VALU_DEP_2)
	v_sub_f32_e32 v10, v10, v27
	v_dual_sub_f32 v28, v26, v23 :: v_dual_sub_f32 v11, v11, v24
	s_delay_alu instid0(VALU_DEP_1) | instskip(NEXT) | instid1(VALU_DEP_2)
	v_sub_f32_e32 v29, v26, v28
	v_dual_sub_f32 v24, v25, v28 :: v_dual_add_f32 v25, v10, v11
	s_delay_alu instid0(VALU_DEP_2) | instskip(NEXT) | instid1(VALU_DEP_1)
	v_sub_f32_e32 v23, v23, v29
	v_dual_add_f32 v23, v24, v23 :: v_dual_sub_f32 v24, v25, v10
	s_delay_alu instid0(VALU_DEP_1) | instskip(NEXT) | instid1(VALU_DEP_2)
	v_add_f32_e32 v23, v25, v23
	v_sub_f32_e32 v25, v25, v24
	v_sub_f32_e32 v11, v11, v24
	s_delay_alu instid0(VALU_DEP_3) | instskip(NEXT) | instid1(VALU_DEP_3)
	v_add_f32_e32 v27, v26, v23
	v_sub_f32_e32 v10, v10, v25
	s_delay_alu instid0(VALU_DEP_2) | instskip(NEXT) | instid1(VALU_DEP_2)
	v_sub_f32_e32 v24, v27, v26
	v_add_f32_e32 v10, v11, v10
	s_delay_alu instid0(VALU_DEP_2) | instskip(NEXT) | instid1(VALU_DEP_1)
	v_sub_f32_e32 v11, v23, v24
	v_add_f32_e32 v10, v10, v11
	s_delay_alu instid0(VALU_DEP_1) | instskip(NEXT) | instid1(VALU_DEP_1)
	v_add_f32_e32 v10, v27, v10
	v_cndmask_b32_e64 v10, v10, v12, s8
	s_delay_alu instid0(VALU_DEP_1)
	v_add_f32_e32 v11, v9, v10
.LBB126_54:
	s_or_b32 exec_lo, exec_lo, s30
	s_delay_alu instid0(VALU_DEP_1)
	v_mov_b32_e32 v10, v11
.LBB126_55:
	s_or_b32 exec_lo, exec_lo, s29
	v_add_nc_u32_e32 v9, -1, v4
	s_delay_alu instid0(VALU_DEP_1) | instskip(NEXT) | instid1(VALU_DEP_1)
	v_cmp_gt_i32_e64 s8, 0, v9
	v_cndmask_b32_e64 v4, v9, v4, s8
	s_delay_alu instid0(VALU_DEP_1) | instskip(SKIP_4) | instid1(VALU_DEP_2)
	v_lshlrev_b32_e32 v4, 2, v4
	ds_bpermute_b32 v4, v4, v10
	s_waitcnt lgkmcnt(0)
	v_max_f32_e32 v9, v4, v4
	v_cmp_u_f32_e64 s8, v4, v4
	v_min_f32_e32 v10, v9, v6
	v_max_f32_e32 v6, v9, v6
	s_delay_alu instid0(VALU_DEP_2) | instskip(NEXT) | instid1(VALU_DEP_2)
	v_cndmask_b32_e64 v9, v10, v4, s8
	v_cndmask_b32_e64 v10, v6, v4, s8
	s_delay_alu instid0(VALU_DEP_2) | instskip(NEXT) | instid1(VALU_DEP_2)
	v_cndmask_b32_e64 v6, v9, v3, s7
	v_cndmask_b32_e64 v3, v10, v3, s7
	s_delay_alu instid0(VALU_DEP_2) | instskip(NEXT) | instid1(VALU_DEP_2)
	v_cmp_class_f32_e64 s8, v6, 0x1f8
	v_cmp_neq_f32_e64 s7, v6, v3
	s_delay_alu instid0(VALU_DEP_1) | instskip(NEXT) | instid1(SALU_CYCLE_1)
	s_or_b32 s7, s7, s8
	s_and_saveexec_b32 s8, s7
	s_cbranch_execz .LBB126_57
; %bb.56:
	v_sub_f32_e32 v4, v6, v3
	s_delay_alu instid0(VALU_DEP_1) | instskip(SKIP_1) | instid1(VALU_DEP_2)
	v_mul_f32_e32 v6, 0x3fb8aa3b, v4
	v_cmp_ngt_f32_e64 s7, 0xc2ce8ed0, v4
	v_fma_f32 v9, 0x3fb8aa3b, v4, -v6
	v_rndne_f32_e32 v10, v6
	s_delay_alu instid0(VALU_DEP_1) | instskip(NEXT) | instid1(VALU_DEP_1)
	v_dual_fmamk_f32 v9, v4, 0x32a5705f, v9 :: v_dual_sub_f32 v6, v6, v10
	v_add_f32_e32 v6, v6, v9
	v_cvt_i32_f32_e32 v9, v10
	s_delay_alu instid0(VALU_DEP_2) | instskip(SKIP_2) | instid1(VALU_DEP_1)
	v_exp_f32_e32 v6, v6
	s_waitcnt_depctr 0xfff
	v_ldexp_f32 v6, v6, v9
	v_cndmask_b32_e64 v6, 0, v6, s7
	v_cmp_nlt_f32_e64 s7, 0x42b17218, v4
	s_delay_alu instid0(VALU_DEP_1) | instskip(NEXT) | instid1(VALU_DEP_1)
	v_cndmask_b32_e64 v4, 0x7f800000, v6, s7
	v_add_f32_e32 v6, 1.0, v4
	v_cmp_gt_f32_e64 s29, 0x33800000, |v4|
	s_delay_alu instid0(VALU_DEP_2) | instskip(NEXT) | instid1(VALU_DEP_1)
	v_cvt_f64_f32_e32 v[9:10], v6
	v_frexp_exp_i32_f64_e32 v9, v[9:10]
	v_frexp_mant_f32_e32 v10, v6
	s_delay_alu instid0(VALU_DEP_1) | instskip(SKIP_1) | instid1(VALU_DEP_1)
	v_cmp_gt_f32_e64 s7, 0x3f2aaaab, v10
	v_add_f32_e32 v10, -1.0, v6
	v_sub_f32_e32 v12, v10, v6
	v_sub_f32_e32 v10, v4, v10
	s_delay_alu instid0(VALU_DEP_4) | instskip(SKIP_1) | instid1(VALU_DEP_1)
	v_subrev_co_ci_u32_e64 v9, s7, 0, v9, s7
	s_mov_b32 s7, 0x3e9b6dac
	v_sub_nc_u32_e32 v11, 0, v9
	v_cvt_f32_i32_e32 v9, v9
	s_delay_alu instid0(VALU_DEP_2) | instskip(NEXT) | instid1(VALU_DEP_1)
	v_ldexp_f32 v6, v6, v11
	v_dual_add_f32 v12, 1.0, v12 :: v_dual_add_f32 v23, 1.0, v6
	s_delay_alu instid0(VALU_DEP_1) | instskip(NEXT) | instid1(VALU_DEP_2)
	v_add_f32_e32 v10, v10, v12
	v_add_f32_e32 v12, -1.0, v23
	s_delay_alu instid0(VALU_DEP_2) | instskip(NEXT) | instid1(VALU_DEP_2)
	v_ldexp_f32 v10, v10, v11
	v_dual_add_f32 v11, -1.0, v6 :: v_dual_sub_f32 v12, v6, v12
	s_delay_alu instid0(VALU_DEP_1) | instskip(NEXT) | instid1(VALU_DEP_2)
	v_add_f32_e32 v24, 1.0, v11
	v_add_f32_e32 v12, v10, v12
	s_delay_alu instid0(VALU_DEP_2) | instskip(NEXT) | instid1(VALU_DEP_2)
	v_sub_f32_e32 v6, v6, v24
	v_add_f32_e32 v24, v23, v12
	s_delay_alu instid0(VALU_DEP_2) | instskip(NEXT) | instid1(VALU_DEP_2)
	v_add_f32_e32 v6, v10, v6
	v_rcp_f32_e32 v10, v24
	v_sub_f32_e32 v23, v23, v24
	s_delay_alu instid0(VALU_DEP_1) | instskip(SKIP_2) | instid1(VALU_DEP_1)
	v_dual_add_f32 v25, v11, v6 :: v_dual_add_f32 v12, v12, v23
	s_waitcnt_depctr 0xfff
	v_dual_sub_f32 v11, v11, v25 :: v_dual_mul_f32 v26, v25, v10
	v_dual_add_f32 v6, v6, v11 :: v_dual_mul_f32 v27, v24, v26
	s_delay_alu instid0(VALU_DEP_1) | instskip(NEXT) | instid1(VALU_DEP_1)
	v_fma_f32 v23, v26, v24, -v27
	v_fmac_f32_e32 v23, v26, v12
	s_delay_alu instid0(VALU_DEP_1) | instskip(NEXT) | instid1(VALU_DEP_1)
	v_add_f32_e32 v28, v27, v23
	v_sub_f32_e32 v29, v25, v28
	v_sub_f32_e32 v11, v28, v27
	s_delay_alu instid0(VALU_DEP_2) | instskip(NEXT) | instid1(VALU_DEP_2)
	v_sub_f32_e32 v25, v25, v29
	v_sub_f32_e32 v11, v11, v23
	s_delay_alu instid0(VALU_DEP_2) | instskip(NEXT) | instid1(VALU_DEP_1)
	v_sub_f32_e32 v25, v25, v28
	v_add_f32_e32 v6, v6, v25
	s_delay_alu instid0(VALU_DEP_1) | instskip(NEXT) | instid1(VALU_DEP_1)
	v_add_f32_e32 v6, v11, v6
	v_add_f32_e32 v11, v29, v6
	s_delay_alu instid0(VALU_DEP_1) | instskip(SKIP_1) | instid1(VALU_DEP_1)
	v_mul_f32_e32 v23, v10, v11
	v_sub_f32_e32 v28, v29, v11
	v_dual_mul_f32 v25, v24, v23 :: v_dual_add_f32 v6, v6, v28
	s_delay_alu instid0(VALU_DEP_1) | instskip(NEXT) | instid1(VALU_DEP_1)
	v_fma_f32 v24, v23, v24, -v25
	v_fmac_f32_e32 v24, v23, v12
	s_delay_alu instid0(VALU_DEP_1) | instskip(NEXT) | instid1(VALU_DEP_1)
	v_add_f32_e32 v12, v25, v24
	v_sub_f32_e32 v27, v11, v12
	v_sub_f32_e32 v25, v12, v25
	s_delay_alu instid0(VALU_DEP_2) | instskip(NEXT) | instid1(VALU_DEP_1)
	v_sub_f32_e32 v11, v11, v27
	v_sub_f32_e32 v11, v11, v12
	s_delay_alu instid0(VALU_DEP_3) | instskip(NEXT) | instid1(VALU_DEP_2)
	v_sub_f32_e32 v12, v25, v24
	v_add_f32_e32 v6, v6, v11
	s_delay_alu instid0(VALU_DEP_1) | instskip(NEXT) | instid1(VALU_DEP_1)
	v_dual_add_f32 v11, v26, v23 :: v_dual_add_f32 v6, v12, v6
	v_sub_f32_e32 v12, v11, v26
	s_delay_alu instid0(VALU_DEP_2) | instskip(NEXT) | instid1(VALU_DEP_2)
	v_add_f32_e32 v6, v27, v6
	v_sub_f32_e32 v12, v23, v12
	s_delay_alu instid0(VALU_DEP_2) | instskip(NEXT) | instid1(VALU_DEP_1)
	v_mul_f32_e32 v6, v10, v6
	v_add_f32_e32 v6, v12, v6
	s_delay_alu instid0(VALU_DEP_1) | instskip(NEXT) | instid1(VALU_DEP_1)
	v_add_f32_e32 v10, v11, v6
	v_mul_f32_e32 v12, v10, v10
	s_delay_alu instid0(VALU_DEP_1) | instskip(SKIP_2) | instid1(VALU_DEP_3)
	v_fmaak_f32 v23, s7, v12, 0x3ecc95a3
	v_mul_f32_e32 v24, v10, v12
	v_cmp_eq_f32_e64 s7, 0x7f800000, v4
	v_fmaak_f32 v12, v12, v23, 0x3f2aaada
	v_ldexp_f32 v23, v10, 1
	v_sub_f32_e32 v10, v10, v11
	s_delay_alu instid0(VALU_DEP_4) | instskip(NEXT) | instid1(VALU_DEP_3)
	s_or_b32 s7, s7, s29
	v_mul_f32_e32 v12, v24, v12
	v_mul_f32_e32 v24, 0x3f317218, v9
	s_delay_alu instid0(VALU_DEP_2) | instskip(NEXT) | instid1(VALU_DEP_1)
	v_dual_sub_f32 v6, v6, v10 :: v_dual_add_f32 v11, v23, v12
	v_ldexp_f32 v6, v6, 1
	s_delay_alu instid0(VALU_DEP_2) | instskip(NEXT) | instid1(VALU_DEP_4)
	v_sub_f32_e32 v10, v11, v23
	v_fma_f32 v23, 0x3f317218, v9, -v24
	s_delay_alu instid0(VALU_DEP_1) | instskip(NEXT) | instid1(VALU_DEP_1)
	v_dual_sub_f32 v10, v12, v10 :: v_dual_fmamk_f32 v9, v9, 0xb102e308, v23
	v_add_f32_e32 v6, v6, v10
	s_delay_alu instid0(VALU_DEP_2) | instskip(NEXT) | instid1(VALU_DEP_2)
	v_add_f32_e32 v10, v24, v9
	v_add_f32_e32 v12, v11, v6
	s_delay_alu instid0(VALU_DEP_2) | instskip(NEXT) | instid1(VALU_DEP_2)
	v_sub_f32_e32 v24, v10, v24
	v_add_f32_e32 v23, v10, v12
	v_sub_f32_e32 v11, v12, v11
	s_delay_alu instid0(VALU_DEP_3) | instskip(NEXT) | instid1(VALU_DEP_2)
	v_sub_f32_e32 v9, v9, v24
	v_dual_sub_f32 v25, v23, v10 :: v_dual_sub_f32 v6, v6, v11
	s_delay_alu instid0(VALU_DEP_1) | instskip(NEXT) | instid1(VALU_DEP_2)
	v_sub_f32_e32 v26, v23, v25
	v_dual_sub_f32 v11, v12, v25 :: v_dual_add_f32 v12, v9, v6
	s_delay_alu instid0(VALU_DEP_2) | instskip(NEXT) | instid1(VALU_DEP_1)
	v_sub_f32_e32 v10, v10, v26
	v_dual_add_f32 v10, v11, v10 :: v_dual_sub_f32 v11, v12, v9
	s_delay_alu instid0(VALU_DEP_1) | instskip(NEXT) | instid1(VALU_DEP_2)
	v_add_f32_e32 v10, v12, v10
	v_sub_f32_e32 v12, v12, v11
	v_sub_f32_e32 v6, v6, v11
	s_delay_alu instid0(VALU_DEP_2) | instskip(NEXT) | instid1(VALU_DEP_1)
	v_dual_add_f32 v24, v23, v10 :: v_dual_sub_f32 v9, v9, v12
	v_dual_sub_f32 v11, v24, v23 :: v_dual_add_f32 v6, v6, v9
	s_delay_alu instid0(VALU_DEP_1) | instskip(NEXT) | instid1(VALU_DEP_1)
	v_sub_f32_e32 v9, v10, v11
	v_add_f32_e32 v6, v6, v9
	s_delay_alu instid0(VALU_DEP_1) | instskip(NEXT) | instid1(VALU_DEP_1)
	v_add_f32_e32 v6, v24, v6
	v_cndmask_b32_e64 v4, v6, v4, s7
	s_delay_alu instid0(VALU_DEP_1)
	v_add_f32_e32 v4, v3, v4
.LBB126_57:
	s_or_b32 exec_lo, exec_lo, s8
	s_delay_alu instid0(VALU_DEP_1)
	v_cndmask_b32_e64 v3, v4, v22, s3
	; wave barrier
	ds_store_b32 v5, v3
	; wave barrier
	ds_load_b32 v4, v5 offset:4
	v_max_f32_e32 v6, v3, v3
	v_cmp_u_f32_e64 s7, v3, v3
	s_waitcnt lgkmcnt(0)
	v_max_f32_e32 v9, v4, v4
	s_delay_alu instid0(VALU_DEP_1) | instskip(SKIP_1) | instid1(VALU_DEP_2)
	v_min_f32_e32 v10, v6, v9
	v_max_f32_e32 v6, v6, v9
	v_cndmask_b32_e64 v9, v10, v3, s7
	s_delay_alu instid0(VALU_DEP_2) | instskip(SKIP_1) | instid1(VALU_DEP_1)
	v_cndmask_b32_e64 v10, v6, v3, s7
	v_cmp_u_f32_e64 s7, v4, v4
	v_cndmask_b32_e64 v6, v9, v4, s7
	s_delay_alu instid0(VALU_DEP_3) | instskip(NEXT) | instid1(VALU_DEP_2)
	v_cndmask_b32_e64 v4, v10, v4, s7
	v_cmp_class_f32_e64 s8, v6, 0x1f8
	s_delay_alu instid0(VALU_DEP_2) | instskip(NEXT) | instid1(VALU_DEP_1)
	v_cmp_neq_f32_e64 s7, v6, v4
	s_or_b32 s7, s7, s8
	s_delay_alu instid0(SALU_CYCLE_1)
	s_and_saveexec_b32 s8, s7
	s_cbranch_execz .LBB126_59
; %bb.58:
	v_sub_f32_e32 v3, v6, v4
	s_delay_alu instid0(VALU_DEP_1) | instskip(SKIP_1) | instid1(VALU_DEP_2)
	v_mul_f32_e32 v6, 0x3fb8aa3b, v3
	v_cmp_ngt_f32_e64 s7, 0xc2ce8ed0, v3
	v_fma_f32 v9, 0x3fb8aa3b, v3, -v6
	v_rndne_f32_e32 v10, v6
	s_delay_alu instid0(VALU_DEP_1) | instskip(NEXT) | instid1(VALU_DEP_1)
	v_dual_fmamk_f32 v9, v3, 0x32a5705f, v9 :: v_dual_sub_f32 v6, v6, v10
	v_add_f32_e32 v6, v6, v9
	v_cvt_i32_f32_e32 v9, v10
	s_delay_alu instid0(VALU_DEP_2) | instskip(SKIP_2) | instid1(VALU_DEP_1)
	v_exp_f32_e32 v6, v6
	s_waitcnt_depctr 0xfff
	v_ldexp_f32 v6, v6, v9
	v_cndmask_b32_e64 v6, 0, v6, s7
	v_cmp_nlt_f32_e64 s7, 0x42b17218, v3
	s_delay_alu instid0(VALU_DEP_1) | instskip(NEXT) | instid1(VALU_DEP_1)
	v_cndmask_b32_e64 v3, 0x7f800000, v6, s7
	v_add_f32_e32 v6, 1.0, v3
	v_cmp_gt_f32_e64 s29, 0x33800000, |v3|
	s_delay_alu instid0(VALU_DEP_2) | instskip(NEXT) | instid1(VALU_DEP_1)
	v_cvt_f64_f32_e32 v[9:10], v6
	v_frexp_exp_i32_f64_e32 v9, v[9:10]
	v_frexp_mant_f32_e32 v10, v6
	s_delay_alu instid0(VALU_DEP_1) | instskip(SKIP_1) | instid1(VALU_DEP_1)
	v_cmp_gt_f32_e64 s7, 0x3f2aaaab, v10
	v_add_f32_e32 v10, -1.0, v6
	v_sub_f32_e32 v12, v10, v6
	v_sub_f32_e32 v10, v3, v10
	s_delay_alu instid0(VALU_DEP_4) | instskip(SKIP_1) | instid1(VALU_DEP_1)
	v_subrev_co_ci_u32_e64 v9, s7, 0, v9, s7
	s_mov_b32 s7, 0x3e9b6dac
	v_sub_nc_u32_e32 v11, 0, v9
	v_cvt_f32_i32_e32 v9, v9
	s_delay_alu instid0(VALU_DEP_2) | instskip(NEXT) | instid1(VALU_DEP_1)
	v_ldexp_f32 v6, v6, v11
	v_dual_add_f32 v12, 1.0, v12 :: v_dual_add_f32 v23, 1.0, v6
	s_delay_alu instid0(VALU_DEP_1) | instskip(NEXT) | instid1(VALU_DEP_1)
	v_add_f32_e32 v10, v10, v12
	v_ldexp_f32 v10, v10, v11
	s_delay_alu instid0(VALU_DEP_3) | instskip(NEXT) | instid1(VALU_DEP_1)
	v_dual_add_f32 v11, -1.0, v6 :: v_dual_add_f32 v12, -1.0, v23
	v_add_f32_e32 v24, 1.0, v11
	s_delay_alu instid0(VALU_DEP_2) | instskip(NEXT) | instid1(VALU_DEP_2)
	v_sub_f32_e32 v12, v6, v12
	v_sub_f32_e32 v6, v6, v24
	s_delay_alu instid0(VALU_DEP_1) | instskip(NEXT) | instid1(VALU_DEP_1)
	v_add_f32_e32 v6, v10, v6
	v_add_f32_e32 v25, v11, v6
	s_delay_alu instid0(VALU_DEP_1) | instskip(NEXT) | instid1(VALU_DEP_1)
	v_dual_sub_f32 v11, v11, v25 :: v_dual_add_f32 v12, v10, v12
	v_add_f32_e32 v6, v6, v11
	s_delay_alu instid0(VALU_DEP_2) | instskip(NEXT) | instid1(VALU_DEP_1)
	v_add_f32_e32 v24, v23, v12
	v_rcp_f32_e32 v10, v24
	v_sub_f32_e32 v23, v23, v24
	s_delay_alu instid0(VALU_DEP_1) | instskip(SKIP_2) | instid1(VALU_DEP_1)
	v_add_f32_e32 v12, v12, v23
	s_waitcnt_depctr 0xfff
	v_mul_f32_e32 v26, v25, v10
	v_mul_f32_e32 v27, v24, v26
	s_delay_alu instid0(VALU_DEP_1) | instskip(NEXT) | instid1(VALU_DEP_1)
	v_fma_f32 v23, v26, v24, -v27
	v_fmac_f32_e32 v23, v26, v12
	s_delay_alu instid0(VALU_DEP_1) | instskip(NEXT) | instid1(VALU_DEP_1)
	v_add_f32_e32 v28, v27, v23
	v_sub_f32_e32 v29, v25, v28
	v_sub_f32_e32 v11, v28, v27
	s_delay_alu instid0(VALU_DEP_2) | instskip(NEXT) | instid1(VALU_DEP_2)
	v_sub_f32_e32 v25, v25, v29
	v_sub_f32_e32 v11, v11, v23
	s_delay_alu instid0(VALU_DEP_2) | instskip(NEXT) | instid1(VALU_DEP_1)
	v_sub_f32_e32 v25, v25, v28
	v_add_f32_e32 v6, v6, v25
	s_delay_alu instid0(VALU_DEP_1) | instskip(NEXT) | instid1(VALU_DEP_1)
	v_add_f32_e32 v6, v11, v6
	v_add_f32_e32 v11, v29, v6
	s_delay_alu instid0(VALU_DEP_1) | instskip(NEXT) | instid1(VALU_DEP_1)
	v_mul_f32_e32 v23, v10, v11
	v_mul_f32_e32 v25, v24, v23
	s_delay_alu instid0(VALU_DEP_1) | instskip(NEXT) | instid1(VALU_DEP_1)
	v_fma_f32 v24, v23, v24, -v25
	v_fmac_f32_e32 v24, v23, v12
	s_delay_alu instid0(VALU_DEP_1) | instskip(NEXT) | instid1(VALU_DEP_1)
	v_add_f32_e32 v12, v25, v24
	v_dual_sub_f32 v28, v29, v11 :: v_dual_sub_f32 v27, v11, v12
	v_sub_f32_e32 v25, v12, v25
	s_delay_alu instid0(VALU_DEP_2) | instskip(NEXT) | instid1(VALU_DEP_1)
	v_sub_f32_e32 v11, v11, v27
	v_sub_f32_e32 v11, v11, v12
	s_delay_alu instid0(VALU_DEP_4) | instskip(NEXT) | instid1(VALU_DEP_4)
	v_add_f32_e32 v6, v6, v28
	v_sub_f32_e32 v12, v25, v24
	s_delay_alu instid0(VALU_DEP_2) | instskip(NEXT) | instid1(VALU_DEP_1)
	v_add_f32_e32 v6, v6, v11
	v_dual_add_f32 v11, v26, v23 :: v_dual_add_f32 v6, v12, v6
	s_delay_alu instid0(VALU_DEP_1) | instskip(NEXT) | instid1(VALU_DEP_2)
	v_sub_f32_e32 v12, v11, v26
	v_add_f32_e32 v6, v27, v6
	s_delay_alu instid0(VALU_DEP_2) | instskip(NEXT) | instid1(VALU_DEP_2)
	v_sub_f32_e32 v12, v23, v12
	v_mul_f32_e32 v6, v10, v6
	s_delay_alu instid0(VALU_DEP_1) | instskip(NEXT) | instid1(VALU_DEP_1)
	v_add_f32_e32 v6, v12, v6
	v_add_f32_e32 v10, v11, v6
	s_delay_alu instid0(VALU_DEP_1) | instskip(NEXT) | instid1(VALU_DEP_1)
	v_mul_f32_e32 v12, v10, v10
	v_fmaak_f32 v23, s7, v12, 0x3ecc95a3
	v_mul_f32_e32 v24, v10, v12
	v_cmp_eq_f32_e64 s7, 0x7f800000, v3
	s_delay_alu instid0(VALU_DEP_3) | instskip(SKIP_2) | instid1(VALU_DEP_4)
	v_fmaak_f32 v12, v12, v23, 0x3f2aaada
	v_ldexp_f32 v23, v10, 1
	v_sub_f32_e32 v10, v10, v11
	s_or_b32 s7, s7, s29
	s_delay_alu instid0(VALU_DEP_3) | instskip(SKIP_1) | instid1(VALU_DEP_2)
	v_mul_f32_e32 v12, v24, v12
	v_mul_f32_e32 v24, 0x3f317218, v9
	v_dual_sub_f32 v6, v6, v10 :: v_dual_add_f32 v11, v23, v12
	s_delay_alu instid0(VALU_DEP_1) | instskip(NEXT) | instid1(VALU_DEP_2)
	v_ldexp_f32 v6, v6, 1
	v_sub_f32_e32 v10, v11, v23
	s_delay_alu instid0(VALU_DEP_4) | instskip(NEXT) | instid1(VALU_DEP_1)
	v_fma_f32 v23, 0x3f317218, v9, -v24
	v_dual_sub_f32 v10, v12, v10 :: v_dual_fmamk_f32 v9, v9, 0xb102e308, v23
	s_delay_alu instid0(VALU_DEP_1) | instskip(NEXT) | instid1(VALU_DEP_2)
	v_add_f32_e32 v6, v6, v10
	v_add_f32_e32 v10, v24, v9
	s_delay_alu instid0(VALU_DEP_2) | instskip(NEXT) | instid1(VALU_DEP_2)
	v_add_f32_e32 v12, v11, v6
	v_sub_f32_e32 v24, v10, v24
	s_delay_alu instid0(VALU_DEP_2) | instskip(SKIP_1) | instid1(VALU_DEP_3)
	v_add_f32_e32 v23, v10, v12
	v_sub_f32_e32 v11, v12, v11
	v_sub_f32_e32 v9, v9, v24
	s_delay_alu instid0(VALU_DEP_2) | instskip(NEXT) | instid1(VALU_DEP_1)
	v_dual_sub_f32 v25, v23, v10 :: v_dual_sub_f32 v6, v6, v11
	v_sub_f32_e32 v26, v23, v25
	s_delay_alu instid0(VALU_DEP_2) | instskip(NEXT) | instid1(VALU_DEP_2)
	v_dual_sub_f32 v11, v12, v25 :: v_dual_add_f32 v12, v9, v6
	v_sub_f32_e32 v10, v10, v26
	s_delay_alu instid0(VALU_DEP_1) | instskip(NEXT) | instid1(VALU_DEP_1)
	v_dual_add_f32 v10, v11, v10 :: v_dual_sub_f32 v11, v12, v9
	v_add_f32_e32 v10, v12, v10
	s_delay_alu instid0(VALU_DEP_2) | instskip(SKIP_1) | instid1(VALU_DEP_2)
	v_sub_f32_e32 v12, v12, v11
	v_sub_f32_e32 v6, v6, v11
	v_dual_add_f32 v24, v23, v10 :: v_dual_sub_f32 v9, v9, v12
	s_delay_alu instid0(VALU_DEP_1) | instskip(NEXT) | instid1(VALU_DEP_1)
	v_dual_sub_f32 v11, v24, v23 :: v_dual_add_f32 v6, v6, v9
	v_sub_f32_e32 v9, v10, v11
	s_delay_alu instid0(VALU_DEP_1) | instskip(NEXT) | instid1(VALU_DEP_1)
	v_add_f32_e32 v6, v6, v9
	v_add_f32_e32 v6, v24, v6
	s_delay_alu instid0(VALU_DEP_1) | instskip(NEXT) | instid1(VALU_DEP_1)
	v_cndmask_b32_e64 v3, v6, v3, s7
	v_add_f32_e32 v3, v4, v3
.LBB126_59:
	s_or_b32 exec_lo, exec_lo, s8
	ds_load_b32 v4, v5 offset:8
	v_max_f32_e32 v6, v3, v3
	v_cmp_u_f32_e64 s7, v3, v3
	ds_store_b32 v5, v3 offset:4
	s_waitcnt lgkmcnt(1)
	v_max_f32_e32 v9, v4, v4
	s_delay_alu instid0(VALU_DEP_1) | instskip(SKIP_1) | instid1(VALU_DEP_2)
	v_min_f32_e32 v10, v6, v9
	v_max_f32_e32 v6, v6, v9
	v_cndmask_b32_e64 v9, v10, v3, s7
	s_delay_alu instid0(VALU_DEP_2) | instskip(SKIP_1) | instid1(VALU_DEP_1)
	v_cndmask_b32_e64 v10, v6, v3, s7
	v_cmp_u_f32_e64 s7, v4, v4
	v_cndmask_b32_e64 v6, v9, v4, s7
	s_delay_alu instid0(VALU_DEP_3) | instskip(NEXT) | instid1(VALU_DEP_2)
	v_cndmask_b32_e64 v4, v10, v4, s7
	v_cmp_class_f32_e64 s8, v6, 0x1f8
	s_delay_alu instid0(VALU_DEP_2) | instskip(NEXT) | instid1(VALU_DEP_1)
	v_cmp_neq_f32_e64 s7, v6, v4
	s_or_b32 s7, s7, s8
	s_delay_alu instid0(SALU_CYCLE_1)
	s_and_saveexec_b32 s8, s7
	s_cbranch_execz .LBB126_61
; %bb.60:
	v_sub_f32_e32 v3, v6, v4
	s_delay_alu instid0(VALU_DEP_1) | instskip(SKIP_1) | instid1(VALU_DEP_2)
	v_mul_f32_e32 v6, 0x3fb8aa3b, v3
	v_cmp_ngt_f32_e64 s7, 0xc2ce8ed0, v3
	v_fma_f32 v9, 0x3fb8aa3b, v3, -v6
	v_rndne_f32_e32 v10, v6
	s_delay_alu instid0(VALU_DEP_1) | instskip(NEXT) | instid1(VALU_DEP_1)
	v_dual_fmamk_f32 v9, v3, 0x32a5705f, v9 :: v_dual_sub_f32 v6, v6, v10
	v_add_f32_e32 v6, v6, v9
	v_cvt_i32_f32_e32 v9, v10
	s_delay_alu instid0(VALU_DEP_2) | instskip(SKIP_2) | instid1(VALU_DEP_1)
	v_exp_f32_e32 v6, v6
	s_waitcnt_depctr 0xfff
	v_ldexp_f32 v6, v6, v9
	v_cndmask_b32_e64 v6, 0, v6, s7
	v_cmp_nlt_f32_e64 s7, 0x42b17218, v3
	s_delay_alu instid0(VALU_DEP_1) | instskip(NEXT) | instid1(VALU_DEP_1)
	v_cndmask_b32_e64 v3, 0x7f800000, v6, s7
	v_add_f32_e32 v6, 1.0, v3
	v_cmp_gt_f32_e64 s29, 0x33800000, |v3|
	s_delay_alu instid0(VALU_DEP_2) | instskip(NEXT) | instid1(VALU_DEP_1)
	v_cvt_f64_f32_e32 v[9:10], v6
	v_frexp_exp_i32_f64_e32 v9, v[9:10]
	v_frexp_mant_f32_e32 v10, v6
	s_delay_alu instid0(VALU_DEP_1) | instskip(SKIP_1) | instid1(VALU_DEP_1)
	v_cmp_gt_f32_e64 s7, 0x3f2aaaab, v10
	v_add_f32_e32 v10, -1.0, v6
	v_sub_f32_e32 v12, v10, v6
	v_sub_f32_e32 v10, v3, v10
	s_delay_alu instid0(VALU_DEP_4) | instskip(SKIP_1) | instid1(VALU_DEP_1)
	v_subrev_co_ci_u32_e64 v9, s7, 0, v9, s7
	s_mov_b32 s7, 0x3e9b6dac
	v_sub_nc_u32_e32 v11, 0, v9
	v_cvt_f32_i32_e32 v9, v9
	s_delay_alu instid0(VALU_DEP_2) | instskip(NEXT) | instid1(VALU_DEP_1)
	v_ldexp_f32 v6, v6, v11
	v_dual_add_f32 v12, 1.0, v12 :: v_dual_add_f32 v23, 1.0, v6
	s_delay_alu instid0(VALU_DEP_1) | instskip(NEXT) | instid1(VALU_DEP_1)
	v_add_f32_e32 v10, v10, v12
	v_ldexp_f32 v10, v10, v11
	s_delay_alu instid0(VALU_DEP_3) | instskip(NEXT) | instid1(VALU_DEP_1)
	v_dual_add_f32 v11, -1.0, v6 :: v_dual_add_f32 v12, -1.0, v23
	v_add_f32_e32 v24, 1.0, v11
	s_delay_alu instid0(VALU_DEP_2) | instskip(NEXT) | instid1(VALU_DEP_2)
	v_sub_f32_e32 v12, v6, v12
	v_sub_f32_e32 v6, v6, v24
	s_delay_alu instid0(VALU_DEP_1) | instskip(NEXT) | instid1(VALU_DEP_1)
	v_add_f32_e32 v6, v10, v6
	v_add_f32_e32 v25, v11, v6
	s_delay_alu instid0(VALU_DEP_1) | instskip(NEXT) | instid1(VALU_DEP_1)
	v_dual_sub_f32 v11, v11, v25 :: v_dual_add_f32 v12, v10, v12
	v_add_f32_e32 v6, v6, v11
	s_delay_alu instid0(VALU_DEP_2) | instskip(NEXT) | instid1(VALU_DEP_1)
	v_add_f32_e32 v24, v23, v12
	v_rcp_f32_e32 v10, v24
	v_sub_f32_e32 v23, v23, v24
	s_delay_alu instid0(VALU_DEP_1) | instskip(SKIP_2) | instid1(VALU_DEP_1)
	v_add_f32_e32 v12, v12, v23
	s_waitcnt_depctr 0xfff
	v_mul_f32_e32 v26, v25, v10
	v_mul_f32_e32 v27, v24, v26
	s_delay_alu instid0(VALU_DEP_1) | instskip(NEXT) | instid1(VALU_DEP_1)
	v_fma_f32 v23, v26, v24, -v27
	v_fmac_f32_e32 v23, v26, v12
	s_delay_alu instid0(VALU_DEP_1) | instskip(NEXT) | instid1(VALU_DEP_1)
	v_add_f32_e32 v28, v27, v23
	v_sub_f32_e32 v29, v25, v28
	v_sub_f32_e32 v11, v28, v27
	s_delay_alu instid0(VALU_DEP_2) | instskip(NEXT) | instid1(VALU_DEP_2)
	v_sub_f32_e32 v25, v25, v29
	v_sub_f32_e32 v11, v11, v23
	s_delay_alu instid0(VALU_DEP_2) | instskip(NEXT) | instid1(VALU_DEP_1)
	v_sub_f32_e32 v25, v25, v28
	v_add_f32_e32 v6, v6, v25
	s_delay_alu instid0(VALU_DEP_1) | instskip(NEXT) | instid1(VALU_DEP_1)
	v_add_f32_e32 v6, v11, v6
	v_add_f32_e32 v11, v29, v6
	s_delay_alu instid0(VALU_DEP_1) | instskip(NEXT) | instid1(VALU_DEP_1)
	v_mul_f32_e32 v23, v10, v11
	v_mul_f32_e32 v25, v24, v23
	s_delay_alu instid0(VALU_DEP_1) | instskip(NEXT) | instid1(VALU_DEP_1)
	v_fma_f32 v24, v23, v24, -v25
	v_fmac_f32_e32 v24, v23, v12
	s_delay_alu instid0(VALU_DEP_1) | instskip(NEXT) | instid1(VALU_DEP_1)
	v_add_f32_e32 v12, v25, v24
	v_dual_sub_f32 v28, v29, v11 :: v_dual_sub_f32 v27, v11, v12
	v_sub_f32_e32 v25, v12, v25
	s_delay_alu instid0(VALU_DEP_2) | instskip(NEXT) | instid1(VALU_DEP_1)
	v_sub_f32_e32 v11, v11, v27
	v_sub_f32_e32 v11, v11, v12
	s_delay_alu instid0(VALU_DEP_4) | instskip(NEXT) | instid1(VALU_DEP_4)
	v_add_f32_e32 v6, v6, v28
	v_sub_f32_e32 v12, v25, v24
	s_delay_alu instid0(VALU_DEP_2) | instskip(NEXT) | instid1(VALU_DEP_1)
	v_add_f32_e32 v6, v6, v11
	v_dual_add_f32 v11, v26, v23 :: v_dual_add_f32 v6, v12, v6
	s_delay_alu instid0(VALU_DEP_1) | instskip(NEXT) | instid1(VALU_DEP_2)
	v_sub_f32_e32 v12, v11, v26
	v_add_f32_e32 v6, v27, v6
	s_delay_alu instid0(VALU_DEP_2) | instskip(NEXT) | instid1(VALU_DEP_2)
	v_sub_f32_e32 v12, v23, v12
	v_mul_f32_e32 v6, v10, v6
	s_delay_alu instid0(VALU_DEP_1) | instskip(NEXT) | instid1(VALU_DEP_1)
	v_add_f32_e32 v6, v12, v6
	v_add_f32_e32 v10, v11, v6
	s_delay_alu instid0(VALU_DEP_1) | instskip(NEXT) | instid1(VALU_DEP_1)
	v_mul_f32_e32 v12, v10, v10
	v_fmaak_f32 v23, s7, v12, 0x3ecc95a3
	v_mul_f32_e32 v24, v10, v12
	v_cmp_eq_f32_e64 s7, 0x7f800000, v3
	s_delay_alu instid0(VALU_DEP_3) | instskip(SKIP_2) | instid1(VALU_DEP_4)
	v_fmaak_f32 v12, v12, v23, 0x3f2aaada
	v_ldexp_f32 v23, v10, 1
	v_sub_f32_e32 v10, v10, v11
	s_or_b32 s7, s7, s29
	s_delay_alu instid0(VALU_DEP_3) | instskip(SKIP_1) | instid1(VALU_DEP_2)
	v_mul_f32_e32 v12, v24, v12
	v_mul_f32_e32 v24, 0x3f317218, v9
	v_dual_sub_f32 v6, v6, v10 :: v_dual_add_f32 v11, v23, v12
	s_delay_alu instid0(VALU_DEP_1) | instskip(NEXT) | instid1(VALU_DEP_2)
	v_ldexp_f32 v6, v6, 1
	v_sub_f32_e32 v10, v11, v23
	s_delay_alu instid0(VALU_DEP_4) | instskip(NEXT) | instid1(VALU_DEP_1)
	v_fma_f32 v23, 0x3f317218, v9, -v24
	v_dual_sub_f32 v10, v12, v10 :: v_dual_fmamk_f32 v9, v9, 0xb102e308, v23
	s_delay_alu instid0(VALU_DEP_1) | instskip(NEXT) | instid1(VALU_DEP_2)
	v_add_f32_e32 v6, v6, v10
	v_add_f32_e32 v10, v24, v9
	s_delay_alu instid0(VALU_DEP_2) | instskip(NEXT) | instid1(VALU_DEP_2)
	v_add_f32_e32 v12, v11, v6
	v_sub_f32_e32 v24, v10, v24
	s_delay_alu instid0(VALU_DEP_2) | instskip(SKIP_1) | instid1(VALU_DEP_3)
	v_add_f32_e32 v23, v10, v12
	v_sub_f32_e32 v11, v12, v11
	v_sub_f32_e32 v9, v9, v24
	s_delay_alu instid0(VALU_DEP_2) | instskip(NEXT) | instid1(VALU_DEP_1)
	v_dual_sub_f32 v25, v23, v10 :: v_dual_sub_f32 v6, v6, v11
	v_sub_f32_e32 v26, v23, v25
	s_delay_alu instid0(VALU_DEP_2) | instskip(NEXT) | instid1(VALU_DEP_2)
	v_dual_sub_f32 v11, v12, v25 :: v_dual_add_f32 v12, v9, v6
	v_sub_f32_e32 v10, v10, v26
	s_delay_alu instid0(VALU_DEP_1) | instskip(NEXT) | instid1(VALU_DEP_1)
	v_dual_add_f32 v10, v11, v10 :: v_dual_sub_f32 v11, v12, v9
	v_add_f32_e32 v10, v12, v10
	s_delay_alu instid0(VALU_DEP_2) | instskip(SKIP_1) | instid1(VALU_DEP_2)
	v_sub_f32_e32 v12, v12, v11
	v_sub_f32_e32 v6, v6, v11
	v_dual_add_f32 v24, v23, v10 :: v_dual_sub_f32 v9, v9, v12
	s_delay_alu instid0(VALU_DEP_1) | instskip(NEXT) | instid1(VALU_DEP_1)
	v_dual_sub_f32 v11, v24, v23 :: v_dual_add_f32 v6, v6, v9
	v_sub_f32_e32 v9, v10, v11
	s_delay_alu instid0(VALU_DEP_1) | instskip(NEXT) | instid1(VALU_DEP_1)
	v_add_f32_e32 v6, v6, v9
	v_add_f32_e32 v6, v24, v6
	s_delay_alu instid0(VALU_DEP_1) | instskip(NEXT) | instid1(VALU_DEP_1)
	v_cndmask_b32_e64 v3, v6, v3, s7
	v_add_f32_e32 v3, v4, v3
.LBB126_61:
	s_or_b32 exec_lo, exec_lo, s8
	ds_load_b32 v4, v5 offset:12
	v_max_f32_e32 v6, v3, v3
	v_cmp_u_f32_e64 s7, v3, v3
	ds_store_b32 v5, v3 offset:8
	s_waitcnt lgkmcnt(1)
	v_max_f32_e32 v9, v4, v4
	s_delay_alu instid0(VALU_DEP_1) | instskip(SKIP_1) | instid1(VALU_DEP_2)
	v_min_f32_e32 v10, v6, v9
	v_max_f32_e32 v6, v6, v9
	v_cndmask_b32_e64 v9, v10, v3, s7
	s_delay_alu instid0(VALU_DEP_2) | instskip(SKIP_1) | instid1(VALU_DEP_1)
	v_cndmask_b32_e64 v10, v6, v3, s7
	v_cmp_u_f32_e64 s7, v4, v4
	v_cndmask_b32_e64 v6, v9, v4, s7
	s_delay_alu instid0(VALU_DEP_3) | instskip(NEXT) | instid1(VALU_DEP_2)
	v_cndmask_b32_e64 v4, v10, v4, s7
	v_cmp_class_f32_e64 s8, v6, 0x1f8
	s_delay_alu instid0(VALU_DEP_2) | instskip(NEXT) | instid1(VALU_DEP_1)
	v_cmp_neq_f32_e64 s7, v6, v4
	s_or_b32 s7, s7, s8
	s_delay_alu instid0(SALU_CYCLE_1)
	s_and_saveexec_b32 s8, s7
	s_cbranch_execz .LBB126_63
; %bb.62:
	v_sub_f32_e32 v3, v6, v4
	s_delay_alu instid0(VALU_DEP_1) | instskip(SKIP_1) | instid1(VALU_DEP_2)
	v_mul_f32_e32 v6, 0x3fb8aa3b, v3
	v_cmp_ngt_f32_e64 s7, 0xc2ce8ed0, v3
	v_fma_f32 v9, 0x3fb8aa3b, v3, -v6
	v_rndne_f32_e32 v10, v6
	s_delay_alu instid0(VALU_DEP_1) | instskip(NEXT) | instid1(VALU_DEP_1)
	v_dual_fmamk_f32 v9, v3, 0x32a5705f, v9 :: v_dual_sub_f32 v6, v6, v10
	v_add_f32_e32 v6, v6, v9
	v_cvt_i32_f32_e32 v9, v10
	s_delay_alu instid0(VALU_DEP_2) | instskip(SKIP_2) | instid1(VALU_DEP_1)
	v_exp_f32_e32 v6, v6
	s_waitcnt_depctr 0xfff
	v_ldexp_f32 v6, v6, v9
	v_cndmask_b32_e64 v6, 0, v6, s7
	v_cmp_nlt_f32_e64 s7, 0x42b17218, v3
	s_delay_alu instid0(VALU_DEP_1) | instskip(NEXT) | instid1(VALU_DEP_1)
	v_cndmask_b32_e64 v3, 0x7f800000, v6, s7
	v_add_f32_e32 v6, 1.0, v3
	v_cmp_gt_f32_e64 s29, 0x33800000, |v3|
	s_delay_alu instid0(VALU_DEP_2) | instskip(NEXT) | instid1(VALU_DEP_1)
	v_cvt_f64_f32_e32 v[9:10], v6
	v_frexp_exp_i32_f64_e32 v9, v[9:10]
	v_frexp_mant_f32_e32 v10, v6
	s_delay_alu instid0(VALU_DEP_1) | instskip(SKIP_1) | instid1(VALU_DEP_1)
	v_cmp_gt_f32_e64 s7, 0x3f2aaaab, v10
	v_add_f32_e32 v10, -1.0, v6
	v_sub_f32_e32 v12, v10, v6
	v_sub_f32_e32 v10, v3, v10
	s_delay_alu instid0(VALU_DEP_4) | instskip(SKIP_1) | instid1(VALU_DEP_1)
	v_subrev_co_ci_u32_e64 v9, s7, 0, v9, s7
	s_mov_b32 s7, 0x3e9b6dac
	v_sub_nc_u32_e32 v11, 0, v9
	v_cvt_f32_i32_e32 v9, v9
	s_delay_alu instid0(VALU_DEP_2) | instskip(NEXT) | instid1(VALU_DEP_1)
	v_ldexp_f32 v6, v6, v11
	v_dual_add_f32 v12, 1.0, v12 :: v_dual_add_f32 v23, 1.0, v6
	s_delay_alu instid0(VALU_DEP_1) | instskip(NEXT) | instid1(VALU_DEP_1)
	v_add_f32_e32 v10, v10, v12
	v_ldexp_f32 v10, v10, v11
	s_delay_alu instid0(VALU_DEP_3) | instskip(NEXT) | instid1(VALU_DEP_1)
	v_dual_add_f32 v11, -1.0, v6 :: v_dual_add_f32 v12, -1.0, v23
	v_add_f32_e32 v24, 1.0, v11
	s_delay_alu instid0(VALU_DEP_2) | instskip(NEXT) | instid1(VALU_DEP_2)
	v_sub_f32_e32 v12, v6, v12
	v_sub_f32_e32 v6, v6, v24
	s_delay_alu instid0(VALU_DEP_1) | instskip(NEXT) | instid1(VALU_DEP_1)
	v_add_f32_e32 v6, v10, v6
	v_add_f32_e32 v25, v11, v6
	s_delay_alu instid0(VALU_DEP_1) | instskip(NEXT) | instid1(VALU_DEP_1)
	v_dual_sub_f32 v11, v11, v25 :: v_dual_add_f32 v12, v10, v12
	v_add_f32_e32 v6, v6, v11
	s_delay_alu instid0(VALU_DEP_2) | instskip(NEXT) | instid1(VALU_DEP_1)
	v_add_f32_e32 v24, v23, v12
	v_rcp_f32_e32 v10, v24
	v_sub_f32_e32 v23, v23, v24
	s_delay_alu instid0(VALU_DEP_1) | instskip(SKIP_2) | instid1(VALU_DEP_1)
	v_add_f32_e32 v12, v12, v23
	s_waitcnt_depctr 0xfff
	v_mul_f32_e32 v26, v25, v10
	v_mul_f32_e32 v27, v24, v26
	s_delay_alu instid0(VALU_DEP_1) | instskip(NEXT) | instid1(VALU_DEP_1)
	v_fma_f32 v23, v26, v24, -v27
	v_fmac_f32_e32 v23, v26, v12
	s_delay_alu instid0(VALU_DEP_1) | instskip(NEXT) | instid1(VALU_DEP_1)
	v_add_f32_e32 v28, v27, v23
	v_sub_f32_e32 v29, v25, v28
	v_sub_f32_e32 v11, v28, v27
	s_delay_alu instid0(VALU_DEP_2) | instskip(NEXT) | instid1(VALU_DEP_2)
	v_sub_f32_e32 v25, v25, v29
	v_sub_f32_e32 v11, v11, v23
	s_delay_alu instid0(VALU_DEP_2) | instskip(NEXT) | instid1(VALU_DEP_1)
	v_sub_f32_e32 v25, v25, v28
	v_add_f32_e32 v6, v6, v25
	s_delay_alu instid0(VALU_DEP_1) | instskip(NEXT) | instid1(VALU_DEP_1)
	v_add_f32_e32 v6, v11, v6
	v_add_f32_e32 v11, v29, v6
	s_delay_alu instid0(VALU_DEP_1) | instskip(NEXT) | instid1(VALU_DEP_1)
	v_mul_f32_e32 v23, v10, v11
	v_mul_f32_e32 v25, v24, v23
	s_delay_alu instid0(VALU_DEP_1) | instskip(NEXT) | instid1(VALU_DEP_1)
	v_fma_f32 v24, v23, v24, -v25
	v_fmac_f32_e32 v24, v23, v12
	s_delay_alu instid0(VALU_DEP_1) | instskip(NEXT) | instid1(VALU_DEP_1)
	v_add_f32_e32 v12, v25, v24
	v_dual_sub_f32 v28, v29, v11 :: v_dual_sub_f32 v27, v11, v12
	v_sub_f32_e32 v25, v12, v25
	s_delay_alu instid0(VALU_DEP_2) | instskip(NEXT) | instid1(VALU_DEP_1)
	v_sub_f32_e32 v11, v11, v27
	v_sub_f32_e32 v11, v11, v12
	s_delay_alu instid0(VALU_DEP_4) | instskip(NEXT) | instid1(VALU_DEP_4)
	v_add_f32_e32 v6, v6, v28
	v_sub_f32_e32 v12, v25, v24
	s_delay_alu instid0(VALU_DEP_2) | instskip(NEXT) | instid1(VALU_DEP_1)
	v_add_f32_e32 v6, v6, v11
	v_dual_add_f32 v11, v26, v23 :: v_dual_add_f32 v6, v12, v6
	s_delay_alu instid0(VALU_DEP_1) | instskip(NEXT) | instid1(VALU_DEP_2)
	v_sub_f32_e32 v12, v11, v26
	v_add_f32_e32 v6, v27, v6
	s_delay_alu instid0(VALU_DEP_2) | instskip(NEXT) | instid1(VALU_DEP_2)
	v_sub_f32_e32 v12, v23, v12
	v_mul_f32_e32 v6, v10, v6
	s_delay_alu instid0(VALU_DEP_1) | instskip(NEXT) | instid1(VALU_DEP_1)
	v_add_f32_e32 v6, v12, v6
	v_add_f32_e32 v10, v11, v6
	s_delay_alu instid0(VALU_DEP_1) | instskip(NEXT) | instid1(VALU_DEP_1)
	v_mul_f32_e32 v12, v10, v10
	v_fmaak_f32 v23, s7, v12, 0x3ecc95a3
	v_mul_f32_e32 v24, v10, v12
	v_cmp_eq_f32_e64 s7, 0x7f800000, v3
	s_delay_alu instid0(VALU_DEP_3) | instskip(SKIP_2) | instid1(VALU_DEP_4)
	v_fmaak_f32 v12, v12, v23, 0x3f2aaada
	v_ldexp_f32 v23, v10, 1
	v_sub_f32_e32 v10, v10, v11
	s_or_b32 s7, s7, s29
	s_delay_alu instid0(VALU_DEP_3) | instskip(SKIP_1) | instid1(VALU_DEP_2)
	v_mul_f32_e32 v12, v24, v12
	v_mul_f32_e32 v24, 0x3f317218, v9
	v_dual_sub_f32 v6, v6, v10 :: v_dual_add_f32 v11, v23, v12
	s_delay_alu instid0(VALU_DEP_1) | instskip(NEXT) | instid1(VALU_DEP_2)
	v_ldexp_f32 v6, v6, 1
	v_sub_f32_e32 v10, v11, v23
	s_delay_alu instid0(VALU_DEP_4) | instskip(NEXT) | instid1(VALU_DEP_1)
	v_fma_f32 v23, 0x3f317218, v9, -v24
	v_dual_sub_f32 v10, v12, v10 :: v_dual_fmamk_f32 v9, v9, 0xb102e308, v23
	s_delay_alu instid0(VALU_DEP_1) | instskip(NEXT) | instid1(VALU_DEP_2)
	v_add_f32_e32 v6, v6, v10
	v_add_f32_e32 v10, v24, v9
	s_delay_alu instid0(VALU_DEP_2) | instskip(NEXT) | instid1(VALU_DEP_2)
	v_add_f32_e32 v12, v11, v6
	v_sub_f32_e32 v24, v10, v24
	s_delay_alu instid0(VALU_DEP_2) | instskip(SKIP_1) | instid1(VALU_DEP_3)
	v_add_f32_e32 v23, v10, v12
	v_sub_f32_e32 v11, v12, v11
	v_sub_f32_e32 v9, v9, v24
	s_delay_alu instid0(VALU_DEP_2) | instskip(NEXT) | instid1(VALU_DEP_1)
	v_dual_sub_f32 v25, v23, v10 :: v_dual_sub_f32 v6, v6, v11
	v_sub_f32_e32 v26, v23, v25
	s_delay_alu instid0(VALU_DEP_2) | instskip(NEXT) | instid1(VALU_DEP_2)
	v_dual_sub_f32 v11, v12, v25 :: v_dual_add_f32 v12, v9, v6
	v_sub_f32_e32 v10, v10, v26
	s_delay_alu instid0(VALU_DEP_1) | instskip(NEXT) | instid1(VALU_DEP_1)
	v_dual_add_f32 v10, v11, v10 :: v_dual_sub_f32 v11, v12, v9
	v_add_f32_e32 v10, v12, v10
	s_delay_alu instid0(VALU_DEP_2) | instskip(SKIP_1) | instid1(VALU_DEP_2)
	v_sub_f32_e32 v12, v12, v11
	v_sub_f32_e32 v6, v6, v11
	v_dual_add_f32 v24, v23, v10 :: v_dual_sub_f32 v9, v9, v12
	s_delay_alu instid0(VALU_DEP_1) | instskip(NEXT) | instid1(VALU_DEP_1)
	v_dual_sub_f32 v11, v24, v23 :: v_dual_add_f32 v6, v6, v9
	v_sub_f32_e32 v9, v10, v11
	s_delay_alu instid0(VALU_DEP_1) | instskip(NEXT) | instid1(VALU_DEP_1)
	v_add_f32_e32 v6, v6, v9
	v_add_f32_e32 v6, v24, v6
	s_delay_alu instid0(VALU_DEP_1) | instskip(NEXT) | instid1(VALU_DEP_1)
	v_cndmask_b32_e64 v3, v6, v3, s7
	v_add_f32_e32 v3, v4, v3
.LBB126_63:
	s_or_b32 exec_lo, exec_lo, s8
	ds_load_b32 v4, v5 offset:16
	v_max_f32_e32 v6, v3, v3
	v_cmp_u_f32_e64 s7, v3, v3
	ds_store_b32 v5, v3 offset:12
	s_waitcnt lgkmcnt(1)
	v_max_f32_e32 v9, v4, v4
	s_delay_alu instid0(VALU_DEP_1) | instskip(SKIP_1) | instid1(VALU_DEP_2)
	v_min_f32_e32 v10, v6, v9
	v_max_f32_e32 v6, v6, v9
	v_cndmask_b32_e64 v9, v10, v3, s7
	s_delay_alu instid0(VALU_DEP_2) | instskip(SKIP_1) | instid1(VALU_DEP_1)
	v_cndmask_b32_e64 v10, v6, v3, s7
	v_cmp_u_f32_e64 s7, v4, v4
	v_cndmask_b32_e64 v6, v9, v4, s7
	s_delay_alu instid0(VALU_DEP_3) | instskip(NEXT) | instid1(VALU_DEP_2)
	v_cndmask_b32_e64 v4, v10, v4, s7
	v_cmp_class_f32_e64 s8, v6, 0x1f8
	s_delay_alu instid0(VALU_DEP_2) | instskip(NEXT) | instid1(VALU_DEP_1)
	v_cmp_neq_f32_e64 s7, v6, v4
	s_or_b32 s7, s7, s8
	s_delay_alu instid0(SALU_CYCLE_1)
	s_and_saveexec_b32 s8, s7
	s_cbranch_execz .LBB126_65
; %bb.64:
	v_sub_f32_e32 v3, v6, v4
	s_delay_alu instid0(VALU_DEP_1) | instskip(SKIP_1) | instid1(VALU_DEP_2)
	v_mul_f32_e32 v6, 0x3fb8aa3b, v3
	v_cmp_ngt_f32_e64 s7, 0xc2ce8ed0, v3
	v_fma_f32 v9, 0x3fb8aa3b, v3, -v6
	v_rndne_f32_e32 v10, v6
	s_delay_alu instid0(VALU_DEP_1) | instskip(NEXT) | instid1(VALU_DEP_1)
	v_dual_fmamk_f32 v9, v3, 0x32a5705f, v9 :: v_dual_sub_f32 v6, v6, v10
	v_add_f32_e32 v6, v6, v9
	v_cvt_i32_f32_e32 v9, v10
	s_delay_alu instid0(VALU_DEP_2) | instskip(SKIP_2) | instid1(VALU_DEP_1)
	v_exp_f32_e32 v6, v6
	s_waitcnt_depctr 0xfff
	v_ldexp_f32 v6, v6, v9
	v_cndmask_b32_e64 v6, 0, v6, s7
	v_cmp_nlt_f32_e64 s7, 0x42b17218, v3
	s_delay_alu instid0(VALU_DEP_1) | instskip(NEXT) | instid1(VALU_DEP_1)
	v_cndmask_b32_e64 v3, 0x7f800000, v6, s7
	v_add_f32_e32 v6, 1.0, v3
	v_cmp_gt_f32_e64 s29, 0x33800000, |v3|
	s_delay_alu instid0(VALU_DEP_2) | instskip(NEXT) | instid1(VALU_DEP_1)
	v_cvt_f64_f32_e32 v[9:10], v6
	v_frexp_exp_i32_f64_e32 v9, v[9:10]
	v_frexp_mant_f32_e32 v10, v6
	s_delay_alu instid0(VALU_DEP_1) | instskip(SKIP_1) | instid1(VALU_DEP_1)
	v_cmp_gt_f32_e64 s7, 0x3f2aaaab, v10
	v_add_f32_e32 v10, -1.0, v6
	v_sub_f32_e32 v12, v10, v6
	v_sub_f32_e32 v10, v3, v10
	s_delay_alu instid0(VALU_DEP_4) | instskip(SKIP_1) | instid1(VALU_DEP_1)
	v_subrev_co_ci_u32_e64 v9, s7, 0, v9, s7
	s_mov_b32 s7, 0x3e9b6dac
	v_sub_nc_u32_e32 v11, 0, v9
	v_cvt_f32_i32_e32 v9, v9
	s_delay_alu instid0(VALU_DEP_2) | instskip(NEXT) | instid1(VALU_DEP_1)
	v_ldexp_f32 v6, v6, v11
	v_dual_add_f32 v12, 1.0, v12 :: v_dual_add_f32 v23, 1.0, v6
	s_delay_alu instid0(VALU_DEP_1) | instskip(NEXT) | instid1(VALU_DEP_1)
	v_add_f32_e32 v10, v10, v12
	v_ldexp_f32 v10, v10, v11
	s_delay_alu instid0(VALU_DEP_3) | instskip(NEXT) | instid1(VALU_DEP_1)
	v_dual_add_f32 v11, -1.0, v6 :: v_dual_add_f32 v12, -1.0, v23
	v_add_f32_e32 v24, 1.0, v11
	s_delay_alu instid0(VALU_DEP_2) | instskip(NEXT) | instid1(VALU_DEP_2)
	v_sub_f32_e32 v12, v6, v12
	v_sub_f32_e32 v6, v6, v24
	s_delay_alu instid0(VALU_DEP_1) | instskip(NEXT) | instid1(VALU_DEP_1)
	v_add_f32_e32 v6, v10, v6
	v_add_f32_e32 v25, v11, v6
	s_delay_alu instid0(VALU_DEP_1) | instskip(NEXT) | instid1(VALU_DEP_1)
	v_dual_sub_f32 v11, v11, v25 :: v_dual_add_f32 v12, v10, v12
	v_add_f32_e32 v6, v6, v11
	s_delay_alu instid0(VALU_DEP_2) | instskip(NEXT) | instid1(VALU_DEP_1)
	v_add_f32_e32 v24, v23, v12
	v_rcp_f32_e32 v10, v24
	v_sub_f32_e32 v23, v23, v24
	s_delay_alu instid0(VALU_DEP_1) | instskip(SKIP_2) | instid1(VALU_DEP_1)
	v_add_f32_e32 v12, v12, v23
	s_waitcnt_depctr 0xfff
	v_mul_f32_e32 v26, v25, v10
	v_mul_f32_e32 v27, v24, v26
	s_delay_alu instid0(VALU_DEP_1) | instskip(NEXT) | instid1(VALU_DEP_1)
	v_fma_f32 v23, v26, v24, -v27
	v_fmac_f32_e32 v23, v26, v12
	s_delay_alu instid0(VALU_DEP_1) | instskip(NEXT) | instid1(VALU_DEP_1)
	v_add_f32_e32 v28, v27, v23
	v_sub_f32_e32 v29, v25, v28
	v_sub_f32_e32 v11, v28, v27
	s_delay_alu instid0(VALU_DEP_2) | instskip(NEXT) | instid1(VALU_DEP_2)
	v_sub_f32_e32 v25, v25, v29
	v_sub_f32_e32 v11, v11, v23
	s_delay_alu instid0(VALU_DEP_2) | instskip(NEXT) | instid1(VALU_DEP_1)
	v_sub_f32_e32 v25, v25, v28
	v_add_f32_e32 v6, v6, v25
	s_delay_alu instid0(VALU_DEP_1) | instskip(NEXT) | instid1(VALU_DEP_1)
	v_add_f32_e32 v6, v11, v6
	v_add_f32_e32 v11, v29, v6
	s_delay_alu instid0(VALU_DEP_1) | instskip(NEXT) | instid1(VALU_DEP_1)
	v_mul_f32_e32 v23, v10, v11
	v_mul_f32_e32 v25, v24, v23
	s_delay_alu instid0(VALU_DEP_1) | instskip(NEXT) | instid1(VALU_DEP_1)
	v_fma_f32 v24, v23, v24, -v25
	v_fmac_f32_e32 v24, v23, v12
	s_delay_alu instid0(VALU_DEP_1) | instskip(NEXT) | instid1(VALU_DEP_1)
	v_add_f32_e32 v12, v25, v24
	v_dual_sub_f32 v28, v29, v11 :: v_dual_sub_f32 v27, v11, v12
	v_sub_f32_e32 v25, v12, v25
	s_delay_alu instid0(VALU_DEP_2) | instskip(NEXT) | instid1(VALU_DEP_1)
	v_sub_f32_e32 v11, v11, v27
	v_sub_f32_e32 v11, v11, v12
	s_delay_alu instid0(VALU_DEP_4) | instskip(NEXT) | instid1(VALU_DEP_4)
	v_add_f32_e32 v6, v6, v28
	v_sub_f32_e32 v12, v25, v24
	s_delay_alu instid0(VALU_DEP_2) | instskip(NEXT) | instid1(VALU_DEP_1)
	v_add_f32_e32 v6, v6, v11
	v_dual_add_f32 v11, v26, v23 :: v_dual_add_f32 v6, v12, v6
	s_delay_alu instid0(VALU_DEP_1) | instskip(NEXT) | instid1(VALU_DEP_2)
	v_sub_f32_e32 v12, v11, v26
	v_add_f32_e32 v6, v27, v6
	s_delay_alu instid0(VALU_DEP_2) | instskip(NEXT) | instid1(VALU_DEP_2)
	v_sub_f32_e32 v12, v23, v12
	v_mul_f32_e32 v6, v10, v6
	s_delay_alu instid0(VALU_DEP_1) | instskip(NEXT) | instid1(VALU_DEP_1)
	v_add_f32_e32 v6, v12, v6
	v_add_f32_e32 v10, v11, v6
	s_delay_alu instid0(VALU_DEP_1) | instskip(NEXT) | instid1(VALU_DEP_1)
	v_mul_f32_e32 v12, v10, v10
	v_fmaak_f32 v23, s7, v12, 0x3ecc95a3
	v_mul_f32_e32 v24, v10, v12
	v_cmp_eq_f32_e64 s7, 0x7f800000, v3
	s_delay_alu instid0(VALU_DEP_3) | instskip(SKIP_2) | instid1(VALU_DEP_4)
	v_fmaak_f32 v12, v12, v23, 0x3f2aaada
	v_ldexp_f32 v23, v10, 1
	v_sub_f32_e32 v10, v10, v11
	s_or_b32 s7, s7, s29
	s_delay_alu instid0(VALU_DEP_3) | instskip(SKIP_1) | instid1(VALU_DEP_2)
	v_mul_f32_e32 v12, v24, v12
	v_mul_f32_e32 v24, 0x3f317218, v9
	v_dual_sub_f32 v6, v6, v10 :: v_dual_add_f32 v11, v23, v12
	s_delay_alu instid0(VALU_DEP_1) | instskip(NEXT) | instid1(VALU_DEP_2)
	v_ldexp_f32 v6, v6, 1
	v_sub_f32_e32 v10, v11, v23
	s_delay_alu instid0(VALU_DEP_4) | instskip(NEXT) | instid1(VALU_DEP_1)
	v_fma_f32 v23, 0x3f317218, v9, -v24
	v_dual_sub_f32 v10, v12, v10 :: v_dual_fmamk_f32 v9, v9, 0xb102e308, v23
	s_delay_alu instid0(VALU_DEP_1) | instskip(NEXT) | instid1(VALU_DEP_2)
	v_add_f32_e32 v6, v6, v10
	v_add_f32_e32 v10, v24, v9
	s_delay_alu instid0(VALU_DEP_2) | instskip(NEXT) | instid1(VALU_DEP_2)
	v_add_f32_e32 v12, v11, v6
	v_sub_f32_e32 v24, v10, v24
	s_delay_alu instid0(VALU_DEP_2) | instskip(SKIP_1) | instid1(VALU_DEP_3)
	v_add_f32_e32 v23, v10, v12
	v_sub_f32_e32 v11, v12, v11
	v_sub_f32_e32 v9, v9, v24
	s_delay_alu instid0(VALU_DEP_2) | instskip(NEXT) | instid1(VALU_DEP_1)
	v_dual_sub_f32 v25, v23, v10 :: v_dual_sub_f32 v6, v6, v11
	v_sub_f32_e32 v26, v23, v25
	s_delay_alu instid0(VALU_DEP_2) | instskip(NEXT) | instid1(VALU_DEP_2)
	v_dual_sub_f32 v11, v12, v25 :: v_dual_add_f32 v12, v9, v6
	v_sub_f32_e32 v10, v10, v26
	s_delay_alu instid0(VALU_DEP_1) | instskip(NEXT) | instid1(VALU_DEP_1)
	v_dual_add_f32 v10, v11, v10 :: v_dual_sub_f32 v11, v12, v9
	v_add_f32_e32 v10, v12, v10
	s_delay_alu instid0(VALU_DEP_2) | instskip(SKIP_1) | instid1(VALU_DEP_2)
	v_sub_f32_e32 v12, v12, v11
	v_sub_f32_e32 v6, v6, v11
	v_dual_add_f32 v24, v23, v10 :: v_dual_sub_f32 v9, v9, v12
	s_delay_alu instid0(VALU_DEP_1) | instskip(NEXT) | instid1(VALU_DEP_1)
	v_dual_sub_f32 v11, v24, v23 :: v_dual_add_f32 v6, v6, v9
	v_sub_f32_e32 v9, v10, v11
	s_delay_alu instid0(VALU_DEP_1) | instskip(NEXT) | instid1(VALU_DEP_1)
	v_add_f32_e32 v6, v6, v9
	v_add_f32_e32 v6, v24, v6
	s_delay_alu instid0(VALU_DEP_1) | instskip(NEXT) | instid1(VALU_DEP_1)
	v_cndmask_b32_e64 v3, v6, v3, s7
	v_add_f32_e32 v3, v4, v3
.LBB126_65:
	s_or_b32 exec_lo, exec_lo, s8
	ds_load_b32 v4, v5 offset:20
	v_max_f32_e32 v6, v3, v3
	v_cmp_u_f32_e64 s7, v3, v3
	ds_store_b32 v5, v3 offset:16
	s_waitcnt lgkmcnt(1)
	v_max_f32_e32 v9, v4, v4
	s_delay_alu instid0(VALU_DEP_1) | instskip(SKIP_1) | instid1(VALU_DEP_2)
	v_min_f32_e32 v10, v6, v9
	v_max_f32_e32 v6, v6, v9
	v_cndmask_b32_e64 v9, v10, v3, s7
	s_delay_alu instid0(VALU_DEP_2) | instskip(SKIP_1) | instid1(VALU_DEP_1)
	v_cndmask_b32_e64 v10, v6, v3, s7
	v_cmp_u_f32_e64 s7, v4, v4
	v_cndmask_b32_e64 v6, v9, v4, s7
	s_delay_alu instid0(VALU_DEP_3) | instskip(NEXT) | instid1(VALU_DEP_2)
	v_cndmask_b32_e64 v4, v10, v4, s7
	v_cmp_class_f32_e64 s8, v6, 0x1f8
	s_delay_alu instid0(VALU_DEP_2) | instskip(NEXT) | instid1(VALU_DEP_1)
	v_cmp_neq_f32_e64 s7, v6, v4
	s_or_b32 s7, s7, s8
	s_delay_alu instid0(SALU_CYCLE_1)
	s_and_saveexec_b32 s8, s7
	s_cbranch_execz .LBB126_67
; %bb.66:
	v_sub_f32_e32 v3, v6, v4
	s_delay_alu instid0(VALU_DEP_1) | instskip(SKIP_1) | instid1(VALU_DEP_2)
	v_mul_f32_e32 v6, 0x3fb8aa3b, v3
	v_cmp_ngt_f32_e64 s7, 0xc2ce8ed0, v3
	v_fma_f32 v9, 0x3fb8aa3b, v3, -v6
	v_rndne_f32_e32 v10, v6
	s_delay_alu instid0(VALU_DEP_1) | instskip(NEXT) | instid1(VALU_DEP_1)
	v_dual_fmamk_f32 v9, v3, 0x32a5705f, v9 :: v_dual_sub_f32 v6, v6, v10
	v_add_f32_e32 v6, v6, v9
	v_cvt_i32_f32_e32 v9, v10
	s_delay_alu instid0(VALU_DEP_2) | instskip(SKIP_2) | instid1(VALU_DEP_1)
	v_exp_f32_e32 v6, v6
	s_waitcnt_depctr 0xfff
	v_ldexp_f32 v6, v6, v9
	v_cndmask_b32_e64 v6, 0, v6, s7
	v_cmp_nlt_f32_e64 s7, 0x42b17218, v3
	s_delay_alu instid0(VALU_DEP_1) | instskip(NEXT) | instid1(VALU_DEP_1)
	v_cndmask_b32_e64 v3, 0x7f800000, v6, s7
	v_add_f32_e32 v6, 1.0, v3
	v_cmp_gt_f32_e64 s29, 0x33800000, |v3|
	s_delay_alu instid0(VALU_DEP_2) | instskip(NEXT) | instid1(VALU_DEP_1)
	v_cvt_f64_f32_e32 v[9:10], v6
	v_frexp_exp_i32_f64_e32 v9, v[9:10]
	v_frexp_mant_f32_e32 v10, v6
	s_delay_alu instid0(VALU_DEP_1) | instskip(SKIP_1) | instid1(VALU_DEP_1)
	v_cmp_gt_f32_e64 s7, 0x3f2aaaab, v10
	v_add_f32_e32 v10, -1.0, v6
	v_sub_f32_e32 v12, v10, v6
	v_sub_f32_e32 v10, v3, v10
	s_delay_alu instid0(VALU_DEP_4) | instskip(SKIP_1) | instid1(VALU_DEP_1)
	v_subrev_co_ci_u32_e64 v9, s7, 0, v9, s7
	s_mov_b32 s7, 0x3e9b6dac
	v_sub_nc_u32_e32 v11, 0, v9
	v_cvt_f32_i32_e32 v9, v9
	s_delay_alu instid0(VALU_DEP_2) | instskip(NEXT) | instid1(VALU_DEP_1)
	v_ldexp_f32 v6, v6, v11
	v_dual_add_f32 v12, 1.0, v12 :: v_dual_add_f32 v23, 1.0, v6
	s_delay_alu instid0(VALU_DEP_1) | instskip(NEXT) | instid1(VALU_DEP_1)
	v_add_f32_e32 v10, v10, v12
	v_ldexp_f32 v10, v10, v11
	s_delay_alu instid0(VALU_DEP_3) | instskip(NEXT) | instid1(VALU_DEP_1)
	v_dual_add_f32 v11, -1.0, v6 :: v_dual_add_f32 v12, -1.0, v23
	v_add_f32_e32 v24, 1.0, v11
	s_delay_alu instid0(VALU_DEP_2) | instskip(NEXT) | instid1(VALU_DEP_2)
	v_sub_f32_e32 v12, v6, v12
	v_sub_f32_e32 v6, v6, v24
	s_delay_alu instid0(VALU_DEP_1) | instskip(NEXT) | instid1(VALU_DEP_1)
	v_add_f32_e32 v6, v10, v6
	v_add_f32_e32 v25, v11, v6
	s_delay_alu instid0(VALU_DEP_1) | instskip(NEXT) | instid1(VALU_DEP_1)
	v_dual_sub_f32 v11, v11, v25 :: v_dual_add_f32 v12, v10, v12
	v_add_f32_e32 v6, v6, v11
	s_delay_alu instid0(VALU_DEP_2) | instskip(NEXT) | instid1(VALU_DEP_1)
	v_add_f32_e32 v24, v23, v12
	v_rcp_f32_e32 v10, v24
	v_sub_f32_e32 v23, v23, v24
	s_delay_alu instid0(VALU_DEP_1) | instskip(SKIP_2) | instid1(VALU_DEP_1)
	v_add_f32_e32 v12, v12, v23
	s_waitcnt_depctr 0xfff
	v_mul_f32_e32 v26, v25, v10
	v_mul_f32_e32 v27, v24, v26
	s_delay_alu instid0(VALU_DEP_1) | instskip(NEXT) | instid1(VALU_DEP_1)
	v_fma_f32 v23, v26, v24, -v27
	v_fmac_f32_e32 v23, v26, v12
	s_delay_alu instid0(VALU_DEP_1) | instskip(NEXT) | instid1(VALU_DEP_1)
	v_add_f32_e32 v28, v27, v23
	v_sub_f32_e32 v29, v25, v28
	v_sub_f32_e32 v11, v28, v27
	s_delay_alu instid0(VALU_DEP_2) | instskip(NEXT) | instid1(VALU_DEP_2)
	v_sub_f32_e32 v25, v25, v29
	v_sub_f32_e32 v11, v11, v23
	s_delay_alu instid0(VALU_DEP_2) | instskip(NEXT) | instid1(VALU_DEP_1)
	v_sub_f32_e32 v25, v25, v28
	v_add_f32_e32 v6, v6, v25
	s_delay_alu instid0(VALU_DEP_1) | instskip(NEXT) | instid1(VALU_DEP_1)
	v_add_f32_e32 v6, v11, v6
	v_add_f32_e32 v11, v29, v6
	s_delay_alu instid0(VALU_DEP_1) | instskip(NEXT) | instid1(VALU_DEP_1)
	v_mul_f32_e32 v23, v10, v11
	v_mul_f32_e32 v25, v24, v23
	s_delay_alu instid0(VALU_DEP_1) | instskip(NEXT) | instid1(VALU_DEP_1)
	v_fma_f32 v24, v23, v24, -v25
	v_fmac_f32_e32 v24, v23, v12
	s_delay_alu instid0(VALU_DEP_1) | instskip(NEXT) | instid1(VALU_DEP_1)
	v_add_f32_e32 v12, v25, v24
	v_dual_sub_f32 v28, v29, v11 :: v_dual_sub_f32 v27, v11, v12
	v_sub_f32_e32 v25, v12, v25
	s_delay_alu instid0(VALU_DEP_2) | instskip(NEXT) | instid1(VALU_DEP_1)
	v_sub_f32_e32 v11, v11, v27
	v_sub_f32_e32 v11, v11, v12
	s_delay_alu instid0(VALU_DEP_4) | instskip(NEXT) | instid1(VALU_DEP_4)
	v_add_f32_e32 v6, v6, v28
	v_sub_f32_e32 v12, v25, v24
	s_delay_alu instid0(VALU_DEP_2) | instskip(NEXT) | instid1(VALU_DEP_1)
	v_add_f32_e32 v6, v6, v11
	v_dual_add_f32 v11, v26, v23 :: v_dual_add_f32 v6, v12, v6
	s_delay_alu instid0(VALU_DEP_1) | instskip(NEXT) | instid1(VALU_DEP_2)
	v_sub_f32_e32 v12, v11, v26
	v_add_f32_e32 v6, v27, v6
	s_delay_alu instid0(VALU_DEP_2) | instskip(NEXT) | instid1(VALU_DEP_2)
	v_sub_f32_e32 v12, v23, v12
	v_mul_f32_e32 v6, v10, v6
	s_delay_alu instid0(VALU_DEP_1) | instskip(NEXT) | instid1(VALU_DEP_1)
	v_add_f32_e32 v6, v12, v6
	v_add_f32_e32 v10, v11, v6
	s_delay_alu instid0(VALU_DEP_1) | instskip(NEXT) | instid1(VALU_DEP_1)
	v_mul_f32_e32 v12, v10, v10
	v_fmaak_f32 v23, s7, v12, 0x3ecc95a3
	v_mul_f32_e32 v24, v10, v12
	v_cmp_eq_f32_e64 s7, 0x7f800000, v3
	s_delay_alu instid0(VALU_DEP_3) | instskip(SKIP_2) | instid1(VALU_DEP_4)
	v_fmaak_f32 v12, v12, v23, 0x3f2aaada
	v_ldexp_f32 v23, v10, 1
	v_sub_f32_e32 v10, v10, v11
	s_or_b32 s7, s7, s29
	s_delay_alu instid0(VALU_DEP_3) | instskip(SKIP_1) | instid1(VALU_DEP_2)
	v_mul_f32_e32 v12, v24, v12
	v_mul_f32_e32 v24, 0x3f317218, v9
	v_dual_sub_f32 v6, v6, v10 :: v_dual_add_f32 v11, v23, v12
	s_delay_alu instid0(VALU_DEP_1) | instskip(NEXT) | instid1(VALU_DEP_2)
	v_ldexp_f32 v6, v6, 1
	v_sub_f32_e32 v10, v11, v23
	s_delay_alu instid0(VALU_DEP_4) | instskip(NEXT) | instid1(VALU_DEP_1)
	v_fma_f32 v23, 0x3f317218, v9, -v24
	v_dual_sub_f32 v10, v12, v10 :: v_dual_fmamk_f32 v9, v9, 0xb102e308, v23
	s_delay_alu instid0(VALU_DEP_1) | instskip(NEXT) | instid1(VALU_DEP_2)
	v_add_f32_e32 v6, v6, v10
	v_add_f32_e32 v10, v24, v9
	s_delay_alu instid0(VALU_DEP_2) | instskip(NEXT) | instid1(VALU_DEP_2)
	v_add_f32_e32 v12, v11, v6
	v_sub_f32_e32 v24, v10, v24
	s_delay_alu instid0(VALU_DEP_2) | instskip(SKIP_1) | instid1(VALU_DEP_3)
	v_add_f32_e32 v23, v10, v12
	v_sub_f32_e32 v11, v12, v11
	v_sub_f32_e32 v9, v9, v24
	s_delay_alu instid0(VALU_DEP_2) | instskip(NEXT) | instid1(VALU_DEP_1)
	v_dual_sub_f32 v25, v23, v10 :: v_dual_sub_f32 v6, v6, v11
	v_sub_f32_e32 v26, v23, v25
	s_delay_alu instid0(VALU_DEP_2) | instskip(NEXT) | instid1(VALU_DEP_2)
	v_dual_sub_f32 v11, v12, v25 :: v_dual_add_f32 v12, v9, v6
	v_sub_f32_e32 v10, v10, v26
	s_delay_alu instid0(VALU_DEP_1) | instskip(NEXT) | instid1(VALU_DEP_1)
	v_dual_add_f32 v10, v11, v10 :: v_dual_sub_f32 v11, v12, v9
	v_add_f32_e32 v10, v12, v10
	s_delay_alu instid0(VALU_DEP_2) | instskip(SKIP_1) | instid1(VALU_DEP_2)
	v_sub_f32_e32 v12, v12, v11
	v_sub_f32_e32 v6, v6, v11
	v_dual_add_f32 v24, v23, v10 :: v_dual_sub_f32 v9, v9, v12
	s_delay_alu instid0(VALU_DEP_1) | instskip(NEXT) | instid1(VALU_DEP_1)
	v_dual_sub_f32 v11, v24, v23 :: v_dual_add_f32 v6, v6, v9
	v_sub_f32_e32 v9, v10, v11
	s_delay_alu instid0(VALU_DEP_1) | instskip(NEXT) | instid1(VALU_DEP_1)
	v_add_f32_e32 v6, v6, v9
	v_add_f32_e32 v6, v24, v6
	s_delay_alu instid0(VALU_DEP_1) | instskip(NEXT) | instid1(VALU_DEP_1)
	v_cndmask_b32_e64 v3, v6, v3, s7
	v_add_f32_e32 v3, v4, v3
.LBB126_67:
	s_or_b32 exec_lo, exec_lo, s8
	ds_load_b32 v4, v5 offset:24
	v_max_f32_e32 v6, v3, v3
	v_cmp_u_f32_e64 s7, v3, v3
	ds_store_b32 v5, v3 offset:20
	s_waitcnt lgkmcnt(1)
	v_max_f32_e32 v9, v4, v4
	s_delay_alu instid0(VALU_DEP_1) | instskip(SKIP_1) | instid1(VALU_DEP_2)
	v_min_f32_e32 v10, v6, v9
	v_max_f32_e32 v6, v6, v9
	v_cndmask_b32_e64 v9, v10, v3, s7
	s_delay_alu instid0(VALU_DEP_2) | instskip(SKIP_1) | instid1(VALU_DEP_1)
	v_cndmask_b32_e64 v10, v6, v3, s7
	v_cmp_u_f32_e64 s7, v4, v4
	v_cndmask_b32_e64 v6, v9, v4, s7
	s_delay_alu instid0(VALU_DEP_3) | instskip(NEXT) | instid1(VALU_DEP_2)
	v_cndmask_b32_e64 v4, v10, v4, s7
	v_cmp_class_f32_e64 s8, v6, 0x1f8
	s_delay_alu instid0(VALU_DEP_2) | instskip(NEXT) | instid1(VALU_DEP_1)
	v_cmp_neq_f32_e64 s7, v6, v4
	s_or_b32 s7, s7, s8
	s_delay_alu instid0(SALU_CYCLE_1)
	s_and_saveexec_b32 s8, s7
	s_cbranch_execz .LBB126_69
; %bb.68:
	v_sub_f32_e32 v3, v6, v4
	s_delay_alu instid0(VALU_DEP_1) | instskip(SKIP_1) | instid1(VALU_DEP_2)
	v_mul_f32_e32 v6, 0x3fb8aa3b, v3
	v_cmp_ngt_f32_e64 s7, 0xc2ce8ed0, v3
	v_fma_f32 v9, 0x3fb8aa3b, v3, -v6
	v_rndne_f32_e32 v10, v6
	s_delay_alu instid0(VALU_DEP_1) | instskip(NEXT) | instid1(VALU_DEP_1)
	v_dual_fmamk_f32 v9, v3, 0x32a5705f, v9 :: v_dual_sub_f32 v6, v6, v10
	v_add_f32_e32 v6, v6, v9
	v_cvt_i32_f32_e32 v9, v10
	s_delay_alu instid0(VALU_DEP_2) | instskip(SKIP_2) | instid1(VALU_DEP_1)
	v_exp_f32_e32 v6, v6
	s_waitcnt_depctr 0xfff
	v_ldexp_f32 v6, v6, v9
	v_cndmask_b32_e64 v6, 0, v6, s7
	v_cmp_nlt_f32_e64 s7, 0x42b17218, v3
	s_delay_alu instid0(VALU_DEP_1) | instskip(NEXT) | instid1(VALU_DEP_1)
	v_cndmask_b32_e64 v3, 0x7f800000, v6, s7
	v_add_f32_e32 v6, 1.0, v3
	v_cmp_gt_f32_e64 s29, 0x33800000, |v3|
	s_delay_alu instid0(VALU_DEP_2) | instskip(NEXT) | instid1(VALU_DEP_1)
	v_cvt_f64_f32_e32 v[9:10], v6
	v_frexp_exp_i32_f64_e32 v9, v[9:10]
	v_frexp_mant_f32_e32 v10, v6
	s_delay_alu instid0(VALU_DEP_1) | instskip(SKIP_1) | instid1(VALU_DEP_1)
	v_cmp_gt_f32_e64 s7, 0x3f2aaaab, v10
	v_add_f32_e32 v10, -1.0, v6
	v_sub_f32_e32 v12, v10, v6
	v_sub_f32_e32 v10, v3, v10
	s_delay_alu instid0(VALU_DEP_4) | instskip(SKIP_1) | instid1(VALU_DEP_1)
	v_subrev_co_ci_u32_e64 v9, s7, 0, v9, s7
	s_mov_b32 s7, 0x3e9b6dac
	v_sub_nc_u32_e32 v11, 0, v9
	v_cvt_f32_i32_e32 v9, v9
	s_delay_alu instid0(VALU_DEP_2) | instskip(NEXT) | instid1(VALU_DEP_1)
	v_ldexp_f32 v6, v6, v11
	v_dual_add_f32 v12, 1.0, v12 :: v_dual_add_f32 v23, 1.0, v6
	s_delay_alu instid0(VALU_DEP_1) | instskip(NEXT) | instid1(VALU_DEP_1)
	v_add_f32_e32 v10, v10, v12
	v_ldexp_f32 v10, v10, v11
	s_delay_alu instid0(VALU_DEP_3) | instskip(NEXT) | instid1(VALU_DEP_1)
	v_dual_add_f32 v11, -1.0, v6 :: v_dual_add_f32 v12, -1.0, v23
	v_add_f32_e32 v24, 1.0, v11
	s_delay_alu instid0(VALU_DEP_2) | instskip(NEXT) | instid1(VALU_DEP_2)
	v_sub_f32_e32 v12, v6, v12
	v_sub_f32_e32 v6, v6, v24
	s_delay_alu instid0(VALU_DEP_1) | instskip(NEXT) | instid1(VALU_DEP_1)
	v_add_f32_e32 v6, v10, v6
	v_add_f32_e32 v25, v11, v6
	s_delay_alu instid0(VALU_DEP_1) | instskip(NEXT) | instid1(VALU_DEP_1)
	v_dual_sub_f32 v11, v11, v25 :: v_dual_add_f32 v12, v10, v12
	v_add_f32_e32 v6, v6, v11
	s_delay_alu instid0(VALU_DEP_2) | instskip(NEXT) | instid1(VALU_DEP_1)
	v_add_f32_e32 v24, v23, v12
	v_rcp_f32_e32 v10, v24
	v_sub_f32_e32 v23, v23, v24
	s_delay_alu instid0(VALU_DEP_1) | instskip(SKIP_2) | instid1(VALU_DEP_1)
	v_add_f32_e32 v12, v12, v23
	s_waitcnt_depctr 0xfff
	v_mul_f32_e32 v26, v25, v10
	v_mul_f32_e32 v27, v24, v26
	s_delay_alu instid0(VALU_DEP_1) | instskip(NEXT) | instid1(VALU_DEP_1)
	v_fma_f32 v23, v26, v24, -v27
	v_fmac_f32_e32 v23, v26, v12
	s_delay_alu instid0(VALU_DEP_1) | instskip(NEXT) | instid1(VALU_DEP_1)
	v_add_f32_e32 v28, v27, v23
	v_sub_f32_e32 v29, v25, v28
	v_sub_f32_e32 v11, v28, v27
	s_delay_alu instid0(VALU_DEP_2) | instskip(NEXT) | instid1(VALU_DEP_2)
	v_sub_f32_e32 v25, v25, v29
	v_sub_f32_e32 v11, v11, v23
	s_delay_alu instid0(VALU_DEP_2) | instskip(NEXT) | instid1(VALU_DEP_1)
	v_sub_f32_e32 v25, v25, v28
	v_add_f32_e32 v6, v6, v25
	s_delay_alu instid0(VALU_DEP_1) | instskip(NEXT) | instid1(VALU_DEP_1)
	v_add_f32_e32 v6, v11, v6
	v_add_f32_e32 v11, v29, v6
	s_delay_alu instid0(VALU_DEP_1) | instskip(NEXT) | instid1(VALU_DEP_1)
	v_mul_f32_e32 v23, v10, v11
	v_mul_f32_e32 v25, v24, v23
	s_delay_alu instid0(VALU_DEP_1) | instskip(NEXT) | instid1(VALU_DEP_1)
	v_fma_f32 v24, v23, v24, -v25
	v_fmac_f32_e32 v24, v23, v12
	s_delay_alu instid0(VALU_DEP_1) | instskip(NEXT) | instid1(VALU_DEP_1)
	v_add_f32_e32 v12, v25, v24
	v_dual_sub_f32 v28, v29, v11 :: v_dual_sub_f32 v27, v11, v12
	v_sub_f32_e32 v25, v12, v25
	s_delay_alu instid0(VALU_DEP_2) | instskip(NEXT) | instid1(VALU_DEP_1)
	v_sub_f32_e32 v11, v11, v27
	v_sub_f32_e32 v11, v11, v12
	s_delay_alu instid0(VALU_DEP_4) | instskip(NEXT) | instid1(VALU_DEP_4)
	v_add_f32_e32 v6, v6, v28
	v_sub_f32_e32 v12, v25, v24
	s_delay_alu instid0(VALU_DEP_2) | instskip(NEXT) | instid1(VALU_DEP_1)
	v_add_f32_e32 v6, v6, v11
	v_dual_add_f32 v11, v26, v23 :: v_dual_add_f32 v6, v12, v6
	s_delay_alu instid0(VALU_DEP_1) | instskip(NEXT) | instid1(VALU_DEP_2)
	v_sub_f32_e32 v12, v11, v26
	v_add_f32_e32 v6, v27, v6
	s_delay_alu instid0(VALU_DEP_2) | instskip(NEXT) | instid1(VALU_DEP_2)
	v_sub_f32_e32 v12, v23, v12
	v_mul_f32_e32 v6, v10, v6
	s_delay_alu instid0(VALU_DEP_1) | instskip(NEXT) | instid1(VALU_DEP_1)
	v_add_f32_e32 v6, v12, v6
	v_add_f32_e32 v10, v11, v6
	s_delay_alu instid0(VALU_DEP_1) | instskip(NEXT) | instid1(VALU_DEP_1)
	v_mul_f32_e32 v12, v10, v10
	v_fmaak_f32 v23, s7, v12, 0x3ecc95a3
	v_mul_f32_e32 v24, v10, v12
	v_cmp_eq_f32_e64 s7, 0x7f800000, v3
	s_delay_alu instid0(VALU_DEP_3) | instskip(SKIP_2) | instid1(VALU_DEP_4)
	v_fmaak_f32 v12, v12, v23, 0x3f2aaada
	v_ldexp_f32 v23, v10, 1
	v_sub_f32_e32 v10, v10, v11
	s_or_b32 s7, s7, s29
	s_delay_alu instid0(VALU_DEP_3) | instskip(SKIP_1) | instid1(VALU_DEP_2)
	v_mul_f32_e32 v12, v24, v12
	v_mul_f32_e32 v24, 0x3f317218, v9
	v_dual_sub_f32 v6, v6, v10 :: v_dual_add_f32 v11, v23, v12
	s_delay_alu instid0(VALU_DEP_1) | instskip(NEXT) | instid1(VALU_DEP_2)
	v_ldexp_f32 v6, v6, 1
	v_sub_f32_e32 v10, v11, v23
	s_delay_alu instid0(VALU_DEP_4) | instskip(NEXT) | instid1(VALU_DEP_1)
	v_fma_f32 v23, 0x3f317218, v9, -v24
	v_dual_sub_f32 v10, v12, v10 :: v_dual_fmamk_f32 v9, v9, 0xb102e308, v23
	s_delay_alu instid0(VALU_DEP_1) | instskip(NEXT) | instid1(VALU_DEP_2)
	v_add_f32_e32 v6, v6, v10
	v_add_f32_e32 v10, v24, v9
	s_delay_alu instid0(VALU_DEP_2) | instskip(NEXT) | instid1(VALU_DEP_2)
	v_add_f32_e32 v12, v11, v6
	v_sub_f32_e32 v24, v10, v24
	s_delay_alu instid0(VALU_DEP_2) | instskip(SKIP_1) | instid1(VALU_DEP_3)
	v_add_f32_e32 v23, v10, v12
	v_sub_f32_e32 v11, v12, v11
	v_sub_f32_e32 v9, v9, v24
	s_delay_alu instid0(VALU_DEP_2) | instskip(NEXT) | instid1(VALU_DEP_1)
	v_dual_sub_f32 v25, v23, v10 :: v_dual_sub_f32 v6, v6, v11
	v_sub_f32_e32 v26, v23, v25
	s_delay_alu instid0(VALU_DEP_2) | instskip(NEXT) | instid1(VALU_DEP_2)
	v_dual_sub_f32 v11, v12, v25 :: v_dual_add_f32 v12, v9, v6
	v_sub_f32_e32 v10, v10, v26
	s_delay_alu instid0(VALU_DEP_1) | instskip(NEXT) | instid1(VALU_DEP_1)
	v_dual_add_f32 v10, v11, v10 :: v_dual_sub_f32 v11, v12, v9
	v_add_f32_e32 v10, v12, v10
	s_delay_alu instid0(VALU_DEP_2) | instskip(SKIP_1) | instid1(VALU_DEP_2)
	v_sub_f32_e32 v12, v12, v11
	v_sub_f32_e32 v6, v6, v11
	v_dual_add_f32 v24, v23, v10 :: v_dual_sub_f32 v9, v9, v12
	s_delay_alu instid0(VALU_DEP_1) | instskip(NEXT) | instid1(VALU_DEP_1)
	v_dual_sub_f32 v11, v24, v23 :: v_dual_add_f32 v6, v6, v9
	v_sub_f32_e32 v9, v10, v11
	s_delay_alu instid0(VALU_DEP_1) | instskip(NEXT) | instid1(VALU_DEP_1)
	v_add_f32_e32 v6, v6, v9
	v_add_f32_e32 v6, v24, v6
	s_delay_alu instid0(VALU_DEP_1) | instskip(NEXT) | instid1(VALU_DEP_1)
	v_cndmask_b32_e64 v3, v6, v3, s7
	v_add_f32_e32 v3, v4, v3
.LBB126_69:
	s_or_b32 exec_lo, exec_lo, s8
	ds_load_b32 v4, v5 offset:28
	v_max_f32_e32 v6, v3, v3
	v_cmp_u_f32_e64 s7, v3, v3
	ds_store_b32 v5, v3 offset:24
	s_waitcnt lgkmcnt(1)
	v_max_f32_e32 v9, v4, v4
	s_delay_alu instid0(VALU_DEP_1) | instskip(SKIP_1) | instid1(VALU_DEP_2)
	v_min_f32_e32 v10, v6, v9
	v_max_f32_e32 v6, v6, v9
	v_cndmask_b32_e64 v9, v10, v3, s7
	s_delay_alu instid0(VALU_DEP_2) | instskip(SKIP_1) | instid1(VALU_DEP_1)
	v_cndmask_b32_e64 v10, v6, v3, s7
	v_cmp_u_f32_e64 s7, v4, v4
	v_cndmask_b32_e64 v6, v9, v4, s7
	s_delay_alu instid0(VALU_DEP_3) | instskip(NEXT) | instid1(VALU_DEP_2)
	v_cndmask_b32_e64 v4, v10, v4, s7
	v_cmp_class_f32_e64 s8, v6, 0x1f8
	s_delay_alu instid0(VALU_DEP_2) | instskip(NEXT) | instid1(VALU_DEP_1)
	v_cmp_neq_f32_e64 s7, v6, v4
	s_or_b32 s7, s7, s8
	s_delay_alu instid0(SALU_CYCLE_1)
	s_and_saveexec_b32 s8, s7
	s_cbranch_execz .LBB126_71
; %bb.70:
	v_sub_f32_e32 v3, v6, v4
	s_delay_alu instid0(VALU_DEP_1) | instskip(SKIP_1) | instid1(VALU_DEP_2)
	v_mul_f32_e32 v6, 0x3fb8aa3b, v3
	v_cmp_ngt_f32_e64 s7, 0xc2ce8ed0, v3
	v_fma_f32 v9, 0x3fb8aa3b, v3, -v6
	v_rndne_f32_e32 v10, v6
	s_delay_alu instid0(VALU_DEP_1) | instskip(NEXT) | instid1(VALU_DEP_1)
	v_dual_fmamk_f32 v9, v3, 0x32a5705f, v9 :: v_dual_sub_f32 v6, v6, v10
	v_add_f32_e32 v6, v6, v9
	v_cvt_i32_f32_e32 v9, v10
	s_delay_alu instid0(VALU_DEP_2) | instskip(SKIP_2) | instid1(VALU_DEP_1)
	v_exp_f32_e32 v6, v6
	s_waitcnt_depctr 0xfff
	v_ldexp_f32 v6, v6, v9
	v_cndmask_b32_e64 v6, 0, v6, s7
	v_cmp_nlt_f32_e64 s7, 0x42b17218, v3
	s_delay_alu instid0(VALU_DEP_1) | instskip(NEXT) | instid1(VALU_DEP_1)
	v_cndmask_b32_e64 v3, 0x7f800000, v6, s7
	v_add_f32_e32 v6, 1.0, v3
	v_cmp_gt_f32_e64 s29, 0x33800000, |v3|
	s_delay_alu instid0(VALU_DEP_2) | instskip(NEXT) | instid1(VALU_DEP_1)
	v_cvt_f64_f32_e32 v[9:10], v6
	v_frexp_exp_i32_f64_e32 v9, v[9:10]
	v_frexp_mant_f32_e32 v10, v6
	s_delay_alu instid0(VALU_DEP_1) | instskip(SKIP_1) | instid1(VALU_DEP_1)
	v_cmp_gt_f32_e64 s7, 0x3f2aaaab, v10
	v_add_f32_e32 v10, -1.0, v6
	v_sub_f32_e32 v12, v10, v6
	v_sub_f32_e32 v10, v3, v10
	s_delay_alu instid0(VALU_DEP_4) | instskip(SKIP_1) | instid1(VALU_DEP_1)
	v_subrev_co_ci_u32_e64 v9, s7, 0, v9, s7
	s_mov_b32 s7, 0x3e9b6dac
	v_sub_nc_u32_e32 v11, 0, v9
	v_cvt_f32_i32_e32 v9, v9
	s_delay_alu instid0(VALU_DEP_2) | instskip(NEXT) | instid1(VALU_DEP_1)
	v_ldexp_f32 v6, v6, v11
	v_dual_add_f32 v12, 1.0, v12 :: v_dual_add_f32 v23, 1.0, v6
	s_delay_alu instid0(VALU_DEP_1) | instskip(NEXT) | instid1(VALU_DEP_1)
	v_add_f32_e32 v10, v10, v12
	v_ldexp_f32 v10, v10, v11
	s_delay_alu instid0(VALU_DEP_3) | instskip(NEXT) | instid1(VALU_DEP_1)
	v_dual_add_f32 v11, -1.0, v6 :: v_dual_add_f32 v12, -1.0, v23
	v_add_f32_e32 v24, 1.0, v11
	s_delay_alu instid0(VALU_DEP_2) | instskip(NEXT) | instid1(VALU_DEP_2)
	v_sub_f32_e32 v12, v6, v12
	v_sub_f32_e32 v6, v6, v24
	s_delay_alu instid0(VALU_DEP_1) | instskip(NEXT) | instid1(VALU_DEP_1)
	v_add_f32_e32 v6, v10, v6
	v_add_f32_e32 v25, v11, v6
	s_delay_alu instid0(VALU_DEP_1) | instskip(NEXT) | instid1(VALU_DEP_1)
	v_dual_sub_f32 v11, v11, v25 :: v_dual_add_f32 v12, v10, v12
	v_add_f32_e32 v6, v6, v11
	s_delay_alu instid0(VALU_DEP_2) | instskip(NEXT) | instid1(VALU_DEP_1)
	v_add_f32_e32 v24, v23, v12
	v_rcp_f32_e32 v10, v24
	v_sub_f32_e32 v23, v23, v24
	s_delay_alu instid0(VALU_DEP_1) | instskip(SKIP_2) | instid1(VALU_DEP_1)
	v_add_f32_e32 v12, v12, v23
	s_waitcnt_depctr 0xfff
	v_mul_f32_e32 v26, v25, v10
	v_mul_f32_e32 v27, v24, v26
	s_delay_alu instid0(VALU_DEP_1) | instskip(NEXT) | instid1(VALU_DEP_1)
	v_fma_f32 v23, v26, v24, -v27
	v_fmac_f32_e32 v23, v26, v12
	s_delay_alu instid0(VALU_DEP_1) | instskip(NEXT) | instid1(VALU_DEP_1)
	v_add_f32_e32 v28, v27, v23
	v_sub_f32_e32 v29, v25, v28
	v_sub_f32_e32 v11, v28, v27
	s_delay_alu instid0(VALU_DEP_2) | instskip(NEXT) | instid1(VALU_DEP_2)
	v_sub_f32_e32 v25, v25, v29
	v_sub_f32_e32 v11, v11, v23
	s_delay_alu instid0(VALU_DEP_2) | instskip(NEXT) | instid1(VALU_DEP_1)
	v_sub_f32_e32 v25, v25, v28
	v_add_f32_e32 v6, v6, v25
	s_delay_alu instid0(VALU_DEP_1) | instskip(NEXT) | instid1(VALU_DEP_1)
	v_add_f32_e32 v6, v11, v6
	v_add_f32_e32 v11, v29, v6
	s_delay_alu instid0(VALU_DEP_1) | instskip(NEXT) | instid1(VALU_DEP_1)
	v_mul_f32_e32 v23, v10, v11
	v_mul_f32_e32 v25, v24, v23
	s_delay_alu instid0(VALU_DEP_1) | instskip(NEXT) | instid1(VALU_DEP_1)
	v_fma_f32 v24, v23, v24, -v25
	v_fmac_f32_e32 v24, v23, v12
	s_delay_alu instid0(VALU_DEP_1) | instskip(NEXT) | instid1(VALU_DEP_1)
	v_add_f32_e32 v12, v25, v24
	v_dual_sub_f32 v28, v29, v11 :: v_dual_sub_f32 v27, v11, v12
	v_sub_f32_e32 v25, v12, v25
	s_delay_alu instid0(VALU_DEP_2) | instskip(NEXT) | instid1(VALU_DEP_1)
	v_sub_f32_e32 v11, v11, v27
	v_sub_f32_e32 v11, v11, v12
	s_delay_alu instid0(VALU_DEP_4) | instskip(NEXT) | instid1(VALU_DEP_4)
	v_add_f32_e32 v6, v6, v28
	v_sub_f32_e32 v12, v25, v24
	s_delay_alu instid0(VALU_DEP_2) | instskip(NEXT) | instid1(VALU_DEP_1)
	v_add_f32_e32 v6, v6, v11
	v_dual_add_f32 v11, v26, v23 :: v_dual_add_f32 v6, v12, v6
	s_delay_alu instid0(VALU_DEP_1) | instskip(NEXT) | instid1(VALU_DEP_2)
	v_sub_f32_e32 v12, v11, v26
	v_add_f32_e32 v6, v27, v6
	s_delay_alu instid0(VALU_DEP_2) | instskip(NEXT) | instid1(VALU_DEP_2)
	v_sub_f32_e32 v12, v23, v12
	v_mul_f32_e32 v6, v10, v6
	s_delay_alu instid0(VALU_DEP_1) | instskip(NEXT) | instid1(VALU_DEP_1)
	v_add_f32_e32 v6, v12, v6
	v_add_f32_e32 v10, v11, v6
	s_delay_alu instid0(VALU_DEP_1) | instskip(NEXT) | instid1(VALU_DEP_1)
	v_mul_f32_e32 v12, v10, v10
	v_fmaak_f32 v23, s7, v12, 0x3ecc95a3
	v_mul_f32_e32 v24, v10, v12
	v_cmp_eq_f32_e64 s7, 0x7f800000, v3
	s_delay_alu instid0(VALU_DEP_3) | instskip(SKIP_2) | instid1(VALU_DEP_4)
	v_fmaak_f32 v12, v12, v23, 0x3f2aaada
	v_ldexp_f32 v23, v10, 1
	v_sub_f32_e32 v10, v10, v11
	s_or_b32 s7, s7, s29
	s_delay_alu instid0(VALU_DEP_3) | instskip(SKIP_1) | instid1(VALU_DEP_2)
	v_mul_f32_e32 v12, v24, v12
	v_mul_f32_e32 v24, 0x3f317218, v9
	v_dual_sub_f32 v6, v6, v10 :: v_dual_add_f32 v11, v23, v12
	s_delay_alu instid0(VALU_DEP_1) | instskip(NEXT) | instid1(VALU_DEP_2)
	v_ldexp_f32 v6, v6, 1
	v_sub_f32_e32 v10, v11, v23
	s_delay_alu instid0(VALU_DEP_4) | instskip(NEXT) | instid1(VALU_DEP_1)
	v_fma_f32 v23, 0x3f317218, v9, -v24
	v_dual_sub_f32 v10, v12, v10 :: v_dual_fmamk_f32 v9, v9, 0xb102e308, v23
	s_delay_alu instid0(VALU_DEP_1) | instskip(NEXT) | instid1(VALU_DEP_2)
	v_add_f32_e32 v6, v6, v10
	v_add_f32_e32 v10, v24, v9
	s_delay_alu instid0(VALU_DEP_2) | instskip(NEXT) | instid1(VALU_DEP_2)
	v_add_f32_e32 v12, v11, v6
	v_sub_f32_e32 v24, v10, v24
	s_delay_alu instid0(VALU_DEP_2) | instskip(SKIP_1) | instid1(VALU_DEP_3)
	v_add_f32_e32 v23, v10, v12
	v_sub_f32_e32 v11, v12, v11
	v_sub_f32_e32 v9, v9, v24
	s_delay_alu instid0(VALU_DEP_2) | instskip(NEXT) | instid1(VALU_DEP_1)
	v_dual_sub_f32 v25, v23, v10 :: v_dual_sub_f32 v6, v6, v11
	v_sub_f32_e32 v26, v23, v25
	s_delay_alu instid0(VALU_DEP_2) | instskip(NEXT) | instid1(VALU_DEP_2)
	v_dual_sub_f32 v11, v12, v25 :: v_dual_add_f32 v12, v9, v6
	v_sub_f32_e32 v10, v10, v26
	s_delay_alu instid0(VALU_DEP_1) | instskip(NEXT) | instid1(VALU_DEP_1)
	v_dual_add_f32 v10, v11, v10 :: v_dual_sub_f32 v11, v12, v9
	v_add_f32_e32 v10, v12, v10
	s_delay_alu instid0(VALU_DEP_2) | instskip(SKIP_1) | instid1(VALU_DEP_2)
	v_sub_f32_e32 v12, v12, v11
	v_sub_f32_e32 v6, v6, v11
	v_dual_add_f32 v24, v23, v10 :: v_dual_sub_f32 v9, v9, v12
	s_delay_alu instid0(VALU_DEP_1) | instskip(NEXT) | instid1(VALU_DEP_1)
	v_dual_sub_f32 v11, v24, v23 :: v_dual_add_f32 v6, v6, v9
	v_sub_f32_e32 v9, v10, v11
	s_delay_alu instid0(VALU_DEP_1) | instskip(NEXT) | instid1(VALU_DEP_1)
	v_add_f32_e32 v6, v6, v9
	v_add_f32_e32 v6, v24, v6
	s_delay_alu instid0(VALU_DEP_1) | instskip(NEXT) | instid1(VALU_DEP_1)
	v_cndmask_b32_e64 v3, v6, v3, s7
	v_add_f32_e32 v3, v4, v3
.LBB126_71:
	s_or_b32 exec_lo, exec_lo, s8
	ds_store_b32 v5, v3 offset:28
.LBB126_72:
	s_or_b32 exec_lo, exec_lo, s9
	s_waitcnt lgkmcnt(0)
	s_barrier
	buffer_gl0_inv
	s_and_saveexec_b32 s7, s2
	s_cbranch_execz .LBB126_74
; %bb.73:
	v_add_nc_u32_e32 v3, -1, v0
	s_delay_alu instid0(VALU_DEP_1) | instskip(NEXT) | instid1(VALU_DEP_1)
	v_lshrrev_b32_e32 v4, 5, v3
	v_add_lshl_u32 v3, v4, v3, 2
	ds_load_b32 v22, v3
.LBB126_74:
	s_or_b32 exec_lo, exec_lo, s7
	s_and_saveexec_b32 s29, vcc_lo
	s_cbranch_execz .LBB126_141
; %bb.75:
	v_mov_b32_e32 v6, 0
	v_mbcnt_lo_u32_b32 v23, -1, 0
	s_mov_b32 s9, 0
	ds_load_b32 v3, v6 offset:1048
	v_cmp_eq_u32_e64 s7, 0, v23
	s_delay_alu instid0(VALU_DEP_1)
	s_and_saveexec_b32 s30, s7
	s_cbranch_execz .LBB126_77
; %bb.76:
	s_add_i32 s8, s28, 32
	v_mov_b32_e32 v4, 1
	s_lshl_b64 s[8:9], s[8:9], 3
	s_delay_alu instid0(SALU_CYCLE_1)
	s_add_u32 s8, s10, s8
	s_addc_u32 s9, s11, s9
	s_waitcnt lgkmcnt(0)
	global_store_b64 v6, v[3:4], s[8:9]
.LBB126_77:
	s_or_b32 exec_lo, exec_lo, s30
	v_xad_u32 v4, v23, -1, s28
	s_mov_b32 s8, exec_lo
	s_delay_alu instid0(VALU_DEP_1) | instskip(NEXT) | instid1(VALU_DEP_1)
	v_add_nc_u32_e32 v5, 32, v4
	v_lshlrev_b64 v[5:6], 3, v[5:6]
	s_delay_alu instid0(VALU_DEP_1) | instskip(NEXT) | instid1(VALU_DEP_2)
	v_add_co_u32 v5, vcc_lo, s10, v5
	v_add_co_ci_u32_e32 v6, vcc_lo, s11, v6, vcc_lo
	global_load_b64 v[9:10], v[5:6], off glc
	s_waitcnt vmcnt(0)
	v_and_b32_e32 v11, 0xff, v10
	s_delay_alu instid0(VALU_DEP_1)
	v_cmpx_eq_u16_e32 0, v11
	s_cbranch_execz .LBB126_83
; %bb.78:
	s_mov_b32 s30, 1
	s_mov_b32 s9, 0
	.p2align	6
.LBB126_79:                             ; =>This Loop Header: Depth=1
                                        ;     Child Loop BB126_80 Depth 2
	s_max_u32 s31, s30, 1
.LBB126_80:                             ;   Parent Loop BB126_79 Depth=1
                                        ; =>  This Inner Loop Header: Depth=2
	s_delay_alu instid0(SALU_CYCLE_1)
	s_add_i32 s31, s31, -1
	s_sleep 1
	s_cmp_eq_u32 s31, 0
	s_cbranch_scc0 .LBB126_80
; %bb.81:                               ;   in Loop: Header=BB126_79 Depth=1
	global_load_b64 v[9:10], v[5:6], off glc
	s_cmp_lt_u32 s30, 32
	s_cselect_b32 s31, -1, 0
	s_delay_alu instid0(SALU_CYCLE_1) | instskip(SKIP_3) | instid1(VALU_DEP_1)
	s_cmp_lg_u32 s31, 0
	s_addc_u32 s30, s30, 0
	s_waitcnt vmcnt(0)
	v_and_b32_e32 v11, 0xff, v10
	v_cmp_ne_u16_e32 vcc_lo, 0, v11
	s_or_b32 s9, vcc_lo, s9
	s_delay_alu instid0(SALU_CYCLE_1)
	s_and_not1_b32 exec_lo, exec_lo, s9
	s_cbranch_execnz .LBB126_79
; %bb.82:
	s_or_b32 exec_lo, exec_lo, s9
.LBB126_83:
	s_delay_alu instid0(SALU_CYCLE_1)
	s_or_b32 exec_lo, exec_lo, s8
	v_cmp_ne_u32_e32 vcc_lo, 31, v23
	v_dual_mov_b32 v12, v9 :: v_dual_and_b32 v11, 0xff, v10
	v_lshlrev_b32_e64 v24, v23, -1
	s_mov_b32 s8, exec_lo
	v_add_co_ci_u32_e32 v5, vcc_lo, 0, v23, vcc_lo
	s_delay_alu instid0(VALU_DEP_3) | instskip(NEXT) | instid1(VALU_DEP_2)
	v_cmp_eq_u16_e32 vcc_lo, 2, v11
	v_lshlrev_b32_e32 v6, 2, v5
	v_and_or_b32 v5, vcc_lo, v24, 0x80000000
	ds_bpermute_b32 v11, v6, v9
	v_ctz_i32_b32_e32 v5, v5
	s_delay_alu instid0(VALU_DEP_1)
	v_cmpx_lt_u32_e64 v23, v5
	s_cbranch_execz .LBB126_87
; %bb.84:
	s_waitcnt lgkmcnt(0)
	v_dual_max_f32 v12, v9, v9 :: v_dual_max_f32 v25, v11, v11
	v_cmp_u_f32_e32 vcc_lo, v11, v11
	s_delay_alu instid0(VALU_DEP_2) | instskip(NEXT) | instid1(VALU_DEP_1)
	v_min_f32_e32 v26, v25, v12
	v_dual_max_f32 v12, v25, v12 :: v_dual_cndmask_b32 v25, v26, v11
	s_delay_alu instid0(VALU_DEP_1) | instskip(SKIP_1) | instid1(VALU_DEP_3)
	v_cndmask_b32_e32 v26, v12, v11, vcc_lo
	v_cmp_u_f32_e32 vcc_lo, v9, v9
	v_cndmask_b32_e32 v12, v25, v9, vcc_lo
	s_delay_alu instid0(VALU_DEP_3) | instskip(NEXT) | instid1(VALU_DEP_2)
	v_cndmask_b32_e32 v9, v26, v9, vcc_lo
	v_cmp_class_f32_e64 s9, v12, 0x1f8
	s_delay_alu instid0(VALU_DEP_2) | instskip(NEXT) | instid1(VALU_DEP_2)
	v_cmp_neq_f32_e32 vcc_lo, v12, v9
	s_or_b32 s30, vcc_lo, s9
	s_delay_alu instid0(SALU_CYCLE_1)
	s_and_saveexec_b32 s9, s30
	s_cbranch_execz .LBB126_86
; %bb.85:
	v_sub_f32_e32 v11, v12, v9
	s_mov_b32 s30, 0x3e9b6dac
	s_delay_alu instid0(VALU_DEP_1) | instskip(SKIP_1) | instid1(VALU_DEP_2)
	v_mul_f32_e32 v12, 0x3fb8aa3b, v11
	v_cmp_ngt_f32_e32 vcc_lo, 0xc2ce8ed0, v11
	v_fma_f32 v25, 0x3fb8aa3b, v11, -v12
	v_rndne_f32_e32 v26, v12
	s_delay_alu instid0(VALU_DEP_1) | instskip(NEXT) | instid1(VALU_DEP_1)
	v_dual_fmamk_f32 v25, v11, 0x32a5705f, v25 :: v_dual_sub_f32 v12, v12, v26
	v_add_f32_e32 v12, v12, v25
	v_cvt_i32_f32_e32 v25, v26
	s_delay_alu instid0(VALU_DEP_2) | instskip(SKIP_2) | instid1(VALU_DEP_1)
	v_exp_f32_e32 v12, v12
	s_waitcnt_depctr 0xfff
	v_ldexp_f32 v12, v12, v25
	v_cndmask_b32_e32 v12, 0, v12, vcc_lo
	v_cmp_nlt_f32_e32 vcc_lo, 0x42b17218, v11
	s_delay_alu instid0(VALU_DEP_2) | instskip(NEXT) | instid1(VALU_DEP_1)
	v_cndmask_b32_e32 v25, 0x7f800000, v12, vcc_lo
	v_add_f32_e32 v26, 1.0, v25
	s_delay_alu instid0(VALU_DEP_1) | instskip(NEXT) | instid1(VALU_DEP_1)
	v_cvt_f64_f32_e32 v[11:12], v26
	v_frexp_exp_i32_f64_e32 v11, v[11:12]
	v_frexp_mant_f32_e32 v12, v26
	s_delay_alu instid0(VALU_DEP_1) | instskip(SKIP_1) | instid1(VALU_DEP_1)
	v_cmp_gt_f32_e32 vcc_lo, 0x3f2aaaab, v12
	v_add_f32_e32 v12, -1.0, v26
	v_sub_f32_e32 v28, v12, v26
	v_sub_f32_e32 v12, v25, v12
	v_subrev_co_ci_u32_e32 v11, vcc_lo, 0, v11, vcc_lo
	v_cmp_eq_f32_e32 vcc_lo, 0x7f800000, v25
	s_delay_alu instid0(VALU_DEP_2) | instskip(SKIP_1) | instid1(VALU_DEP_2)
	v_sub_nc_u32_e32 v27, 0, v11
	v_cvt_f32_i32_e32 v11, v11
	v_ldexp_f32 v26, v26, v27
	s_delay_alu instid0(VALU_DEP_1) | instskip(NEXT) | instid1(VALU_DEP_1)
	v_dual_add_f32 v29, 1.0, v26 :: v_dual_add_f32 v28, 1.0, v28
	v_add_f32_e32 v12, v12, v28
	s_delay_alu instid0(VALU_DEP_2) | instskip(NEXT) | instid1(VALU_DEP_2)
	v_add_f32_e32 v28, -1.0, v29
	v_ldexp_f32 v12, v12, v27
	s_delay_alu instid0(VALU_DEP_2) | instskip(NEXT) | instid1(VALU_DEP_1)
	v_dual_add_f32 v27, -1.0, v26 :: v_dual_sub_f32 v28, v26, v28
	v_add_f32_e32 v30, 1.0, v27
	s_delay_alu instid0(VALU_DEP_2) | instskip(NEXT) | instid1(VALU_DEP_2)
	v_add_f32_e32 v28, v12, v28
	v_sub_f32_e32 v26, v26, v30
	s_delay_alu instid0(VALU_DEP_2) | instskip(NEXT) | instid1(VALU_DEP_2)
	v_add_f32_e32 v30, v29, v28
	v_add_f32_e32 v12, v12, v26
	s_delay_alu instid0(VALU_DEP_2) | instskip(SKIP_1) | instid1(VALU_DEP_1)
	v_rcp_f32_e32 v26, v30
	v_sub_f32_e32 v29, v29, v30
	v_dual_add_f32 v31, v27, v12 :: v_dual_add_f32 v28, v28, v29
	s_delay_alu instid0(VALU_DEP_1) | instskip(SKIP_2) | instid1(VALU_DEP_1)
	v_sub_f32_e32 v27, v27, v31
	s_waitcnt_depctr 0xfff
	v_mul_f32_e32 v32, v31, v26
	v_dual_add_f32 v12, v12, v27 :: v_dual_mul_f32 v33, v30, v32
	s_delay_alu instid0(VALU_DEP_1) | instskip(NEXT) | instid1(VALU_DEP_1)
	v_fma_f32 v29, v32, v30, -v33
	v_fmac_f32_e32 v29, v32, v28
	s_delay_alu instid0(VALU_DEP_1) | instskip(NEXT) | instid1(VALU_DEP_1)
	v_add_f32_e32 v34, v33, v29
	v_sub_f32_e32 v35, v31, v34
	v_sub_f32_e32 v27, v34, v33
	s_delay_alu instid0(VALU_DEP_2) | instskip(NEXT) | instid1(VALU_DEP_2)
	v_sub_f32_e32 v31, v31, v35
	v_sub_f32_e32 v27, v27, v29
	s_delay_alu instid0(VALU_DEP_2) | instskip(NEXT) | instid1(VALU_DEP_1)
	v_sub_f32_e32 v31, v31, v34
	v_add_f32_e32 v12, v12, v31
	s_delay_alu instid0(VALU_DEP_1) | instskip(NEXT) | instid1(VALU_DEP_1)
	v_add_f32_e32 v12, v27, v12
	v_add_f32_e32 v27, v35, v12
	s_delay_alu instid0(VALU_DEP_1) | instskip(NEXT) | instid1(VALU_DEP_1)
	v_mul_f32_e32 v29, v26, v27
	v_dual_sub_f32 v34, v35, v27 :: v_dual_mul_f32 v31, v30, v29
	s_delay_alu instid0(VALU_DEP_1) | instskip(NEXT) | instid1(VALU_DEP_2)
	v_add_f32_e32 v12, v12, v34
	v_fma_f32 v30, v29, v30, -v31
	s_delay_alu instid0(VALU_DEP_1) | instskip(NEXT) | instid1(VALU_DEP_1)
	v_fmac_f32_e32 v30, v29, v28
	v_add_f32_e32 v28, v31, v30
	s_delay_alu instid0(VALU_DEP_1) | instskip(SKIP_1) | instid1(VALU_DEP_2)
	v_sub_f32_e32 v33, v27, v28
	v_sub_f32_e32 v31, v28, v31
	v_sub_f32_e32 v27, v27, v33
	s_delay_alu instid0(VALU_DEP_1) | instskip(NEXT) | instid1(VALU_DEP_3)
	v_sub_f32_e32 v27, v27, v28
	v_sub_f32_e32 v28, v31, v30
	s_delay_alu instid0(VALU_DEP_2) | instskip(SKIP_1) | instid1(VALU_DEP_2)
	v_add_f32_e32 v12, v12, v27
	v_add_f32_e32 v27, v32, v29
	;; [unrolled: 1-line block ×3, first 2 shown]
	s_delay_alu instid0(VALU_DEP_2) | instskip(NEXT) | instid1(VALU_DEP_2)
	v_sub_f32_e32 v28, v27, v32
	v_add_f32_e32 v12, v33, v12
	s_delay_alu instid0(VALU_DEP_2) | instskip(NEXT) | instid1(VALU_DEP_2)
	v_sub_f32_e32 v28, v29, v28
	v_mul_f32_e32 v12, v26, v12
	s_delay_alu instid0(VALU_DEP_1) | instskip(NEXT) | instid1(VALU_DEP_1)
	v_add_f32_e32 v12, v28, v12
	v_add_f32_e32 v26, v27, v12
	s_delay_alu instid0(VALU_DEP_1) | instskip(NEXT) | instid1(VALU_DEP_1)
	v_mul_f32_e32 v28, v26, v26
	v_fmaak_f32 v29, s30, v28, 0x3ecc95a3
	v_mul_f32_e32 v30, v26, v28
	v_cmp_gt_f32_e64 s30, 0x33800000, |v25|
	s_delay_alu instid0(VALU_DEP_3) | instskip(SKIP_2) | instid1(VALU_DEP_4)
	v_fmaak_f32 v28, v28, v29, 0x3f2aaada
	v_ldexp_f32 v29, v26, 1
	v_sub_f32_e32 v26, v26, v27
	s_or_b32 vcc_lo, vcc_lo, s30
	s_delay_alu instid0(VALU_DEP_3) | instskip(SKIP_1) | instid1(VALU_DEP_2)
	v_mul_f32_e32 v28, v30, v28
	v_mul_f32_e32 v30, 0x3f317218, v11
	v_dual_sub_f32 v12, v12, v26 :: v_dual_add_f32 v27, v29, v28
	s_delay_alu instid0(VALU_DEP_1) | instskip(NEXT) | instid1(VALU_DEP_2)
	v_ldexp_f32 v12, v12, 1
	v_sub_f32_e32 v26, v27, v29
	s_delay_alu instid0(VALU_DEP_4) | instskip(NEXT) | instid1(VALU_DEP_1)
	v_fma_f32 v29, 0x3f317218, v11, -v30
	v_dual_sub_f32 v26, v28, v26 :: v_dual_fmamk_f32 v11, v11, 0xb102e308, v29
	s_delay_alu instid0(VALU_DEP_1) | instskip(NEXT) | instid1(VALU_DEP_2)
	v_add_f32_e32 v12, v12, v26
	v_add_f32_e32 v26, v30, v11
	s_delay_alu instid0(VALU_DEP_2) | instskip(NEXT) | instid1(VALU_DEP_2)
	v_add_f32_e32 v28, v27, v12
	v_sub_f32_e32 v30, v26, v30
	s_delay_alu instid0(VALU_DEP_2) | instskip(SKIP_1) | instid1(VALU_DEP_3)
	v_add_f32_e32 v29, v26, v28
	v_sub_f32_e32 v27, v28, v27
	v_sub_f32_e32 v11, v11, v30
	s_delay_alu instid0(VALU_DEP_2) | instskip(NEXT) | instid1(VALU_DEP_1)
	v_dual_sub_f32 v31, v29, v26 :: v_dual_sub_f32 v12, v12, v27
	v_sub_f32_e32 v32, v29, v31
	s_delay_alu instid0(VALU_DEP_2) | instskip(NEXT) | instid1(VALU_DEP_2)
	v_dual_sub_f32 v27, v28, v31 :: v_dual_add_f32 v28, v11, v12
	v_sub_f32_e32 v26, v26, v32
	s_delay_alu instid0(VALU_DEP_1) | instskip(NEXT) | instid1(VALU_DEP_1)
	v_dual_add_f32 v26, v27, v26 :: v_dual_sub_f32 v27, v28, v11
	v_add_f32_e32 v26, v28, v26
	s_delay_alu instid0(VALU_DEP_2) | instskip(SKIP_1) | instid1(VALU_DEP_2)
	v_sub_f32_e32 v28, v28, v27
	v_sub_f32_e32 v12, v12, v27
	v_dual_add_f32 v30, v29, v26 :: v_dual_sub_f32 v11, v11, v28
	s_delay_alu instid0(VALU_DEP_1) | instskip(NEXT) | instid1(VALU_DEP_2)
	v_sub_f32_e32 v27, v30, v29
	v_add_f32_e32 v11, v12, v11
	s_delay_alu instid0(VALU_DEP_2) | instskip(NEXT) | instid1(VALU_DEP_1)
	v_sub_f32_e32 v12, v26, v27
	v_add_f32_e32 v11, v11, v12
	s_delay_alu instid0(VALU_DEP_1) | instskip(NEXT) | instid1(VALU_DEP_1)
	v_add_f32_e32 v11, v30, v11
	v_cndmask_b32_e32 v11, v11, v25, vcc_lo
	s_delay_alu instid0(VALU_DEP_1)
	v_add_f32_e32 v11, v9, v11
.LBB126_86:
	s_or_b32 exec_lo, exec_lo, s9
	s_delay_alu instid0(VALU_DEP_1)
	v_mov_b32_e32 v9, v11
	v_mov_b32_e32 v12, v11
.LBB126_87:
	s_or_b32 exec_lo, exec_lo, s8
	v_cmp_gt_u32_e32 vcc_lo, 30, v23
	v_add_nc_u32_e32 v26, 2, v23
	s_mov_b32 s8, exec_lo
	s_waitcnt lgkmcnt(0)
	v_cndmask_b32_e64 v11, 0, 1, vcc_lo
	s_delay_alu instid0(VALU_DEP_1) | instskip(NEXT) | instid1(VALU_DEP_1)
	v_lshlrev_b32_e32 v11, 1, v11
	v_add_lshl_u32 v25, v11, v23, 2
	ds_bpermute_b32 v11, v25, v9
	v_cmpx_le_u32_e64 v26, v5
	s_cbranch_execz .LBB126_91
; %bb.88:
	v_max_f32_e32 v9, v12, v12
	s_waitcnt lgkmcnt(0)
	v_max_f32_e32 v27, v11, v11
	v_cmp_u_f32_e32 vcc_lo, v11, v11
	s_delay_alu instid0(VALU_DEP_2) | instskip(SKIP_1) | instid1(VALU_DEP_1)
	v_min_f32_e32 v28, v27, v9
	v_max_f32_e32 v9, v27, v9
	v_cndmask_b32_e32 v9, v9, v11, vcc_lo
	s_delay_alu instid0(VALU_DEP_3) | instskip(SKIP_1) | instid1(VALU_DEP_2)
	v_cndmask_b32_e32 v27, v28, v11, vcc_lo
	v_cmp_u_f32_e32 vcc_lo, v12, v12
	v_cndmask_b32_e32 v27, v27, v12, vcc_lo
	s_delay_alu instid0(VALU_DEP_4) | instskip(NEXT) | instid1(VALU_DEP_2)
	v_cndmask_b32_e32 v9, v9, v12, vcc_lo
	v_cmp_class_f32_e64 s9, v27, 0x1f8
	s_delay_alu instid0(VALU_DEP_2) | instskip(NEXT) | instid1(VALU_DEP_2)
	v_cmp_neq_f32_e32 vcc_lo, v27, v9
	s_or_b32 s30, vcc_lo, s9
	s_delay_alu instid0(SALU_CYCLE_1)
	s_and_saveexec_b32 s9, s30
	s_cbranch_execz .LBB126_90
; %bb.89:
	v_sub_f32_e32 v11, v27, v9
	s_mov_b32 s30, 0x3e9b6dac
	s_delay_alu instid0(VALU_DEP_1) | instskip(NEXT) | instid1(VALU_DEP_1)
	v_mul_f32_e32 v12, 0x3fb8aa3b, v11
	v_fma_f32 v27, 0x3fb8aa3b, v11, -v12
	v_rndne_f32_e32 v28, v12
	s_delay_alu instid0(VALU_DEP_1) | instskip(SKIP_1) | instid1(VALU_DEP_4)
	v_sub_f32_e32 v12, v12, v28
	v_cmp_ngt_f32_e32 vcc_lo, 0xc2ce8ed0, v11
	v_fmamk_f32 v27, v11, 0x32a5705f, v27
	s_delay_alu instid0(VALU_DEP_1) | instskip(SKIP_1) | instid1(VALU_DEP_2)
	v_add_f32_e32 v12, v12, v27
	v_cvt_i32_f32_e32 v27, v28
	v_exp_f32_e32 v12, v12
	s_waitcnt_depctr 0xfff
	v_ldexp_f32 v12, v12, v27
	s_delay_alu instid0(VALU_DEP_1) | instskip(SKIP_1) | instid1(VALU_DEP_2)
	v_cndmask_b32_e32 v12, 0, v12, vcc_lo
	v_cmp_nlt_f32_e32 vcc_lo, 0x42b17218, v11
	v_cndmask_b32_e32 v27, 0x7f800000, v12, vcc_lo
	s_delay_alu instid0(VALU_DEP_1) | instskip(NEXT) | instid1(VALU_DEP_1)
	v_add_f32_e32 v28, 1.0, v27
	v_cvt_f64_f32_e32 v[11:12], v28
	s_delay_alu instid0(VALU_DEP_1) | instskip(SKIP_1) | instid1(VALU_DEP_1)
	v_frexp_exp_i32_f64_e32 v11, v[11:12]
	v_frexp_mant_f32_e32 v12, v28
	v_cmp_gt_f32_e32 vcc_lo, 0x3f2aaaab, v12
	v_add_f32_e32 v12, -1.0, v28
	s_delay_alu instid0(VALU_DEP_1) | instskip(NEXT) | instid1(VALU_DEP_1)
	v_sub_f32_e32 v30, v12, v28
	v_add_f32_e32 v30, 1.0, v30
	v_sub_f32_e32 v12, v27, v12
	v_subrev_co_ci_u32_e32 v11, vcc_lo, 0, v11, vcc_lo
	v_cmp_eq_f32_e32 vcc_lo, 0x7f800000, v27
	s_delay_alu instid0(VALU_DEP_2) | instskip(SKIP_1) | instid1(VALU_DEP_2)
	v_sub_nc_u32_e32 v29, 0, v11
	v_cvt_f32_i32_e32 v11, v11
	v_ldexp_f32 v28, v28, v29
	s_delay_alu instid0(VALU_DEP_1) | instskip(NEXT) | instid1(VALU_DEP_1)
	v_dual_add_f32 v31, 1.0, v28 :: v_dual_add_f32 v12, v12, v30
	v_add_f32_e32 v30, -1.0, v31
	s_delay_alu instid0(VALU_DEP_2) | instskip(NEXT) | instid1(VALU_DEP_2)
	v_ldexp_f32 v12, v12, v29
	v_dual_add_f32 v29, -1.0, v28 :: v_dual_sub_f32 v30, v28, v30
	s_delay_alu instid0(VALU_DEP_1) | instskip(NEXT) | instid1(VALU_DEP_2)
	v_add_f32_e32 v32, 1.0, v29
	v_add_f32_e32 v30, v12, v30
	s_delay_alu instid0(VALU_DEP_2) | instskip(NEXT) | instid1(VALU_DEP_2)
	v_sub_f32_e32 v28, v28, v32
	v_add_f32_e32 v32, v31, v30
	s_delay_alu instid0(VALU_DEP_2) | instskip(NEXT) | instid1(VALU_DEP_2)
	v_add_f32_e32 v12, v12, v28
	v_rcp_f32_e32 v28, v32
	v_sub_f32_e32 v31, v31, v32
	s_delay_alu instid0(VALU_DEP_1) | instskip(NEXT) | instid1(VALU_DEP_1)
	v_dual_add_f32 v33, v29, v12 :: v_dual_add_f32 v30, v30, v31
	v_sub_f32_e32 v29, v29, v33
	s_waitcnt_depctr 0xfff
	v_mul_f32_e32 v34, v33, v28
	v_add_f32_e32 v12, v12, v29
	s_delay_alu instid0(VALU_DEP_2) | instskip(NEXT) | instid1(VALU_DEP_1)
	v_mul_f32_e32 v35, v32, v34
	v_fma_f32 v31, v34, v32, -v35
	s_delay_alu instid0(VALU_DEP_1) | instskip(NEXT) | instid1(VALU_DEP_1)
	v_fmac_f32_e32 v31, v34, v30
	v_add_f32_e32 v36, v35, v31
	s_delay_alu instid0(VALU_DEP_1) | instskip(SKIP_1) | instid1(VALU_DEP_2)
	v_sub_f32_e32 v37, v33, v36
	v_sub_f32_e32 v29, v36, v35
	;; [unrolled: 1-line block ×3, first 2 shown]
	s_delay_alu instid0(VALU_DEP_2) | instskip(NEXT) | instid1(VALU_DEP_2)
	v_sub_f32_e32 v29, v29, v31
	v_sub_f32_e32 v33, v33, v36
	s_delay_alu instid0(VALU_DEP_1) | instskip(NEXT) | instid1(VALU_DEP_1)
	v_add_f32_e32 v12, v12, v33
	v_add_f32_e32 v12, v29, v12
	s_delay_alu instid0(VALU_DEP_1) | instskip(NEXT) | instid1(VALU_DEP_1)
	v_add_f32_e32 v29, v37, v12
	v_mul_f32_e32 v31, v28, v29
	s_delay_alu instid0(VALU_DEP_1) | instskip(NEXT) | instid1(VALU_DEP_1)
	v_dual_sub_f32 v36, v37, v29 :: v_dual_mul_f32 v33, v32, v31
	v_add_f32_e32 v12, v12, v36
	s_delay_alu instid0(VALU_DEP_2) | instskip(NEXT) | instid1(VALU_DEP_1)
	v_fma_f32 v32, v31, v32, -v33
	v_fmac_f32_e32 v32, v31, v30
	s_delay_alu instid0(VALU_DEP_1) | instskip(NEXT) | instid1(VALU_DEP_1)
	v_add_f32_e32 v30, v33, v32
	v_sub_f32_e32 v35, v29, v30
	v_sub_f32_e32 v33, v30, v33
	s_delay_alu instid0(VALU_DEP_2) | instskip(NEXT) | instid1(VALU_DEP_1)
	v_sub_f32_e32 v29, v29, v35
	v_sub_f32_e32 v29, v29, v30
	s_delay_alu instid0(VALU_DEP_1) | instskip(NEXT) | instid1(VALU_DEP_4)
	v_dual_add_f32 v12, v12, v29 :: v_dual_add_f32 v29, v34, v31
	v_sub_f32_e32 v30, v33, v32
	s_delay_alu instid0(VALU_DEP_1) | instskip(NEXT) | instid1(VALU_DEP_3)
	v_add_f32_e32 v12, v30, v12
	v_sub_f32_e32 v30, v29, v34
	s_delay_alu instid0(VALU_DEP_2) | instskip(NEXT) | instid1(VALU_DEP_2)
	v_add_f32_e32 v12, v35, v12
	v_sub_f32_e32 v30, v31, v30
	s_delay_alu instid0(VALU_DEP_2) | instskip(NEXT) | instid1(VALU_DEP_1)
	v_mul_f32_e32 v12, v28, v12
	v_add_f32_e32 v12, v30, v12
	s_delay_alu instid0(VALU_DEP_1) | instskip(NEXT) | instid1(VALU_DEP_1)
	v_add_f32_e32 v28, v29, v12
	v_mul_f32_e32 v30, v28, v28
	s_delay_alu instid0(VALU_DEP_1) | instskip(SKIP_2) | instid1(VALU_DEP_3)
	v_fmaak_f32 v31, s30, v30, 0x3ecc95a3
	v_mul_f32_e32 v32, v28, v30
	v_cmp_gt_f32_e64 s30, 0x33800000, |v27|
	v_fmaak_f32 v30, v30, v31, 0x3f2aaada
	v_ldexp_f32 v31, v28, 1
	v_sub_f32_e32 v28, v28, v29
	s_delay_alu instid0(VALU_DEP_4) | instskip(NEXT) | instid1(VALU_DEP_3)
	s_or_b32 vcc_lo, vcc_lo, s30
	v_mul_f32_e32 v30, v32, v30
	v_mul_f32_e32 v32, 0x3f317218, v11
	s_delay_alu instid0(VALU_DEP_2) | instskip(NEXT) | instid1(VALU_DEP_1)
	v_dual_sub_f32 v12, v12, v28 :: v_dual_add_f32 v29, v31, v30
	v_ldexp_f32 v12, v12, 1
	s_delay_alu instid0(VALU_DEP_2) | instskip(NEXT) | instid1(VALU_DEP_4)
	v_sub_f32_e32 v28, v29, v31
	v_fma_f32 v31, 0x3f317218, v11, -v32
	s_delay_alu instid0(VALU_DEP_1) | instskip(NEXT) | instid1(VALU_DEP_1)
	v_dual_sub_f32 v28, v30, v28 :: v_dual_fmamk_f32 v11, v11, 0xb102e308, v31
	v_add_f32_e32 v12, v12, v28
	s_delay_alu instid0(VALU_DEP_2) | instskip(NEXT) | instid1(VALU_DEP_2)
	v_add_f32_e32 v28, v32, v11
	v_add_f32_e32 v30, v29, v12
	s_delay_alu instid0(VALU_DEP_2) | instskip(NEXT) | instid1(VALU_DEP_2)
	v_sub_f32_e32 v32, v28, v32
	v_add_f32_e32 v31, v28, v30
	v_sub_f32_e32 v29, v30, v29
	s_delay_alu instid0(VALU_DEP_3) | instskip(NEXT) | instid1(VALU_DEP_2)
	v_sub_f32_e32 v11, v11, v32
	v_dual_sub_f32 v33, v31, v28 :: v_dual_sub_f32 v12, v12, v29
	s_delay_alu instid0(VALU_DEP_1) | instskip(NEXT) | instid1(VALU_DEP_2)
	v_sub_f32_e32 v34, v31, v33
	v_dual_sub_f32 v29, v30, v33 :: v_dual_add_f32 v30, v11, v12
	s_delay_alu instid0(VALU_DEP_2) | instskip(NEXT) | instid1(VALU_DEP_1)
	v_sub_f32_e32 v28, v28, v34
	v_dual_add_f32 v28, v29, v28 :: v_dual_sub_f32 v29, v30, v11
	s_delay_alu instid0(VALU_DEP_1) | instskip(NEXT) | instid1(VALU_DEP_2)
	v_add_f32_e32 v28, v30, v28
	v_sub_f32_e32 v30, v30, v29
	v_sub_f32_e32 v12, v12, v29
	s_delay_alu instid0(VALU_DEP_3) | instskip(NEXT) | instid1(VALU_DEP_3)
	v_add_f32_e32 v32, v31, v28
	v_sub_f32_e32 v11, v11, v30
	s_delay_alu instid0(VALU_DEP_2) | instskip(NEXT) | instid1(VALU_DEP_2)
	v_sub_f32_e32 v29, v32, v31
	v_add_f32_e32 v11, v12, v11
	s_delay_alu instid0(VALU_DEP_2) | instskip(NEXT) | instid1(VALU_DEP_1)
	v_sub_f32_e32 v12, v28, v29
	v_add_f32_e32 v11, v11, v12
	s_delay_alu instid0(VALU_DEP_1) | instskip(NEXT) | instid1(VALU_DEP_1)
	v_add_f32_e32 v11, v32, v11
	v_cndmask_b32_e32 v11, v11, v27, vcc_lo
	s_delay_alu instid0(VALU_DEP_1)
	v_add_f32_e32 v11, v9, v11
.LBB126_90:
	s_or_b32 exec_lo, exec_lo, s9
	s_delay_alu instid0(VALU_DEP_1)
	v_mov_b32_e32 v9, v11
	v_mov_b32_e32 v12, v11
.LBB126_91:
	s_or_b32 exec_lo, exec_lo, s8
	v_cmp_gt_u32_e32 vcc_lo, 28, v23
	v_add_nc_u32_e32 v28, 4, v23
	s_mov_b32 s8, exec_lo
	s_waitcnt lgkmcnt(0)
	v_cndmask_b32_e64 v11, 0, 1, vcc_lo
	s_delay_alu instid0(VALU_DEP_1) | instskip(NEXT) | instid1(VALU_DEP_1)
	v_lshlrev_b32_e32 v11, 2, v11
	v_add_lshl_u32 v27, v11, v23, 2
	ds_bpermute_b32 v11, v27, v9
	v_cmpx_le_u32_e64 v28, v5
	s_cbranch_execz .LBB126_95
; %bb.92:
	v_max_f32_e32 v9, v12, v12
	s_waitcnt lgkmcnt(0)
	v_max_f32_e32 v29, v11, v11
	v_cmp_u_f32_e32 vcc_lo, v11, v11
	s_delay_alu instid0(VALU_DEP_2) | instskip(SKIP_1) | instid1(VALU_DEP_2)
	v_min_f32_e32 v30, v29, v9
	v_max_f32_e32 v9, v29, v9
	v_cndmask_b32_e32 v29, v30, v11, vcc_lo
	s_delay_alu instid0(VALU_DEP_2) | instskip(SKIP_1) | instid1(VALU_DEP_3)
	v_cndmask_b32_e32 v9, v9, v11, vcc_lo
	v_cmp_u_f32_e32 vcc_lo, v12, v12
	v_cndmask_b32_e32 v29, v29, v12, vcc_lo
	s_delay_alu instid0(VALU_DEP_3) | instskip(NEXT) | instid1(VALU_DEP_2)
	v_cndmask_b32_e32 v9, v9, v12, vcc_lo
	v_cmp_class_f32_e64 s9, v29, 0x1f8
	s_delay_alu instid0(VALU_DEP_2) | instskip(NEXT) | instid1(VALU_DEP_2)
	v_cmp_neq_f32_e32 vcc_lo, v29, v9
	s_or_b32 s30, vcc_lo, s9
	s_delay_alu instid0(SALU_CYCLE_1)
	s_and_saveexec_b32 s9, s30
	s_cbranch_execz .LBB126_94
; %bb.93:
	v_sub_f32_e32 v11, v29, v9
	s_mov_b32 s30, 0x3e9b6dac
	s_delay_alu instid0(VALU_DEP_1) | instskip(NEXT) | instid1(VALU_DEP_1)
	v_mul_f32_e32 v12, 0x3fb8aa3b, v11
	v_fma_f32 v29, 0x3fb8aa3b, v11, -v12
	v_rndne_f32_e32 v30, v12
	s_delay_alu instid0(VALU_DEP_1) | instskip(SKIP_1) | instid1(VALU_DEP_4)
	v_sub_f32_e32 v12, v12, v30
	v_cmp_ngt_f32_e32 vcc_lo, 0xc2ce8ed0, v11
	v_fmamk_f32 v29, v11, 0x32a5705f, v29
	s_delay_alu instid0(VALU_DEP_1) | instskip(SKIP_1) | instid1(VALU_DEP_2)
	v_add_f32_e32 v12, v12, v29
	v_cvt_i32_f32_e32 v29, v30
	v_exp_f32_e32 v12, v12
	s_waitcnt_depctr 0xfff
	v_ldexp_f32 v12, v12, v29
	s_delay_alu instid0(VALU_DEP_1) | instskip(SKIP_1) | instid1(VALU_DEP_2)
	v_cndmask_b32_e32 v12, 0, v12, vcc_lo
	v_cmp_nlt_f32_e32 vcc_lo, 0x42b17218, v11
	v_cndmask_b32_e32 v29, 0x7f800000, v12, vcc_lo
	s_delay_alu instid0(VALU_DEP_1) | instskip(NEXT) | instid1(VALU_DEP_1)
	v_add_f32_e32 v30, 1.0, v29
	v_cvt_f64_f32_e32 v[11:12], v30
	s_delay_alu instid0(VALU_DEP_1) | instskip(SKIP_1) | instid1(VALU_DEP_1)
	v_frexp_exp_i32_f64_e32 v11, v[11:12]
	v_frexp_mant_f32_e32 v12, v30
	v_cmp_gt_f32_e32 vcc_lo, 0x3f2aaaab, v12
	v_add_f32_e32 v12, -1.0, v30
	s_delay_alu instid0(VALU_DEP_1) | instskip(SKIP_3) | instid1(VALU_DEP_2)
	v_sub_f32_e32 v32, v12, v30
	v_sub_f32_e32 v12, v29, v12
	v_subrev_co_ci_u32_e32 v11, vcc_lo, 0, v11, vcc_lo
	v_cmp_eq_f32_e32 vcc_lo, 0x7f800000, v29
	v_sub_nc_u32_e32 v31, 0, v11
	v_cvt_f32_i32_e32 v11, v11
	s_delay_alu instid0(VALU_DEP_2) | instskip(NEXT) | instid1(VALU_DEP_1)
	v_ldexp_f32 v30, v30, v31
	v_dual_add_f32 v33, 1.0, v30 :: v_dual_add_f32 v32, 1.0, v32
	s_delay_alu instid0(VALU_DEP_1) | instskip(NEXT) | instid1(VALU_DEP_2)
	v_add_f32_e32 v12, v12, v32
	v_add_f32_e32 v32, -1.0, v33
	s_delay_alu instid0(VALU_DEP_2) | instskip(NEXT) | instid1(VALU_DEP_2)
	v_ldexp_f32 v12, v12, v31
	v_dual_add_f32 v31, -1.0, v30 :: v_dual_sub_f32 v32, v30, v32
	s_delay_alu instid0(VALU_DEP_1) | instskip(NEXT) | instid1(VALU_DEP_2)
	v_add_f32_e32 v34, 1.0, v31
	v_add_f32_e32 v32, v12, v32
	s_delay_alu instid0(VALU_DEP_2) | instskip(NEXT) | instid1(VALU_DEP_2)
	v_sub_f32_e32 v30, v30, v34
	v_add_f32_e32 v34, v33, v32
	s_delay_alu instid0(VALU_DEP_2) | instskip(NEXT) | instid1(VALU_DEP_2)
	v_add_f32_e32 v12, v12, v30
	v_rcp_f32_e32 v30, v34
	v_sub_f32_e32 v33, v33, v34
	s_delay_alu instid0(VALU_DEP_1) | instskip(NEXT) | instid1(VALU_DEP_1)
	v_dual_add_f32 v35, v31, v12 :: v_dual_add_f32 v32, v32, v33
	v_sub_f32_e32 v31, v31, v35
	s_waitcnt_depctr 0xfff
	v_mul_f32_e32 v36, v35, v30
	s_delay_alu instid0(VALU_DEP_1) | instskip(NEXT) | instid1(VALU_DEP_1)
	v_dual_add_f32 v12, v12, v31 :: v_dual_mul_f32 v37, v34, v36
	v_fma_f32 v33, v36, v34, -v37
	s_delay_alu instid0(VALU_DEP_1) | instskip(NEXT) | instid1(VALU_DEP_1)
	v_fmac_f32_e32 v33, v36, v32
	v_add_f32_e32 v38, v37, v33
	s_delay_alu instid0(VALU_DEP_1) | instskip(SKIP_1) | instid1(VALU_DEP_2)
	v_sub_f32_e32 v39, v35, v38
	v_sub_f32_e32 v31, v38, v37
	;; [unrolled: 1-line block ×3, first 2 shown]
	s_delay_alu instid0(VALU_DEP_2) | instskip(NEXT) | instid1(VALU_DEP_2)
	v_sub_f32_e32 v31, v31, v33
	v_sub_f32_e32 v35, v35, v38
	s_delay_alu instid0(VALU_DEP_1) | instskip(NEXT) | instid1(VALU_DEP_1)
	v_add_f32_e32 v12, v12, v35
	v_add_f32_e32 v12, v31, v12
	s_delay_alu instid0(VALU_DEP_1) | instskip(NEXT) | instid1(VALU_DEP_1)
	v_add_f32_e32 v31, v39, v12
	v_mul_f32_e32 v33, v30, v31
	s_delay_alu instid0(VALU_DEP_1) | instskip(NEXT) | instid1(VALU_DEP_1)
	v_dual_sub_f32 v38, v39, v31 :: v_dual_mul_f32 v35, v34, v33
	v_add_f32_e32 v12, v12, v38
	s_delay_alu instid0(VALU_DEP_2) | instskip(NEXT) | instid1(VALU_DEP_1)
	v_fma_f32 v34, v33, v34, -v35
	v_fmac_f32_e32 v34, v33, v32
	s_delay_alu instid0(VALU_DEP_1) | instskip(NEXT) | instid1(VALU_DEP_1)
	v_add_f32_e32 v32, v35, v34
	v_sub_f32_e32 v37, v31, v32
	v_sub_f32_e32 v35, v32, v35
	s_delay_alu instid0(VALU_DEP_2) | instskip(NEXT) | instid1(VALU_DEP_1)
	v_sub_f32_e32 v31, v31, v37
	v_sub_f32_e32 v31, v31, v32
	s_delay_alu instid0(VALU_DEP_3) | instskip(NEXT) | instid1(VALU_DEP_2)
	v_sub_f32_e32 v32, v35, v34
	v_add_f32_e32 v12, v12, v31
	v_add_f32_e32 v31, v36, v33
	s_delay_alu instid0(VALU_DEP_2) | instskip(NEXT) | instid1(VALU_DEP_2)
	v_add_f32_e32 v12, v32, v12
	v_sub_f32_e32 v32, v31, v36
	s_delay_alu instid0(VALU_DEP_2) | instskip(NEXT) | instid1(VALU_DEP_2)
	v_add_f32_e32 v12, v37, v12
	v_sub_f32_e32 v32, v33, v32
	s_delay_alu instid0(VALU_DEP_2) | instskip(NEXT) | instid1(VALU_DEP_1)
	v_mul_f32_e32 v12, v30, v12
	v_add_f32_e32 v12, v32, v12
	s_delay_alu instid0(VALU_DEP_1) | instskip(NEXT) | instid1(VALU_DEP_1)
	v_add_f32_e32 v30, v31, v12
	v_mul_f32_e32 v32, v30, v30
	s_delay_alu instid0(VALU_DEP_1) | instskip(SKIP_2) | instid1(VALU_DEP_3)
	v_fmaak_f32 v33, s30, v32, 0x3ecc95a3
	v_mul_f32_e32 v34, v30, v32
	v_cmp_gt_f32_e64 s30, 0x33800000, |v29|
	v_fmaak_f32 v32, v32, v33, 0x3f2aaada
	v_ldexp_f32 v33, v30, 1
	v_sub_f32_e32 v30, v30, v31
	s_delay_alu instid0(VALU_DEP_4) | instskip(NEXT) | instid1(VALU_DEP_3)
	s_or_b32 vcc_lo, vcc_lo, s30
	v_mul_f32_e32 v32, v34, v32
	v_mul_f32_e32 v34, 0x3f317218, v11
	s_delay_alu instid0(VALU_DEP_2) | instskip(NEXT) | instid1(VALU_DEP_1)
	v_dual_sub_f32 v12, v12, v30 :: v_dual_add_f32 v31, v33, v32
	v_ldexp_f32 v12, v12, 1
	s_delay_alu instid0(VALU_DEP_2) | instskip(NEXT) | instid1(VALU_DEP_4)
	v_sub_f32_e32 v30, v31, v33
	v_fma_f32 v33, 0x3f317218, v11, -v34
	s_delay_alu instid0(VALU_DEP_1) | instskip(NEXT) | instid1(VALU_DEP_1)
	v_dual_sub_f32 v30, v32, v30 :: v_dual_fmamk_f32 v11, v11, 0xb102e308, v33
	v_add_f32_e32 v12, v12, v30
	s_delay_alu instid0(VALU_DEP_2) | instskip(NEXT) | instid1(VALU_DEP_2)
	v_add_f32_e32 v30, v34, v11
	v_add_f32_e32 v32, v31, v12
	s_delay_alu instid0(VALU_DEP_2) | instskip(NEXT) | instid1(VALU_DEP_2)
	v_sub_f32_e32 v34, v30, v34
	v_add_f32_e32 v33, v30, v32
	v_sub_f32_e32 v31, v32, v31
	s_delay_alu instid0(VALU_DEP_3) | instskip(NEXT) | instid1(VALU_DEP_2)
	v_sub_f32_e32 v11, v11, v34
	v_dual_sub_f32 v35, v33, v30 :: v_dual_sub_f32 v12, v12, v31
	s_delay_alu instid0(VALU_DEP_1) | instskip(NEXT) | instid1(VALU_DEP_2)
	v_sub_f32_e32 v36, v33, v35
	v_dual_sub_f32 v31, v32, v35 :: v_dual_add_f32 v32, v11, v12
	s_delay_alu instid0(VALU_DEP_2) | instskip(NEXT) | instid1(VALU_DEP_1)
	v_sub_f32_e32 v30, v30, v36
	v_dual_add_f32 v30, v31, v30 :: v_dual_sub_f32 v31, v32, v11
	s_delay_alu instid0(VALU_DEP_1) | instskip(NEXT) | instid1(VALU_DEP_2)
	v_add_f32_e32 v30, v32, v30
	v_sub_f32_e32 v32, v32, v31
	v_sub_f32_e32 v12, v12, v31
	s_delay_alu instid0(VALU_DEP_2) | instskip(NEXT) | instid1(VALU_DEP_1)
	v_dual_add_f32 v34, v33, v30 :: v_dual_sub_f32 v11, v11, v32
	v_sub_f32_e32 v31, v34, v33
	s_delay_alu instid0(VALU_DEP_2) | instskip(NEXT) | instid1(VALU_DEP_2)
	v_add_f32_e32 v11, v12, v11
	v_sub_f32_e32 v12, v30, v31
	s_delay_alu instid0(VALU_DEP_1) | instskip(NEXT) | instid1(VALU_DEP_1)
	v_add_f32_e32 v11, v11, v12
	v_add_f32_e32 v11, v34, v11
	s_delay_alu instid0(VALU_DEP_1) | instskip(NEXT) | instid1(VALU_DEP_1)
	v_cndmask_b32_e32 v11, v11, v29, vcc_lo
	v_add_f32_e32 v11, v9, v11
.LBB126_94:
	s_or_b32 exec_lo, exec_lo, s9
	s_delay_alu instid0(VALU_DEP_1)
	v_mov_b32_e32 v9, v11
	v_mov_b32_e32 v12, v11
.LBB126_95:
	s_or_b32 exec_lo, exec_lo, s8
	v_cmp_gt_u32_e32 vcc_lo, 24, v23
	v_add_nc_u32_e32 v30, 8, v23
	s_mov_b32 s8, exec_lo
	s_waitcnt lgkmcnt(0)
	v_cndmask_b32_e64 v11, 0, 1, vcc_lo
	s_delay_alu instid0(VALU_DEP_1) | instskip(NEXT) | instid1(VALU_DEP_1)
	v_lshlrev_b32_e32 v11, 3, v11
	v_add_lshl_u32 v29, v11, v23, 2
	ds_bpermute_b32 v11, v29, v9
	v_cmpx_le_u32_e64 v30, v5
	s_cbranch_execz .LBB126_99
; %bb.96:
	v_max_f32_e32 v9, v12, v12
	s_waitcnt lgkmcnt(0)
	v_max_f32_e32 v31, v11, v11
	v_cmp_u_f32_e32 vcc_lo, v11, v11
	s_delay_alu instid0(VALU_DEP_2) | instskip(SKIP_1) | instid1(VALU_DEP_1)
	v_min_f32_e32 v32, v31, v9
	v_max_f32_e32 v9, v31, v9
	v_cndmask_b32_e32 v9, v9, v11, vcc_lo
	s_delay_alu instid0(VALU_DEP_3) | instskip(SKIP_1) | instid1(VALU_DEP_2)
	v_cndmask_b32_e32 v31, v32, v11, vcc_lo
	v_cmp_u_f32_e32 vcc_lo, v12, v12
	v_cndmask_b32_e32 v31, v31, v12, vcc_lo
	s_delay_alu instid0(VALU_DEP_4) | instskip(NEXT) | instid1(VALU_DEP_2)
	v_cndmask_b32_e32 v9, v9, v12, vcc_lo
	v_cmp_class_f32_e64 s9, v31, 0x1f8
	s_delay_alu instid0(VALU_DEP_2) | instskip(NEXT) | instid1(VALU_DEP_2)
	v_cmp_neq_f32_e32 vcc_lo, v31, v9
	s_or_b32 s30, vcc_lo, s9
	s_delay_alu instid0(SALU_CYCLE_1)
	s_and_saveexec_b32 s9, s30
	s_cbranch_execz .LBB126_98
; %bb.97:
	v_sub_f32_e32 v11, v31, v9
	s_mov_b32 s30, 0x3e9b6dac
	s_delay_alu instid0(VALU_DEP_1) | instskip(NEXT) | instid1(VALU_DEP_1)
	v_mul_f32_e32 v12, 0x3fb8aa3b, v11
	v_fma_f32 v31, 0x3fb8aa3b, v11, -v12
	v_rndne_f32_e32 v32, v12
	s_delay_alu instid0(VALU_DEP_1) | instskip(SKIP_1) | instid1(VALU_DEP_4)
	v_sub_f32_e32 v12, v12, v32
	v_cmp_ngt_f32_e32 vcc_lo, 0xc2ce8ed0, v11
	v_fmamk_f32 v31, v11, 0x32a5705f, v31
	s_delay_alu instid0(VALU_DEP_1) | instskip(SKIP_1) | instid1(VALU_DEP_2)
	v_add_f32_e32 v12, v12, v31
	v_cvt_i32_f32_e32 v31, v32
	v_exp_f32_e32 v12, v12
	s_waitcnt_depctr 0xfff
	v_ldexp_f32 v12, v12, v31
	s_delay_alu instid0(VALU_DEP_1) | instskip(SKIP_1) | instid1(VALU_DEP_2)
	v_cndmask_b32_e32 v12, 0, v12, vcc_lo
	v_cmp_nlt_f32_e32 vcc_lo, 0x42b17218, v11
	v_cndmask_b32_e32 v31, 0x7f800000, v12, vcc_lo
	s_delay_alu instid0(VALU_DEP_1) | instskip(NEXT) | instid1(VALU_DEP_1)
	v_add_f32_e32 v32, 1.0, v31
	v_cvt_f64_f32_e32 v[11:12], v32
	s_delay_alu instid0(VALU_DEP_1) | instskip(SKIP_1) | instid1(VALU_DEP_1)
	v_frexp_exp_i32_f64_e32 v11, v[11:12]
	v_frexp_mant_f32_e32 v12, v32
	v_cmp_gt_f32_e32 vcc_lo, 0x3f2aaaab, v12
	v_add_f32_e32 v12, -1.0, v32
	s_delay_alu instid0(VALU_DEP_1) | instskip(NEXT) | instid1(VALU_DEP_1)
	v_sub_f32_e32 v34, v12, v32
	v_add_f32_e32 v34, 1.0, v34
	v_sub_f32_e32 v12, v31, v12
	v_subrev_co_ci_u32_e32 v11, vcc_lo, 0, v11, vcc_lo
	v_cmp_eq_f32_e32 vcc_lo, 0x7f800000, v31
	s_delay_alu instid0(VALU_DEP_2) | instskip(SKIP_1) | instid1(VALU_DEP_2)
	v_sub_nc_u32_e32 v33, 0, v11
	v_cvt_f32_i32_e32 v11, v11
	v_ldexp_f32 v32, v32, v33
	s_delay_alu instid0(VALU_DEP_1) | instskip(NEXT) | instid1(VALU_DEP_1)
	v_dual_add_f32 v35, 1.0, v32 :: v_dual_add_f32 v12, v12, v34
	v_add_f32_e32 v34, -1.0, v35
	s_delay_alu instid0(VALU_DEP_2) | instskip(NEXT) | instid1(VALU_DEP_2)
	v_ldexp_f32 v12, v12, v33
	v_dual_add_f32 v33, -1.0, v32 :: v_dual_sub_f32 v34, v32, v34
	s_delay_alu instid0(VALU_DEP_1) | instskip(NEXT) | instid1(VALU_DEP_2)
	v_add_f32_e32 v36, 1.0, v33
	v_add_f32_e32 v34, v12, v34
	s_delay_alu instid0(VALU_DEP_2) | instskip(NEXT) | instid1(VALU_DEP_2)
	v_sub_f32_e32 v32, v32, v36
	v_add_f32_e32 v36, v35, v34
	s_delay_alu instid0(VALU_DEP_2) | instskip(NEXT) | instid1(VALU_DEP_2)
	v_add_f32_e32 v12, v12, v32
	v_rcp_f32_e32 v32, v36
	v_sub_f32_e32 v35, v35, v36
	s_delay_alu instid0(VALU_DEP_1) | instskip(NEXT) | instid1(VALU_DEP_1)
	v_dual_add_f32 v37, v33, v12 :: v_dual_add_f32 v34, v34, v35
	v_sub_f32_e32 v33, v33, v37
	s_waitcnt_depctr 0xfff
	v_mul_f32_e32 v38, v37, v32
	v_add_f32_e32 v12, v12, v33
	s_delay_alu instid0(VALU_DEP_2) | instskip(NEXT) | instid1(VALU_DEP_1)
	v_mul_f32_e32 v39, v36, v38
	v_fma_f32 v35, v38, v36, -v39
	s_delay_alu instid0(VALU_DEP_1) | instskip(NEXT) | instid1(VALU_DEP_1)
	v_fmac_f32_e32 v35, v38, v34
	v_add_f32_e32 v40, v39, v35
	s_delay_alu instid0(VALU_DEP_1) | instskip(SKIP_1) | instid1(VALU_DEP_2)
	v_sub_f32_e32 v41, v37, v40
	v_sub_f32_e32 v33, v40, v39
	;; [unrolled: 1-line block ×3, first 2 shown]
	s_delay_alu instid0(VALU_DEP_2) | instskip(NEXT) | instid1(VALU_DEP_2)
	v_sub_f32_e32 v33, v33, v35
	v_sub_f32_e32 v37, v37, v40
	s_delay_alu instid0(VALU_DEP_1) | instskip(NEXT) | instid1(VALU_DEP_1)
	v_add_f32_e32 v12, v12, v37
	v_add_f32_e32 v12, v33, v12
	s_delay_alu instid0(VALU_DEP_1) | instskip(NEXT) | instid1(VALU_DEP_1)
	v_add_f32_e32 v33, v41, v12
	v_mul_f32_e32 v35, v32, v33
	s_delay_alu instid0(VALU_DEP_1) | instskip(NEXT) | instid1(VALU_DEP_1)
	v_dual_sub_f32 v40, v41, v33 :: v_dual_mul_f32 v37, v36, v35
	v_add_f32_e32 v12, v12, v40
	s_delay_alu instid0(VALU_DEP_2) | instskip(NEXT) | instid1(VALU_DEP_1)
	v_fma_f32 v36, v35, v36, -v37
	v_fmac_f32_e32 v36, v35, v34
	s_delay_alu instid0(VALU_DEP_1) | instskip(NEXT) | instid1(VALU_DEP_1)
	v_add_f32_e32 v34, v37, v36
	v_sub_f32_e32 v39, v33, v34
	v_sub_f32_e32 v37, v34, v37
	s_delay_alu instid0(VALU_DEP_2) | instskip(NEXT) | instid1(VALU_DEP_1)
	v_sub_f32_e32 v33, v33, v39
	v_sub_f32_e32 v33, v33, v34
	s_delay_alu instid0(VALU_DEP_1) | instskip(NEXT) | instid1(VALU_DEP_4)
	v_dual_add_f32 v12, v12, v33 :: v_dual_add_f32 v33, v38, v35
	v_sub_f32_e32 v34, v37, v36
	s_delay_alu instid0(VALU_DEP_1) | instskip(NEXT) | instid1(VALU_DEP_3)
	v_add_f32_e32 v12, v34, v12
	v_sub_f32_e32 v34, v33, v38
	s_delay_alu instid0(VALU_DEP_2) | instskip(NEXT) | instid1(VALU_DEP_2)
	v_add_f32_e32 v12, v39, v12
	v_sub_f32_e32 v34, v35, v34
	s_delay_alu instid0(VALU_DEP_2) | instskip(NEXT) | instid1(VALU_DEP_1)
	v_mul_f32_e32 v12, v32, v12
	v_add_f32_e32 v12, v34, v12
	s_delay_alu instid0(VALU_DEP_1) | instskip(NEXT) | instid1(VALU_DEP_1)
	v_add_f32_e32 v32, v33, v12
	v_mul_f32_e32 v34, v32, v32
	s_delay_alu instid0(VALU_DEP_1) | instskip(SKIP_2) | instid1(VALU_DEP_3)
	v_fmaak_f32 v35, s30, v34, 0x3ecc95a3
	v_mul_f32_e32 v36, v32, v34
	v_cmp_gt_f32_e64 s30, 0x33800000, |v31|
	v_fmaak_f32 v34, v34, v35, 0x3f2aaada
	v_ldexp_f32 v35, v32, 1
	v_sub_f32_e32 v32, v32, v33
	s_delay_alu instid0(VALU_DEP_4) | instskip(NEXT) | instid1(VALU_DEP_3)
	s_or_b32 vcc_lo, vcc_lo, s30
	v_mul_f32_e32 v34, v36, v34
	v_mul_f32_e32 v36, 0x3f317218, v11
	s_delay_alu instid0(VALU_DEP_2) | instskip(NEXT) | instid1(VALU_DEP_1)
	v_dual_sub_f32 v12, v12, v32 :: v_dual_add_f32 v33, v35, v34
	v_ldexp_f32 v12, v12, 1
	s_delay_alu instid0(VALU_DEP_2) | instskip(NEXT) | instid1(VALU_DEP_4)
	v_sub_f32_e32 v32, v33, v35
	v_fma_f32 v35, 0x3f317218, v11, -v36
	s_delay_alu instid0(VALU_DEP_1) | instskip(NEXT) | instid1(VALU_DEP_1)
	v_dual_sub_f32 v32, v34, v32 :: v_dual_fmamk_f32 v11, v11, 0xb102e308, v35
	v_add_f32_e32 v12, v12, v32
	s_delay_alu instid0(VALU_DEP_2) | instskip(NEXT) | instid1(VALU_DEP_2)
	v_add_f32_e32 v32, v36, v11
	v_add_f32_e32 v34, v33, v12
	s_delay_alu instid0(VALU_DEP_2) | instskip(NEXT) | instid1(VALU_DEP_2)
	v_sub_f32_e32 v36, v32, v36
	v_add_f32_e32 v35, v32, v34
	v_sub_f32_e32 v33, v34, v33
	s_delay_alu instid0(VALU_DEP_3) | instskip(NEXT) | instid1(VALU_DEP_2)
	v_sub_f32_e32 v11, v11, v36
	v_dual_sub_f32 v37, v35, v32 :: v_dual_sub_f32 v12, v12, v33
	s_delay_alu instid0(VALU_DEP_1) | instskip(NEXT) | instid1(VALU_DEP_2)
	v_sub_f32_e32 v38, v35, v37
	v_dual_sub_f32 v33, v34, v37 :: v_dual_add_f32 v34, v11, v12
	s_delay_alu instid0(VALU_DEP_2) | instskip(NEXT) | instid1(VALU_DEP_1)
	v_sub_f32_e32 v32, v32, v38
	v_dual_add_f32 v32, v33, v32 :: v_dual_sub_f32 v33, v34, v11
	s_delay_alu instid0(VALU_DEP_1) | instskip(NEXT) | instid1(VALU_DEP_2)
	v_add_f32_e32 v32, v34, v32
	v_sub_f32_e32 v34, v34, v33
	v_sub_f32_e32 v12, v12, v33
	s_delay_alu instid0(VALU_DEP_3) | instskip(NEXT) | instid1(VALU_DEP_3)
	v_add_f32_e32 v36, v35, v32
	v_sub_f32_e32 v11, v11, v34
	s_delay_alu instid0(VALU_DEP_2) | instskip(NEXT) | instid1(VALU_DEP_2)
	v_sub_f32_e32 v33, v36, v35
	v_add_f32_e32 v11, v12, v11
	s_delay_alu instid0(VALU_DEP_2) | instskip(NEXT) | instid1(VALU_DEP_1)
	v_sub_f32_e32 v12, v32, v33
	v_add_f32_e32 v11, v11, v12
	s_delay_alu instid0(VALU_DEP_1) | instskip(NEXT) | instid1(VALU_DEP_1)
	v_add_f32_e32 v11, v36, v11
	v_cndmask_b32_e32 v11, v11, v31, vcc_lo
	s_delay_alu instid0(VALU_DEP_1)
	v_add_f32_e32 v11, v9, v11
.LBB126_98:
	s_or_b32 exec_lo, exec_lo, s9
	s_delay_alu instid0(VALU_DEP_1)
	v_mov_b32_e32 v9, v11
	v_mov_b32_e32 v12, v11
.LBB126_99:
	s_or_b32 exec_lo, exec_lo, s8
	v_cmp_gt_u32_e32 vcc_lo, 16, v23
	v_add_nc_u32_e32 v33, 16, v23
	s_mov_b32 s8, exec_lo
	s_waitcnt lgkmcnt(0)
	v_cndmask_b32_e64 v11, 0, 1, vcc_lo
	s_delay_alu instid0(VALU_DEP_1) | instskip(NEXT) | instid1(VALU_DEP_1)
	v_lshlrev_b32_e32 v11, 4, v11
	v_add_lshl_u32 v32, v11, v23, 2
	ds_bpermute_b32 v9, v32, v9
	v_cmpx_le_u32_e64 v33, v5
	s_cbranch_execz .LBB126_103
; %bb.100:
	v_max_f32_e32 v5, v12, v12
	s_waitcnt lgkmcnt(0)
	v_max_f32_e32 v11, v9, v9
	v_cmp_u_f32_e32 vcc_lo, v9, v9
	s_delay_alu instid0(VALU_DEP_2) | instskip(SKIP_1) | instid1(VALU_DEP_2)
	v_min_f32_e32 v31, v11, v5
	v_max_f32_e32 v5, v11, v5
	v_cndmask_b32_e32 v11, v31, v9, vcc_lo
	s_delay_alu instid0(VALU_DEP_2) | instskip(SKIP_1) | instid1(VALU_DEP_3)
	v_cndmask_b32_e32 v5, v5, v9, vcc_lo
	v_cmp_u_f32_e32 vcc_lo, v12, v12
	v_cndmask_b32_e32 v11, v11, v12, vcc_lo
	s_delay_alu instid0(VALU_DEP_3) | instskip(NEXT) | instid1(VALU_DEP_2)
	v_cndmask_b32_e32 v5, v5, v12, vcc_lo
	v_cmp_class_f32_e64 s9, v11, 0x1f8
	s_delay_alu instid0(VALU_DEP_2) | instskip(NEXT) | instid1(VALU_DEP_2)
	v_cmp_neq_f32_e32 vcc_lo, v11, v5
	s_or_b32 s30, vcc_lo, s9
	s_delay_alu instid0(SALU_CYCLE_1)
	s_and_saveexec_b32 s9, s30
	s_cbranch_execz .LBB126_102
; %bb.101:
	v_sub_f32_e32 v9, v11, v5
	s_mov_b32 s30, 0x3e9b6dac
	s_delay_alu instid0(VALU_DEP_1) | instskip(SKIP_1) | instid1(VALU_DEP_2)
	v_mul_f32_e32 v11, 0x3fb8aa3b, v9
	v_cmp_ngt_f32_e32 vcc_lo, 0xc2ce8ed0, v9
	v_fma_f32 v12, 0x3fb8aa3b, v9, -v11
	v_rndne_f32_e32 v31, v11
	s_delay_alu instid0(VALU_DEP_1) | instskip(NEXT) | instid1(VALU_DEP_1)
	v_dual_fmamk_f32 v12, v9, 0x32a5705f, v12 :: v_dual_sub_f32 v11, v11, v31
	v_add_f32_e32 v11, v11, v12
	v_cvt_i32_f32_e32 v12, v31
	s_delay_alu instid0(VALU_DEP_2) | instskip(SKIP_2) | instid1(VALU_DEP_1)
	v_exp_f32_e32 v11, v11
	s_waitcnt_depctr 0xfff
	v_ldexp_f32 v11, v11, v12
	v_cndmask_b32_e32 v11, 0, v11, vcc_lo
	v_cmp_nlt_f32_e32 vcc_lo, 0x42b17218, v9
	s_delay_alu instid0(VALU_DEP_2) | instskip(NEXT) | instid1(VALU_DEP_1)
	v_cndmask_b32_e32 v9, 0x7f800000, v11, vcc_lo
	v_add_f32_e32 v31, 1.0, v9
	s_delay_alu instid0(VALU_DEP_1) | instskip(NEXT) | instid1(VALU_DEP_1)
	v_cvt_f64_f32_e32 v[11:12], v31
	v_frexp_exp_i32_f64_e32 v11, v[11:12]
	v_frexp_mant_f32_e32 v12, v31
	s_delay_alu instid0(VALU_DEP_1) | instskip(SKIP_1) | instid1(VALU_DEP_1)
	v_cmp_gt_f32_e32 vcc_lo, 0x3f2aaaab, v12
	v_add_f32_e32 v12, -1.0, v31
	v_dual_sub_f32 v35, v12, v31 :: v_dual_sub_f32 v12, v9, v12
	s_delay_alu instid0(VALU_DEP_1) | instskip(NEXT) | instid1(VALU_DEP_1)
	v_add_f32_e32 v35, 1.0, v35
	v_add_f32_e32 v12, v12, v35
	v_subrev_co_ci_u32_e32 v11, vcc_lo, 0, v11, vcc_lo
	s_delay_alu instid0(VALU_DEP_1) | instskip(SKIP_1) | instid1(VALU_DEP_2)
	v_sub_nc_u32_e32 v34, 0, v11
	v_cvt_f32_i32_e32 v11, v11
	v_ldexp_f32 v31, v31, v34
	v_ldexp_f32 v12, v12, v34
	s_delay_alu instid0(VALU_DEP_2) | instskip(NEXT) | instid1(VALU_DEP_1)
	v_add_f32_e32 v36, 1.0, v31
	v_dual_add_f32 v34, -1.0, v31 :: v_dual_add_f32 v35, -1.0, v36
	s_delay_alu instid0(VALU_DEP_1) | instskip(NEXT) | instid1(VALU_DEP_2)
	v_add_f32_e32 v37, 1.0, v34
	v_sub_f32_e32 v35, v31, v35
	s_delay_alu instid0(VALU_DEP_2) | instskip(NEXT) | instid1(VALU_DEP_2)
	v_sub_f32_e32 v31, v31, v37
	v_add_f32_e32 v35, v12, v35
	s_delay_alu instid0(VALU_DEP_2) | instskip(NEXT) | instid1(VALU_DEP_1)
	v_add_f32_e32 v12, v12, v31
	v_dual_add_f32 v37, v36, v35 :: v_dual_add_f32 v38, v34, v12
	s_delay_alu instid0(VALU_DEP_1) | instskip(SKIP_2) | instid1(VALU_DEP_3)
	v_rcp_f32_e32 v31, v37
	v_sub_f32_e32 v36, v36, v37
	v_cmp_eq_f32_e32 vcc_lo, 0x7f800000, v9
	v_sub_f32_e32 v34, v34, v38
	s_delay_alu instid0(VALU_DEP_1) | instskip(SKIP_2) | instid1(VALU_DEP_1)
	v_dual_add_f32 v12, v12, v34 :: v_dual_add_f32 v35, v35, v36
	s_waitcnt_depctr 0xfff
	v_mul_f32_e32 v39, v38, v31
	v_mul_f32_e32 v40, v37, v39
	s_delay_alu instid0(VALU_DEP_1) | instskip(NEXT) | instid1(VALU_DEP_1)
	v_fma_f32 v36, v39, v37, -v40
	v_fmac_f32_e32 v36, v39, v35
	s_delay_alu instid0(VALU_DEP_1) | instskip(NEXT) | instid1(VALU_DEP_1)
	v_add_f32_e32 v41, v40, v36
	v_sub_f32_e32 v42, v38, v41
	v_sub_f32_e32 v34, v41, v40
	s_delay_alu instid0(VALU_DEP_2) | instskip(NEXT) | instid1(VALU_DEP_1)
	v_sub_f32_e32 v38, v38, v42
	v_sub_f32_e32 v38, v38, v41
	s_delay_alu instid0(VALU_DEP_1) | instskip(NEXT) | instid1(VALU_DEP_4)
	v_add_f32_e32 v12, v12, v38
	v_sub_f32_e32 v34, v34, v36
	s_delay_alu instid0(VALU_DEP_1) | instskip(NEXT) | instid1(VALU_DEP_1)
	v_add_f32_e32 v12, v34, v12
	v_add_f32_e32 v34, v42, v12
	s_delay_alu instid0(VALU_DEP_1) | instskip(NEXT) | instid1(VALU_DEP_1)
	v_mul_f32_e32 v36, v31, v34
	v_dual_sub_f32 v41, v42, v34 :: v_dual_mul_f32 v38, v37, v36
	s_delay_alu instid0(VALU_DEP_1) | instskip(NEXT) | instid1(VALU_DEP_2)
	v_add_f32_e32 v12, v12, v41
	v_fma_f32 v37, v36, v37, -v38
	s_delay_alu instid0(VALU_DEP_1) | instskip(NEXT) | instid1(VALU_DEP_1)
	v_fmac_f32_e32 v37, v36, v35
	v_add_f32_e32 v35, v38, v37
	s_delay_alu instid0(VALU_DEP_1) | instskip(NEXT) | instid1(VALU_DEP_1)
	v_sub_f32_e32 v40, v34, v35
	v_sub_f32_e32 v34, v34, v40
	s_delay_alu instid0(VALU_DEP_1) | instskip(NEXT) | instid1(VALU_DEP_1)
	v_sub_f32_e32 v34, v34, v35
	v_add_f32_e32 v12, v12, v34
	v_add_f32_e32 v34, v39, v36
	v_sub_f32_e32 v38, v35, v38
	s_delay_alu instid0(VALU_DEP_1) | instskip(NEXT) | instid1(VALU_DEP_1)
	v_sub_f32_e32 v35, v38, v37
	v_dual_add_f32 v12, v35, v12 :: v_dual_sub_f32 v35, v34, v39
	s_delay_alu instid0(VALU_DEP_1) | instskip(NEXT) | instid1(VALU_DEP_1)
	v_add_f32_e32 v12, v40, v12
	v_dual_sub_f32 v35, v36, v35 :: v_dual_mul_f32 v12, v31, v12
	s_delay_alu instid0(VALU_DEP_1) | instskip(NEXT) | instid1(VALU_DEP_1)
	v_add_f32_e32 v12, v35, v12
	v_add_f32_e32 v31, v34, v12
	s_delay_alu instid0(VALU_DEP_1) | instskip(NEXT) | instid1(VALU_DEP_1)
	v_mul_f32_e32 v35, v31, v31
	v_fmaak_f32 v36, s30, v35, 0x3ecc95a3
	v_mul_f32_e32 v37, v31, v35
	v_cmp_gt_f32_e64 s30, 0x33800000, |v9|
	s_delay_alu instid0(VALU_DEP_3) | instskip(SKIP_1) | instid1(VALU_DEP_3)
	v_fmaak_f32 v35, v35, v36, 0x3f2aaada
	v_ldexp_f32 v36, v31, 1
	s_or_b32 vcc_lo, vcc_lo, s30
	s_delay_alu instid0(VALU_DEP_2) | instskip(SKIP_1) | instid1(VALU_DEP_2)
	v_mul_f32_e32 v35, v37, v35
	v_mul_f32_e32 v37, 0x3f317218, v11
	v_dual_sub_f32 v31, v31, v34 :: v_dual_add_f32 v34, v36, v35
	s_delay_alu instid0(VALU_DEP_1) | instskip(NEXT) | instid1(VALU_DEP_3)
	v_dual_sub_f32 v12, v12, v31 :: v_dual_sub_f32 v31, v34, v36
	v_fma_f32 v36, 0x3f317218, v11, -v37
	s_delay_alu instid0(VALU_DEP_2) | instskip(NEXT) | instid1(VALU_DEP_3)
	v_ldexp_f32 v12, v12, 1
	v_sub_f32_e32 v31, v35, v31
	s_delay_alu instid0(VALU_DEP_1) | instskip(NEXT) | instid1(VALU_DEP_1)
	v_dual_fmamk_f32 v11, v11, 0xb102e308, v36 :: v_dual_add_f32 v12, v12, v31
	v_add_f32_e32 v31, v37, v11
	s_delay_alu instid0(VALU_DEP_1) | instskip(NEXT) | instid1(VALU_DEP_1)
	v_sub_f32_e32 v37, v31, v37
	v_sub_f32_e32 v11, v11, v37
	s_delay_alu instid0(VALU_DEP_4) | instskip(NEXT) | instid1(VALU_DEP_1)
	v_add_f32_e32 v35, v34, v12
	v_add_f32_e32 v36, v31, v35
	s_delay_alu instid0(VALU_DEP_1) | instskip(SKIP_1) | instid1(VALU_DEP_2)
	v_sub_f32_e32 v38, v36, v31
	v_sub_f32_e32 v34, v35, v34
	;; [unrolled: 1-line block ×3, first 2 shown]
	s_delay_alu instid0(VALU_DEP_2) | instskip(SKIP_1) | instid1(VALU_DEP_3)
	v_sub_f32_e32 v12, v12, v34
	v_sub_f32_e32 v34, v35, v38
	;; [unrolled: 1-line block ×3, first 2 shown]
	s_delay_alu instid0(VALU_DEP_3) | instskip(NEXT) | instid1(VALU_DEP_2)
	v_add_f32_e32 v35, v11, v12
	v_add_f32_e32 v31, v34, v31
	s_delay_alu instid0(VALU_DEP_2) | instskip(NEXT) | instid1(VALU_DEP_2)
	v_sub_f32_e32 v34, v35, v11
	v_add_f32_e32 v31, v35, v31
	s_delay_alu instid0(VALU_DEP_2) | instskip(SKIP_1) | instid1(VALU_DEP_3)
	v_sub_f32_e32 v35, v35, v34
	v_sub_f32_e32 v12, v12, v34
	v_add_f32_e32 v37, v36, v31
	s_delay_alu instid0(VALU_DEP_1) | instskip(NEXT) | instid1(VALU_DEP_1)
	v_dual_sub_f32 v11, v11, v35 :: v_dual_sub_f32 v34, v37, v36
	v_dual_add_f32 v11, v12, v11 :: v_dual_sub_f32 v12, v31, v34
	s_delay_alu instid0(VALU_DEP_1) | instskip(NEXT) | instid1(VALU_DEP_1)
	v_add_f32_e32 v11, v11, v12
	v_add_f32_e32 v11, v37, v11
	s_delay_alu instid0(VALU_DEP_1) | instskip(NEXT) | instid1(VALU_DEP_1)
	v_cndmask_b32_e32 v9, v11, v9, vcc_lo
	v_add_f32_e32 v9, v5, v9
.LBB126_102:
	s_or_b32 exec_lo, exec_lo, s9
	s_delay_alu instid0(VALU_DEP_1)
	v_mov_b32_e32 v12, v9
.LBB126_103:
	s_or_b32 exec_lo, exec_lo, s8
	v_mov_b32_e32 v5, 0
	s_mov_b32 s8, 0x3e9b6dac
	s_branch .LBB126_105
.LBB126_104:                            ;   in Loop: Header=BB126_105 Depth=1
	s_or_b32 exec_lo, exec_lo, s9
	v_subrev_nc_u32_e32 v4, 32, v4
.LBB126_105:                            ; =>This Loop Header: Depth=1
                                        ;     Child Loop BB126_108 Depth 2
                                        ;       Child Loop BB126_109 Depth 3
	s_waitcnt lgkmcnt(0)
	v_and_b32_e32 v9, 0xff, v10
	v_mov_b32_e32 v31, v12
	s_delay_alu instid0(VALU_DEP_2) | instskip(SKIP_2) | instid1(VALU_DEP_1)
	v_cmp_ne_u16_e32 vcc_lo, 2, v9
	v_cndmask_b32_e64 v9, 0, 1, vcc_lo
	;;#ASMSTART
	;;#ASMEND
	v_cmp_ne_u32_e32 vcc_lo, 0, v9
	s_cmp_lg_u32 vcc_lo, exec_lo
	s_cbranch_scc1 .LBB126_134
; %bb.106:                              ;   in Loop: Header=BB126_105 Depth=1
	v_lshlrev_b64 v[9:10], 3, v[4:5]
	s_mov_b32 s9, exec_lo
	s_delay_alu instid0(VALU_DEP_1) | instskip(NEXT) | instid1(VALU_DEP_2)
	v_add_co_u32 v11, vcc_lo, s10, v9
	v_add_co_ci_u32_e32 v12, vcc_lo, s11, v10, vcc_lo
	global_load_b64 v[9:10], v[11:12], off glc
	s_waitcnt vmcnt(0)
	v_and_b32_e32 v34, 0xff, v10
	s_delay_alu instid0(VALU_DEP_1)
	v_cmpx_eq_u16_e32 0, v34
	s_cbranch_execz .LBB126_112
; %bb.107:                              ;   in Loop: Header=BB126_105 Depth=1
	s_mov_b32 s31, 1
	s_mov_b32 s30, 0
	.p2align	6
.LBB126_108:                            ;   Parent Loop BB126_105 Depth=1
                                        ; =>  This Loop Header: Depth=2
                                        ;       Child Loop BB126_109 Depth 3
	s_max_u32 s33, s31, 1
.LBB126_109:                            ;   Parent Loop BB126_105 Depth=1
                                        ;     Parent Loop BB126_108 Depth=2
                                        ; =>    This Inner Loop Header: Depth=3
	s_delay_alu instid0(SALU_CYCLE_1)
	s_add_i32 s33, s33, -1
	s_sleep 1
	s_cmp_eq_u32 s33, 0
	s_cbranch_scc0 .LBB126_109
; %bb.110:                              ;   in Loop: Header=BB126_108 Depth=2
	global_load_b64 v[9:10], v[11:12], off glc
	s_cmp_lt_u32 s31, 32
	s_cselect_b32 s33, -1, 0
	s_delay_alu instid0(SALU_CYCLE_1) | instskip(SKIP_3) | instid1(VALU_DEP_1)
	s_cmp_lg_u32 s33, 0
	s_addc_u32 s31, s31, 0
	s_waitcnt vmcnt(0)
	v_and_b32_e32 v34, 0xff, v10
	v_cmp_ne_u16_e32 vcc_lo, 0, v34
	s_or_b32 s30, vcc_lo, s30
	s_delay_alu instid0(SALU_CYCLE_1)
	s_and_not1_b32 exec_lo, exec_lo, s30
	s_cbranch_execnz .LBB126_108
; %bb.111:                              ;   in Loop: Header=BB126_105 Depth=1
	s_or_b32 exec_lo, exec_lo, s30
.LBB126_112:                            ;   in Loop: Header=BB126_105 Depth=1
	s_delay_alu instid0(SALU_CYCLE_1)
	s_or_b32 exec_lo, exec_lo, s9
	v_dual_mov_b32 v12, v9 :: v_dual_and_b32 v11, 0xff, v10
	ds_bpermute_b32 v34, v6, v9
	s_mov_b32 s9, exec_lo
	v_cmp_eq_u16_e32 vcc_lo, 2, v11
	v_and_or_b32 v11, vcc_lo, v24, 0x80000000
	s_delay_alu instid0(VALU_DEP_1) | instskip(NEXT) | instid1(VALU_DEP_1)
	v_ctz_i32_b32_e32 v11, v11
	v_cmpx_lt_u32_e64 v23, v11
	s_cbranch_execz .LBB126_116
; %bb.113:                              ;   in Loop: Header=BB126_105 Depth=1
	s_waitcnt lgkmcnt(0)
	v_dual_max_f32 v12, v9, v9 :: v_dual_max_f32 v35, v34, v34
	v_cmp_u_f32_e32 vcc_lo, v34, v34
	s_delay_alu instid0(VALU_DEP_2) | instskip(NEXT) | instid1(VALU_DEP_1)
	v_min_f32_e32 v36, v35, v12
	v_dual_max_f32 v12, v35, v12 :: v_dual_cndmask_b32 v35, v36, v34
	s_delay_alu instid0(VALU_DEP_1) | instskip(SKIP_1) | instid1(VALU_DEP_3)
	v_cndmask_b32_e32 v36, v12, v34, vcc_lo
	v_cmp_u_f32_e32 vcc_lo, v9, v9
	v_cndmask_b32_e32 v12, v35, v9, vcc_lo
	s_delay_alu instid0(VALU_DEP_3) | instskip(NEXT) | instid1(VALU_DEP_2)
	v_cndmask_b32_e32 v9, v36, v9, vcc_lo
	v_cmp_class_f32_e64 s30, v12, 0x1f8
	s_delay_alu instid0(VALU_DEP_2) | instskip(NEXT) | instid1(VALU_DEP_2)
	v_cmp_neq_f32_e32 vcc_lo, v12, v9
	s_or_b32 s31, vcc_lo, s30
	s_delay_alu instid0(SALU_CYCLE_1)
	s_and_saveexec_b32 s30, s31
	s_cbranch_execz .LBB126_115
; %bb.114:                              ;   in Loop: Header=BB126_105 Depth=1
	v_sub_f32_e32 v12, v12, v9
	s_delay_alu instid0(VALU_DEP_1) | instskip(SKIP_1) | instid1(VALU_DEP_2)
	v_mul_f32_e32 v34, 0x3fb8aa3b, v12
	v_cmp_ngt_f32_e32 vcc_lo, 0xc2ce8ed0, v12
	v_fma_f32 v35, 0x3fb8aa3b, v12, -v34
	v_rndne_f32_e32 v36, v34
	s_delay_alu instid0(VALU_DEP_2) | instskip(NEXT) | instid1(VALU_DEP_2)
	v_fmac_f32_e32 v35, 0x32a5705f, v12
	v_sub_f32_e32 v34, v34, v36
	s_delay_alu instid0(VALU_DEP_1) | instskip(SKIP_1) | instid1(VALU_DEP_2)
	v_add_f32_e32 v34, v34, v35
	v_cvt_i32_f32_e32 v35, v36
	v_exp_f32_e32 v34, v34
	s_waitcnt_depctr 0xfff
	v_ldexp_f32 v34, v34, v35
	s_delay_alu instid0(VALU_DEP_1) | instskip(SKIP_1) | instid1(VALU_DEP_2)
	v_cndmask_b32_e32 v34, 0, v34, vcc_lo
	v_cmp_nlt_f32_e32 vcc_lo, 0x42b17218, v12
	v_cndmask_b32_e32 v12, 0x7f800000, v34, vcc_lo
	s_delay_alu instid0(VALU_DEP_1) | instskip(NEXT) | instid1(VALU_DEP_1)
	v_add_f32_e32 v36, 1.0, v12
	v_cvt_f64_f32_e32 v[34:35], v36
	s_delay_alu instid0(VALU_DEP_1) | instskip(SKIP_1) | instid1(VALU_DEP_1)
	v_frexp_exp_i32_f64_e32 v34, v[34:35]
	v_frexp_mant_f32_e32 v35, v36
	v_cmp_gt_f32_e32 vcc_lo, 0x3f2aaaab, v35
	v_add_f32_e32 v35, -1.0, v36
	s_delay_alu instid0(VALU_DEP_1) | instskip(NEXT) | instid1(VALU_DEP_1)
	v_dual_sub_f32 v38, v35, v36 :: v_dual_sub_f32 v35, v12, v35
	v_add_f32_e32 v38, 1.0, v38
	s_delay_alu instid0(VALU_DEP_1) | instskip(SKIP_1) | instid1(VALU_DEP_1)
	v_add_f32_e32 v35, v35, v38
	v_subrev_co_ci_u32_e32 v34, vcc_lo, 0, v34, vcc_lo
	v_sub_nc_u32_e32 v37, 0, v34
	v_cvt_f32_i32_e32 v34, v34
	s_delay_alu instid0(VALU_DEP_2) | instskip(SKIP_1) | instid1(VALU_DEP_2)
	v_ldexp_f32 v36, v36, v37
	v_ldexp_f32 v35, v35, v37
	v_add_f32_e32 v39, 1.0, v36
	v_add_f32_e32 v37, -1.0, v36
	v_cmp_eq_f32_e32 vcc_lo, 0x7f800000, v12
	v_cmp_gt_f32_e64 s31, 0x33800000, |v12|
	s_delay_alu instid0(VALU_DEP_4) | instskip(NEXT) | instid1(VALU_DEP_4)
	v_add_f32_e32 v38, -1.0, v39
	v_add_f32_e32 v40, 1.0, v37
	s_delay_alu instid0(VALU_DEP_3) | instskip(NEXT) | instid1(VALU_DEP_2)
	s_or_b32 vcc_lo, vcc_lo, s31
	v_sub_f32_e32 v38, v36, v38
	s_delay_alu instid0(VALU_DEP_2) | instskip(NEXT) | instid1(VALU_DEP_2)
	v_sub_f32_e32 v36, v36, v40
	v_add_f32_e32 v38, v35, v38
	s_delay_alu instid0(VALU_DEP_2) | instskip(NEXT) | instid1(VALU_DEP_1)
	v_add_f32_e32 v35, v35, v36
	v_add_f32_e32 v41, v37, v35
	s_delay_alu instid0(VALU_DEP_1) | instskip(NEXT) | instid1(VALU_DEP_1)
	v_dual_sub_f32 v37, v37, v41 :: v_dual_add_f32 v40, v39, v38
	v_add_f32_e32 v35, v35, v37
	s_delay_alu instid0(VALU_DEP_2) | instskip(SKIP_1) | instid1(VALU_DEP_1)
	v_rcp_f32_e32 v36, v40
	v_sub_f32_e32 v39, v39, v40
	v_add_f32_e32 v38, v38, v39
	s_waitcnt_depctr 0xfff
	v_mul_f32_e32 v42, v41, v36
	s_delay_alu instid0(VALU_DEP_1) | instskip(NEXT) | instid1(VALU_DEP_1)
	v_mul_f32_e32 v43, v40, v42
	v_fma_f32 v39, v42, v40, -v43
	s_delay_alu instid0(VALU_DEP_1) | instskip(NEXT) | instid1(VALU_DEP_1)
	v_fmac_f32_e32 v39, v42, v38
	v_add_f32_e32 v44, v43, v39
	s_delay_alu instid0(VALU_DEP_1) | instskip(SKIP_1) | instid1(VALU_DEP_2)
	v_sub_f32_e32 v45, v41, v44
	v_sub_f32_e32 v37, v44, v43
	;; [unrolled: 1-line block ×3, first 2 shown]
	s_delay_alu instid0(VALU_DEP_1) | instskip(NEXT) | instid1(VALU_DEP_3)
	v_sub_f32_e32 v41, v41, v44
	v_sub_f32_e32 v37, v37, v39
	s_delay_alu instid0(VALU_DEP_2) | instskip(NEXT) | instid1(VALU_DEP_1)
	v_add_f32_e32 v35, v35, v41
	v_add_f32_e32 v35, v37, v35
	s_delay_alu instid0(VALU_DEP_1) | instskip(NEXT) | instid1(VALU_DEP_1)
	v_add_f32_e32 v37, v45, v35
	v_mul_f32_e32 v39, v36, v37
	s_delay_alu instid0(VALU_DEP_1) | instskip(NEXT) | instid1(VALU_DEP_1)
	v_dual_sub_f32 v44, v45, v37 :: v_dual_mul_f32 v41, v40, v39
	v_add_f32_e32 v35, v35, v44
	s_delay_alu instid0(VALU_DEP_2) | instskip(NEXT) | instid1(VALU_DEP_1)
	v_fma_f32 v40, v39, v40, -v41
	v_fmac_f32_e32 v40, v39, v38
	s_delay_alu instid0(VALU_DEP_1) | instskip(NEXT) | instid1(VALU_DEP_1)
	v_add_f32_e32 v38, v41, v40
	v_sub_f32_e32 v43, v37, v38
	s_delay_alu instid0(VALU_DEP_1) | instskip(NEXT) | instid1(VALU_DEP_1)
	v_sub_f32_e32 v37, v37, v43
	v_sub_f32_e32 v37, v37, v38
	s_delay_alu instid0(VALU_DEP_1) | instskip(SKIP_2) | instid1(VALU_DEP_1)
	v_add_f32_e32 v35, v35, v37
	v_add_f32_e32 v37, v42, v39
	v_sub_f32_e32 v41, v38, v41
	v_sub_f32_e32 v38, v41, v40
	s_delay_alu instid0(VALU_DEP_1) | instskip(NEXT) | instid1(VALU_DEP_1)
	v_dual_add_f32 v35, v38, v35 :: v_dual_sub_f32 v38, v37, v42
	v_add_f32_e32 v35, v43, v35
	s_delay_alu instid0(VALU_DEP_1) | instskip(NEXT) | instid1(VALU_DEP_1)
	v_dual_sub_f32 v38, v39, v38 :: v_dual_mul_f32 v35, v36, v35
	v_add_f32_e32 v35, v38, v35
	s_delay_alu instid0(VALU_DEP_1) | instskip(NEXT) | instid1(VALU_DEP_1)
	v_add_f32_e32 v36, v37, v35
	v_mul_f32_e32 v38, v36, v36
	s_delay_alu instid0(VALU_DEP_1) | instskip(SKIP_1) | instid1(VALU_DEP_2)
	v_fmaak_f32 v39, s8, v38, 0x3ecc95a3
	v_mul_f32_e32 v40, v36, v38
	v_fmaak_f32 v38, v38, v39, 0x3f2aaada
	v_ldexp_f32 v39, v36, 1
	s_delay_alu instid0(VALU_DEP_2) | instskip(SKIP_1) | instid1(VALU_DEP_2)
	v_mul_f32_e32 v38, v40, v38
	v_mul_f32_e32 v40, 0x3f317218, v34
	v_dual_sub_f32 v36, v36, v37 :: v_dual_add_f32 v37, v39, v38
	s_delay_alu instid0(VALU_DEP_1) | instskip(NEXT) | instid1(VALU_DEP_3)
	v_dual_sub_f32 v35, v35, v36 :: v_dual_sub_f32 v36, v37, v39
	v_fma_f32 v39, 0x3f317218, v34, -v40
	s_delay_alu instid0(VALU_DEP_2) | instskip(NEXT) | instid1(VALU_DEP_2)
	v_ldexp_f32 v35, v35, 1
	v_dual_sub_f32 v36, v38, v36 :: v_dual_fmac_f32 v39, 0xb102e308, v34
	s_delay_alu instid0(VALU_DEP_1) | instskip(NEXT) | instid1(VALU_DEP_1)
	v_dual_add_f32 v34, v35, v36 :: v_dual_add_f32 v35, v40, v39
	v_add_f32_e32 v36, v37, v34
	s_delay_alu instid0(VALU_DEP_1) | instskip(NEXT) | instid1(VALU_DEP_1)
	v_add_f32_e32 v38, v35, v36
	v_sub_f32_e32 v41, v38, v35
	s_delay_alu instid0(VALU_DEP_1) | instskip(SKIP_1) | instid1(VALU_DEP_1)
	v_sub_f32_e32 v42, v38, v41
	v_sub_f32_e32 v37, v36, v37
	;; [unrolled: 1-line block ×4, first 2 shown]
	s_delay_alu instid0(VALU_DEP_1) | instskip(NEXT) | instid1(VALU_DEP_1)
	v_dual_sub_f32 v36, v36, v41 :: v_dual_sub_f32 v39, v39, v40
	v_add_f32_e32 v37, v39, v34
	v_sub_f32_e32 v35, v35, v42
	s_delay_alu instid0(VALU_DEP_1) | instskip(NEXT) | instid1(VALU_DEP_3)
	v_add_f32_e32 v35, v36, v35
	v_sub_f32_e32 v36, v37, v39
	s_delay_alu instid0(VALU_DEP_1) | instskip(NEXT) | instid1(VALU_DEP_1)
	v_dual_sub_f32 v34, v34, v36 :: v_dual_add_f32 v35, v37, v35
	v_dual_sub_f32 v37, v37, v36 :: v_dual_add_f32 v40, v38, v35
	s_delay_alu instid0(VALU_DEP_1) | instskip(NEXT) | instid1(VALU_DEP_1)
	v_dual_sub_f32 v36, v40, v38 :: v_dual_sub_f32 v37, v39, v37
	v_dual_sub_f32 v35, v35, v36 :: v_dual_add_f32 v34, v34, v37
	s_delay_alu instid0(VALU_DEP_1) | instskip(NEXT) | instid1(VALU_DEP_1)
	v_add_f32_e32 v34, v34, v35
	v_add_f32_e32 v34, v40, v34
	s_delay_alu instid0(VALU_DEP_1) | instskip(NEXT) | instid1(VALU_DEP_1)
	v_cndmask_b32_e32 v12, v34, v12, vcc_lo
	v_add_f32_e32 v34, v9, v12
.LBB126_115:                            ;   in Loop: Header=BB126_105 Depth=1
	s_or_b32 exec_lo, exec_lo, s30
	s_delay_alu instid0(VALU_DEP_1)
	v_mov_b32_e32 v9, v34
	v_mov_b32_e32 v12, v34
.LBB126_116:                            ;   in Loop: Header=BB126_105 Depth=1
	s_or_b32 exec_lo, exec_lo, s9
	s_waitcnt lgkmcnt(0)
	ds_bpermute_b32 v34, v25, v9
	s_mov_b32 s9, exec_lo
	v_cmpx_le_u32_e64 v26, v11
	s_cbranch_execz .LBB126_120
; %bb.117:                              ;   in Loop: Header=BB126_105 Depth=1
	v_max_f32_e32 v9, v12, v12
	s_waitcnt lgkmcnt(0)
	v_max_f32_e32 v35, v34, v34
	v_cmp_u_f32_e32 vcc_lo, v34, v34
	s_delay_alu instid0(VALU_DEP_2) | instskip(SKIP_1) | instid1(VALU_DEP_1)
	v_min_f32_e32 v36, v35, v9
	v_max_f32_e32 v9, v35, v9
	v_cndmask_b32_e32 v9, v9, v34, vcc_lo
	s_delay_alu instid0(VALU_DEP_3) | instskip(SKIP_1) | instid1(VALU_DEP_2)
	v_cndmask_b32_e32 v35, v36, v34, vcc_lo
	v_cmp_u_f32_e32 vcc_lo, v12, v12
	v_cndmask_b32_e32 v35, v35, v12, vcc_lo
	s_delay_alu instid0(VALU_DEP_4) | instskip(NEXT) | instid1(VALU_DEP_2)
	v_cndmask_b32_e32 v9, v9, v12, vcc_lo
	v_cmp_class_f32_e64 s30, v35, 0x1f8
	s_delay_alu instid0(VALU_DEP_2) | instskip(NEXT) | instid1(VALU_DEP_2)
	v_cmp_neq_f32_e32 vcc_lo, v35, v9
	s_or_b32 s31, vcc_lo, s30
	s_delay_alu instid0(SALU_CYCLE_1)
	s_and_saveexec_b32 s30, s31
	s_cbranch_execz .LBB126_119
; %bb.118:                              ;   in Loop: Header=BB126_105 Depth=1
	v_sub_f32_e32 v12, v35, v9
	s_delay_alu instid0(VALU_DEP_1) | instskip(SKIP_1) | instid1(VALU_DEP_2)
	v_mul_f32_e32 v34, 0x3fb8aa3b, v12
	v_cmp_ngt_f32_e32 vcc_lo, 0xc2ce8ed0, v12
	v_fma_f32 v35, 0x3fb8aa3b, v12, -v34
	v_rndne_f32_e32 v36, v34
	s_delay_alu instid0(VALU_DEP_2) | instskip(NEXT) | instid1(VALU_DEP_2)
	v_fmac_f32_e32 v35, 0x32a5705f, v12
	v_sub_f32_e32 v34, v34, v36
	s_delay_alu instid0(VALU_DEP_1) | instskip(SKIP_1) | instid1(VALU_DEP_2)
	v_add_f32_e32 v34, v34, v35
	v_cvt_i32_f32_e32 v35, v36
	v_exp_f32_e32 v34, v34
	s_waitcnt_depctr 0xfff
	v_ldexp_f32 v34, v34, v35
	s_delay_alu instid0(VALU_DEP_1) | instskip(SKIP_1) | instid1(VALU_DEP_2)
	v_cndmask_b32_e32 v34, 0, v34, vcc_lo
	v_cmp_nlt_f32_e32 vcc_lo, 0x42b17218, v12
	v_cndmask_b32_e32 v12, 0x7f800000, v34, vcc_lo
	s_delay_alu instid0(VALU_DEP_1) | instskip(NEXT) | instid1(VALU_DEP_1)
	v_add_f32_e32 v36, 1.0, v12
	v_cvt_f64_f32_e32 v[34:35], v36
	s_delay_alu instid0(VALU_DEP_1) | instskip(SKIP_1) | instid1(VALU_DEP_1)
	v_frexp_exp_i32_f64_e32 v34, v[34:35]
	v_frexp_mant_f32_e32 v35, v36
	v_cmp_gt_f32_e32 vcc_lo, 0x3f2aaaab, v35
	v_add_f32_e32 v35, -1.0, v36
	s_delay_alu instid0(VALU_DEP_1) | instskip(NEXT) | instid1(VALU_DEP_1)
	v_dual_sub_f32 v38, v35, v36 :: v_dual_sub_f32 v35, v12, v35
	v_add_f32_e32 v38, 1.0, v38
	s_delay_alu instid0(VALU_DEP_1) | instskip(SKIP_1) | instid1(VALU_DEP_1)
	v_add_f32_e32 v35, v35, v38
	v_subrev_co_ci_u32_e32 v34, vcc_lo, 0, v34, vcc_lo
	v_sub_nc_u32_e32 v37, 0, v34
	v_cvt_f32_i32_e32 v34, v34
	s_delay_alu instid0(VALU_DEP_2) | instskip(SKIP_1) | instid1(VALU_DEP_2)
	v_ldexp_f32 v36, v36, v37
	v_ldexp_f32 v35, v35, v37
	v_add_f32_e32 v39, 1.0, v36
	v_add_f32_e32 v37, -1.0, v36
	v_cmp_eq_f32_e32 vcc_lo, 0x7f800000, v12
	v_cmp_gt_f32_e64 s31, 0x33800000, |v12|
	s_delay_alu instid0(VALU_DEP_4) | instskip(NEXT) | instid1(VALU_DEP_4)
	v_add_f32_e32 v38, -1.0, v39
	v_add_f32_e32 v40, 1.0, v37
	s_delay_alu instid0(VALU_DEP_3) | instskip(NEXT) | instid1(VALU_DEP_2)
	s_or_b32 vcc_lo, vcc_lo, s31
	v_sub_f32_e32 v38, v36, v38
	s_delay_alu instid0(VALU_DEP_2) | instskip(NEXT) | instid1(VALU_DEP_2)
	v_sub_f32_e32 v36, v36, v40
	v_add_f32_e32 v38, v35, v38
	s_delay_alu instid0(VALU_DEP_2) | instskip(NEXT) | instid1(VALU_DEP_1)
	v_add_f32_e32 v35, v35, v36
	v_add_f32_e32 v41, v37, v35
	s_delay_alu instid0(VALU_DEP_1) | instskip(NEXT) | instid1(VALU_DEP_1)
	v_dual_sub_f32 v37, v37, v41 :: v_dual_add_f32 v40, v39, v38
	v_add_f32_e32 v35, v35, v37
	s_delay_alu instid0(VALU_DEP_2) | instskip(SKIP_1) | instid1(VALU_DEP_1)
	v_rcp_f32_e32 v36, v40
	v_sub_f32_e32 v39, v39, v40
	v_add_f32_e32 v38, v38, v39
	s_waitcnt_depctr 0xfff
	v_mul_f32_e32 v42, v41, v36
	s_delay_alu instid0(VALU_DEP_1) | instskip(NEXT) | instid1(VALU_DEP_1)
	v_mul_f32_e32 v43, v40, v42
	v_fma_f32 v39, v42, v40, -v43
	s_delay_alu instid0(VALU_DEP_1) | instskip(NEXT) | instid1(VALU_DEP_1)
	v_fmac_f32_e32 v39, v42, v38
	v_add_f32_e32 v44, v43, v39
	s_delay_alu instid0(VALU_DEP_1) | instskip(SKIP_1) | instid1(VALU_DEP_2)
	v_sub_f32_e32 v45, v41, v44
	v_sub_f32_e32 v37, v44, v43
	;; [unrolled: 1-line block ×3, first 2 shown]
	s_delay_alu instid0(VALU_DEP_1) | instskip(NEXT) | instid1(VALU_DEP_3)
	v_sub_f32_e32 v41, v41, v44
	v_sub_f32_e32 v37, v37, v39
	s_delay_alu instid0(VALU_DEP_2) | instskip(NEXT) | instid1(VALU_DEP_1)
	v_add_f32_e32 v35, v35, v41
	v_add_f32_e32 v35, v37, v35
	s_delay_alu instid0(VALU_DEP_1) | instskip(NEXT) | instid1(VALU_DEP_1)
	v_add_f32_e32 v37, v45, v35
	v_mul_f32_e32 v39, v36, v37
	s_delay_alu instid0(VALU_DEP_1) | instskip(NEXT) | instid1(VALU_DEP_1)
	v_dual_sub_f32 v44, v45, v37 :: v_dual_mul_f32 v41, v40, v39
	v_add_f32_e32 v35, v35, v44
	s_delay_alu instid0(VALU_DEP_2) | instskip(NEXT) | instid1(VALU_DEP_1)
	v_fma_f32 v40, v39, v40, -v41
	v_fmac_f32_e32 v40, v39, v38
	s_delay_alu instid0(VALU_DEP_1) | instskip(NEXT) | instid1(VALU_DEP_1)
	v_add_f32_e32 v38, v41, v40
	v_sub_f32_e32 v43, v37, v38
	s_delay_alu instid0(VALU_DEP_1) | instskip(NEXT) | instid1(VALU_DEP_1)
	v_sub_f32_e32 v37, v37, v43
	v_sub_f32_e32 v37, v37, v38
	s_delay_alu instid0(VALU_DEP_1) | instskip(SKIP_2) | instid1(VALU_DEP_1)
	v_add_f32_e32 v35, v35, v37
	v_add_f32_e32 v37, v42, v39
	v_sub_f32_e32 v41, v38, v41
	v_sub_f32_e32 v38, v41, v40
	s_delay_alu instid0(VALU_DEP_1) | instskip(NEXT) | instid1(VALU_DEP_1)
	v_dual_add_f32 v35, v38, v35 :: v_dual_sub_f32 v38, v37, v42
	v_add_f32_e32 v35, v43, v35
	s_delay_alu instid0(VALU_DEP_1) | instskip(NEXT) | instid1(VALU_DEP_1)
	v_dual_sub_f32 v38, v39, v38 :: v_dual_mul_f32 v35, v36, v35
	v_add_f32_e32 v35, v38, v35
	s_delay_alu instid0(VALU_DEP_1) | instskip(NEXT) | instid1(VALU_DEP_1)
	v_add_f32_e32 v36, v37, v35
	v_mul_f32_e32 v38, v36, v36
	s_delay_alu instid0(VALU_DEP_1) | instskip(SKIP_1) | instid1(VALU_DEP_2)
	v_fmaak_f32 v39, s8, v38, 0x3ecc95a3
	v_mul_f32_e32 v40, v36, v38
	v_fmaak_f32 v38, v38, v39, 0x3f2aaada
	v_ldexp_f32 v39, v36, 1
	s_delay_alu instid0(VALU_DEP_2) | instskip(SKIP_1) | instid1(VALU_DEP_2)
	v_mul_f32_e32 v38, v40, v38
	v_mul_f32_e32 v40, 0x3f317218, v34
	v_dual_sub_f32 v36, v36, v37 :: v_dual_add_f32 v37, v39, v38
	s_delay_alu instid0(VALU_DEP_1) | instskip(NEXT) | instid1(VALU_DEP_3)
	v_dual_sub_f32 v35, v35, v36 :: v_dual_sub_f32 v36, v37, v39
	v_fma_f32 v39, 0x3f317218, v34, -v40
	s_delay_alu instid0(VALU_DEP_2) | instskip(NEXT) | instid1(VALU_DEP_2)
	v_ldexp_f32 v35, v35, 1
	v_dual_sub_f32 v36, v38, v36 :: v_dual_fmac_f32 v39, 0xb102e308, v34
	s_delay_alu instid0(VALU_DEP_1) | instskip(NEXT) | instid1(VALU_DEP_1)
	v_dual_add_f32 v34, v35, v36 :: v_dual_add_f32 v35, v40, v39
	v_add_f32_e32 v36, v37, v34
	s_delay_alu instid0(VALU_DEP_1) | instskip(NEXT) | instid1(VALU_DEP_1)
	v_add_f32_e32 v38, v35, v36
	v_sub_f32_e32 v41, v38, v35
	s_delay_alu instid0(VALU_DEP_1) | instskip(SKIP_1) | instid1(VALU_DEP_1)
	v_sub_f32_e32 v42, v38, v41
	v_sub_f32_e32 v37, v36, v37
	;; [unrolled: 1-line block ×4, first 2 shown]
	s_delay_alu instid0(VALU_DEP_1) | instskip(NEXT) | instid1(VALU_DEP_1)
	v_dual_sub_f32 v36, v36, v41 :: v_dual_sub_f32 v39, v39, v40
	v_add_f32_e32 v37, v39, v34
	v_sub_f32_e32 v35, v35, v42
	s_delay_alu instid0(VALU_DEP_1) | instskip(NEXT) | instid1(VALU_DEP_3)
	v_add_f32_e32 v35, v36, v35
	v_sub_f32_e32 v36, v37, v39
	s_delay_alu instid0(VALU_DEP_1) | instskip(NEXT) | instid1(VALU_DEP_1)
	v_dual_sub_f32 v34, v34, v36 :: v_dual_add_f32 v35, v37, v35
	v_dual_sub_f32 v37, v37, v36 :: v_dual_add_f32 v40, v38, v35
	s_delay_alu instid0(VALU_DEP_1) | instskip(NEXT) | instid1(VALU_DEP_1)
	v_dual_sub_f32 v36, v40, v38 :: v_dual_sub_f32 v37, v39, v37
	v_dual_sub_f32 v35, v35, v36 :: v_dual_add_f32 v34, v34, v37
	s_delay_alu instid0(VALU_DEP_1) | instskip(NEXT) | instid1(VALU_DEP_1)
	v_add_f32_e32 v34, v34, v35
	v_add_f32_e32 v34, v40, v34
	s_delay_alu instid0(VALU_DEP_1) | instskip(NEXT) | instid1(VALU_DEP_1)
	v_cndmask_b32_e32 v12, v34, v12, vcc_lo
	v_add_f32_e32 v34, v9, v12
.LBB126_119:                            ;   in Loop: Header=BB126_105 Depth=1
	s_or_b32 exec_lo, exec_lo, s30
	s_delay_alu instid0(VALU_DEP_1)
	v_mov_b32_e32 v9, v34
	v_mov_b32_e32 v12, v34
.LBB126_120:                            ;   in Loop: Header=BB126_105 Depth=1
	s_or_b32 exec_lo, exec_lo, s9
	s_waitcnt lgkmcnt(0)
	ds_bpermute_b32 v34, v27, v9
	s_mov_b32 s9, exec_lo
	v_cmpx_le_u32_e64 v28, v11
	s_cbranch_execz .LBB126_124
; %bb.121:                              ;   in Loop: Header=BB126_105 Depth=1
	v_max_f32_e32 v9, v12, v12
	s_waitcnt lgkmcnt(0)
	v_max_f32_e32 v35, v34, v34
	v_cmp_u_f32_e32 vcc_lo, v34, v34
	s_delay_alu instid0(VALU_DEP_2) | instskip(SKIP_1) | instid1(VALU_DEP_1)
	v_min_f32_e32 v36, v35, v9
	v_max_f32_e32 v9, v35, v9
	v_cndmask_b32_e32 v9, v9, v34, vcc_lo
	s_delay_alu instid0(VALU_DEP_3) | instskip(SKIP_1) | instid1(VALU_DEP_2)
	v_cndmask_b32_e32 v35, v36, v34, vcc_lo
	v_cmp_u_f32_e32 vcc_lo, v12, v12
	v_cndmask_b32_e32 v35, v35, v12, vcc_lo
	s_delay_alu instid0(VALU_DEP_4) | instskip(NEXT) | instid1(VALU_DEP_2)
	v_cndmask_b32_e32 v9, v9, v12, vcc_lo
	v_cmp_class_f32_e64 s30, v35, 0x1f8
	s_delay_alu instid0(VALU_DEP_2) | instskip(NEXT) | instid1(VALU_DEP_2)
	v_cmp_neq_f32_e32 vcc_lo, v35, v9
	s_or_b32 s31, vcc_lo, s30
	s_delay_alu instid0(SALU_CYCLE_1)
	s_and_saveexec_b32 s30, s31
	s_cbranch_execz .LBB126_123
; %bb.122:                              ;   in Loop: Header=BB126_105 Depth=1
	v_sub_f32_e32 v12, v35, v9
	s_delay_alu instid0(VALU_DEP_1) | instskip(SKIP_1) | instid1(VALU_DEP_2)
	v_mul_f32_e32 v34, 0x3fb8aa3b, v12
	v_cmp_ngt_f32_e32 vcc_lo, 0xc2ce8ed0, v12
	v_fma_f32 v35, 0x3fb8aa3b, v12, -v34
	v_rndne_f32_e32 v36, v34
	s_delay_alu instid0(VALU_DEP_2) | instskip(NEXT) | instid1(VALU_DEP_2)
	v_fmac_f32_e32 v35, 0x32a5705f, v12
	v_sub_f32_e32 v34, v34, v36
	s_delay_alu instid0(VALU_DEP_1) | instskip(SKIP_1) | instid1(VALU_DEP_2)
	v_add_f32_e32 v34, v34, v35
	v_cvt_i32_f32_e32 v35, v36
	v_exp_f32_e32 v34, v34
	s_waitcnt_depctr 0xfff
	v_ldexp_f32 v34, v34, v35
	s_delay_alu instid0(VALU_DEP_1) | instskip(SKIP_1) | instid1(VALU_DEP_2)
	v_cndmask_b32_e32 v34, 0, v34, vcc_lo
	v_cmp_nlt_f32_e32 vcc_lo, 0x42b17218, v12
	v_cndmask_b32_e32 v12, 0x7f800000, v34, vcc_lo
	s_delay_alu instid0(VALU_DEP_1) | instskip(NEXT) | instid1(VALU_DEP_1)
	v_add_f32_e32 v36, 1.0, v12
	v_cvt_f64_f32_e32 v[34:35], v36
	s_delay_alu instid0(VALU_DEP_1) | instskip(SKIP_1) | instid1(VALU_DEP_1)
	v_frexp_exp_i32_f64_e32 v34, v[34:35]
	v_frexp_mant_f32_e32 v35, v36
	v_cmp_gt_f32_e32 vcc_lo, 0x3f2aaaab, v35
	v_add_f32_e32 v35, -1.0, v36
	s_delay_alu instid0(VALU_DEP_1) | instskip(NEXT) | instid1(VALU_DEP_1)
	v_dual_sub_f32 v38, v35, v36 :: v_dual_sub_f32 v35, v12, v35
	v_add_f32_e32 v38, 1.0, v38
	s_delay_alu instid0(VALU_DEP_1) | instskip(SKIP_1) | instid1(VALU_DEP_1)
	v_add_f32_e32 v35, v35, v38
	v_subrev_co_ci_u32_e32 v34, vcc_lo, 0, v34, vcc_lo
	v_sub_nc_u32_e32 v37, 0, v34
	v_cvt_f32_i32_e32 v34, v34
	s_delay_alu instid0(VALU_DEP_2) | instskip(SKIP_1) | instid1(VALU_DEP_2)
	v_ldexp_f32 v36, v36, v37
	v_ldexp_f32 v35, v35, v37
	v_add_f32_e32 v39, 1.0, v36
	v_add_f32_e32 v37, -1.0, v36
	v_cmp_eq_f32_e32 vcc_lo, 0x7f800000, v12
	v_cmp_gt_f32_e64 s31, 0x33800000, |v12|
	s_delay_alu instid0(VALU_DEP_4) | instskip(NEXT) | instid1(VALU_DEP_4)
	v_add_f32_e32 v38, -1.0, v39
	v_add_f32_e32 v40, 1.0, v37
	s_delay_alu instid0(VALU_DEP_3) | instskip(NEXT) | instid1(VALU_DEP_2)
	s_or_b32 vcc_lo, vcc_lo, s31
	v_sub_f32_e32 v38, v36, v38
	s_delay_alu instid0(VALU_DEP_2) | instskip(NEXT) | instid1(VALU_DEP_2)
	v_sub_f32_e32 v36, v36, v40
	v_add_f32_e32 v38, v35, v38
	s_delay_alu instid0(VALU_DEP_2) | instskip(NEXT) | instid1(VALU_DEP_1)
	v_add_f32_e32 v35, v35, v36
	v_add_f32_e32 v41, v37, v35
	s_delay_alu instid0(VALU_DEP_1) | instskip(NEXT) | instid1(VALU_DEP_1)
	v_dual_sub_f32 v37, v37, v41 :: v_dual_add_f32 v40, v39, v38
	v_add_f32_e32 v35, v35, v37
	s_delay_alu instid0(VALU_DEP_2) | instskip(SKIP_1) | instid1(VALU_DEP_1)
	v_rcp_f32_e32 v36, v40
	v_sub_f32_e32 v39, v39, v40
	v_add_f32_e32 v38, v38, v39
	s_waitcnt_depctr 0xfff
	v_mul_f32_e32 v42, v41, v36
	s_delay_alu instid0(VALU_DEP_1) | instskip(NEXT) | instid1(VALU_DEP_1)
	v_mul_f32_e32 v43, v40, v42
	v_fma_f32 v39, v42, v40, -v43
	s_delay_alu instid0(VALU_DEP_1) | instskip(NEXT) | instid1(VALU_DEP_1)
	v_fmac_f32_e32 v39, v42, v38
	v_add_f32_e32 v44, v43, v39
	s_delay_alu instid0(VALU_DEP_1) | instskip(SKIP_1) | instid1(VALU_DEP_2)
	v_sub_f32_e32 v45, v41, v44
	v_sub_f32_e32 v37, v44, v43
	;; [unrolled: 1-line block ×3, first 2 shown]
	s_delay_alu instid0(VALU_DEP_1) | instskip(NEXT) | instid1(VALU_DEP_3)
	v_sub_f32_e32 v41, v41, v44
	v_sub_f32_e32 v37, v37, v39
	s_delay_alu instid0(VALU_DEP_2) | instskip(NEXT) | instid1(VALU_DEP_1)
	v_add_f32_e32 v35, v35, v41
	v_add_f32_e32 v35, v37, v35
	s_delay_alu instid0(VALU_DEP_1) | instskip(NEXT) | instid1(VALU_DEP_1)
	v_add_f32_e32 v37, v45, v35
	v_mul_f32_e32 v39, v36, v37
	s_delay_alu instid0(VALU_DEP_1) | instskip(NEXT) | instid1(VALU_DEP_1)
	v_dual_sub_f32 v44, v45, v37 :: v_dual_mul_f32 v41, v40, v39
	v_add_f32_e32 v35, v35, v44
	s_delay_alu instid0(VALU_DEP_2) | instskip(NEXT) | instid1(VALU_DEP_1)
	v_fma_f32 v40, v39, v40, -v41
	v_fmac_f32_e32 v40, v39, v38
	s_delay_alu instid0(VALU_DEP_1) | instskip(NEXT) | instid1(VALU_DEP_1)
	v_add_f32_e32 v38, v41, v40
	v_sub_f32_e32 v43, v37, v38
	s_delay_alu instid0(VALU_DEP_1) | instskip(NEXT) | instid1(VALU_DEP_1)
	v_sub_f32_e32 v37, v37, v43
	v_sub_f32_e32 v37, v37, v38
	s_delay_alu instid0(VALU_DEP_1) | instskip(SKIP_2) | instid1(VALU_DEP_1)
	v_add_f32_e32 v35, v35, v37
	v_add_f32_e32 v37, v42, v39
	v_sub_f32_e32 v41, v38, v41
	v_sub_f32_e32 v38, v41, v40
	s_delay_alu instid0(VALU_DEP_1) | instskip(NEXT) | instid1(VALU_DEP_1)
	v_dual_add_f32 v35, v38, v35 :: v_dual_sub_f32 v38, v37, v42
	v_add_f32_e32 v35, v43, v35
	s_delay_alu instid0(VALU_DEP_1) | instskip(NEXT) | instid1(VALU_DEP_1)
	v_dual_sub_f32 v38, v39, v38 :: v_dual_mul_f32 v35, v36, v35
	v_add_f32_e32 v35, v38, v35
	s_delay_alu instid0(VALU_DEP_1) | instskip(NEXT) | instid1(VALU_DEP_1)
	v_add_f32_e32 v36, v37, v35
	v_mul_f32_e32 v38, v36, v36
	s_delay_alu instid0(VALU_DEP_1) | instskip(SKIP_1) | instid1(VALU_DEP_2)
	v_fmaak_f32 v39, s8, v38, 0x3ecc95a3
	v_mul_f32_e32 v40, v36, v38
	v_fmaak_f32 v38, v38, v39, 0x3f2aaada
	v_ldexp_f32 v39, v36, 1
	s_delay_alu instid0(VALU_DEP_2) | instskip(SKIP_1) | instid1(VALU_DEP_2)
	v_mul_f32_e32 v38, v40, v38
	v_mul_f32_e32 v40, 0x3f317218, v34
	v_dual_sub_f32 v36, v36, v37 :: v_dual_add_f32 v37, v39, v38
	s_delay_alu instid0(VALU_DEP_1) | instskip(NEXT) | instid1(VALU_DEP_3)
	v_dual_sub_f32 v35, v35, v36 :: v_dual_sub_f32 v36, v37, v39
	v_fma_f32 v39, 0x3f317218, v34, -v40
	s_delay_alu instid0(VALU_DEP_2) | instskip(NEXT) | instid1(VALU_DEP_2)
	v_ldexp_f32 v35, v35, 1
	v_dual_sub_f32 v36, v38, v36 :: v_dual_fmac_f32 v39, 0xb102e308, v34
	s_delay_alu instid0(VALU_DEP_1) | instskip(NEXT) | instid1(VALU_DEP_1)
	v_dual_add_f32 v34, v35, v36 :: v_dual_add_f32 v35, v40, v39
	v_add_f32_e32 v36, v37, v34
	s_delay_alu instid0(VALU_DEP_1) | instskip(NEXT) | instid1(VALU_DEP_1)
	v_add_f32_e32 v38, v35, v36
	v_sub_f32_e32 v41, v38, v35
	s_delay_alu instid0(VALU_DEP_1) | instskip(SKIP_1) | instid1(VALU_DEP_1)
	v_sub_f32_e32 v42, v38, v41
	v_sub_f32_e32 v37, v36, v37
	;; [unrolled: 1-line block ×4, first 2 shown]
	s_delay_alu instid0(VALU_DEP_1) | instskip(NEXT) | instid1(VALU_DEP_1)
	v_dual_sub_f32 v36, v36, v41 :: v_dual_sub_f32 v39, v39, v40
	v_add_f32_e32 v37, v39, v34
	v_sub_f32_e32 v35, v35, v42
	s_delay_alu instid0(VALU_DEP_1) | instskip(NEXT) | instid1(VALU_DEP_3)
	v_add_f32_e32 v35, v36, v35
	v_sub_f32_e32 v36, v37, v39
	s_delay_alu instid0(VALU_DEP_1) | instskip(NEXT) | instid1(VALU_DEP_1)
	v_dual_sub_f32 v34, v34, v36 :: v_dual_add_f32 v35, v37, v35
	v_dual_sub_f32 v37, v37, v36 :: v_dual_add_f32 v40, v38, v35
	s_delay_alu instid0(VALU_DEP_1) | instskip(NEXT) | instid1(VALU_DEP_1)
	v_dual_sub_f32 v36, v40, v38 :: v_dual_sub_f32 v37, v39, v37
	v_dual_sub_f32 v35, v35, v36 :: v_dual_add_f32 v34, v34, v37
	s_delay_alu instid0(VALU_DEP_1) | instskip(NEXT) | instid1(VALU_DEP_1)
	v_add_f32_e32 v34, v34, v35
	v_add_f32_e32 v34, v40, v34
	s_delay_alu instid0(VALU_DEP_1) | instskip(NEXT) | instid1(VALU_DEP_1)
	v_cndmask_b32_e32 v12, v34, v12, vcc_lo
	v_add_f32_e32 v34, v9, v12
.LBB126_123:                            ;   in Loop: Header=BB126_105 Depth=1
	s_or_b32 exec_lo, exec_lo, s30
	s_delay_alu instid0(VALU_DEP_1)
	v_mov_b32_e32 v9, v34
	v_mov_b32_e32 v12, v34
.LBB126_124:                            ;   in Loop: Header=BB126_105 Depth=1
	s_or_b32 exec_lo, exec_lo, s9
	s_waitcnt lgkmcnt(0)
	ds_bpermute_b32 v34, v29, v9
	s_mov_b32 s9, exec_lo
	v_cmpx_le_u32_e64 v30, v11
	s_cbranch_execz .LBB126_128
; %bb.125:                              ;   in Loop: Header=BB126_105 Depth=1
	v_max_f32_e32 v9, v12, v12
	s_waitcnt lgkmcnt(0)
	v_max_f32_e32 v35, v34, v34
	v_cmp_u_f32_e32 vcc_lo, v34, v34
	s_delay_alu instid0(VALU_DEP_2) | instskip(SKIP_1) | instid1(VALU_DEP_1)
	v_min_f32_e32 v36, v35, v9
	v_max_f32_e32 v9, v35, v9
	v_cndmask_b32_e32 v9, v9, v34, vcc_lo
	s_delay_alu instid0(VALU_DEP_3) | instskip(SKIP_1) | instid1(VALU_DEP_2)
	v_cndmask_b32_e32 v35, v36, v34, vcc_lo
	v_cmp_u_f32_e32 vcc_lo, v12, v12
	v_cndmask_b32_e32 v35, v35, v12, vcc_lo
	s_delay_alu instid0(VALU_DEP_4) | instskip(NEXT) | instid1(VALU_DEP_2)
	v_cndmask_b32_e32 v9, v9, v12, vcc_lo
	v_cmp_class_f32_e64 s30, v35, 0x1f8
	s_delay_alu instid0(VALU_DEP_2) | instskip(NEXT) | instid1(VALU_DEP_2)
	v_cmp_neq_f32_e32 vcc_lo, v35, v9
	s_or_b32 s31, vcc_lo, s30
	s_delay_alu instid0(SALU_CYCLE_1)
	s_and_saveexec_b32 s30, s31
	s_cbranch_execz .LBB126_127
; %bb.126:                              ;   in Loop: Header=BB126_105 Depth=1
	v_sub_f32_e32 v12, v35, v9
	s_delay_alu instid0(VALU_DEP_1) | instskip(SKIP_1) | instid1(VALU_DEP_2)
	v_mul_f32_e32 v34, 0x3fb8aa3b, v12
	v_cmp_ngt_f32_e32 vcc_lo, 0xc2ce8ed0, v12
	v_fma_f32 v35, 0x3fb8aa3b, v12, -v34
	v_rndne_f32_e32 v36, v34
	s_delay_alu instid0(VALU_DEP_2) | instskip(NEXT) | instid1(VALU_DEP_2)
	v_fmac_f32_e32 v35, 0x32a5705f, v12
	v_sub_f32_e32 v34, v34, v36
	s_delay_alu instid0(VALU_DEP_1) | instskip(SKIP_1) | instid1(VALU_DEP_2)
	v_add_f32_e32 v34, v34, v35
	v_cvt_i32_f32_e32 v35, v36
	v_exp_f32_e32 v34, v34
	s_waitcnt_depctr 0xfff
	v_ldexp_f32 v34, v34, v35
	s_delay_alu instid0(VALU_DEP_1) | instskip(SKIP_1) | instid1(VALU_DEP_2)
	v_cndmask_b32_e32 v34, 0, v34, vcc_lo
	v_cmp_nlt_f32_e32 vcc_lo, 0x42b17218, v12
	v_cndmask_b32_e32 v12, 0x7f800000, v34, vcc_lo
	s_delay_alu instid0(VALU_DEP_1) | instskip(NEXT) | instid1(VALU_DEP_1)
	v_add_f32_e32 v36, 1.0, v12
	v_cvt_f64_f32_e32 v[34:35], v36
	s_delay_alu instid0(VALU_DEP_1) | instskip(SKIP_1) | instid1(VALU_DEP_1)
	v_frexp_exp_i32_f64_e32 v34, v[34:35]
	v_frexp_mant_f32_e32 v35, v36
	v_cmp_gt_f32_e32 vcc_lo, 0x3f2aaaab, v35
	v_add_f32_e32 v35, -1.0, v36
	s_delay_alu instid0(VALU_DEP_1) | instskip(NEXT) | instid1(VALU_DEP_1)
	v_dual_sub_f32 v38, v35, v36 :: v_dual_sub_f32 v35, v12, v35
	v_add_f32_e32 v38, 1.0, v38
	s_delay_alu instid0(VALU_DEP_1) | instskip(SKIP_1) | instid1(VALU_DEP_1)
	v_add_f32_e32 v35, v35, v38
	v_subrev_co_ci_u32_e32 v34, vcc_lo, 0, v34, vcc_lo
	v_sub_nc_u32_e32 v37, 0, v34
	v_cvt_f32_i32_e32 v34, v34
	s_delay_alu instid0(VALU_DEP_2) | instskip(SKIP_1) | instid1(VALU_DEP_2)
	v_ldexp_f32 v36, v36, v37
	v_ldexp_f32 v35, v35, v37
	v_add_f32_e32 v39, 1.0, v36
	v_add_f32_e32 v37, -1.0, v36
	v_cmp_eq_f32_e32 vcc_lo, 0x7f800000, v12
	v_cmp_gt_f32_e64 s31, 0x33800000, |v12|
	s_delay_alu instid0(VALU_DEP_4) | instskip(NEXT) | instid1(VALU_DEP_4)
	v_add_f32_e32 v38, -1.0, v39
	v_add_f32_e32 v40, 1.0, v37
	s_delay_alu instid0(VALU_DEP_3) | instskip(NEXT) | instid1(VALU_DEP_2)
	s_or_b32 vcc_lo, vcc_lo, s31
	v_sub_f32_e32 v38, v36, v38
	s_delay_alu instid0(VALU_DEP_2) | instskip(NEXT) | instid1(VALU_DEP_2)
	v_sub_f32_e32 v36, v36, v40
	v_add_f32_e32 v38, v35, v38
	s_delay_alu instid0(VALU_DEP_2) | instskip(NEXT) | instid1(VALU_DEP_1)
	v_add_f32_e32 v35, v35, v36
	v_add_f32_e32 v41, v37, v35
	s_delay_alu instid0(VALU_DEP_1) | instskip(NEXT) | instid1(VALU_DEP_1)
	v_dual_sub_f32 v37, v37, v41 :: v_dual_add_f32 v40, v39, v38
	v_add_f32_e32 v35, v35, v37
	s_delay_alu instid0(VALU_DEP_2) | instskip(SKIP_1) | instid1(VALU_DEP_1)
	v_rcp_f32_e32 v36, v40
	v_sub_f32_e32 v39, v39, v40
	v_add_f32_e32 v38, v38, v39
	s_waitcnt_depctr 0xfff
	v_mul_f32_e32 v42, v41, v36
	s_delay_alu instid0(VALU_DEP_1) | instskip(NEXT) | instid1(VALU_DEP_1)
	v_mul_f32_e32 v43, v40, v42
	v_fma_f32 v39, v42, v40, -v43
	s_delay_alu instid0(VALU_DEP_1) | instskip(NEXT) | instid1(VALU_DEP_1)
	v_fmac_f32_e32 v39, v42, v38
	v_add_f32_e32 v44, v43, v39
	s_delay_alu instid0(VALU_DEP_1) | instskip(SKIP_1) | instid1(VALU_DEP_2)
	v_sub_f32_e32 v45, v41, v44
	v_sub_f32_e32 v37, v44, v43
	;; [unrolled: 1-line block ×3, first 2 shown]
	s_delay_alu instid0(VALU_DEP_1) | instskip(NEXT) | instid1(VALU_DEP_3)
	v_sub_f32_e32 v41, v41, v44
	v_sub_f32_e32 v37, v37, v39
	s_delay_alu instid0(VALU_DEP_2) | instskip(NEXT) | instid1(VALU_DEP_1)
	v_add_f32_e32 v35, v35, v41
	v_add_f32_e32 v35, v37, v35
	s_delay_alu instid0(VALU_DEP_1) | instskip(NEXT) | instid1(VALU_DEP_1)
	v_add_f32_e32 v37, v45, v35
	v_mul_f32_e32 v39, v36, v37
	s_delay_alu instid0(VALU_DEP_1) | instskip(NEXT) | instid1(VALU_DEP_1)
	v_dual_sub_f32 v44, v45, v37 :: v_dual_mul_f32 v41, v40, v39
	v_add_f32_e32 v35, v35, v44
	s_delay_alu instid0(VALU_DEP_2) | instskip(NEXT) | instid1(VALU_DEP_1)
	v_fma_f32 v40, v39, v40, -v41
	v_fmac_f32_e32 v40, v39, v38
	s_delay_alu instid0(VALU_DEP_1) | instskip(NEXT) | instid1(VALU_DEP_1)
	v_add_f32_e32 v38, v41, v40
	v_sub_f32_e32 v43, v37, v38
	s_delay_alu instid0(VALU_DEP_1) | instskip(NEXT) | instid1(VALU_DEP_1)
	v_sub_f32_e32 v37, v37, v43
	v_sub_f32_e32 v37, v37, v38
	s_delay_alu instid0(VALU_DEP_1) | instskip(SKIP_2) | instid1(VALU_DEP_1)
	v_add_f32_e32 v35, v35, v37
	v_add_f32_e32 v37, v42, v39
	v_sub_f32_e32 v41, v38, v41
	v_sub_f32_e32 v38, v41, v40
	s_delay_alu instid0(VALU_DEP_1) | instskip(NEXT) | instid1(VALU_DEP_1)
	v_dual_add_f32 v35, v38, v35 :: v_dual_sub_f32 v38, v37, v42
	v_add_f32_e32 v35, v43, v35
	s_delay_alu instid0(VALU_DEP_1) | instskip(NEXT) | instid1(VALU_DEP_1)
	v_dual_sub_f32 v38, v39, v38 :: v_dual_mul_f32 v35, v36, v35
	v_add_f32_e32 v35, v38, v35
	s_delay_alu instid0(VALU_DEP_1) | instskip(NEXT) | instid1(VALU_DEP_1)
	v_add_f32_e32 v36, v37, v35
	v_mul_f32_e32 v38, v36, v36
	s_delay_alu instid0(VALU_DEP_1) | instskip(SKIP_1) | instid1(VALU_DEP_2)
	v_fmaak_f32 v39, s8, v38, 0x3ecc95a3
	v_mul_f32_e32 v40, v36, v38
	v_fmaak_f32 v38, v38, v39, 0x3f2aaada
	v_ldexp_f32 v39, v36, 1
	s_delay_alu instid0(VALU_DEP_2) | instskip(SKIP_1) | instid1(VALU_DEP_2)
	v_mul_f32_e32 v38, v40, v38
	v_mul_f32_e32 v40, 0x3f317218, v34
	v_dual_sub_f32 v36, v36, v37 :: v_dual_add_f32 v37, v39, v38
	s_delay_alu instid0(VALU_DEP_1) | instskip(NEXT) | instid1(VALU_DEP_3)
	v_dual_sub_f32 v35, v35, v36 :: v_dual_sub_f32 v36, v37, v39
	v_fma_f32 v39, 0x3f317218, v34, -v40
	s_delay_alu instid0(VALU_DEP_2) | instskip(NEXT) | instid1(VALU_DEP_2)
	v_ldexp_f32 v35, v35, 1
	v_dual_sub_f32 v36, v38, v36 :: v_dual_fmac_f32 v39, 0xb102e308, v34
	s_delay_alu instid0(VALU_DEP_1) | instskip(NEXT) | instid1(VALU_DEP_1)
	v_dual_add_f32 v34, v35, v36 :: v_dual_add_f32 v35, v40, v39
	v_add_f32_e32 v36, v37, v34
	s_delay_alu instid0(VALU_DEP_1) | instskip(NEXT) | instid1(VALU_DEP_1)
	v_add_f32_e32 v38, v35, v36
	v_sub_f32_e32 v41, v38, v35
	s_delay_alu instid0(VALU_DEP_1) | instskip(SKIP_1) | instid1(VALU_DEP_1)
	v_sub_f32_e32 v42, v38, v41
	v_sub_f32_e32 v37, v36, v37
	;; [unrolled: 1-line block ×4, first 2 shown]
	s_delay_alu instid0(VALU_DEP_1) | instskip(NEXT) | instid1(VALU_DEP_1)
	v_dual_sub_f32 v36, v36, v41 :: v_dual_sub_f32 v39, v39, v40
	v_add_f32_e32 v37, v39, v34
	v_sub_f32_e32 v35, v35, v42
	s_delay_alu instid0(VALU_DEP_1) | instskip(NEXT) | instid1(VALU_DEP_3)
	v_add_f32_e32 v35, v36, v35
	v_sub_f32_e32 v36, v37, v39
	s_delay_alu instid0(VALU_DEP_1) | instskip(NEXT) | instid1(VALU_DEP_1)
	v_dual_sub_f32 v34, v34, v36 :: v_dual_add_f32 v35, v37, v35
	v_dual_sub_f32 v37, v37, v36 :: v_dual_add_f32 v40, v38, v35
	s_delay_alu instid0(VALU_DEP_1) | instskip(NEXT) | instid1(VALU_DEP_1)
	v_dual_sub_f32 v36, v40, v38 :: v_dual_sub_f32 v37, v39, v37
	v_dual_sub_f32 v35, v35, v36 :: v_dual_add_f32 v34, v34, v37
	s_delay_alu instid0(VALU_DEP_1) | instskip(NEXT) | instid1(VALU_DEP_1)
	v_add_f32_e32 v34, v34, v35
	v_add_f32_e32 v34, v40, v34
	s_delay_alu instid0(VALU_DEP_1) | instskip(NEXT) | instid1(VALU_DEP_1)
	v_cndmask_b32_e32 v12, v34, v12, vcc_lo
	v_add_f32_e32 v34, v9, v12
.LBB126_127:                            ;   in Loop: Header=BB126_105 Depth=1
	s_or_b32 exec_lo, exec_lo, s30
	s_delay_alu instid0(VALU_DEP_1)
	v_mov_b32_e32 v9, v34
	v_mov_b32_e32 v12, v34
.LBB126_128:                            ;   in Loop: Header=BB126_105 Depth=1
	s_or_b32 exec_lo, exec_lo, s9
	s_waitcnt lgkmcnt(0)
	ds_bpermute_b32 v34, v32, v9
	s_mov_b32 s9, exec_lo
	v_cmpx_le_u32_e64 v33, v11
	s_cbranch_execz .LBB126_132
; %bb.129:                              ;   in Loop: Header=BB126_105 Depth=1
	v_max_f32_e32 v9, v12, v12
	s_waitcnt lgkmcnt(0)
	v_max_f32_e32 v11, v34, v34
	v_cmp_u_f32_e32 vcc_lo, v34, v34
	s_delay_alu instid0(VALU_DEP_2) | instskip(SKIP_1) | instid1(VALU_DEP_2)
	v_min_f32_e32 v35, v11, v9
	v_max_f32_e32 v9, v11, v9
	v_cndmask_b32_e32 v11, v35, v34, vcc_lo
	s_delay_alu instid0(VALU_DEP_2) | instskip(SKIP_1) | instid1(VALU_DEP_3)
	v_cndmask_b32_e32 v9, v9, v34, vcc_lo
	v_cmp_u_f32_e32 vcc_lo, v12, v12
	v_cndmask_b32_e32 v11, v11, v12, vcc_lo
	s_delay_alu instid0(VALU_DEP_3) | instskip(NEXT) | instid1(VALU_DEP_2)
	v_cndmask_b32_e32 v9, v9, v12, vcc_lo
	v_cmp_class_f32_e64 s30, v11, 0x1f8
	s_delay_alu instid0(VALU_DEP_2) | instskip(NEXT) | instid1(VALU_DEP_2)
	v_cmp_neq_f32_e32 vcc_lo, v11, v9
	s_or_b32 s31, vcc_lo, s30
	s_delay_alu instid0(SALU_CYCLE_1)
	s_and_saveexec_b32 s30, s31
	s_cbranch_execz .LBB126_131
; %bb.130:                              ;   in Loop: Header=BB126_105 Depth=1
	v_sub_f32_e32 v11, v11, v9
	s_delay_alu instid0(VALU_DEP_1) | instskip(NEXT) | instid1(VALU_DEP_1)
	v_mul_f32_e32 v12, 0x3fb8aa3b, v11
	v_fma_f32 v34, 0x3fb8aa3b, v11, -v12
	v_rndne_f32_e32 v35, v12
	s_delay_alu instid0(VALU_DEP_1) | instskip(NEXT) | instid1(VALU_DEP_3)
	v_sub_f32_e32 v12, v12, v35
	v_fmac_f32_e32 v34, 0x32a5705f, v11
	v_cmp_ngt_f32_e32 vcc_lo, 0xc2ce8ed0, v11
	s_delay_alu instid0(VALU_DEP_2) | instskip(SKIP_1) | instid1(VALU_DEP_2)
	v_add_f32_e32 v12, v12, v34
	v_cvt_i32_f32_e32 v34, v35
	v_exp_f32_e32 v12, v12
	s_waitcnt_depctr 0xfff
	v_ldexp_f32 v12, v12, v34
	s_delay_alu instid0(VALU_DEP_1) | instskip(SKIP_1) | instid1(VALU_DEP_2)
	v_cndmask_b32_e32 v12, 0, v12, vcc_lo
	v_cmp_nlt_f32_e32 vcc_lo, 0x42b17218, v11
	v_cndmask_b32_e32 v34, 0x7f800000, v12, vcc_lo
	s_delay_alu instid0(VALU_DEP_1) | instskip(NEXT) | instid1(VALU_DEP_1)
	v_add_f32_e32 v35, 1.0, v34
	v_cvt_f64_f32_e32 v[11:12], v35
	s_delay_alu instid0(VALU_DEP_1) | instskip(SKIP_1) | instid1(VALU_DEP_1)
	v_frexp_exp_i32_f64_e32 v11, v[11:12]
	v_frexp_mant_f32_e32 v12, v35
	v_cmp_gt_f32_e32 vcc_lo, 0x3f2aaaab, v12
	v_add_f32_e32 v12, -1.0, v35
	s_delay_alu instid0(VALU_DEP_1) | instskip(SKIP_1) | instid1(VALU_DEP_2)
	v_sub_f32_e32 v37, v12, v35
	v_cmp_gt_f32_e64 s31, 0x33800000, |v34|
	v_add_f32_e32 v37, 1.0, v37
	v_subrev_co_ci_u32_e32 v11, vcc_lo, 0, v11, vcc_lo
	v_cmp_eq_f32_e32 vcc_lo, 0x7f800000, v34
	s_delay_alu instid0(VALU_DEP_2) | instskip(SKIP_2) | instid1(VALU_DEP_2)
	v_sub_nc_u32_e32 v36, 0, v11
	v_cvt_f32_i32_e32 v11, v11
	s_or_b32 vcc_lo, vcc_lo, s31
	v_ldexp_f32 v35, v35, v36
	v_sub_f32_e32 v12, v34, v12
	s_delay_alu instid0(VALU_DEP_1) | instskip(NEXT) | instid1(VALU_DEP_1)
	v_add_f32_e32 v12, v12, v37
	v_ldexp_f32 v12, v12, v36
	s_delay_alu instid0(VALU_DEP_4) | instskip(NEXT) | instid1(VALU_DEP_1)
	v_add_f32_e32 v38, 1.0, v35
	v_add_f32_e32 v37, -1.0, v38
	s_delay_alu instid0(VALU_DEP_1) | instskip(NEXT) | instid1(VALU_DEP_1)
	v_sub_f32_e32 v37, v35, v37
	v_dual_add_f32 v37, v12, v37 :: v_dual_add_f32 v36, -1.0, v35
	s_delay_alu instid0(VALU_DEP_1) | instskip(NEXT) | instid1(VALU_DEP_1)
	v_add_f32_e32 v39, 1.0, v36
	v_sub_f32_e32 v35, v35, v39
	s_delay_alu instid0(VALU_DEP_1) | instskip(NEXT) | instid1(VALU_DEP_1)
	v_dual_add_f32 v39, v38, v37 :: v_dual_add_f32 v12, v12, v35
	v_rcp_f32_e32 v35, v39
	v_sub_f32_e32 v38, v38, v39
	s_delay_alu instid0(VALU_DEP_1) | instskip(SKIP_3) | instid1(VALU_DEP_2)
	v_dual_add_f32 v37, v37, v38 :: v_dual_add_f32 v40, v36, v12
	s_waitcnt_depctr 0xfff
	v_mul_f32_e32 v41, v40, v35
	v_sub_f32_e32 v36, v36, v40
	v_mul_f32_e32 v42, v39, v41
	s_delay_alu instid0(VALU_DEP_1) | instskip(NEXT) | instid1(VALU_DEP_1)
	v_fma_f32 v38, v41, v39, -v42
	v_fmac_f32_e32 v38, v41, v37
	s_delay_alu instid0(VALU_DEP_1) | instskip(NEXT) | instid1(VALU_DEP_1)
	v_dual_add_f32 v43, v42, v38 :: v_dual_add_f32 v12, v12, v36
	v_sub_f32_e32 v44, v40, v43
	v_sub_f32_e32 v36, v43, v42
	s_delay_alu instid0(VALU_DEP_2) | instskip(NEXT) | instid1(VALU_DEP_2)
	v_sub_f32_e32 v40, v40, v44
	v_sub_f32_e32 v36, v36, v38
	s_delay_alu instid0(VALU_DEP_2) | instskip(NEXT) | instid1(VALU_DEP_1)
	v_sub_f32_e32 v40, v40, v43
	v_add_f32_e32 v12, v12, v40
	s_delay_alu instid0(VALU_DEP_1) | instskip(NEXT) | instid1(VALU_DEP_1)
	v_add_f32_e32 v12, v36, v12
	v_add_f32_e32 v36, v44, v12
	s_delay_alu instid0(VALU_DEP_1) | instskip(NEXT) | instid1(VALU_DEP_1)
	v_mul_f32_e32 v38, v35, v36
	v_dual_sub_f32 v43, v44, v36 :: v_dual_mul_f32 v40, v39, v38
	s_delay_alu instid0(VALU_DEP_1) | instskip(NEXT) | instid1(VALU_DEP_2)
	v_add_f32_e32 v12, v12, v43
	v_fma_f32 v39, v38, v39, -v40
	s_delay_alu instid0(VALU_DEP_1) | instskip(NEXT) | instid1(VALU_DEP_1)
	v_fmac_f32_e32 v39, v38, v37
	v_add_f32_e32 v37, v40, v39
	s_delay_alu instid0(VALU_DEP_1) | instskip(SKIP_1) | instid1(VALU_DEP_2)
	v_sub_f32_e32 v42, v36, v37
	v_sub_f32_e32 v40, v37, v40
	;; [unrolled: 1-line block ×3, first 2 shown]
	s_delay_alu instid0(VALU_DEP_1) | instskip(NEXT) | instid1(VALU_DEP_3)
	v_sub_f32_e32 v36, v36, v37
	v_sub_f32_e32 v37, v40, v39
	s_delay_alu instid0(VALU_DEP_2) | instskip(SKIP_1) | instid1(VALU_DEP_1)
	v_add_f32_e32 v12, v12, v36
	v_add_f32_e32 v36, v41, v38
	v_dual_add_f32 v12, v37, v12 :: v_dual_sub_f32 v37, v36, v41
	s_delay_alu instid0(VALU_DEP_1) | instskip(NEXT) | instid1(VALU_DEP_1)
	v_add_f32_e32 v12, v42, v12
	v_dual_sub_f32 v37, v38, v37 :: v_dual_mul_f32 v12, v35, v12
	s_delay_alu instid0(VALU_DEP_1) | instskip(NEXT) | instid1(VALU_DEP_1)
	v_add_f32_e32 v12, v37, v12
	v_add_f32_e32 v35, v36, v12
	s_delay_alu instid0(VALU_DEP_1) | instskip(NEXT) | instid1(VALU_DEP_1)
	v_mul_f32_e32 v37, v35, v35
	v_fmaak_f32 v38, s8, v37, 0x3ecc95a3
	v_mul_f32_e32 v39, v35, v37
	s_delay_alu instid0(VALU_DEP_2) | instskip(SKIP_2) | instid1(VALU_DEP_3)
	v_fmaak_f32 v37, v37, v38, 0x3f2aaada
	v_ldexp_f32 v38, v35, 1
	v_sub_f32_e32 v35, v35, v36
	v_mul_f32_e32 v37, v39, v37
	v_mul_f32_e32 v39, 0x3f317218, v11
	s_delay_alu instid0(VALU_DEP_3) | instskip(NEXT) | instid1(VALU_DEP_3)
	v_sub_f32_e32 v12, v12, v35
	v_add_f32_e32 v36, v38, v37
	s_delay_alu instid0(VALU_DEP_2) | instskip(NEXT) | instid1(VALU_DEP_2)
	v_ldexp_f32 v12, v12, 1
	v_sub_f32_e32 v35, v36, v38
	v_fma_f32 v38, 0x3f317218, v11, -v39
	s_delay_alu instid0(VALU_DEP_2) | instskip(NEXT) | instid1(VALU_DEP_2)
	v_sub_f32_e32 v35, v37, v35
	v_fmac_f32_e32 v38, 0xb102e308, v11
	s_delay_alu instid0(VALU_DEP_1) | instskip(NEXT) | instid1(VALU_DEP_1)
	v_dual_add_f32 v11, v12, v35 :: v_dual_add_f32 v12, v39, v38
	v_sub_f32_e32 v39, v12, v39
	s_delay_alu instid0(VALU_DEP_2) | instskip(NEXT) | instid1(VALU_DEP_2)
	v_add_f32_e32 v35, v36, v11
	v_sub_f32_e32 v38, v38, v39
	s_delay_alu instid0(VALU_DEP_2) | instskip(NEXT) | instid1(VALU_DEP_1)
	v_dual_add_f32 v37, v12, v35 :: v_dual_sub_f32 v36, v35, v36
	v_sub_f32_e32 v40, v37, v12
	s_delay_alu instid0(VALU_DEP_2) | instskip(NEXT) | instid1(VALU_DEP_2)
	v_sub_f32_e32 v11, v11, v36
	v_sub_f32_e32 v41, v37, v40
	s_delay_alu instid0(VALU_DEP_2) | instskip(NEXT) | instid1(VALU_DEP_2)
	v_dual_sub_f32 v35, v35, v40 :: v_dual_add_f32 v36, v38, v11
	v_sub_f32_e32 v12, v12, v41
	s_delay_alu instid0(VALU_DEP_1) | instskip(NEXT) | instid1(VALU_DEP_1)
	v_dual_add_f32 v12, v35, v12 :: v_dual_sub_f32 v35, v36, v38
	v_add_f32_e32 v12, v36, v12
	s_delay_alu instid0(VALU_DEP_2) | instskip(SKIP_1) | instid1(VALU_DEP_3)
	v_sub_f32_e32 v36, v36, v35
	v_sub_f32_e32 v11, v11, v35
	v_add_f32_e32 v39, v37, v12
	s_delay_alu instid0(VALU_DEP_1) | instskip(NEXT) | instid1(VALU_DEP_1)
	v_dual_sub_f32 v36, v38, v36 :: v_dual_sub_f32 v35, v39, v37
	v_dual_add_f32 v11, v11, v36 :: v_dual_sub_f32 v12, v12, v35
	s_delay_alu instid0(VALU_DEP_1) | instskip(NEXT) | instid1(VALU_DEP_1)
	v_add_f32_e32 v11, v11, v12
	v_add_f32_e32 v11, v39, v11
	s_delay_alu instid0(VALU_DEP_1) | instskip(NEXT) | instid1(VALU_DEP_1)
	v_cndmask_b32_e32 v11, v11, v34, vcc_lo
	v_add_f32_e32 v34, v9, v11
.LBB126_131:                            ;   in Loop: Header=BB126_105 Depth=1
	s_or_b32 exec_lo, exec_lo, s30
	s_delay_alu instid0(VALU_DEP_1)
	v_mov_b32_e32 v12, v34
.LBB126_132:                            ;   in Loop: Header=BB126_105 Depth=1
	s_or_b32 exec_lo, exec_lo, s9
	v_max_f32_e32 v9, v31, v31
	s_delay_alu instid0(VALU_DEP_2) | instskip(SKIP_2) | instid1(VALU_DEP_2)
	v_max_f32_e32 v11, v12, v12
	v_cmp_u_f32_e32 vcc_lo, v12, v12
	s_waitcnt lgkmcnt(0)
	v_min_f32_e32 v34, v11, v9
	v_max_f32_e32 v9, v11, v9
	s_delay_alu instid0(VALU_DEP_1) | instskip(NEXT) | instid1(VALU_DEP_3)
	v_cndmask_b32_e32 v9, v9, v12, vcc_lo
	v_cndmask_b32_e32 v11, v34, v12, vcc_lo
	v_cmp_u_f32_e32 vcc_lo, v31, v31
	s_delay_alu instid0(VALU_DEP_2) | instskip(NEXT) | instid1(VALU_DEP_4)
	v_cndmask_b32_e32 v11, v11, v31, vcc_lo
	v_cndmask_b32_e32 v9, v9, v31, vcc_lo
	s_delay_alu instid0(VALU_DEP_2) | instskip(NEXT) | instid1(VALU_DEP_2)
	v_cmp_class_f32_e64 s9, v11, 0x1f8
	v_cmp_neq_f32_e32 vcc_lo, v11, v9
	s_delay_alu instid0(VALU_DEP_2) | instskip(NEXT) | instid1(SALU_CYCLE_1)
	s_or_b32 s9, vcc_lo, s9
	s_and_saveexec_b32 s30, s9
	s_delay_alu instid0(SALU_CYCLE_1)
	s_xor_b32 s9, exec_lo, s30
	s_cbranch_execz .LBB126_104
; %bb.133:                              ;   in Loop: Header=BB126_105 Depth=1
	v_sub_f32_e32 v11, v11, v9
	s_delay_alu instid0(VALU_DEP_1) | instskip(NEXT) | instid1(VALU_DEP_1)
	v_mul_f32_e32 v12, 0x3fb8aa3b, v11
	v_fma_f32 v34, 0x3fb8aa3b, v11, -v12
	v_rndne_f32_e32 v35, v12
	s_delay_alu instid0(VALU_DEP_1) | instskip(NEXT) | instid1(VALU_DEP_3)
	v_sub_f32_e32 v12, v12, v35
	v_fmac_f32_e32 v34, 0x32a5705f, v11
	v_cmp_ngt_f32_e32 vcc_lo, 0xc2ce8ed0, v11
	s_delay_alu instid0(VALU_DEP_2) | instskip(SKIP_1) | instid1(VALU_DEP_2)
	v_add_f32_e32 v12, v12, v34
	v_cvt_i32_f32_e32 v34, v35
	v_exp_f32_e32 v12, v12
	s_waitcnt_depctr 0xfff
	v_ldexp_f32 v12, v12, v34
	s_delay_alu instid0(VALU_DEP_1) | instskip(SKIP_1) | instid1(VALU_DEP_2)
	v_cndmask_b32_e32 v12, 0, v12, vcc_lo
	v_cmp_nlt_f32_e32 vcc_lo, 0x42b17218, v11
	v_cndmask_b32_e32 v34, 0x7f800000, v12, vcc_lo
	s_delay_alu instid0(VALU_DEP_1) | instskip(NEXT) | instid1(VALU_DEP_1)
	v_add_f32_e32 v35, 1.0, v34
	v_cvt_f64_f32_e32 v[11:12], v35
	s_delay_alu instid0(VALU_DEP_1) | instskip(SKIP_1) | instid1(VALU_DEP_1)
	v_frexp_exp_i32_f64_e32 v11, v[11:12]
	v_frexp_mant_f32_e32 v12, v35
	v_cmp_gt_f32_e32 vcc_lo, 0x3f2aaaab, v12
	v_add_f32_e32 v12, -1.0, v35
	s_delay_alu instid0(VALU_DEP_1) | instskip(SKIP_1) | instid1(VALU_DEP_2)
	v_sub_f32_e32 v37, v12, v35
	v_cmp_gt_f32_e64 s30, 0x33800000, |v34|
	v_add_f32_e32 v37, 1.0, v37
	v_subrev_co_ci_u32_e32 v11, vcc_lo, 0, v11, vcc_lo
	v_cmp_eq_f32_e32 vcc_lo, 0x7f800000, v34
	s_delay_alu instid0(VALU_DEP_2) | instskip(SKIP_2) | instid1(VALU_DEP_2)
	v_sub_nc_u32_e32 v36, 0, v11
	v_cvt_f32_i32_e32 v11, v11
	s_or_b32 vcc_lo, vcc_lo, s30
	v_ldexp_f32 v35, v35, v36
	v_sub_f32_e32 v12, v34, v12
	s_delay_alu instid0(VALU_DEP_1) | instskip(NEXT) | instid1(VALU_DEP_1)
	v_add_f32_e32 v12, v12, v37
	v_ldexp_f32 v12, v12, v36
	s_delay_alu instid0(VALU_DEP_4) | instskip(NEXT) | instid1(VALU_DEP_1)
	v_add_f32_e32 v38, 1.0, v35
	v_add_f32_e32 v37, -1.0, v38
	s_delay_alu instid0(VALU_DEP_1) | instskip(NEXT) | instid1(VALU_DEP_1)
	v_sub_f32_e32 v37, v35, v37
	v_dual_add_f32 v37, v12, v37 :: v_dual_add_f32 v36, -1.0, v35
	s_delay_alu instid0(VALU_DEP_1) | instskip(NEXT) | instid1(VALU_DEP_1)
	v_add_f32_e32 v39, 1.0, v36
	v_sub_f32_e32 v35, v35, v39
	s_delay_alu instid0(VALU_DEP_1) | instskip(NEXT) | instid1(VALU_DEP_1)
	v_dual_add_f32 v39, v38, v37 :: v_dual_add_f32 v12, v12, v35
	v_rcp_f32_e32 v35, v39
	v_sub_f32_e32 v38, v38, v39
	s_delay_alu instid0(VALU_DEP_1) | instskip(SKIP_3) | instid1(VALU_DEP_2)
	v_dual_add_f32 v37, v37, v38 :: v_dual_add_f32 v40, v36, v12
	s_waitcnt_depctr 0xfff
	v_mul_f32_e32 v41, v40, v35
	v_sub_f32_e32 v36, v36, v40
	v_mul_f32_e32 v42, v39, v41
	s_delay_alu instid0(VALU_DEP_1) | instskip(NEXT) | instid1(VALU_DEP_1)
	v_fma_f32 v38, v41, v39, -v42
	v_fmac_f32_e32 v38, v41, v37
	s_delay_alu instid0(VALU_DEP_1) | instskip(NEXT) | instid1(VALU_DEP_1)
	v_dual_add_f32 v43, v42, v38 :: v_dual_add_f32 v12, v12, v36
	v_sub_f32_e32 v44, v40, v43
	v_sub_f32_e32 v36, v43, v42
	s_delay_alu instid0(VALU_DEP_2) | instskip(NEXT) | instid1(VALU_DEP_2)
	v_sub_f32_e32 v40, v40, v44
	v_sub_f32_e32 v36, v36, v38
	s_delay_alu instid0(VALU_DEP_2) | instskip(NEXT) | instid1(VALU_DEP_1)
	v_sub_f32_e32 v40, v40, v43
	v_add_f32_e32 v12, v12, v40
	s_delay_alu instid0(VALU_DEP_1) | instskip(NEXT) | instid1(VALU_DEP_1)
	v_add_f32_e32 v12, v36, v12
	v_add_f32_e32 v36, v44, v12
	s_delay_alu instid0(VALU_DEP_1) | instskip(NEXT) | instid1(VALU_DEP_1)
	v_mul_f32_e32 v38, v35, v36
	v_dual_sub_f32 v43, v44, v36 :: v_dual_mul_f32 v40, v39, v38
	s_delay_alu instid0(VALU_DEP_1) | instskip(NEXT) | instid1(VALU_DEP_2)
	v_add_f32_e32 v12, v12, v43
	v_fma_f32 v39, v38, v39, -v40
	s_delay_alu instid0(VALU_DEP_1) | instskip(NEXT) | instid1(VALU_DEP_1)
	v_fmac_f32_e32 v39, v38, v37
	v_add_f32_e32 v37, v40, v39
	s_delay_alu instid0(VALU_DEP_1) | instskip(SKIP_1) | instid1(VALU_DEP_2)
	v_sub_f32_e32 v42, v36, v37
	v_sub_f32_e32 v40, v37, v40
	;; [unrolled: 1-line block ×3, first 2 shown]
	s_delay_alu instid0(VALU_DEP_1) | instskip(NEXT) | instid1(VALU_DEP_3)
	v_sub_f32_e32 v36, v36, v37
	v_sub_f32_e32 v37, v40, v39
	s_delay_alu instid0(VALU_DEP_2) | instskip(SKIP_1) | instid1(VALU_DEP_1)
	v_add_f32_e32 v12, v12, v36
	v_add_f32_e32 v36, v41, v38
	v_dual_add_f32 v12, v37, v12 :: v_dual_sub_f32 v37, v36, v41
	s_delay_alu instid0(VALU_DEP_1) | instskip(NEXT) | instid1(VALU_DEP_1)
	v_add_f32_e32 v12, v42, v12
	v_dual_sub_f32 v37, v38, v37 :: v_dual_mul_f32 v12, v35, v12
	s_delay_alu instid0(VALU_DEP_1) | instskip(NEXT) | instid1(VALU_DEP_1)
	v_add_f32_e32 v12, v37, v12
	v_add_f32_e32 v35, v36, v12
	s_delay_alu instid0(VALU_DEP_1) | instskip(NEXT) | instid1(VALU_DEP_1)
	v_mul_f32_e32 v37, v35, v35
	v_fmaak_f32 v38, s8, v37, 0x3ecc95a3
	v_mul_f32_e32 v39, v35, v37
	s_delay_alu instid0(VALU_DEP_2) | instskip(SKIP_2) | instid1(VALU_DEP_3)
	v_fmaak_f32 v37, v37, v38, 0x3f2aaada
	v_ldexp_f32 v38, v35, 1
	v_sub_f32_e32 v35, v35, v36
	v_mul_f32_e32 v37, v39, v37
	v_mul_f32_e32 v39, 0x3f317218, v11
	s_delay_alu instid0(VALU_DEP_3) | instskip(NEXT) | instid1(VALU_DEP_3)
	v_sub_f32_e32 v12, v12, v35
	v_add_f32_e32 v36, v38, v37
	s_delay_alu instid0(VALU_DEP_2) | instskip(NEXT) | instid1(VALU_DEP_2)
	v_ldexp_f32 v12, v12, 1
	v_sub_f32_e32 v35, v36, v38
	v_fma_f32 v38, 0x3f317218, v11, -v39
	s_delay_alu instid0(VALU_DEP_2) | instskip(NEXT) | instid1(VALU_DEP_2)
	v_sub_f32_e32 v35, v37, v35
	v_fmac_f32_e32 v38, 0xb102e308, v11
	s_delay_alu instid0(VALU_DEP_1) | instskip(NEXT) | instid1(VALU_DEP_1)
	v_dual_add_f32 v11, v12, v35 :: v_dual_add_f32 v12, v39, v38
	v_sub_f32_e32 v39, v12, v39
	s_delay_alu instid0(VALU_DEP_2) | instskip(NEXT) | instid1(VALU_DEP_2)
	v_add_f32_e32 v35, v36, v11
	v_sub_f32_e32 v38, v38, v39
	s_delay_alu instid0(VALU_DEP_2) | instskip(NEXT) | instid1(VALU_DEP_1)
	v_dual_add_f32 v37, v12, v35 :: v_dual_sub_f32 v36, v35, v36
	v_sub_f32_e32 v40, v37, v12
	s_delay_alu instid0(VALU_DEP_2) | instskip(NEXT) | instid1(VALU_DEP_2)
	v_sub_f32_e32 v11, v11, v36
	v_sub_f32_e32 v41, v37, v40
	s_delay_alu instid0(VALU_DEP_2) | instskip(NEXT) | instid1(VALU_DEP_2)
	v_dual_sub_f32 v35, v35, v40 :: v_dual_add_f32 v36, v38, v11
	v_sub_f32_e32 v12, v12, v41
	s_delay_alu instid0(VALU_DEP_1) | instskip(NEXT) | instid1(VALU_DEP_1)
	v_dual_add_f32 v12, v35, v12 :: v_dual_sub_f32 v35, v36, v38
	v_add_f32_e32 v12, v36, v12
	s_delay_alu instid0(VALU_DEP_2) | instskip(SKIP_1) | instid1(VALU_DEP_3)
	v_sub_f32_e32 v36, v36, v35
	v_sub_f32_e32 v11, v11, v35
	v_add_f32_e32 v39, v37, v12
	s_delay_alu instid0(VALU_DEP_1) | instskip(NEXT) | instid1(VALU_DEP_1)
	v_dual_sub_f32 v36, v38, v36 :: v_dual_sub_f32 v35, v39, v37
	v_dual_add_f32 v11, v11, v36 :: v_dual_sub_f32 v12, v12, v35
	s_delay_alu instid0(VALU_DEP_1) | instskip(NEXT) | instid1(VALU_DEP_1)
	v_add_f32_e32 v11, v11, v12
	v_add_f32_e32 v11, v39, v11
	s_delay_alu instid0(VALU_DEP_1) | instskip(NEXT) | instid1(VALU_DEP_1)
	v_cndmask_b32_e32 v11, v11, v34, vcc_lo
	v_add_f32_e32 v12, v9, v11
	s_branch .LBB126_104
.LBB126_134:                            ;   in Loop: Header=BB126_105 Depth=1
                                        ; implicit-def: $vgpr12
                                        ; implicit-def: $vgpr10
	s_cbranch_execz .LBB126_105
; %bb.135:
	s_and_saveexec_b32 s8, s7
	s_cbranch_execz .LBB126_139
; %bb.136:
	v_max_f32_e32 v4, v3, v3
	v_max_f32_e32 v5, v31, v31
	v_cmp_u_f32_e32 vcc_lo, v31, v31
	s_delay_alu instid0(VALU_DEP_2) | instskip(NEXT) | instid1(VALU_DEP_1)
	v_min_f32_e32 v6, v5, v4
	v_dual_max_f32 v4, v5, v4 :: v_dual_cndmask_b32 v5, v6, v31
	s_delay_alu instid0(VALU_DEP_1) | instskip(SKIP_1) | instid1(VALU_DEP_3)
	v_cndmask_b32_e32 v4, v4, v31, vcc_lo
	v_cmp_u_f32_e32 vcc_lo, v3, v3
	v_cndmask_b32_e32 v5, v5, v3, vcc_lo
	s_delay_alu instid0(VALU_DEP_3) | instskip(NEXT) | instid1(VALU_DEP_2)
	v_dual_cndmask_b32 v4, v4, v3 :: v_dual_mov_b32 v3, v31
	v_cmp_class_f32_e64 s7, v5, 0x1f8
	s_delay_alu instid0(VALU_DEP_2) | instskip(NEXT) | instid1(VALU_DEP_2)
	v_cmp_neq_f32_e32 vcc_lo, v5, v4
	s_or_b32 s9, vcc_lo, s7
	s_delay_alu instid0(SALU_CYCLE_1)
	s_and_saveexec_b32 s7, s9
	s_cbranch_execz .LBB126_138
; %bb.137:
	v_sub_f32_e32 v3, v5, v4
	s_mov_b32 s9, 0x3e9b6dac
	s_delay_alu instid0(VALU_DEP_1) | instskip(SKIP_1) | instid1(VALU_DEP_2)
	v_mul_f32_e32 v5, 0x3fb8aa3b, v3
	v_cmp_ngt_f32_e32 vcc_lo, 0xc2ce8ed0, v3
	v_fma_f32 v6, 0x3fb8aa3b, v3, -v5
	v_rndne_f32_e32 v9, v5
	s_delay_alu instid0(VALU_DEP_1) | instskip(NEXT) | instid1(VALU_DEP_1)
	v_dual_fmamk_f32 v6, v3, 0x32a5705f, v6 :: v_dual_sub_f32 v5, v5, v9
	v_add_f32_e32 v5, v5, v6
	v_cvt_i32_f32_e32 v6, v9
	s_delay_alu instid0(VALU_DEP_2) | instskip(SKIP_2) | instid1(VALU_DEP_1)
	v_exp_f32_e32 v5, v5
	s_waitcnt_depctr 0xfff
	v_ldexp_f32 v5, v5, v6
	v_cndmask_b32_e32 v5, 0, v5, vcc_lo
	v_cmp_nlt_f32_e32 vcc_lo, 0x42b17218, v3
	s_delay_alu instid0(VALU_DEP_2) | instskip(NEXT) | instid1(VALU_DEP_1)
	v_cndmask_b32_e32 v3, 0x7f800000, v5, vcc_lo
	v_add_f32_e32 v9, 1.0, v3
	s_delay_alu instid0(VALU_DEP_1) | instskip(NEXT) | instid1(VALU_DEP_1)
	v_cvt_f64_f32_e32 v[5:6], v9
	v_frexp_exp_i32_f64_e32 v5, v[5:6]
	v_frexp_mant_f32_e32 v6, v9
	s_delay_alu instid0(VALU_DEP_1) | instskip(SKIP_1) | instid1(VALU_DEP_1)
	v_cmp_gt_f32_e32 vcc_lo, 0x3f2aaaab, v6
	v_add_f32_e32 v6, -1.0, v9
	v_dual_sub_f32 v11, v6, v9 :: v_dual_sub_f32 v6, v3, v6
	v_subrev_co_ci_u32_e32 v5, vcc_lo, 0, v5, vcc_lo
	s_delay_alu instid0(VALU_DEP_1) | instskip(SKIP_1) | instid1(VALU_DEP_2)
	v_sub_nc_u32_e32 v10, 0, v5
	v_cvt_f32_i32_e32 v5, v5
	v_ldexp_f32 v9, v9, v10
	s_delay_alu instid0(VALU_DEP_1) | instskip(NEXT) | instid1(VALU_DEP_1)
	v_dual_add_f32 v11, 1.0, v11 :: v_dual_add_f32 v12, 1.0, v9
	v_add_f32_e32 v6, v6, v11
	s_delay_alu instid0(VALU_DEP_1) | instskip(NEXT) | instid1(VALU_DEP_3)
	v_ldexp_f32 v6, v6, v10
	v_dual_add_f32 v10, -1.0, v9 :: v_dual_add_f32 v11, -1.0, v12
	s_delay_alu instid0(VALU_DEP_1) | instskip(NEXT) | instid1(VALU_DEP_2)
	v_add_f32_e32 v23, 1.0, v10
	v_sub_f32_e32 v11, v9, v11
	s_delay_alu instid0(VALU_DEP_2) | instskip(NEXT) | instid1(VALU_DEP_2)
	v_sub_f32_e32 v9, v9, v23
	v_add_f32_e32 v11, v6, v11
	s_delay_alu instid0(VALU_DEP_1) | instskip(NEXT) | instid1(VALU_DEP_1)
	v_dual_add_f32 v6, v6, v9 :: v_dual_add_f32 v23, v12, v11
	v_add_f32_e32 v24, v10, v6
	s_delay_alu instid0(VALU_DEP_2) | instskip(SKIP_2) | instid1(VALU_DEP_3)
	v_rcp_f32_e32 v9, v23
	v_sub_f32_e32 v12, v12, v23
	v_cmp_eq_f32_e32 vcc_lo, 0x7f800000, v3
	v_sub_f32_e32 v10, v10, v24
	s_delay_alu instid0(VALU_DEP_1) | instskip(SKIP_2) | instid1(VALU_DEP_1)
	v_dual_add_f32 v11, v11, v12 :: v_dual_add_f32 v6, v6, v10
	s_waitcnt_depctr 0xfff
	v_mul_f32_e32 v25, v24, v9
	v_mul_f32_e32 v26, v23, v25
	s_delay_alu instid0(VALU_DEP_1) | instskip(NEXT) | instid1(VALU_DEP_1)
	v_fma_f32 v12, v25, v23, -v26
	v_fmac_f32_e32 v12, v25, v11
	s_delay_alu instid0(VALU_DEP_1) | instskip(NEXT) | instid1(VALU_DEP_1)
	v_add_f32_e32 v27, v26, v12
	v_sub_f32_e32 v28, v24, v27
	v_sub_f32_e32 v10, v27, v26
	s_delay_alu instid0(VALU_DEP_2) | instskip(NEXT) | instid1(VALU_DEP_2)
	v_sub_f32_e32 v24, v24, v28
	v_sub_f32_e32 v10, v10, v12
	s_delay_alu instid0(VALU_DEP_2) | instskip(NEXT) | instid1(VALU_DEP_1)
	v_sub_f32_e32 v24, v24, v27
	v_add_f32_e32 v6, v6, v24
	s_delay_alu instid0(VALU_DEP_1) | instskip(NEXT) | instid1(VALU_DEP_1)
	v_add_f32_e32 v6, v10, v6
	v_add_f32_e32 v10, v28, v6
	s_delay_alu instid0(VALU_DEP_1) | instskip(NEXT) | instid1(VALU_DEP_1)
	v_mul_f32_e32 v12, v9, v10
	v_dual_sub_f32 v27, v28, v10 :: v_dual_mul_f32 v24, v23, v12
	s_delay_alu instid0(VALU_DEP_1) | instskip(NEXT) | instid1(VALU_DEP_1)
	v_fma_f32 v23, v12, v23, -v24
	v_fmac_f32_e32 v23, v12, v11
	s_delay_alu instid0(VALU_DEP_1) | instskip(NEXT) | instid1(VALU_DEP_4)
	v_add_f32_e32 v11, v24, v23
	v_add_f32_e32 v6, v6, v27
	s_delay_alu instid0(VALU_DEP_2) | instskip(SKIP_1) | instid1(VALU_DEP_2)
	v_sub_f32_e32 v26, v10, v11
	v_sub_f32_e32 v24, v11, v24
	;; [unrolled: 1-line block ×3, first 2 shown]
	s_delay_alu instid0(VALU_DEP_1) | instskip(NEXT) | instid1(VALU_DEP_1)
	v_sub_f32_e32 v10, v10, v11
	v_dual_sub_f32 v11, v24, v23 :: v_dual_add_f32 v6, v6, v10
	v_add_f32_e32 v10, v25, v12
	s_delay_alu instid0(VALU_DEP_1) | instskip(NEXT) | instid1(VALU_DEP_1)
	v_dual_add_f32 v6, v11, v6 :: v_dual_sub_f32 v11, v10, v25
	v_dual_add_f32 v6, v26, v6 :: v_dual_sub_f32 v11, v12, v11
	s_delay_alu instid0(VALU_DEP_1) | instskip(NEXT) | instid1(VALU_DEP_1)
	v_mul_f32_e32 v6, v9, v6
	v_add_f32_e32 v6, v11, v6
	s_delay_alu instid0(VALU_DEP_1) | instskip(NEXT) | instid1(VALU_DEP_1)
	v_add_f32_e32 v9, v10, v6
	v_mul_f32_e32 v11, v9, v9
	s_delay_alu instid0(VALU_DEP_1) | instskip(SKIP_2) | instid1(VALU_DEP_3)
	v_fmaak_f32 v12, s9, v11, 0x3ecc95a3
	v_mul_f32_e32 v23, v9, v11
	v_cmp_gt_f32_e64 s9, 0x33800000, |v3|
	v_fmaak_f32 v11, v11, v12, 0x3f2aaada
	v_ldexp_f32 v12, v9, 1
	s_delay_alu instid0(VALU_DEP_3) | instskip(NEXT) | instid1(VALU_DEP_2)
	s_or_b32 vcc_lo, vcc_lo, s9
	v_mul_f32_e32 v11, v23, v11
	v_sub_f32_e32 v9, v9, v10
	s_delay_alu instid0(VALU_DEP_2) | instskip(NEXT) | instid1(VALU_DEP_2)
	v_dual_mul_f32 v23, 0x3f317218, v5 :: v_dual_add_f32 v10, v12, v11
	v_sub_f32_e32 v6, v6, v9
	s_delay_alu instid0(VALU_DEP_2) | instskip(NEXT) | instid1(VALU_DEP_3)
	v_sub_f32_e32 v9, v10, v12
	v_fma_f32 v12, 0x3f317218, v5, -v23
	s_delay_alu instid0(VALU_DEP_3) | instskip(NEXT) | instid1(VALU_DEP_3)
	v_ldexp_f32 v6, v6, 1
	v_sub_f32_e32 v9, v11, v9
	s_delay_alu instid0(VALU_DEP_1) | instskip(NEXT) | instid1(VALU_DEP_1)
	v_dual_fmamk_f32 v5, v5, 0xb102e308, v12 :: v_dual_add_f32 v6, v6, v9
	v_add_f32_e32 v9, v23, v5
	s_delay_alu instid0(VALU_DEP_2) | instskip(NEXT) | instid1(VALU_DEP_2)
	v_add_f32_e32 v11, v10, v6
	v_sub_f32_e32 v23, v9, v23
	s_delay_alu instid0(VALU_DEP_2) | instskip(NEXT) | instid1(VALU_DEP_1)
	v_add_f32_e32 v12, v9, v11
	v_dual_sub_f32 v5, v5, v23 :: v_dual_sub_f32 v24, v12, v9
	s_delay_alu instid0(VALU_DEP_1) | instskip(NEXT) | instid1(VALU_DEP_1)
	v_sub_f32_e32 v25, v12, v24
	v_dual_sub_f32 v9, v9, v25 :: v_dual_sub_f32 v10, v11, v10
	s_delay_alu instid0(VALU_DEP_1) | instskip(NEXT) | instid1(VALU_DEP_1)
	v_sub_f32_e32 v6, v6, v10
	v_dual_sub_f32 v10, v11, v24 :: v_dual_add_f32 v11, v5, v6
	s_delay_alu instid0(VALU_DEP_1) | instskip(NEXT) | instid1(VALU_DEP_2)
	v_add_f32_e32 v9, v10, v9
	v_sub_f32_e32 v10, v11, v5
	s_delay_alu instid0(VALU_DEP_2) | instskip(NEXT) | instid1(VALU_DEP_2)
	v_add_f32_e32 v9, v11, v9
	v_sub_f32_e32 v11, v11, v10
	s_delay_alu instid0(VALU_DEP_1) | instskip(NEXT) | instid1(VALU_DEP_3)
	v_sub_f32_e32 v5, v5, v11
	v_dual_add_f32 v23, v12, v9 :: v_dual_sub_f32 v6, v6, v10
	s_delay_alu instid0(VALU_DEP_1) | instskip(NEXT) | instid1(VALU_DEP_1)
	v_dual_sub_f32 v10, v23, v12 :: v_dual_add_f32 v5, v6, v5
	v_sub_f32_e32 v6, v9, v10
	s_delay_alu instid0(VALU_DEP_1) | instskip(NEXT) | instid1(VALU_DEP_1)
	v_add_f32_e32 v5, v5, v6
	v_add_f32_e32 v5, v23, v5
	s_delay_alu instid0(VALU_DEP_1) | instskip(NEXT) | instid1(VALU_DEP_1)
	v_cndmask_b32_e32 v3, v5, v3, vcc_lo
	v_add_f32_e32 v3, v4, v3
.LBB126_138:
	s_or_b32 exec_lo, exec_lo, s7
	s_add_i32 s30, s28, 32
	s_mov_b32 s31, 0
	v_dual_mov_b32 v5, 0 :: v_dual_mov_b32 v4, 2
	s_lshl_b64 s[30:31], s[30:31], 3
	s_delay_alu instid0(SALU_CYCLE_1)
	s_add_u32 s30, s10, s30
	s_addc_u32 s31, s11, s31
	global_store_b64 v5, v[3:4], s[30:31]
.LBB126_139:
	s_or_b32 exec_lo, exec_lo, s8
	s_delay_alu instid0(SALU_CYCLE_1)
	s_and_b32 exec_lo, exec_lo, s3
	s_cbranch_execz .LBB126_141
; %bb.140:
	v_mov_b32_e32 v3, 0
	ds_store_b32 v3, v31
.LBB126_141:
	s_or_b32 exec_lo, exec_lo, s29
	v_dual_mov_b32 v3, 0 :: v_dual_mov_b32 v4, v1
	s_waitcnt lgkmcnt(0)
	s_waitcnt_vscnt null, 0x0
	s_barrier
	buffer_gl0_inv
	ds_load_b32 v3, v3
	s_and_saveexec_b32 s7, s2
	s_cbranch_execz .LBB126_145
; %bb.142:
	v_max_f32_e32 v4, v22, v22
	v_cmp_u_f32_e32 vcc_lo, v22, v22
	s_delay_alu instid0(VALU_DEP_2) | instskip(NEXT) | instid1(VALU_DEP_1)
	v_min_f32_e32 v5, v4, v21
	v_dual_max_f32 v4, v4, v21 :: v_dual_cndmask_b32 v5, v5, v22
	s_delay_alu instid0(VALU_DEP_1) | instskip(NEXT) | instid1(VALU_DEP_2)
	v_cndmask_b32_e32 v4, v4, v22, vcc_lo
	v_cndmask_b32_e64 v5, v5, v1, s6
	s_delay_alu instid0(VALU_DEP_2) | instskip(NEXT) | instid1(VALU_DEP_2)
	v_cndmask_b32_e64 v4, v4, v1, s6
	v_cmp_class_f32_e64 s6, v5, 0x1f8
	s_delay_alu instid0(VALU_DEP_2) | instskip(NEXT) | instid1(VALU_DEP_2)
	v_cmp_neq_f32_e32 vcc_lo, v5, v4
	s_or_b32 s8, vcc_lo, s6
	s_delay_alu instid0(SALU_CYCLE_1)
	s_and_saveexec_b32 s6, s8
	s_cbranch_execz .LBB126_144
; %bb.143:
	v_sub_f32_e32 v5, v5, v4
	s_mov_b32 s8, 0x3e9b6dac
	s_delay_alu instid0(VALU_DEP_1) | instskip(NEXT) | instid1(VALU_DEP_1)
	v_mul_f32_e32 v6, 0x3fb8aa3b, v5
	v_fma_f32 v9, 0x3fb8aa3b, v5, -v6
	v_rndne_f32_e32 v10, v6
	s_delay_alu instid0(VALU_DEP_1) | instskip(SKIP_1) | instid1(VALU_DEP_4)
	v_sub_f32_e32 v6, v6, v10
	v_cmp_ngt_f32_e32 vcc_lo, 0xc2ce8ed0, v5
	v_fmamk_f32 v9, v5, 0x32a5705f, v9
	s_delay_alu instid0(VALU_DEP_1) | instskip(SKIP_1) | instid1(VALU_DEP_2)
	v_add_f32_e32 v6, v6, v9
	v_cvt_i32_f32_e32 v9, v10
	v_exp_f32_e32 v6, v6
	s_waitcnt_depctr 0xfff
	v_ldexp_f32 v6, v6, v9
	s_delay_alu instid0(VALU_DEP_1) | instskip(SKIP_1) | instid1(VALU_DEP_2)
	v_cndmask_b32_e32 v6, 0, v6, vcc_lo
	v_cmp_nlt_f32_e32 vcc_lo, 0x42b17218, v5
	v_cndmask_b32_e32 v9, 0x7f800000, v6, vcc_lo
	s_delay_alu instid0(VALU_DEP_1) | instskip(NEXT) | instid1(VALU_DEP_1)
	v_add_f32_e32 v10, 1.0, v9
	v_cvt_f64_f32_e32 v[5:6], v10
	s_delay_alu instid0(VALU_DEP_1) | instskip(SKIP_1) | instid1(VALU_DEP_1)
	v_frexp_exp_i32_f64_e32 v5, v[5:6]
	v_frexp_mant_f32_e32 v6, v10
	v_cmp_gt_f32_e32 vcc_lo, 0x3f2aaaab, v6
	v_add_f32_e32 v6, -1.0, v10
	s_delay_alu instid0(VALU_DEP_1) | instskip(NEXT) | instid1(VALU_DEP_1)
	v_sub_f32_e32 v12, v6, v10
	v_add_f32_e32 v12, 1.0, v12
	v_sub_f32_e32 v6, v9, v6
	v_subrev_co_ci_u32_e32 v5, vcc_lo, 0, v5, vcc_lo
	v_cmp_eq_f32_e32 vcc_lo, 0x7f800000, v9
	s_delay_alu instid0(VALU_DEP_2) | instskip(SKIP_1) | instid1(VALU_DEP_2)
	v_sub_nc_u32_e32 v11, 0, v5
	v_cvt_f32_i32_e32 v5, v5
	v_ldexp_f32 v10, v10, v11
	s_delay_alu instid0(VALU_DEP_1) | instskip(NEXT) | instid1(VALU_DEP_1)
	v_dual_add_f32 v21, 1.0, v10 :: v_dual_add_f32 v6, v6, v12
	v_add_f32_e32 v12, -1.0, v21
	s_delay_alu instid0(VALU_DEP_2) | instskip(NEXT) | instid1(VALU_DEP_2)
	v_ldexp_f32 v6, v6, v11
	v_dual_add_f32 v11, -1.0, v10 :: v_dual_sub_f32 v12, v10, v12
	s_delay_alu instid0(VALU_DEP_1) | instskip(NEXT) | instid1(VALU_DEP_2)
	v_add_f32_e32 v22, 1.0, v11
	v_add_f32_e32 v12, v6, v12
	s_delay_alu instid0(VALU_DEP_2) | instskip(NEXT) | instid1(VALU_DEP_2)
	v_sub_f32_e32 v10, v10, v22
	v_add_f32_e32 v22, v21, v12
	s_delay_alu instid0(VALU_DEP_2) | instskip(NEXT) | instid1(VALU_DEP_2)
	v_add_f32_e32 v6, v6, v10
	v_rcp_f32_e32 v10, v22
	v_sub_f32_e32 v21, v21, v22
	s_delay_alu instid0(VALU_DEP_1) | instskip(NEXT) | instid1(VALU_DEP_1)
	v_dual_add_f32 v23, v11, v6 :: v_dual_add_f32 v12, v12, v21
	v_sub_f32_e32 v11, v11, v23
	s_waitcnt_depctr 0xfff
	v_mul_f32_e32 v24, v23, v10
	v_add_f32_e32 v6, v6, v11
	s_delay_alu instid0(VALU_DEP_2) | instskip(NEXT) | instid1(VALU_DEP_1)
	v_mul_f32_e32 v25, v22, v24
	v_fma_f32 v21, v24, v22, -v25
	s_delay_alu instid0(VALU_DEP_1) | instskip(NEXT) | instid1(VALU_DEP_1)
	v_fmac_f32_e32 v21, v24, v12
	v_add_f32_e32 v26, v25, v21
	s_delay_alu instid0(VALU_DEP_1) | instskip(SKIP_1) | instid1(VALU_DEP_2)
	v_sub_f32_e32 v27, v23, v26
	v_sub_f32_e32 v11, v26, v25
	;; [unrolled: 1-line block ×3, first 2 shown]
	s_delay_alu instid0(VALU_DEP_2) | instskip(NEXT) | instid1(VALU_DEP_2)
	v_sub_f32_e32 v11, v11, v21
	v_sub_f32_e32 v23, v23, v26
	s_delay_alu instid0(VALU_DEP_1) | instskip(NEXT) | instid1(VALU_DEP_1)
	v_add_f32_e32 v6, v6, v23
	v_add_f32_e32 v6, v11, v6
	s_delay_alu instid0(VALU_DEP_1) | instskip(NEXT) | instid1(VALU_DEP_1)
	v_add_f32_e32 v11, v27, v6
	v_mul_f32_e32 v21, v10, v11
	s_delay_alu instid0(VALU_DEP_1) | instskip(NEXT) | instid1(VALU_DEP_1)
	v_dual_sub_f32 v26, v27, v11 :: v_dual_mul_f32 v23, v22, v21
	v_add_f32_e32 v6, v6, v26
	s_delay_alu instid0(VALU_DEP_2) | instskip(NEXT) | instid1(VALU_DEP_1)
	v_fma_f32 v22, v21, v22, -v23
	v_fmac_f32_e32 v22, v21, v12
	s_delay_alu instid0(VALU_DEP_1) | instskip(NEXT) | instid1(VALU_DEP_1)
	v_add_f32_e32 v12, v23, v22
	v_sub_f32_e32 v25, v11, v12
	v_sub_f32_e32 v23, v12, v23
	s_delay_alu instid0(VALU_DEP_2) | instskip(NEXT) | instid1(VALU_DEP_1)
	v_sub_f32_e32 v11, v11, v25
	v_sub_f32_e32 v11, v11, v12
	s_delay_alu instid0(VALU_DEP_1) | instskip(NEXT) | instid1(VALU_DEP_4)
	v_dual_add_f32 v6, v6, v11 :: v_dual_add_f32 v11, v24, v21
	v_sub_f32_e32 v12, v23, v22
	s_delay_alu instid0(VALU_DEP_1) | instskip(NEXT) | instid1(VALU_DEP_3)
	v_add_f32_e32 v6, v12, v6
	v_sub_f32_e32 v12, v11, v24
	s_delay_alu instid0(VALU_DEP_2) | instskip(NEXT) | instid1(VALU_DEP_2)
	v_add_f32_e32 v6, v25, v6
	v_sub_f32_e32 v12, v21, v12
	s_delay_alu instid0(VALU_DEP_2) | instskip(NEXT) | instid1(VALU_DEP_1)
	v_mul_f32_e32 v6, v10, v6
	v_add_f32_e32 v6, v12, v6
	s_delay_alu instid0(VALU_DEP_1) | instskip(NEXT) | instid1(VALU_DEP_1)
	v_add_f32_e32 v10, v11, v6
	v_mul_f32_e32 v12, v10, v10
	s_delay_alu instid0(VALU_DEP_1) | instskip(SKIP_2) | instid1(VALU_DEP_3)
	v_fmaak_f32 v21, s8, v12, 0x3ecc95a3
	v_mul_f32_e32 v22, v10, v12
	v_cmp_gt_f32_e64 s8, 0x33800000, |v9|
	v_fmaak_f32 v12, v12, v21, 0x3f2aaada
	v_ldexp_f32 v21, v10, 1
	v_sub_f32_e32 v10, v10, v11
	s_delay_alu instid0(VALU_DEP_4) | instskip(NEXT) | instid1(VALU_DEP_3)
	s_or_b32 vcc_lo, vcc_lo, s8
	v_mul_f32_e32 v12, v22, v12
	v_mul_f32_e32 v22, 0x3f317218, v5
	s_delay_alu instid0(VALU_DEP_2) | instskip(NEXT) | instid1(VALU_DEP_1)
	v_dual_sub_f32 v6, v6, v10 :: v_dual_add_f32 v11, v21, v12
	v_ldexp_f32 v6, v6, 1
	s_delay_alu instid0(VALU_DEP_2) | instskip(NEXT) | instid1(VALU_DEP_4)
	v_sub_f32_e32 v10, v11, v21
	v_fma_f32 v21, 0x3f317218, v5, -v22
	s_delay_alu instid0(VALU_DEP_1) | instskip(NEXT) | instid1(VALU_DEP_1)
	v_dual_sub_f32 v10, v12, v10 :: v_dual_fmamk_f32 v5, v5, 0xb102e308, v21
	v_add_f32_e32 v6, v6, v10
	s_delay_alu instid0(VALU_DEP_2) | instskip(NEXT) | instid1(VALU_DEP_2)
	v_add_f32_e32 v10, v22, v5
	v_add_f32_e32 v12, v11, v6
	s_delay_alu instid0(VALU_DEP_2) | instskip(NEXT) | instid1(VALU_DEP_2)
	v_sub_f32_e32 v22, v10, v22
	v_add_f32_e32 v21, v10, v12
	v_sub_f32_e32 v11, v12, v11
	s_delay_alu instid0(VALU_DEP_3) | instskip(NEXT) | instid1(VALU_DEP_2)
	v_sub_f32_e32 v5, v5, v22
	v_dual_sub_f32 v23, v21, v10 :: v_dual_sub_f32 v6, v6, v11
	s_delay_alu instid0(VALU_DEP_1) | instskip(NEXT) | instid1(VALU_DEP_2)
	v_sub_f32_e32 v24, v21, v23
	v_dual_sub_f32 v11, v12, v23 :: v_dual_add_f32 v12, v5, v6
	s_delay_alu instid0(VALU_DEP_2) | instskip(NEXT) | instid1(VALU_DEP_1)
	v_sub_f32_e32 v10, v10, v24
	v_dual_add_f32 v10, v11, v10 :: v_dual_sub_f32 v11, v12, v5
	s_delay_alu instid0(VALU_DEP_1) | instskip(NEXT) | instid1(VALU_DEP_2)
	v_add_f32_e32 v10, v12, v10
	v_sub_f32_e32 v12, v12, v11
	v_sub_f32_e32 v6, v6, v11
	s_delay_alu instid0(VALU_DEP_3) | instskip(NEXT) | instid1(VALU_DEP_3)
	v_add_f32_e32 v22, v21, v10
	v_sub_f32_e32 v5, v5, v12
	s_delay_alu instid0(VALU_DEP_2) | instskip(NEXT) | instid1(VALU_DEP_2)
	v_sub_f32_e32 v11, v22, v21
	v_add_f32_e32 v5, v6, v5
	s_delay_alu instid0(VALU_DEP_2) | instskip(NEXT) | instid1(VALU_DEP_1)
	v_sub_f32_e32 v6, v10, v11
	v_add_f32_e32 v5, v5, v6
	s_delay_alu instid0(VALU_DEP_1) | instskip(NEXT) | instid1(VALU_DEP_1)
	v_add_f32_e32 v5, v22, v5
	v_cndmask_b32_e32 v5, v5, v9, vcc_lo
	s_delay_alu instid0(VALU_DEP_1)
	v_add_f32_e32 v22, v4, v5
.LBB126_144:
	s_or_b32 exec_lo, exec_lo, s6
	s_delay_alu instid0(VALU_DEP_1)
	v_mov_b32_e32 v4, v22
.LBB126_145:
	s_or_b32 exec_lo, exec_lo, s7
	s_waitcnt lgkmcnt(0)
	s_delay_alu instid0(VALU_DEP_1) | instskip(SKIP_1) | instid1(VALU_DEP_2)
	v_dual_max_f32 v5, v4, v4 :: v_dual_max_f32 v6, v3, v3
	v_cmp_u_f32_e32 vcc_lo, v3, v3
	v_min_f32_e32 v9, v6, v5
	s_delay_alu instid0(VALU_DEP_1) | instskip(NEXT) | instid1(VALU_DEP_1)
	v_dual_max_f32 v5, v6, v5 :: v_dual_cndmask_b32 v6, v9, v3
	v_cndmask_b32_e32 v9, v5, v3, vcc_lo
	v_cmp_u_f32_e32 vcc_lo, v4, v4
	s_delay_alu instid0(VALU_DEP_3) | instskip(NEXT) | instid1(VALU_DEP_3)
	v_cndmask_b32_e32 v5, v6, v4, vcc_lo
	v_cndmask_b32_e32 v4, v9, v4, vcc_lo
	s_delay_alu instid0(VALU_DEP_2) | instskip(NEXT) | instid1(VALU_DEP_2)
	v_cmp_class_f32_e64 s6, v5, 0x1f8
	v_cmp_neq_f32_e32 vcc_lo, v5, v4
	s_delay_alu instid0(VALU_DEP_2) | instskip(NEXT) | instid1(SALU_CYCLE_1)
	s_or_b32 s7, vcc_lo, s6
	s_and_saveexec_b32 s6, s7
	s_cbranch_execz .LBB126_147
; %bb.146:
	v_sub_f32_e32 v3, v5, v4
	s_mov_b32 s7, 0x3e9b6dac
	s_delay_alu instid0(VALU_DEP_1) | instskip(SKIP_1) | instid1(VALU_DEP_2)
	v_mul_f32_e32 v5, 0x3fb8aa3b, v3
	v_cmp_ngt_f32_e32 vcc_lo, 0xc2ce8ed0, v3
	v_fma_f32 v6, 0x3fb8aa3b, v3, -v5
	v_rndne_f32_e32 v9, v5
	s_delay_alu instid0(VALU_DEP_1) | instskip(NEXT) | instid1(VALU_DEP_1)
	v_dual_fmamk_f32 v6, v3, 0x32a5705f, v6 :: v_dual_sub_f32 v5, v5, v9
	v_add_f32_e32 v5, v5, v6
	v_cvt_i32_f32_e32 v6, v9
	s_delay_alu instid0(VALU_DEP_2) | instskip(SKIP_2) | instid1(VALU_DEP_1)
	v_exp_f32_e32 v5, v5
	s_waitcnt_depctr 0xfff
	v_ldexp_f32 v5, v5, v6
	v_cndmask_b32_e32 v5, 0, v5, vcc_lo
	v_cmp_nlt_f32_e32 vcc_lo, 0x42b17218, v3
	s_delay_alu instid0(VALU_DEP_2) | instskip(NEXT) | instid1(VALU_DEP_1)
	v_cndmask_b32_e32 v3, 0x7f800000, v5, vcc_lo
	v_add_f32_e32 v9, 1.0, v3
	s_delay_alu instid0(VALU_DEP_1) | instskip(NEXT) | instid1(VALU_DEP_1)
	v_cvt_f64_f32_e32 v[5:6], v9
	v_frexp_exp_i32_f64_e32 v5, v[5:6]
	v_frexp_mant_f32_e32 v6, v9
	s_delay_alu instid0(VALU_DEP_1) | instskip(SKIP_1) | instid1(VALU_DEP_1)
	v_cmp_gt_f32_e32 vcc_lo, 0x3f2aaaab, v6
	v_add_f32_e32 v6, -1.0, v9
	v_dual_sub_f32 v11, v6, v9 :: v_dual_sub_f32 v6, v3, v6
	v_subrev_co_ci_u32_e32 v5, vcc_lo, 0, v5, vcc_lo
	s_delay_alu instid0(VALU_DEP_1) | instskip(SKIP_1) | instid1(VALU_DEP_2)
	v_sub_nc_u32_e32 v10, 0, v5
	v_cvt_f32_i32_e32 v5, v5
	v_ldexp_f32 v9, v9, v10
	s_delay_alu instid0(VALU_DEP_1) | instskip(NEXT) | instid1(VALU_DEP_1)
	v_dual_add_f32 v11, 1.0, v11 :: v_dual_add_f32 v12, 1.0, v9
	v_add_f32_e32 v6, v6, v11
	s_delay_alu instid0(VALU_DEP_1) | instskip(NEXT) | instid1(VALU_DEP_3)
	v_ldexp_f32 v6, v6, v10
	v_dual_add_f32 v10, -1.0, v9 :: v_dual_add_f32 v11, -1.0, v12
	s_delay_alu instid0(VALU_DEP_1) | instskip(NEXT) | instid1(VALU_DEP_2)
	v_add_f32_e32 v21, 1.0, v10
	v_sub_f32_e32 v11, v9, v11
	s_delay_alu instid0(VALU_DEP_2) | instskip(NEXT) | instid1(VALU_DEP_2)
	v_sub_f32_e32 v9, v9, v21
	v_add_f32_e32 v11, v6, v11
	s_delay_alu instid0(VALU_DEP_2) | instskip(NEXT) | instid1(VALU_DEP_1)
	v_add_f32_e32 v6, v6, v9
	v_dual_add_f32 v22, v10, v6 :: v_dual_add_f32 v21, v12, v11
	v_cmp_eq_f32_e32 vcc_lo, 0x7f800000, v3
	s_delay_alu instid0(VALU_DEP_2) | instskip(NEXT) | instid1(VALU_DEP_3)
	v_sub_f32_e32 v10, v10, v22
	v_rcp_f32_e32 v9, v21
	v_sub_f32_e32 v12, v12, v21
	s_delay_alu instid0(VALU_DEP_1) | instskip(SKIP_2) | instid1(VALU_DEP_1)
	v_dual_add_f32 v6, v6, v10 :: v_dual_add_f32 v11, v11, v12
	s_waitcnt_depctr 0xfff
	v_mul_f32_e32 v23, v22, v9
	v_mul_f32_e32 v24, v21, v23
	s_delay_alu instid0(VALU_DEP_1) | instskip(NEXT) | instid1(VALU_DEP_1)
	v_fma_f32 v12, v23, v21, -v24
	v_fmac_f32_e32 v12, v23, v11
	s_delay_alu instid0(VALU_DEP_1) | instskip(NEXT) | instid1(VALU_DEP_1)
	v_add_f32_e32 v25, v24, v12
	v_sub_f32_e32 v26, v22, v25
	s_delay_alu instid0(VALU_DEP_1) | instskip(NEXT) | instid1(VALU_DEP_1)
	v_sub_f32_e32 v22, v22, v26
	v_sub_f32_e32 v22, v22, v25
	s_delay_alu instid0(VALU_DEP_1) | instskip(SKIP_1) | instid1(VALU_DEP_1)
	v_add_f32_e32 v6, v6, v22
	v_sub_f32_e32 v10, v25, v24
	v_sub_f32_e32 v10, v10, v12
	s_delay_alu instid0(VALU_DEP_1) | instskip(NEXT) | instid1(VALU_DEP_1)
	v_add_f32_e32 v6, v10, v6
	v_add_f32_e32 v10, v26, v6
	s_delay_alu instid0(VALU_DEP_1) | instskip(NEXT) | instid1(VALU_DEP_1)
	v_mul_f32_e32 v12, v9, v10
	v_dual_sub_f32 v25, v26, v10 :: v_dual_mul_f32 v22, v21, v12
	s_delay_alu instid0(VALU_DEP_1) | instskip(NEXT) | instid1(VALU_DEP_2)
	v_add_f32_e32 v6, v6, v25
	v_fma_f32 v21, v12, v21, -v22
	s_delay_alu instid0(VALU_DEP_1) | instskip(NEXT) | instid1(VALU_DEP_1)
	v_fmac_f32_e32 v21, v12, v11
	v_add_f32_e32 v11, v22, v21
	s_delay_alu instid0(VALU_DEP_1) | instskip(NEXT) | instid1(VALU_DEP_1)
	v_sub_f32_e32 v24, v10, v11
	v_sub_f32_e32 v10, v10, v24
	s_delay_alu instid0(VALU_DEP_1) | instskip(NEXT) | instid1(VALU_DEP_1)
	v_sub_f32_e32 v10, v10, v11
	v_add_f32_e32 v6, v6, v10
	v_add_f32_e32 v10, v23, v12
	v_sub_f32_e32 v22, v11, v22
	s_delay_alu instid0(VALU_DEP_1) | instskip(NEXT) | instid1(VALU_DEP_1)
	v_sub_f32_e32 v11, v22, v21
	v_dual_add_f32 v6, v11, v6 :: v_dual_sub_f32 v11, v10, v23
	s_delay_alu instid0(VALU_DEP_1) | instskip(NEXT) | instid1(VALU_DEP_1)
	v_add_f32_e32 v6, v24, v6
	v_dual_sub_f32 v11, v12, v11 :: v_dual_mul_f32 v6, v9, v6
	s_delay_alu instid0(VALU_DEP_1) | instskip(NEXT) | instid1(VALU_DEP_1)
	v_add_f32_e32 v6, v11, v6
	v_add_f32_e32 v9, v10, v6
	s_delay_alu instid0(VALU_DEP_1) | instskip(NEXT) | instid1(VALU_DEP_1)
	v_mul_f32_e32 v11, v9, v9
	v_fmaak_f32 v12, s7, v11, 0x3ecc95a3
	v_mul_f32_e32 v21, v9, v11
	v_cmp_gt_f32_e64 s7, 0x33800000, |v3|
	s_delay_alu instid0(VALU_DEP_3) | instskip(SKIP_2) | instid1(VALU_DEP_4)
	v_fmaak_f32 v11, v11, v12, 0x3f2aaada
	v_ldexp_f32 v12, v9, 1
	v_sub_f32_e32 v9, v9, v10
	s_or_b32 vcc_lo, vcc_lo, s7
	s_delay_alu instid0(VALU_DEP_3) | instskip(SKIP_1) | instid1(VALU_DEP_3)
	v_mul_f32_e32 v11, v21, v11
	v_mul_f32_e32 v21, 0x3f317218, v5
	v_sub_f32_e32 v6, v6, v9
	s_delay_alu instid0(VALU_DEP_3) | instskip(NEXT) | instid1(VALU_DEP_2)
	v_add_f32_e32 v10, v12, v11
	v_ldexp_f32 v6, v6, 1
	s_delay_alu instid0(VALU_DEP_2) | instskip(SKIP_1) | instid1(VALU_DEP_2)
	v_sub_f32_e32 v9, v10, v12
	v_fma_f32 v12, 0x3f317218, v5, -v21
	v_sub_f32_e32 v9, v11, v9
	s_delay_alu instid0(VALU_DEP_1) | instskip(NEXT) | instid1(VALU_DEP_1)
	v_dual_fmamk_f32 v5, v5, 0xb102e308, v12 :: v_dual_add_f32 v6, v6, v9
	v_add_f32_e32 v9, v21, v5
	s_delay_alu instid0(VALU_DEP_2) | instskip(NEXT) | instid1(VALU_DEP_1)
	v_add_f32_e32 v11, v10, v6
	v_add_f32_e32 v12, v9, v11
	s_delay_alu instid0(VALU_DEP_1) | instskip(SKIP_1) | instid1(VALU_DEP_2)
	v_sub_f32_e32 v22, v12, v9
	v_dual_sub_f32 v21, v9, v21 :: v_dual_sub_f32 v10, v11, v10
	v_sub_f32_e32 v23, v12, v22
	s_delay_alu instid0(VALU_DEP_1) | instskip(NEXT) | instid1(VALU_DEP_3)
	v_sub_f32_e32 v9, v9, v23
	v_dual_sub_f32 v5, v5, v21 :: v_dual_sub_f32 v6, v6, v10
	v_sub_f32_e32 v10, v11, v22
	s_delay_alu instid0(VALU_DEP_2) | instskip(NEXT) | instid1(VALU_DEP_2)
	v_add_f32_e32 v11, v5, v6
	v_add_f32_e32 v9, v10, v9
	s_delay_alu instid0(VALU_DEP_2) | instskip(NEXT) | instid1(VALU_DEP_2)
	v_sub_f32_e32 v10, v11, v5
	v_add_f32_e32 v9, v11, v9
	s_delay_alu instid0(VALU_DEP_1) | instskip(NEXT) | instid1(VALU_DEP_3)
	v_add_f32_e32 v21, v12, v9
	v_sub_f32_e32 v11, v11, v10
	s_delay_alu instid0(VALU_DEP_1) | instskip(NEXT) | instid1(VALU_DEP_1)
	v_dual_sub_f32 v5, v5, v11 :: v_dual_sub_f32 v6, v6, v10
	v_dual_sub_f32 v10, v21, v12 :: v_dual_add_f32 v5, v6, v5
	s_delay_alu instid0(VALU_DEP_1) | instskip(NEXT) | instid1(VALU_DEP_1)
	v_sub_f32_e32 v6, v9, v10
	v_add_f32_e32 v5, v5, v6
	s_delay_alu instid0(VALU_DEP_1) | instskip(NEXT) | instid1(VALU_DEP_1)
	v_add_f32_e32 v5, v21, v5
	v_cndmask_b32_e32 v3, v5, v3, vcc_lo
	s_delay_alu instid0(VALU_DEP_1)
	v_add_f32_e32 v3, v4, v3
.LBB126_147:
	s_or_b32 exec_lo, exec_lo, s6
	s_delay_alu instid0(VALU_DEP_1) | instskip(SKIP_1) | instid1(VALU_DEP_2)
	v_max_f32_e32 v4, v3, v3
	v_cmp_u_f32_e32 vcc_lo, v3, v3
	v_min_f32_e32 v5, v4, v18
	s_delay_alu instid0(VALU_DEP_1) | instskip(NEXT) | instid1(VALU_DEP_1)
	v_dual_max_f32 v4, v4, v18 :: v_dual_cndmask_b32 v5, v5, v3
	v_cndmask_b32_e32 v4, v4, v3, vcc_lo
	s_delay_alu instid0(VALU_DEP_2) | instskip(NEXT) | instid1(VALU_DEP_2)
	v_cndmask_b32_e64 v6, v5, v2, s1
	v_cndmask_b32_e64 v5, v4, v2, s1
	v_mov_b32_e32 v4, v3
	s_delay_alu instid0(VALU_DEP_3) | instskip(NEXT) | instid1(VALU_DEP_3)
	v_cmp_class_f32_e64 s1, v6, 0x1f8
	v_cmp_neq_f32_e32 vcc_lo, v6, v5
	s_delay_alu instid0(VALU_DEP_2) | instskip(NEXT) | instid1(SALU_CYCLE_1)
	s_or_b32 s6, vcc_lo, s1
	s_and_saveexec_b32 s1, s6
	s_cbranch_execz .LBB126_149
; %bb.148:
	v_sub_f32_e32 v4, v6, v5
	s_mov_b32 s6, 0x3e9b6dac
	s_delay_alu instid0(VALU_DEP_1) | instskip(SKIP_1) | instid1(VALU_DEP_2)
	v_mul_f32_e32 v6, 0x3fb8aa3b, v4
	v_cmp_ngt_f32_e32 vcc_lo, 0xc2ce8ed0, v4
	v_fma_f32 v9, 0x3fb8aa3b, v4, -v6
	v_rndne_f32_e32 v10, v6
	s_delay_alu instid0(VALU_DEP_1) | instskip(NEXT) | instid1(VALU_DEP_1)
	v_dual_fmamk_f32 v9, v4, 0x32a5705f, v9 :: v_dual_sub_f32 v6, v6, v10
	v_add_f32_e32 v6, v6, v9
	v_cvt_i32_f32_e32 v9, v10
	s_delay_alu instid0(VALU_DEP_2) | instskip(SKIP_2) | instid1(VALU_DEP_1)
	v_exp_f32_e32 v6, v6
	s_waitcnt_depctr 0xfff
	v_ldexp_f32 v6, v6, v9
	v_cndmask_b32_e32 v6, 0, v6, vcc_lo
	v_cmp_nlt_f32_e32 vcc_lo, 0x42b17218, v4
	s_delay_alu instid0(VALU_DEP_2) | instskip(NEXT) | instid1(VALU_DEP_1)
	v_cndmask_b32_e32 v4, 0x7f800000, v6, vcc_lo
	v_add_f32_e32 v6, 1.0, v4
	s_delay_alu instid0(VALU_DEP_1) | instskip(NEXT) | instid1(VALU_DEP_1)
	v_cvt_f64_f32_e32 v[9:10], v6
	v_frexp_exp_i32_f64_e32 v9, v[9:10]
	v_frexp_mant_f32_e32 v10, v6
	s_delay_alu instid0(VALU_DEP_1) | instskip(SKIP_1) | instid1(VALU_DEP_1)
	v_cmp_gt_f32_e32 vcc_lo, 0x3f2aaaab, v10
	v_add_f32_e32 v10, -1.0, v6
	v_sub_f32_e32 v12, v10, v6
	v_sub_f32_e32 v10, v4, v10
	v_subrev_co_ci_u32_e32 v9, vcc_lo, 0, v9, vcc_lo
	s_delay_alu instid0(VALU_DEP_1) | instskip(SKIP_1) | instid1(VALU_DEP_2)
	v_sub_nc_u32_e32 v11, 0, v9
	v_cvt_f32_i32_e32 v9, v9
	v_ldexp_f32 v6, v6, v11
	s_delay_alu instid0(VALU_DEP_1) | instskip(NEXT) | instid1(VALU_DEP_1)
	v_dual_add_f32 v12, 1.0, v12 :: v_dual_add_f32 v21, 1.0, v6
	v_add_f32_e32 v10, v10, v12
	s_delay_alu instid0(VALU_DEP_2) | instskip(NEXT) | instid1(VALU_DEP_2)
	v_add_f32_e32 v12, -1.0, v21
	v_ldexp_f32 v10, v10, v11
	s_delay_alu instid0(VALU_DEP_2) | instskip(NEXT) | instid1(VALU_DEP_1)
	v_dual_add_f32 v11, -1.0, v6 :: v_dual_sub_f32 v12, v6, v12
	v_add_f32_e32 v22, 1.0, v11
	s_delay_alu instid0(VALU_DEP_2) | instskip(NEXT) | instid1(VALU_DEP_2)
	v_add_f32_e32 v12, v10, v12
	v_sub_f32_e32 v6, v6, v22
	s_delay_alu instid0(VALU_DEP_2) | instskip(NEXT) | instid1(VALU_DEP_2)
	v_add_f32_e32 v22, v21, v12
	v_add_f32_e32 v6, v10, v6
	s_delay_alu instid0(VALU_DEP_2) | instskip(SKIP_1) | instid1(VALU_DEP_1)
	v_rcp_f32_e32 v10, v22
	v_sub_f32_e32 v21, v21, v22
	v_dual_add_f32 v23, v11, v6 :: v_dual_add_f32 v12, v12, v21
	s_delay_alu instid0(VALU_DEP_1) | instskip(SKIP_4) | instid1(VALU_DEP_2)
	v_sub_f32_e32 v11, v11, v23
	v_cmp_eq_f32_e32 vcc_lo, 0x7f800000, v4
	s_waitcnt_depctr 0xfff
	v_mul_f32_e32 v24, v23, v10
	v_add_f32_e32 v6, v6, v11
	v_mul_f32_e32 v25, v22, v24
	s_delay_alu instid0(VALU_DEP_1) | instskip(NEXT) | instid1(VALU_DEP_1)
	v_fma_f32 v21, v24, v22, -v25
	v_fmac_f32_e32 v21, v24, v12
	s_delay_alu instid0(VALU_DEP_1) | instskip(NEXT) | instid1(VALU_DEP_1)
	v_add_f32_e32 v26, v25, v21
	v_sub_f32_e32 v27, v23, v26
	v_sub_f32_e32 v11, v26, v25
	s_delay_alu instid0(VALU_DEP_2) | instskip(NEXT) | instid1(VALU_DEP_2)
	v_sub_f32_e32 v23, v23, v27
	v_sub_f32_e32 v11, v11, v21
	s_delay_alu instid0(VALU_DEP_2) | instskip(NEXT) | instid1(VALU_DEP_1)
	v_sub_f32_e32 v23, v23, v26
	v_add_f32_e32 v6, v6, v23
	s_delay_alu instid0(VALU_DEP_1) | instskip(NEXT) | instid1(VALU_DEP_1)
	v_add_f32_e32 v6, v11, v6
	v_add_f32_e32 v11, v27, v6
	s_delay_alu instid0(VALU_DEP_1) | instskip(NEXT) | instid1(VALU_DEP_1)
	v_mul_f32_e32 v21, v10, v11
	v_dual_sub_f32 v26, v27, v11 :: v_dual_mul_f32 v23, v22, v21
	s_delay_alu instid0(VALU_DEP_1) | instskip(NEXT) | instid1(VALU_DEP_2)
	v_add_f32_e32 v6, v6, v26
	v_fma_f32 v22, v21, v22, -v23
	s_delay_alu instid0(VALU_DEP_1) | instskip(NEXT) | instid1(VALU_DEP_1)
	v_fmac_f32_e32 v22, v21, v12
	v_add_f32_e32 v12, v23, v22
	s_delay_alu instid0(VALU_DEP_1) | instskip(SKIP_1) | instid1(VALU_DEP_2)
	v_sub_f32_e32 v25, v11, v12
	v_sub_f32_e32 v23, v12, v23
	;; [unrolled: 1-line block ×3, first 2 shown]
	s_delay_alu instid0(VALU_DEP_1) | instskip(NEXT) | instid1(VALU_DEP_3)
	v_sub_f32_e32 v11, v11, v12
	v_sub_f32_e32 v12, v23, v22
	s_delay_alu instid0(VALU_DEP_2) | instskip(NEXT) | instid1(VALU_DEP_1)
	v_dual_add_f32 v6, v6, v11 :: v_dual_add_f32 v11, v24, v21
	v_add_f32_e32 v6, v12, v6
	s_delay_alu instid0(VALU_DEP_2) | instskip(NEXT) | instid1(VALU_DEP_2)
	v_sub_f32_e32 v12, v11, v24
	v_add_f32_e32 v6, v25, v6
	s_delay_alu instid0(VALU_DEP_2) | instskip(NEXT) | instid1(VALU_DEP_2)
	v_sub_f32_e32 v12, v21, v12
	v_mul_f32_e32 v6, v10, v6
	s_delay_alu instid0(VALU_DEP_1) | instskip(NEXT) | instid1(VALU_DEP_1)
	v_add_f32_e32 v6, v12, v6
	v_add_f32_e32 v10, v11, v6
	s_delay_alu instid0(VALU_DEP_1) | instskip(NEXT) | instid1(VALU_DEP_1)
	v_mul_f32_e32 v12, v10, v10
	v_fmaak_f32 v21, s6, v12, 0x3ecc95a3
	v_mul_f32_e32 v22, v10, v12
	v_cmp_gt_f32_e64 s6, 0x33800000, |v4|
	s_delay_alu instid0(VALU_DEP_3) | instskip(SKIP_2) | instid1(VALU_DEP_4)
	v_fmaak_f32 v12, v12, v21, 0x3f2aaada
	v_ldexp_f32 v21, v10, 1
	v_sub_f32_e32 v10, v10, v11
	s_or_b32 vcc_lo, vcc_lo, s6
	s_delay_alu instid0(VALU_DEP_3) | instskip(SKIP_1) | instid1(VALU_DEP_2)
	v_mul_f32_e32 v12, v22, v12
	v_mul_f32_e32 v22, 0x3f317218, v9
	v_dual_sub_f32 v6, v6, v10 :: v_dual_add_f32 v11, v21, v12
	s_delay_alu instid0(VALU_DEP_1) | instskip(NEXT) | instid1(VALU_DEP_2)
	v_ldexp_f32 v6, v6, 1
	v_sub_f32_e32 v10, v11, v21
	s_delay_alu instid0(VALU_DEP_4) | instskip(NEXT) | instid1(VALU_DEP_1)
	v_fma_f32 v21, 0x3f317218, v9, -v22
	v_dual_sub_f32 v10, v12, v10 :: v_dual_fmamk_f32 v9, v9, 0xb102e308, v21
	s_delay_alu instid0(VALU_DEP_1) | instskip(NEXT) | instid1(VALU_DEP_2)
	v_add_f32_e32 v6, v6, v10
	v_add_f32_e32 v10, v22, v9
	s_delay_alu instid0(VALU_DEP_2) | instskip(NEXT) | instid1(VALU_DEP_2)
	v_add_f32_e32 v12, v11, v6
	v_sub_f32_e32 v22, v10, v22
	s_delay_alu instid0(VALU_DEP_2) | instskip(SKIP_1) | instid1(VALU_DEP_3)
	v_add_f32_e32 v21, v10, v12
	v_sub_f32_e32 v11, v12, v11
	v_sub_f32_e32 v9, v9, v22
	s_delay_alu instid0(VALU_DEP_2) | instskip(NEXT) | instid1(VALU_DEP_1)
	v_dual_sub_f32 v23, v21, v10 :: v_dual_sub_f32 v6, v6, v11
	v_sub_f32_e32 v24, v21, v23
	s_delay_alu instid0(VALU_DEP_2) | instskip(NEXT) | instid1(VALU_DEP_2)
	v_dual_sub_f32 v11, v12, v23 :: v_dual_add_f32 v12, v9, v6
	v_sub_f32_e32 v10, v10, v24
	s_delay_alu instid0(VALU_DEP_1) | instskip(NEXT) | instid1(VALU_DEP_1)
	v_dual_add_f32 v10, v11, v10 :: v_dual_sub_f32 v11, v12, v9
	v_add_f32_e32 v10, v12, v10
	s_delay_alu instid0(VALU_DEP_2) | instskip(SKIP_1) | instid1(VALU_DEP_3)
	v_sub_f32_e32 v12, v12, v11
	v_sub_f32_e32 v6, v6, v11
	v_add_f32_e32 v22, v21, v10
	s_delay_alu instid0(VALU_DEP_3) | instskip(NEXT) | instid1(VALU_DEP_2)
	v_sub_f32_e32 v9, v9, v12
	v_sub_f32_e32 v11, v22, v21
	s_delay_alu instid0(VALU_DEP_2) | instskip(NEXT) | instid1(VALU_DEP_2)
	v_add_f32_e32 v6, v6, v9
	v_sub_f32_e32 v9, v10, v11
	s_delay_alu instid0(VALU_DEP_1) | instskip(NEXT) | instid1(VALU_DEP_1)
	v_add_f32_e32 v6, v6, v9
	v_add_f32_e32 v6, v22, v6
	s_delay_alu instid0(VALU_DEP_1) | instskip(NEXT) | instid1(VALU_DEP_1)
	v_cndmask_b32_e32 v4, v6, v4, vcc_lo
	v_add_f32_e32 v4, v5, v4
.LBB126_149:
	s_or_b32 exec_lo, exec_lo, s1
	s_delay_alu instid0(VALU_DEP_1) | instskip(SKIP_1) | instid1(VALU_DEP_2)
	v_max_f32_e32 v5, v4, v4
	v_cmp_u_f32_e32 vcc_lo, v4, v4
	v_min_f32_e32 v6, v5, v19
	s_delay_alu instid0(VALU_DEP_1) | instskip(NEXT) | instid1(VALU_DEP_1)
	v_dual_max_f32 v5, v5, v19 :: v_dual_cndmask_b32 v6, v6, v4
	v_cndmask_b32_e32 v5, v5, v4, vcc_lo
	s_delay_alu instid0(VALU_DEP_2) | instskip(NEXT) | instid1(VALU_DEP_2)
	v_cndmask_b32_e64 v9, v6, v7, s4
	v_cndmask_b32_e64 v6, v5, v7, s4
	v_mov_b32_e32 v5, v4
	s_delay_alu instid0(VALU_DEP_3) | instskip(NEXT) | instid1(VALU_DEP_3)
	v_cmp_class_f32_e64 s1, v9, 0x1f8
	v_cmp_neq_f32_e32 vcc_lo, v9, v6
	s_delay_alu instid0(VALU_DEP_2) | instskip(NEXT) | instid1(SALU_CYCLE_1)
	s_or_b32 s4, vcc_lo, s1
	s_and_saveexec_b32 s1, s4
	s_cbranch_execz .LBB126_151
; %bb.150:
	v_sub_f32_e32 v5, v9, v6
	s_mov_b32 s4, 0x3e9b6dac
	s_delay_alu instid0(VALU_DEP_1) | instskip(SKIP_1) | instid1(VALU_DEP_2)
	v_mul_f32_e32 v9, 0x3fb8aa3b, v5
	v_cmp_ngt_f32_e32 vcc_lo, 0xc2ce8ed0, v5
	v_fma_f32 v10, 0x3fb8aa3b, v5, -v9
	v_rndne_f32_e32 v11, v9
	s_delay_alu instid0(VALU_DEP_2) | instskip(NEXT) | instid1(VALU_DEP_2)
	v_fmamk_f32 v10, v5, 0x32a5705f, v10
	v_sub_f32_e32 v9, v9, v11
	s_delay_alu instid0(VALU_DEP_1) | instskip(SKIP_1) | instid1(VALU_DEP_2)
	v_add_f32_e32 v9, v9, v10
	v_cvt_i32_f32_e32 v10, v11
	v_exp_f32_e32 v9, v9
	s_waitcnt_depctr 0xfff
	v_ldexp_f32 v9, v9, v10
	s_delay_alu instid0(VALU_DEP_1) | instskip(SKIP_1) | instid1(VALU_DEP_2)
	v_cndmask_b32_e32 v9, 0, v9, vcc_lo
	v_cmp_nlt_f32_e32 vcc_lo, 0x42b17218, v5
	v_cndmask_b32_e32 v5, 0x7f800000, v9, vcc_lo
	s_delay_alu instid0(VALU_DEP_1) | instskip(NEXT) | instid1(VALU_DEP_1)
	v_add_f32_e32 v11, 1.0, v5
	v_cvt_f64_f32_e32 v[9:10], v11
	s_delay_alu instid0(VALU_DEP_1) | instskip(SKIP_1) | instid1(VALU_DEP_1)
	v_frexp_exp_i32_f64_e32 v9, v[9:10]
	v_frexp_mant_f32_e32 v10, v11
	v_cmp_gt_f32_e32 vcc_lo, 0x3f2aaaab, v10
	v_add_f32_e32 v10, -1.0, v11
	s_delay_alu instid0(VALU_DEP_1) | instskip(NEXT) | instid1(VALU_DEP_1)
	v_dual_sub_f32 v19, v10, v11 :: v_dual_sub_f32 v10, v5, v10
	v_add_f32_e32 v19, 1.0, v19
	s_delay_alu instid0(VALU_DEP_1) | instskip(SKIP_1) | instid1(VALU_DEP_1)
	v_add_f32_e32 v10, v10, v19
	v_subrev_co_ci_u32_e32 v9, vcc_lo, 0, v9, vcc_lo
	v_sub_nc_u32_e32 v12, 0, v9
	v_cvt_f32_i32_e32 v9, v9
	s_delay_alu instid0(VALU_DEP_2) | instskip(SKIP_1) | instid1(VALU_DEP_2)
	v_ldexp_f32 v11, v11, v12
	v_ldexp_f32 v10, v10, v12
	v_add_f32_e32 v21, 1.0, v11
	v_add_f32_e32 v12, -1.0, v11
	v_cmp_eq_f32_e32 vcc_lo, 0x7f800000, v5
	s_delay_alu instid0(VALU_DEP_2) | instskip(NEXT) | instid1(VALU_DEP_1)
	v_dual_add_f32 v19, -1.0, v21 :: v_dual_add_f32 v22, 1.0, v12
	v_sub_f32_e32 v19, v11, v19
	s_delay_alu instid0(VALU_DEP_2) | instskip(NEXT) | instid1(VALU_DEP_2)
	v_sub_f32_e32 v11, v11, v22
	v_add_f32_e32 v19, v10, v19
	s_delay_alu instid0(VALU_DEP_2) | instskip(NEXT) | instid1(VALU_DEP_2)
	v_add_f32_e32 v10, v10, v11
	v_add_f32_e32 v22, v21, v19
	s_delay_alu instid0(VALU_DEP_1) | instskip(SKIP_1) | instid1(VALU_DEP_1)
	v_rcp_f32_e32 v11, v22
	v_sub_f32_e32 v21, v21, v22
	v_add_f32_e32 v19, v19, v21
	v_add_f32_e32 v23, v12, v10
	s_waitcnt_depctr 0xfff
	v_mul_f32_e32 v24, v23, v11
	s_delay_alu instid0(VALU_DEP_1) | instskip(NEXT) | instid1(VALU_DEP_1)
	v_dual_sub_f32 v12, v12, v23 :: v_dual_mul_f32 v25, v22, v24
	v_add_f32_e32 v10, v10, v12
	s_delay_alu instid0(VALU_DEP_2) | instskip(NEXT) | instid1(VALU_DEP_1)
	v_fma_f32 v21, v24, v22, -v25
	v_fmac_f32_e32 v21, v24, v19
	s_delay_alu instid0(VALU_DEP_1) | instskip(NEXT) | instid1(VALU_DEP_1)
	v_add_f32_e32 v26, v25, v21
	v_dual_sub_f32 v27, v23, v26 :: v_dual_sub_f32 v12, v26, v25
	s_delay_alu instid0(VALU_DEP_1) | instskip(NEXT) | instid1(VALU_DEP_1)
	v_dual_sub_f32 v23, v23, v27 :: v_dual_sub_f32 v12, v12, v21
	v_sub_f32_e32 v23, v23, v26
	s_delay_alu instid0(VALU_DEP_1) | instskip(NEXT) | instid1(VALU_DEP_1)
	v_add_f32_e32 v10, v10, v23
	v_add_f32_e32 v10, v12, v10
	s_delay_alu instid0(VALU_DEP_1) | instskip(NEXT) | instid1(VALU_DEP_1)
	v_add_f32_e32 v12, v27, v10
	v_mul_f32_e32 v21, v11, v12
	s_delay_alu instid0(VALU_DEP_1) | instskip(NEXT) | instid1(VALU_DEP_1)
	v_dual_sub_f32 v26, v27, v12 :: v_dual_mul_f32 v23, v22, v21
	v_add_f32_e32 v10, v10, v26
	s_delay_alu instid0(VALU_DEP_2) | instskip(NEXT) | instid1(VALU_DEP_1)
	v_fma_f32 v22, v21, v22, -v23
	v_fmac_f32_e32 v22, v21, v19
	s_delay_alu instid0(VALU_DEP_1) | instskip(NEXT) | instid1(VALU_DEP_1)
	v_add_f32_e32 v19, v23, v22
	v_sub_f32_e32 v25, v12, v19
	s_delay_alu instid0(VALU_DEP_1) | instskip(NEXT) | instid1(VALU_DEP_1)
	v_dual_sub_f32 v23, v19, v23 :: v_dual_sub_f32 v12, v12, v25
	v_dual_sub_f32 v12, v12, v19 :: v_dual_sub_f32 v19, v23, v22
	s_delay_alu instid0(VALU_DEP_1) | instskip(NEXT) | instid1(VALU_DEP_1)
	v_add_f32_e32 v10, v10, v12
	v_add_f32_e32 v10, v19, v10
	s_delay_alu instid0(VALU_DEP_1) | instskip(SKIP_1) | instid1(VALU_DEP_1)
	v_add_f32_e32 v10, v25, v10
	v_add_f32_e32 v12, v24, v21
	v_dual_mul_f32 v10, v11, v10 :: v_dual_sub_f32 v19, v12, v24
	s_delay_alu instid0(VALU_DEP_1) | instskip(NEXT) | instid1(VALU_DEP_1)
	v_sub_f32_e32 v19, v21, v19
	v_add_f32_e32 v10, v19, v10
	s_delay_alu instid0(VALU_DEP_1) | instskip(NEXT) | instid1(VALU_DEP_1)
	v_add_f32_e32 v11, v12, v10
	v_mul_f32_e32 v19, v11, v11
	s_delay_alu instid0(VALU_DEP_1) | instskip(SKIP_2) | instid1(VALU_DEP_3)
	v_fmaak_f32 v21, s4, v19, 0x3ecc95a3
	v_mul_f32_e32 v22, v11, v19
	v_cmp_gt_f32_e64 s4, 0x33800000, |v5|
	v_fmaak_f32 v19, v19, v21, 0x3f2aaada
	v_ldexp_f32 v21, v11, 1
	v_sub_f32_e32 v11, v11, v12
	s_delay_alu instid0(VALU_DEP_4) | instskip(NEXT) | instid1(VALU_DEP_3)
	s_or_b32 vcc_lo, vcc_lo, s4
	v_dual_mul_f32 v19, v22, v19 :: v_dual_mul_f32 v22, 0x3f317218, v9
	s_delay_alu instid0(VALU_DEP_2) | instskip(NEXT) | instid1(VALU_DEP_2)
	v_sub_f32_e32 v10, v10, v11
	v_add_f32_e32 v12, v21, v19
	s_delay_alu instid0(VALU_DEP_2) | instskip(NEXT) | instid1(VALU_DEP_2)
	v_ldexp_f32 v10, v10, 1
	v_sub_f32_e32 v11, v12, v21
	v_fma_f32 v21, 0x3f317218, v9, -v22
	s_delay_alu instid0(VALU_DEP_2) | instskip(NEXT) | instid1(VALU_DEP_1)
	v_sub_f32_e32 v11, v19, v11
	v_add_f32_e32 v10, v10, v11
	s_delay_alu instid0(VALU_DEP_1) | instskip(NEXT) | instid1(VALU_DEP_1)
	v_add_f32_e32 v19, v12, v10
	v_dual_fmamk_f32 v9, v9, 0xb102e308, v21 :: v_dual_sub_f32 v12, v19, v12
	s_delay_alu instid0(VALU_DEP_1) | instskip(NEXT) | instid1(VALU_DEP_1)
	v_add_f32_e32 v11, v22, v9
	v_dual_sub_f32 v10, v10, v12 :: v_dual_add_f32 v21, v11, v19
	s_delay_alu instid0(VALU_DEP_1) | instskip(NEXT) | instid1(VALU_DEP_1)
	v_sub_f32_e32 v23, v21, v11
	v_sub_f32_e32 v24, v21, v23
	;; [unrolled: 1-line block ×4, first 2 shown]
	s_delay_alu instid0(VALU_DEP_3) | instskip(NEXT) | instid1(VALU_DEP_2)
	v_sub_f32_e32 v11, v11, v24
	v_sub_f32_e32 v9, v9, v22
	s_delay_alu instid0(VALU_DEP_2) | instskip(NEXT) | instid1(VALU_DEP_2)
	v_add_f32_e32 v11, v12, v11
	v_add_f32_e32 v19, v9, v10
	s_delay_alu instid0(VALU_DEP_1) | instskip(NEXT) | instid1(VALU_DEP_3)
	v_sub_f32_e32 v12, v19, v9
	v_add_f32_e32 v11, v19, v11
	s_delay_alu instid0(VALU_DEP_1) | instskip(SKIP_1) | instid1(VALU_DEP_2)
	v_dual_sub_f32 v19, v19, v12 :: v_dual_add_f32 v22, v21, v11
	v_sub_f32_e32 v10, v10, v12
	v_dual_sub_f32 v12, v22, v21 :: v_dual_sub_f32 v9, v9, v19
	s_delay_alu instid0(VALU_DEP_1) | instskip(NEXT) | instid1(VALU_DEP_1)
	v_dual_add_f32 v9, v10, v9 :: v_dual_sub_f32 v10, v11, v12
	v_add_f32_e32 v9, v9, v10
	s_delay_alu instid0(VALU_DEP_1) | instskip(NEXT) | instid1(VALU_DEP_1)
	v_add_f32_e32 v9, v22, v9
	v_cndmask_b32_e32 v5, v9, v5, vcc_lo
	s_delay_alu instid0(VALU_DEP_1)
	v_add_f32_e32 v5, v6, v5
.LBB126_151:
	s_or_b32 exec_lo, exec_lo, s1
	s_delay_alu instid0(VALU_DEP_1) | instskip(SKIP_1) | instid1(VALU_DEP_2)
	v_max_f32_e32 v6, v5, v5
	v_cmp_u_f32_e32 vcc_lo, v5, v5
	v_min_f32_e32 v9, v6, v20
	s_delay_alu instid0(VALU_DEP_1) | instskip(NEXT) | instid1(VALU_DEP_1)
	v_dual_max_f32 v6, v6, v20 :: v_dual_cndmask_b32 v9, v9, v5
	v_cndmask_b32_e32 v6, v6, v5, vcc_lo
	s_delay_alu instid0(VALU_DEP_2) | instskip(NEXT) | instid1(VALU_DEP_2)
	v_cndmask_b32_e64 v10, v9, v8, s5
	v_cndmask_b32_e64 v9, v6, v8, s5
	v_mov_b32_e32 v6, v5
	s_delay_alu instid0(VALU_DEP_3) | instskip(NEXT) | instid1(VALU_DEP_3)
	v_cmp_class_f32_e64 s1, v10, 0x1f8
	v_cmp_neq_f32_e32 vcc_lo, v10, v9
	s_delay_alu instid0(VALU_DEP_2) | instskip(NEXT) | instid1(SALU_CYCLE_1)
	s_or_b32 s4, vcc_lo, s1
	s_and_saveexec_b32 s1, s4
	s_cbranch_execz .LBB126_153
; %bb.152:
	v_sub_f32_e32 v6, v10, v9
	s_mov_b32 s4, 0x3e9b6dac
	s_delay_alu instid0(VALU_DEP_1) | instskip(SKIP_1) | instid1(VALU_DEP_2)
	v_mul_f32_e32 v10, 0x3fb8aa3b, v6
	v_cmp_ngt_f32_e32 vcc_lo, 0xc2ce8ed0, v6
	v_fma_f32 v11, 0x3fb8aa3b, v6, -v10
	v_rndne_f32_e32 v12, v10
	s_delay_alu instid0(VALU_DEP_2) | instskip(NEXT) | instid1(VALU_DEP_2)
	v_fmamk_f32 v11, v6, 0x32a5705f, v11
	v_sub_f32_e32 v10, v10, v12
	s_delay_alu instid0(VALU_DEP_1) | instskip(SKIP_1) | instid1(VALU_DEP_2)
	v_add_f32_e32 v10, v10, v11
	v_cvt_i32_f32_e32 v11, v12
	v_exp_f32_e32 v10, v10
	s_waitcnt_depctr 0xfff
	v_ldexp_f32 v10, v10, v11
	s_delay_alu instid0(VALU_DEP_1) | instskip(SKIP_1) | instid1(VALU_DEP_2)
	v_cndmask_b32_e32 v10, 0, v10, vcc_lo
	v_cmp_nlt_f32_e32 vcc_lo, 0x42b17218, v6
	v_cndmask_b32_e32 v6, 0x7f800000, v10, vcc_lo
	s_delay_alu instid0(VALU_DEP_1) | instskip(NEXT) | instid1(VALU_DEP_1)
	v_add_f32_e32 v12, 1.0, v6
	v_cvt_f64_f32_e32 v[10:11], v12
	s_delay_alu instid0(VALU_DEP_1) | instskip(SKIP_1) | instid1(VALU_DEP_1)
	v_frexp_exp_i32_f64_e32 v10, v[10:11]
	v_frexp_mant_f32_e32 v11, v12
	v_cmp_gt_f32_e32 vcc_lo, 0x3f2aaaab, v11
	v_add_f32_e32 v11, -1.0, v12
	s_delay_alu instid0(VALU_DEP_1) | instskip(NEXT) | instid1(VALU_DEP_1)
	v_dual_sub_f32 v20, v11, v12 :: v_dual_sub_f32 v11, v6, v11
	v_add_f32_e32 v20, 1.0, v20
	s_delay_alu instid0(VALU_DEP_1) | instskip(SKIP_2) | instid1(VALU_DEP_2)
	v_add_f32_e32 v11, v11, v20
	v_subrev_co_ci_u32_e32 v10, vcc_lo, 0, v10, vcc_lo
	v_cmp_eq_f32_e32 vcc_lo, 0x7f800000, v6
	v_sub_nc_u32_e32 v19, 0, v10
	v_cvt_f32_i32_e32 v10, v10
	s_delay_alu instid0(VALU_DEP_2) | instskip(SKIP_1) | instid1(VALU_DEP_2)
	v_ldexp_f32 v12, v12, v19
	v_ldexp_f32 v11, v11, v19
	v_add_f32_e32 v21, 1.0, v12
	s_delay_alu instid0(VALU_DEP_1) | instskip(NEXT) | instid1(VALU_DEP_1)
	v_dual_add_f32 v19, -1.0, v12 :: v_dual_add_f32 v20, -1.0, v21
	v_add_f32_e32 v22, 1.0, v19
	s_delay_alu instid0(VALU_DEP_2) | instskip(NEXT) | instid1(VALU_DEP_2)
	v_sub_f32_e32 v20, v12, v20
	v_sub_f32_e32 v12, v12, v22
	s_delay_alu instid0(VALU_DEP_2) | instskip(NEXT) | instid1(VALU_DEP_2)
	v_add_f32_e32 v20, v11, v20
	v_add_f32_e32 v11, v11, v12
	s_delay_alu instid0(VALU_DEP_1) | instskip(NEXT) | instid1(VALU_DEP_1)
	v_add_f32_e32 v23, v19, v11
	v_dual_sub_f32 v19, v19, v23 :: v_dual_add_f32 v22, v21, v20
	s_delay_alu instid0(VALU_DEP_1) | instskip(NEXT) | instid1(VALU_DEP_2)
	v_add_f32_e32 v11, v11, v19
	v_rcp_f32_e32 v12, v22
	v_sub_f32_e32 v21, v21, v22
	s_delay_alu instid0(VALU_DEP_1) | instskip(SKIP_2) | instid1(VALU_DEP_1)
	v_add_f32_e32 v20, v20, v21
	s_waitcnt_depctr 0xfff
	v_mul_f32_e32 v24, v23, v12
	v_mul_f32_e32 v25, v22, v24
	s_delay_alu instid0(VALU_DEP_1) | instskip(NEXT) | instid1(VALU_DEP_1)
	v_fma_f32 v21, v24, v22, -v25
	v_fmac_f32_e32 v21, v24, v20
	s_delay_alu instid0(VALU_DEP_1) | instskip(NEXT) | instid1(VALU_DEP_1)
	v_add_f32_e32 v26, v25, v21
	v_sub_f32_e32 v27, v23, v26
	s_delay_alu instid0(VALU_DEP_1) | instskip(NEXT) | instid1(VALU_DEP_1)
	v_sub_f32_e32 v23, v23, v27
	v_sub_f32_e32 v23, v23, v26
	s_delay_alu instid0(VALU_DEP_1) | instskip(SKIP_1) | instid1(VALU_DEP_1)
	v_add_f32_e32 v11, v11, v23
	v_sub_f32_e32 v19, v26, v25
	v_sub_f32_e32 v19, v19, v21
	s_delay_alu instid0(VALU_DEP_1) | instskip(NEXT) | instid1(VALU_DEP_1)
	v_add_f32_e32 v11, v19, v11
	v_add_f32_e32 v19, v27, v11
	s_delay_alu instid0(VALU_DEP_1) | instskip(NEXT) | instid1(VALU_DEP_1)
	v_mul_f32_e32 v21, v12, v19
	v_dual_sub_f32 v26, v27, v19 :: v_dual_mul_f32 v23, v22, v21
	s_delay_alu instid0(VALU_DEP_1) | instskip(NEXT) | instid1(VALU_DEP_2)
	v_add_f32_e32 v11, v11, v26
	v_fma_f32 v22, v21, v22, -v23
	s_delay_alu instid0(VALU_DEP_1) | instskip(NEXT) | instid1(VALU_DEP_1)
	v_fmac_f32_e32 v22, v21, v20
	v_add_f32_e32 v20, v23, v22
	s_delay_alu instid0(VALU_DEP_1) | instskip(NEXT) | instid1(VALU_DEP_1)
	v_sub_f32_e32 v25, v19, v20
	v_sub_f32_e32 v19, v19, v25
	s_delay_alu instid0(VALU_DEP_1) | instskip(NEXT) | instid1(VALU_DEP_1)
	v_sub_f32_e32 v19, v19, v20
	v_add_f32_e32 v11, v11, v19
	v_add_f32_e32 v19, v24, v21
	v_sub_f32_e32 v23, v20, v23
	s_delay_alu instid0(VALU_DEP_1) | instskip(NEXT) | instid1(VALU_DEP_1)
	v_sub_f32_e32 v20, v23, v22
	v_dual_add_f32 v11, v20, v11 :: v_dual_sub_f32 v20, v19, v24
	s_delay_alu instid0(VALU_DEP_1) | instskip(NEXT) | instid1(VALU_DEP_1)
	v_add_f32_e32 v11, v25, v11
	v_dual_sub_f32 v20, v21, v20 :: v_dual_mul_f32 v11, v12, v11
	s_delay_alu instid0(VALU_DEP_1) | instskip(NEXT) | instid1(VALU_DEP_1)
	v_add_f32_e32 v11, v20, v11
	v_add_f32_e32 v12, v19, v11
	s_delay_alu instid0(VALU_DEP_1) | instskip(NEXT) | instid1(VALU_DEP_1)
	v_mul_f32_e32 v20, v12, v12
	v_fmaak_f32 v21, s4, v20, 0x3ecc95a3
	v_mul_f32_e32 v22, v12, v20
	v_cmp_gt_f32_e64 s4, 0x33800000, |v6|
	s_delay_alu instid0(VALU_DEP_3) | instskip(SKIP_1) | instid1(VALU_DEP_3)
	v_fmaak_f32 v20, v20, v21, 0x3f2aaada
	v_ldexp_f32 v21, v12, 1
	s_or_b32 vcc_lo, vcc_lo, s4
	s_delay_alu instid0(VALU_DEP_2) | instskip(SKIP_1) | instid1(VALU_DEP_2)
	v_mul_f32_e32 v20, v22, v20
	v_sub_f32_e32 v12, v12, v19
	v_dual_mul_f32 v22, 0x3f317218, v10 :: v_dual_add_f32 v19, v21, v20
	s_delay_alu instid0(VALU_DEP_2) | instskip(NEXT) | instid1(VALU_DEP_2)
	v_sub_f32_e32 v11, v11, v12
	v_sub_f32_e32 v12, v19, v21
	s_delay_alu instid0(VALU_DEP_3) | instskip(NEXT) | instid1(VALU_DEP_3)
	v_fma_f32 v21, 0x3f317218, v10, -v22
	v_ldexp_f32 v11, v11, 1
	s_delay_alu instid0(VALU_DEP_3) | instskip(NEXT) | instid1(VALU_DEP_1)
	v_sub_f32_e32 v12, v20, v12
	v_dual_fmamk_f32 v10, v10, 0xb102e308, v21 :: v_dual_add_f32 v11, v11, v12
	s_delay_alu instid0(VALU_DEP_1) | instskip(NEXT) | instid1(VALU_DEP_2)
	v_add_f32_e32 v12, v22, v10
	v_add_f32_e32 v20, v19, v11
	s_delay_alu instid0(VALU_DEP_2) | instskip(NEXT) | instid1(VALU_DEP_1)
	v_sub_f32_e32 v22, v12, v22
	v_dual_sub_f32 v10, v10, v22 :: v_dual_add_f32 v21, v12, v20
	s_delay_alu instid0(VALU_DEP_1) | instskip(SKIP_1) | instid1(VALU_DEP_2)
	v_sub_f32_e32 v23, v21, v12
	v_sub_f32_e32 v19, v20, v19
	;; [unrolled: 1-line block ×3, first 2 shown]
	s_delay_alu instid0(VALU_DEP_2) | instskip(SKIP_1) | instid1(VALU_DEP_3)
	v_sub_f32_e32 v11, v11, v19
	v_sub_f32_e32 v19, v20, v23
	;; [unrolled: 1-line block ×3, first 2 shown]
	s_delay_alu instid0(VALU_DEP_3) | instskip(NEXT) | instid1(VALU_DEP_1)
	v_add_f32_e32 v20, v10, v11
	v_dual_add_f32 v12, v19, v12 :: v_dual_sub_f32 v19, v20, v10
	s_delay_alu instid0(VALU_DEP_1) | instskip(NEXT) | instid1(VALU_DEP_1)
	v_dual_add_f32 v12, v20, v12 :: v_dual_sub_f32 v11, v11, v19
	v_add_f32_e32 v22, v21, v12
	s_delay_alu instid0(VALU_DEP_1) | instskip(NEXT) | instid1(VALU_DEP_1)
	v_dual_sub_f32 v20, v20, v19 :: v_dual_sub_f32 v19, v22, v21
	v_sub_f32_e32 v10, v10, v20
	s_delay_alu instid0(VALU_DEP_1) | instskip(NEXT) | instid1(VALU_DEP_1)
	v_dual_add_f32 v10, v11, v10 :: v_dual_sub_f32 v11, v12, v19
	v_add_f32_e32 v10, v10, v11
	s_delay_alu instid0(VALU_DEP_1) | instskip(NEXT) | instid1(VALU_DEP_1)
	v_add_f32_e32 v10, v22, v10
	v_cndmask_b32_e32 v6, v10, v6, vcc_lo
	s_delay_alu instid0(VALU_DEP_1)
	v_add_f32_e32 v6, v9, v6
.LBB126_153:
	s_or_b32 exec_lo, exec_lo, s1
	s_branch .LBB126_232
.LBB126_154:
                                        ; implicit-def: $vgpr3_vgpr4_vgpr5_vgpr6
	s_cbranch_execz .LBB126_232
; %bb.155:
	s_cmp_lg_u64 s[16:17], 0
	v_mov_b32_e32 v6, v4
	v_dual_mov_b32 v5, v3 :: v_dual_mov_b32 v4, v2
	v_mov_b32_e32 v3, v1
	s_cselect_b32 s1, -1, 0
	s_delay_alu instid0(SALU_CYCLE_1) | instskip(NEXT) | instid1(SALU_CYCLE_1)
	s_and_b32 s4, s3, s1
	s_and_saveexec_b32 s1, s4
	s_cbranch_execz .LBB126_159
; %bb.156:
	v_dual_mov_b32 v3, 0 :: v_dual_max_f32 v4, v1, v1
	global_load_b32 v3, v3, s[12:13]
	s_waitcnt vmcnt(0)
	v_max_f32_e32 v5, v3, v3
	v_cmp_u_f32_e32 vcc_lo, v3, v3
	s_delay_alu instid0(VALU_DEP_2) | instskip(NEXT) | instid1(VALU_DEP_1)
	v_min_f32_e32 v6, v5, v4
	v_dual_max_f32 v4, v5, v4 :: v_dual_cndmask_b32 v5, v6, v3
	s_delay_alu instid0(VALU_DEP_1) | instskip(SKIP_1) | instid1(VALU_DEP_3)
	v_cndmask_b32_e32 v6, v4, v3, vcc_lo
	v_cmp_u_f32_e32 vcc_lo, v1, v1
	v_cndmask_b32_e32 v4, v5, v1, vcc_lo
	s_delay_alu instid0(VALU_DEP_3) | instskip(NEXT) | instid1(VALU_DEP_2)
	v_cndmask_b32_e32 v1, v6, v1, vcc_lo
	v_cmp_class_f32_e64 s4, v4, 0x1f8
	s_delay_alu instid0(VALU_DEP_2) | instskip(NEXT) | instid1(VALU_DEP_2)
	v_cmp_neq_f32_e32 vcc_lo, v4, v1
	s_or_b32 s5, vcc_lo, s4
	s_delay_alu instid0(SALU_CYCLE_1)
	s_and_saveexec_b32 s4, s5
	s_cbranch_execz .LBB126_158
; %bb.157:
	v_sub_f32_e32 v3, v4, v1
	s_mov_b32 s5, 0x3e9b6dac
	s_delay_alu instid0(VALU_DEP_1) | instskip(SKIP_1) | instid1(VALU_DEP_2)
	v_mul_f32_e32 v4, 0x3fb8aa3b, v3
	v_cmp_ngt_f32_e32 vcc_lo, 0xc2ce8ed0, v3
	v_fma_f32 v5, 0x3fb8aa3b, v3, -v4
	v_rndne_f32_e32 v6, v4
	s_delay_alu instid0(VALU_DEP_1) | instskip(NEXT) | instid1(VALU_DEP_1)
	v_dual_fmamk_f32 v5, v3, 0x32a5705f, v5 :: v_dual_sub_f32 v4, v4, v6
	v_add_f32_e32 v4, v4, v5
	v_cvt_i32_f32_e32 v5, v6
	s_delay_alu instid0(VALU_DEP_2) | instskip(SKIP_2) | instid1(VALU_DEP_1)
	v_exp_f32_e32 v4, v4
	s_waitcnt_depctr 0xfff
	v_ldexp_f32 v4, v4, v5
	v_cndmask_b32_e32 v4, 0, v4, vcc_lo
	v_cmp_nlt_f32_e32 vcc_lo, 0x42b17218, v3
	s_delay_alu instid0(VALU_DEP_2) | instskip(NEXT) | instid1(VALU_DEP_1)
	v_cndmask_b32_e32 v5, 0x7f800000, v4, vcc_lo
	v_add_f32_e32 v6, 1.0, v5
	s_delay_alu instid0(VALU_DEP_1) | instskip(NEXT) | instid1(VALU_DEP_1)
	v_cvt_f64_f32_e32 v[3:4], v6
	v_frexp_exp_i32_f64_e32 v3, v[3:4]
	v_frexp_mant_f32_e32 v4, v6
	s_delay_alu instid0(VALU_DEP_1) | instskip(SKIP_1) | instid1(VALU_DEP_1)
	v_cmp_gt_f32_e32 vcc_lo, 0x3f2aaaab, v4
	v_add_f32_e32 v4, -1.0, v6
	v_sub_f32_e32 v10, v4, v6
	v_sub_f32_e32 v4, v5, v4
	s_delay_alu instid0(VALU_DEP_2) | instskip(NEXT) | instid1(VALU_DEP_1)
	v_add_f32_e32 v10, 1.0, v10
	v_add_f32_e32 v4, v4, v10
	v_subrev_co_ci_u32_e32 v3, vcc_lo, 0, v3, vcc_lo
	v_cmp_eq_f32_e32 vcc_lo, 0x7f800000, v5
	s_delay_alu instid0(VALU_DEP_2) | instskip(SKIP_1) | instid1(VALU_DEP_2)
	v_sub_nc_u32_e32 v9, 0, v3
	v_cvt_f32_i32_e32 v3, v3
	v_ldexp_f32 v6, v6, v9
	v_ldexp_f32 v4, v4, v9
	s_delay_alu instid0(VALU_DEP_2) | instskip(NEXT) | instid1(VALU_DEP_1)
	v_add_f32_e32 v11, 1.0, v6
	v_dual_add_f32 v9, -1.0, v6 :: v_dual_add_f32 v10, -1.0, v11
	s_delay_alu instid0(VALU_DEP_1) | instskip(NEXT) | instid1(VALU_DEP_2)
	v_add_f32_e32 v12, 1.0, v9
	v_sub_f32_e32 v10, v6, v10
	s_delay_alu instid0(VALU_DEP_2) | instskip(NEXT) | instid1(VALU_DEP_2)
	v_sub_f32_e32 v6, v6, v12
	v_add_f32_e32 v10, v4, v10
	s_delay_alu instid0(VALU_DEP_2) | instskip(NEXT) | instid1(VALU_DEP_1)
	v_add_f32_e32 v4, v4, v6
	v_dual_add_f32 v12, v11, v10 :: v_dual_add_f32 v19, v9, v4
	s_delay_alu instid0(VALU_DEP_1) | instskip(SKIP_1) | instid1(VALU_DEP_2)
	v_rcp_f32_e32 v6, v12
	v_sub_f32_e32 v11, v11, v12
	v_sub_f32_e32 v9, v9, v19
	s_delay_alu instid0(VALU_DEP_2) | instskip(NEXT) | instid1(VALU_DEP_2)
	v_add_f32_e32 v10, v10, v11
	v_add_f32_e32 v4, v4, v9
	s_waitcnt_depctr 0xfff
	v_mul_f32_e32 v20, v19, v6
	s_delay_alu instid0(VALU_DEP_1) | instskip(NEXT) | instid1(VALU_DEP_1)
	v_mul_f32_e32 v21, v12, v20
	v_fma_f32 v11, v20, v12, -v21
	s_delay_alu instid0(VALU_DEP_1) | instskip(NEXT) | instid1(VALU_DEP_1)
	v_fmac_f32_e32 v11, v20, v10
	v_add_f32_e32 v22, v21, v11
	s_delay_alu instid0(VALU_DEP_1) | instskip(SKIP_1) | instid1(VALU_DEP_2)
	v_sub_f32_e32 v23, v19, v22
	v_sub_f32_e32 v9, v22, v21
	;; [unrolled: 1-line block ×3, first 2 shown]
	s_delay_alu instid0(VALU_DEP_2) | instskip(NEXT) | instid1(VALU_DEP_2)
	v_sub_f32_e32 v9, v9, v11
	v_sub_f32_e32 v19, v19, v22
	s_delay_alu instid0(VALU_DEP_1) | instskip(NEXT) | instid1(VALU_DEP_1)
	v_add_f32_e32 v4, v4, v19
	v_add_f32_e32 v4, v9, v4
	s_delay_alu instid0(VALU_DEP_1) | instskip(NEXT) | instid1(VALU_DEP_1)
	v_add_f32_e32 v9, v23, v4
	v_mul_f32_e32 v11, v6, v9
	s_delay_alu instid0(VALU_DEP_1) | instskip(NEXT) | instid1(VALU_DEP_1)
	v_dual_sub_f32 v22, v23, v9 :: v_dual_mul_f32 v19, v12, v11
	v_fma_f32 v12, v11, v12, -v19
	s_delay_alu instid0(VALU_DEP_1) | instskip(NEXT) | instid1(VALU_DEP_1)
	v_fmac_f32_e32 v12, v11, v10
	v_add_f32_e32 v10, v19, v12
	s_delay_alu instid0(VALU_DEP_1) | instskip(SKIP_1) | instid1(VALU_DEP_2)
	v_sub_f32_e32 v21, v9, v10
	v_dual_sub_f32 v19, v10, v19 :: v_dual_add_f32 v4, v4, v22
	v_sub_f32_e32 v9, v9, v21
	s_delay_alu instid0(VALU_DEP_1) | instskip(NEXT) | instid1(VALU_DEP_1)
	v_sub_f32_e32 v9, v9, v10
	v_add_f32_e32 v4, v4, v9
	s_delay_alu instid0(VALU_DEP_4) | instskip(NEXT) | instid1(VALU_DEP_1)
	v_dual_add_f32 v9, v20, v11 :: v_dual_sub_f32 v10, v19, v12
	v_add_f32_e32 v4, v10, v4
	s_delay_alu instid0(VALU_DEP_2) | instskip(NEXT) | instid1(VALU_DEP_2)
	v_sub_f32_e32 v10, v9, v20
	v_add_f32_e32 v4, v21, v4
	s_delay_alu instid0(VALU_DEP_2) | instskip(NEXT) | instid1(VALU_DEP_2)
	v_sub_f32_e32 v10, v11, v10
	v_mul_f32_e32 v4, v6, v4
	s_delay_alu instid0(VALU_DEP_1) | instskip(NEXT) | instid1(VALU_DEP_1)
	v_add_f32_e32 v4, v10, v4
	v_add_f32_e32 v6, v9, v4
	s_delay_alu instid0(VALU_DEP_1) | instskip(NEXT) | instid1(VALU_DEP_1)
	v_mul_f32_e32 v10, v6, v6
	v_fmaak_f32 v11, s5, v10, 0x3ecc95a3
	v_mul_f32_e32 v12, v6, v10
	v_cmp_gt_f32_e64 s5, 0x33800000, |v5|
	s_delay_alu instid0(VALU_DEP_3) | instskip(SKIP_2) | instid1(VALU_DEP_4)
	v_fmaak_f32 v10, v10, v11, 0x3f2aaada
	v_ldexp_f32 v11, v6, 1
	v_sub_f32_e32 v6, v6, v9
	s_or_b32 vcc_lo, vcc_lo, s5
	s_delay_alu instid0(VALU_DEP_3) | instskip(SKIP_1) | instid1(VALU_DEP_3)
	v_mul_f32_e32 v10, v12, v10
	v_mul_f32_e32 v12, 0x3f317218, v3
	v_sub_f32_e32 v4, v4, v6
	s_delay_alu instid0(VALU_DEP_3) | instskip(NEXT) | instid1(VALU_DEP_2)
	v_add_f32_e32 v9, v11, v10
	v_ldexp_f32 v4, v4, 1
	s_delay_alu instid0(VALU_DEP_2) | instskip(SKIP_1) | instid1(VALU_DEP_1)
	v_sub_f32_e32 v6, v9, v11
	v_fma_f32 v11, 0x3f317218, v3, -v12
	v_dual_sub_f32 v6, v10, v6 :: v_dual_fmamk_f32 v3, v3, 0xb102e308, v11
	s_delay_alu instid0(VALU_DEP_1) | instskip(NEXT) | instid1(VALU_DEP_2)
	v_add_f32_e32 v4, v4, v6
	v_add_f32_e32 v6, v12, v3
	s_delay_alu instid0(VALU_DEP_2) | instskip(NEXT) | instid1(VALU_DEP_2)
	v_add_f32_e32 v10, v9, v4
	v_sub_f32_e32 v12, v6, v12
	s_delay_alu instid0(VALU_DEP_2) | instskip(SKIP_1) | instid1(VALU_DEP_3)
	v_add_f32_e32 v11, v6, v10
	v_sub_f32_e32 v9, v10, v9
	v_sub_f32_e32 v3, v3, v12
	s_delay_alu instid0(VALU_DEP_2) | instskip(NEXT) | instid1(VALU_DEP_1)
	v_dual_sub_f32 v19, v11, v6 :: v_dual_sub_f32 v4, v4, v9
	v_sub_f32_e32 v20, v11, v19
	s_delay_alu instid0(VALU_DEP_2) | instskip(NEXT) | instid1(VALU_DEP_2)
	v_dual_sub_f32 v9, v10, v19 :: v_dual_add_f32 v10, v3, v4
	v_sub_f32_e32 v6, v6, v20
	s_delay_alu instid0(VALU_DEP_1) | instskip(NEXT) | instid1(VALU_DEP_1)
	v_dual_add_f32 v6, v9, v6 :: v_dual_sub_f32 v9, v10, v3
	v_add_f32_e32 v6, v10, v6
	s_delay_alu instid0(VALU_DEP_2) | instskip(SKIP_1) | instid1(VALU_DEP_3)
	v_sub_f32_e32 v10, v10, v9
	v_sub_f32_e32 v4, v4, v9
	v_add_f32_e32 v12, v11, v6
	s_delay_alu instid0(VALU_DEP_3) | instskip(NEXT) | instid1(VALU_DEP_2)
	v_sub_f32_e32 v3, v3, v10
	v_sub_f32_e32 v9, v12, v11
	s_delay_alu instid0(VALU_DEP_1) | instskip(NEXT) | instid1(VALU_DEP_1)
	v_dual_add_f32 v3, v4, v3 :: v_dual_sub_f32 v4, v6, v9
	v_add_f32_e32 v3, v3, v4
	s_delay_alu instid0(VALU_DEP_1) | instskip(NEXT) | instid1(VALU_DEP_1)
	v_add_f32_e32 v3, v12, v3
	v_cndmask_b32_e32 v3, v3, v5, vcc_lo
	s_delay_alu instid0(VALU_DEP_1)
	v_add_f32_e32 v3, v1, v3
.LBB126_158:
	s_or_b32 exec_lo, exec_lo, s4
	s_delay_alu instid0(VALU_DEP_1)
	v_mov_b32_e32 v1, v3
.LBB126_159:
	s_or_b32 exec_lo, exec_lo, s1
	v_cmp_u_f32_e32 vcc_lo, v2, v2
	s_delay_alu instid0(VALU_DEP_2) | instskip(SKIP_1) | instid1(VALU_DEP_2)
	v_max_f32_e32 v19, v1, v1
	v_cmp_u_f32_e64 s5, v1, v1
	v_min_f32_e32 v11, v19, v18
	s_delay_alu instid0(VALU_DEP_1) | instskip(NEXT) | instid1(VALU_DEP_1)
	v_cndmask_b32_e64 v4, v11, v1, s5
	v_cndmask_b32_e32 v6, v4, v2, vcc_lo
	v_mov_b32_e32 v4, v1
	v_max_f32_e32 v12, v19, v18
	s_delay_alu instid0(VALU_DEP_3) | instskip(NEXT) | instid1(VALU_DEP_2)
	v_cmp_class_f32_e64 s4, v6, 0x1f8
	v_cndmask_b32_e64 v5, v12, v1, s5
	s_delay_alu instid0(VALU_DEP_1) | instskip(NEXT) | instid1(VALU_DEP_1)
	v_cndmask_b32_e32 v5, v5, v2, vcc_lo
	v_cmp_neq_f32_e64 s1, v6, v5
	s_delay_alu instid0(VALU_DEP_1) | instskip(NEXT) | instid1(SALU_CYCLE_1)
	s_or_b32 s1, s1, s4
	s_and_saveexec_b32 s4, s1
	s_cbranch_execz .LBB126_161
; %bb.160:
	v_sub_f32_e32 v4, v6, v5
	s_delay_alu instid0(VALU_DEP_1) | instskip(SKIP_1) | instid1(VALU_DEP_2)
	v_mul_f32_e32 v6, 0x3fb8aa3b, v4
	v_cmp_ngt_f32_e64 s1, 0xc2ce8ed0, v4
	v_fma_f32 v9, 0x3fb8aa3b, v4, -v6
	v_rndne_f32_e32 v10, v6
	s_delay_alu instid0(VALU_DEP_1) | instskip(NEXT) | instid1(VALU_DEP_1)
	v_dual_fmamk_f32 v9, v4, 0x32a5705f, v9 :: v_dual_sub_f32 v6, v6, v10
	v_add_f32_e32 v6, v6, v9
	v_cvt_i32_f32_e32 v9, v10
	s_delay_alu instid0(VALU_DEP_2) | instskip(SKIP_2) | instid1(VALU_DEP_1)
	v_exp_f32_e32 v6, v6
	s_waitcnt_depctr 0xfff
	v_ldexp_f32 v6, v6, v9
	v_cndmask_b32_e64 v6, 0, v6, s1
	v_cmp_nlt_f32_e64 s1, 0x42b17218, v4
	s_delay_alu instid0(VALU_DEP_1) | instskip(NEXT) | instid1(VALU_DEP_1)
	v_cndmask_b32_e64 v4, 0x7f800000, v6, s1
	v_add_f32_e32 v6, 1.0, v4
	v_cmp_gt_f32_e64 s6, 0x33800000, |v4|
	s_delay_alu instid0(VALU_DEP_2) | instskip(NEXT) | instid1(VALU_DEP_1)
	v_cvt_f64_f32_e32 v[9:10], v6
	v_frexp_exp_i32_f64_e32 v9, v[9:10]
	v_frexp_mant_f32_e32 v10, v6
	s_delay_alu instid0(VALU_DEP_1) | instskip(SKIP_1) | instid1(VALU_DEP_1)
	v_cmp_gt_f32_e64 s1, 0x3f2aaaab, v10
	v_add_f32_e32 v10, -1.0, v6
	v_sub_f32_e32 v21, v10, v6
	s_delay_alu instid0(VALU_DEP_1) | instskip(NEXT) | instid1(VALU_DEP_4)
	v_add_f32_e32 v21, 1.0, v21
	v_subrev_co_ci_u32_e64 v9, s1, 0, v9, s1
	s_mov_b32 s1, 0x3e9b6dac
	s_delay_alu instid0(VALU_DEP_1) | instskip(SKIP_1) | instid1(VALU_DEP_2)
	v_sub_nc_u32_e32 v20, 0, v9
	v_cvt_f32_i32_e32 v9, v9
	v_ldexp_f32 v6, v6, v20
	s_delay_alu instid0(VALU_DEP_1) | instskip(SKIP_1) | instid1(VALU_DEP_1)
	v_add_f32_e32 v22, 1.0, v6
	v_sub_f32_e32 v10, v4, v10
	v_dual_add_f32 v10, v10, v21 :: v_dual_add_f32 v21, -1.0, v22
	s_delay_alu instid0(VALU_DEP_1) | instskip(NEXT) | instid1(VALU_DEP_2)
	v_ldexp_f32 v10, v10, v20
	v_dual_add_f32 v20, -1.0, v6 :: v_dual_sub_f32 v21, v6, v21
	s_delay_alu instid0(VALU_DEP_1) | instskip(NEXT) | instid1(VALU_DEP_2)
	v_add_f32_e32 v23, 1.0, v20
	v_add_f32_e32 v21, v10, v21
	s_delay_alu instid0(VALU_DEP_2) | instskip(NEXT) | instid1(VALU_DEP_2)
	v_sub_f32_e32 v6, v6, v23
	v_add_f32_e32 v23, v22, v21
	s_delay_alu instid0(VALU_DEP_2) | instskip(NEXT) | instid1(VALU_DEP_2)
	v_add_f32_e32 v6, v10, v6
	v_rcp_f32_e32 v10, v23
	s_delay_alu instid0(VALU_DEP_1) | instskip(NEXT) | instid1(VALU_DEP_1)
	v_add_f32_e32 v24, v20, v6
	v_sub_f32_e32 v20, v20, v24
	s_waitcnt_depctr 0xfff
	v_dual_mul_f32 v25, v24, v10 :: v_dual_sub_f32 v22, v22, v23
	v_add_f32_e32 v6, v6, v20
	s_delay_alu instid0(VALU_DEP_2) | instskip(NEXT) | instid1(VALU_DEP_1)
	v_dual_mul_f32 v26, v23, v25 :: v_dual_add_f32 v21, v21, v22
	v_fma_f32 v22, v25, v23, -v26
	s_delay_alu instid0(VALU_DEP_1) | instskip(NEXT) | instid1(VALU_DEP_1)
	v_fmac_f32_e32 v22, v25, v21
	v_add_f32_e32 v27, v26, v22
	s_delay_alu instid0(VALU_DEP_1) | instskip(SKIP_1) | instid1(VALU_DEP_2)
	v_sub_f32_e32 v28, v24, v27
	v_sub_f32_e32 v20, v27, v26
	;; [unrolled: 1-line block ×3, first 2 shown]
	s_delay_alu instid0(VALU_DEP_2) | instskip(NEXT) | instid1(VALU_DEP_2)
	v_sub_f32_e32 v20, v20, v22
	v_sub_f32_e32 v24, v24, v27
	s_delay_alu instid0(VALU_DEP_1) | instskip(NEXT) | instid1(VALU_DEP_1)
	v_add_f32_e32 v6, v6, v24
	v_add_f32_e32 v6, v20, v6
	s_delay_alu instid0(VALU_DEP_1) | instskip(NEXT) | instid1(VALU_DEP_1)
	v_add_f32_e32 v20, v28, v6
	v_mul_f32_e32 v22, v10, v20
	s_delay_alu instid0(VALU_DEP_1) | instskip(NEXT) | instid1(VALU_DEP_1)
	v_dual_sub_f32 v27, v28, v20 :: v_dual_mul_f32 v24, v23, v22
	v_add_f32_e32 v6, v6, v27
	s_delay_alu instid0(VALU_DEP_2) | instskip(NEXT) | instid1(VALU_DEP_1)
	v_fma_f32 v23, v22, v23, -v24
	v_fmac_f32_e32 v23, v22, v21
	s_delay_alu instid0(VALU_DEP_1) | instskip(NEXT) | instid1(VALU_DEP_1)
	v_add_f32_e32 v21, v24, v23
	v_sub_f32_e32 v26, v20, v21
	v_sub_f32_e32 v24, v21, v24
	s_delay_alu instid0(VALU_DEP_2) | instskip(NEXT) | instid1(VALU_DEP_1)
	v_sub_f32_e32 v20, v20, v26
	v_sub_f32_e32 v20, v20, v21
	s_delay_alu instid0(VALU_DEP_1) | instskip(SKIP_1) | instid1(VALU_DEP_1)
	v_dual_sub_f32 v21, v24, v23 :: v_dual_add_f32 v6, v6, v20
	v_add_f32_e32 v20, v25, v22
	v_dual_add_f32 v6, v21, v6 :: v_dual_sub_f32 v21, v20, v25
	s_delay_alu instid0(VALU_DEP_1) | instskip(NEXT) | instid1(VALU_DEP_2)
	v_add_f32_e32 v6, v26, v6
	v_sub_f32_e32 v21, v22, v21
	s_delay_alu instid0(VALU_DEP_2) | instskip(NEXT) | instid1(VALU_DEP_1)
	v_mul_f32_e32 v6, v10, v6
	v_add_f32_e32 v6, v21, v6
	s_delay_alu instid0(VALU_DEP_1) | instskip(NEXT) | instid1(VALU_DEP_1)
	v_add_f32_e32 v10, v20, v6
	v_mul_f32_e32 v21, v10, v10
	s_delay_alu instid0(VALU_DEP_1) | instskip(SKIP_2) | instid1(VALU_DEP_3)
	v_fmaak_f32 v22, s1, v21, 0x3ecc95a3
	v_mul_f32_e32 v23, v10, v21
	v_cmp_eq_f32_e64 s1, 0x7f800000, v4
	v_fmaak_f32 v21, v21, v22, 0x3f2aaada
	v_ldexp_f32 v22, v10, 1
	v_sub_f32_e32 v10, v10, v20
	s_delay_alu instid0(VALU_DEP_4) | instskip(NEXT) | instid1(VALU_DEP_3)
	s_or_b32 s1, s1, s6
	v_mul_f32_e32 v21, v23, v21
	s_delay_alu instid0(VALU_DEP_2) | instskip(NEXT) | instid1(VALU_DEP_2)
	v_dual_mul_f32 v23, 0x3f317218, v9 :: v_dual_sub_f32 v6, v6, v10
	v_add_f32_e32 v20, v22, v21
	s_delay_alu instid0(VALU_DEP_2) | instskip(NEXT) | instid1(VALU_DEP_2)
	v_ldexp_f32 v6, v6, 1
	v_sub_f32_e32 v10, v20, v22
	s_delay_alu instid0(VALU_DEP_4) | instskip(NEXT) | instid1(VALU_DEP_2)
	v_fma_f32 v22, 0x3f317218, v9, -v23
	v_sub_f32_e32 v10, v21, v10
	s_delay_alu instid0(VALU_DEP_1) | instskip(NEXT) | instid1(VALU_DEP_1)
	v_dual_fmamk_f32 v9, v9, 0xb102e308, v22 :: v_dual_add_f32 v6, v6, v10
	v_dual_add_f32 v10, v23, v9 :: v_dual_add_f32 v21, v20, v6
	s_delay_alu instid0(VALU_DEP_1) | instskip(NEXT) | instid1(VALU_DEP_2)
	v_sub_f32_e32 v23, v10, v23
	v_add_f32_e32 v22, v10, v21
	v_sub_f32_e32 v20, v21, v20
	s_delay_alu instid0(VALU_DEP_2) | instskip(NEXT) | instid1(VALU_DEP_2)
	v_dual_sub_f32 v9, v9, v23 :: v_dual_sub_f32 v24, v22, v10
	v_sub_f32_e32 v6, v6, v20
	s_delay_alu instid0(VALU_DEP_2) | instskip(SKIP_1) | instid1(VALU_DEP_2)
	v_sub_f32_e32 v25, v22, v24
	v_sub_f32_e32 v20, v21, v24
	v_dual_add_f32 v21, v9, v6 :: v_dual_sub_f32 v10, v10, v25
	s_delay_alu instid0(VALU_DEP_1) | instskip(NEXT) | instid1(VALU_DEP_2)
	v_add_f32_e32 v10, v20, v10
	v_sub_f32_e32 v20, v21, v9
	s_delay_alu instid0(VALU_DEP_2) | instskip(NEXT) | instid1(VALU_DEP_2)
	v_add_f32_e32 v10, v21, v10
	v_sub_f32_e32 v21, v21, v20
	v_sub_f32_e32 v6, v6, v20
	s_delay_alu instid0(VALU_DEP_3) | instskip(NEXT) | instid1(VALU_DEP_1)
	v_add_f32_e32 v23, v22, v10
	v_dual_sub_f32 v9, v9, v21 :: v_dual_sub_f32 v20, v23, v22
	s_delay_alu instid0(VALU_DEP_1) | instskip(NEXT) | instid1(VALU_DEP_2)
	v_add_f32_e32 v6, v6, v9
	v_sub_f32_e32 v9, v10, v20
	s_delay_alu instid0(VALU_DEP_1) | instskip(NEXT) | instid1(VALU_DEP_1)
	v_add_f32_e32 v6, v6, v9
	v_add_f32_e32 v6, v23, v6
	s_delay_alu instid0(VALU_DEP_1) | instskip(NEXT) | instid1(VALU_DEP_1)
	v_cndmask_b32_e64 v4, v6, v4, s1
	v_add_f32_e32 v4, v5, v4
.LBB126_161:
	s_or_b32 exec_lo, exec_lo, s4
	v_max_f32_e32 v9, v7, v7
	s_delay_alu instid0(VALU_DEP_2) | instskip(SKIP_1) | instid1(VALU_DEP_2)
	v_max_f32_e32 v5, v4, v4
	v_cmp_u_f32_e64 s1, v4, v4
	v_min_f32_e32 v6, v5, v9
	v_max_f32_e32 v5, v5, v9
	s_delay_alu instid0(VALU_DEP_2) | instskip(NEXT) | instid1(VALU_DEP_2)
	v_cndmask_b32_e64 v6, v6, v4, s1
	v_cndmask_b32_e64 v5, v5, v4, s1
	v_cmp_u_f32_e64 s1, v7, v7
	s_delay_alu instid0(VALU_DEP_1) | instskip(NEXT) | instid1(VALU_DEP_3)
	v_cndmask_b32_e64 v6, v6, v7, s1
	v_cndmask_b32_e64 v5, v5, v7, s1
	s_delay_alu instid0(VALU_DEP_2) | instskip(NEXT) | instid1(VALU_DEP_2)
	v_cmp_class_f32_e64 s6, v6, 0x1f8
	v_cmp_neq_f32_e64 s4, v6, v5
	s_delay_alu instid0(VALU_DEP_1) | instskip(NEXT) | instid1(SALU_CYCLE_1)
	s_or_b32 s4, s4, s6
	s_and_saveexec_b32 s6, s4
	s_cbranch_execz .LBB126_163
; %bb.162:
	v_sub_f32_e32 v4, v6, v5
	s_delay_alu instid0(VALU_DEP_1) | instskip(SKIP_1) | instid1(VALU_DEP_2)
	v_mul_f32_e32 v6, 0x3fb8aa3b, v4
	v_cmp_ngt_f32_e64 s4, 0xc2ce8ed0, v4
	v_fma_f32 v10, 0x3fb8aa3b, v4, -v6
	v_rndne_f32_e32 v20, v6
	s_delay_alu instid0(VALU_DEP_2) | instskip(NEXT) | instid1(VALU_DEP_2)
	v_fmamk_f32 v10, v4, 0x32a5705f, v10
	v_sub_f32_e32 v6, v6, v20
	s_delay_alu instid0(VALU_DEP_1) | instskip(SKIP_1) | instid1(VALU_DEP_2)
	v_add_f32_e32 v6, v6, v10
	v_cvt_i32_f32_e32 v10, v20
	v_exp_f32_e32 v6, v6
	s_waitcnt_depctr 0xfff
	v_ldexp_f32 v6, v6, v10
	s_delay_alu instid0(VALU_DEP_1) | instskip(SKIP_1) | instid1(VALU_DEP_1)
	v_cndmask_b32_e64 v6, 0, v6, s4
	v_cmp_nlt_f32_e64 s4, 0x42b17218, v4
	v_cndmask_b32_e64 v4, 0x7f800000, v6, s4
	s_delay_alu instid0(VALU_DEP_1) | instskip(SKIP_1) | instid1(VALU_DEP_2)
	v_add_f32_e32 v6, 1.0, v4
	v_cmp_gt_f32_e64 s7, 0x33800000, |v4|
	v_cvt_f64_f32_e32 v[20:21], v6
	s_delay_alu instid0(VALU_DEP_1) | instskip(SKIP_1) | instid1(VALU_DEP_1)
	v_frexp_exp_i32_f64_e32 v10, v[20:21]
	v_frexp_mant_f32_e32 v20, v6
	v_cmp_gt_f32_e64 s4, 0x3f2aaaab, v20
	v_add_f32_e32 v20, -1.0, v6
	s_delay_alu instid0(VALU_DEP_1) | instskip(SKIP_1) | instid1(VALU_DEP_2)
	v_sub_f32_e32 v22, v20, v6
	v_sub_f32_e32 v20, v4, v20
	v_add_f32_e32 v22, 1.0, v22
	s_delay_alu instid0(VALU_DEP_1) | instskip(SKIP_2) | instid1(VALU_DEP_1)
	v_add_f32_e32 v20, v20, v22
	v_subrev_co_ci_u32_e64 v10, s4, 0, v10, s4
	s_mov_b32 s4, 0x3e9b6dac
	v_sub_nc_u32_e32 v21, 0, v10
	v_cvt_f32_i32_e32 v10, v10
	s_delay_alu instid0(VALU_DEP_2) | instskip(SKIP_1) | instid1(VALU_DEP_2)
	v_ldexp_f32 v6, v6, v21
	v_ldexp_f32 v20, v20, v21
	v_add_f32_e32 v23, 1.0, v6
	s_delay_alu instid0(VALU_DEP_1) | instskip(NEXT) | instid1(VALU_DEP_1)
	v_dual_add_f32 v21, -1.0, v6 :: v_dual_add_f32 v22, -1.0, v23
	v_add_f32_e32 v24, 1.0, v21
	s_delay_alu instid0(VALU_DEP_2) | instskip(NEXT) | instid1(VALU_DEP_2)
	v_sub_f32_e32 v22, v6, v22
	v_sub_f32_e32 v6, v6, v24
	s_delay_alu instid0(VALU_DEP_2) | instskip(NEXT) | instid1(VALU_DEP_2)
	v_add_f32_e32 v22, v20, v22
	v_add_f32_e32 v6, v20, v6
	s_delay_alu instid0(VALU_DEP_2) | instskip(NEXT) | instid1(VALU_DEP_2)
	v_add_f32_e32 v24, v23, v22
	v_add_f32_e32 v25, v21, v6
	s_delay_alu instid0(VALU_DEP_2) | instskip(SKIP_1) | instid1(VALU_DEP_1)
	v_rcp_f32_e32 v20, v24
	v_sub_f32_e32 v23, v23, v24
	v_dual_sub_f32 v21, v21, v25 :: v_dual_add_f32 v22, v22, v23
	s_delay_alu instid0(VALU_DEP_1) | instskip(SKIP_2) | instid1(VALU_DEP_1)
	v_add_f32_e32 v6, v6, v21
	s_waitcnt_depctr 0xfff
	v_mul_f32_e32 v26, v25, v20
	v_mul_f32_e32 v27, v24, v26
	s_delay_alu instid0(VALU_DEP_1) | instskip(NEXT) | instid1(VALU_DEP_1)
	v_fma_f32 v23, v26, v24, -v27
	v_fmac_f32_e32 v23, v26, v22
	s_delay_alu instid0(VALU_DEP_1) | instskip(NEXT) | instid1(VALU_DEP_1)
	v_add_f32_e32 v28, v27, v23
	v_sub_f32_e32 v29, v25, v28
	v_sub_f32_e32 v21, v28, v27
	s_delay_alu instid0(VALU_DEP_2) | instskip(NEXT) | instid1(VALU_DEP_2)
	v_sub_f32_e32 v25, v25, v29
	v_sub_f32_e32 v21, v21, v23
	s_delay_alu instid0(VALU_DEP_2) | instskip(NEXT) | instid1(VALU_DEP_1)
	v_sub_f32_e32 v25, v25, v28
	v_add_f32_e32 v6, v6, v25
	s_delay_alu instid0(VALU_DEP_1) | instskip(NEXT) | instid1(VALU_DEP_1)
	v_add_f32_e32 v6, v21, v6
	v_add_f32_e32 v21, v29, v6
	s_delay_alu instid0(VALU_DEP_1) | instskip(NEXT) | instid1(VALU_DEP_1)
	v_mul_f32_e32 v23, v20, v21
	v_dual_sub_f32 v28, v29, v21 :: v_dual_mul_f32 v25, v24, v23
	s_delay_alu instid0(VALU_DEP_1) | instskip(NEXT) | instid1(VALU_DEP_2)
	v_add_f32_e32 v6, v6, v28
	v_fma_f32 v24, v23, v24, -v25
	s_delay_alu instid0(VALU_DEP_1) | instskip(NEXT) | instid1(VALU_DEP_1)
	v_fmac_f32_e32 v24, v23, v22
	v_add_f32_e32 v22, v25, v24
	s_delay_alu instid0(VALU_DEP_1) | instskip(SKIP_1) | instid1(VALU_DEP_2)
	v_sub_f32_e32 v27, v21, v22
	v_sub_f32_e32 v25, v22, v25
	;; [unrolled: 1-line block ×3, first 2 shown]
	s_delay_alu instid0(VALU_DEP_1) | instskip(NEXT) | instid1(VALU_DEP_3)
	v_sub_f32_e32 v21, v21, v22
	v_sub_f32_e32 v22, v25, v24
	s_delay_alu instid0(VALU_DEP_2) | instskip(SKIP_1) | instid1(VALU_DEP_2)
	v_add_f32_e32 v6, v6, v21
	v_add_f32_e32 v21, v26, v23
	v_add_f32_e32 v6, v22, v6
	s_delay_alu instid0(VALU_DEP_2) | instskip(NEXT) | instid1(VALU_DEP_2)
	v_sub_f32_e32 v22, v21, v26
	v_add_f32_e32 v6, v27, v6
	s_delay_alu instid0(VALU_DEP_2) | instskip(NEXT) | instid1(VALU_DEP_2)
	v_sub_f32_e32 v22, v23, v22
	v_mul_f32_e32 v6, v20, v6
	s_delay_alu instid0(VALU_DEP_1) | instskip(NEXT) | instid1(VALU_DEP_1)
	v_add_f32_e32 v6, v22, v6
	v_add_f32_e32 v20, v21, v6
	s_delay_alu instid0(VALU_DEP_1) | instskip(NEXT) | instid1(VALU_DEP_1)
	v_mul_f32_e32 v22, v20, v20
	v_fmaak_f32 v23, s4, v22, 0x3ecc95a3
	v_mul_f32_e32 v24, v20, v22
	v_cmp_eq_f32_e64 s4, 0x7f800000, v4
	s_delay_alu instid0(VALU_DEP_3) | instskip(SKIP_2) | instid1(VALU_DEP_4)
	v_fmaak_f32 v22, v22, v23, 0x3f2aaada
	v_ldexp_f32 v23, v20, 1
	v_sub_f32_e32 v20, v20, v21
	s_or_b32 s4, s4, s7
	s_delay_alu instid0(VALU_DEP_3) | instskip(SKIP_1) | instid1(VALU_DEP_2)
	v_mul_f32_e32 v22, v24, v22
	v_mul_f32_e32 v24, 0x3f317218, v10
	v_dual_sub_f32 v6, v6, v20 :: v_dual_add_f32 v21, v23, v22
	s_delay_alu instid0(VALU_DEP_1) | instskip(NEXT) | instid1(VALU_DEP_2)
	v_ldexp_f32 v6, v6, 1
	v_sub_f32_e32 v20, v21, v23
	s_delay_alu instid0(VALU_DEP_4) | instskip(NEXT) | instid1(VALU_DEP_2)
	v_fma_f32 v23, 0x3f317218, v10, -v24
	v_sub_f32_e32 v20, v22, v20
	s_delay_alu instid0(VALU_DEP_2) | instskip(NEXT) | instid1(VALU_DEP_2)
	v_fmamk_f32 v10, v10, 0xb102e308, v23
	v_add_f32_e32 v6, v6, v20
	s_delay_alu instid0(VALU_DEP_2) | instskip(NEXT) | instid1(VALU_DEP_2)
	v_add_f32_e32 v20, v24, v10
	v_add_f32_e32 v22, v21, v6
	s_delay_alu instid0(VALU_DEP_2) | instskip(NEXT) | instid1(VALU_DEP_2)
	v_sub_f32_e32 v24, v20, v24
	v_add_f32_e32 v23, v20, v22
	v_sub_f32_e32 v21, v22, v21
	s_delay_alu instid0(VALU_DEP_3) | instskip(NEXT) | instid1(VALU_DEP_2)
	v_sub_f32_e32 v10, v10, v24
	v_dual_sub_f32 v25, v23, v20 :: v_dual_sub_f32 v6, v6, v21
	s_delay_alu instid0(VALU_DEP_1) | instskip(SKIP_1) | instid1(VALU_DEP_3)
	v_sub_f32_e32 v26, v23, v25
	v_sub_f32_e32 v21, v22, v25
	v_add_f32_e32 v22, v10, v6
	s_delay_alu instid0(VALU_DEP_3) | instskip(NEXT) | instid1(VALU_DEP_1)
	v_sub_f32_e32 v20, v20, v26
	v_dual_add_f32 v20, v21, v20 :: v_dual_sub_f32 v21, v22, v10
	s_delay_alu instid0(VALU_DEP_1) | instskip(NEXT) | instid1(VALU_DEP_2)
	v_add_f32_e32 v20, v22, v20
	v_sub_f32_e32 v22, v22, v21
	v_sub_f32_e32 v6, v6, v21
	s_delay_alu instid0(VALU_DEP_3) | instskip(NEXT) | instid1(VALU_DEP_1)
	v_add_f32_e32 v24, v23, v20
	v_dual_sub_f32 v10, v10, v22 :: v_dual_sub_f32 v21, v24, v23
	s_delay_alu instid0(VALU_DEP_1) | instskip(NEXT) | instid1(VALU_DEP_2)
	v_add_f32_e32 v6, v6, v10
	v_sub_f32_e32 v10, v20, v21
	s_delay_alu instid0(VALU_DEP_1) | instskip(NEXT) | instid1(VALU_DEP_1)
	v_add_f32_e32 v6, v6, v10
	v_add_f32_e32 v6, v24, v6
	s_delay_alu instid0(VALU_DEP_1) | instskip(NEXT) | instid1(VALU_DEP_1)
	v_cndmask_b32_e64 v4, v6, v4, s4
	v_add_f32_e32 v4, v5, v4
.LBB126_163:
	s_or_b32 exec_lo, exec_lo, s6
	v_max_f32_e32 v10, v8, v8
	s_delay_alu instid0(VALU_DEP_2) | instskip(SKIP_1) | instid1(VALU_DEP_2)
	v_max_f32_e32 v5, v4, v4
	v_cmp_u_f32_e64 s4, v4, v4
	v_min_f32_e32 v6, v5, v10
	v_max_f32_e32 v5, v5, v10
	s_delay_alu instid0(VALU_DEP_2) | instskip(NEXT) | instid1(VALU_DEP_2)
	v_cndmask_b32_e64 v6, v6, v4, s4
	v_cndmask_b32_e64 v5, v5, v4, s4
	v_cmp_u_f32_e64 s4, v8, v8
	s_delay_alu instid0(VALU_DEP_1) | instskip(NEXT) | instid1(VALU_DEP_3)
	v_cndmask_b32_e64 v6, v6, v8, s4
	v_cndmask_b32_e64 v5, v5, v8, s4
	s_delay_alu instid0(VALU_DEP_2) | instskip(NEXT) | instid1(VALU_DEP_2)
	v_cmp_class_f32_e64 s7, v6, 0x1f8
	v_cmp_neq_f32_e64 s6, v6, v5
	s_delay_alu instid0(VALU_DEP_1) | instskip(NEXT) | instid1(SALU_CYCLE_1)
	s_or_b32 s6, s6, s7
	s_and_saveexec_b32 s7, s6
	s_cbranch_execz .LBB126_165
; %bb.164:
	v_sub_f32_e32 v4, v6, v5
	s_delay_alu instid0(VALU_DEP_1) | instskip(SKIP_1) | instid1(VALU_DEP_2)
	v_mul_f32_e32 v6, 0x3fb8aa3b, v4
	v_cmp_ngt_f32_e64 s6, 0xc2ce8ed0, v4
	v_fma_f32 v20, 0x3fb8aa3b, v4, -v6
	v_rndne_f32_e32 v21, v6
	s_delay_alu instid0(VALU_DEP_2) | instskip(NEXT) | instid1(VALU_DEP_2)
	v_fmamk_f32 v20, v4, 0x32a5705f, v20
	v_sub_f32_e32 v6, v6, v21
	s_delay_alu instid0(VALU_DEP_1) | instskip(SKIP_1) | instid1(VALU_DEP_2)
	v_add_f32_e32 v6, v6, v20
	v_cvt_i32_f32_e32 v20, v21
	v_exp_f32_e32 v6, v6
	s_waitcnt_depctr 0xfff
	v_ldexp_f32 v6, v6, v20
	s_delay_alu instid0(VALU_DEP_1) | instskip(SKIP_1) | instid1(VALU_DEP_1)
	v_cndmask_b32_e64 v6, 0, v6, s6
	v_cmp_nlt_f32_e64 s6, 0x42b17218, v4
	v_cndmask_b32_e64 v4, 0x7f800000, v6, s6
	s_delay_alu instid0(VALU_DEP_1) | instskip(SKIP_1) | instid1(VALU_DEP_2)
	v_add_f32_e32 v6, 1.0, v4
	v_cmp_gt_f32_e64 s8, 0x33800000, |v4|
	v_cvt_f64_f32_e32 v[20:21], v6
	s_delay_alu instid0(VALU_DEP_1) | instskip(SKIP_1) | instid1(VALU_DEP_1)
	v_frexp_exp_i32_f64_e32 v20, v[20:21]
	v_frexp_mant_f32_e32 v21, v6
	v_cmp_gt_f32_e64 s6, 0x3f2aaaab, v21
	v_add_f32_e32 v21, -1.0, v6
	s_delay_alu instid0(VALU_DEP_1) | instskip(SKIP_1) | instid1(VALU_DEP_2)
	v_sub_f32_e32 v23, v21, v6
	v_sub_f32_e32 v21, v4, v21
	v_add_f32_e32 v23, 1.0, v23
	s_delay_alu instid0(VALU_DEP_1) | instskip(SKIP_2) | instid1(VALU_DEP_1)
	v_add_f32_e32 v21, v21, v23
	v_subrev_co_ci_u32_e64 v20, s6, 0, v20, s6
	s_mov_b32 s6, 0x3e9b6dac
	v_sub_nc_u32_e32 v22, 0, v20
	v_cvt_f32_i32_e32 v20, v20
	s_delay_alu instid0(VALU_DEP_2) | instskip(SKIP_1) | instid1(VALU_DEP_2)
	v_ldexp_f32 v6, v6, v22
	v_ldexp_f32 v21, v21, v22
	v_add_f32_e32 v24, 1.0, v6
	s_delay_alu instid0(VALU_DEP_1) | instskip(NEXT) | instid1(VALU_DEP_1)
	v_dual_add_f32 v22, -1.0, v6 :: v_dual_add_f32 v23, -1.0, v24
	v_add_f32_e32 v25, 1.0, v22
	s_delay_alu instid0(VALU_DEP_2) | instskip(NEXT) | instid1(VALU_DEP_1)
	v_sub_f32_e32 v23, v6, v23
	v_dual_sub_f32 v6, v6, v25 :: v_dual_add_f32 v23, v21, v23
	s_delay_alu instid0(VALU_DEP_1) | instskip(NEXT) | instid1(VALU_DEP_1)
	v_dual_add_f32 v6, v21, v6 :: v_dual_add_f32 v25, v24, v23
	v_rcp_f32_e32 v21, v25
	v_sub_f32_e32 v24, v24, v25
	s_delay_alu instid0(VALU_DEP_1) | instskip(NEXT) | instid1(VALU_DEP_1)
	v_dual_add_f32 v26, v22, v6 :: v_dual_add_f32 v23, v23, v24
	v_sub_f32_e32 v22, v22, v26
	s_waitcnt_depctr 0xfff
	v_mul_f32_e32 v27, v26, v21
	v_add_f32_e32 v6, v6, v22
	s_delay_alu instid0(VALU_DEP_2) | instskip(NEXT) | instid1(VALU_DEP_1)
	v_mul_f32_e32 v28, v25, v27
	v_fma_f32 v24, v27, v25, -v28
	s_delay_alu instid0(VALU_DEP_1) | instskip(NEXT) | instid1(VALU_DEP_1)
	v_fmac_f32_e32 v24, v27, v23
	v_add_f32_e32 v29, v28, v24
	s_delay_alu instid0(VALU_DEP_1) | instskip(SKIP_1) | instid1(VALU_DEP_2)
	v_sub_f32_e32 v30, v26, v29
	v_sub_f32_e32 v22, v29, v28
	;; [unrolled: 1-line block ×3, first 2 shown]
	s_delay_alu instid0(VALU_DEP_2) | instskip(NEXT) | instid1(VALU_DEP_2)
	v_sub_f32_e32 v22, v22, v24
	v_sub_f32_e32 v26, v26, v29
	s_delay_alu instid0(VALU_DEP_1) | instskip(NEXT) | instid1(VALU_DEP_1)
	v_add_f32_e32 v6, v6, v26
	v_add_f32_e32 v6, v22, v6
	s_delay_alu instid0(VALU_DEP_1) | instskip(NEXT) | instid1(VALU_DEP_1)
	v_add_f32_e32 v22, v30, v6
	v_mul_f32_e32 v24, v21, v22
	s_delay_alu instid0(VALU_DEP_1) | instskip(NEXT) | instid1(VALU_DEP_1)
	v_mul_f32_e32 v26, v25, v24
	v_fma_f32 v25, v24, v25, -v26
	s_delay_alu instid0(VALU_DEP_1) | instskip(SKIP_1) | instid1(VALU_DEP_2)
	v_fmac_f32_e32 v25, v24, v23
	v_sub_f32_e32 v29, v30, v22
	v_add_f32_e32 v23, v26, v25
	s_delay_alu instid0(VALU_DEP_2) | instskip(NEXT) | instid1(VALU_DEP_2)
	v_add_f32_e32 v6, v6, v29
	v_sub_f32_e32 v28, v22, v23
	v_sub_f32_e32 v26, v23, v26
	s_delay_alu instid0(VALU_DEP_2) | instskip(NEXT) | instid1(VALU_DEP_1)
	v_sub_f32_e32 v22, v22, v28
	v_sub_f32_e32 v22, v22, v23
	s_delay_alu instid0(VALU_DEP_3) | instskip(NEXT) | instid1(VALU_DEP_2)
	v_sub_f32_e32 v23, v26, v25
	v_add_f32_e32 v6, v6, v22
	v_add_f32_e32 v22, v27, v24
	s_delay_alu instid0(VALU_DEP_1) | instskip(NEXT) | instid1(VALU_DEP_1)
	v_dual_add_f32 v6, v23, v6 :: v_dual_sub_f32 v23, v22, v27
	v_add_f32_e32 v6, v28, v6
	s_delay_alu instid0(VALU_DEP_1) | instskip(NEXT) | instid1(VALU_DEP_1)
	v_dual_sub_f32 v23, v24, v23 :: v_dual_mul_f32 v6, v21, v6
	v_add_f32_e32 v6, v23, v6
	s_delay_alu instid0(VALU_DEP_1) | instskip(NEXT) | instid1(VALU_DEP_1)
	v_add_f32_e32 v21, v22, v6
	v_mul_f32_e32 v23, v21, v21
	s_delay_alu instid0(VALU_DEP_1) | instskip(SKIP_2) | instid1(VALU_DEP_3)
	v_fmaak_f32 v24, s6, v23, 0x3ecc95a3
	v_mul_f32_e32 v25, v21, v23
	v_cmp_eq_f32_e64 s6, 0x7f800000, v4
	v_fmaak_f32 v23, v23, v24, 0x3f2aaada
	v_ldexp_f32 v24, v21, 1
	v_sub_f32_e32 v21, v21, v22
	s_delay_alu instid0(VALU_DEP_4) | instskip(NEXT) | instid1(VALU_DEP_3)
	s_or_b32 s6, s6, s8
	v_mul_f32_e32 v23, v25, v23
	s_delay_alu instid0(VALU_DEP_2) | instskip(NEXT) | instid1(VALU_DEP_2)
	v_dual_mul_f32 v25, 0x3f317218, v20 :: v_dual_sub_f32 v6, v6, v21
	v_add_f32_e32 v22, v24, v23
	s_delay_alu instid0(VALU_DEP_2) | instskip(NEXT) | instid1(VALU_DEP_2)
	v_ldexp_f32 v6, v6, 1
	v_sub_f32_e32 v21, v22, v24
	s_delay_alu instid0(VALU_DEP_4) | instskip(NEXT) | instid1(VALU_DEP_1)
	v_fma_f32 v24, 0x3f317218, v20, -v25
	v_dual_sub_f32 v21, v23, v21 :: v_dual_fmamk_f32 v20, v20, 0xb102e308, v24
	s_delay_alu instid0(VALU_DEP_1) | instskip(NEXT) | instid1(VALU_DEP_1)
	v_dual_add_f32 v6, v6, v21 :: v_dual_add_f32 v21, v25, v20
	v_add_f32_e32 v23, v22, v6
	s_delay_alu instid0(VALU_DEP_2) | instskip(NEXT) | instid1(VALU_DEP_2)
	v_sub_f32_e32 v25, v21, v25
	v_add_f32_e32 v24, v21, v23
	v_sub_f32_e32 v22, v23, v22
	s_delay_alu instid0(VALU_DEP_3) | instskip(NEXT) | instid1(VALU_DEP_3)
	v_sub_f32_e32 v20, v20, v25
	v_sub_f32_e32 v26, v24, v21
	s_delay_alu instid0(VALU_DEP_3) | instskip(NEXT) | instid1(VALU_DEP_2)
	v_sub_f32_e32 v6, v6, v22
	v_sub_f32_e32 v27, v24, v26
	;; [unrolled: 1-line block ×3, first 2 shown]
	s_delay_alu instid0(VALU_DEP_3) | instskip(NEXT) | instid1(VALU_DEP_3)
	v_add_f32_e32 v23, v20, v6
	v_sub_f32_e32 v21, v21, v27
	s_delay_alu instid0(VALU_DEP_1) | instskip(NEXT) | instid1(VALU_DEP_1)
	v_dual_add_f32 v21, v22, v21 :: v_dual_sub_f32 v22, v23, v20
	v_add_f32_e32 v21, v23, v21
	s_delay_alu instid0(VALU_DEP_2) | instskip(NEXT) | instid1(VALU_DEP_2)
	v_sub_f32_e32 v23, v23, v22
	v_dual_sub_f32 v6, v6, v22 :: v_dual_add_f32 v25, v24, v21
	s_delay_alu instid0(VALU_DEP_2) | instskip(NEXT) | instid1(VALU_DEP_2)
	v_sub_f32_e32 v20, v20, v23
	v_sub_f32_e32 v22, v25, v24
	s_delay_alu instid0(VALU_DEP_2) | instskip(NEXT) | instid1(VALU_DEP_2)
	v_add_f32_e32 v6, v6, v20
	v_sub_f32_e32 v20, v21, v22
	s_delay_alu instid0(VALU_DEP_1) | instskip(NEXT) | instid1(VALU_DEP_1)
	v_add_f32_e32 v6, v6, v20
	v_add_f32_e32 v6, v25, v6
	s_delay_alu instid0(VALU_DEP_1) | instskip(NEXT) | instid1(VALU_DEP_1)
	v_cndmask_b32_e64 v4, v6, v4, s6
	v_add_f32_e32 v4, v5, v4
.LBB126_165:
	s_or_b32 exec_lo, exec_lo, s7
	v_lshrrev_b32_e32 v5, 5, v0
	s_mov_b32 s8, exec_lo
	s_delay_alu instid0(VALU_DEP_1)
	v_add_lshl_u32 v5, v5, v0, 2
	ds_store_b32 v5, v4
	s_waitcnt lgkmcnt(0)
	s_barrier
	buffer_gl0_inv
	v_cmpx_gt_u32_e32 32, v0
	s_cbranch_execz .LBB126_217
; %bb.166:
	v_and_b32_e32 v5, 0xfc, v0
	s_delay_alu instid0(VALU_DEP_1)
	v_lshl_or_b32 v20, v0, 5, v5
	ds_load_2addr_b32 v[5:6], v20 offset1:1
	s_waitcnt lgkmcnt(0)
	v_dual_max_f32 v22, v6, v6 :: v_dual_max_f32 v21, v5, v5
	v_cmp_u_f32_e64 s6, v5, v5
	v_cmp_u_f32_e64 s7, v6, v6
	s_delay_alu instid0(VALU_DEP_3) | instskip(SKIP_1) | instid1(VALU_DEP_2)
	v_min_f32_e32 v23, v21, v22
	v_max_f32_e32 v22, v21, v22
	v_cndmask_b32_e64 v23, v23, v5, s6
	s_delay_alu instid0(VALU_DEP_2) | instskip(NEXT) | instid1(VALU_DEP_2)
	v_cndmask_b32_e64 v24, v22, v5, s6
	v_cndmask_b32_e64 v22, v23, v6, s7
	s_delay_alu instid0(VALU_DEP_2) | instskip(SKIP_1) | instid1(VALU_DEP_3)
	v_cndmask_b32_e64 v6, v24, v6, s7
	v_mov_b32_e32 v23, v5
	v_cmp_class_f32_e64 s9, v22, 0x1f8
	s_delay_alu instid0(VALU_DEP_3) | instskip(NEXT) | instid1(VALU_DEP_1)
	v_cmp_neq_f32_e64 s7, v22, v6
	s_or_b32 s7, s7, s9
	s_delay_alu instid0(SALU_CYCLE_1)
	s_and_saveexec_b32 s9, s7
	s_cbranch_execz .LBB126_168
; %bb.167:
	v_sub_f32_e32 v22, v22, v6
	s_delay_alu instid0(VALU_DEP_1) | instskip(NEXT) | instid1(VALU_DEP_1)
	v_mul_f32_e32 v23, 0x3fb8aa3b, v22
	v_fma_f32 v24, 0x3fb8aa3b, v22, -v23
	v_rndne_f32_e32 v25, v23
	s_delay_alu instid0(VALU_DEP_1) | instskip(SKIP_1) | instid1(VALU_DEP_2)
	v_dual_sub_f32 v23, v23, v25 :: v_dual_fmamk_f32 v24, v22, 0x32a5705f, v24
	v_cmp_ngt_f32_e64 s7, 0xc2ce8ed0, v22
	v_add_f32_e32 v23, v23, v24
	v_cvt_i32_f32_e32 v24, v25
	s_delay_alu instid0(VALU_DEP_2) | instskip(SKIP_2) | instid1(VALU_DEP_1)
	v_exp_f32_e32 v23, v23
	s_waitcnt_depctr 0xfff
	v_ldexp_f32 v23, v23, v24
	v_cndmask_b32_e64 v23, 0, v23, s7
	v_cmp_nlt_f32_e64 s7, 0x42b17218, v22
	s_delay_alu instid0(VALU_DEP_1) | instskip(NEXT) | instid1(VALU_DEP_1)
	v_cndmask_b32_e64 v24, 0x7f800000, v23, s7
	v_add_f32_e32 v25, 1.0, v24
	v_cmp_gt_f32_e64 s12, 0x33800000, |v24|
	s_delay_alu instid0(VALU_DEP_2) | instskip(NEXT) | instid1(VALU_DEP_1)
	v_cvt_f64_f32_e32 v[22:23], v25
	v_frexp_exp_i32_f64_e32 v22, v[22:23]
	v_frexp_mant_f32_e32 v23, v25
	s_delay_alu instid0(VALU_DEP_1) | instskip(SKIP_1) | instid1(VALU_DEP_1)
	v_cmp_gt_f32_e64 s7, 0x3f2aaaab, v23
	v_add_f32_e32 v23, -1.0, v25
	v_sub_f32_e32 v27, v23, v25
	v_sub_f32_e32 v23, v24, v23
	s_delay_alu instid0(VALU_DEP_4) | instskip(SKIP_1) | instid1(VALU_DEP_1)
	v_subrev_co_ci_u32_e64 v22, s7, 0, v22, s7
	s_mov_b32 s7, 0x3e9b6dac
	v_sub_nc_u32_e32 v26, 0, v22
	v_cvt_f32_i32_e32 v22, v22
	s_delay_alu instid0(VALU_DEP_2) | instskip(NEXT) | instid1(VALU_DEP_1)
	v_ldexp_f32 v25, v25, v26
	v_dual_add_f32 v28, 1.0, v25 :: v_dual_add_f32 v27, 1.0, v27
	s_delay_alu instid0(VALU_DEP_1) | instskip(NEXT) | instid1(VALU_DEP_2)
	v_add_f32_e32 v23, v23, v27
	v_add_f32_e32 v27, -1.0, v28
	s_delay_alu instid0(VALU_DEP_2) | instskip(NEXT) | instid1(VALU_DEP_2)
	v_ldexp_f32 v23, v23, v26
	v_dual_add_f32 v26, -1.0, v25 :: v_dual_sub_f32 v27, v25, v27
	s_delay_alu instid0(VALU_DEP_1) | instskip(NEXT) | instid1(VALU_DEP_2)
	v_add_f32_e32 v29, 1.0, v26
	v_add_f32_e32 v27, v23, v27
	s_delay_alu instid0(VALU_DEP_2) | instskip(NEXT) | instid1(VALU_DEP_2)
	v_sub_f32_e32 v25, v25, v29
	v_add_f32_e32 v29, v28, v27
	s_delay_alu instid0(VALU_DEP_2) | instskip(NEXT) | instid1(VALU_DEP_2)
	v_add_f32_e32 v23, v23, v25
	v_rcp_f32_e32 v25, v29
	v_sub_f32_e32 v28, v28, v29
	s_delay_alu instid0(VALU_DEP_1) | instskip(NEXT) | instid1(VALU_DEP_1)
	v_dual_add_f32 v30, v26, v23 :: v_dual_add_f32 v27, v27, v28
	v_sub_f32_e32 v26, v26, v30
	s_waitcnt_depctr 0xfff
	v_mul_f32_e32 v31, v30, v25
	s_delay_alu instid0(VALU_DEP_1) | instskip(NEXT) | instid1(VALU_DEP_1)
	v_dual_add_f32 v23, v23, v26 :: v_dual_mul_f32 v32, v29, v31
	v_fma_f32 v28, v31, v29, -v32
	s_delay_alu instid0(VALU_DEP_1) | instskip(NEXT) | instid1(VALU_DEP_1)
	v_fmac_f32_e32 v28, v31, v27
	v_add_f32_e32 v33, v32, v28
	s_delay_alu instid0(VALU_DEP_1) | instskip(SKIP_1) | instid1(VALU_DEP_2)
	v_sub_f32_e32 v34, v30, v33
	v_sub_f32_e32 v26, v33, v32
	;; [unrolled: 1-line block ×3, first 2 shown]
	s_delay_alu instid0(VALU_DEP_2) | instskip(NEXT) | instid1(VALU_DEP_2)
	v_sub_f32_e32 v26, v26, v28
	v_sub_f32_e32 v30, v30, v33
	s_delay_alu instid0(VALU_DEP_1) | instskip(NEXT) | instid1(VALU_DEP_1)
	v_add_f32_e32 v23, v23, v30
	v_add_f32_e32 v23, v26, v23
	s_delay_alu instid0(VALU_DEP_1) | instskip(NEXT) | instid1(VALU_DEP_1)
	v_add_f32_e32 v26, v34, v23
	v_mul_f32_e32 v28, v25, v26
	s_delay_alu instid0(VALU_DEP_1) | instskip(NEXT) | instid1(VALU_DEP_1)
	v_dual_sub_f32 v33, v34, v26 :: v_dual_mul_f32 v30, v29, v28
	v_add_f32_e32 v23, v23, v33
	s_delay_alu instid0(VALU_DEP_2) | instskip(NEXT) | instid1(VALU_DEP_1)
	v_fma_f32 v29, v28, v29, -v30
	v_fmac_f32_e32 v29, v28, v27
	s_delay_alu instid0(VALU_DEP_1) | instskip(NEXT) | instid1(VALU_DEP_1)
	v_add_f32_e32 v27, v30, v29
	v_sub_f32_e32 v32, v26, v27
	v_sub_f32_e32 v30, v27, v30
	s_delay_alu instid0(VALU_DEP_2) | instskip(NEXT) | instid1(VALU_DEP_1)
	v_sub_f32_e32 v26, v26, v32
	v_sub_f32_e32 v26, v26, v27
	s_delay_alu instid0(VALU_DEP_3) | instskip(NEXT) | instid1(VALU_DEP_2)
	v_sub_f32_e32 v27, v30, v29
	v_add_f32_e32 v23, v23, v26
	v_add_f32_e32 v26, v31, v28
	s_delay_alu instid0(VALU_DEP_2) | instskip(NEXT) | instid1(VALU_DEP_2)
	v_add_f32_e32 v23, v27, v23
	v_sub_f32_e32 v27, v26, v31
	s_delay_alu instid0(VALU_DEP_2) | instskip(NEXT) | instid1(VALU_DEP_2)
	v_add_f32_e32 v23, v32, v23
	v_sub_f32_e32 v27, v28, v27
	s_delay_alu instid0(VALU_DEP_2) | instskip(NEXT) | instid1(VALU_DEP_1)
	v_mul_f32_e32 v23, v25, v23
	v_add_f32_e32 v23, v27, v23
	s_delay_alu instid0(VALU_DEP_1) | instskip(NEXT) | instid1(VALU_DEP_1)
	v_add_f32_e32 v25, v26, v23
	v_mul_f32_e32 v27, v25, v25
	s_delay_alu instid0(VALU_DEP_1) | instskip(SKIP_2) | instid1(VALU_DEP_3)
	v_fmaak_f32 v28, s7, v27, 0x3ecc95a3
	v_mul_f32_e32 v29, v25, v27
	v_cmp_eq_f32_e64 s7, 0x7f800000, v24
	v_fmaak_f32 v27, v27, v28, 0x3f2aaada
	v_ldexp_f32 v28, v25, 1
	v_sub_f32_e32 v25, v25, v26
	s_delay_alu instid0(VALU_DEP_4) | instskip(NEXT) | instid1(VALU_DEP_3)
	s_or_b32 s7, s7, s12
	v_mul_f32_e32 v27, v29, v27
	v_mul_f32_e32 v29, 0x3f317218, v22
	s_delay_alu instid0(VALU_DEP_2) | instskip(NEXT) | instid1(VALU_DEP_1)
	v_dual_sub_f32 v23, v23, v25 :: v_dual_add_f32 v26, v28, v27
	v_ldexp_f32 v23, v23, 1
	s_delay_alu instid0(VALU_DEP_2) | instskip(NEXT) | instid1(VALU_DEP_4)
	v_sub_f32_e32 v25, v26, v28
	v_fma_f32 v28, 0x3f317218, v22, -v29
	s_delay_alu instid0(VALU_DEP_1) | instskip(NEXT) | instid1(VALU_DEP_1)
	v_dual_sub_f32 v25, v27, v25 :: v_dual_fmamk_f32 v22, v22, 0xb102e308, v28
	v_add_f32_e32 v23, v23, v25
	s_delay_alu instid0(VALU_DEP_2) | instskip(NEXT) | instid1(VALU_DEP_2)
	v_add_f32_e32 v25, v29, v22
	v_add_f32_e32 v27, v26, v23
	s_delay_alu instid0(VALU_DEP_2) | instskip(NEXT) | instid1(VALU_DEP_2)
	v_sub_f32_e32 v29, v25, v29
	v_add_f32_e32 v28, v25, v27
	v_sub_f32_e32 v26, v27, v26
	s_delay_alu instid0(VALU_DEP_3) | instskip(NEXT) | instid1(VALU_DEP_2)
	v_sub_f32_e32 v22, v22, v29
	v_dual_sub_f32 v30, v28, v25 :: v_dual_sub_f32 v23, v23, v26
	s_delay_alu instid0(VALU_DEP_1) | instskip(NEXT) | instid1(VALU_DEP_2)
	v_sub_f32_e32 v31, v28, v30
	v_dual_sub_f32 v26, v27, v30 :: v_dual_add_f32 v27, v22, v23
	s_delay_alu instid0(VALU_DEP_2) | instskip(NEXT) | instid1(VALU_DEP_1)
	v_sub_f32_e32 v25, v25, v31
	v_dual_add_f32 v25, v26, v25 :: v_dual_sub_f32 v26, v27, v22
	s_delay_alu instid0(VALU_DEP_1) | instskip(NEXT) | instid1(VALU_DEP_2)
	v_add_f32_e32 v25, v27, v25
	v_sub_f32_e32 v27, v27, v26
	v_sub_f32_e32 v23, v23, v26
	s_delay_alu instid0(VALU_DEP_2) | instskip(NEXT) | instid1(VALU_DEP_1)
	v_dual_add_f32 v29, v28, v25 :: v_dual_sub_f32 v22, v22, v27
	v_sub_f32_e32 v26, v29, v28
	s_delay_alu instid0(VALU_DEP_2) | instskip(NEXT) | instid1(VALU_DEP_2)
	v_add_f32_e32 v22, v23, v22
	v_sub_f32_e32 v23, v25, v26
	s_delay_alu instid0(VALU_DEP_1) | instskip(NEXT) | instid1(VALU_DEP_1)
	v_add_f32_e32 v22, v22, v23
	v_add_f32_e32 v22, v29, v22
	s_delay_alu instid0(VALU_DEP_1) | instskip(NEXT) | instid1(VALU_DEP_1)
	v_cndmask_b32_e64 v22, v22, v24, s7
	v_add_f32_e32 v23, v6, v22
.LBB126_168:
	s_or_b32 exec_lo, exec_lo, s9
	ds_load_b32 v6, v20 offset:8
	v_max_f32_e32 v22, v23, v23
	v_cmp_u_f32_e64 s7, v23, v23
	s_waitcnt lgkmcnt(0)
	v_max_f32_e32 v24, v6, v6
	s_delay_alu instid0(VALU_DEP_1) | instskip(SKIP_1) | instid1(VALU_DEP_2)
	v_min_f32_e32 v25, v22, v24
	v_max_f32_e32 v22, v22, v24
	v_cndmask_b32_e64 v24, v25, v23, s7
	s_delay_alu instid0(VALU_DEP_2) | instskip(SKIP_1) | instid1(VALU_DEP_1)
	v_cndmask_b32_e64 v25, v22, v23, s7
	v_cmp_u_f32_e64 s7, v6, v6
	v_cndmask_b32_e64 v22, v24, v6, s7
	s_delay_alu instid0(VALU_DEP_3) | instskip(NEXT) | instid1(VALU_DEP_2)
	v_cndmask_b32_e64 v6, v25, v6, s7
	v_cmp_class_f32_e64 s9, v22, 0x1f8
	s_delay_alu instid0(VALU_DEP_2) | instskip(NEXT) | instid1(VALU_DEP_1)
	v_cmp_neq_f32_e64 s7, v22, v6
	s_or_b32 s7, s7, s9
	s_delay_alu instid0(SALU_CYCLE_1)
	s_and_saveexec_b32 s9, s7
	s_cbranch_execz .LBB126_170
; %bb.169:
	v_sub_f32_e32 v22, v22, v6
	s_delay_alu instid0(VALU_DEP_1) | instskip(NEXT) | instid1(VALU_DEP_1)
	v_mul_f32_e32 v23, 0x3fb8aa3b, v22
	v_fma_f32 v24, 0x3fb8aa3b, v22, -v23
	v_rndne_f32_e32 v25, v23
	s_delay_alu instid0(VALU_DEP_1) | instskip(SKIP_1) | instid1(VALU_DEP_2)
	v_dual_sub_f32 v23, v23, v25 :: v_dual_fmamk_f32 v24, v22, 0x32a5705f, v24
	v_cmp_ngt_f32_e64 s7, 0xc2ce8ed0, v22
	v_add_f32_e32 v23, v23, v24
	v_cvt_i32_f32_e32 v24, v25
	s_delay_alu instid0(VALU_DEP_2) | instskip(SKIP_2) | instid1(VALU_DEP_1)
	v_exp_f32_e32 v23, v23
	s_waitcnt_depctr 0xfff
	v_ldexp_f32 v23, v23, v24
	v_cndmask_b32_e64 v23, 0, v23, s7
	v_cmp_nlt_f32_e64 s7, 0x42b17218, v22
	s_delay_alu instid0(VALU_DEP_1) | instskip(NEXT) | instid1(VALU_DEP_1)
	v_cndmask_b32_e64 v24, 0x7f800000, v23, s7
	v_add_f32_e32 v25, 1.0, v24
	v_cmp_gt_f32_e64 s12, 0x33800000, |v24|
	s_delay_alu instid0(VALU_DEP_2) | instskip(NEXT) | instid1(VALU_DEP_1)
	v_cvt_f64_f32_e32 v[22:23], v25
	v_frexp_exp_i32_f64_e32 v22, v[22:23]
	v_frexp_mant_f32_e32 v23, v25
	s_delay_alu instid0(VALU_DEP_1) | instskip(SKIP_1) | instid1(VALU_DEP_1)
	v_cmp_gt_f32_e64 s7, 0x3f2aaaab, v23
	v_add_f32_e32 v23, -1.0, v25
	v_sub_f32_e32 v27, v23, v25
	v_sub_f32_e32 v23, v24, v23
	s_delay_alu instid0(VALU_DEP_4) | instskip(SKIP_1) | instid1(VALU_DEP_1)
	v_subrev_co_ci_u32_e64 v22, s7, 0, v22, s7
	s_mov_b32 s7, 0x3e9b6dac
	v_sub_nc_u32_e32 v26, 0, v22
	v_cvt_f32_i32_e32 v22, v22
	s_delay_alu instid0(VALU_DEP_2) | instskip(NEXT) | instid1(VALU_DEP_1)
	v_ldexp_f32 v25, v25, v26
	v_dual_add_f32 v28, 1.0, v25 :: v_dual_add_f32 v27, 1.0, v27
	s_delay_alu instid0(VALU_DEP_1) | instskip(NEXT) | instid1(VALU_DEP_2)
	v_add_f32_e32 v23, v23, v27
	v_add_f32_e32 v27, -1.0, v28
	s_delay_alu instid0(VALU_DEP_2) | instskip(NEXT) | instid1(VALU_DEP_2)
	v_ldexp_f32 v23, v23, v26
	v_dual_add_f32 v26, -1.0, v25 :: v_dual_sub_f32 v27, v25, v27
	s_delay_alu instid0(VALU_DEP_1) | instskip(NEXT) | instid1(VALU_DEP_2)
	v_add_f32_e32 v29, 1.0, v26
	v_add_f32_e32 v27, v23, v27
	s_delay_alu instid0(VALU_DEP_2) | instskip(NEXT) | instid1(VALU_DEP_2)
	v_sub_f32_e32 v25, v25, v29
	v_add_f32_e32 v29, v28, v27
	s_delay_alu instid0(VALU_DEP_2) | instskip(NEXT) | instid1(VALU_DEP_2)
	v_add_f32_e32 v23, v23, v25
	v_rcp_f32_e32 v25, v29
	v_sub_f32_e32 v28, v28, v29
	s_delay_alu instid0(VALU_DEP_1) | instskip(NEXT) | instid1(VALU_DEP_1)
	v_dual_add_f32 v30, v26, v23 :: v_dual_add_f32 v27, v27, v28
	v_sub_f32_e32 v26, v26, v30
	s_waitcnt_depctr 0xfff
	v_mul_f32_e32 v31, v30, v25
	s_delay_alu instid0(VALU_DEP_1) | instskip(NEXT) | instid1(VALU_DEP_1)
	v_dual_add_f32 v23, v23, v26 :: v_dual_mul_f32 v32, v29, v31
	v_fma_f32 v28, v31, v29, -v32
	s_delay_alu instid0(VALU_DEP_1) | instskip(NEXT) | instid1(VALU_DEP_1)
	v_fmac_f32_e32 v28, v31, v27
	v_add_f32_e32 v33, v32, v28
	s_delay_alu instid0(VALU_DEP_1) | instskip(SKIP_1) | instid1(VALU_DEP_2)
	v_sub_f32_e32 v34, v30, v33
	v_sub_f32_e32 v26, v33, v32
	;; [unrolled: 1-line block ×3, first 2 shown]
	s_delay_alu instid0(VALU_DEP_2) | instskip(NEXT) | instid1(VALU_DEP_2)
	v_sub_f32_e32 v26, v26, v28
	v_sub_f32_e32 v30, v30, v33
	s_delay_alu instid0(VALU_DEP_1) | instskip(NEXT) | instid1(VALU_DEP_1)
	v_add_f32_e32 v23, v23, v30
	v_add_f32_e32 v23, v26, v23
	s_delay_alu instid0(VALU_DEP_1) | instskip(NEXT) | instid1(VALU_DEP_1)
	v_add_f32_e32 v26, v34, v23
	v_mul_f32_e32 v28, v25, v26
	s_delay_alu instid0(VALU_DEP_1) | instskip(NEXT) | instid1(VALU_DEP_1)
	v_dual_sub_f32 v33, v34, v26 :: v_dual_mul_f32 v30, v29, v28
	v_add_f32_e32 v23, v23, v33
	s_delay_alu instid0(VALU_DEP_2) | instskip(NEXT) | instid1(VALU_DEP_1)
	v_fma_f32 v29, v28, v29, -v30
	v_fmac_f32_e32 v29, v28, v27
	s_delay_alu instid0(VALU_DEP_1) | instskip(NEXT) | instid1(VALU_DEP_1)
	v_add_f32_e32 v27, v30, v29
	v_sub_f32_e32 v32, v26, v27
	v_sub_f32_e32 v30, v27, v30
	s_delay_alu instid0(VALU_DEP_2) | instskip(NEXT) | instid1(VALU_DEP_1)
	v_sub_f32_e32 v26, v26, v32
	v_sub_f32_e32 v26, v26, v27
	s_delay_alu instid0(VALU_DEP_3) | instskip(NEXT) | instid1(VALU_DEP_2)
	v_sub_f32_e32 v27, v30, v29
	v_add_f32_e32 v23, v23, v26
	v_add_f32_e32 v26, v31, v28
	s_delay_alu instid0(VALU_DEP_2) | instskip(NEXT) | instid1(VALU_DEP_2)
	v_add_f32_e32 v23, v27, v23
	v_sub_f32_e32 v27, v26, v31
	s_delay_alu instid0(VALU_DEP_2) | instskip(NEXT) | instid1(VALU_DEP_2)
	v_add_f32_e32 v23, v32, v23
	v_sub_f32_e32 v27, v28, v27
	s_delay_alu instid0(VALU_DEP_2) | instskip(NEXT) | instid1(VALU_DEP_1)
	v_mul_f32_e32 v23, v25, v23
	v_add_f32_e32 v23, v27, v23
	s_delay_alu instid0(VALU_DEP_1) | instskip(NEXT) | instid1(VALU_DEP_1)
	v_add_f32_e32 v25, v26, v23
	v_mul_f32_e32 v27, v25, v25
	s_delay_alu instid0(VALU_DEP_1) | instskip(SKIP_2) | instid1(VALU_DEP_3)
	v_fmaak_f32 v28, s7, v27, 0x3ecc95a3
	v_mul_f32_e32 v29, v25, v27
	v_cmp_eq_f32_e64 s7, 0x7f800000, v24
	v_fmaak_f32 v27, v27, v28, 0x3f2aaada
	v_ldexp_f32 v28, v25, 1
	v_sub_f32_e32 v25, v25, v26
	s_delay_alu instid0(VALU_DEP_4) | instskip(NEXT) | instid1(VALU_DEP_3)
	s_or_b32 s7, s7, s12
	v_mul_f32_e32 v27, v29, v27
	v_mul_f32_e32 v29, 0x3f317218, v22
	s_delay_alu instid0(VALU_DEP_2) | instskip(NEXT) | instid1(VALU_DEP_1)
	v_dual_sub_f32 v23, v23, v25 :: v_dual_add_f32 v26, v28, v27
	v_ldexp_f32 v23, v23, 1
	s_delay_alu instid0(VALU_DEP_2) | instskip(NEXT) | instid1(VALU_DEP_4)
	v_sub_f32_e32 v25, v26, v28
	v_fma_f32 v28, 0x3f317218, v22, -v29
	s_delay_alu instid0(VALU_DEP_1) | instskip(NEXT) | instid1(VALU_DEP_1)
	v_dual_sub_f32 v25, v27, v25 :: v_dual_fmamk_f32 v22, v22, 0xb102e308, v28
	v_add_f32_e32 v23, v23, v25
	s_delay_alu instid0(VALU_DEP_2) | instskip(NEXT) | instid1(VALU_DEP_2)
	v_add_f32_e32 v25, v29, v22
	v_add_f32_e32 v27, v26, v23
	s_delay_alu instid0(VALU_DEP_2) | instskip(NEXT) | instid1(VALU_DEP_2)
	v_sub_f32_e32 v29, v25, v29
	v_add_f32_e32 v28, v25, v27
	v_sub_f32_e32 v26, v27, v26
	s_delay_alu instid0(VALU_DEP_3) | instskip(NEXT) | instid1(VALU_DEP_2)
	v_sub_f32_e32 v22, v22, v29
	v_dual_sub_f32 v30, v28, v25 :: v_dual_sub_f32 v23, v23, v26
	s_delay_alu instid0(VALU_DEP_1) | instskip(NEXT) | instid1(VALU_DEP_2)
	v_sub_f32_e32 v31, v28, v30
	v_dual_sub_f32 v26, v27, v30 :: v_dual_add_f32 v27, v22, v23
	s_delay_alu instid0(VALU_DEP_2) | instskip(NEXT) | instid1(VALU_DEP_1)
	v_sub_f32_e32 v25, v25, v31
	v_dual_add_f32 v25, v26, v25 :: v_dual_sub_f32 v26, v27, v22
	s_delay_alu instid0(VALU_DEP_1) | instskip(NEXT) | instid1(VALU_DEP_2)
	v_add_f32_e32 v25, v27, v25
	v_sub_f32_e32 v27, v27, v26
	v_sub_f32_e32 v23, v23, v26
	s_delay_alu instid0(VALU_DEP_2) | instskip(NEXT) | instid1(VALU_DEP_1)
	v_dual_add_f32 v29, v28, v25 :: v_dual_sub_f32 v22, v22, v27
	v_sub_f32_e32 v26, v29, v28
	s_delay_alu instid0(VALU_DEP_2) | instskip(NEXT) | instid1(VALU_DEP_2)
	v_add_f32_e32 v22, v23, v22
	v_sub_f32_e32 v23, v25, v26
	s_delay_alu instid0(VALU_DEP_1) | instskip(NEXT) | instid1(VALU_DEP_1)
	v_add_f32_e32 v22, v22, v23
	v_add_f32_e32 v22, v29, v22
	s_delay_alu instid0(VALU_DEP_1) | instskip(NEXT) | instid1(VALU_DEP_1)
	v_cndmask_b32_e64 v22, v22, v24, s7
	v_add_f32_e32 v23, v6, v22
.LBB126_170:
	s_or_b32 exec_lo, exec_lo, s9
	ds_load_b32 v6, v20 offset:12
	v_max_f32_e32 v22, v23, v23
	v_cmp_u_f32_e64 s7, v23, v23
	s_waitcnt lgkmcnt(0)
	v_max_f32_e32 v24, v6, v6
	s_delay_alu instid0(VALU_DEP_1) | instskip(SKIP_1) | instid1(VALU_DEP_2)
	v_min_f32_e32 v25, v22, v24
	v_max_f32_e32 v22, v22, v24
	v_cndmask_b32_e64 v24, v25, v23, s7
	s_delay_alu instid0(VALU_DEP_2) | instskip(SKIP_1) | instid1(VALU_DEP_1)
	v_cndmask_b32_e64 v25, v22, v23, s7
	v_cmp_u_f32_e64 s7, v6, v6
	v_cndmask_b32_e64 v22, v24, v6, s7
	s_delay_alu instid0(VALU_DEP_3) | instskip(NEXT) | instid1(VALU_DEP_2)
	v_cndmask_b32_e64 v6, v25, v6, s7
	v_cmp_class_f32_e64 s9, v22, 0x1f8
	s_delay_alu instid0(VALU_DEP_2) | instskip(NEXT) | instid1(VALU_DEP_1)
	v_cmp_neq_f32_e64 s7, v22, v6
	s_or_b32 s7, s7, s9
	s_delay_alu instid0(SALU_CYCLE_1)
	s_and_saveexec_b32 s9, s7
	s_cbranch_execz .LBB126_172
; %bb.171:
	v_sub_f32_e32 v22, v22, v6
	s_delay_alu instid0(VALU_DEP_1) | instskip(NEXT) | instid1(VALU_DEP_1)
	v_mul_f32_e32 v23, 0x3fb8aa3b, v22
	v_fma_f32 v24, 0x3fb8aa3b, v22, -v23
	v_rndne_f32_e32 v25, v23
	s_delay_alu instid0(VALU_DEP_1) | instskip(SKIP_1) | instid1(VALU_DEP_2)
	v_dual_sub_f32 v23, v23, v25 :: v_dual_fmamk_f32 v24, v22, 0x32a5705f, v24
	v_cmp_ngt_f32_e64 s7, 0xc2ce8ed0, v22
	v_add_f32_e32 v23, v23, v24
	v_cvt_i32_f32_e32 v24, v25
	s_delay_alu instid0(VALU_DEP_2) | instskip(SKIP_2) | instid1(VALU_DEP_1)
	v_exp_f32_e32 v23, v23
	s_waitcnt_depctr 0xfff
	v_ldexp_f32 v23, v23, v24
	v_cndmask_b32_e64 v23, 0, v23, s7
	v_cmp_nlt_f32_e64 s7, 0x42b17218, v22
	s_delay_alu instid0(VALU_DEP_1) | instskip(NEXT) | instid1(VALU_DEP_1)
	v_cndmask_b32_e64 v24, 0x7f800000, v23, s7
	v_add_f32_e32 v25, 1.0, v24
	v_cmp_gt_f32_e64 s12, 0x33800000, |v24|
	s_delay_alu instid0(VALU_DEP_2) | instskip(NEXT) | instid1(VALU_DEP_1)
	v_cvt_f64_f32_e32 v[22:23], v25
	v_frexp_exp_i32_f64_e32 v22, v[22:23]
	v_frexp_mant_f32_e32 v23, v25
	s_delay_alu instid0(VALU_DEP_1) | instskip(SKIP_1) | instid1(VALU_DEP_1)
	v_cmp_gt_f32_e64 s7, 0x3f2aaaab, v23
	v_add_f32_e32 v23, -1.0, v25
	v_sub_f32_e32 v27, v23, v25
	v_sub_f32_e32 v23, v24, v23
	s_delay_alu instid0(VALU_DEP_4) | instskip(SKIP_1) | instid1(VALU_DEP_1)
	v_subrev_co_ci_u32_e64 v22, s7, 0, v22, s7
	s_mov_b32 s7, 0x3e9b6dac
	v_sub_nc_u32_e32 v26, 0, v22
	v_cvt_f32_i32_e32 v22, v22
	s_delay_alu instid0(VALU_DEP_2) | instskip(NEXT) | instid1(VALU_DEP_1)
	v_ldexp_f32 v25, v25, v26
	v_dual_add_f32 v28, 1.0, v25 :: v_dual_add_f32 v27, 1.0, v27
	s_delay_alu instid0(VALU_DEP_1) | instskip(NEXT) | instid1(VALU_DEP_2)
	v_add_f32_e32 v23, v23, v27
	v_add_f32_e32 v27, -1.0, v28
	s_delay_alu instid0(VALU_DEP_2) | instskip(NEXT) | instid1(VALU_DEP_2)
	v_ldexp_f32 v23, v23, v26
	v_dual_add_f32 v26, -1.0, v25 :: v_dual_sub_f32 v27, v25, v27
	s_delay_alu instid0(VALU_DEP_1) | instskip(NEXT) | instid1(VALU_DEP_2)
	v_add_f32_e32 v29, 1.0, v26
	v_add_f32_e32 v27, v23, v27
	s_delay_alu instid0(VALU_DEP_2) | instskip(NEXT) | instid1(VALU_DEP_2)
	v_sub_f32_e32 v25, v25, v29
	v_add_f32_e32 v29, v28, v27
	s_delay_alu instid0(VALU_DEP_2) | instskip(NEXT) | instid1(VALU_DEP_2)
	v_add_f32_e32 v23, v23, v25
	v_rcp_f32_e32 v25, v29
	v_sub_f32_e32 v28, v28, v29
	s_delay_alu instid0(VALU_DEP_1) | instskip(NEXT) | instid1(VALU_DEP_1)
	v_dual_add_f32 v30, v26, v23 :: v_dual_add_f32 v27, v27, v28
	v_sub_f32_e32 v26, v26, v30
	s_waitcnt_depctr 0xfff
	v_mul_f32_e32 v31, v30, v25
	s_delay_alu instid0(VALU_DEP_1) | instskip(NEXT) | instid1(VALU_DEP_1)
	v_dual_add_f32 v23, v23, v26 :: v_dual_mul_f32 v32, v29, v31
	v_fma_f32 v28, v31, v29, -v32
	s_delay_alu instid0(VALU_DEP_1) | instskip(NEXT) | instid1(VALU_DEP_1)
	v_fmac_f32_e32 v28, v31, v27
	v_add_f32_e32 v33, v32, v28
	s_delay_alu instid0(VALU_DEP_1) | instskip(SKIP_1) | instid1(VALU_DEP_2)
	v_sub_f32_e32 v34, v30, v33
	v_sub_f32_e32 v26, v33, v32
	;; [unrolled: 1-line block ×3, first 2 shown]
	s_delay_alu instid0(VALU_DEP_2) | instskip(NEXT) | instid1(VALU_DEP_2)
	v_sub_f32_e32 v26, v26, v28
	v_sub_f32_e32 v30, v30, v33
	s_delay_alu instid0(VALU_DEP_1) | instskip(NEXT) | instid1(VALU_DEP_1)
	v_add_f32_e32 v23, v23, v30
	v_add_f32_e32 v23, v26, v23
	s_delay_alu instid0(VALU_DEP_1) | instskip(NEXT) | instid1(VALU_DEP_1)
	v_add_f32_e32 v26, v34, v23
	v_mul_f32_e32 v28, v25, v26
	s_delay_alu instid0(VALU_DEP_1) | instskip(NEXT) | instid1(VALU_DEP_1)
	v_dual_sub_f32 v33, v34, v26 :: v_dual_mul_f32 v30, v29, v28
	v_add_f32_e32 v23, v23, v33
	s_delay_alu instid0(VALU_DEP_2) | instskip(NEXT) | instid1(VALU_DEP_1)
	v_fma_f32 v29, v28, v29, -v30
	v_fmac_f32_e32 v29, v28, v27
	s_delay_alu instid0(VALU_DEP_1) | instskip(NEXT) | instid1(VALU_DEP_1)
	v_add_f32_e32 v27, v30, v29
	v_sub_f32_e32 v32, v26, v27
	v_sub_f32_e32 v30, v27, v30
	s_delay_alu instid0(VALU_DEP_2) | instskip(NEXT) | instid1(VALU_DEP_1)
	v_sub_f32_e32 v26, v26, v32
	v_sub_f32_e32 v26, v26, v27
	s_delay_alu instid0(VALU_DEP_3) | instskip(NEXT) | instid1(VALU_DEP_2)
	v_sub_f32_e32 v27, v30, v29
	v_add_f32_e32 v23, v23, v26
	v_add_f32_e32 v26, v31, v28
	s_delay_alu instid0(VALU_DEP_2) | instskip(NEXT) | instid1(VALU_DEP_2)
	v_add_f32_e32 v23, v27, v23
	v_sub_f32_e32 v27, v26, v31
	s_delay_alu instid0(VALU_DEP_2) | instskip(NEXT) | instid1(VALU_DEP_2)
	v_add_f32_e32 v23, v32, v23
	v_sub_f32_e32 v27, v28, v27
	s_delay_alu instid0(VALU_DEP_2) | instskip(NEXT) | instid1(VALU_DEP_1)
	v_mul_f32_e32 v23, v25, v23
	v_add_f32_e32 v23, v27, v23
	s_delay_alu instid0(VALU_DEP_1) | instskip(NEXT) | instid1(VALU_DEP_1)
	v_add_f32_e32 v25, v26, v23
	v_mul_f32_e32 v27, v25, v25
	s_delay_alu instid0(VALU_DEP_1) | instskip(SKIP_2) | instid1(VALU_DEP_3)
	v_fmaak_f32 v28, s7, v27, 0x3ecc95a3
	v_mul_f32_e32 v29, v25, v27
	v_cmp_eq_f32_e64 s7, 0x7f800000, v24
	v_fmaak_f32 v27, v27, v28, 0x3f2aaada
	v_ldexp_f32 v28, v25, 1
	v_sub_f32_e32 v25, v25, v26
	s_delay_alu instid0(VALU_DEP_4) | instskip(NEXT) | instid1(VALU_DEP_3)
	s_or_b32 s7, s7, s12
	v_mul_f32_e32 v27, v29, v27
	v_mul_f32_e32 v29, 0x3f317218, v22
	s_delay_alu instid0(VALU_DEP_2) | instskip(NEXT) | instid1(VALU_DEP_1)
	v_dual_sub_f32 v23, v23, v25 :: v_dual_add_f32 v26, v28, v27
	v_ldexp_f32 v23, v23, 1
	s_delay_alu instid0(VALU_DEP_2) | instskip(NEXT) | instid1(VALU_DEP_4)
	v_sub_f32_e32 v25, v26, v28
	v_fma_f32 v28, 0x3f317218, v22, -v29
	s_delay_alu instid0(VALU_DEP_1) | instskip(NEXT) | instid1(VALU_DEP_1)
	v_dual_sub_f32 v25, v27, v25 :: v_dual_fmamk_f32 v22, v22, 0xb102e308, v28
	v_add_f32_e32 v23, v23, v25
	s_delay_alu instid0(VALU_DEP_2) | instskip(NEXT) | instid1(VALU_DEP_2)
	v_add_f32_e32 v25, v29, v22
	v_add_f32_e32 v27, v26, v23
	s_delay_alu instid0(VALU_DEP_2) | instskip(NEXT) | instid1(VALU_DEP_2)
	v_sub_f32_e32 v29, v25, v29
	v_add_f32_e32 v28, v25, v27
	v_sub_f32_e32 v26, v27, v26
	s_delay_alu instid0(VALU_DEP_3) | instskip(NEXT) | instid1(VALU_DEP_2)
	v_sub_f32_e32 v22, v22, v29
	v_dual_sub_f32 v30, v28, v25 :: v_dual_sub_f32 v23, v23, v26
	s_delay_alu instid0(VALU_DEP_1) | instskip(NEXT) | instid1(VALU_DEP_2)
	v_sub_f32_e32 v31, v28, v30
	v_dual_sub_f32 v26, v27, v30 :: v_dual_add_f32 v27, v22, v23
	s_delay_alu instid0(VALU_DEP_2) | instskip(NEXT) | instid1(VALU_DEP_1)
	v_sub_f32_e32 v25, v25, v31
	v_dual_add_f32 v25, v26, v25 :: v_dual_sub_f32 v26, v27, v22
	s_delay_alu instid0(VALU_DEP_1) | instskip(NEXT) | instid1(VALU_DEP_2)
	v_add_f32_e32 v25, v27, v25
	v_sub_f32_e32 v27, v27, v26
	v_sub_f32_e32 v23, v23, v26
	s_delay_alu instid0(VALU_DEP_2) | instskip(NEXT) | instid1(VALU_DEP_1)
	v_dual_add_f32 v29, v28, v25 :: v_dual_sub_f32 v22, v22, v27
	v_sub_f32_e32 v26, v29, v28
	s_delay_alu instid0(VALU_DEP_2) | instskip(NEXT) | instid1(VALU_DEP_2)
	v_add_f32_e32 v22, v23, v22
	v_sub_f32_e32 v23, v25, v26
	s_delay_alu instid0(VALU_DEP_1) | instskip(NEXT) | instid1(VALU_DEP_1)
	v_add_f32_e32 v22, v22, v23
	v_add_f32_e32 v22, v29, v22
	s_delay_alu instid0(VALU_DEP_1) | instskip(NEXT) | instid1(VALU_DEP_1)
	v_cndmask_b32_e64 v22, v22, v24, s7
	v_add_f32_e32 v23, v6, v22
.LBB126_172:
	s_or_b32 exec_lo, exec_lo, s9
	ds_load_b32 v6, v20 offset:16
	v_max_f32_e32 v22, v23, v23
	v_cmp_u_f32_e64 s7, v23, v23
	s_waitcnt lgkmcnt(0)
	v_max_f32_e32 v24, v6, v6
	s_delay_alu instid0(VALU_DEP_1) | instskip(SKIP_1) | instid1(VALU_DEP_2)
	v_min_f32_e32 v25, v22, v24
	v_max_f32_e32 v22, v22, v24
	v_cndmask_b32_e64 v24, v25, v23, s7
	s_delay_alu instid0(VALU_DEP_2) | instskip(SKIP_1) | instid1(VALU_DEP_1)
	v_cndmask_b32_e64 v25, v22, v23, s7
	v_cmp_u_f32_e64 s7, v6, v6
	v_cndmask_b32_e64 v22, v24, v6, s7
	s_delay_alu instid0(VALU_DEP_3) | instskip(NEXT) | instid1(VALU_DEP_2)
	v_cndmask_b32_e64 v6, v25, v6, s7
	v_cmp_class_f32_e64 s9, v22, 0x1f8
	s_delay_alu instid0(VALU_DEP_2) | instskip(NEXT) | instid1(VALU_DEP_1)
	v_cmp_neq_f32_e64 s7, v22, v6
	s_or_b32 s7, s7, s9
	s_delay_alu instid0(SALU_CYCLE_1)
	s_and_saveexec_b32 s9, s7
	s_cbranch_execz .LBB126_174
; %bb.173:
	v_sub_f32_e32 v22, v22, v6
	s_delay_alu instid0(VALU_DEP_1) | instskip(NEXT) | instid1(VALU_DEP_1)
	v_mul_f32_e32 v23, 0x3fb8aa3b, v22
	v_fma_f32 v24, 0x3fb8aa3b, v22, -v23
	v_rndne_f32_e32 v25, v23
	s_delay_alu instid0(VALU_DEP_1) | instskip(SKIP_1) | instid1(VALU_DEP_2)
	v_dual_sub_f32 v23, v23, v25 :: v_dual_fmamk_f32 v24, v22, 0x32a5705f, v24
	v_cmp_ngt_f32_e64 s7, 0xc2ce8ed0, v22
	v_add_f32_e32 v23, v23, v24
	v_cvt_i32_f32_e32 v24, v25
	s_delay_alu instid0(VALU_DEP_2) | instskip(SKIP_2) | instid1(VALU_DEP_1)
	v_exp_f32_e32 v23, v23
	s_waitcnt_depctr 0xfff
	v_ldexp_f32 v23, v23, v24
	v_cndmask_b32_e64 v23, 0, v23, s7
	v_cmp_nlt_f32_e64 s7, 0x42b17218, v22
	s_delay_alu instid0(VALU_DEP_1) | instskip(NEXT) | instid1(VALU_DEP_1)
	v_cndmask_b32_e64 v24, 0x7f800000, v23, s7
	v_add_f32_e32 v25, 1.0, v24
	v_cmp_gt_f32_e64 s12, 0x33800000, |v24|
	s_delay_alu instid0(VALU_DEP_2) | instskip(NEXT) | instid1(VALU_DEP_1)
	v_cvt_f64_f32_e32 v[22:23], v25
	v_frexp_exp_i32_f64_e32 v22, v[22:23]
	v_frexp_mant_f32_e32 v23, v25
	s_delay_alu instid0(VALU_DEP_1) | instskip(SKIP_1) | instid1(VALU_DEP_1)
	v_cmp_gt_f32_e64 s7, 0x3f2aaaab, v23
	v_add_f32_e32 v23, -1.0, v25
	v_sub_f32_e32 v27, v23, v25
	v_sub_f32_e32 v23, v24, v23
	s_delay_alu instid0(VALU_DEP_4) | instskip(SKIP_1) | instid1(VALU_DEP_1)
	v_subrev_co_ci_u32_e64 v22, s7, 0, v22, s7
	s_mov_b32 s7, 0x3e9b6dac
	v_sub_nc_u32_e32 v26, 0, v22
	v_cvt_f32_i32_e32 v22, v22
	s_delay_alu instid0(VALU_DEP_2) | instskip(NEXT) | instid1(VALU_DEP_1)
	v_ldexp_f32 v25, v25, v26
	v_dual_add_f32 v28, 1.0, v25 :: v_dual_add_f32 v27, 1.0, v27
	s_delay_alu instid0(VALU_DEP_1) | instskip(NEXT) | instid1(VALU_DEP_2)
	v_add_f32_e32 v23, v23, v27
	v_add_f32_e32 v27, -1.0, v28
	s_delay_alu instid0(VALU_DEP_2) | instskip(NEXT) | instid1(VALU_DEP_2)
	v_ldexp_f32 v23, v23, v26
	v_dual_add_f32 v26, -1.0, v25 :: v_dual_sub_f32 v27, v25, v27
	s_delay_alu instid0(VALU_DEP_1) | instskip(NEXT) | instid1(VALU_DEP_2)
	v_add_f32_e32 v29, 1.0, v26
	v_add_f32_e32 v27, v23, v27
	s_delay_alu instid0(VALU_DEP_2) | instskip(NEXT) | instid1(VALU_DEP_2)
	v_sub_f32_e32 v25, v25, v29
	v_add_f32_e32 v29, v28, v27
	s_delay_alu instid0(VALU_DEP_2) | instskip(NEXT) | instid1(VALU_DEP_2)
	v_add_f32_e32 v23, v23, v25
	v_rcp_f32_e32 v25, v29
	v_sub_f32_e32 v28, v28, v29
	s_delay_alu instid0(VALU_DEP_1) | instskip(NEXT) | instid1(VALU_DEP_1)
	v_dual_add_f32 v30, v26, v23 :: v_dual_add_f32 v27, v27, v28
	v_sub_f32_e32 v26, v26, v30
	s_waitcnt_depctr 0xfff
	v_mul_f32_e32 v31, v30, v25
	s_delay_alu instid0(VALU_DEP_1) | instskip(NEXT) | instid1(VALU_DEP_1)
	v_dual_add_f32 v23, v23, v26 :: v_dual_mul_f32 v32, v29, v31
	v_fma_f32 v28, v31, v29, -v32
	s_delay_alu instid0(VALU_DEP_1) | instskip(NEXT) | instid1(VALU_DEP_1)
	v_fmac_f32_e32 v28, v31, v27
	v_add_f32_e32 v33, v32, v28
	s_delay_alu instid0(VALU_DEP_1) | instskip(SKIP_1) | instid1(VALU_DEP_2)
	v_sub_f32_e32 v34, v30, v33
	v_sub_f32_e32 v26, v33, v32
	;; [unrolled: 1-line block ×3, first 2 shown]
	s_delay_alu instid0(VALU_DEP_2) | instskip(NEXT) | instid1(VALU_DEP_2)
	v_sub_f32_e32 v26, v26, v28
	v_sub_f32_e32 v30, v30, v33
	s_delay_alu instid0(VALU_DEP_1) | instskip(NEXT) | instid1(VALU_DEP_1)
	v_add_f32_e32 v23, v23, v30
	v_add_f32_e32 v23, v26, v23
	s_delay_alu instid0(VALU_DEP_1) | instskip(NEXT) | instid1(VALU_DEP_1)
	v_add_f32_e32 v26, v34, v23
	v_mul_f32_e32 v28, v25, v26
	s_delay_alu instid0(VALU_DEP_1) | instskip(NEXT) | instid1(VALU_DEP_1)
	v_dual_sub_f32 v33, v34, v26 :: v_dual_mul_f32 v30, v29, v28
	v_add_f32_e32 v23, v23, v33
	s_delay_alu instid0(VALU_DEP_2) | instskip(NEXT) | instid1(VALU_DEP_1)
	v_fma_f32 v29, v28, v29, -v30
	v_fmac_f32_e32 v29, v28, v27
	s_delay_alu instid0(VALU_DEP_1) | instskip(NEXT) | instid1(VALU_DEP_1)
	v_add_f32_e32 v27, v30, v29
	v_sub_f32_e32 v32, v26, v27
	v_sub_f32_e32 v30, v27, v30
	s_delay_alu instid0(VALU_DEP_2) | instskip(NEXT) | instid1(VALU_DEP_1)
	v_sub_f32_e32 v26, v26, v32
	v_sub_f32_e32 v26, v26, v27
	s_delay_alu instid0(VALU_DEP_3) | instskip(NEXT) | instid1(VALU_DEP_2)
	v_sub_f32_e32 v27, v30, v29
	v_add_f32_e32 v23, v23, v26
	v_add_f32_e32 v26, v31, v28
	s_delay_alu instid0(VALU_DEP_2) | instskip(NEXT) | instid1(VALU_DEP_2)
	v_add_f32_e32 v23, v27, v23
	v_sub_f32_e32 v27, v26, v31
	s_delay_alu instid0(VALU_DEP_2) | instskip(NEXT) | instid1(VALU_DEP_2)
	v_add_f32_e32 v23, v32, v23
	v_sub_f32_e32 v27, v28, v27
	s_delay_alu instid0(VALU_DEP_2) | instskip(NEXT) | instid1(VALU_DEP_1)
	v_mul_f32_e32 v23, v25, v23
	v_add_f32_e32 v23, v27, v23
	s_delay_alu instid0(VALU_DEP_1) | instskip(NEXT) | instid1(VALU_DEP_1)
	v_add_f32_e32 v25, v26, v23
	v_mul_f32_e32 v27, v25, v25
	s_delay_alu instid0(VALU_DEP_1) | instskip(SKIP_2) | instid1(VALU_DEP_3)
	v_fmaak_f32 v28, s7, v27, 0x3ecc95a3
	v_mul_f32_e32 v29, v25, v27
	v_cmp_eq_f32_e64 s7, 0x7f800000, v24
	v_fmaak_f32 v27, v27, v28, 0x3f2aaada
	v_ldexp_f32 v28, v25, 1
	v_sub_f32_e32 v25, v25, v26
	s_delay_alu instid0(VALU_DEP_4) | instskip(NEXT) | instid1(VALU_DEP_3)
	s_or_b32 s7, s7, s12
	v_mul_f32_e32 v27, v29, v27
	v_mul_f32_e32 v29, 0x3f317218, v22
	s_delay_alu instid0(VALU_DEP_2) | instskip(NEXT) | instid1(VALU_DEP_1)
	v_dual_sub_f32 v23, v23, v25 :: v_dual_add_f32 v26, v28, v27
	v_ldexp_f32 v23, v23, 1
	s_delay_alu instid0(VALU_DEP_2) | instskip(NEXT) | instid1(VALU_DEP_4)
	v_sub_f32_e32 v25, v26, v28
	v_fma_f32 v28, 0x3f317218, v22, -v29
	s_delay_alu instid0(VALU_DEP_1) | instskip(NEXT) | instid1(VALU_DEP_1)
	v_dual_sub_f32 v25, v27, v25 :: v_dual_fmamk_f32 v22, v22, 0xb102e308, v28
	v_add_f32_e32 v23, v23, v25
	s_delay_alu instid0(VALU_DEP_2) | instskip(NEXT) | instid1(VALU_DEP_2)
	v_add_f32_e32 v25, v29, v22
	v_add_f32_e32 v27, v26, v23
	s_delay_alu instid0(VALU_DEP_2) | instskip(NEXT) | instid1(VALU_DEP_2)
	v_sub_f32_e32 v29, v25, v29
	v_add_f32_e32 v28, v25, v27
	v_sub_f32_e32 v26, v27, v26
	s_delay_alu instid0(VALU_DEP_3) | instskip(NEXT) | instid1(VALU_DEP_2)
	v_sub_f32_e32 v22, v22, v29
	v_dual_sub_f32 v30, v28, v25 :: v_dual_sub_f32 v23, v23, v26
	s_delay_alu instid0(VALU_DEP_1) | instskip(NEXT) | instid1(VALU_DEP_2)
	v_sub_f32_e32 v31, v28, v30
	v_dual_sub_f32 v26, v27, v30 :: v_dual_add_f32 v27, v22, v23
	s_delay_alu instid0(VALU_DEP_2) | instskip(NEXT) | instid1(VALU_DEP_1)
	v_sub_f32_e32 v25, v25, v31
	v_dual_add_f32 v25, v26, v25 :: v_dual_sub_f32 v26, v27, v22
	s_delay_alu instid0(VALU_DEP_1) | instskip(NEXT) | instid1(VALU_DEP_2)
	v_add_f32_e32 v25, v27, v25
	v_sub_f32_e32 v27, v27, v26
	v_sub_f32_e32 v23, v23, v26
	s_delay_alu instid0(VALU_DEP_2) | instskip(NEXT) | instid1(VALU_DEP_1)
	v_dual_add_f32 v29, v28, v25 :: v_dual_sub_f32 v22, v22, v27
	v_sub_f32_e32 v26, v29, v28
	s_delay_alu instid0(VALU_DEP_2) | instskip(NEXT) | instid1(VALU_DEP_2)
	v_add_f32_e32 v22, v23, v22
	v_sub_f32_e32 v23, v25, v26
	s_delay_alu instid0(VALU_DEP_1) | instskip(NEXT) | instid1(VALU_DEP_1)
	v_add_f32_e32 v22, v22, v23
	v_add_f32_e32 v22, v29, v22
	s_delay_alu instid0(VALU_DEP_1) | instskip(NEXT) | instid1(VALU_DEP_1)
	v_cndmask_b32_e64 v22, v22, v24, s7
	v_add_f32_e32 v23, v6, v22
.LBB126_174:
	s_or_b32 exec_lo, exec_lo, s9
	ds_load_b32 v6, v20 offset:20
	v_max_f32_e32 v22, v23, v23
	v_cmp_u_f32_e64 s7, v23, v23
	s_waitcnt lgkmcnt(0)
	v_max_f32_e32 v24, v6, v6
	s_delay_alu instid0(VALU_DEP_1) | instskip(SKIP_1) | instid1(VALU_DEP_2)
	v_min_f32_e32 v25, v22, v24
	v_max_f32_e32 v22, v22, v24
	v_cndmask_b32_e64 v24, v25, v23, s7
	s_delay_alu instid0(VALU_DEP_2) | instskip(SKIP_1) | instid1(VALU_DEP_1)
	v_cndmask_b32_e64 v25, v22, v23, s7
	v_cmp_u_f32_e64 s7, v6, v6
	v_cndmask_b32_e64 v22, v24, v6, s7
	s_delay_alu instid0(VALU_DEP_3) | instskip(NEXT) | instid1(VALU_DEP_2)
	v_cndmask_b32_e64 v6, v25, v6, s7
	v_cmp_class_f32_e64 s9, v22, 0x1f8
	s_delay_alu instid0(VALU_DEP_2) | instskip(NEXT) | instid1(VALU_DEP_1)
	v_cmp_neq_f32_e64 s7, v22, v6
	s_or_b32 s7, s7, s9
	s_delay_alu instid0(SALU_CYCLE_1)
	s_and_saveexec_b32 s9, s7
	s_cbranch_execz .LBB126_176
; %bb.175:
	v_sub_f32_e32 v22, v22, v6
	s_delay_alu instid0(VALU_DEP_1) | instskip(NEXT) | instid1(VALU_DEP_1)
	v_mul_f32_e32 v23, 0x3fb8aa3b, v22
	v_fma_f32 v24, 0x3fb8aa3b, v22, -v23
	v_rndne_f32_e32 v25, v23
	s_delay_alu instid0(VALU_DEP_1) | instskip(SKIP_1) | instid1(VALU_DEP_2)
	v_dual_sub_f32 v23, v23, v25 :: v_dual_fmamk_f32 v24, v22, 0x32a5705f, v24
	v_cmp_ngt_f32_e64 s7, 0xc2ce8ed0, v22
	v_add_f32_e32 v23, v23, v24
	v_cvt_i32_f32_e32 v24, v25
	s_delay_alu instid0(VALU_DEP_2) | instskip(SKIP_2) | instid1(VALU_DEP_1)
	v_exp_f32_e32 v23, v23
	s_waitcnt_depctr 0xfff
	v_ldexp_f32 v23, v23, v24
	v_cndmask_b32_e64 v23, 0, v23, s7
	v_cmp_nlt_f32_e64 s7, 0x42b17218, v22
	s_delay_alu instid0(VALU_DEP_1) | instskip(NEXT) | instid1(VALU_DEP_1)
	v_cndmask_b32_e64 v24, 0x7f800000, v23, s7
	v_add_f32_e32 v25, 1.0, v24
	v_cmp_gt_f32_e64 s12, 0x33800000, |v24|
	s_delay_alu instid0(VALU_DEP_2) | instskip(NEXT) | instid1(VALU_DEP_1)
	v_cvt_f64_f32_e32 v[22:23], v25
	v_frexp_exp_i32_f64_e32 v22, v[22:23]
	v_frexp_mant_f32_e32 v23, v25
	s_delay_alu instid0(VALU_DEP_1) | instskip(SKIP_1) | instid1(VALU_DEP_1)
	v_cmp_gt_f32_e64 s7, 0x3f2aaaab, v23
	v_add_f32_e32 v23, -1.0, v25
	v_sub_f32_e32 v27, v23, v25
	v_sub_f32_e32 v23, v24, v23
	s_delay_alu instid0(VALU_DEP_4) | instskip(SKIP_1) | instid1(VALU_DEP_1)
	v_subrev_co_ci_u32_e64 v22, s7, 0, v22, s7
	s_mov_b32 s7, 0x3e9b6dac
	v_sub_nc_u32_e32 v26, 0, v22
	v_cvt_f32_i32_e32 v22, v22
	s_delay_alu instid0(VALU_DEP_2) | instskip(NEXT) | instid1(VALU_DEP_1)
	v_ldexp_f32 v25, v25, v26
	v_dual_add_f32 v28, 1.0, v25 :: v_dual_add_f32 v27, 1.0, v27
	s_delay_alu instid0(VALU_DEP_1) | instskip(NEXT) | instid1(VALU_DEP_2)
	v_add_f32_e32 v23, v23, v27
	v_add_f32_e32 v27, -1.0, v28
	s_delay_alu instid0(VALU_DEP_2) | instskip(NEXT) | instid1(VALU_DEP_2)
	v_ldexp_f32 v23, v23, v26
	v_dual_add_f32 v26, -1.0, v25 :: v_dual_sub_f32 v27, v25, v27
	s_delay_alu instid0(VALU_DEP_1) | instskip(NEXT) | instid1(VALU_DEP_2)
	v_add_f32_e32 v29, 1.0, v26
	v_add_f32_e32 v27, v23, v27
	s_delay_alu instid0(VALU_DEP_2) | instskip(NEXT) | instid1(VALU_DEP_2)
	v_sub_f32_e32 v25, v25, v29
	v_add_f32_e32 v29, v28, v27
	s_delay_alu instid0(VALU_DEP_2) | instskip(NEXT) | instid1(VALU_DEP_2)
	v_add_f32_e32 v23, v23, v25
	v_rcp_f32_e32 v25, v29
	v_sub_f32_e32 v28, v28, v29
	s_delay_alu instid0(VALU_DEP_1) | instskip(NEXT) | instid1(VALU_DEP_1)
	v_dual_add_f32 v30, v26, v23 :: v_dual_add_f32 v27, v27, v28
	v_sub_f32_e32 v26, v26, v30
	s_waitcnt_depctr 0xfff
	v_mul_f32_e32 v31, v30, v25
	s_delay_alu instid0(VALU_DEP_1) | instskip(NEXT) | instid1(VALU_DEP_1)
	v_dual_add_f32 v23, v23, v26 :: v_dual_mul_f32 v32, v29, v31
	v_fma_f32 v28, v31, v29, -v32
	s_delay_alu instid0(VALU_DEP_1) | instskip(NEXT) | instid1(VALU_DEP_1)
	v_fmac_f32_e32 v28, v31, v27
	v_add_f32_e32 v33, v32, v28
	s_delay_alu instid0(VALU_DEP_1) | instskip(SKIP_1) | instid1(VALU_DEP_2)
	v_sub_f32_e32 v34, v30, v33
	v_sub_f32_e32 v26, v33, v32
	;; [unrolled: 1-line block ×3, first 2 shown]
	s_delay_alu instid0(VALU_DEP_2) | instskip(NEXT) | instid1(VALU_DEP_2)
	v_sub_f32_e32 v26, v26, v28
	v_sub_f32_e32 v30, v30, v33
	s_delay_alu instid0(VALU_DEP_1) | instskip(NEXT) | instid1(VALU_DEP_1)
	v_add_f32_e32 v23, v23, v30
	v_add_f32_e32 v23, v26, v23
	s_delay_alu instid0(VALU_DEP_1) | instskip(NEXT) | instid1(VALU_DEP_1)
	v_add_f32_e32 v26, v34, v23
	v_mul_f32_e32 v28, v25, v26
	s_delay_alu instid0(VALU_DEP_1) | instskip(NEXT) | instid1(VALU_DEP_1)
	v_dual_sub_f32 v33, v34, v26 :: v_dual_mul_f32 v30, v29, v28
	v_add_f32_e32 v23, v23, v33
	s_delay_alu instid0(VALU_DEP_2) | instskip(NEXT) | instid1(VALU_DEP_1)
	v_fma_f32 v29, v28, v29, -v30
	v_fmac_f32_e32 v29, v28, v27
	s_delay_alu instid0(VALU_DEP_1) | instskip(NEXT) | instid1(VALU_DEP_1)
	v_add_f32_e32 v27, v30, v29
	v_sub_f32_e32 v32, v26, v27
	v_sub_f32_e32 v30, v27, v30
	s_delay_alu instid0(VALU_DEP_2) | instskip(NEXT) | instid1(VALU_DEP_1)
	v_sub_f32_e32 v26, v26, v32
	v_sub_f32_e32 v26, v26, v27
	s_delay_alu instid0(VALU_DEP_3) | instskip(NEXT) | instid1(VALU_DEP_2)
	v_sub_f32_e32 v27, v30, v29
	v_add_f32_e32 v23, v23, v26
	v_add_f32_e32 v26, v31, v28
	s_delay_alu instid0(VALU_DEP_2) | instskip(NEXT) | instid1(VALU_DEP_2)
	v_add_f32_e32 v23, v27, v23
	v_sub_f32_e32 v27, v26, v31
	s_delay_alu instid0(VALU_DEP_2) | instskip(NEXT) | instid1(VALU_DEP_2)
	v_add_f32_e32 v23, v32, v23
	v_sub_f32_e32 v27, v28, v27
	s_delay_alu instid0(VALU_DEP_2) | instskip(NEXT) | instid1(VALU_DEP_1)
	v_mul_f32_e32 v23, v25, v23
	v_add_f32_e32 v23, v27, v23
	s_delay_alu instid0(VALU_DEP_1) | instskip(NEXT) | instid1(VALU_DEP_1)
	v_add_f32_e32 v25, v26, v23
	v_mul_f32_e32 v27, v25, v25
	s_delay_alu instid0(VALU_DEP_1) | instskip(SKIP_2) | instid1(VALU_DEP_3)
	v_fmaak_f32 v28, s7, v27, 0x3ecc95a3
	v_mul_f32_e32 v29, v25, v27
	v_cmp_eq_f32_e64 s7, 0x7f800000, v24
	v_fmaak_f32 v27, v27, v28, 0x3f2aaada
	v_ldexp_f32 v28, v25, 1
	v_sub_f32_e32 v25, v25, v26
	s_delay_alu instid0(VALU_DEP_4) | instskip(NEXT) | instid1(VALU_DEP_3)
	s_or_b32 s7, s7, s12
	v_mul_f32_e32 v27, v29, v27
	v_mul_f32_e32 v29, 0x3f317218, v22
	s_delay_alu instid0(VALU_DEP_2) | instskip(NEXT) | instid1(VALU_DEP_1)
	v_dual_sub_f32 v23, v23, v25 :: v_dual_add_f32 v26, v28, v27
	v_ldexp_f32 v23, v23, 1
	s_delay_alu instid0(VALU_DEP_2) | instskip(NEXT) | instid1(VALU_DEP_4)
	v_sub_f32_e32 v25, v26, v28
	v_fma_f32 v28, 0x3f317218, v22, -v29
	s_delay_alu instid0(VALU_DEP_1) | instskip(NEXT) | instid1(VALU_DEP_1)
	v_dual_sub_f32 v25, v27, v25 :: v_dual_fmamk_f32 v22, v22, 0xb102e308, v28
	v_add_f32_e32 v23, v23, v25
	s_delay_alu instid0(VALU_DEP_2) | instskip(NEXT) | instid1(VALU_DEP_2)
	v_add_f32_e32 v25, v29, v22
	v_add_f32_e32 v27, v26, v23
	s_delay_alu instid0(VALU_DEP_2) | instskip(NEXT) | instid1(VALU_DEP_2)
	v_sub_f32_e32 v29, v25, v29
	v_add_f32_e32 v28, v25, v27
	v_sub_f32_e32 v26, v27, v26
	s_delay_alu instid0(VALU_DEP_3) | instskip(NEXT) | instid1(VALU_DEP_2)
	v_sub_f32_e32 v22, v22, v29
	v_dual_sub_f32 v30, v28, v25 :: v_dual_sub_f32 v23, v23, v26
	s_delay_alu instid0(VALU_DEP_1) | instskip(NEXT) | instid1(VALU_DEP_2)
	v_sub_f32_e32 v31, v28, v30
	v_dual_sub_f32 v26, v27, v30 :: v_dual_add_f32 v27, v22, v23
	s_delay_alu instid0(VALU_DEP_2) | instskip(NEXT) | instid1(VALU_DEP_1)
	v_sub_f32_e32 v25, v25, v31
	v_dual_add_f32 v25, v26, v25 :: v_dual_sub_f32 v26, v27, v22
	s_delay_alu instid0(VALU_DEP_1) | instskip(NEXT) | instid1(VALU_DEP_2)
	v_add_f32_e32 v25, v27, v25
	v_sub_f32_e32 v27, v27, v26
	v_sub_f32_e32 v23, v23, v26
	s_delay_alu instid0(VALU_DEP_2) | instskip(NEXT) | instid1(VALU_DEP_1)
	v_dual_add_f32 v29, v28, v25 :: v_dual_sub_f32 v22, v22, v27
	v_sub_f32_e32 v26, v29, v28
	s_delay_alu instid0(VALU_DEP_2) | instskip(NEXT) | instid1(VALU_DEP_2)
	v_add_f32_e32 v22, v23, v22
	v_sub_f32_e32 v23, v25, v26
	s_delay_alu instid0(VALU_DEP_1) | instskip(NEXT) | instid1(VALU_DEP_1)
	v_add_f32_e32 v22, v22, v23
	v_add_f32_e32 v22, v29, v22
	s_delay_alu instid0(VALU_DEP_1) | instskip(NEXT) | instid1(VALU_DEP_1)
	v_cndmask_b32_e64 v22, v22, v24, s7
	v_add_f32_e32 v23, v6, v22
.LBB126_176:
	s_or_b32 exec_lo, exec_lo, s9
	ds_load_b32 v6, v20 offset:24
	v_max_f32_e32 v22, v23, v23
	v_cmp_u_f32_e64 s7, v23, v23
	s_waitcnt lgkmcnt(0)
	v_max_f32_e32 v24, v6, v6
	s_delay_alu instid0(VALU_DEP_1) | instskip(SKIP_1) | instid1(VALU_DEP_2)
	v_min_f32_e32 v25, v22, v24
	v_max_f32_e32 v22, v22, v24
	v_cndmask_b32_e64 v24, v25, v23, s7
	s_delay_alu instid0(VALU_DEP_2) | instskip(SKIP_1) | instid1(VALU_DEP_1)
	v_cndmask_b32_e64 v25, v22, v23, s7
	v_cmp_u_f32_e64 s7, v6, v6
	v_cndmask_b32_e64 v22, v24, v6, s7
	s_delay_alu instid0(VALU_DEP_3) | instskip(NEXT) | instid1(VALU_DEP_2)
	v_cndmask_b32_e64 v6, v25, v6, s7
	v_cmp_class_f32_e64 s9, v22, 0x1f8
	s_delay_alu instid0(VALU_DEP_2) | instskip(NEXT) | instid1(VALU_DEP_1)
	v_cmp_neq_f32_e64 s7, v22, v6
	s_or_b32 s7, s7, s9
	s_delay_alu instid0(SALU_CYCLE_1)
	s_and_saveexec_b32 s9, s7
	s_cbranch_execz .LBB126_178
; %bb.177:
	v_sub_f32_e32 v22, v22, v6
	s_delay_alu instid0(VALU_DEP_1) | instskip(NEXT) | instid1(VALU_DEP_1)
	v_mul_f32_e32 v23, 0x3fb8aa3b, v22
	v_fma_f32 v24, 0x3fb8aa3b, v22, -v23
	v_rndne_f32_e32 v25, v23
	s_delay_alu instid0(VALU_DEP_1) | instskip(SKIP_1) | instid1(VALU_DEP_2)
	v_dual_sub_f32 v23, v23, v25 :: v_dual_fmamk_f32 v24, v22, 0x32a5705f, v24
	v_cmp_ngt_f32_e64 s7, 0xc2ce8ed0, v22
	v_add_f32_e32 v23, v23, v24
	v_cvt_i32_f32_e32 v24, v25
	s_delay_alu instid0(VALU_DEP_2) | instskip(SKIP_2) | instid1(VALU_DEP_1)
	v_exp_f32_e32 v23, v23
	s_waitcnt_depctr 0xfff
	v_ldexp_f32 v23, v23, v24
	v_cndmask_b32_e64 v23, 0, v23, s7
	v_cmp_nlt_f32_e64 s7, 0x42b17218, v22
	s_delay_alu instid0(VALU_DEP_1) | instskip(NEXT) | instid1(VALU_DEP_1)
	v_cndmask_b32_e64 v24, 0x7f800000, v23, s7
	v_add_f32_e32 v25, 1.0, v24
	v_cmp_gt_f32_e64 s12, 0x33800000, |v24|
	s_delay_alu instid0(VALU_DEP_2) | instskip(NEXT) | instid1(VALU_DEP_1)
	v_cvt_f64_f32_e32 v[22:23], v25
	v_frexp_exp_i32_f64_e32 v22, v[22:23]
	v_frexp_mant_f32_e32 v23, v25
	s_delay_alu instid0(VALU_DEP_1) | instskip(SKIP_1) | instid1(VALU_DEP_1)
	v_cmp_gt_f32_e64 s7, 0x3f2aaaab, v23
	v_add_f32_e32 v23, -1.0, v25
	v_sub_f32_e32 v27, v23, v25
	v_sub_f32_e32 v23, v24, v23
	s_delay_alu instid0(VALU_DEP_4) | instskip(SKIP_1) | instid1(VALU_DEP_1)
	v_subrev_co_ci_u32_e64 v22, s7, 0, v22, s7
	s_mov_b32 s7, 0x3e9b6dac
	v_sub_nc_u32_e32 v26, 0, v22
	v_cvt_f32_i32_e32 v22, v22
	s_delay_alu instid0(VALU_DEP_2) | instskip(NEXT) | instid1(VALU_DEP_1)
	v_ldexp_f32 v25, v25, v26
	v_dual_add_f32 v28, 1.0, v25 :: v_dual_add_f32 v27, 1.0, v27
	s_delay_alu instid0(VALU_DEP_1) | instskip(NEXT) | instid1(VALU_DEP_2)
	v_add_f32_e32 v23, v23, v27
	v_add_f32_e32 v27, -1.0, v28
	s_delay_alu instid0(VALU_DEP_2) | instskip(NEXT) | instid1(VALU_DEP_2)
	v_ldexp_f32 v23, v23, v26
	v_dual_add_f32 v26, -1.0, v25 :: v_dual_sub_f32 v27, v25, v27
	s_delay_alu instid0(VALU_DEP_1) | instskip(NEXT) | instid1(VALU_DEP_2)
	v_add_f32_e32 v29, 1.0, v26
	v_add_f32_e32 v27, v23, v27
	s_delay_alu instid0(VALU_DEP_2) | instskip(NEXT) | instid1(VALU_DEP_2)
	v_sub_f32_e32 v25, v25, v29
	v_add_f32_e32 v29, v28, v27
	s_delay_alu instid0(VALU_DEP_2) | instskip(NEXT) | instid1(VALU_DEP_2)
	v_add_f32_e32 v23, v23, v25
	v_rcp_f32_e32 v25, v29
	v_sub_f32_e32 v28, v28, v29
	s_delay_alu instid0(VALU_DEP_1) | instskip(NEXT) | instid1(VALU_DEP_1)
	v_dual_add_f32 v30, v26, v23 :: v_dual_add_f32 v27, v27, v28
	v_sub_f32_e32 v26, v26, v30
	s_waitcnt_depctr 0xfff
	v_mul_f32_e32 v31, v30, v25
	s_delay_alu instid0(VALU_DEP_1) | instskip(NEXT) | instid1(VALU_DEP_1)
	v_dual_add_f32 v23, v23, v26 :: v_dual_mul_f32 v32, v29, v31
	v_fma_f32 v28, v31, v29, -v32
	s_delay_alu instid0(VALU_DEP_1) | instskip(NEXT) | instid1(VALU_DEP_1)
	v_fmac_f32_e32 v28, v31, v27
	v_add_f32_e32 v33, v32, v28
	s_delay_alu instid0(VALU_DEP_1) | instskip(SKIP_1) | instid1(VALU_DEP_2)
	v_sub_f32_e32 v34, v30, v33
	v_sub_f32_e32 v26, v33, v32
	;; [unrolled: 1-line block ×3, first 2 shown]
	s_delay_alu instid0(VALU_DEP_2) | instskip(NEXT) | instid1(VALU_DEP_2)
	v_sub_f32_e32 v26, v26, v28
	v_sub_f32_e32 v30, v30, v33
	s_delay_alu instid0(VALU_DEP_1) | instskip(NEXT) | instid1(VALU_DEP_1)
	v_add_f32_e32 v23, v23, v30
	v_add_f32_e32 v23, v26, v23
	s_delay_alu instid0(VALU_DEP_1) | instskip(NEXT) | instid1(VALU_DEP_1)
	v_add_f32_e32 v26, v34, v23
	v_mul_f32_e32 v28, v25, v26
	s_delay_alu instid0(VALU_DEP_1) | instskip(NEXT) | instid1(VALU_DEP_1)
	v_dual_sub_f32 v33, v34, v26 :: v_dual_mul_f32 v30, v29, v28
	v_add_f32_e32 v23, v23, v33
	s_delay_alu instid0(VALU_DEP_2) | instskip(NEXT) | instid1(VALU_DEP_1)
	v_fma_f32 v29, v28, v29, -v30
	v_fmac_f32_e32 v29, v28, v27
	s_delay_alu instid0(VALU_DEP_1) | instskip(NEXT) | instid1(VALU_DEP_1)
	v_add_f32_e32 v27, v30, v29
	v_sub_f32_e32 v32, v26, v27
	v_sub_f32_e32 v30, v27, v30
	s_delay_alu instid0(VALU_DEP_2) | instskip(NEXT) | instid1(VALU_DEP_1)
	v_sub_f32_e32 v26, v26, v32
	v_sub_f32_e32 v26, v26, v27
	s_delay_alu instid0(VALU_DEP_3) | instskip(NEXT) | instid1(VALU_DEP_2)
	v_sub_f32_e32 v27, v30, v29
	v_add_f32_e32 v23, v23, v26
	v_add_f32_e32 v26, v31, v28
	s_delay_alu instid0(VALU_DEP_2) | instskip(NEXT) | instid1(VALU_DEP_2)
	v_add_f32_e32 v23, v27, v23
	v_sub_f32_e32 v27, v26, v31
	s_delay_alu instid0(VALU_DEP_2) | instskip(NEXT) | instid1(VALU_DEP_2)
	v_add_f32_e32 v23, v32, v23
	v_sub_f32_e32 v27, v28, v27
	s_delay_alu instid0(VALU_DEP_2) | instskip(NEXT) | instid1(VALU_DEP_1)
	v_mul_f32_e32 v23, v25, v23
	v_add_f32_e32 v23, v27, v23
	s_delay_alu instid0(VALU_DEP_1) | instskip(NEXT) | instid1(VALU_DEP_1)
	v_add_f32_e32 v25, v26, v23
	v_mul_f32_e32 v27, v25, v25
	s_delay_alu instid0(VALU_DEP_1) | instskip(SKIP_2) | instid1(VALU_DEP_3)
	v_fmaak_f32 v28, s7, v27, 0x3ecc95a3
	v_mul_f32_e32 v29, v25, v27
	v_cmp_eq_f32_e64 s7, 0x7f800000, v24
	v_fmaak_f32 v27, v27, v28, 0x3f2aaada
	v_ldexp_f32 v28, v25, 1
	v_sub_f32_e32 v25, v25, v26
	s_delay_alu instid0(VALU_DEP_4) | instskip(NEXT) | instid1(VALU_DEP_3)
	s_or_b32 s7, s7, s12
	v_mul_f32_e32 v27, v29, v27
	v_mul_f32_e32 v29, 0x3f317218, v22
	s_delay_alu instid0(VALU_DEP_2) | instskip(NEXT) | instid1(VALU_DEP_1)
	v_dual_sub_f32 v23, v23, v25 :: v_dual_add_f32 v26, v28, v27
	v_ldexp_f32 v23, v23, 1
	s_delay_alu instid0(VALU_DEP_2) | instskip(NEXT) | instid1(VALU_DEP_4)
	v_sub_f32_e32 v25, v26, v28
	v_fma_f32 v28, 0x3f317218, v22, -v29
	s_delay_alu instid0(VALU_DEP_1) | instskip(NEXT) | instid1(VALU_DEP_1)
	v_dual_sub_f32 v25, v27, v25 :: v_dual_fmamk_f32 v22, v22, 0xb102e308, v28
	v_add_f32_e32 v23, v23, v25
	s_delay_alu instid0(VALU_DEP_2) | instskip(NEXT) | instid1(VALU_DEP_2)
	v_add_f32_e32 v25, v29, v22
	v_add_f32_e32 v27, v26, v23
	s_delay_alu instid0(VALU_DEP_2) | instskip(NEXT) | instid1(VALU_DEP_2)
	v_sub_f32_e32 v29, v25, v29
	v_add_f32_e32 v28, v25, v27
	v_sub_f32_e32 v26, v27, v26
	s_delay_alu instid0(VALU_DEP_3) | instskip(NEXT) | instid1(VALU_DEP_2)
	v_sub_f32_e32 v22, v22, v29
	v_dual_sub_f32 v30, v28, v25 :: v_dual_sub_f32 v23, v23, v26
	s_delay_alu instid0(VALU_DEP_1) | instskip(NEXT) | instid1(VALU_DEP_2)
	v_sub_f32_e32 v31, v28, v30
	v_dual_sub_f32 v26, v27, v30 :: v_dual_add_f32 v27, v22, v23
	s_delay_alu instid0(VALU_DEP_2) | instskip(NEXT) | instid1(VALU_DEP_1)
	v_sub_f32_e32 v25, v25, v31
	v_dual_add_f32 v25, v26, v25 :: v_dual_sub_f32 v26, v27, v22
	s_delay_alu instid0(VALU_DEP_1) | instskip(NEXT) | instid1(VALU_DEP_2)
	v_add_f32_e32 v25, v27, v25
	v_sub_f32_e32 v27, v27, v26
	v_sub_f32_e32 v23, v23, v26
	s_delay_alu instid0(VALU_DEP_2) | instskip(NEXT) | instid1(VALU_DEP_1)
	v_dual_add_f32 v29, v28, v25 :: v_dual_sub_f32 v22, v22, v27
	v_sub_f32_e32 v26, v29, v28
	s_delay_alu instid0(VALU_DEP_2) | instskip(NEXT) | instid1(VALU_DEP_2)
	v_add_f32_e32 v22, v23, v22
	v_sub_f32_e32 v23, v25, v26
	s_delay_alu instid0(VALU_DEP_1) | instskip(NEXT) | instid1(VALU_DEP_1)
	v_add_f32_e32 v22, v22, v23
	v_add_f32_e32 v22, v29, v22
	s_delay_alu instid0(VALU_DEP_1) | instskip(NEXT) | instid1(VALU_DEP_1)
	v_cndmask_b32_e64 v22, v22, v24, s7
	v_add_f32_e32 v23, v6, v22
.LBB126_178:
	s_or_b32 exec_lo, exec_lo, s9
	ds_load_b32 v6, v20 offset:28
	v_max_f32_e32 v22, v23, v23
	v_cmp_u_f32_e64 s7, v23, v23
	s_waitcnt lgkmcnt(0)
	v_max_f32_e32 v24, v6, v6
	s_delay_alu instid0(VALU_DEP_1) | instskip(SKIP_1) | instid1(VALU_DEP_2)
	v_min_f32_e32 v25, v22, v24
	v_max_f32_e32 v22, v22, v24
	v_cndmask_b32_e64 v24, v25, v23, s7
	s_delay_alu instid0(VALU_DEP_2) | instskip(SKIP_1) | instid1(VALU_DEP_1)
	v_cndmask_b32_e64 v25, v22, v23, s7
	v_cmp_u_f32_e64 s7, v6, v6
	v_cndmask_b32_e64 v22, v24, v6, s7
	s_delay_alu instid0(VALU_DEP_3) | instskip(NEXT) | instid1(VALU_DEP_2)
	v_cndmask_b32_e64 v6, v25, v6, s7
	v_cmp_class_f32_e64 s9, v22, 0x1f8
	s_delay_alu instid0(VALU_DEP_2) | instskip(NEXT) | instid1(VALU_DEP_1)
	v_cmp_neq_f32_e64 s7, v22, v6
	s_or_b32 s7, s7, s9
	s_delay_alu instid0(SALU_CYCLE_1)
	s_and_saveexec_b32 s9, s7
	s_cbranch_execz .LBB126_180
; %bb.179:
	v_sub_f32_e32 v22, v22, v6
	s_delay_alu instid0(VALU_DEP_1) | instskip(NEXT) | instid1(VALU_DEP_1)
	v_mul_f32_e32 v23, 0x3fb8aa3b, v22
	v_fma_f32 v24, 0x3fb8aa3b, v22, -v23
	v_rndne_f32_e32 v25, v23
	s_delay_alu instid0(VALU_DEP_1) | instskip(SKIP_1) | instid1(VALU_DEP_2)
	v_dual_sub_f32 v23, v23, v25 :: v_dual_fmamk_f32 v24, v22, 0x32a5705f, v24
	v_cmp_ngt_f32_e64 s7, 0xc2ce8ed0, v22
	v_add_f32_e32 v23, v23, v24
	v_cvt_i32_f32_e32 v24, v25
	s_delay_alu instid0(VALU_DEP_2) | instskip(SKIP_2) | instid1(VALU_DEP_1)
	v_exp_f32_e32 v23, v23
	s_waitcnt_depctr 0xfff
	v_ldexp_f32 v23, v23, v24
	v_cndmask_b32_e64 v23, 0, v23, s7
	v_cmp_nlt_f32_e64 s7, 0x42b17218, v22
	s_delay_alu instid0(VALU_DEP_1) | instskip(NEXT) | instid1(VALU_DEP_1)
	v_cndmask_b32_e64 v24, 0x7f800000, v23, s7
	v_add_f32_e32 v25, 1.0, v24
	v_cmp_gt_f32_e64 s12, 0x33800000, |v24|
	s_delay_alu instid0(VALU_DEP_2) | instskip(NEXT) | instid1(VALU_DEP_1)
	v_cvt_f64_f32_e32 v[22:23], v25
	v_frexp_exp_i32_f64_e32 v22, v[22:23]
	v_frexp_mant_f32_e32 v23, v25
	s_delay_alu instid0(VALU_DEP_1) | instskip(SKIP_1) | instid1(VALU_DEP_1)
	v_cmp_gt_f32_e64 s7, 0x3f2aaaab, v23
	v_add_f32_e32 v23, -1.0, v25
	v_sub_f32_e32 v27, v23, v25
	v_sub_f32_e32 v23, v24, v23
	s_delay_alu instid0(VALU_DEP_4) | instskip(SKIP_1) | instid1(VALU_DEP_1)
	v_subrev_co_ci_u32_e64 v22, s7, 0, v22, s7
	s_mov_b32 s7, 0x3e9b6dac
	v_sub_nc_u32_e32 v26, 0, v22
	v_cvt_f32_i32_e32 v22, v22
	s_delay_alu instid0(VALU_DEP_2) | instskip(NEXT) | instid1(VALU_DEP_1)
	v_ldexp_f32 v25, v25, v26
	v_dual_add_f32 v28, 1.0, v25 :: v_dual_add_f32 v27, 1.0, v27
	s_delay_alu instid0(VALU_DEP_1) | instskip(NEXT) | instid1(VALU_DEP_2)
	v_add_f32_e32 v23, v23, v27
	v_add_f32_e32 v27, -1.0, v28
	s_delay_alu instid0(VALU_DEP_2) | instskip(NEXT) | instid1(VALU_DEP_2)
	v_ldexp_f32 v23, v23, v26
	v_dual_add_f32 v26, -1.0, v25 :: v_dual_sub_f32 v27, v25, v27
	s_delay_alu instid0(VALU_DEP_1) | instskip(NEXT) | instid1(VALU_DEP_2)
	v_add_f32_e32 v29, 1.0, v26
	v_add_f32_e32 v27, v23, v27
	s_delay_alu instid0(VALU_DEP_2) | instskip(NEXT) | instid1(VALU_DEP_2)
	v_sub_f32_e32 v25, v25, v29
	v_add_f32_e32 v29, v28, v27
	s_delay_alu instid0(VALU_DEP_2) | instskip(NEXT) | instid1(VALU_DEP_2)
	v_add_f32_e32 v23, v23, v25
	v_rcp_f32_e32 v25, v29
	v_sub_f32_e32 v28, v28, v29
	s_delay_alu instid0(VALU_DEP_1) | instskip(NEXT) | instid1(VALU_DEP_1)
	v_dual_add_f32 v30, v26, v23 :: v_dual_add_f32 v27, v27, v28
	v_sub_f32_e32 v26, v26, v30
	s_waitcnt_depctr 0xfff
	v_mul_f32_e32 v31, v30, v25
	s_delay_alu instid0(VALU_DEP_1) | instskip(NEXT) | instid1(VALU_DEP_1)
	v_dual_add_f32 v23, v23, v26 :: v_dual_mul_f32 v32, v29, v31
	v_fma_f32 v28, v31, v29, -v32
	s_delay_alu instid0(VALU_DEP_1) | instskip(NEXT) | instid1(VALU_DEP_1)
	v_fmac_f32_e32 v28, v31, v27
	v_add_f32_e32 v33, v32, v28
	s_delay_alu instid0(VALU_DEP_1) | instskip(SKIP_1) | instid1(VALU_DEP_2)
	v_sub_f32_e32 v34, v30, v33
	v_sub_f32_e32 v26, v33, v32
	;; [unrolled: 1-line block ×3, first 2 shown]
	s_delay_alu instid0(VALU_DEP_2) | instskip(NEXT) | instid1(VALU_DEP_2)
	v_sub_f32_e32 v26, v26, v28
	v_sub_f32_e32 v30, v30, v33
	s_delay_alu instid0(VALU_DEP_1) | instskip(NEXT) | instid1(VALU_DEP_1)
	v_add_f32_e32 v23, v23, v30
	v_add_f32_e32 v23, v26, v23
	s_delay_alu instid0(VALU_DEP_1) | instskip(NEXT) | instid1(VALU_DEP_1)
	v_add_f32_e32 v26, v34, v23
	v_mul_f32_e32 v28, v25, v26
	s_delay_alu instid0(VALU_DEP_1) | instskip(NEXT) | instid1(VALU_DEP_1)
	v_dual_sub_f32 v33, v34, v26 :: v_dual_mul_f32 v30, v29, v28
	v_add_f32_e32 v23, v23, v33
	s_delay_alu instid0(VALU_DEP_2) | instskip(NEXT) | instid1(VALU_DEP_1)
	v_fma_f32 v29, v28, v29, -v30
	v_fmac_f32_e32 v29, v28, v27
	s_delay_alu instid0(VALU_DEP_1) | instskip(NEXT) | instid1(VALU_DEP_1)
	v_add_f32_e32 v27, v30, v29
	v_sub_f32_e32 v32, v26, v27
	v_sub_f32_e32 v30, v27, v30
	s_delay_alu instid0(VALU_DEP_2) | instskip(NEXT) | instid1(VALU_DEP_1)
	v_sub_f32_e32 v26, v26, v32
	v_sub_f32_e32 v26, v26, v27
	s_delay_alu instid0(VALU_DEP_3) | instskip(NEXT) | instid1(VALU_DEP_2)
	v_sub_f32_e32 v27, v30, v29
	v_add_f32_e32 v23, v23, v26
	v_add_f32_e32 v26, v31, v28
	s_delay_alu instid0(VALU_DEP_2) | instskip(NEXT) | instid1(VALU_DEP_2)
	v_add_f32_e32 v23, v27, v23
	v_sub_f32_e32 v27, v26, v31
	s_delay_alu instid0(VALU_DEP_2) | instskip(NEXT) | instid1(VALU_DEP_2)
	v_add_f32_e32 v23, v32, v23
	v_sub_f32_e32 v27, v28, v27
	s_delay_alu instid0(VALU_DEP_2) | instskip(NEXT) | instid1(VALU_DEP_1)
	v_mul_f32_e32 v23, v25, v23
	v_add_f32_e32 v23, v27, v23
	s_delay_alu instid0(VALU_DEP_1) | instskip(NEXT) | instid1(VALU_DEP_1)
	v_add_f32_e32 v25, v26, v23
	v_mul_f32_e32 v27, v25, v25
	s_delay_alu instid0(VALU_DEP_1) | instskip(SKIP_2) | instid1(VALU_DEP_3)
	v_fmaak_f32 v28, s7, v27, 0x3ecc95a3
	v_mul_f32_e32 v29, v25, v27
	v_cmp_eq_f32_e64 s7, 0x7f800000, v24
	v_fmaak_f32 v27, v27, v28, 0x3f2aaada
	v_ldexp_f32 v28, v25, 1
	v_sub_f32_e32 v25, v25, v26
	s_delay_alu instid0(VALU_DEP_4) | instskip(NEXT) | instid1(VALU_DEP_3)
	s_or_b32 s7, s7, s12
	v_mul_f32_e32 v27, v29, v27
	v_mul_f32_e32 v29, 0x3f317218, v22
	s_delay_alu instid0(VALU_DEP_2) | instskip(NEXT) | instid1(VALU_DEP_1)
	v_dual_sub_f32 v23, v23, v25 :: v_dual_add_f32 v26, v28, v27
	v_ldexp_f32 v23, v23, 1
	s_delay_alu instid0(VALU_DEP_2) | instskip(NEXT) | instid1(VALU_DEP_4)
	v_sub_f32_e32 v25, v26, v28
	v_fma_f32 v28, 0x3f317218, v22, -v29
	s_delay_alu instid0(VALU_DEP_1) | instskip(NEXT) | instid1(VALU_DEP_1)
	v_dual_sub_f32 v25, v27, v25 :: v_dual_fmamk_f32 v22, v22, 0xb102e308, v28
	v_add_f32_e32 v23, v23, v25
	s_delay_alu instid0(VALU_DEP_2) | instskip(NEXT) | instid1(VALU_DEP_2)
	v_add_f32_e32 v25, v29, v22
	v_add_f32_e32 v27, v26, v23
	s_delay_alu instid0(VALU_DEP_2) | instskip(NEXT) | instid1(VALU_DEP_2)
	v_sub_f32_e32 v29, v25, v29
	v_add_f32_e32 v28, v25, v27
	v_sub_f32_e32 v26, v27, v26
	s_delay_alu instid0(VALU_DEP_3) | instskip(NEXT) | instid1(VALU_DEP_2)
	v_sub_f32_e32 v22, v22, v29
	v_dual_sub_f32 v30, v28, v25 :: v_dual_sub_f32 v23, v23, v26
	s_delay_alu instid0(VALU_DEP_1) | instskip(NEXT) | instid1(VALU_DEP_2)
	v_sub_f32_e32 v31, v28, v30
	v_dual_sub_f32 v26, v27, v30 :: v_dual_add_f32 v27, v22, v23
	s_delay_alu instid0(VALU_DEP_2) | instskip(NEXT) | instid1(VALU_DEP_1)
	v_sub_f32_e32 v25, v25, v31
	v_dual_add_f32 v25, v26, v25 :: v_dual_sub_f32 v26, v27, v22
	s_delay_alu instid0(VALU_DEP_1) | instskip(NEXT) | instid1(VALU_DEP_2)
	v_add_f32_e32 v25, v27, v25
	v_sub_f32_e32 v27, v27, v26
	v_sub_f32_e32 v23, v23, v26
	s_delay_alu instid0(VALU_DEP_2) | instskip(NEXT) | instid1(VALU_DEP_1)
	v_dual_add_f32 v29, v28, v25 :: v_dual_sub_f32 v22, v22, v27
	v_sub_f32_e32 v26, v29, v28
	s_delay_alu instid0(VALU_DEP_2) | instskip(NEXT) | instid1(VALU_DEP_2)
	v_add_f32_e32 v22, v23, v22
	v_sub_f32_e32 v23, v25, v26
	s_delay_alu instid0(VALU_DEP_1) | instskip(NEXT) | instid1(VALU_DEP_1)
	v_add_f32_e32 v22, v22, v23
	v_add_f32_e32 v22, v29, v22
	s_delay_alu instid0(VALU_DEP_1) | instskip(NEXT) | instid1(VALU_DEP_1)
	v_cndmask_b32_e64 v22, v22, v24, s7
	v_add_f32_e32 v23, v6, v22
.LBB126_180:
	s_or_b32 exec_lo, exec_lo, s9
	v_mbcnt_lo_u32_b32 v6, -1, 0
	s_delay_alu instid0(VALU_DEP_2) | instskip(SKIP_1) | instid1(VALU_DEP_2)
	v_mov_b32_dpp v24, v23 row_shr:1 row_mask:0xf bank_mask:0xf
	s_mov_b32 s9, exec_lo
	v_and_b32_e32 v22, 15, v6
	s_delay_alu instid0(VALU_DEP_1)
	v_cmpx_ne_u32_e32 0, v22
	s_xor_b32 s9, exec_lo, s9
	s_cbranch_execz .LBB126_184
; %bb.181:
	v_dual_max_f32 v25, v23, v23 :: v_dual_max_f32 v26, v24, v24
	v_cmp_u_f32_e64 s7, v24, v24
	s_delay_alu instid0(VALU_DEP_2) | instskip(SKIP_1) | instid1(VALU_DEP_2)
	v_min_f32_e32 v27, v26, v25
	v_max_f32_e32 v25, v26, v25
	v_cndmask_b32_e64 v26, v27, v24, s7
	s_delay_alu instid0(VALU_DEP_2) | instskip(SKIP_1) | instid1(VALU_DEP_1)
	v_cndmask_b32_e64 v27, v25, v24, s7
	v_cmp_u_f32_e64 s7, v23, v23
	v_cndmask_b32_e64 v25, v26, v23, s7
	s_delay_alu instid0(VALU_DEP_3) | instskip(NEXT) | instid1(VALU_DEP_2)
	v_cndmask_b32_e64 v23, v27, v23, s7
	v_cmp_class_f32_e64 s12, v25, 0x1f8
	s_delay_alu instid0(VALU_DEP_2) | instskip(NEXT) | instid1(VALU_DEP_1)
	v_cmp_neq_f32_e64 s7, v25, v23
	s_or_b32 s7, s7, s12
	s_delay_alu instid0(SALU_CYCLE_1)
	s_and_saveexec_b32 s12, s7
	s_cbranch_execz .LBB126_183
; %bb.182:
	v_sub_f32_e32 v24, v25, v23
	s_delay_alu instid0(VALU_DEP_1) | instskip(SKIP_1) | instid1(VALU_DEP_2)
	v_mul_f32_e32 v25, 0x3fb8aa3b, v24
	v_cmp_ngt_f32_e64 s7, 0xc2ce8ed0, v24
	v_fma_f32 v26, 0x3fb8aa3b, v24, -v25
	v_rndne_f32_e32 v27, v25
	s_delay_alu instid0(VALU_DEP_1) | instskip(NEXT) | instid1(VALU_DEP_1)
	v_dual_fmamk_f32 v26, v24, 0x32a5705f, v26 :: v_dual_sub_f32 v25, v25, v27
	v_add_f32_e32 v25, v25, v26
	v_cvt_i32_f32_e32 v26, v27
	s_delay_alu instid0(VALU_DEP_2) | instskip(SKIP_2) | instid1(VALU_DEP_1)
	v_exp_f32_e32 v25, v25
	s_waitcnt_depctr 0xfff
	v_ldexp_f32 v25, v25, v26
	v_cndmask_b32_e64 v25, 0, v25, s7
	v_cmp_nlt_f32_e64 s7, 0x42b17218, v24
	s_delay_alu instid0(VALU_DEP_1) | instskip(NEXT) | instid1(VALU_DEP_1)
	v_cndmask_b32_e64 v26, 0x7f800000, v25, s7
	v_add_f32_e32 v27, 1.0, v26
	v_cmp_gt_f32_e64 s13, 0x33800000, |v26|
	s_delay_alu instid0(VALU_DEP_2) | instskip(NEXT) | instid1(VALU_DEP_1)
	v_cvt_f64_f32_e32 v[24:25], v27
	v_frexp_exp_i32_f64_e32 v24, v[24:25]
	v_frexp_mant_f32_e32 v25, v27
	s_delay_alu instid0(VALU_DEP_1) | instskip(SKIP_1) | instid1(VALU_DEP_1)
	v_cmp_gt_f32_e64 s7, 0x3f2aaaab, v25
	v_add_f32_e32 v25, -1.0, v27
	v_sub_f32_e32 v29, v25, v27
	v_sub_f32_e32 v25, v26, v25
	s_delay_alu instid0(VALU_DEP_4) | instskip(SKIP_1) | instid1(VALU_DEP_1)
	v_subrev_co_ci_u32_e64 v24, s7, 0, v24, s7
	s_mov_b32 s7, 0x3e9b6dac
	v_sub_nc_u32_e32 v28, 0, v24
	v_cvt_f32_i32_e32 v24, v24
	s_delay_alu instid0(VALU_DEP_2) | instskip(NEXT) | instid1(VALU_DEP_1)
	v_ldexp_f32 v27, v27, v28
	v_dual_add_f32 v30, 1.0, v27 :: v_dual_add_f32 v29, 1.0, v29
	s_delay_alu instid0(VALU_DEP_1) | instskip(NEXT) | instid1(VALU_DEP_2)
	v_add_f32_e32 v25, v25, v29
	v_add_f32_e32 v29, -1.0, v30
	s_delay_alu instid0(VALU_DEP_2) | instskip(NEXT) | instid1(VALU_DEP_2)
	v_ldexp_f32 v25, v25, v28
	v_dual_add_f32 v28, -1.0, v27 :: v_dual_sub_f32 v29, v27, v29
	s_delay_alu instid0(VALU_DEP_1) | instskip(NEXT) | instid1(VALU_DEP_2)
	v_add_f32_e32 v31, 1.0, v28
	v_add_f32_e32 v29, v25, v29
	s_delay_alu instid0(VALU_DEP_2) | instskip(NEXT) | instid1(VALU_DEP_2)
	v_sub_f32_e32 v27, v27, v31
	v_add_f32_e32 v31, v30, v29
	s_delay_alu instid0(VALU_DEP_2) | instskip(NEXT) | instid1(VALU_DEP_2)
	v_add_f32_e32 v25, v25, v27
	v_rcp_f32_e32 v27, v31
	v_sub_f32_e32 v30, v30, v31
	s_delay_alu instid0(VALU_DEP_1) | instskip(NEXT) | instid1(VALU_DEP_1)
	v_dual_add_f32 v32, v28, v25 :: v_dual_add_f32 v29, v29, v30
	v_sub_f32_e32 v28, v28, v32
	s_waitcnt_depctr 0xfff
	v_mul_f32_e32 v33, v32, v27
	s_delay_alu instid0(VALU_DEP_1) | instskip(NEXT) | instid1(VALU_DEP_1)
	v_dual_add_f32 v25, v25, v28 :: v_dual_mul_f32 v34, v31, v33
	v_fma_f32 v30, v33, v31, -v34
	s_delay_alu instid0(VALU_DEP_1) | instskip(NEXT) | instid1(VALU_DEP_1)
	v_fmac_f32_e32 v30, v33, v29
	v_add_f32_e32 v35, v34, v30
	s_delay_alu instid0(VALU_DEP_1) | instskip(SKIP_1) | instid1(VALU_DEP_2)
	v_sub_f32_e32 v36, v32, v35
	v_sub_f32_e32 v28, v35, v34
	;; [unrolled: 1-line block ×3, first 2 shown]
	s_delay_alu instid0(VALU_DEP_2) | instskip(NEXT) | instid1(VALU_DEP_2)
	v_sub_f32_e32 v28, v28, v30
	v_sub_f32_e32 v32, v32, v35
	s_delay_alu instid0(VALU_DEP_1) | instskip(NEXT) | instid1(VALU_DEP_1)
	v_add_f32_e32 v25, v25, v32
	v_add_f32_e32 v25, v28, v25
	s_delay_alu instid0(VALU_DEP_1) | instskip(NEXT) | instid1(VALU_DEP_1)
	v_add_f32_e32 v28, v36, v25
	v_mul_f32_e32 v30, v27, v28
	s_delay_alu instid0(VALU_DEP_1) | instskip(NEXT) | instid1(VALU_DEP_1)
	v_dual_sub_f32 v35, v36, v28 :: v_dual_mul_f32 v32, v31, v30
	v_add_f32_e32 v25, v25, v35
	s_delay_alu instid0(VALU_DEP_2) | instskip(NEXT) | instid1(VALU_DEP_1)
	v_fma_f32 v31, v30, v31, -v32
	v_fmac_f32_e32 v31, v30, v29
	s_delay_alu instid0(VALU_DEP_1) | instskip(NEXT) | instid1(VALU_DEP_1)
	v_add_f32_e32 v29, v32, v31
	v_sub_f32_e32 v34, v28, v29
	v_sub_f32_e32 v32, v29, v32
	s_delay_alu instid0(VALU_DEP_2) | instskip(NEXT) | instid1(VALU_DEP_1)
	v_sub_f32_e32 v28, v28, v34
	v_sub_f32_e32 v28, v28, v29
	s_delay_alu instid0(VALU_DEP_3) | instskip(NEXT) | instid1(VALU_DEP_2)
	v_sub_f32_e32 v29, v32, v31
	v_add_f32_e32 v25, v25, v28
	v_add_f32_e32 v28, v33, v30
	s_delay_alu instid0(VALU_DEP_2) | instskip(NEXT) | instid1(VALU_DEP_2)
	v_add_f32_e32 v25, v29, v25
	v_sub_f32_e32 v29, v28, v33
	s_delay_alu instid0(VALU_DEP_2) | instskip(NEXT) | instid1(VALU_DEP_2)
	v_add_f32_e32 v25, v34, v25
	v_sub_f32_e32 v29, v30, v29
	s_delay_alu instid0(VALU_DEP_2) | instskip(NEXT) | instid1(VALU_DEP_1)
	v_mul_f32_e32 v25, v27, v25
	v_add_f32_e32 v25, v29, v25
	s_delay_alu instid0(VALU_DEP_1) | instskip(NEXT) | instid1(VALU_DEP_1)
	v_add_f32_e32 v27, v28, v25
	v_mul_f32_e32 v29, v27, v27
	s_delay_alu instid0(VALU_DEP_1) | instskip(SKIP_2) | instid1(VALU_DEP_3)
	v_fmaak_f32 v30, s7, v29, 0x3ecc95a3
	v_mul_f32_e32 v31, v27, v29
	v_cmp_eq_f32_e64 s7, 0x7f800000, v26
	v_fmaak_f32 v29, v29, v30, 0x3f2aaada
	v_ldexp_f32 v30, v27, 1
	v_sub_f32_e32 v27, v27, v28
	s_delay_alu instid0(VALU_DEP_4) | instskip(NEXT) | instid1(VALU_DEP_3)
	s_or_b32 s7, s7, s13
	v_mul_f32_e32 v29, v31, v29
	v_mul_f32_e32 v31, 0x3f317218, v24
	s_delay_alu instid0(VALU_DEP_2) | instskip(NEXT) | instid1(VALU_DEP_1)
	v_dual_sub_f32 v25, v25, v27 :: v_dual_add_f32 v28, v30, v29
	v_ldexp_f32 v25, v25, 1
	s_delay_alu instid0(VALU_DEP_2) | instskip(NEXT) | instid1(VALU_DEP_4)
	v_sub_f32_e32 v27, v28, v30
	v_fma_f32 v30, 0x3f317218, v24, -v31
	s_delay_alu instid0(VALU_DEP_1) | instskip(NEXT) | instid1(VALU_DEP_1)
	v_dual_sub_f32 v27, v29, v27 :: v_dual_fmamk_f32 v24, v24, 0xb102e308, v30
	v_add_f32_e32 v25, v25, v27
	s_delay_alu instid0(VALU_DEP_2) | instskip(NEXT) | instid1(VALU_DEP_2)
	v_add_f32_e32 v27, v31, v24
	v_add_f32_e32 v29, v28, v25
	s_delay_alu instid0(VALU_DEP_2) | instskip(NEXT) | instid1(VALU_DEP_2)
	v_sub_f32_e32 v31, v27, v31
	v_add_f32_e32 v30, v27, v29
	v_sub_f32_e32 v28, v29, v28
	s_delay_alu instid0(VALU_DEP_3) | instskip(NEXT) | instid1(VALU_DEP_2)
	v_sub_f32_e32 v24, v24, v31
	v_dual_sub_f32 v32, v30, v27 :: v_dual_sub_f32 v25, v25, v28
	s_delay_alu instid0(VALU_DEP_1) | instskip(NEXT) | instid1(VALU_DEP_2)
	v_sub_f32_e32 v33, v30, v32
	v_dual_sub_f32 v28, v29, v32 :: v_dual_add_f32 v29, v24, v25
	s_delay_alu instid0(VALU_DEP_2) | instskip(NEXT) | instid1(VALU_DEP_1)
	v_sub_f32_e32 v27, v27, v33
	v_dual_add_f32 v27, v28, v27 :: v_dual_sub_f32 v28, v29, v24
	s_delay_alu instid0(VALU_DEP_1) | instskip(NEXT) | instid1(VALU_DEP_2)
	v_add_f32_e32 v27, v29, v27
	v_sub_f32_e32 v29, v29, v28
	v_sub_f32_e32 v25, v25, v28
	s_delay_alu instid0(VALU_DEP_2) | instskip(NEXT) | instid1(VALU_DEP_1)
	v_dual_add_f32 v31, v30, v27 :: v_dual_sub_f32 v24, v24, v29
	v_sub_f32_e32 v28, v31, v30
	s_delay_alu instid0(VALU_DEP_2) | instskip(NEXT) | instid1(VALU_DEP_2)
	v_add_f32_e32 v24, v25, v24
	v_sub_f32_e32 v25, v27, v28
	s_delay_alu instid0(VALU_DEP_1) | instskip(NEXT) | instid1(VALU_DEP_1)
	v_add_f32_e32 v24, v24, v25
	v_add_f32_e32 v24, v31, v24
	s_delay_alu instid0(VALU_DEP_1) | instskip(NEXT) | instid1(VALU_DEP_1)
	v_cndmask_b32_e64 v24, v24, v26, s7
	v_add_f32_e32 v24, v23, v24
.LBB126_183:
	s_or_b32 exec_lo, exec_lo, s12
	s_delay_alu instid0(VALU_DEP_1)
	v_mov_b32_e32 v23, v24
.LBB126_184:
	s_or_b32 exec_lo, exec_lo, s9
	s_delay_alu instid0(VALU_DEP_1)
	v_mov_b32_dpp v24, v23 row_shr:2 row_mask:0xf bank_mask:0xf
	s_mov_b32 s9, exec_lo
	v_cmpx_lt_u32_e32 1, v22
	s_cbranch_execz .LBB126_188
; %bb.185:
	s_delay_alu instid0(VALU_DEP_2) | instskip(SKIP_1) | instid1(VALU_DEP_2)
	v_dual_max_f32 v25, v23, v23 :: v_dual_max_f32 v26, v24, v24
	v_cmp_u_f32_e64 s7, v24, v24
	v_min_f32_e32 v27, v26, v25
	v_max_f32_e32 v25, v26, v25
	s_delay_alu instid0(VALU_DEP_2) | instskip(NEXT) | instid1(VALU_DEP_2)
	v_cndmask_b32_e64 v26, v27, v24, s7
	v_cndmask_b32_e64 v27, v25, v24, s7
	v_cmp_u_f32_e64 s7, v23, v23
	s_delay_alu instid0(VALU_DEP_1) | instskip(NEXT) | instid1(VALU_DEP_3)
	v_cndmask_b32_e64 v25, v26, v23, s7
	v_cndmask_b32_e64 v23, v27, v23, s7
	s_delay_alu instid0(VALU_DEP_2) | instskip(NEXT) | instid1(VALU_DEP_2)
	v_cmp_class_f32_e64 s12, v25, 0x1f8
	v_cmp_neq_f32_e64 s7, v25, v23
	s_delay_alu instid0(VALU_DEP_1) | instskip(NEXT) | instid1(SALU_CYCLE_1)
	s_or_b32 s7, s7, s12
	s_and_saveexec_b32 s12, s7
	s_cbranch_execz .LBB126_187
; %bb.186:
	v_sub_f32_e32 v24, v25, v23
	s_delay_alu instid0(VALU_DEP_1) | instskip(SKIP_1) | instid1(VALU_DEP_2)
	v_mul_f32_e32 v25, 0x3fb8aa3b, v24
	v_cmp_ngt_f32_e64 s7, 0xc2ce8ed0, v24
	v_fma_f32 v26, 0x3fb8aa3b, v24, -v25
	v_rndne_f32_e32 v27, v25
	s_delay_alu instid0(VALU_DEP_1) | instskip(NEXT) | instid1(VALU_DEP_1)
	v_dual_fmamk_f32 v26, v24, 0x32a5705f, v26 :: v_dual_sub_f32 v25, v25, v27
	v_add_f32_e32 v25, v25, v26
	v_cvt_i32_f32_e32 v26, v27
	s_delay_alu instid0(VALU_DEP_2) | instskip(SKIP_2) | instid1(VALU_DEP_1)
	v_exp_f32_e32 v25, v25
	s_waitcnt_depctr 0xfff
	v_ldexp_f32 v25, v25, v26
	v_cndmask_b32_e64 v25, 0, v25, s7
	v_cmp_nlt_f32_e64 s7, 0x42b17218, v24
	s_delay_alu instid0(VALU_DEP_1) | instskip(NEXT) | instid1(VALU_DEP_1)
	v_cndmask_b32_e64 v26, 0x7f800000, v25, s7
	v_add_f32_e32 v27, 1.0, v26
	v_cmp_gt_f32_e64 s13, 0x33800000, |v26|
	s_delay_alu instid0(VALU_DEP_2) | instskip(NEXT) | instid1(VALU_DEP_1)
	v_cvt_f64_f32_e32 v[24:25], v27
	v_frexp_exp_i32_f64_e32 v24, v[24:25]
	v_frexp_mant_f32_e32 v25, v27
	s_delay_alu instid0(VALU_DEP_1) | instskip(SKIP_1) | instid1(VALU_DEP_1)
	v_cmp_gt_f32_e64 s7, 0x3f2aaaab, v25
	v_add_f32_e32 v25, -1.0, v27
	v_sub_f32_e32 v29, v25, v27
	v_sub_f32_e32 v25, v26, v25
	s_delay_alu instid0(VALU_DEP_4) | instskip(SKIP_1) | instid1(VALU_DEP_1)
	v_subrev_co_ci_u32_e64 v24, s7, 0, v24, s7
	s_mov_b32 s7, 0x3e9b6dac
	v_sub_nc_u32_e32 v28, 0, v24
	v_cvt_f32_i32_e32 v24, v24
	s_delay_alu instid0(VALU_DEP_2) | instskip(NEXT) | instid1(VALU_DEP_1)
	v_ldexp_f32 v27, v27, v28
	v_dual_add_f32 v30, 1.0, v27 :: v_dual_add_f32 v29, 1.0, v29
	s_delay_alu instid0(VALU_DEP_1) | instskip(NEXT) | instid1(VALU_DEP_2)
	v_add_f32_e32 v25, v25, v29
	v_add_f32_e32 v29, -1.0, v30
	s_delay_alu instid0(VALU_DEP_2) | instskip(NEXT) | instid1(VALU_DEP_2)
	v_ldexp_f32 v25, v25, v28
	v_dual_add_f32 v28, -1.0, v27 :: v_dual_sub_f32 v29, v27, v29
	s_delay_alu instid0(VALU_DEP_1) | instskip(NEXT) | instid1(VALU_DEP_2)
	v_add_f32_e32 v31, 1.0, v28
	v_add_f32_e32 v29, v25, v29
	s_delay_alu instid0(VALU_DEP_2) | instskip(NEXT) | instid1(VALU_DEP_2)
	v_sub_f32_e32 v27, v27, v31
	v_add_f32_e32 v31, v30, v29
	s_delay_alu instid0(VALU_DEP_2) | instskip(NEXT) | instid1(VALU_DEP_2)
	v_add_f32_e32 v25, v25, v27
	v_rcp_f32_e32 v27, v31
	v_sub_f32_e32 v30, v30, v31
	s_delay_alu instid0(VALU_DEP_1) | instskip(NEXT) | instid1(VALU_DEP_1)
	v_dual_add_f32 v32, v28, v25 :: v_dual_add_f32 v29, v29, v30
	v_sub_f32_e32 v28, v28, v32
	s_waitcnt_depctr 0xfff
	v_mul_f32_e32 v33, v32, v27
	s_delay_alu instid0(VALU_DEP_1) | instskip(NEXT) | instid1(VALU_DEP_1)
	v_dual_add_f32 v25, v25, v28 :: v_dual_mul_f32 v34, v31, v33
	v_fma_f32 v30, v33, v31, -v34
	s_delay_alu instid0(VALU_DEP_1) | instskip(NEXT) | instid1(VALU_DEP_1)
	v_fmac_f32_e32 v30, v33, v29
	v_add_f32_e32 v35, v34, v30
	s_delay_alu instid0(VALU_DEP_1) | instskip(SKIP_1) | instid1(VALU_DEP_2)
	v_sub_f32_e32 v36, v32, v35
	v_sub_f32_e32 v28, v35, v34
	;; [unrolled: 1-line block ×3, first 2 shown]
	s_delay_alu instid0(VALU_DEP_2) | instskip(NEXT) | instid1(VALU_DEP_2)
	v_sub_f32_e32 v28, v28, v30
	v_sub_f32_e32 v32, v32, v35
	s_delay_alu instid0(VALU_DEP_1) | instskip(NEXT) | instid1(VALU_DEP_1)
	v_add_f32_e32 v25, v25, v32
	v_add_f32_e32 v25, v28, v25
	s_delay_alu instid0(VALU_DEP_1) | instskip(NEXT) | instid1(VALU_DEP_1)
	v_add_f32_e32 v28, v36, v25
	v_mul_f32_e32 v30, v27, v28
	s_delay_alu instid0(VALU_DEP_1) | instskip(NEXT) | instid1(VALU_DEP_1)
	v_dual_sub_f32 v35, v36, v28 :: v_dual_mul_f32 v32, v31, v30
	v_add_f32_e32 v25, v25, v35
	s_delay_alu instid0(VALU_DEP_2) | instskip(NEXT) | instid1(VALU_DEP_1)
	v_fma_f32 v31, v30, v31, -v32
	v_fmac_f32_e32 v31, v30, v29
	s_delay_alu instid0(VALU_DEP_1) | instskip(NEXT) | instid1(VALU_DEP_1)
	v_add_f32_e32 v29, v32, v31
	v_sub_f32_e32 v34, v28, v29
	v_sub_f32_e32 v32, v29, v32
	s_delay_alu instid0(VALU_DEP_2) | instskip(NEXT) | instid1(VALU_DEP_1)
	v_sub_f32_e32 v28, v28, v34
	v_sub_f32_e32 v28, v28, v29
	s_delay_alu instid0(VALU_DEP_3) | instskip(NEXT) | instid1(VALU_DEP_2)
	v_sub_f32_e32 v29, v32, v31
	v_add_f32_e32 v25, v25, v28
	v_add_f32_e32 v28, v33, v30
	s_delay_alu instid0(VALU_DEP_2) | instskip(NEXT) | instid1(VALU_DEP_2)
	v_add_f32_e32 v25, v29, v25
	v_sub_f32_e32 v29, v28, v33
	s_delay_alu instid0(VALU_DEP_2) | instskip(NEXT) | instid1(VALU_DEP_2)
	v_add_f32_e32 v25, v34, v25
	v_sub_f32_e32 v29, v30, v29
	s_delay_alu instid0(VALU_DEP_2) | instskip(NEXT) | instid1(VALU_DEP_1)
	v_mul_f32_e32 v25, v27, v25
	v_add_f32_e32 v25, v29, v25
	s_delay_alu instid0(VALU_DEP_1) | instskip(NEXT) | instid1(VALU_DEP_1)
	v_add_f32_e32 v27, v28, v25
	v_mul_f32_e32 v29, v27, v27
	s_delay_alu instid0(VALU_DEP_1) | instskip(SKIP_2) | instid1(VALU_DEP_3)
	v_fmaak_f32 v30, s7, v29, 0x3ecc95a3
	v_mul_f32_e32 v31, v27, v29
	v_cmp_eq_f32_e64 s7, 0x7f800000, v26
	v_fmaak_f32 v29, v29, v30, 0x3f2aaada
	v_ldexp_f32 v30, v27, 1
	v_sub_f32_e32 v27, v27, v28
	s_delay_alu instid0(VALU_DEP_4) | instskip(NEXT) | instid1(VALU_DEP_3)
	s_or_b32 s7, s7, s13
	v_mul_f32_e32 v29, v31, v29
	v_mul_f32_e32 v31, 0x3f317218, v24
	s_delay_alu instid0(VALU_DEP_2) | instskip(NEXT) | instid1(VALU_DEP_1)
	v_dual_sub_f32 v25, v25, v27 :: v_dual_add_f32 v28, v30, v29
	v_ldexp_f32 v25, v25, 1
	s_delay_alu instid0(VALU_DEP_2) | instskip(NEXT) | instid1(VALU_DEP_4)
	v_sub_f32_e32 v27, v28, v30
	v_fma_f32 v30, 0x3f317218, v24, -v31
	s_delay_alu instid0(VALU_DEP_1) | instskip(NEXT) | instid1(VALU_DEP_1)
	v_dual_sub_f32 v27, v29, v27 :: v_dual_fmamk_f32 v24, v24, 0xb102e308, v30
	v_add_f32_e32 v25, v25, v27
	s_delay_alu instid0(VALU_DEP_2) | instskip(NEXT) | instid1(VALU_DEP_2)
	v_add_f32_e32 v27, v31, v24
	v_add_f32_e32 v29, v28, v25
	s_delay_alu instid0(VALU_DEP_2) | instskip(NEXT) | instid1(VALU_DEP_2)
	v_sub_f32_e32 v31, v27, v31
	v_add_f32_e32 v30, v27, v29
	v_sub_f32_e32 v28, v29, v28
	s_delay_alu instid0(VALU_DEP_3) | instskip(NEXT) | instid1(VALU_DEP_2)
	v_sub_f32_e32 v24, v24, v31
	v_dual_sub_f32 v32, v30, v27 :: v_dual_sub_f32 v25, v25, v28
	s_delay_alu instid0(VALU_DEP_1) | instskip(NEXT) | instid1(VALU_DEP_2)
	v_sub_f32_e32 v33, v30, v32
	v_dual_sub_f32 v28, v29, v32 :: v_dual_add_f32 v29, v24, v25
	s_delay_alu instid0(VALU_DEP_2) | instskip(NEXT) | instid1(VALU_DEP_1)
	v_sub_f32_e32 v27, v27, v33
	v_dual_add_f32 v27, v28, v27 :: v_dual_sub_f32 v28, v29, v24
	s_delay_alu instid0(VALU_DEP_1) | instskip(NEXT) | instid1(VALU_DEP_2)
	v_add_f32_e32 v27, v29, v27
	v_sub_f32_e32 v29, v29, v28
	v_sub_f32_e32 v25, v25, v28
	s_delay_alu instid0(VALU_DEP_2) | instskip(NEXT) | instid1(VALU_DEP_1)
	v_dual_add_f32 v31, v30, v27 :: v_dual_sub_f32 v24, v24, v29
	v_sub_f32_e32 v28, v31, v30
	s_delay_alu instid0(VALU_DEP_2) | instskip(NEXT) | instid1(VALU_DEP_2)
	v_add_f32_e32 v24, v25, v24
	v_sub_f32_e32 v25, v27, v28
	s_delay_alu instid0(VALU_DEP_1) | instskip(NEXT) | instid1(VALU_DEP_1)
	v_add_f32_e32 v24, v24, v25
	v_add_f32_e32 v24, v31, v24
	s_delay_alu instid0(VALU_DEP_1) | instskip(NEXT) | instid1(VALU_DEP_1)
	v_cndmask_b32_e64 v24, v24, v26, s7
	v_add_f32_e32 v24, v23, v24
.LBB126_187:
	s_or_b32 exec_lo, exec_lo, s12
	s_delay_alu instid0(VALU_DEP_1)
	v_mov_b32_e32 v23, v24
.LBB126_188:
	s_or_b32 exec_lo, exec_lo, s9
	s_delay_alu instid0(VALU_DEP_1)
	v_mov_b32_dpp v24, v23 row_shr:4 row_mask:0xf bank_mask:0xf
	s_mov_b32 s9, exec_lo
	v_cmpx_lt_u32_e32 3, v22
	s_cbranch_execz .LBB126_192
; %bb.189:
	s_delay_alu instid0(VALU_DEP_2) | instskip(SKIP_1) | instid1(VALU_DEP_2)
	v_dual_max_f32 v25, v23, v23 :: v_dual_max_f32 v26, v24, v24
	v_cmp_u_f32_e64 s7, v24, v24
	v_min_f32_e32 v27, v26, v25
	v_max_f32_e32 v25, v26, v25
	s_delay_alu instid0(VALU_DEP_2) | instskip(NEXT) | instid1(VALU_DEP_2)
	v_cndmask_b32_e64 v26, v27, v24, s7
	v_cndmask_b32_e64 v27, v25, v24, s7
	v_cmp_u_f32_e64 s7, v23, v23
	s_delay_alu instid0(VALU_DEP_1) | instskip(NEXT) | instid1(VALU_DEP_3)
	v_cndmask_b32_e64 v25, v26, v23, s7
	v_cndmask_b32_e64 v23, v27, v23, s7
	s_delay_alu instid0(VALU_DEP_2) | instskip(NEXT) | instid1(VALU_DEP_2)
	v_cmp_class_f32_e64 s12, v25, 0x1f8
	v_cmp_neq_f32_e64 s7, v25, v23
	s_delay_alu instid0(VALU_DEP_1) | instskip(NEXT) | instid1(SALU_CYCLE_1)
	s_or_b32 s7, s7, s12
	s_and_saveexec_b32 s12, s7
	s_cbranch_execz .LBB126_191
; %bb.190:
	v_sub_f32_e32 v24, v25, v23
	s_delay_alu instid0(VALU_DEP_1) | instskip(SKIP_1) | instid1(VALU_DEP_2)
	v_mul_f32_e32 v25, 0x3fb8aa3b, v24
	v_cmp_ngt_f32_e64 s7, 0xc2ce8ed0, v24
	v_fma_f32 v26, 0x3fb8aa3b, v24, -v25
	v_rndne_f32_e32 v27, v25
	s_delay_alu instid0(VALU_DEP_1) | instskip(NEXT) | instid1(VALU_DEP_1)
	v_dual_fmamk_f32 v26, v24, 0x32a5705f, v26 :: v_dual_sub_f32 v25, v25, v27
	v_add_f32_e32 v25, v25, v26
	v_cvt_i32_f32_e32 v26, v27
	s_delay_alu instid0(VALU_DEP_2) | instskip(SKIP_2) | instid1(VALU_DEP_1)
	v_exp_f32_e32 v25, v25
	s_waitcnt_depctr 0xfff
	v_ldexp_f32 v25, v25, v26
	v_cndmask_b32_e64 v25, 0, v25, s7
	v_cmp_nlt_f32_e64 s7, 0x42b17218, v24
	s_delay_alu instid0(VALU_DEP_1) | instskip(NEXT) | instid1(VALU_DEP_1)
	v_cndmask_b32_e64 v26, 0x7f800000, v25, s7
	v_add_f32_e32 v27, 1.0, v26
	v_cmp_gt_f32_e64 s13, 0x33800000, |v26|
	s_delay_alu instid0(VALU_DEP_2) | instskip(NEXT) | instid1(VALU_DEP_1)
	v_cvt_f64_f32_e32 v[24:25], v27
	v_frexp_exp_i32_f64_e32 v24, v[24:25]
	v_frexp_mant_f32_e32 v25, v27
	s_delay_alu instid0(VALU_DEP_1) | instskip(SKIP_1) | instid1(VALU_DEP_1)
	v_cmp_gt_f32_e64 s7, 0x3f2aaaab, v25
	v_add_f32_e32 v25, -1.0, v27
	v_sub_f32_e32 v29, v25, v27
	v_sub_f32_e32 v25, v26, v25
	s_delay_alu instid0(VALU_DEP_4) | instskip(SKIP_1) | instid1(VALU_DEP_1)
	v_subrev_co_ci_u32_e64 v24, s7, 0, v24, s7
	s_mov_b32 s7, 0x3e9b6dac
	v_sub_nc_u32_e32 v28, 0, v24
	v_cvt_f32_i32_e32 v24, v24
	s_delay_alu instid0(VALU_DEP_2) | instskip(NEXT) | instid1(VALU_DEP_1)
	v_ldexp_f32 v27, v27, v28
	v_dual_add_f32 v30, 1.0, v27 :: v_dual_add_f32 v29, 1.0, v29
	s_delay_alu instid0(VALU_DEP_1) | instskip(NEXT) | instid1(VALU_DEP_2)
	v_add_f32_e32 v25, v25, v29
	v_add_f32_e32 v29, -1.0, v30
	s_delay_alu instid0(VALU_DEP_2) | instskip(NEXT) | instid1(VALU_DEP_2)
	v_ldexp_f32 v25, v25, v28
	v_dual_add_f32 v28, -1.0, v27 :: v_dual_sub_f32 v29, v27, v29
	s_delay_alu instid0(VALU_DEP_1) | instskip(NEXT) | instid1(VALU_DEP_2)
	v_add_f32_e32 v31, 1.0, v28
	v_add_f32_e32 v29, v25, v29
	s_delay_alu instid0(VALU_DEP_2) | instskip(NEXT) | instid1(VALU_DEP_2)
	v_sub_f32_e32 v27, v27, v31
	v_add_f32_e32 v31, v30, v29
	s_delay_alu instid0(VALU_DEP_2) | instskip(NEXT) | instid1(VALU_DEP_2)
	v_add_f32_e32 v25, v25, v27
	v_rcp_f32_e32 v27, v31
	v_sub_f32_e32 v30, v30, v31
	s_delay_alu instid0(VALU_DEP_1) | instskip(NEXT) | instid1(VALU_DEP_1)
	v_dual_add_f32 v32, v28, v25 :: v_dual_add_f32 v29, v29, v30
	v_sub_f32_e32 v28, v28, v32
	s_waitcnt_depctr 0xfff
	v_mul_f32_e32 v33, v32, v27
	s_delay_alu instid0(VALU_DEP_1) | instskip(NEXT) | instid1(VALU_DEP_1)
	v_dual_add_f32 v25, v25, v28 :: v_dual_mul_f32 v34, v31, v33
	v_fma_f32 v30, v33, v31, -v34
	s_delay_alu instid0(VALU_DEP_1) | instskip(NEXT) | instid1(VALU_DEP_1)
	v_fmac_f32_e32 v30, v33, v29
	v_add_f32_e32 v35, v34, v30
	s_delay_alu instid0(VALU_DEP_1) | instskip(SKIP_1) | instid1(VALU_DEP_2)
	v_sub_f32_e32 v36, v32, v35
	v_sub_f32_e32 v28, v35, v34
	;; [unrolled: 1-line block ×3, first 2 shown]
	s_delay_alu instid0(VALU_DEP_2) | instskip(NEXT) | instid1(VALU_DEP_2)
	v_sub_f32_e32 v28, v28, v30
	v_sub_f32_e32 v32, v32, v35
	s_delay_alu instid0(VALU_DEP_1) | instskip(NEXT) | instid1(VALU_DEP_1)
	v_add_f32_e32 v25, v25, v32
	v_add_f32_e32 v25, v28, v25
	s_delay_alu instid0(VALU_DEP_1) | instskip(NEXT) | instid1(VALU_DEP_1)
	v_add_f32_e32 v28, v36, v25
	v_mul_f32_e32 v30, v27, v28
	s_delay_alu instid0(VALU_DEP_1) | instskip(NEXT) | instid1(VALU_DEP_1)
	v_dual_sub_f32 v35, v36, v28 :: v_dual_mul_f32 v32, v31, v30
	v_add_f32_e32 v25, v25, v35
	s_delay_alu instid0(VALU_DEP_2) | instskip(NEXT) | instid1(VALU_DEP_1)
	v_fma_f32 v31, v30, v31, -v32
	v_fmac_f32_e32 v31, v30, v29
	s_delay_alu instid0(VALU_DEP_1) | instskip(NEXT) | instid1(VALU_DEP_1)
	v_add_f32_e32 v29, v32, v31
	v_sub_f32_e32 v34, v28, v29
	v_sub_f32_e32 v32, v29, v32
	s_delay_alu instid0(VALU_DEP_2) | instskip(NEXT) | instid1(VALU_DEP_1)
	v_sub_f32_e32 v28, v28, v34
	v_sub_f32_e32 v28, v28, v29
	s_delay_alu instid0(VALU_DEP_3) | instskip(NEXT) | instid1(VALU_DEP_2)
	v_sub_f32_e32 v29, v32, v31
	v_add_f32_e32 v25, v25, v28
	v_add_f32_e32 v28, v33, v30
	s_delay_alu instid0(VALU_DEP_2) | instskip(NEXT) | instid1(VALU_DEP_2)
	v_add_f32_e32 v25, v29, v25
	v_sub_f32_e32 v29, v28, v33
	s_delay_alu instid0(VALU_DEP_2) | instskip(NEXT) | instid1(VALU_DEP_2)
	v_add_f32_e32 v25, v34, v25
	v_sub_f32_e32 v29, v30, v29
	s_delay_alu instid0(VALU_DEP_2) | instskip(NEXT) | instid1(VALU_DEP_1)
	v_mul_f32_e32 v25, v27, v25
	v_add_f32_e32 v25, v29, v25
	s_delay_alu instid0(VALU_DEP_1) | instskip(NEXT) | instid1(VALU_DEP_1)
	v_add_f32_e32 v27, v28, v25
	v_mul_f32_e32 v29, v27, v27
	s_delay_alu instid0(VALU_DEP_1) | instskip(SKIP_2) | instid1(VALU_DEP_3)
	v_fmaak_f32 v30, s7, v29, 0x3ecc95a3
	v_mul_f32_e32 v31, v27, v29
	v_cmp_eq_f32_e64 s7, 0x7f800000, v26
	v_fmaak_f32 v29, v29, v30, 0x3f2aaada
	v_ldexp_f32 v30, v27, 1
	v_sub_f32_e32 v27, v27, v28
	s_delay_alu instid0(VALU_DEP_4) | instskip(NEXT) | instid1(VALU_DEP_3)
	s_or_b32 s7, s7, s13
	v_mul_f32_e32 v29, v31, v29
	v_mul_f32_e32 v31, 0x3f317218, v24
	s_delay_alu instid0(VALU_DEP_2) | instskip(NEXT) | instid1(VALU_DEP_1)
	v_dual_sub_f32 v25, v25, v27 :: v_dual_add_f32 v28, v30, v29
	v_ldexp_f32 v25, v25, 1
	s_delay_alu instid0(VALU_DEP_2) | instskip(NEXT) | instid1(VALU_DEP_4)
	v_sub_f32_e32 v27, v28, v30
	v_fma_f32 v30, 0x3f317218, v24, -v31
	s_delay_alu instid0(VALU_DEP_1) | instskip(NEXT) | instid1(VALU_DEP_1)
	v_dual_sub_f32 v27, v29, v27 :: v_dual_fmamk_f32 v24, v24, 0xb102e308, v30
	v_add_f32_e32 v25, v25, v27
	s_delay_alu instid0(VALU_DEP_2) | instskip(NEXT) | instid1(VALU_DEP_2)
	v_add_f32_e32 v27, v31, v24
	v_add_f32_e32 v29, v28, v25
	s_delay_alu instid0(VALU_DEP_2) | instskip(NEXT) | instid1(VALU_DEP_2)
	v_sub_f32_e32 v31, v27, v31
	v_add_f32_e32 v30, v27, v29
	v_sub_f32_e32 v28, v29, v28
	s_delay_alu instid0(VALU_DEP_3) | instskip(NEXT) | instid1(VALU_DEP_2)
	v_sub_f32_e32 v24, v24, v31
	v_dual_sub_f32 v32, v30, v27 :: v_dual_sub_f32 v25, v25, v28
	s_delay_alu instid0(VALU_DEP_1) | instskip(NEXT) | instid1(VALU_DEP_2)
	v_sub_f32_e32 v33, v30, v32
	v_dual_sub_f32 v28, v29, v32 :: v_dual_add_f32 v29, v24, v25
	s_delay_alu instid0(VALU_DEP_2) | instskip(NEXT) | instid1(VALU_DEP_1)
	v_sub_f32_e32 v27, v27, v33
	v_dual_add_f32 v27, v28, v27 :: v_dual_sub_f32 v28, v29, v24
	s_delay_alu instid0(VALU_DEP_1) | instskip(NEXT) | instid1(VALU_DEP_2)
	v_add_f32_e32 v27, v29, v27
	v_sub_f32_e32 v29, v29, v28
	v_sub_f32_e32 v25, v25, v28
	s_delay_alu instid0(VALU_DEP_2) | instskip(NEXT) | instid1(VALU_DEP_1)
	v_dual_add_f32 v31, v30, v27 :: v_dual_sub_f32 v24, v24, v29
	v_sub_f32_e32 v28, v31, v30
	s_delay_alu instid0(VALU_DEP_2) | instskip(NEXT) | instid1(VALU_DEP_2)
	v_add_f32_e32 v24, v25, v24
	v_sub_f32_e32 v25, v27, v28
	s_delay_alu instid0(VALU_DEP_1) | instskip(NEXT) | instid1(VALU_DEP_1)
	v_add_f32_e32 v24, v24, v25
	v_add_f32_e32 v24, v31, v24
	s_delay_alu instid0(VALU_DEP_1) | instskip(NEXT) | instid1(VALU_DEP_1)
	v_cndmask_b32_e64 v24, v24, v26, s7
	v_add_f32_e32 v24, v23, v24
.LBB126_191:
	s_or_b32 exec_lo, exec_lo, s12
	s_delay_alu instid0(VALU_DEP_1)
	v_mov_b32_e32 v23, v24
.LBB126_192:
	s_or_b32 exec_lo, exec_lo, s9
	s_delay_alu instid0(VALU_DEP_1)
	v_mov_b32_dpp v24, v23 row_shr:8 row_mask:0xf bank_mask:0xf
	s_mov_b32 s9, exec_lo
	v_cmpx_lt_u32_e32 7, v22
	s_cbranch_execz .LBB126_196
; %bb.193:
	s_delay_alu instid0(VALU_DEP_2) | instskip(SKIP_1) | instid1(VALU_DEP_2)
	v_dual_max_f32 v22, v23, v23 :: v_dual_max_f32 v25, v24, v24
	v_cmp_u_f32_e64 s7, v24, v24
	v_min_f32_e32 v26, v25, v22
	v_max_f32_e32 v22, v25, v22
	s_delay_alu instid0(VALU_DEP_2) | instskip(NEXT) | instid1(VALU_DEP_2)
	v_cndmask_b32_e64 v25, v26, v24, s7
	v_cndmask_b32_e64 v22, v22, v24, s7
	v_cmp_u_f32_e64 s7, v23, v23
	s_delay_alu instid0(VALU_DEP_1) | instskip(NEXT) | instid1(VALU_DEP_3)
	v_cndmask_b32_e64 v25, v25, v23, s7
	v_cndmask_b32_e64 v22, v22, v23, s7
	s_delay_alu instid0(VALU_DEP_2) | instskip(NEXT) | instid1(VALU_DEP_2)
	v_cmp_class_f32_e64 s12, v25, 0x1f8
	v_cmp_neq_f32_e64 s7, v25, v22
	s_delay_alu instid0(VALU_DEP_1) | instskip(NEXT) | instid1(SALU_CYCLE_1)
	s_or_b32 s7, s7, s12
	s_and_saveexec_b32 s12, s7
	s_cbranch_execz .LBB126_195
; %bb.194:
	v_sub_f32_e32 v23, v25, v22
	s_delay_alu instid0(VALU_DEP_1) | instskip(NEXT) | instid1(VALU_DEP_1)
	v_mul_f32_e32 v24, 0x3fb8aa3b, v23
	v_fma_f32 v25, 0x3fb8aa3b, v23, -v24
	v_rndne_f32_e32 v26, v24
	s_delay_alu instid0(VALU_DEP_1) | instskip(NEXT) | instid1(VALU_DEP_1)
	v_dual_fmamk_f32 v25, v23, 0x32a5705f, v25 :: v_dual_sub_f32 v24, v24, v26
	v_add_f32_e32 v24, v24, v25
	v_cvt_i32_f32_e32 v25, v26
	v_cmp_ngt_f32_e64 s7, 0xc2ce8ed0, v23
	s_delay_alu instid0(VALU_DEP_3) | instskip(SKIP_2) | instid1(VALU_DEP_1)
	v_exp_f32_e32 v24, v24
	s_waitcnt_depctr 0xfff
	v_ldexp_f32 v24, v24, v25
	v_cndmask_b32_e64 v24, 0, v24, s7
	v_cmp_nlt_f32_e64 s7, 0x42b17218, v23
	s_delay_alu instid0(VALU_DEP_1) | instskip(NEXT) | instid1(VALU_DEP_1)
	v_cndmask_b32_e64 v25, 0x7f800000, v24, s7
	v_add_f32_e32 v26, 1.0, v25
	v_cmp_gt_f32_e64 s13, 0x33800000, |v25|
	s_delay_alu instid0(VALU_DEP_2) | instskip(NEXT) | instid1(VALU_DEP_1)
	v_cvt_f64_f32_e32 v[23:24], v26
	v_frexp_exp_i32_f64_e32 v23, v[23:24]
	v_frexp_mant_f32_e32 v24, v26
	s_delay_alu instid0(VALU_DEP_1) | instskip(SKIP_1) | instid1(VALU_DEP_1)
	v_cmp_gt_f32_e64 s7, 0x3f2aaaab, v24
	v_add_f32_e32 v24, -1.0, v26
	v_sub_f32_e32 v28, v24, v26
	s_delay_alu instid0(VALU_DEP_3) | instskip(SKIP_1) | instid1(VALU_DEP_1)
	v_subrev_co_ci_u32_e64 v23, s7, 0, v23, s7
	s_mov_b32 s7, 0x3e9b6dac
	v_sub_nc_u32_e32 v27, 0, v23
	v_cvt_f32_i32_e32 v23, v23
	s_delay_alu instid0(VALU_DEP_2) | instskip(NEXT) | instid1(VALU_DEP_1)
	v_ldexp_f32 v26, v26, v27
	v_dual_sub_f32 v24, v25, v24 :: v_dual_add_f32 v29, 1.0, v26
	v_add_f32_e32 v28, 1.0, v28
	s_delay_alu instid0(VALU_DEP_1) | instskip(NEXT) | instid1(VALU_DEP_3)
	v_add_f32_e32 v24, v24, v28
	v_add_f32_e32 v28, -1.0, v29
	s_delay_alu instid0(VALU_DEP_2) | instskip(NEXT) | instid1(VALU_DEP_2)
	v_ldexp_f32 v24, v24, v27
	v_dual_add_f32 v27, -1.0, v26 :: v_dual_sub_f32 v28, v26, v28
	s_delay_alu instid0(VALU_DEP_1) | instskip(NEXT) | instid1(VALU_DEP_2)
	v_add_f32_e32 v30, 1.0, v27
	v_add_f32_e32 v28, v24, v28
	s_delay_alu instid0(VALU_DEP_2) | instskip(NEXT) | instid1(VALU_DEP_2)
	v_sub_f32_e32 v26, v26, v30
	v_add_f32_e32 v30, v29, v28
	s_delay_alu instid0(VALU_DEP_2) | instskip(NEXT) | instid1(VALU_DEP_2)
	v_add_f32_e32 v24, v24, v26
	v_rcp_f32_e32 v26, v30
	v_sub_f32_e32 v29, v29, v30
	s_delay_alu instid0(VALU_DEP_1) | instskip(NEXT) | instid1(VALU_DEP_1)
	v_dual_add_f32 v31, v27, v24 :: v_dual_add_f32 v28, v28, v29
	v_sub_f32_e32 v27, v27, v31
	s_waitcnt_depctr 0xfff
	v_mul_f32_e32 v32, v31, v26
	s_delay_alu instid0(VALU_DEP_1) | instskip(NEXT) | instid1(VALU_DEP_1)
	v_dual_add_f32 v24, v24, v27 :: v_dual_mul_f32 v33, v30, v32
	v_fma_f32 v29, v32, v30, -v33
	s_delay_alu instid0(VALU_DEP_1) | instskip(NEXT) | instid1(VALU_DEP_1)
	v_fmac_f32_e32 v29, v32, v28
	v_add_f32_e32 v34, v33, v29
	s_delay_alu instid0(VALU_DEP_1) | instskip(SKIP_1) | instid1(VALU_DEP_2)
	v_sub_f32_e32 v35, v31, v34
	v_sub_f32_e32 v27, v34, v33
	;; [unrolled: 1-line block ×3, first 2 shown]
	s_delay_alu instid0(VALU_DEP_2) | instskip(NEXT) | instid1(VALU_DEP_2)
	v_sub_f32_e32 v27, v27, v29
	v_sub_f32_e32 v31, v31, v34
	s_delay_alu instid0(VALU_DEP_1) | instskip(NEXT) | instid1(VALU_DEP_1)
	v_add_f32_e32 v24, v24, v31
	v_add_f32_e32 v24, v27, v24
	s_delay_alu instid0(VALU_DEP_1) | instskip(NEXT) | instid1(VALU_DEP_1)
	v_add_f32_e32 v27, v35, v24
	v_mul_f32_e32 v29, v26, v27
	s_delay_alu instid0(VALU_DEP_1) | instskip(NEXT) | instid1(VALU_DEP_1)
	v_dual_sub_f32 v34, v35, v27 :: v_dual_mul_f32 v31, v30, v29
	v_add_f32_e32 v24, v24, v34
	s_delay_alu instid0(VALU_DEP_2) | instskip(NEXT) | instid1(VALU_DEP_1)
	v_fma_f32 v30, v29, v30, -v31
	v_fmac_f32_e32 v30, v29, v28
	s_delay_alu instid0(VALU_DEP_1) | instskip(NEXT) | instid1(VALU_DEP_1)
	v_add_f32_e32 v28, v31, v30
	v_sub_f32_e32 v33, v27, v28
	v_sub_f32_e32 v31, v28, v31
	s_delay_alu instid0(VALU_DEP_2) | instskip(NEXT) | instid1(VALU_DEP_1)
	v_sub_f32_e32 v27, v27, v33
	v_sub_f32_e32 v27, v27, v28
	s_delay_alu instid0(VALU_DEP_3) | instskip(NEXT) | instid1(VALU_DEP_2)
	v_sub_f32_e32 v28, v31, v30
	v_add_f32_e32 v24, v24, v27
	v_add_f32_e32 v27, v32, v29
	s_delay_alu instid0(VALU_DEP_2) | instskip(NEXT) | instid1(VALU_DEP_2)
	v_add_f32_e32 v24, v28, v24
	v_sub_f32_e32 v28, v27, v32
	s_delay_alu instid0(VALU_DEP_2) | instskip(NEXT) | instid1(VALU_DEP_2)
	v_add_f32_e32 v24, v33, v24
	v_sub_f32_e32 v28, v29, v28
	s_delay_alu instid0(VALU_DEP_2) | instskip(NEXT) | instid1(VALU_DEP_1)
	v_mul_f32_e32 v24, v26, v24
	v_add_f32_e32 v24, v28, v24
	s_delay_alu instid0(VALU_DEP_1) | instskip(NEXT) | instid1(VALU_DEP_1)
	v_add_f32_e32 v26, v27, v24
	v_mul_f32_e32 v28, v26, v26
	s_delay_alu instid0(VALU_DEP_1) | instskip(SKIP_2) | instid1(VALU_DEP_3)
	v_fmaak_f32 v29, s7, v28, 0x3ecc95a3
	v_mul_f32_e32 v30, v26, v28
	v_cmp_eq_f32_e64 s7, 0x7f800000, v25
	v_fmaak_f32 v28, v28, v29, 0x3f2aaada
	v_ldexp_f32 v29, v26, 1
	v_sub_f32_e32 v26, v26, v27
	s_delay_alu instid0(VALU_DEP_4) | instskip(NEXT) | instid1(VALU_DEP_3)
	s_or_b32 s7, s7, s13
	v_mul_f32_e32 v28, v30, v28
	v_mul_f32_e32 v30, 0x3f317218, v23
	s_delay_alu instid0(VALU_DEP_2) | instskip(NEXT) | instid1(VALU_DEP_1)
	v_dual_sub_f32 v24, v24, v26 :: v_dual_add_f32 v27, v29, v28
	v_ldexp_f32 v24, v24, 1
	s_delay_alu instid0(VALU_DEP_2) | instskip(NEXT) | instid1(VALU_DEP_4)
	v_sub_f32_e32 v26, v27, v29
	v_fma_f32 v29, 0x3f317218, v23, -v30
	s_delay_alu instid0(VALU_DEP_1) | instskip(NEXT) | instid1(VALU_DEP_1)
	v_dual_sub_f32 v26, v28, v26 :: v_dual_fmamk_f32 v23, v23, 0xb102e308, v29
	v_add_f32_e32 v24, v24, v26
	s_delay_alu instid0(VALU_DEP_2) | instskip(NEXT) | instid1(VALU_DEP_2)
	v_add_f32_e32 v26, v30, v23
	v_add_f32_e32 v28, v27, v24
	s_delay_alu instid0(VALU_DEP_2) | instskip(NEXT) | instid1(VALU_DEP_2)
	v_sub_f32_e32 v30, v26, v30
	v_add_f32_e32 v29, v26, v28
	v_sub_f32_e32 v27, v28, v27
	s_delay_alu instid0(VALU_DEP_3) | instskip(NEXT) | instid1(VALU_DEP_2)
	v_sub_f32_e32 v23, v23, v30
	v_dual_sub_f32 v31, v29, v26 :: v_dual_sub_f32 v24, v24, v27
	s_delay_alu instid0(VALU_DEP_1) | instskip(NEXT) | instid1(VALU_DEP_2)
	v_sub_f32_e32 v32, v29, v31
	v_dual_sub_f32 v27, v28, v31 :: v_dual_add_f32 v28, v23, v24
	s_delay_alu instid0(VALU_DEP_2) | instskip(NEXT) | instid1(VALU_DEP_1)
	v_sub_f32_e32 v26, v26, v32
	v_dual_add_f32 v26, v27, v26 :: v_dual_sub_f32 v27, v28, v23
	s_delay_alu instid0(VALU_DEP_1) | instskip(NEXT) | instid1(VALU_DEP_2)
	v_add_f32_e32 v26, v28, v26
	v_sub_f32_e32 v28, v28, v27
	v_sub_f32_e32 v24, v24, v27
	s_delay_alu instid0(VALU_DEP_2) | instskip(NEXT) | instid1(VALU_DEP_1)
	v_dual_add_f32 v30, v29, v26 :: v_dual_sub_f32 v23, v23, v28
	v_sub_f32_e32 v27, v30, v29
	s_delay_alu instid0(VALU_DEP_2) | instskip(NEXT) | instid1(VALU_DEP_2)
	v_add_f32_e32 v23, v24, v23
	v_sub_f32_e32 v24, v26, v27
	s_delay_alu instid0(VALU_DEP_1) | instskip(NEXT) | instid1(VALU_DEP_1)
	v_add_f32_e32 v23, v23, v24
	v_add_f32_e32 v23, v30, v23
	s_delay_alu instid0(VALU_DEP_1) | instskip(NEXT) | instid1(VALU_DEP_1)
	v_cndmask_b32_e64 v23, v23, v25, s7
	v_add_f32_e32 v24, v22, v23
.LBB126_195:
	s_or_b32 exec_lo, exec_lo, s12
	s_delay_alu instid0(VALU_DEP_1)
	v_mov_b32_e32 v23, v24
.LBB126_196:
	s_or_b32 exec_lo, exec_lo, s9
	ds_swizzle_b32 v24, v23 offset:swizzle(BROADCAST,32,15)
	v_and_b32_e32 v22, 16, v6
	s_mov_b32 s9, exec_lo
	s_delay_alu instid0(VALU_DEP_1)
	v_cmpx_ne_u32_e32 0, v22
	s_cbranch_execz .LBB126_200
; %bb.197:
	s_waitcnt lgkmcnt(0)
	v_dual_max_f32 v22, v23, v23 :: v_dual_max_f32 v25, v24, v24
	v_cmp_u_f32_e64 s7, v24, v24
	s_delay_alu instid0(VALU_DEP_2) | instskip(SKIP_1) | instid1(VALU_DEP_2)
	v_min_f32_e32 v26, v25, v22
	v_max_f32_e32 v22, v25, v22
	v_cndmask_b32_e64 v25, v26, v24, s7
	s_delay_alu instid0(VALU_DEP_2) | instskip(SKIP_1) | instid1(VALU_DEP_1)
	v_cndmask_b32_e64 v22, v22, v24, s7
	v_cmp_u_f32_e64 s7, v23, v23
	v_cndmask_b32_e64 v25, v25, v23, s7
	s_delay_alu instid0(VALU_DEP_3) | instskip(NEXT) | instid1(VALU_DEP_2)
	v_cndmask_b32_e64 v22, v22, v23, s7
	v_cmp_class_f32_e64 s12, v25, 0x1f8
	s_delay_alu instid0(VALU_DEP_2) | instskip(NEXT) | instid1(VALU_DEP_1)
	v_cmp_neq_f32_e64 s7, v25, v22
	s_or_b32 s7, s7, s12
	s_delay_alu instid0(SALU_CYCLE_1)
	s_and_saveexec_b32 s12, s7
	s_cbranch_execz .LBB126_199
; %bb.198:
	v_sub_f32_e32 v23, v25, v22
	s_delay_alu instid0(VALU_DEP_1) | instskip(NEXT) | instid1(VALU_DEP_1)
	v_mul_f32_e32 v24, 0x3fb8aa3b, v23
	v_fma_f32 v25, 0x3fb8aa3b, v23, -v24
	v_rndne_f32_e32 v26, v24
	s_delay_alu instid0(VALU_DEP_1) | instskip(NEXT) | instid1(VALU_DEP_1)
	v_dual_fmamk_f32 v25, v23, 0x32a5705f, v25 :: v_dual_sub_f32 v24, v24, v26
	v_add_f32_e32 v24, v24, v25
	v_cvt_i32_f32_e32 v25, v26
	v_cmp_ngt_f32_e64 s7, 0xc2ce8ed0, v23
	s_delay_alu instid0(VALU_DEP_3) | instskip(SKIP_2) | instid1(VALU_DEP_1)
	v_exp_f32_e32 v24, v24
	s_waitcnt_depctr 0xfff
	v_ldexp_f32 v24, v24, v25
	v_cndmask_b32_e64 v24, 0, v24, s7
	v_cmp_nlt_f32_e64 s7, 0x42b17218, v23
	s_delay_alu instid0(VALU_DEP_1) | instskip(NEXT) | instid1(VALU_DEP_1)
	v_cndmask_b32_e64 v25, 0x7f800000, v24, s7
	v_add_f32_e32 v26, 1.0, v25
	v_cmp_gt_f32_e64 s13, 0x33800000, |v25|
	s_delay_alu instid0(VALU_DEP_2) | instskip(NEXT) | instid1(VALU_DEP_1)
	v_cvt_f64_f32_e32 v[23:24], v26
	v_frexp_exp_i32_f64_e32 v23, v[23:24]
	v_frexp_mant_f32_e32 v24, v26
	s_delay_alu instid0(VALU_DEP_1) | instskip(SKIP_1) | instid1(VALU_DEP_1)
	v_cmp_gt_f32_e64 s7, 0x3f2aaaab, v24
	v_add_f32_e32 v24, -1.0, v26
	v_sub_f32_e32 v28, v24, v26
	s_delay_alu instid0(VALU_DEP_3) | instskip(SKIP_1) | instid1(VALU_DEP_1)
	v_subrev_co_ci_u32_e64 v23, s7, 0, v23, s7
	s_mov_b32 s7, 0x3e9b6dac
	v_sub_nc_u32_e32 v27, 0, v23
	v_cvt_f32_i32_e32 v23, v23
	s_delay_alu instid0(VALU_DEP_2) | instskip(NEXT) | instid1(VALU_DEP_1)
	v_ldexp_f32 v26, v26, v27
	v_dual_sub_f32 v24, v25, v24 :: v_dual_add_f32 v29, 1.0, v26
	v_add_f32_e32 v28, 1.0, v28
	s_delay_alu instid0(VALU_DEP_1) | instskip(NEXT) | instid1(VALU_DEP_3)
	v_add_f32_e32 v24, v24, v28
	v_add_f32_e32 v28, -1.0, v29
	s_delay_alu instid0(VALU_DEP_2) | instskip(NEXT) | instid1(VALU_DEP_2)
	v_ldexp_f32 v24, v24, v27
	v_dual_add_f32 v27, -1.0, v26 :: v_dual_sub_f32 v28, v26, v28
	s_delay_alu instid0(VALU_DEP_1) | instskip(NEXT) | instid1(VALU_DEP_2)
	v_add_f32_e32 v30, 1.0, v27
	v_add_f32_e32 v28, v24, v28
	s_delay_alu instid0(VALU_DEP_2) | instskip(NEXT) | instid1(VALU_DEP_2)
	v_sub_f32_e32 v26, v26, v30
	v_add_f32_e32 v30, v29, v28
	s_delay_alu instid0(VALU_DEP_2) | instskip(NEXT) | instid1(VALU_DEP_2)
	v_add_f32_e32 v24, v24, v26
	v_rcp_f32_e32 v26, v30
	v_sub_f32_e32 v29, v29, v30
	s_delay_alu instid0(VALU_DEP_1) | instskip(NEXT) | instid1(VALU_DEP_1)
	v_dual_add_f32 v31, v27, v24 :: v_dual_add_f32 v28, v28, v29
	v_sub_f32_e32 v27, v27, v31
	s_waitcnt_depctr 0xfff
	v_mul_f32_e32 v32, v31, v26
	s_delay_alu instid0(VALU_DEP_1) | instskip(NEXT) | instid1(VALU_DEP_1)
	v_dual_add_f32 v24, v24, v27 :: v_dual_mul_f32 v33, v30, v32
	v_fma_f32 v29, v32, v30, -v33
	s_delay_alu instid0(VALU_DEP_1) | instskip(NEXT) | instid1(VALU_DEP_1)
	v_fmac_f32_e32 v29, v32, v28
	v_add_f32_e32 v34, v33, v29
	s_delay_alu instid0(VALU_DEP_1) | instskip(SKIP_1) | instid1(VALU_DEP_2)
	v_sub_f32_e32 v35, v31, v34
	v_sub_f32_e32 v27, v34, v33
	;; [unrolled: 1-line block ×3, first 2 shown]
	s_delay_alu instid0(VALU_DEP_2) | instskip(NEXT) | instid1(VALU_DEP_2)
	v_sub_f32_e32 v27, v27, v29
	v_sub_f32_e32 v31, v31, v34
	s_delay_alu instid0(VALU_DEP_1) | instskip(NEXT) | instid1(VALU_DEP_1)
	v_add_f32_e32 v24, v24, v31
	v_add_f32_e32 v24, v27, v24
	s_delay_alu instid0(VALU_DEP_1) | instskip(NEXT) | instid1(VALU_DEP_1)
	v_add_f32_e32 v27, v35, v24
	v_mul_f32_e32 v29, v26, v27
	s_delay_alu instid0(VALU_DEP_1) | instskip(NEXT) | instid1(VALU_DEP_1)
	v_dual_sub_f32 v34, v35, v27 :: v_dual_mul_f32 v31, v30, v29
	v_add_f32_e32 v24, v24, v34
	s_delay_alu instid0(VALU_DEP_2) | instskip(NEXT) | instid1(VALU_DEP_1)
	v_fma_f32 v30, v29, v30, -v31
	v_fmac_f32_e32 v30, v29, v28
	s_delay_alu instid0(VALU_DEP_1) | instskip(NEXT) | instid1(VALU_DEP_1)
	v_add_f32_e32 v28, v31, v30
	v_sub_f32_e32 v33, v27, v28
	v_sub_f32_e32 v31, v28, v31
	s_delay_alu instid0(VALU_DEP_2) | instskip(NEXT) | instid1(VALU_DEP_1)
	v_sub_f32_e32 v27, v27, v33
	v_sub_f32_e32 v27, v27, v28
	s_delay_alu instid0(VALU_DEP_3) | instskip(NEXT) | instid1(VALU_DEP_2)
	v_sub_f32_e32 v28, v31, v30
	v_add_f32_e32 v24, v24, v27
	v_add_f32_e32 v27, v32, v29
	s_delay_alu instid0(VALU_DEP_2) | instskip(NEXT) | instid1(VALU_DEP_2)
	v_add_f32_e32 v24, v28, v24
	v_sub_f32_e32 v28, v27, v32
	s_delay_alu instid0(VALU_DEP_2) | instskip(NEXT) | instid1(VALU_DEP_2)
	v_add_f32_e32 v24, v33, v24
	v_sub_f32_e32 v28, v29, v28
	s_delay_alu instid0(VALU_DEP_2) | instskip(NEXT) | instid1(VALU_DEP_1)
	v_mul_f32_e32 v24, v26, v24
	v_add_f32_e32 v24, v28, v24
	s_delay_alu instid0(VALU_DEP_1) | instskip(NEXT) | instid1(VALU_DEP_1)
	v_add_f32_e32 v26, v27, v24
	v_mul_f32_e32 v28, v26, v26
	s_delay_alu instid0(VALU_DEP_1) | instskip(SKIP_2) | instid1(VALU_DEP_3)
	v_fmaak_f32 v29, s7, v28, 0x3ecc95a3
	v_mul_f32_e32 v30, v26, v28
	v_cmp_eq_f32_e64 s7, 0x7f800000, v25
	v_fmaak_f32 v28, v28, v29, 0x3f2aaada
	v_ldexp_f32 v29, v26, 1
	v_sub_f32_e32 v26, v26, v27
	s_delay_alu instid0(VALU_DEP_4) | instskip(NEXT) | instid1(VALU_DEP_3)
	s_or_b32 s7, s7, s13
	v_mul_f32_e32 v28, v30, v28
	v_mul_f32_e32 v30, 0x3f317218, v23
	s_delay_alu instid0(VALU_DEP_2) | instskip(NEXT) | instid1(VALU_DEP_1)
	v_dual_sub_f32 v24, v24, v26 :: v_dual_add_f32 v27, v29, v28
	v_ldexp_f32 v24, v24, 1
	s_delay_alu instid0(VALU_DEP_2) | instskip(NEXT) | instid1(VALU_DEP_4)
	v_sub_f32_e32 v26, v27, v29
	v_fma_f32 v29, 0x3f317218, v23, -v30
	s_delay_alu instid0(VALU_DEP_1) | instskip(NEXT) | instid1(VALU_DEP_1)
	v_dual_sub_f32 v26, v28, v26 :: v_dual_fmamk_f32 v23, v23, 0xb102e308, v29
	v_add_f32_e32 v24, v24, v26
	s_delay_alu instid0(VALU_DEP_2) | instskip(NEXT) | instid1(VALU_DEP_2)
	v_add_f32_e32 v26, v30, v23
	v_add_f32_e32 v28, v27, v24
	s_delay_alu instid0(VALU_DEP_2) | instskip(NEXT) | instid1(VALU_DEP_2)
	v_sub_f32_e32 v30, v26, v30
	v_add_f32_e32 v29, v26, v28
	v_sub_f32_e32 v27, v28, v27
	s_delay_alu instid0(VALU_DEP_3) | instskip(NEXT) | instid1(VALU_DEP_2)
	v_sub_f32_e32 v23, v23, v30
	v_dual_sub_f32 v31, v29, v26 :: v_dual_sub_f32 v24, v24, v27
	s_delay_alu instid0(VALU_DEP_1) | instskip(NEXT) | instid1(VALU_DEP_2)
	v_sub_f32_e32 v32, v29, v31
	v_dual_sub_f32 v27, v28, v31 :: v_dual_add_f32 v28, v23, v24
	s_delay_alu instid0(VALU_DEP_2) | instskip(NEXT) | instid1(VALU_DEP_1)
	v_sub_f32_e32 v26, v26, v32
	v_dual_add_f32 v26, v27, v26 :: v_dual_sub_f32 v27, v28, v23
	s_delay_alu instid0(VALU_DEP_1) | instskip(NEXT) | instid1(VALU_DEP_2)
	v_add_f32_e32 v26, v28, v26
	v_sub_f32_e32 v28, v28, v27
	v_sub_f32_e32 v24, v24, v27
	s_delay_alu instid0(VALU_DEP_2) | instskip(NEXT) | instid1(VALU_DEP_1)
	v_dual_add_f32 v30, v29, v26 :: v_dual_sub_f32 v23, v23, v28
	v_sub_f32_e32 v27, v30, v29
	s_delay_alu instid0(VALU_DEP_2) | instskip(NEXT) | instid1(VALU_DEP_2)
	v_add_f32_e32 v23, v24, v23
	v_sub_f32_e32 v24, v26, v27
	s_delay_alu instid0(VALU_DEP_1) | instskip(NEXT) | instid1(VALU_DEP_1)
	v_add_f32_e32 v23, v23, v24
	v_add_f32_e32 v23, v30, v23
	s_delay_alu instid0(VALU_DEP_1) | instskip(NEXT) | instid1(VALU_DEP_1)
	v_cndmask_b32_e64 v23, v23, v25, s7
	v_add_f32_e32 v24, v22, v23
.LBB126_199:
	s_or_b32 exec_lo, exec_lo, s12
	s_delay_alu instid0(VALU_DEP_1)
	v_mov_b32_e32 v23, v24
.LBB126_200:
	s_or_b32 exec_lo, exec_lo, s9
	v_add_nc_u32_e32 v22, -1, v6
	s_delay_alu instid0(VALU_DEP_1) | instskip(NEXT) | instid1(VALU_DEP_1)
	v_cmp_gt_i32_e64 s7, 0, v22
	v_cndmask_b32_e64 v6, v22, v6, s7
	s_delay_alu instid0(VALU_DEP_1) | instskip(SKIP_4) | instid1(VALU_DEP_2)
	v_lshlrev_b32_e32 v6, 2, v6
	ds_bpermute_b32 v6, v6, v23
	s_waitcnt lgkmcnt(0)
	v_max_f32_e32 v22, v6, v6
	v_cmp_u_f32_e64 s7, v6, v6
	v_min_f32_e32 v23, v22, v21
	v_max_f32_e32 v21, v22, v21
	s_delay_alu instid0(VALU_DEP_2) | instskip(NEXT) | instid1(VALU_DEP_2)
	v_cndmask_b32_e64 v22, v23, v6, s7
	v_cndmask_b32_e64 v23, v21, v6, s7
	s_delay_alu instid0(VALU_DEP_2) | instskip(NEXT) | instid1(VALU_DEP_2)
	v_cndmask_b32_e64 v21, v22, v5, s6
	v_cndmask_b32_e64 v5, v23, v5, s6
	s_delay_alu instid0(VALU_DEP_2) | instskip(NEXT) | instid1(VALU_DEP_2)
	v_cmp_class_f32_e64 s7, v21, 0x1f8
	v_cmp_neq_f32_e64 s6, v21, v5
	s_delay_alu instid0(VALU_DEP_1) | instskip(NEXT) | instid1(SALU_CYCLE_1)
	s_or_b32 s6, s6, s7
	s_and_saveexec_b32 s7, s6
	s_cbranch_execz .LBB126_202
; %bb.201:
	v_sub_f32_e32 v6, v21, v5
	s_delay_alu instid0(VALU_DEP_1) | instskip(SKIP_1) | instid1(VALU_DEP_2)
	v_mul_f32_e32 v21, 0x3fb8aa3b, v6
	v_cmp_ngt_f32_e64 s6, 0xc2ce8ed0, v6
	v_fma_f32 v22, 0x3fb8aa3b, v6, -v21
	v_rndne_f32_e32 v23, v21
	s_delay_alu instid0(VALU_DEP_1) | instskip(NEXT) | instid1(VALU_DEP_1)
	v_dual_fmamk_f32 v22, v6, 0x32a5705f, v22 :: v_dual_sub_f32 v21, v21, v23
	v_add_f32_e32 v21, v21, v22
	v_cvt_i32_f32_e32 v22, v23
	s_delay_alu instid0(VALU_DEP_2) | instskip(SKIP_2) | instid1(VALU_DEP_1)
	v_exp_f32_e32 v21, v21
	s_waitcnt_depctr 0xfff
	v_ldexp_f32 v21, v21, v22
	v_cndmask_b32_e64 v21, 0, v21, s6
	v_cmp_nlt_f32_e64 s6, 0x42b17218, v6
	s_delay_alu instid0(VALU_DEP_1) | instskip(NEXT) | instid1(VALU_DEP_1)
	v_cndmask_b32_e64 v6, 0x7f800000, v21, s6
	v_add_f32_e32 v23, 1.0, v6
	v_cmp_gt_f32_e64 s9, 0x33800000, |v6|
	s_delay_alu instid0(VALU_DEP_2) | instskip(NEXT) | instid1(VALU_DEP_1)
	v_cvt_f64_f32_e32 v[21:22], v23
	v_frexp_exp_i32_f64_e32 v21, v[21:22]
	v_frexp_mant_f32_e32 v22, v23
	s_delay_alu instid0(VALU_DEP_1) | instskip(SKIP_1) | instid1(VALU_DEP_1)
	v_cmp_gt_f32_e64 s6, 0x3f2aaaab, v22
	v_add_f32_e32 v22, -1.0, v23
	v_sub_f32_e32 v25, v22, v23
	s_delay_alu instid0(VALU_DEP_1) | instskip(NEXT) | instid1(VALU_DEP_1)
	v_dual_sub_f32 v22, v6, v22 :: v_dual_add_f32 v25, 1.0, v25
	v_add_f32_e32 v22, v22, v25
	v_subrev_co_ci_u32_e64 v21, s6, 0, v21, s6
	s_mov_b32 s6, 0x3e9b6dac
	s_delay_alu instid0(VALU_DEP_1) | instskip(SKIP_1) | instid1(VALU_DEP_2)
	v_sub_nc_u32_e32 v24, 0, v21
	v_cvt_f32_i32_e32 v21, v21
	v_ldexp_f32 v23, v23, v24
	v_ldexp_f32 v22, v22, v24
	s_delay_alu instid0(VALU_DEP_2) | instskip(NEXT) | instid1(VALU_DEP_1)
	v_add_f32_e32 v26, 1.0, v23
	v_dual_add_f32 v24, -1.0, v23 :: v_dual_add_f32 v25, -1.0, v26
	s_delay_alu instid0(VALU_DEP_1) | instskip(NEXT) | instid1(VALU_DEP_2)
	v_add_f32_e32 v27, 1.0, v24
	v_sub_f32_e32 v25, v23, v25
	s_delay_alu instid0(VALU_DEP_2) | instskip(NEXT) | instid1(VALU_DEP_2)
	v_sub_f32_e32 v23, v23, v27
	v_add_f32_e32 v25, v22, v25
	s_delay_alu instid0(VALU_DEP_2) | instskip(NEXT) | instid1(VALU_DEP_1)
	v_add_f32_e32 v22, v22, v23
	v_dual_add_f32 v28, v24, v22 :: v_dual_add_f32 v27, v26, v25
	s_delay_alu instid0(VALU_DEP_1) | instskip(NEXT) | instid1(VALU_DEP_2)
	v_sub_f32_e32 v24, v24, v28
	v_rcp_f32_e32 v23, v27
	v_sub_f32_e32 v26, v26, v27
	s_delay_alu instid0(VALU_DEP_1) | instskip(SKIP_2) | instid1(VALU_DEP_1)
	v_dual_add_f32 v22, v22, v24 :: v_dual_add_f32 v25, v25, v26
	s_waitcnt_depctr 0xfff
	v_mul_f32_e32 v29, v28, v23
	v_mul_f32_e32 v30, v27, v29
	s_delay_alu instid0(VALU_DEP_1) | instskip(NEXT) | instid1(VALU_DEP_1)
	v_fma_f32 v26, v29, v27, -v30
	v_fmac_f32_e32 v26, v29, v25
	s_delay_alu instid0(VALU_DEP_1) | instskip(NEXT) | instid1(VALU_DEP_1)
	v_add_f32_e32 v31, v30, v26
	v_sub_f32_e32 v32, v28, v31
	s_delay_alu instid0(VALU_DEP_1) | instskip(SKIP_1) | instid1(VALU_DEP_2)
	v_sub_f32_e32 v28, v28, v32
	v_sub_f32_e32 v24, v31, v30
	;; [unrolled: 1-line block ×3, first 2 shown]
	s_delay_alu instid0(VALU_DEP_2) | instskip(NEXT) | instid1(VALU_DEP_2)
	v_sub_f32_e32 v24, v24, v26
	v_add_f32_e32 v22, v22, v28
	s_delay_alu instid0(VALU_DEP_1) | instskip(NEXT) | instid1(VALU_DEP_1)
	v_add_f32_e32 v22, v24, v22
	v_add_f32_e32 v24, v32, v22
	s_delay_alu instid0(VALU_DEP_1) | instskip(NEXT) | instid1(VALU_DEP_1)
	v_mul_f32_e32 v26, v23, v24
	v_dual_sub_f32 v31, v32, v24 :: v_dual_mul_f32 v28, v27, v26
	s_delay_alu instid0(VALU_DEP_1) | instskip(NEXT) | instid1(VALU_DEP_2)
	v_add_f32_e32 v22, v22, v31
	v_fma_f32 v27, v26, v27, -v28
	s_delay_alu instid0(VALU_DEP_1) | instskip(NEXT) | instid1(VALU_DEP_1)
	v_fmac_f32_e32 v27, v26, v25
	v_add_f32_e32 v25, v28, v27
	s_delay_alu instid0(VALU_DEP_1) | instskip(SKIP_1) | instid1(VALU_DEP_2)
	v_sub_f32_e32 v30, v24, v25
	v_sub_f32_e32 v28, v25, v28
	;; [unrolled: 1-line block ×3, first 2 shown]
	s_delay_alu instid0(VALU_DEP_1) | instskip(NEXT) | instid1(VALU_DEP_1)
	v_sub_f32_e32 v24, v24, v25
	v_dual_sub_f32 v25, v28, v27 :: v_dual_add_f32 v22, v22, v24
	v_add_f32_e32 v24, v29, v26
	s_delay_alu instid0(VALU_DEP_1) | instskip(NEXT) | instid1(VALU_DEP_1)
	v_dual_add_f32 v22, v25, v22 :: v_dual_sub_f32 v25, v24, v29
	v_add_f32_e32 v22, v30, v22
	s_delay_alu instid0(VALU_DEP_1) | instskip(NEXT) | instid1(VALU_DEP_1)
	v_dual_sub_f32 v25, v26, v25 :: v_dual_mul_f32 v22, v23, v22
	v_add_f32_e32 v22, v25, v22
	s_delay_alu instid0(VALU_DEP_1) | instskip(NEXT) | instid1(VALU_DEP_1)
	v_add_f32_e32 v23, v24, v22
	v_mul_f32_e32 v25, v23, v23
	s_delay_alu instid0(VALU_DEP_1) | instskip(SKIP_2) | instid1(VALU_DEP_3)
	v_fmaak_f32 v26, s6, v25, 0x3ecc95a3
	v_mul_f32_e32 v27, v23, v25
	v_cmp_eq_f32_e64 s6, 0x7f800000, v6
	v_fmaak_f32 v25, v25, v26, 0x3f2aaada
	v_ldexp_f32 v26, v23, 1
	v_sub_f32_e32 v23, v23, v24
	s_delay_alu instid0(VALU_DEP_4) | instskip(NEXT) | instid1(VALU_DEP_3)
	s_or_b32 s6, s6, s9
	v_mul_f32_e32 v25, v27, v25
	s_delay_alu instid0(VALU_DEP_2) | instskip(NEXT) | instid1(VALU_DEP_2)
	v_dual_mul_f32 v27, 0x3f317218, v21 :: v_dual_sub_f32 v22, v22, v23
	v_add_f32_e32 v24, v26, v25
	s_delay_alu instid0(VALU_DEP_2) | instskip(NEXT) | instid1(VALU_DEP_2)
	v_ldexp_f32 v22, v22, 1
	v_sub_f32_e32 v23, v24, v26
	s_delay_alu instid0(VALU_DEP_4) | instskip(NEXT) | instid1(VALU_DEP_2)
	v_fma_f32 v26, 0x3f317218, v21, -v27
	v_sub_f32_e32 v23, v25, v23
	s_delay_alu instid0(VALU_DEP_1) | instskip(NEXT) | instid1(VALU_DEP_1)
	v_dual_fmamk_f32 v21, v21, 0xb102e308, v26 :: v_dual_add_f32 v22, v22, v23
	v_add_f32_e32 v23, v27, v21
	s_delay_alu instid0(VALU_DEP_1) | instskip(NEXT) | instid1(VALU_DEP_1)
	v_sub_f32_e32 v27, v23, v27
	v_sub_f32_e32 v21, v21, v27
	s_delay_alu instid0(VALU_DEP_4) | instskip(NEXT) | instid1(VALU_DEP_1)
	v_add_f32_e32 v25, v24, v22
	v_sub_f32_e32 v24, v25, v24
	s_delay_alu instid0(VALU_DEP_1) | instskip(SKIP_1) | instid1(VALU_DEP_1)
	v_sub_f32_e32 v22, v22, v24
	v_add_f32_e32 v26, v23, v25
	v_sub_f32_e32 v28, v26, v23
	s_delay_alu instid0(VALU_DEP_1) | instskip(NEXT) | instid1(VALU_DEP_4)
	v_sub_f32_e32 v24, v25, v28
	v_add_f32_e32 v25, v21, v22
	v_sub_f32_e32 v29, v26, v28
	s_delay_alu instid0(VALU_DEP_1) | instskip(NEXT) | instid1(VALU_DEP_1)
	v_sub_f32_e32 v23, v23, v29
	v_dual_add_f32 v23, v24, v23 :: v_dual_sub_f32 v24, v25, v21
	s_delay_alu instid0(VALU_DEP_1) | instskip(SKIP_1) | instid1(VALU_DEP_2)
	v_dual_add_f32 v23, v25, v23 :: v_dual_sub_f32 v22, v22, v24
	v_sub_f32_e32 v25, v25, v24
	v_add_f32_e32 v27, v26, v23
	s_delay_alu instid0(VALU_DEP_1) | instskip(NEXT) | instid1(VALU_DEP_1)
	v_dual_sub_f32 v21, v21, v25 :: v_dual_sub_f32 v24, v27, v26
	v_dual_add_f32 v21, v22, v21 :: v_dual_sub_f32 v22, v23, v24
	s_delay_alu instid0(VALU_DEP_1) | instskip(NEXT) | instid1(VALU_DEP_1)
	v_add_f32_e32 v21, v21, v22
	v_add_f32_e32 v21, v27, v21
	s_delay_alu instid0(VALU_DEP_1) | instskip(NEXT) | instid1(VALU_DEP_1)
	v_cndmask_b32_e64 v6, v21, v6, s6
	v_add_f32_e32 v6, v5, v6
.LBB126_202:
	s_or_b32 exec_lo, exec_lo, s7
	s_delay_alu instid0(VALU_DEP_1)
	v_cndmask_b32_e64 v5, v6, v4, s3
	; wave barrier
	ds_store_b32 v20, v5
	; wave barrier
	ds_load_b32 v6, v20 offset:4
	v_max_f32_e32 v21, v5, v5
	v_cmp_u_f32_e64 s3, v5, v5
	s_waitcnt lgkmcnt(0)
	v_max_f32_e32 v22, v6, v6
	s_delay_alu instid0(VALU_DEP_1) | instskip(SKIP_1) | instid1(VALU_DEP_2)
	v_min_f32_e32 v23, v21, v22
	v_max_f32_e32 v21, v21, v22
	v_cndmask_b32_e64 v22, v23, v5, s3
	s_delay_alu instid0(VALU_DEP_2) | instskip(SKIP_1) | instid1(VALU_DEP_1)
	v_cndmask_b32_e64 v23, v21, v5, s3
	v_cmp_u_f32_e64 s3, v6, v6
	v_cndmask_b32_e64 v21, v22, v6, s3
	s_delay_alu instid0(VALU_DEP_3) | instskip(NEXT) | instid1(VALU_DEP_2)
	v_cndmask_b32_e64 v6, v23, v6, s3
	v_cmp_class_f32_e64 s6, v21, 0x1f8
	s_delay_alu instid0(VALU_DEP_2) | instskip(NEXT) | instid1(VALU_DEP_1)
	v_cmp_neq_f32_e64 s3, v21, v6
	s_or_b32 s3, s3, s6
	s_delay_alu instid0(SALU_CYCLE_1)
	s_and_saveexec_b32 s6, s3
	s_cbranch_execz .LBB126_204
; %bb.203:
	v_sub_f32_e32 v5, v21, v6
	s_delay_alu instid0(VALU_DEP_1) | instskip(SKIP_1) | instid1(VALU_DEP_2)
	v_mul_f32_e32 v21, 0x3fb8aa3b, v5
	v_cmp_ngt_f32_e64 s3, 0xc2ce8ed0, v5
	v_fma_f32 v22, 0x3fb8aa3b, v5, -v21
	v_rndne_f32_e32 v23, v21
	s_delay_alu instid0(VALU_DEP_2) | instskip(NEXT) | instid1(VALU_DEP_2)
	v_fmamk_f32 v22, v5, 0x32a5705f, v22
	v_sub_f32_e32 v21, v21, v23
	s_delay_alu instid0(VALU_DEP_1) | instskip(SKIP_1) | instid1(VALU_DEP_2)
	v_add_f32_e32 v21, v21, v22
	v_cvt_i32_f32_e32 v22, v23
	v_exp_f32_e32 v21, v21
	s_waitcnt_depctr 0xfff
	v_ldexp_f32 v21, v21, v22
	s_delay_alu instid0(VALU_DEP_1) | instskip(SKIP_1) | instid1(VALU_DEP_1)
	v_cndmask_b32_e64 v21, 0, v21, s3
	v_cmp_nlt_f32_e64 s3, 0x42b17218, v5
	v_cndmask_b32_e64 v5, 0x7f800000, v21, s3
	s_delay_alu instid0(VALU_DEP_1) | instskip(SKIP_1) | instid1(VALU_DEP_2)
	v_add_f32_e32 v23, 1.0, v5
	v_cmp_gt_f32_e64 s7, 0x33800000, |v5|
	v_cvt_f64_f32_e32 v[21:22], v23
	s_delay_alu instid0(VALU_DEP_1) | instskip(SKIP_1) | instid1(VALU_DEP_1)
	v_frexp_exp_i32_f64_e32 v21, v[21:22]
	v_frexp_mant_f32_e32 v22, v23
	v_cmp_gt_f32_e64 s3, 0x3f2aaaab, v22
	v_add_f32_e32 v22, -1.0, v23
	s_delay_alu instid0(VALU_DEP_1) | instskip(NEXT) | instid1(VALU_DEP_3)
	v_dual_sub_f32 v25, v22, v23 :: v_dual_sub_f32 v22, v5, v22
	v_subrev_co_ci_u32_e64 v21, s3, 0, v21, s3
	s_mov_b32 s3, 0x3e9b6dac
	s_delay_alu instid0(VALU_DEP_1) | instskip(SKIP_1) | instid1(VALU_DEP_2)
	v_sub_nc_u32_e32 v24, 0, v21
	v_cvt_f32_i32_e32 v21, v21
	v_ldexp_f32 v23, v23, v24
	s_delay_alu instid0(VALU_DEP_1) | instskip(NEXT) | instid1(VALU_DEP_1)
	v_dual_add_f32 v25, 1.0, v25 :: v_dual_add_f32 v26, 1.0, v23
	v_add_f32_e32 v22, v22, v25
	s_delay_alu instid0(VALU_DEP_1) | instskip(NEXT) | instid1(VALU_DEP_3)
	v_ldexp_f32 v22, v22, v24
	v_dual_add_f32 v24, -1.0, v23 :: v_dual_add_f32 v25, -1.0, v26
	s_delay_alu instid0(VALU_DEP_1) | instskip(NEXT) | instid1(VALU_DEP_2)
	v_add_f32_e32 v27, 1.0, v24
	v_sub_f32_e32 v25, v23, v25
	s_delay_alu instid0(VALU_DEP_2) | instskip(NEXT) | instid1(VALU_DEP_2)
	v_sub_f32_e32 v23, v23, v27
	v_add_f32_e32 v25, v22, v25
	s_delay_alu instid0(VALU_DEP_2) | instskip(NEXT) | instid1(VALU_DEP_1)
	v_add_f32_e32 v22, v22, v23
	v_dual_add_f32 v28, v24, v22 :: v_dual_add_f32 v27, v26, v25
	s_delay_alu instid0(VALU_DEP_1) | instskip(NEXT) | instid1(VALU_DEP_2)
	v_sub_f32_e32 v24, v24, v28
	v_rcp_f32_e32 v23, v27
	v_sub_f32_e32 v26, v26, v27
	s_delay_alu instid0(VALU_DEP_1) | instskip(SKIP_2) | instid1(VALU_DEP_1)
	v_dual_add_f32 v22, v22, v24 :: v_dual_add_f32 v25, v25, v26
	s_waitcnt_depctr 0xfff
	v_mul_f32_e32 v29, v28, v23
	v_mul_f32_e32 v30, v27, v29
	s_delay_alu instid0(VALU_DEP_1) | instskip(NEXT) | instid1(VALU_DEP_1)
	v_fma_f32 v26, v29, v27, -v30
	v_fmac_f32_e32 v26, v29, v25
	s_delay_alu instid0(VALU_DEP_1) | instskip(NEXT) | instid1(VALU_DEP_1)
	v_add_f32_e32 v31, v30, v26
	v_sub_f32_e32 v32, v28, v31
	v_sub_f32_e32 v24, v31, v30
	s_delay_alu instid0(VALU_DEP_2) | instskip(NEXT) | instid1(VALU_DEP_2)
	v_sub_f32_e32 v28, v28, v32
	v_sub_f32_e32 v24, v24, v26
	s_delay_alu instid0(VALU_DEP_2) | instskip(NEXT) | instid1(VALU_DEP_1)
	v_sub_f32_e32 v28, v28, v31
	v_add_f32_e32 v22, v22, v28
	s_delay_alu instid0(VALU_DEP_1) | instskip(NEXT) | instid1(VALU_DEP_1)
	v_add_f32_e32 v22, v24, v22
	v_add_f32_e32 v24, v32, v22
	s_delay_alu instid0(VALU_DEP_1) | instskip(NEXT) | instid1(VALU_DEP_1)
	v_mul_f32_e32 v26, v23, v24
	v_dual_sub_f32 v31, v32, v24 :: v_dual_mul_f32 v28, v27, v26
	s_delay_alu instid0(VALU_DEP_1) | instskip(NEXT) | instid1(VALU_DEP_2)
	v_add_f32_e32 v22, v22, v31
	v_fma_f32 v27, v26, v27, -v28
	s_delay_alu instid0(VALU_DEP_1) | instskip(NEXT) | instid1(VALU_DEP_1)
	v_fmac_f32_e32 v27, v26, v25
	v_add_f32_e32 v25, v28, v27
	s_delay_alu instid0(VALU_DEP_1) | instskip(NEXT) | instid1(VALU_DEP_1)
	v_sub_f32_e32 v30, v24, v25
	v_sub_f32_e32 v24, v24, v30
	s_delay_alu instid0(VALU_DEP_1) | instskip(NEXT) | instid1(VALU_DEP_1)
	v_sub_f32_e32 v24, v24, v25
	v_add_f32_e32 v22, v22, v24
	v_add_f32_e32 v24, v29, v26
	v_sub_f32_e32 v28, v25, v28
	s_delay_alu instid0(VALU_DEP_1) | instskip(NEXT) | instid1(VALU_DEP_1)
	v_sub_f32_e32 v25, v28, v27
	v_dual_add_f32 v22, v25, v22 :: v_dual_sub_f32 v25, v24, v29
	s_delay_alu instid0(VALU_DEP_1) | instskip(NEXT) | instid1(VALU_DEP_1)
	v_add_f32_e32 v22, v30, v22
	v_dual_sub_f32 v25, v26, v25 :: v_dual_mul_f32 v22, v23, v22
	s_delay_alu instid0(VALU_DEP_1) | instskip(NEXT) | instid1(VALU_DEP_1)
	v_add_f32_e32 v22, v25, v22
	v_add_f32_e32 v23, v24, v22
	s_delay_alu instid0(VALU_DEP_1) | instskip(NEXT) | instid1(VALU_DEP_1)
	v_mul_f32_e32 v25, v23, v23
	v_fmaak_f32 v26, s3, v25, 0x3ecc95a3
	v_mul_f32_e32 v27, v23, v25
	v_cmp_eq_f32_e64 s3, 0x7f800000, v5
	s_delay_alu instid0(VALU_DEP_3) | instskip(SKIP_2) | instid1(VALU_DEP_4)
	v_fmaak_f32 v25, v25, v26, 0x3f2aaada
	v_ldexp_f32 v26, v23, 1
	v_sub_f32_e32 v23, v23, v24
	s_or_b32 s3, s3, s7
	s_delay_alu instid0(VALU_DEP_3) | instskip(NEXT) | instid1(VALU_DEP_2)
	v_mul_f32_e32 v25, v27, v25
	v_dual_mul_f32 v27, 0x3f317218, v21 :: v_dual_sub_f32 v22, v22, v23
	s_delay_alu instid0(VALU_DEP_2) | instskip(NEXT) | instid1(VALU_DEP_2)
	v_add_f32_e32 v24, v26, v25
	v_ldexp_f32 v22, v22, 1
	s_delay_alu instid0(VALU_DEP_2) | instskip(NEXT) | instid1(VALU_DEP_4)
	v_sub_f32_e32 v23, v24, v26
	v_fma_f32 v26, 0x3f317218, v21, -v27
	s_delay_alu instid0(VALU_DEP_2) | instskip(NEXT) | instid1(VALU_DEP_1)
	v_sub_f32_e32 v23, v25, v23
	v_dual_fmamk_f32 v21, v21, 0xb102e308, v26 :: v_dual_add_f32 v22, v22, v23
	s_delay_alu instid0(VALU_DEP_1) | instskip(NEXT) | instid1(VALU_DEP_1)
	v_add_f32_e32 v23, v27, v21
	v_sub_f32_e32 v27, v23, v27
	s_delay_alu instid0(VALU_DEP_1) | instskip(NEXT) | instid1(VALU_DEP_4)
	v_sub_f32_e32 v21, v21, v27
	v_add_f32_e32 v25, v24, v22
	s_delay_alu instid0(VALU_DEP_1) | instskip(NEXT) | instid1(VALU_DEP_1)
	v_sub_f32_e32 v24, v25, v24
	v_sub_f32_e32 v22, v22, v24
	v_add_f32_e32 v26, v23, v25
	s_delay_alu instid0(VALU_DEP_1) | instskip(NEXT) | instid1(VALU_DEP_1)
	v_sub_f32_e32 v28, v26, v23
	v_sub_f32_e32 v24, v25, v28
	s_delay_alu instid0(VALU_DEP_4) | instskip(SKIP_1) | instid1(VALU_DEP_1)
	v_add_f32_e32 v25, v21, v22
	v_sub_f32_e32 v29, v26, v28
	v_sub_f32_e32 v23, v23, v29
	s_delay_alu instid0(VALU_DEP_1) | instskip(NEXT) | instid1(VALU_DEP_1)
	v_dual_add_f32 v23, v24, v23 :: v_dual_sub_f32 v24, v25, v21
	v_dual_add_f32 v23, v25, v23 :: v_dual_sub_f32 v22, v22, v24
	v_sub_f32_e32 v25, v25, v24
	s_delay_alu instid0(VALU_DEP_2) | instskip(NEXT) | instid1(VALU_DEP_1)
	v_add_f32_e32 v27, v26, v23
	v_dual_sub_f32 v21, v21, v25 :: v_dual_sub_f32 v24, v27, v26
	s_delay_alu instid0(VALU_DEP_1) | instskip(NEXT) | instid1(VALU_DEP_1)
	v_dual_add_f32 v21, v22, v21 :: v_dual_sub_f32 v22, v23, v24
	v_add_f32_e32 v21, v21, v22
	s_delay_alu instid0(VALU_DEP_1) | instskip(NEXT) | instid1(VALU_DEP_1)
	v_add_f32_e32 v21, v27, v21
	v_cndmask_b32_e64 v5, v21, v5, s3
	s_delay_alu instid0(VALU_DEP_1)
	v_add_f32_e32 v5, v6, v5
.LBB126_204:
	s_or_b32 exec_lo, exec_lo, s6
	ds_load_b32 v6, v20 offset:8
	v_max_f32_e32 v21, v5, v5
	v_cmp_u_f32_e64 s3, v5, v5
	ds_store_b32 v20, v5 offset:4
	s_waitcnt lgkmcnt(1)
	v_max_f32_e32 v22, v6, v6
	s_delay_alu instid0(VALU_DEP_1) | instskip(SKIP_1) | instid1(VALU_DEP_2)
	v_min_f32_e32 v23, v21, v22
	v_max_f32_e32 v21, v21, v22
	v_cndmask_b32_e64 v22, v23, v5, s3
	s_delay_alu instid0(VALU_DEP_2) | instskip(SKIP_1) | instid1(VALU_DEP_1)
	v_cndmask_b32_e64 v23, v21, v5, s3
	v_cmp_u_f32_e64 s3, v6, v6
	v_cndmask_b32_e64 v21, v22, v6, s3
	s_delay_alu instid0(VALU_DEP_3) | instskip(NEXT) | instid1(VALU_DEP_2)
	v_cndmask_b32_e64 v6, v23, v6, s3
	v_cmp_class_f32_e64 s6, v21, 0x1f8
	s_delay_alu instid0(VALU_DEP_2) | instskip(NEXT) | instid1(VALU_DEP_1)
	v_cmp_neq_f32_e64 s3, v21, v6
	s_or_b32 s3, s3, s6
	s_delay_alu instid0(SALU_CYCLE_1)
	s_and_saveexec_b32 s6, s3
	s_cbranch_execz .LBB126_206
; %bb.205:
	v_sub_f32_e32 v5, v21, v6
	s_delay_alu instid0(VALU_DEP_1) | instskip(SKIP_1) | instid1(VALU_DEP_2)
	v_mul_f32_e32 v21, 0x3fb8aa3b, v5
	v_cmp_ngt_f32_e64 s3, 0xc2ce8ed0, v5
	v_fma_f32 v22, 0x3fb8aa3b, v5, -v21
	v_rndne_f32_e32 v23, v21
	s_delay_alu instid0(VALU_DEP_2) | instskip(NEXT) | instid1(VALU_DEP_2)
	v_fmamk_f32 v22, v5, 0x32a5705f, v22
	v_sub_f32_e32 v21, v21, v23
	s_delay_alu instid0(VALU_DEP_1) | instskip(SKIP_1) | instid1(VALU_DEP_2)
	v_add_f32_e32 v21, v21, v22
	v_cvt_i32_f32_e32 v22, v23
	v_exp_f32_e32 v21, v21
	s_waitcnt_depctr 0xfff
	v_ldexp_f32 v21, v21, v22
	s_delay_alu instid0(VALU_DEP_1) | instskip(SKIP_1) | instid1(VALU_DEP_1)
	v_cndmask_b32_e64 v21, 0, v21, s3
	v_cmp_nlt_f32_e64 s3, 0x42b17218, v5
	v_cndmask_b32_e64 v5, 0x7f800000, v21, s3
	s_delay_alu instid0(VALU_DEP_1) | instskip(SKIP_1) | instid1(VALU_DEP_2)
	v_add_f32_e32 v23, 1.0, v5
	v_cmp_gt_f32_e64 s7, 0x33800000, |v5|
	v_cvt_f64_f32_e32 v[21:22], v23
	s_delay_alu instid0(VALU_DEP_1) | instskip(SKIP_1) | instid1(VALU_DEP_1)
	v_frexp_exp_i32_f64_e32 v21, v[21:22]
	v_frexp_mant_f32_e32 v22, v23
	v_cmp_gt_f32_e64 s3, 0x3f2aaaab, v22
	v_add_f32_e32 v22, -1.0, v23
	s_delay_alu instid0(VALU_DEP_1) | instskip(NEXT) | instid1(VALU_DEP_3)
	v_dual_sub_f32 v25, v22, v23 :: v_dual_sub_f32 v22, v5, v22
	v_subrev_co_ci_u32_e64 v21, s3, 0, v21, s3
	s_mov_b32 s3, 0x3e9b6dac
	s_delay_alu instid0(VALU_DEP_1) | instskip(SKIP_1) | instid1(VALU_DEP_2)
	v_sub_nc_u32_e32 v24, 0, v21
	v_cvt_f32_i32_e32 v21, v21
	v_ldexp_f32 v23, v23, v24
	s_delay_alu instid0(VALU_DEP_1) | instskip(NEXT) | instid1(VALU_DEP_1)
	v_dual_add_f32 v25, 1.0, v25 :: v_dual_add_f32 v26, 1.0, v23
	v_add_f32_e32 v22, v22, v25
	s_delay_alu instid0(VALU_DEP_1) | instskip(NEXT) | instid1(VALU_DEP_3)
	v_ldexp_f32 v22, v22, v24
	v_dual_add_f32 v24, -1.0, v23 :: v_dual_add_f32 v25, -1.0, v26
	s_delay_alu instid0(VALU_DEP_1) | instskip(NEXT) | instid1(VALU_DEP_2)
	v_add_f32_e32 v27, 1.0, v24
	v_sub_f32_e32 v25, v23, v25
	s_delay_alu instid0(VALU_DEP_2) | instskip(NEXT) | instid1(VALU_DEP_2)
	v_sub_f32_e32 v23, v23, v27
	v_add_f32_e32 v25, v22, v25
	s_delay_alu instid0(VALU_DEP_2) | instskip(NEXT) | instid1(VALU_DEP_1)
	v_add_f32_e32 v22, v22, v23
	v_dual_add_f32 v28, v24, v22 :: v_dual_add_f32 v27, v26, v25
	s_delay_alu instid0(VALU_DEP_1) | instskip(NEXT) | instid1(VALU_DEP_2)
	v_sub_f32_e32 v24, v24, v28
	v_rcp_f32_e32 v23, v27
	v_sub_f32_e32 v26, v26, v27
	s_delay_alu instid0(VALU_DEP_1) | instskip(SKIP_2) | instid1(VALU_DEP_1)
	v_dual_add_f32 v22, v22, v24 :: v_dual_add_f32 v25, v25, v26
	s_waitcnt_depctr 0xfff
	v_mul_f32_e32 v29, v28, v23
	v_mul_f32_e32 v30, v27, v29
	s_delay_alu instid0(VALU_DEP_1) | instskip(NEXT) | instid1(VALU_DEP_1)
	v_fma_f32 v26, v29, v27, -v30
	v_fmac_f32_e32 v26, v29, v25
	s_delay_alu instid0(VALU_DEP_1) | instskip(NEXT) | instid1(VALU_DEP_1)
	v_add_f32_e32 v31, v30, v26
	v_sub_f32_e32 v32, v28, v31
	v_sub_f32_e32 v24, v31, v30
	s_delay_alu instid0(VALU_DEP_2) | instskip(NEXT) | instid1(VALU_DEP_2)
	v_sub_f32_e32 v28, v28, v32
	v_sub_f32_e32 v24, v24, v26
	s_delay_alu instid0(VALU_DEP_2) | instskip(NEXT) | instid1(VALU_DEP_1)
	v_sub_f32_e32 v28, v28, v31
	v_add_f32_e32 v22, v22, v28
	s_delay_alu instid0(VALU_DEP_1) | instskip(NEXT) | instid1(VALU_DEP_1)
	v_add_f32_e32 v22, v24, v22
	v_add_f32_e32 v24, v32, v22
	s_delay_alu instid0(VALU_DEP_1) | instskip(NEXT) | instid1(VALU_DEP_1)
	v_mul_f32_e32 v26, v23, v24
	v_dual_sub_f32 v31, v32, v24 :: v_dual_mul_f32 v28, v27, v26
	s_delay_alu instid0(VALU_DEP_1) | instskip(NEXT) | instid1(VALU_DEP_2)
	v_add_f32_e32 v22, v22, v31
	v_fma_f32 v27, v26, v27, -v28
	s_delay_alu instid0(VALU_DEP_1) | instskip(NEXT) | instid1(VALU_DEP_1)
	v_fmac_f32_e32 v27, v26, v25
	v_add_f32_e32 v25, v28, v27
	s_delay_alu instid0(VALU_DEP_1) | instskip(NEXT) | instid1(VALU_DEP_1)
	v_sub_f32_e32 v30, v24, v25
	v_sub_f32_e32 v24, v24, v30
	s_delay_alu instid0(VALU_DEP_1) | instskip(NEXT) | instid1(VALU_DEP_1)
	v_sub_f32_e32 v24, v24, v25
	v_add_f32_e32 v22, v22, v24
	v_add_f32_e32 v24, v29, v26
	v_sub_f32_e32 v28, v25, v28
	s_delay_alu instid0(VALU_DEP_1) | instskip(NEXT) | instid1(VALU_DEP_1)
	v_sub_f32_e32 v25, v28, v27
	v_dual_add_f32 v22, v25, v22 :: v_dual_sub_f32 v25, v24, v29
	s_delay_alu instid0(VALU_DEP_1) | instskip(NEXT) | instid1(VALU_DEP_1)
	v_add_f32_e32 v22, v30, v22
	v_dual_sub_f32 v25, v26, v25 :: v_dual_mul_f32 v22, v23, v22
	s_delay_alu instid0(VALU_DEP_1) | instskip(NEXT) | instid1(VALU_DEP_1)
	v_add_f32_e32 v22, v25, v22
	v_add_f32_e32 v23, v24, v22
	s_delay_alu instid0(VALU_DEP_1) | instskip(NEXT) | instid1(VALU_DEP_1)
	v_mul_f32_e32 v25, v23, v23
	v_fmaak_f32 v26, s3, v25, 0x3ecc95a3
	v_mul_f32_e32 v27, v23, v25
	v_cmp_eq_f32_e64 s3, 0x7f800000, v5
	s_delay_alu instid0(VALU_DEP_3) | instskip(SKIP_2) | instid1(VALU_DEP_4)
	v_fmaak_f32 v25, v25, v26, 0x3f2aaada
	v_ldexp_f32 v26, v23, 1
	v_sub_f32_e32 v23, v23, v24
	s_or_b32 s3, s3, s7
	s_delay_alu instid0(VALU_DEP_3) | instskip(NEXT) | instid1(VALU_DEP_2)
	v_mul_f32_e32 v25, v27, v25
	v_dual_mul_f32 v27, 0x3f317218, v21 :: v_dual_sub_f32 v22, v22, v23
	s_delay_alu instid0(VALU_DEP_2) | instskip(NEXT) | instid1(VALU_DEP_2)
	v_add_f32_e32 v24, v26, v25
	v_ldexp_f32 v22, v22, 1
	s_delay_alu instid0(VALU_DEP_2) | instskip(NEXT) | instid1(VALU_DEP_4)
	v_sub_f32_e32 v23, v24, v26
	v_fma_f32 v26, 0x3f317218, v21, -v27
	s_delay_alu instid0(VALU_DEP_2) | instskip(NEXT) | instid1(VALU_DEP_1)
	v_sub_f32_e32 v23, v25, v23
	v_dual_fmamk_f32 v21, v21, 0xb102e308, v26 :: v_dual_add_f32 v22, v22, v23
	s_delay_alu instid0(VALU_DEP_1) | instskip(NEXT) | instid1(VALU_DEP_1)
	v_add_f32_e32 v23, v27, v21
	v_sub_f32_e32 v27, v23, v27
	s_delay_alu instid0(VALU_DEP_1) | instskip(NEXT) | instid1(VALU_DEP_4)
	v_sub_f32_e32 v21, v21, v27
	v_add_f32_e32 v25, v24, v22
	s_delay_alu instid0(VALU_DEP_1) | instskip(NEXT) | instid1(VALU_DEP_1)
	v_sub_f32_e32 v24, v25, v24
	v_sub_f32_e32 v22, v22, v24
	v_add_f32_e32 v26, v23, v25
	s_delay_alu instid0(VALU_DEP_1) | instskip(NEXT) | instid1(VALU_DEP_1)
	v_sub_f32_e32 v28, v26, v23
	v_sub_f32_e32 v24, v25, v28
	s_delay_alu instid0(VALU_DEP_4) | instskip(SKIP_1) | instid1(VALU_DEP_1)
	v_add_f32_e32 v25, v21, v22
	v_sub_f32_e32 v29, v26, v28
	v_sub_f32_e32 v23, v23, v29
	s_delay_alu instid0(VALU_DEP_1) | instskip(NEXT) | instid1(VALU_DEP_1)
	v_dual_add_f32 v23, v24, v23 :: v_dual_sub_f32 v24, v25, v21
	v_dual_add_f32 v23, v25, v23 :: v_dual_sub_f32 v22, v22, v24
	v_sub_f32_e32 v25, v25, v24
	s_delay_alu instid0(VALU_DEP_2) | instskip(NEXT) | instid1(VALU_DEP_1)
	v_add_f32_e32 v27, v26, v23
	v_dual_sub_f32 v21, v21, v25 :: v_dual_sub_f32 v24, v27, v26
	s_delay_alu instid0(VALU_DEP_1) | instskip(NEXT) | instid1(VALU_DEP_1)
	v_dual_add_f32 v21, v22, v21 :: v_dual_sub_f32 v22, v23, v24
	v_add_f32_e32 v21, v21, v22
	s_delay_alu instid0(VALU_DEP_1) | instskip(NEXT) | instid1(VALU_DEP_1)
	v_add_f32_e32 v21, v27, v21
	v_cndmask_b32_e64 v5, v21, v5, s3
	s_delay_alu instid0(VALU_DEP_1)
	v_add_f32_e32 v5, v6, v5
.LBB126_206:
	s_or_b32 exec_lo, exec_lo, s6
	ds_load_b32 v6, v20 offset:12
	v_max_f32_e32 v21, v5, v5
	v_cmp_u_f32_e64 s3, v5, v5
	ds_store_b32 v20, v5 offset:8
	s_waitcnt lgkmcnt(1)
	v_max_f32_e32 v22, v6, v6
	s_delay_alu instid0(VALU_DEP_1) | instskip(SKIP_1) | instid1(VALU_DEP_2)
	v_min_f32_e32 v23, v21, v22
	v_max_f32_e32 v21, v21, v22
	v_cndmask_b32_e64 v22, v23, v5, s3
	s_delay_alu instid0(VALU_DEP_2) | instskip(SKIP_1) | instid1(VALU_DEP_1)
	v_cndmask_b32_e64 v23, v21, v5, s3
	v_cmp_u_f32_e64 s3, v6, v6
	v_cndmask_b32_e64 v21, v22, v6, s3
	s_delay_alu instid0(VALU_DEP_3) | instskip(NEXT) | instid1(VALU_DEP_2)
	v_cndmask_b32_e64 v6, v23, v6, s3
	v_cmp_class_f32_e64 s6, v21, 0x1f8
	s_delay_alu instid0(VALU_DEP_2) | instskip(NEXT) | instid1(VALU_DEP_1)
	v_cmp_neq_f32_e64 s3, v21, v6
	s_or_b32 s3, s3, s6
	s_delay_alu instid0(SALU_CYCLE_1)
	s_and_saveexec_b32 s6, s3
	s_cbranch_execz .LBB126_208
; %bb.207:
	v_sub_f32_e32 v5, v21, v6
	s_delay_alu instid0(VALU_DEP_1) | instskip(SKIP_1) | instid1(VALU_DEP_2)
	v_mul_f32_e32 v21, 0x3fb8aa3b, v5
	v_cmp_ngt_f32_e64 s3, 0xc2ce8ed0, v5
	v_fma_f32 v22, 0x3fb8aa3b, v5, -v21
	v_rndne_f32_e32 v23, v21
	s_delay_alu instid0(VALU_DEP_2) | instskip(NEXT) | instid1(VALU_DEP_2)
	v_fmamk_f32 v22, v5, 0x32a5705f, v22
	v_sub_f32_e32 v21, v21, v23
	s_delay_alu instid0(VALU_DEP_1) | instskip(SKIP_1) | instid1(VALU_DEP_2)
	v_add_f32_e32 v21, v21, v22
	v_cvt_i32_f32_e32 v22, v23
	v_exp_f32_e32 v21, v21
	s_waitcnt_depctr 0xfff
	v_ldexp_f32 v21, v21, v22
	s_delay_alu instid0(VALU_DEP_1) | instskip(SKIP_1) | instid1(VALU_DEP_1)
	v_cndmask_b32_e64 v21, 0, v21, s3
	v_cmp_nlt_f32_e64 s3, 0x42b17218, v5
	v_cndmask_b32_e64 v5, 0x7f800000, v21, s3
	s_delay_alu instid0(VALU_DEP_1) | instskip(SKIP_1) | instid1(VALU_DEP_2)
	v_add_f32_e32 v23, 1.0, v5
	v_cmp_gt_f32_e64 s7, 0x33800000, |v5|
	v_cvt_f64_f32_e32 v[21:22], v23
	s_delay_alu instid0(VALU_DEP_1) | instskip(SKIP_1) | instid1(VALU_DEP_1)
	v_frexp_exp_i32_f64_e32 v21, v[21:22]
	v_frexp_mant_f32_e32 v22, v23
	v_cmp_gt_f32_e64 s3, 0x3f2aaaab, v22
	v_add_f32_e32 v22, -1.0, v23
	s_delay_alu instid0(VALU_DEP_1) | instskip(NEXT) | instid1(VALU_DEP_3)
	v_dual_sub_f32 v25, v22, v23 :: v_dual_sub_f32 v22, v5, v22
	v_subrev_co_ci_u32_e64 v21, s3, 0, v21, s3
	s_mov_b32 s3, 0x3e9b6dac
	s_delay_alu instid0(VALU_DEP_1) | instskip(SKIP_1) | instid1(VALU_DEP_2)
	v_sub_nc_u32_e32 v24, 0, v21
	v_cvt_f32_i32_e32 v21, v21
	v_ldexp_f32 v23, v23, v24
	s_delay_alu instid0(VALU_DEP_1) | instskip(NEXT) | instid1(VALU_DEP_1)
	v_dual_add_f32 v25, 1.0, v25 :: v_dual_add_f32 v26, 1.0, v23
	v_add_f32_e32 v22, v22, v25
	s_delay_alu instid0(VALU_DEP_1) | instskip(NEXT) | instid1(VALU_DEP_3)
	v_ldexp_f32 v22, v22, v24
	v_dual_add_f32 v24, -1.0, v23 :: v_dual_add_f32 v25, -1.0, v26
	s_delay_alu instid0(VALU_DEP_1) | instskip(NEXT) | instid1(VALU_DEP_2)
	v_add_f32_e32 v27, 1.0, v24
	v_sub_f32_e32 v25, v23, v25
	s_delay_alu instid0(VALU_DEP_2) | instskip(NEXT) | instid1(VALU_DEP_2)
	v_sub_f32_e32 v23, v23, v27
	v_add_f32_e32 v25, v22, v25
	s_delay_alu instid0(VALU_DEP_2) | instskip(NEXT) | instid1(VALU_DEP_1)
	v_add_f32_e32 v22, v22, v23
	v_dual_add_f32 v28, v24, v22 :: v_dual_add_f32 v27, v26, v25
	s_delay_alu instid0(VALU_DEP_1) | instskip(NEXT) | instid1(VALU_DEP_2)
	v_sub_f32_e32 v24, v24, v28
	v_rcp_f32_e32 v23, v27
	v_sub_f32_e32 v26, v26, v27
	s_delay_alu instid0(VALU_DEP_1) | instskip(SKIP_2) | instid1(VALU_DEP_1)
	v_dual_add_f32 v22, v22, v24 :: v_dual_add_f32 v25, v25, v26
	s_waitcnt_depctr 0xfff
	v_mul_f32_e32 v29, v28, v23
	v_mul_f32_e32 v30, v27, v29
	s_delay_alu instid0(VALU_DEP_1) | instskip(NEXT) | instid1(VALU_DEP_1)
	v_fma_f32 v26, v29, v27, -v30
	v_fmac_f32_e32 v26, v29, v25
	s_delay_alu instid0(VALU_DEP_1) | instskip(NEXT) | instid1(VALU_DEP_1)
	v_add_f32_e32 v31, v30, v26
	v_sub_f32_e32 v32, v28, v31
	v_sub_f32_e32 v24, v31, v30
	s_delay_alu instid0(VALU_DEP_2) | instskip(NEXT) | instid1(VALU_DEP_2)
	v_sub_f32_e32 v28, v28, v32
	v_sub_f32_e32 v24, v24, v26
	s_delay_alu instid0(VALU_DEP_2) | instskip(NEXT) | instid1(VALU_DEP_1)
	v_sub_f32_e32 v28, v28, v31
	v_add_f32_e32 v22, v22, v28
	s_delay_alu instid0(VALU_DEP_1) | instskip(NEXT) | instid1(VALU_DEP_1)
	v_add_f32_e32 v22, v24, v22
	v_add_f32_e32 v24, v32, v22
	s_delay_alu instid0(VALU_DEP_1) | instskip(NEXT) | instid1(VALU_DEP_1)
	v_mul_f32_e32 v26, v23, v24
	v_dual_sub_f32 v31, v32, v24 :: v_dual_mul_f32 v28, v27, v26
	s_delay_alu instid0(VALU_DEP_1) | instskip(NEXT) | instid1(VALU_DEP_2)
	v_add_f32_e32 v22, v22, v31
	v_fma_f32 v27, v26, v27, -v28
	s_delay_alu instid0(VALU_DEP_1) | instskip(NEXT) | instid1(VALU_DEP_1)
	v_fmac_f32_e32 v27, v26, v25
	v_add_f32_e32 v25, v28, v27
	s_delay_alu instid0(VALU_DEP_1) | instskip(NEXT) | instid1(VALU_DEP_1)
	v_sub_f32_e32 v30, v24, v25
	v_sub_f32_e32 v24, v24, v30
	s_delay_alu instid0(VALU_DEP_1) | instskip(NEXT) | instid1(VALU_DEP_1)
	v_sub_f32_e32 v24, v24, v25
	v_add_f32_e32 v22, v22, v24
	v_add_f32_e32 v24, v29, v26
	v_sub_f32_e32 v28, v25, v28
	s_delay_alu instid0(VALU_DEP_1) | instskip(NEXT) | instid1(VALU_DEP_1)
	v_sub_f32_e32 v25, v28, v27
	v_dual_add_f32 v22, v25, v22 :: v_dual_sub_f32 v25, v24, v29
	s_delay_alu instid0(VALU_DEP_1) | instskip(NEXT) | instid1(VALU_DEP_1)
	v_add_f32_e32 v22, v30, v22
	v_dual_sub_f32 v25, v26, v25 :: v_dual_mul_f32 v22, v23, v22
	s_delay_alu instid0(VALU_DEP_1) | instskip(NEXT) | instid1(VALU_DEP_1)
	v_add_f32_e32 v22, v25, v22
	v_add_f32_e32 v23, v24, v22
	s_delay_alu instid0(VALU_DEP_1) | instskip(NEXT) | instid1(VALU_DEP_1)
	v_mul_f32_e32 v25, v23, v23
	v_fmaak_f32 v26, s3, v25, 0x3ecc95a3
	v_mul_f32_e32 v27, v23, v25
	v_cmp_eq_f32_e64 s3, 0x7f800000, v5
	s_delay_alu instid0(VALU_DEP_3) | instskip(SKIP_2) | instid1(VALU_DEP_4)
	v_fmaak_f32 v25, v25, v26, 0x3f2aaada
	v_ldexp_f32 v26, v23, 1
	v_sub_f32_e32 v23, v23, v24
	s_or_b32 s3, s3, s7
	s_delay_alu instid0(VALU_DEP_3) | instskip(NEXT) | instid1(VALU_DEP_2)
	v_mul_f32_e32 v25, v27, v25
	v_dual_mul_f32 v27, 0x3f317218, v21 :: v_dual_sub_f32 v22, v22, v23
	s_delay_alu instid0(VALU_DEP_2) | instskip(NEXT) | instid1(VALU_DEP_2)
	v_add_f32_e32 v24, v26, v25
	v_ldexp_f32 v22, v22, 1
	s_delay_alu instid0(VALU_DEP_2) | instskip(NEXT) | instid1(VALU_DEP_4)
	v_sub_f32_e32 v23, v24, v26
	v_fma_f32 v26, 0x3f317218, v21, -v27
	s_delay_alu instid0(VALU_DEP_2) | instskip(NEXT) | instid1(VALU_DEP_1)
	v_sub_f32_e32 v23, v25, v23
	v_dual_fmamk_f32 v21, v21, 0xb102e308, v26 :: v_dual_add_f32 v22, v22, v23
	s_delay_alu instid0(VALU_DEP_1) | instskip(NEXT) | instid1(VALU_DEP_1)
	v_add_f32_e32 v23, v27, v21
	v_sub_f32_e32 v27, v23, v27
	s_delay_alu instid0(VALU_DEP_1) | instskip(NEXT) | instid1(VALU_DEP_4)
	v_sub_f32_e32 v21, v21, v27
	v_add_f32_e32 v25, v24, v22
	s_delay_alu instid0(VALU_DEP_1) | instskip(NEXT) | instid1(VALU_DEP_1)
	v_sub_f32_e32 v24, v25, v24
	v_sub_f32_e32 v22, v22, v24
	v_add_f32_e32 v26, v23, v25
	s_delay_alu instid0(VALU_DEP_1) | instskip(NEXT) | instid1(VALU_DEP_1)
	v_sub_f32_e32 v28, v26, v23
	v_sub_f32_e32 v24, v25, v28
	s_delay_alu instid0(VALU_DEP_4) | instskip(SKIP_1) | instid1(VALU_DEP_1)
	v_add_f32_e32 v25, v21, v22
	v_sub_f32_e32 v29, v26, v28
	v_sub_f32_e32 v23, v23, v29
	s_delay_alu instid0(VALU_DEP_1) | instskip(NEXT) | instid1(VALU_DEP_1)
	v_dual_add_f32 v23, v24, v23 :: v_dual_sub_f32 v24, v25, v21
	v_dual_add_f32 v23, v25, v23 :: v_dual_sub_f32 v22, v22, v24
	v_sub_f32_e32 v25, v25, v24
	s_delay_alu instid0(VALU_DEP_2) | instskip(NEXT) | instid1(VALU_DEP_1)
	v_add_f32_e32 v27, v26, v23
	v_dual_sub_f32 v21, v21, v25 :: v_dual_sub_f32 v24, v27, v26
	s_delay_alu instid0(VALU_DEP_1) | instskip(NEXT) | instid1(VALU_DEP_1)
	v_dual_add_f32 v21, v22, v21 :: v_dual_sub_f32 v22, v23, v24
	v_add_f32_e32 v21, v21, v22
	s_delay_alu instid0(VALU_DEP_1) | instskip(NEXT) | instid1(VALU_DEP_1)
	v_add_f32_e32 v21, v27, v21
	v_cndmask_b32_e64 v5, v21, v5, s3
	s_delay_alu instid0(VALU_DEP_1)
	v_add_f32_e32 v5, v6, v5
.LBB126_208:
	s_or_b32 exec_lo, exec_lo, s6
	ds_load_b32 v6, v20 offset:16
	v_max_f32_e32 v21, v5, v5
	v_cmp_u_f32_e64 s3, v5, v5
	ds_store_b32 v20, v5 offset:12
	s_waitcnt lgkmcnt(1)
	v_max_f32_e32 v22, v6, v6
	s_delay_alu instid0(VALU_DEP_1) | instskip(SKIP_1) | instid1(VALU_DEP_2)
	v_min_f32_e32 v23, v21, v22
	v_max_f32_e32 v21, v21, v22
	v_cndmask_b32_e64 v22, v23, v5, s3
	s_delay_alu instid0(VALU_DEP_2) | instskip(SKIP_1) | instid1(VALU_DEP_1)
	v_cndmask_b32_e64 v23, v21, v5, s3
	v_cmp_u_f32_e64 s3, v6, v6
	v_cndmask_b32_e64 v21, v22, v6, s3
	s_delay_alu instid0(VALU_DEP_3) | instskip(NEXT) | instid1(VALU_DEP_2)
	v_cndmask_b32_e64 v6, v23, v6, s3
	v_cmp_class_f32_e64 s6, v21, 0x1f8
	s_delay_alu instid0(VALU_DEP_2) | instskip(NEXT) | instid1(VALU_DEP_1)
	v_cmp_neq_f32_e64 s3, v21, v6
	s_or_b32 s3, s3, s6
	s_delay_alu instid0(SALU_CYCLE_1)
	s_and_saveexec_b32 s6, s3
	s_cbranch_execz .LBB126_210
; %bb.209:
	v_sub_f32_e32 v5, v21, v6
	s_delay_alu instid0(VALU_DEP_1) | instskip(SKIP_1) | instid1(VALU_DEP_2)
	v_mul_f32_e32 v21, 0x3fb8aa3b, v5
	v_cmp_ngt_f32_e64 s3, 0xc2ce8ed0, v5
	v_fma_f32 v22, 0x3fb8aa3b, v5, -v21
	v_rndne_f32_e32 v23, v21
	s_delay_alu instid0(VALU_DEP_2) | instskip(NEXT) | instid1(VALU_DEP_2)
	v_fmamk_f32 v22, v5, 0x32a5705f, v22
	v_sub_f32_e32 v21, v21, v23
	s_delay_alu instid0(VALU_DEP_1) | instskip(SKIP_1) | instid1(VALU_DEP_2)
	v_add_f32_e32 v21, v21, v22
	v_cvt_i32_f32_e32 v22, v23
	v_exp_f32_e32 v21, v21
	s_waitcnt_depctr 0xfff
	v_ldexp_f32 v21, v21, v22
	s_delay_alu instid0(VALU_DEP_1) | instskip(SKIP_1) | instid1(VALU_DEP_1)
	v_cndmask_b32_e64 v21, 0, v21, s3
	v_cmp_nlt_f32_e64 s3, 0x42b17218, v5
	v_cndmask_b32_e64 v5, 0x7f800000, v21, s3
	s_delay_alu instid0(VALU_DEP_1) | instskip(SKIP_1) | instid1(VALU_DEP_2)
	v_add_f32_e32 v23, 1.0, v5
	v_cmp_gt_f32_e64 s7, 0x33800000, |v5|
	v_cvt_f64_f32_e32 v[21:22], v23
	s_delay_alu instid0(VALU_DEP_1) | instskip(SKIP_1) | instid1(VALU_DEP_1)
	v_frexp_exp_i32_f64_e32 v21, v[21:22]
	v_frexp_mant_f32_e32 v22, v23
	v_cmp_gt_f32_e64 s3, 0x3f2aaaab, v22
	v_add_f32_e32 v22, -1.0, v23
	s_delay_alu instid0(VALU_DEP_1) | instskip(NEXT) | instid1(VALU_DEP_3)
	v_dual_sub_f32 v25, v22, v23 :: v_dual_sub_f32 v22, v5, v22
	v_subrev_co_ci_u32_e64 v21, s3, 0, v21, s3
	s_mov_b32 s3, 0x3e9b6dac
	s_delay_alu instid0(VALU_DEP_1) | instskip(SKIP_1) | instid1(VALU_DEP_2)
	v_sub_nc_u32_e32 v24, 0, v21
	v_cvt_f32_i32_e32 v21, v21
	v_ldexp_f32 v23, v23, v24
	s_delay_alu instid0(VALU_DEP_1) | instskip(NEXT) | instid1(VALU_DEP_1)
	v_dual_add_f32 v25, 1.0, v25 :: v_dual_add_f32 v26, 1.0, v23
	v_add_f32_e32 v22, v22, v25
	s_delay_alu instid0(VALU_DEP_1) | instskip(NEXT) | instid1(VALU_DEP_3)
	v_ldexp_f32 v22, v22, v24
	v_dual_add_f32 v24, -1.0, v23 :: v_dual_add_f32 v25, -1.0, v26
	s_delay_alu instid0(VALU_DEP_1) | instskip(NEXT) | instid1(VALU_DEP_2)
	v_add_f32_e32 v27, 1.0, v24
	v_sub_f32_e32 v25, v23, v25
	s_delay_alu instid0(VALU_DEP_2) | instskip(NEXT) | instid1(VALU_DEP_2)
	v_sub_f32_e32 v23, v23, v27
	v_add_f32_e32 v25, v22, v25
	s_delay_alu instid0(VALU_DEP_2) | instskip(NEXT) | instid1(VALU_DEP_1)
	v_add_f32_e32 v22, v22, v23
	v_dual_add_f32 v28, v24, v22 :: v_dual_add_f32 v27, v26, v25
	s_delay_alu instid0(VALU_DEP_1) | instskip(NEXT) | instid1(VALU_DEP_2)
	v_sub_f32_e32 v24, v24, v28
	v_rcp_f32_e32 v23, v27
	v_sub_f32_e32 v26, v26, v27
	s_delay_alu instid0(VALU_DEP_1) | instskip(SKIP_2) | instid1(VALU_DEP_1)
	v_dual_add_f32 v22, v22, v24 :: v_dual_add_f32 v25, v25, v26
	s_waitcnt_depctr 0xfff
	v_mul_f32_e32 v29, v28, v23
	v_mul_f32_e32 v30, v27, v29
	s_delay_alu instid0(VALU_DEP_1) | instskip(NEXT) | instid1(VALU_DEP_1)
	v_fma_f32 v26, v29, v27, -v30
	v_fmac_f32_e32 v26, v29, v25
	s_delay_alu instid0(VALU_DEP_1) | instskip(NEXT) | instid1(VALU_DEP_1)
	v_add_f32_e32 v31, v30, v26
	v_sub_f32_e32 v32, v28, v31
	v_sub_f32_e32 v24, v31, v30
	s_delay_alu instid0(VALU_DEP_2) | instskip(NEXT) | instid1(VALU_DEP_2)
	v_sub_f32_e32 v28, v28, v32
	v_sub_f32_e32 v24, v24, v26
	s_delay_alu instid0(VALU_DEP_2) | instskip(NEXT) | instid1(VALU_DEP_1)
	v_sub_f32_e32 v28, v28, v31
	v_add_f32_e32 v22, v22, v28
	s_delay_alu instid0(VALU_DEP_1) | instskip(NEXT) | instid1(VALU_DEP_1)
	v_add_f32_e32 v22, v24, v22
	v_add_f32_e32 v24, v32, v22
	s_delay_alu instid0(VALU_DEP_1) | instskip(NEXT) | instid1(VALU_DEP_1)
	v_mul_f32_e32 v26, v23, v24
	v_dual_sub_f32 v31, v32, v24 :: v_dual_mul_f32 v28, v27, v26
	s_delay_alu instid0(VALU_DEP_1) | instskip(NEXT) | instid1(VALU_DEP_2)
	v_add_f32_e32 v22, v22, v31
	v_fma_f32 v27, v26, v27, -v28
	s_delay_alu instid0(VALU_DEP_1) | instskip(NEXT) | instid1(VALU_DEP_1)
	v_fmac_f32_e32 v27, v26, v25
	v_add_f32_e32 v25, v28, v27
	s_delay_alu instid0(VALU_DEP_1) | instskip(NEXT) | instid1(VALU_DEP_1)
	v_sub_f32_e32 v30, v24, v25
	v_sub_f32_e32 v24, v24, v30
	s_delay_alu instid0(VALU_DEP_1) | instskip(NEXT) | instid1(VALU_DEP_1)
	v_sub_f32_e32 v24, v24, v25
	v_add_f32_e32 v22, v22, v24
	v_add_f32_e32 v24, v29, v26
	v_sub_f32_e32 v28, v25, v28
	s_delay_alu instid0(VALU_DEP_1) | instskip(NEXT) | instid1(VALU_DEP_1)
	v_sub_f32_e32 v25, v28, v27
	v_dual_add_f32 v22, v25, v22 :: v_dual_sub_f32 v25, v24, v29
	s_delay_alu instid0(VALU_DEP_1) | instskip(NEXT) | instid1(VALU_DEP_1)
	v_add_f32_e32 v22, v30, v22
	v_dual_sub_f32 v25, v26, v25 :: v_dual_mul_f32 v22, v23, v22
	s_delay_alu instid0(VALU_DEP_1) | instskip(NEXT) | instid1(VALU_DEP_1)
	v_add_f32_e32 v22, v25, v22
	v_add_f32_e32 v23, v24, v22
	s_delay_alu instid0(VALU_DEP_1) | instskip(NEXT) | instid1(VALU_DEP_1)
	v_mul_f32_e32 v25, v23, v23
	v_fmaak_f32 v26, s3, v25, 0x3ecc95a3
	v_mul_f32_e32 v27, v23, v25
	v_cmp_eq_f32_e64 s3, 0x7f800000, v5
	s_delay_alu instid0(VALU_DEP_3) | instskip(SKIP_2) | instid1(VALU_DEP_4)
	v_fmaak_f32 v25, v25, v26, 0x3f2aaada
	v_ldexp_f32 v26, v23, 1
	v_sub_f32_e32 v23, v23, v24
	s_or_b32 s3, s3, s7
	s_delay_alu instid0(VALU_DEP_3) | instskip(NEXT) | instid1(VALU_DEP_2)
	v_mul_f32_e32 v25, v27, v25
	v_dual_mul_f32 v27, 0x3f317218, v21 :: v_dual_sub_f32 v22, v22, v23
	s_delay_alu instid0(VALU_DEP_2) | instskip(NEXT) | instid1(VALU_DEP_2)
	v_add_f32_e32 v24, v26, v25
	v_ldexp_f32 v22, v22, 1
	s_delay_alu instid0(VALU_DEP_2) | instskip(NEXT) | instid1(VALU_DEP_4)
	v_sub_f32_e32 v23, v24, v26
	v_fma_f32 v26, 0x3f317218, v21, -v27
	s_delay_alu instid0(VALU_DEP_2) | instskip(NEXT) | instid1(VALU_DEP_1)
	v_sub_f32_e32 v23, v25, v23
	v_dual_fmamk_f32 v21, v21, 0xb102e308, v26 :: v_dual_add_f32 v22, v22, v23
	s_delay_alu instid0(VALU_DEP_1) | instskip(NEXT) | instid1(VALU_DEP_1)
	v_add_f32_e32 v23, v27, v21
	v_sub_f32_e32 v27, v23, v27
	s_delay_alu instid0(VALU_DEP_1) | instskip(NEXT) | instid1(VALU_DEP_4)
	v_sub_f32_e32 v21, v21, v27
	v_add_f32_e32 v25, v24, v22
	s_delay_alu instid0(VALU_DEP_1) | instskip(NEXT) | instid1(VALU_DEP_1)
	v_sub_f32_e32 v24, v25, v24
	v_sub_f32_e32 v22, v22, v24
	v_add_f32_e32 v26, v23, v25
	s_delay_alu instid0(VALU_DEP_1) | instskip(NEXT) | instid1(VALU_DEP_1)
	v_sub_f32_e32 v28, v26, v23
	v_sub_f32_e32 v24, v25, v28
	s_delay_alu instid0(VALU_DEP_4) | instskip(SKIP_1) | instid1(VALU_DEP_1)
	v_add_f32_e32 v25, v21, v22
	v_sub_f32_e32 v29, v26, v28
	v_sub_f32_e32 v23, v23, v29
	s_delay_alu instid0(VALU_DEP_1) | instskip(NEXT) | instid1(VALU_DEP_1)
	v_dual_add_f32 v23, v24, v23 :: v_dual_sub_f32 v24, v25, v21
	v_dual_add_f32 v23, v25, v23 :: v_dual_sub_f32 v22, v22, v24
	v_sub_f32_e32 v25, v25, v24
	s_delay_alu instid0(VALU_DEP_2) | instskip(NEXT) | instid1(VALU_DEP_1)
	v_add_f32_e32 v27, v26, v23
	v_dual_sub_f32 v21, v21, v25 :: v_dual_sub_f32 v24, v27, v26
	s_delay_alu instid0(VALU_DEP_1) | instskip(NEXT) | instid1(VALU_DEP_1)
	v_dual_add_f32 v21, v22, v21 :: v_dual_sub_f32 v22, v23, v24
	v_add_f32_e32 v21, v21, v22
	s_delay_alu instid0(VALU_DEP_1) | instskip(NEXT) | instid1(VALU_DEP_1)
	v_add_f32_e32 v21, v27, v21
	v_cndmask_b32_e64 v5, v21, v5, s3
	s_delay_alu instid0(VALU_DEP_1)
	v_add_f32_e32 v5, v6, v5
.LBB126_210:
	s_or_b32 exec_lo, exec_lo, s6
	ds_load_b32 v6, v20 offset:20
	v_max_f32_e32 v21, v5, v5
	v_cmp_u_f32_e64 s3, v5, v5
	ds_store_b32 v20, v5 offset:16
	s_waitcnt lgkmcnt(1)
	v_max_f32_e32 v22, v6, v6
	s_delay_alu instid0(VALU_DEP_1) | instskip(SKIP_1) | instid1(VALU_DEP_2)
	v_min_f32_e32 v23, v21, v22
	v_max_f32_e32 v21, v21, v22
	v_cndmask_b32_e64 v22, v23, v5, s3
	s_delay_alu instid0(VALU_DEP_2) | instskip(SKIP_1) | instid1(VALU_DEP_1)
	v_cndmask_b32_e64 v23, v21, v5, s3
	v_cmp_u_f32_e64 s3, v6, v6
	v_cndmask_b32_e64 v21, v22, v6, s3
	s_delay_alu instid0(VALU_DEP_3) | instskip(NEXT) | instid1(VALU_DEP_2)
	v_cndmask_b32_e64 v6, v23, v6, s3
	v_cmp_class_f32_e64 s6, v21, 0x1f8
	s_delay_alu instid0(VALU_DEP_2) | instskip(NEXT) | instid1(VALU_DEP_1)
	v_cmp_neq_f32_e64 s3, v21, v6
	s_or_b32 s3, s3, s6
	s_delay_alu instid0(SALU_CYCLE_1)
	s_and_saveexec_b32 s6, s3
	s_cbranch_execz .LBB126_212
; %bb.211:
	v_sub_f32_e32 v5, v21, v6
	s_delay_alu instid0(VALU_DEP_1) | instskip(SKIP_1) | instid1(VALU_DEP_2)
	v_mul_f32_e32 v21, 0x3fb8aa3b, v5
	v_cmp_ngt_f32_e64 s3, 0xc2ce8ed0, v5
	v_fma_f32 v22, 0x3fb8aa3b, v5, -v21
	v_rndne_f32_e32 v23, v21
	s_delay_alu instid0(VALU_DEP_2) | instskip(NEXT) | instid1(VALU_DEP_2)
	v_fmamk_f32 v22, v5, 0x32a5705f, v22
	v_sub_f32_e32 v21, v21, v23
	s_delay_alu instid0(VALU_DEP_1) | instskip(SKIP_1) | instid1(VALU_DEP_2)
	v_add_f32_e32 v21, v21, v22
	v_cvt_i32_f32_e32 v22, v23
	v_exp_f32_e32 v21, v21
	s_waitcnt_depctr 0xfff
	v_ldexp_f32 v21, v21, v22
	s_delay_alu instid0(VALU_DEP_1) | instskip(SKIP_1) | instid1(VALU_DEP_1)
	v_cndmask_b32_e64 v21, 0, v21, s3
	v_cmp_nlt_f32_e64 s3, 0x42b17218, v5
	v_cndmask_b32_e64 v5, 0x7f800000, v21, s3
	s_delay_alu instid0(VALU_DEP_1) | instskip(SKIP_1) | instid1(VALU_DEP_2)
	v_add_f32_e32 v23, 1.0, v5
	v_cmp_gt_f32_e64 s7, 0x33800000, |v5|
	v_cvt_f64_f32_e32 v[21:22], v23
	s_delay_alu instid0(VALU_DEP_1) | instskip(SKIP_1) | instid1(VALU_DEP_1)
	v_frexp_exp_i32_f64_e32 v21, v[21:22]
	v_frexp_mant_f32_e32 v22, v23
	v_cmp_gt_f32_e64 s3, 0x3f2aaaab, v22
	v_add_f32_e32 v22, -1.0, v23
	s_delay_alu instid0(VALU_DEP_1) | instskip(NEXT) | instid1(VALU_DEP_3)
	v_dual_sub_f32 v25, v22, v23 :: v_dual_sub_f32 v22, v5, v22
	v_subrev_co_ci_u32_e64 v21, s3, 0, v21, s3
	s_mov_b32 s3, 0x3e9b6dac
	s_delay_alu instid0(VALU_DEP_1) | instskip(SKIP_1) | instid1(VALU_DEP_2)
	v_sub_nc_u32_e32 v24, 0, v21
	v_cvt_f32_i32_e32 v21, v21
	v_ldexp_f32 v23, v23, v24
	s_delay_alu instid0(VALU_DEP_1) | instskip(NEXT) | instid1(VALU_DEP_1)
	v_dual_add_f32 v25, 1.0, v25 :: v_dual_add_f32 v26, 1.0, v23
	v_add_f32_e32 v22, v22, v25
	s_delay_alu instid0(VALU_DEP_1) | instskip(NEXT) | instid1(VALU_DEP_3)
	v_ldexp_f32 v22, v22, v24
	v_dual_add_f32 v24, -1.0, v23 :: v_dual_add_f32 v25, -1.0, v26
	s_delay_alu instid0(VALU_DEP_1) | instskip(NEXT) | instid1(VALU_DEP_2)
	v_add_f32_e32 v27, 1.0, v24
	v_sub_f32_e32 v25, v23, v25
	s_delay_alu instid0(VALU_DEP_2) | instskip(NEXT) | instid1(VALU_DEP_2)
	v_sub_f32_e32 v23, v23, v27
	v_add_f32_e32 v25, v22, v25
	s_delay_alu instid0(VALU_DEP_2) | instskip(NEXT) | instid1(VALU_DEP_1)
	v_add_f32_e32 v22, v22, v23
	v_dual_add_f32 v28, v24, v22 :: v_dual_add_f32 v27, v26, v25
	s_delay_alu instid0(VALU_DEP_1) | instskip(NEXT) | instid1(VALU_DEP_2)
	v_sub_f32_e32 v24, v24, v28
	v_rcp_f32_e32 v23, v27
	v_sub_f32_e32 v26, v26, v27
	s_delay_alu instid0(VALU_DEP_1) | instskip(SKIP_2) | instid1(VALU_DEP_1)
	v_dual_add_f32 v22, v22, v24 :: v_dual_add_f32 v25, v25, v26
	s_waitcnt_depctr 0xfff
	v_mul_f32_e32 v29, v28, v23
	v_mul_f32_e32 v30, v27, v29
	s_delay_alu instid0(VALU_DEP_1) | instskip(NEXT) | instid1(VALU_DEP_1)
	v_fma_f32 v26, v29, v27, -v30
	v_fmac_f32_e32 v26, v29, v25
	s_delay_alu instid0(VALU_DEP_1) | instskip(NEXT) | instid1(VALU_DEP_1)
	v_add_f32_e32 v31, v30, v26
	v_sub_f32_e32 v32, v28, v31
	v_sub_f32_e32 v24, v31, v30
	s_delay_alu instid0(VALU_DEP_2) | instskip(NEXT) | instid1(VALU_DEP_2)
	v_sub_f32_e32 v28, v28, v32
	v_sub_f32_e32 v24, v24, v26
	s_delay_alu instid0(VALU_DEP_2) | instskip(NEXT) | instid1(VALU_DEP_1)
	v_sub_f32_e32 v28, v28, v31
	v_add_f32_e32 v22, v22, v28
	s_delay_alu instid0(VALU_DEP_1) | instskip(NEXT) | instid1(VALU_DEP_1)
	v_add_f32_e32 v22, v24, v22
	v_add_f32_e32 v24, v32, v22
	s_delay_alu instid0(VALU_DEP_1) | instskip(NEXT) | instid1(VALU_DEP_1)
	v_mul_f32_e32 v26, v23, v24
	v_dual_sub_f32 v31, v32, v24 :: v_dual_mul_f32 v28, v27, v26
	s_delay_alu instid0(VALU_DEP_1) | instskip(NEXT) | instid1(VALU_DEP_2)
	v_add_f32_e32 v22, v22, v31
	v_fma_f32 v27, v26, v27, -v28
	s_delay_alu instid0(VALU_DEP_1) | instskip(NEXT) | instid1(VALU_DEP_1)
	v_fmac_f32_e32 v27, v26, v25
	v_add_f32_e32 v25, v28, v27
	s_delay_alu instid0(VALU_DEP_1) | instskip(NEXT) | instid1(VALU_DEP_1)
	v_sub_f32_e32 v30, v24, v25
	v_sub_f32_e32 v24, v24, v30
	s_delay_alu instid0(VALU_DEP_1) | instskip(NEXT) | instid1(VALU_DEP_1)
	v_sub_f32_e32 v24, v24, v25
	v_add_f32_e32 v22, v22, v24
	v_add_f32_e32 v24, v29, v26
	v_sub_f32_e32 v28, v25, v28
	s_delay_alu instid0(VALU_DEP_1) | instskip(NEXT) | instid1(VALU_DEP_1)
	v_sub_f32_e32 v25, v28, v27
	v_dual_add_f32 v22, v25, v22 :: v_dual_sub_f32 v25, v24, v29
	s_delay_alu instid0(VALU_DEP_1) | instskip(NEXT) | instid1(VALU_DEP_1)
	v_add_f32_e32 v22, v30, v22
	v_dual_sub_f32 v25, v26, v25 :: v_dual_mul_f32 v22, v23, v22
	s_delay_alu instid0(VALU_DEP_1) | instskip(NEXT) | instid1(VALU_DEP_1)
	v_add_f32_e32 v22, v25, v22
	v_add_f32_e32 v23, v24, v22
	s_delay_alu instid0(VALU_DEP_1) | instskip(NEXT) | instid1(VALU_DEP_1)
	v_mul_f32_e32 v25, v23, v23
	v_fmaak_f32 v26, s3, v25, 0x3ecc95a3
	v_mul_f32_e32 v27, v23, v25
	v_cmp_eq_f32_e64 s3, 0x7f800000, v5
	s_delay_alu instid0(VALU_DEP_3) | instskip(SKIP_2) | instid1(VALU_DEP_4)
	v_fmaak_f32 v25, v25, v26, 0x3f2aaada
	v_ldexp_f32 v26, v23, 1
	v_sub_f32_e32 v23, v23, v24
	s_or_b32 s3, s3, s7
	s_delay_alu instid0(VALU_DEP_3) | instskip(NEXT) | instid1(VALU_DEP_2)
	v_mul_f32_e32 v25, v27, v25
	v_dual_mul_f32 v27, 0x3f317218, v21 :: v_dual_sub_f32 v22, v22, v23
	s_delay_alu instid0(VALU_DEP_2) | instskip(NEXT) | instid1(VALU_DEP_2)
	v_add_f32_e32 v24, v26, v25
	v_ldexp_f32 v22, v22, 1
	s_delay_alu instid0(VALU_DEP_2) | instskip(NEXT) | instid1(VALU_DEP_4)
	v_sub_f32_e32 v23, v24, v26
	v_fma_f32 v26, 0x3f317218, v21, -v27
	s_delay_alu instid0(VALU_DEP_2) | instskip(NEXT) | instid1(VALU_DEP_1)
	v_sub_f32_e32 v23, v25, v23
	v_dual_fmamk_f32 v21, v21, 0xb102e308, v26 :: v_dual_add_f32 v22, v22, v23
	s_delay_alu instid0(VALU_DEP_1) | instskip(NEXT) | instid1(VALU_DEP_1)
	v_add_f32_e32 v23, v27, v21
	v_sub_f32_e32 v27, v23, v27
	s_delay_alu instid0(VALU_DEP_1) | instskip(NEXT) | instid1(VALU_DEP_4)
	v_sub_f32_e32 v21, v21, v27
	v_add_f32_e32 v25, v24, v22
	s_delay_alu instid0(VALU_DEP_1) | instskip(NEXT) | instid1(VALU_DEP_1)
	v_sub_f32_e32 v24, v25, v24
	v_sub_f32_e32 v22, v22, v24
	v_add_f32_e32 v26, v23, v25
	s_delay_alu instid0(VALU_DEP_1) | instskip(NEXT) | instid1(VALU_DEP_1)
	v_sub_f32_e32 v28, v26, v23
	v_sub_f32_e32 v24, v25, v28
	s_delay_alu instid0(VALU_DEP_4) | instskip(SKIP_1) | instid1(VALU_DEP_1)
	v_add_f32_e32 v25, v21, v22
	v_sub_f32_e32 v29, v26, v28
	v_sub_f32_e32 v23, v23, v29
	s_delay_alu instid0(VALU_DEP_1) | instskip(NEXT) | instid1(VALU_DEP_1)
	v_dual_add_f32 v23, v24, v23 :: v_dual_sub_f32 v24, v25, v21
	v_dual_add_f32 v23, v25, v23 :: v_dual_sub_f32 v22, v22, v24
	v_sub_f32_e32 v25, v25, v24
	s_delay_alu instid0(VALU_DEP_2) | instskip(NEXT) | instid1(VALU_DEP_1)
	v_add_f32_e32 v27, v26, v23
	v_dual_sub_f32 v21, v21, v25 :: v_dual_sub_f32 v24, v27, v26
	s_delay_alu instid0(VALU_DEP_1) | instskip(NEXT) | instid1(VALU_DEP_1)
	v_dual_add_f32 v21, v22, v21 :: v_dual_sub_f32 v22, v23, v24
	v_add_f32_e32 v21, v21, v22
	s_delay_alu instid0(VALU_DEP_1) | instskip(NEXT) | instid1(VALU_DEP_1)
	v_add_f32_e32 v21, v27, v21
	v_cndmask_b32_e64 v5, v21, v5, s3
	s_delay_alu instid0(VALU_DEP_1)
	v_add_f32_e32 v5, v6, v5
.LBB126_212:
	s_or_b32 exec_lo, exec_lo, s6
	ds_load_b32 v6, v20 offset:24
	v_max_f32_e32 v21, v5, v5
	v_cmp_u_f32_e64 s3, v5, v5
	ds_store_b32 v20, v5 offset:20
	s_waitcnt lgkmcnt(1)
	v_max_f32_e32 v22, v6, v6
	s_delay_alu instid0(VALU_DEP_1) | instskip(SKIP_1) | instid1(VALU_DEP_2)
	v_min_f32_e32 v23, v21, v22
	v_max_f32_e32 v21, v21, v22
	v_cndmask_b32_e64 v22, v23, v5, s3
	s_delay_alu instid0(VALU_DEP_2) | instskip(SKIP_1) | instid1(VALU_DEP_1)
	v_cndmask_b32_e64 v23, v21, v5, s3
	v_cmp_u_f32_e64 s3, v6, v6
	v_cndmask_b32_e64 v21, v22, v6, s3
	s_delay_alu instid0(VALU_DEP_3) | instskip(NEXT) | instid1(VALU_DEP_2)
	v_cndmask_b32_e64 v6, v23, v6, s3
	v_cmp_class_f32_e64 s6, v21, 0x1f8
	s_delay_alu instid0(VALU_DEP_2) | instskip(NEXT) | instid1(VALU_DEP_1)
	v_cmp_neq_f32_e64 s3, v21, v6
	s_or_b32 s3, s3, s6
	s_delay_alu instid0(SALU_CYCLE_1)
	s_and_saveexec_b32 s6, s3
	s_cbranch_execz .LBB126_214
; %bb.213:
	v_sub_f32_e32 v5, v21, v6
	s_delay_alu instid0(VALU_DEP_1) | instskip(SKIP_1) | instid1(VALU_DEP_2)
	v_mul_f32_e32 v21, 0x3fb8aa3b, v5
	v_cmp_ngt_f32_e64 s3, 0xc2ce8ed0, v5
	v_fma_f32 v22, 0x3fb8aa3b, v5, -v21
	v_rndne_f32_e32 v23, v21
	s_delay_alu instid0(VALU_DEP_2) | instskip(NEXT) | instid1(VALU_DEP_2)
	v_fmamk_f32 v22, v5, 0x32a5705f, v22
	v_sub_f32_e32 v21, v21, v23
	s_delay_alu instid0(VALU_DEP_1) | instskip(SKIP_1) | instid1(VALU_DEP_2)
	v_add_f32_e32 v21, v21, v22
	v_cvt_i32_f32_e32 v22, v23
	v_exp_f32_e32 v21, v21
	s_waitcnt_depctr 0xfff
	v_ldexp_f32 v21, v21, v22
	s_delay_alu instid0(VALU_DEP_1) | instskip(SKIP_1) | instid1(VALU_DEP_1)
	v_cndmask_b32_e64 v21, 0, v21, s3
	v_cmp_nlt_f32_e64 s3, 0x42b17218, v5
	v_cndmask_b32_e64 v5, 0x7f800000, v21, s3
	s_delay_alu instid0(VALU_DEP_1) | instskip(SKIP_1) | instid1(VALU_DEP_2)
	v_add_f32_e32 v23, 1.0, v5
	v_cmp_gt_f32_e64 s7, 0x33800000, |v5|
	v_cvt_f64_f32_e32 v[21:22], v23
	s_delay_alu instid0(VALU_DEP_1) | instskip(SKIP_1) | instid1(VALU_DEP_1)
	v_frexp_exp_i32_f64_e32 v21, v[21:22]
	v_frexp_mant_f32_e32 v22, v23
	v_cmp_gt_f32_e64 s3, 0x3f2aaaab, v22
	v_add_f32_e32 v22, -1.0, v23
	s_delay_alu instid0(VALU_DEP_1) | instskip(NEXT) | instid1(VALU_DEP_3)
	v_dual_sub_f32 v25, v22, v23 :: v_dual_sub_f32 v22, v5, v22
	v_subrev_co_ci_u32_e64 v21, s3, 0, v21, s3
	s_mov_b32 s3, 0x3e9b6dac
	s_delay_alu instid0(VALU_DEP_1) | instskip(SKIP_1) | instid1(VALU_DEP_2)
	v_sub_nc_u32_e32 v24, 0, v21
	v_cvt_f32_i32_e32 v21, v21
	v_ldexp_f32 v23, v23, v24
	s_delay_alu instid0(VALU_DEP_1) | instskip(NEXT) | instid1(VALU_DEP_1)
	v_dual_add_f32 v25, 1.0, v25 :: v_dual_add_f32 v26, 1.0, v23
	v_add_f32_e32 v22, v22, v25
	s_delay_alu instid0(VALU_DEP_1) | instskip(NEXT) | instid1(VALU_DEP_3)
	v_ldexp_f32 v22, v22, v24
	v_dual_add_f32 v24, -1.0, v23 :: v_dual_add_f32 v25, -1.0, v26
	s_delay_alu instid0(VALU_DEP_1) | instskip(NEXT) | instid1(VALU_DEP_2)
	v_add_f32_e32 v27, 1.0, v24
	v_sub_f32_e32 v25, v23, v25
	s_delay_alu instid0(VALU_DEP_2) | instskip(NEXT) | instid1(VALU_DEP_2)
	v_sub_f32_e32 v23, v23, v27
	v_add_f32_e32 v25, v22, v25
	s_delay_alu instid0(VALU_DEP_2) | instskip(NEXT) | instid1(VALU_DEP_1)
	v_add_f32_e32 v22, v22, v23
	v_dual_add_f32 v28, v24, v22 :: v_dual_add_f32 v27, v26, v25
	s_delay_alu instid0(VALU_DEP_1) | instskip(NEXT) | instid1(VALU_DEP_2)
	v_sub_f32_e32 v24, v24, v28
	v_rcp_f32_e32 v23, v27
	v_sub_f32_e32 v26, v26, v27
	s_delay_alu instid0(VALU_DEP_1) | instskip(SKIP_2) | instid1(VALU_DEP_1)
	v_dual_add_f32 v22, v22, v24 :: v_dual_add_f32 v25, v25, v26
	s_waitcnt_depctr 0xfff
	v_mul_f32_e32 v29, v28, v23
	v_mul_f32_e32 v30, v27, v29
	s_delay_alu instid0(VALU_DEP_1) | instskip(NEXT) | instid1(VALU_DEP_1)
	v_fma_f32 v26, v29, v27, -v30
	v_fmac_f32_e32 v26, v29, v25
	s_delay_alu instid0(VALU_DEP_1) | instskip(NEXT) | instid1(VALU_DEP_1)
	v_add_f32_e32 v31, v30, v26
	v_sub_f32_e32 v32, v28, v31
	v_sub_f32_e32 v24, v31, v30
	s_delay_alu instid0(VALU_DEP_2) | instskip(NEXT) | instid1(VALU_DEP_2)
	v_sub_f32_e32 v28, v28, v32
	v_sub_f32_e32 v24, v24, v26
	s_delay_alu instid0(VALU_DEP_2) | instskip(NEXT) | instid1(VALU_DEP_1)
	v_sub_f32_e32 v28, v28, v31
	v_add_f32_e32 v22, v22, v28
	s_delay_alu instid0(VALU_DEP_1) | instskip(NEXT) | instid1(VALU_DEP_1)
	v_add_f32_e32 v22, v24, v22
	v_add_f32_e32 v24, v32, v22
	s_delay_alu instid0(VALU_DEP_1) | instskip(NEXT) | instid1(VALU_DEP_1)
	v_mul_f32_e32 v26, v23, v24
	v_dual_sub_f32 v31, v32, v24 :: v_dual_mul_f32 v28, v27, v26
	s_delay_alu instid0(VALU_DEP_1) | instskip(NEXT) | instid1(VALU_DEP_2)
	v_add_f32_e32 v22, v22, v31
	v_fma_f32 v27, v26, v27, -v28
	s_delay_alu instid0(VALU_DEP_1) | instskip(NEXT) | instid1(VALU_DEP_1)
	v_fmac_f32_e32 v27, v26, v25
	v_add_f32_e32 v25, v28, v27
	s_delay_alu instid0(VALU_DEP_1) | instskip(NEXT) | instid1(VALU_DEP_1)
	v_sub_f32_e32 v30, v24, v25
	v_sub_f32_e32 v24, v24, v30
	s_delay_alu instid0(VALU_DEP_1) | instskip(NEXT) | instid1(VALU_DEP_1)
	v_sub_f32_e32 v24, v24, v25
	v_add_f32_e32 v22, v22, v24
	v_add_f32_e32 v24, v29, v26
	v_sub_f32_e32 v28, v25, v28
	s_delay_alu instid0(VALU_DEP_1) | instskip(NEXT) | instid1(VALU_DEP_1)
	v_sub_f32_e32 v25, v28, v27
	v_dual_add_f32 v22, v25, v22 :: v_dual_sub_f32 v25, v24, v29
	s_delay_alu instid0(VALU_DEP_1) | instskip(NEXT) | instid1(VALU_DEP_1)
	v_add_f32_e32 v22, v30, v22
	v_dual_sub_f32 v25, v26, v25 :: v_dual_mul_f32 v22, v23, v22
	s_delay_alu instid0(VALU_DEP_1) | instskip(NEXT) | instid1(VALU_DEP_1)
	v_add_f32_e32 v22, v25, v22
	v_add_f32_e32 v23, v24, v22
	s_delay_alu instid0(VALU_DEP_1) | instskip(NEXT) | instid1(VALU_DEP_1)
	v_mul_f32_e32 v25, v23, v23
	v_fmaak_f32 v26, s3, v25, 0x3ecc95a3
	v_mul_f32_e32 v27, v23, v25
	v_cmp_eq_f32_e64 s3, 0x7f800000, v5
	s_delay_alu instid0(VALU_DEP_3) | instskip(SKIP_2) | instid1(VALU_DEP_4)
	v_fmaak_f32 v25, v25, v26, 0x3f2aaada
	v_ldexp_f32 v26, v23, 1
	v_sub_f32_e32 v23, v23, v24
	s_or_b32 s3, s3, s7
	s_delay_alu instid0(VALU_DEP_3) | instskip(NEXT) | instid1(VALU_DEP_2)
	v_mul_f32_e32 v25, v27, v25
	v_dual_mul_f32 v27, 0x3f317218, v21 :: v_dual_sub_f32 v22, v22, v23
	s_delay_alu instid0(VALU_DEP_2) | instskip(NEXT) | instid1(VALU_DEP_2)
	v_add_f32_e32 v24, v26, v25
	v_ldexp_f32 v22, v22, 1
	s_delay_alu instid0(VALU_DEP_2) | instskip(NEXT) | instid1(VALU_DEP_4)
	v_sub_f32_e32 v23, v24, v26
	v_fma_f32 v26, 0x3f317218, v21, -v27
	s_delay_alu instid0(VALU_DEP_2) | instskip(NEXT) | instid1(VALU_DEP_1)
	v_sub_f32_e32 v23, v25, v23
	v_dual_fmamk_f32 v21, v21, 0xb102e308, v26 :: v_dual_add_f32 v22, v22, v23
	s_delay_alu instid0(VALU_DEP_1) | instskip(NEXT) | instid1(VALU_DEP_1)
	v_add_f32_e32 v23, v27, v21
	v_sub_f32_e32 v27, v23, v27
	s_delay_alu instid0(VALU_DEP_1) | instskip(NEXT) | instid1(VALU_DEP_4)
	v_sub_f32_e32 v21, v21, v27
	v_add_f32_e32 v25, v24, v22
	s_delay_alu instid0(VALU_DEP_1) | instskip(NEXT) | instid1(VALU_DEP_1)
	v_sub_f32_e32 v24, v25, v24
	v_sub_f32_e32 v22, v22, v24
	v_add_f32_e32 v26, v23, v25
	s_delay_alu instid0(VALU_DEP_1) | instskip(NEXT) | instid1(VALU_DEP_1)
	v_sub_f32_e32 v28, v26, v23
	v_sub_f32_e32 v24, v25, v28
	s_delay_alu instid0(VALU_DEP_4) | instskip(SKIP_1) | instid1(VALU_DEP_1)
	v_add_f32_e32 v25, v21, v22
	v_sub_f32_e32 v29, v26, v28
	v_sub_f32_e32 v23, v23, v29
	s_delay_alu instid0(VALU_DEP_1) | instskip(NEXT) | instid1(VALU_DEP_1)
	v_dual_add_f32 v23, v24, v23 :: v_dual_sub_f32 v24, v25, v21
	v_dual_add_f32 v23, v25, v23 :: v_dual_sub_f32 v22, v22, v24
	v_sub_f32_e32 v25, v25, v24
	s_delay_alu instid0(VALU_DEP_2) | instskip(NEXT) | instid1(VALU_DEP_1)
	v_add_f32_e32 v27, v26, v23
	v_dual_sub_f32 v21, v21, v25 :: v_dual_sub_f32 v24, v27, v26
	s_delay_alu instid0(VALU_DEP_1) | instskip(NEXT) | instid1(VALU_DEP_1)
	v_dual_add_f32 v21, v22, v21 :: v_dual_sub_f32 v22, v23, v24
	v_add_f32_e32 v21, v21, v22
	s_delay_alu instid0(VALU_DEP_1) | instskip(NEXT) | instid1(VALU_DEP_1)
	v_add_f32_e32 v21, v27, v21
	v_cndmask_b32_e64 v5, v21, v5, s3
	s_delay_alu instid0(VALU_DEP_1)
	v_add_f32_e32 v5, v6, v5
.LBB126_214:
	s_or_b32 exec_lo, exec_lo, s6
	ds_load_b32 v6, v20 offset:28
	v_max_f32_e32 v21, v5, v5
	v_cmp_u_f32_e64 s3, v5, v5
	ds_store_b32 v20, v5 offset:24
	s_waitcnt lgkmcnt(1)
	v_max_f32_e32 v22, v6, v6
	s_delay_alu instid0(VALU_DEP_1) | instskip(SKIP_1) | instid1(VALU_DEP_2)
	v_min_f32_e32 v23, v21, v22
	v_max_f32_e32 v21, v21, v22
	v_cndmask_b32_e64 v22, v23, v5, s3
	s_delay_alu instid0(VALU_DEP_2) | instskip(SKIP_1) | instid1(VALU_DEP_1)
	v_cndmask_b32_e64 v23, v21, v5, s3
	v_cmp_u_f32_e64 s3, v6, v6
	v_cndmask_b32_e64 v21, v22, v6, s3
	s_delay_alu instid0(VALU_DEP_3) | instskip(NEXT) | instid1(VALU_DEP_2)
	v_cndmask_b32_e64 v6, v23, v6, s3
	v_cmp_class_f32_e64 s6, v21, 0x1f8
	s_delay_alu instid0(VALU_DEP_2) | instskip(NEXT) | instid1(VALU_DEP_1)
	v_cmp_neq_f32_e64 s3, v21, v6
	s_or_b32 s3, s3, s6
	s_delay_alu instid0(SALU_CYCLE_1)
	s_and_saveexec_b32 s6, s3
	s_cbranch_execz .LBB126_216
; %bb.215:
	v_sub_f32_e32 v5, v21, v6
	s_delay_alu instid0(VALU_DEP_1) | instskip(SKIP_1) | instid1(VALU_DEP_2)
	v_mul_f32_e32 v21, 0x3fb8aa3b, v5
	v_cmp_ngt_f32_e64 s3, 0xc2ce8ed0, v5
	v_fma_f32 v22, 0x3fb8aa3b, v5, -v21
	v_rndne_f32_e32 v23, v21
	s_delay_alu instid0(VALU_DEP_2) | instskip(NEXT) | instid1(VALU_DEP_2)
	v_fmamk_f32 v22, v5, 0x32a5705f, v22
	v_sub_f32_e32 v21, v21, v23
	s_delay_alu instid0(VALU_DEP_1) | instskip(SKIP_1) | instid1(VALU_DEP_2)
	v_add_f32_e32 v21, v21, v22
	v_cvt_i32_f32_e32 v22, v23
	v_exp_f32_e32 v21, v21
	s_waitcnt_depctr 0xfff
	v_ldexp_f32 v21, v21, v22
	s_delay_alu instid0(VALU_DEP_1) | instskip(SKIP_1) | instid1(VALU_DEP_1)
	v_cndmask_b32_e64 v21, 0, v21, s3
	v_cmp_nlt_f32_e64 s3, 0x42b17218, v5
	v_cndmask_b32_e64 v5, 0x7f800000, v21, s3
	s_delay_alu instid0(VALU_DEP_1) | instskip(SKIP_1) | instid1(VALU_DEP_2)
	v_add_f32_e32 v23, 1.0, v5
	v_cmp_gt_f32_e64 s7, 0x33800000, |v5|
	v_cvt_f64_f32_e32 v[21:22], v23
	s_delay_alu instid0(VALU_DEP_1) | instskip(SKIP_1) | instid1(VALU_DEP_1)
	v_frexp_exp_i32_f64_e32 v21, v[21:22]
	v_frexp_mant_f32_e32 v22, v23
	v_cmp_gt_f32_e64 s3, 0x3f2aaaab, v22
	v_add_f32_e32 v22, -1.0, v23
	s_delay_alu instid0(VALU_DEP_1) | instskip(NEXT) | instid1(VALU_DEP_3)
	v_dual_sub_f32 v25, v22, v23 :: v_dual_sub_f32 v22, v5, v22
	v_subrev_co_ci_u32_e64 v21, s3, 0, v21, s3
	s_mov_b32 s3, 0x3e9b6dac
	s_delay_alu instid0(VALU_DEP_1) | instskip(SKIP_1) | instid1(VALU_DEP_2)
	v_sub_nc_u32_e32 v24, 0, v21
	v_cvt_f32_i32_e32 v21, v21
	v_ldexp_f32 v23, v23, v24
	s_delay_alu instid0(VALU_DEP_1) | instskip(NEXT) | instid1(VALU_DEP_1)
	v_dual_add_f32 v25, 1.0, v25 :: v_dual_add_f32 v26, 1.0, v23
	v_add_f32_e32 v22, v22, v25
	s_delay_alu instid0(VALU_DEP_1) | instskip(NEXT) | instid1(VALU_DEP_3)
	v_ldexp_f32 v22, v22, v24
	v_dual_add_f32 v24, -1.0, v23 :: v_dual_add_f32 v25, -1.0, v26
	s_delay_alu instid0(VALU_DEP_1) | instskip(NEXT) | instid1(VALU_DEP_2)
	v_add_f32_e32 v27, 1.0, v24
	v_sub_f32_e32 v25, v23, v25
	s_delay_alu instid0(VALU_DEP_2) | instskip(NEXT) | instid1(VALU_DEP_2)
	v_sub_f32_e32 v23, v23, v27
	v_add_f32_e32 v25, v22, v25
	s_delay_alu instid0(VALU_DEP_2) | instskip(NEXT) | instid1(VALU_DEP_1)
	v_add_f32_e32 v22, v22, v23
	v_dual_add_f32 v28, v24, v22 :: v_dual_add_f32 v27, v26, v25
	s_delay_alu instid0(VALU_DEP_1) | instskip(NEXT) | instid1(VALU_DEP_2)
	v_sub_f32_e32 v24, v24, v28
	v_rcp_f32_e32 v23, v27
	v_sub_f32_e32 v26, v26, v27
	s_delay_alu instid0(VALU_DEP_1) | instskip(SKIP_2) | instid1(VALU_DEP_1)
	v_dual_add_f32 v22, v22, v24 :: v_dual_add_f32 v25, v25, v26
	s_waitcnt_depctr 0xfff
	v_mul_f32_e32 v29, v28, v23
	v_mul_f32_e32 v30, v27, v29
	s_delay_alu instid0(VALU_DEP_1) | instskip(NEXT) | instid1(VALU_DEP_1)
	v_fma_f32 v26, v29, v27, -v30
	v_fmac_f32_e32 v26, v29, v25
	s_delay_alu instid0(VALU_DEP_1) | instskip(NEXT) | instid1(VALU_DEP_1)
	v_add_f32_e32 v31, v30, v26
	v_sub_f32_e32 v32, v28, v31
	v_sub_f32_e32 v24, v31, v30
	s_delay_alu instid0(VALU_DEP_2) | instskip(NEXT) | instid1(VALU_DEP_2)
	v_sub_f32_e32 v28, v28, v32
	v_sub_f32_e32 v24, v24, v26
	s_delay_alu instid0(VALU_DEP_2) | instskip(NEXT) | instid1(VALU_DEP_1)
	v_sub_f32_e32 v28, v28, v31
	v_add_f32_e32 v22, v22, v28
	s_delay_alu instid0(VALU_DEP_1) | instskip(NEXT) | instid1(VALU_DEP_1)
	v_add_f32_e32 v22, v24, v22
	v_add_f32_e32 v24, v32, v22
	s_delay_alu instid0(VALU_DEP_1) | instskip(NEXT) | instid1(VALU_DEP_1)
	v_mul_f32_e32 v26, v23, v24
	v_dual_sub_f32 v31, v32, v24 :: v_dual_mul_f32 v28, v27, v26
	s_delay_alu instid0(VALU_DEP_1) | instskip(NEXT) | instid1(VALU_DEP_2)
	v_add_f32_e32 v22, v22, v31
	v_fma_f32 v27, v26, v27, -v28
	s_delay_alu instid0(VALU_DEP_1) | instskip(NEXT) | instid1(VALU_DEP_1)
	v_fmac_f32_e32 v27, v26, v25
	v_add_f32_e32 v25, v28, v27
	s_delay_alu instid0(VALU_DEP_1) | instskip(NEXT) | instid1(VALU_DEP_1)
	v_sub_f32_e32 v30, v24, v25
	v_sub_f32_e32 v24, v24, v30
	s_delay_alu instid0(VALU_DEP_1) | instskip(NEXT) | instid1(VALU_DEP_1)
	v_sub_f32_e32 v24, v24, v25
	v_add_f32_e32 v22, v22, v24
	v_add_f32_e32 v24, v29, v26
	v_sub_f32_e32 v28, v25, v28
	s_delay_alu instid0(VALU_DEP_1) | instskip(NEXT) | instid1(VALU_DEP_1)
	v_sub_f32_e32 v25, v28, v27
	v_dual_add_f32 v22, v25, v22 :: v_dual_sub_f32 v25, v24, v29
	s_delay_alu instid0(VALU_DEP_1) | instskip(NEXT) | instid1(VALU_DEP_1)
	v_add_f32_e32 v22, v30, v22
	v_dual_sub_f32 v25, v26, v25 :: v_dual_mul_f32 v22, v23, v22
	s_delay_alu instid0(VALU_DEP_1) | instskip(NEXT) | instid1(VALU_DEP_1)
	v_add_f32_e32 v22, v25, v22
	v_add_f32_e32 v23, v24, v22
	s_delay_alu instid0(VALU_DEP_1) | instskip(NEXT) | instid1(VALU_DEP_1)
	v_mul_f32_e32 v25, v23, v23
	v_fmaak_f32 v26, s3, v25, 0x3ecc95a3
	v_mul_f32_e32 v27, v23, v25
	v_cmp_eq_f32_e64 s3, 0x7f800000, v5
	s_delay_alu instid0(VALU_DEP_3) | instskip(SKIP_2) | instid1(VALU_DEP_4)
	v_fmaak_f32 v25, v25, v26, 0x3f2aaada
	v_ldexp_f32 v26, v23, 1
	v_sub_f32_e32 v23, v23, v24
	s_or_b32 s3, s3, s7
	s_delay_alu instid0(VALU_DEP_3) | instskip(NEXT) | instid1(VALU_DEP_2)
	v_mul_f32_e32 v25, v27, v25
	v_dual_mul_f32 v27, 0x3f317218, v21 :: v_dual_sub_f32 v22, v22, v23
	s_delay_alu instid0(VALU_DEP_2) | instskip(NEXT) | instid1(VALU_DEP_2)
	v_add_f32_e32 v24, v26, v25
	v_ldexp_f32 v22, v22, 1
	s_delay_alu instid0(VALU_DEP_2) | instskip(NEXT) | instid1(VALU_DEP_4)
	v_sub_f32_e32 v23, v24, v26
	v_fma_f32 v26, 0x3f317218, v21, -v27
	s_delay_alu instid0(VALU_DEP_2) | instskip(NEXT) | instid1(VALU_DEP_1)
	v_sub_f32_e32 v23, v25, v23
	v_dual_fmamk_f32 v21, v21, 0xb102e308, v26 :: v_dual_add_f32 v22, v22, v23
	s_delay_alu instid0(VALU_DEP_1) | instskip(NEXT) | instid1(VALU_DEP_1)
	v_add_f32_e32 v23, v27, v21
	v_sub_f32_e32 v27, v23, v27
	s_delay_alu instid0(VALU_DEP_1) | instskip(NEXT) | instid1(VALU_DEP_4)
	v_sub_f32_e32 v21, v21, v27
	v_add_f32_e32 v25, v24, v22
	s_delay_alu instid0(VALU_DEP_1) | instskip(NEXT) | instid1(VALU_DEP_1)
	v_sub_f32_e32 v24, v25, v24
	v_sub_f32_e32 v22, v22, v24
	v_add_f32_e32 v26, v23, v25
	s_delay_alu instid0(VALU_DEP_1) | instskip(NEXT) | instid1(VALU_DEP_1)
	v_sub_f32_e32 v28, v26, v23
	v_sub_f32_e32 v24, v25, v28
	s_delay_alu instid0(VALU_DEP_4) | instskip(SKIP_1) | instid1(VALU_DEP_1)
	v_add_f32_e32 v25, v21, v22
	v_sub_f32_e32 v29, v26, v28
	v_sub_f32_e32 v23, v23, v29
	s_delay_alu instid0(VALU_DEP_1) | instskip(NEXT) | instid1(VALU_DEP_1)
	v_dual_add_f32 v23, v24, v23 :: v_dual_sub_f32 v24, v25, v21
	v_dual_add_f32 v23, v25, v23 :: v_dual_sub_f32 v22, v22, v24
	v_sub_f32_e32 v25, v25, v24
	s_delay_alu instid0(VALU_DEP_2) | instskip(NEXT) | instid1(VALU_DEP_1)
	v_add_f32_e32 v27, v26, v23
	v_dual_sub_f32 v21, v21, v25 :: v_dual_sub_f32 v24, v27, v26
	s_delay_alu instid0(VALU_DEP_1) | instskip(NEXT) | instid1(VALU_DEP_1)
	v_dual_add_f32 v21, v22, v21 :: v_dual_sub_f32 v22, v23, v24
	v_add_f32_e32 v21, v21, v22
	s_delay_alu instid0(VALU_DEP_1) | instskip(NEXT) | instid1(VALU_DEP_1)
	v_add_f32_e32 v21, v27, v21
	v_cndmask_b32_e64 v5, v21, v5, s3
	s_delay_alu instid0(VALU_DEP_1)
	v_add_f32_e32 v5, v6, v5
.LBB126_216:
	s_or_b32 exec_lo, exec_lo, s6
	ds_store_b32 v20, v5 offset:28
.LBB126_217:
	s_or_b32 exec_lo, exec_lo, s8
	s_waitcnt lgkmcnt(0)
	s_barrier
	buffer_gl0_inv
	s_and_saveexec_b32 s3, s2
	s_cbranch_execz .LBB126_219
; %bb.218:
	v_add_nc_u32_e32 v4, -1, v0
	s_delay_alu instid0(VALU_DEP_1) | instskip(NEXT) | instid1(VALU_DEP_1)
	v_lshrrev_b32_e32 v5, 5, v4
	v_add_lshl_u32 v4, v5, v4, 2
	ds_load_b32 v4, v4
.LBB126_219:
	s_or_b32 exec_lo, exec_lo, s3
	s_and_saveexec_b32 s3, s2
	s_cbranch_execz .LBB126_223
; %bb.220:
	s_waitcnt lgkmcnt(0)
	v_max_f32_e32 v3, v4, v4
	v_cmp_u_f32_e64 s2, v4, v4
	s_delay_alu instid0(VALU_DEP_2) | instskip(SKIP_1) | instid1(VALU_DEP_2)
	v_min_f32_e32 v5, v3, v19
	v_max_f32_e32 v3, v3, v19
	v_cndmask_b32_e64 v5, v5, v4, s2
	s_delay_alu instid0(VALU_DEP_2) | instskip(NEXT) | instid1(VALU_DEP_2)
	v_cndmask_b32_e64 v6, v3, v4, s2
	v_cndmask_b32_e64 v3, v5, v1, s5
	s_delay_alu instid0(VALU_DEP_2) | instskip(NEXT) | instid1(VALU_DEP_2)
	v_cndmask_b32_e64 v1, v6, v1, s5
	v_cmp_class_f32_e64 s5, v3, 0x1f8
	s_delay_alu instid0(VALU_DEP_2) | instskip(NEXT) | instid1(VALU_DEP_1)
	v_cmp_neq_f32_e64 s2, v3, v1
	s_or_b32 s2, s2, s5
	s_delay_alu instid0(SALU_CYCLE_1)
	s_and_saveexec_b32 s5, s2
	s_cbranch_execz .LBB126_222
; %bb.221:
	v_sub_f32_e32 v3, v3, v1
	s_delay_alu instid0(VALU_DEP_1) | instskip(NEXT) | instid1(VALU_DEP_1)
	v_mul_f32_e32 v4, 0x3fb8aa3b, v3
	v_fma_f32 v5, 0x3fb8aa3b, v3, -v4
	v_rndne_f32_e32 v6, v4
	s_delay_alu instid0(VALU_DEP_1) | instskip(SKIP_1) | instid1(VALU_DEP_2)
	v_dual_sub_f32 v4, v4, v6 :: v_dual_fmamk_f32 v5, v3, 0x32a5705f, v5
	v_cmp_ngt_f32_e64 s2, 0xc2ce8ed0, v3
	v_add_f32_e32 v4, v4, v5
	v_cvt_i32_f32_e32 v5, v6
	s_delay_alu instid0(VALU_DEP_2) | instskip(SKIP_2) | instid1(VALU_DEP_1)
	v_exp_f32_e32 v4, v4
	s_waitcnt_depctr 0xfff
	v_ldexp_f32 v4, v4, v5
	v_cndmask_b32_e64 v4, 0, v4, s2
	v_cmp_nlt_f32_e64 s2, 0x42b17218, v3
	s_delay_alu instid0(VALU_DEP_1) | instskip(NEXT) | instid1(VALU_DEP_1)
	v_cndmask_b32_e64 v5, 0x7f800000, v4, s2
	v_add_f32_e32 v6, 1.0, v5
	v_cmp_gt_f32_e64 s6, 0x33800000, |v5|
	s_delay_alu instid0(VALU_DEP_2) | instskip(NEXT) | instid1(VALU_DEP_1)
	v_cvt_f64_f32_e32 v[3:4], v6
	v_frexp_exp_i32_f64_e32 v3, v[3:4]
	v_frexp_mant_f32_e32 v4, v6
	s_delay_alu instid0(VALU_DEP_1) | instskip(SKIP_1) | instid1(VALU_DEP_1)
	v_cmp_gt_f32_e64 s2, 0x3f2aaaab, v4
	v_add_f32_e32 v4, -1.0, v6
	v_sub_f32_e32 v12, v4, v6
	v_sub_f32_e32 v4, v5, v4
	s_delay_alu instid0(VALU_DEP_2) | instskip(NEXT) | instid1(VALU_DEP_1)
	v_add_f32_e32 v12, 1.0, v12
	v_add_f32_e32 v4, v4, v12
	v_subrev_co_ci_u32_e64 v3, s2, 0, v3, s2
	s_mov_b32 s2, 0x3e9b6dac
	s_delay_alu instid0(VALU_DEP_1) | instskip(SKIP_1) | instid1(VALU_DEP_2)
	v_sub_nc_u32_e32 v11, 0, v3
	v_cvt_f32_i32_e32 v3, v3
	v_ldexp_f32 v6, v6, v11
	v_ldexp_f32 v4, v4, v11
	s_delay_alu instid0(VALU_DEP_2) | instskip(NEXT) | instid1(VALU_DEP_1)
	v_add_f32_e32 v19, 1.0, v6
	v_dual_add_f32 v11, -1.0, v6 :: v_dual_add_f32 v12, -1.0, v19
	s_delay_alu instid0(VALU_DEP_1) | instskip(NEXT) | instid1(VALU_DEP_2)
	v_add_f32_e32 v20, 1.0, v11
	v_sub_f32_e32 v12, v6, v12
	s_delay_alu instid0(VALU_DEP_2) | instskip(NEXT) | instid1(VALU_DEP_2)
	v_sub_f32_e32 v6, v6, v20
	v_add_f32_e32 v12, v4, v12
	s_delay_alu instid0(VALU_DEP_2) | instskip(NEXT) | instid1(VALU_DEP_2)
	v_add_f32_e32 v4, v4, v6
	v_add_f32_e32 v20, v19, v12
	s_delay_alu instid0(VALU_DEP_2) | instskip(NEXT) | instid1(VALU_DEP_2)
	v_add_f32_e32 v21, v11, v4
	v_rcp_f32_e32 v6, v20
	v_sub_f32_e32 v19, v19, v20
	s_delay_alu instid0(VALU_DEP_1) | instskip(SKIP_2) | instid1(VALU_DEP_1)
	v_dual_sub_f32 v11, v11, v21 :: v_dual_add_f32 v12, v12, v19
	s_waitcnt_depctr 0xfff
	v_mul_f32_e32 v22, v21, v6
	v_mul_f32_e32 v23, v20, v22
	s_delay_alu instid0(VALU_DEP_1) | instskip(NEXT) | instid1(VALU_DEP_1)
	v_fma_f32 v19, v22, v20, -v23
	v_fmac_f32_e32 v19, v22, v12
	s_delay_alu instid0(VALU_DEP_1) | instskip(NEXT) | instid1(VALU_DEP_1)
	v_add_f32_e32 v24, v23, v19
	v_sub_f32_e32 v25, v21, v24
	s_delay_alu instid0(VALU_DEP_1) | instskip(NEXT) | instid1(VALU_DEP_1)
	v_sub_f32_e32 v21, v21, v25
	v_dual_sub_f32 v21, v21, v24 :: v_dual_add_f32 v4, v4, v11
	v_sub_f32_e32 v11, v24, v23
	s_delay_alu instid0(VALU_DEP_1) | instskip(NEXT) | instid1(VALU_DEP_1)
	v_dual_add_f32 v4, v4, v21 :: v_dual_sub_f32 v11, v11, v19
	v_add_f32_e32 v4, v11, v4
	s_delay_alu instid0(VALU_DEP_1) | instskip(NEXT) | instid1(VALU_DEP_1)
	v_add_f32_e32 v11, v25, v4
	v_mul_f32_e32 v19, v6, v11
	v_sub_f32_e32 v24, v25, v11
	s_delay_alu instid0(VALU_DEP_2) | instskip(NEXT) | instid1(VALU_DEP_2)
	v_mul_f32_e32 v21, v20, v19
	v_add_f32_e32 v4, v4, v24
	s_delay_alu instid0(VALU_DEP_2) | instskip(NEXT) | instid1(VALU_DEP_1)
	v_fma_f32 v20, v19, v20, -v21
	v_fmac_f32_e32 v20, v19, v12
	s_delay_alu instid0(VALU_DEP_1) | instskip(NEXT) | instid1(VALU_DEP_1)
	v_add_f32_e32 v12, v21, v20
	v_sub_f32_e32 v23, v11, v12
	v_sub_f32_e32 v21, v12, v21
	s_delay_alu instid0(VALU_DEP_2) | instskip(NEXT) | instid1(VALU_DEP_1)
	v_sub_f32_e32 v11, v11, v23
	v_sub_f32_e32 v11, v11, v12
	s_delay_alu instid0(VALU_DEP_3) | instskip(NEXT) | instid1(VALU_DEP_2)
	v_sub_f32_e32 v12, v21, v20
	v_add_f32_e32 v4, v4, v11
	s_delay_alu instid0(VALU_DEP_1) | instskip(NEXT) | instid1(VALU_DEP_1)
	v_dual_add_f32 v11, v22, v19 :: v_dual_add_f32 v4, v12, v4
	v_sub_f32_e32 v12, v11, v22
	s_delay_alu instid0(VALU_DEP_2) | instskip(NEXT) | instid1(VALU_DEP_2)
	v_add_f32_e32 v4, v23, v4
	v_sub_f32_e32 v12, v19, v12
	s_delay_alu instid0(VALU_DEP_2) | instskip(NEXT) | instid1(VALU_DEP_1)
	v_mul_f32_e32 v4, v6, v4
	v_add_f32_e32 v4, v12, v4
	s_delay_alu instid0(VALU_DEP_1) | instskip(NEXT) | instid1(VALU_DEP_1)
	v_add_f32_e32 v6, v11, v4
	v_mul_f32_e32 v12, v6, v6
	s_delay_alu instid0(VALU_DEP_1) | instskip(SKIP_2) | instid1(VALU_DEP_3)
	v_fmaak_f32 v19, s2, v12, 0x3ecc95a3
	v_mul_f32_e32 v20, v6, v12
	v_cmp_eq_f32_e64 s2, 0x7f800000, v5
	v_fmaak_f32 v12, v12, v19, 0x3f2aaada
	v_ldexp_f32 v19, v6, 1
	v_sub_f32_e32 v6, v6, v11
	s_delay_alu instid0(VALU_DEP_4) | instskip(NEXT) | instid1(VALU_DEP_3)
	s_or_b32 s2, s2, s6
	v_mul_f32_e32 v12, v20, v12
	s_delay_alu instid0(VALU_DEP_1) | instskip(NEXT) | instid1(VALU_DEP_1)
	v_dual_sub_f32 v4, v4, v6 :: v_dual_add_f32 v11, v19, v12
	v_ldexp_f32 v4, v4, 1
	s_delay_alu instid0(VALU_DEP_2) | instskip(NEXT) | instid1(VALU_DEP_1)
	v_sub_f32_e32 v6, v11, v19
	v_sub_f32_e32 v6, v12, v6
	s_delay_alu instid0(VALU_DEP_1) | instskip(NEXT) | instid1(VALU_DEP_1)
	v_add_f32_e32 v4, v4, v6
	v_add_f32_e32 v12, v11, v4
	v_mul_f32_e32 v20, 0x3f317218, v3
	s_delay_alu instid0(VALU_DEP_2) | instskip(NEXT) | instid1(VALU_DEP_2)
	v_sub_f32_e32 v11, v12, v11
	v_fma_f32 v19, 0x3f317218, v3, -v20
	s_delay_alu instid0(VALU_DEP_1) | instskip(NEXT) | instid1(VALU_DEP_1)
	v_dual_sub_f32 v4, v4, v11 :: v_dual_fmamk_f32 v3, v3, 0xb102e308, v19
	v_add_f32_e32 v6, v20, v3
	s_delay_alu instid0(VALU_DEP_1) | instskip(NEXT) | instid1(VALU_DEP_1)
	v_add_f32_e32 v19, v6, v12
	v_dual_sub_f32 v20, v6, v20 :: v_dual_sub_f32 v21, v19, v6
	s_delay_alu instid0(VALU_DEP_1) | instskip(NEXT) | instid1(VALU_DEP_2)
	v_sub_f32_e32 v3, v3, v20
	v_sub_f32_e32 v22, v19, v21
	s_delay_alu instid0(VALU_DEP_2) | instskip(NEXT) | instid1(VALU_DEP_2)
	v_dual_sub_f32 v11, v12, v21 :: v_dual_add_f32 v12, v3, v4
	v_sub_f32_e32 v6, v6, v22
	s_delay_alu instid0(VALU_DEP_1) | instskip(NEXT) | instid1(VALU_DEP_1)
	v_dual_add_f32 v6, v11, v6 :: v_dual_sub_f32 v11, v12, v3
	v_add_f32_e32 v6, v12, v6
	s_delay_alu instid0(VALU_DEP_2) | instskip(SKIP_1) | instid1(VALU_DEP_3)
	v_sub_f32_e32 v12, v12, v11
	v_sub_f32_e32 v4, v4, v11
	v_add_f32_e32 v20, v19, v6
	s_delay_alu instid0(VALU_DEP_3) | instskip(NEXT) | instid1(VALU_DEP_2)
	v_sub_f32_e32 v3, v3, v12
	v_sub_f32_e32 v11, v20, v19
	s_delay_alu instid0(VALU_DEP_2) | instskip(NEXT) | instid1(VALU_DEP_2)
	v_add_f32_e32 v3, v4, v3
	v_sub_f32_e32 v4, v6, v11
	s_delay_alu instid0(VALU_DEP_1) | instskip(NEXT) | instid1(VALU_DEP_1)
	v_add_f32_e32 v3, v3, v4
	v_add_f32_e32 v3, v20, v3
	s_delay_alu instid0(VALU_DEP_1) | instskip(NEXT) | instid1(VALU_DEP_1)
	v_cndmask_b32_e64 v3, v3, v5, s2
	v_add_f32_e32 v4, v1, v3
.LBB126_222:
	s_or_b32 exec_lo, exec_lo, s5
	s_delay_alu instid0(VALU_DEP_1) | instskip(SKIP_2) | instid1(VALU_DEP_2)
	v_max_f32_e32 v3, v4, v4
	v_mov_b32_e32 v1, v4
	;;#ASMSTART
	;;#ASMEND
	v_max_f32_e32 v12, v3, v18
	v_min_f32_e32 v11, v3, v18
	v_mov_b32_e32 v3, v4
	v_mov_b32_e32 v4, v5
	;; [unrolled: 1-line block ×4, first 2 shown]
.LBB126_223:
	s_or_b32 exec_lo, exec_lo, s3
	v_cmp_u_f32_e64 s2, v1, v1
	s_waitcnt lgkmcnt(0)
	s_delay_alu instid0(VALU_DEP_1) | instskip(SKIP_1) | instid1(VALU_DEP_2)
	v_cndmask_b32_e64 v4, v11, v1, s2
	v_cndmask_b32_e64 v5, v12, v1, s2
	v_cndmask_b32_e32 v4, v4, v2, vcc_lo
	s_delay_alu instid0(VALU_DEP_2) | instskip(NEXT) | instid1(VALU_DEP_2)
	v_cndmask_b32_e32 v2, v5, v2, vcc_lo
	v_cmp_class_f32_e64 s2, v4, 0x1f8
	s_delay_alu instid0(VALU_DEP_2) | instskip(NEXT) | instid1(VALU_DEP_2)
	v_cmp_neq_f32_e32 vcc_lo, v4, v2
	s_or_b32 s3, vcc_lo, s2
	s_delay_alu instid0(SALU_CYCLE_1)
	s_and_saveexec_b32 s2, s3
	s_cbranch_execz .LBB126_225
; %bb.224:
	v_sub_f32_e32 v1, v4, v2
	s_mov_b32 s3, 0x3e9b6dac
	s_delay_alu instid0(VALU_DEP_1) | instskip(SKIP_1) | instid1(VALU_DEP_2)
	v_mul_f32_e32 v4, 0x3fb8aa3b, v1
	v_cmp_ngt_f32_e32 vcc_lo, 0xc2ce8ed0, v1
	v_fma_f32 v5, 0x3fb8aa3b, v1, -v4
	v_rndne_f32_e32 v6, v4
	s_delay_alu instid0(VALU_DEP_1) | instskip(NEXT) | instid1(VALU_DEP_1)
	v_dual_fmamk_f32 v5, v1, 0x32a5705f, v5 :: v_dual_sub_f32 v4, v4, v6
	v_add_f32_e32 v4, v4, v5
	v_cvt_i32_f32_e32 v5, v6
	s_delay_alu instid0(VALU_DEP_2) | instskip(SKIP_2) | instid1(VALU_DEP_1)
	v_exp_f32_e32 v4, v4
	s_waitcnt_depctr 0xfff
	v_ldexp_f32 v4, v4, v5
	v_cndmask_b32_e32 v4, 0, v4, vcc_lo
	v_cmp_nlt_f32_e32 vcc_lo, 0x42b17218, v1
	s_delay_alu instid0(VALU_DEP_2) | instskip(NEXT) | instid1(VALU_DEP_1)
	v_cndmask_b32_e32 v1, 0x7f800000, v4, vcc_lo
	v_add_f32_e32 v6, 1.0, v1
	s_delay_alu instid0(VALU_DEP_1) | instskip(NEXT) | instid1(VALU_DEP_1)
	v_cvt_f64_f32_e32 v[4:5], v6
	v_frexp_exp_i32_f64_e32 v4, v[4:5]
	v_frexp_mant_f32_e32 v5, v6
	s_delay_alu instid0(VALU_DEP_1) | instskip(SKIP_1) | instid1(VALU_DEP_1)
	v_cmp_gt_f32_e32 vcc_lo, 0x3f2aaaab, v5
	v_add_f32_e32 v5, -1.0, v6
	v_sub_f32_e32 v12, v5, v6
	s_delay_alu instid0(VALU_DEP_1) | instskip(NEXT) | instid1(VALU_DEP_1)
	v_dual_sub_f32 v5, v1, v5 :: v_dual_add_f32 v12, 1.0, v12
	v_add_f32_e32 v5, v5, v12
	v_subrev_co_ci_u32_e32 v4, vcc_lo, 0, v4, vcc_lo
	v_cmp_eq_f32_e32 vcc_lo, 0x7f800000, v1
	s_delay_alu instid0(VALU_DEP_2) | instskip(SKIP_1) | instid1(VALU_DEP_2)
	v_sub_nc_u32_e32 v11, 0, v4
	v_cvt_f32_i32_e32 v4, v4
	v_ldexp_f32 v6, v6, v11
	v_ldexp_f32 v5, v5, v11
	s_delay_alu instid0(VALU_DEP_2) | instskip(SKIP_1) | instid1(VALU_DEP_1)
	v_add_f32_e32 v11, -1.0, v6
	v_add_f32_e32 v18, 1.0, v6
	v_add_f32_e32 v12, -1.0, v18
	s_delay_alu instid0(VALU_DEP_1) | instskip(NEXT) | instid1(VALU_DEP_1)
	v_dual_sub_f32 v12, v6, v12 :: v_dual_add_f32 v19, 1.0, v11
	v_add_f32_e32 v12, v5, v12
	s_delay_alu instid0(VALU_DEP_2) | instskip(NEXT) | instid1(VALU_DEP_1)
	v_sub_f32_e32 v6, v6, v19
	v_add_f32_e32 v5, v5, v6
	s_delay_alu instid0(VALU_DEP_1) | instskip(NEXT) | instid1(VALU_DEP_1)
	v_add_f32_e32 v20, v11, v5
	v_sub_f32_e32 v11, v11, v20
	v_add_f32_e32 v19, v18, v12
	s_delay_alu instid0(VALU_DEP_1) | instskip(SKIP_1) | instid1(VALU_DEP_3)
	v_rcp_f32_e32 v6, v19
	v_sub_f32_e32 v18, v18, v19
	v_add_f32_e32 v5, v5, v11
	s_waitcnt_depctr 0xfff
	v_mul_f32_e32 v21, v20, v6
	v_add_f32_e32 v12, v12, v18
	s_delay_alu instid0(VALU_DEP_2) | instskip(NEXT) | instid1(VALU_DEP_1)
	v_mul_f32_e32 v22, v19, v21
	v_fma_f32 v18, v21, v19, -v22
	s_delay_alu instid0(VALU_DEP_1) | instskip(NEXT) | instid1(VALU_DEP_1)
	v_fmac_f32_e32 v18, v21, v12
	v_add_f32_e32 v23, v22, v18
	s_delay_alu instid0(VALU_DEP_1) | instskip(NEXT) | instid1(VALU_DEP_1)
	v_sub_f32_e32 v24, v20, v23
	v_sub_f32_e32 v20, v20, v24
	s_delay_alu instid0(VALU_DEP_1) | instskip(NEXT) | instid1(VALU_DEP_1)
	v_sub_f32_e32 v20, v20, v23
	v_add_f32_e32 v5, v5, v20
	v_sub_f32_e32 v11, v23, v22
	s_delay_alu instid0(VALU_DEP_1) | instskip(NEXT) | instid1(VALU_DEP_1)
	v_sub_f32_e32 v11, v11, v18
	v_add_f32_e32 v5, v11, v5
	s_delay_alu instid0(VALU_DEP_1) | instskip(NEXT) | instid1(VALU_DEP_1)
	v_add_f32_e32 v11, v24, v5
	v_mul_f32_e32 v18, v6, v11
	s_delay_alu instid0(VALU_DEP_1) | instskip(NEXT) | instid1(VALU_DEP_1)
	v_dual_mul_f32 v20, v19, v18 :: v_dual_sub_f32 v23, v24, v11
	v_fma_f32 v19, v18, v19, -v20
	s_delay_alu instid0(VALU_DEP_1) | instskip(NEXT) | instid1(VALU_DEP_1)
	v_fmac_f32_e32 v19, v18, v12
	v_add_f32_e32 v12, v20, v19
	s_delay_alu instid0(VALU_DEP_1) | instskip(NEXT) | instid1(VALU_DEP_1)
	v_dual_add_f32 v5, v5, v23 :: v_dual_sub_f32 v22, v11, v12
	v_sub_f32_e32 v11, v11, v22
	s_delay_alu instid0(VALU_DEP_1) | instskip(NEXT) | instid1(VALU_DEP_1)
	v_sub_f32_e32 v11, v11, v12
	v_add_f32_e32 v5, v5, v11
	v_dual_add_f32 v11, v21, v18 :: v_dual_sub_f32 v20, v12, v20
	s_delay_alu instid0(VALU_DEP_1) | instskip(NEXT) | instid1(VALU_DEP_1)
	v_sub_f32_e32 v12, v20, v19
	v_add_f32_e32 v5, v12, v5
	s_delay_alu instid0(VALU_DEP_3) | instskip(NEXT) | instid1(VALU_DEP_1)
	v_sub_f32_e32 v12, v11, v21
	v_sub_f32_e32 v12, v18, v12
	s_delay_alu instid0(VALU_DEP_3) | instskip(NEXT) | instid1(VALU_DEP_1)
	v_add_f32_e32 v5, v22, v5
	v_mul_f32_e32 v5, v6, v5
	s_delay_alu instid0(VALU_DEP_1) | instskip(NEXT) | instid1(VALU_DEP_1)
	v_add_f32_e32 v5, v12, v5
	v_add_f32_e32 v6, v11, v5
	s_delay_alu instid0(VALU_DEP_1) | instskip(NEXT) | instid1(VALU_DEP_1)
	v_mul_f32_e32 v12, v6, v6
	v_fmaak_f32 v18, s3, v12, 0x3ecc95a3
	v_mul_f32_e32 v19, v6, v12
	v_cmp_gt_f32_e64 s3, 0x33800000, |v1|
	s_delay_alu instid0(VALU_DEP_3) | instskip(SKIP_2) | instid1(VALU_DEP_4)
	v_fmaak_f32 v12, v12, v18, 0x3f2aaada
	v_ldexp_f32 v18, v6, 1
	v_sub_f32_e32 v6, v6, v11
	s_or_b32 vcc_lo, vcc_lo, s3
	s_delay_alu instid0(VALU_DEP_3) | instskip(SKIP_1) | instid1(VALU_DEP_3)
	v_mul_f32_e32 v12, v19, v12
	v_mul_f32_e32 v19, 0x3f317218, v4
	v_sub_f32_e32 v5, v5, v6
	s_delay_alu instid0(VALU_DEP_3) | instskip(NEXT) | instid1(VALU_DEP_2)
	v_add_f32_e32 v11, v18, v12
	v_ldexp_f32 v5, v5, 1
	s_delay_alu instid0(VALU_DEP_2) | instskip(SKIP_1) | instid1(VALU_DEP_2)
	v_sub_f32_e32 v6, v11, v18
	v_fma_f32 v18, 0x3f317218, v4, -v19
	v_sub_f32_e32 v6, v12, v6
	s_delay_alu instid0(VALU_DEP_1) | instskip(NEXT) | instid1(VALU_DEP_1)
	v_dual_fmamk_f32 v4, v4, 0xb102e308, v18 :: v_dual_add_f32 v5, v5, v6
	v_add_f32_e32 v12, v11, v5
	s_delay_alu instid0(VALU_DEP_1) | instskip(NEXT) | instid1(VALU_DEP_1)
	v_dual_sub_f32 v11, v12, v11 :: v_dual_add_f32 v6, v19, v4
	v_sub_f32_e32 v5, v5, v11
	s_delay_alu instid0(VALU_DEP_2) | instskip(SKIP_1) | instid1(VALU_DEP_2)
	v_sub_f32_e32 v19, v6, v19
	v_add_f32_e32 v18, v6, v12
	v_sub_f32_e32 v4, v4, v19
	s_delay_alu instid0(VALU_DEP_2) | instskip(NEXT) | instid1(VALU_DEP_1)
	v_sub_f32_e32 v20, v18, v6
	v_sub_f32_e32 v21, v18, v20
	;; [unrolled: 1-line block ×3, first 2 shown]
	s_delay_alu instid0(VALU_DEP_4) | instskip(NEXT) | instid1(VALU_DEP_3)
	v_add_f32_e32 v12, v4, v5
	v_sub_f32_e32 v6, v6, v21
	s_delay_alu instid0(VALU_DEP_1) | instskip(NEXT) | instid1(VALU_DEP_1)
	v_dual_add_f32 v6, v11, v6 :: v_dual_sub_f32 v11, v12, v4
	v_add_f32_e32 v6, v12, v6
	s_delay_alu instid0(VALU_DEP_2) | instskip(SKIP_1) | instid1(VALU_DEP_3)
	v_sub_f32_e32 v12, v12, v11
	v_sub_f32_e32 v5, v5, v11
	v_add_f32_e32 v19, v18, v6
	s_delay_alu instid0(VALU_DEP_1) | instskip(NEXT) | instid1(VALU_DEP_1)
	v_dual_sub_f32 v11, v19, v18 :: v_dual_sub_f32 v4, v4, v12
	v_dual_add_f32 v4, v5, v4 :: v_dual_sub_f32 v5, v6, v11
	s_delay_alu instid0(VALU_DEP_1) | instskip(NEXT) | instid1(VALU_DEP_1)
	v_add_f32_e32 v4, v4, v5
	v_add_f32_e32 v4, v19, v4
	s_delay_alu instid0(VALU_DEP_1) | instskip(NEXT) | instid1(VALU_DEP_1)
	v_cndmask_b32_e32 v1, v4, v1, vcc_lo
	v_add_f32_e32 v1, v2, v1
.LBB126_225:
	s_or_b32 exec_lo, exec_lo, s2
	s_delay_alu instid0(VALU_DEP_1) | instskip(SKIP_1) | instid1(VALU_DEP_2)
	v_max_f32_e32 v2, v1, v1
	v_cmp_u_f32_e32 vcc_lo, v1, v1
	v_dual_mov_b32 v5, v1 :: v_dual_min_f32 v4, v2, v9
	v_max_f32_e32 v2, v2, v9
	s_delay_alu instid0(VALU_DEP_2) | instskip(NEXT) | instid1(VALU_DEP_2)
	v_cndmask_b32_e32 v4, v4, v1, vcc_lo
	v_cndmask_b32_e32 v2, v2, v1, vcc_lo
	s_delay_alu instid0(VALU_DEP_2) | instskip(NEXT) | instid1(VALU_DEP_2)
	v_cndmask_b32_e64 v4, v4, v7, s1
	v_cndmask_b32_e64 v2, v2, v7, s1
	s_delay_alu instid0(VALU_DEP_2) | instskip(NEXT) | instid1(VALU_DEP_2)
	v_cmp_class_f32_e64 s1, v4, 0x1f8
	v_cmp_neq_f32_e32 vcc_lo, v4, v2
	s_delay_alu instid0(VALU_DEP_2) | instskip(NEXT) | instid1(SALU_CYCLE_1)
	s_or_b32 s2, vcc_lo, s1
	s_and_saveexec_b32 s1, s2
	s_cbranch_execz .LBB126_227
; %bb.226:
	v_sub_f32_e32 v4, v4, v2
	s_mov_b32 s2, 0x3e9b6dac
	s_delay_alu instid0(VALU_DEP_1) | instskip(NEXT) | instid1(VALU_DEP_1)
	v_mul_f32_e32 v5, 0x3fb8aa3b, v4
	v_fma_f32 v6, 0x3fb8aa3b, v4, -v5
	v_rndne_f32_e32 v7, v5
	s_delay_alu instid0(VALU_DEP_1) | instskip(SKIP_1) | instid1(VALU_DEP_4)
	v_sub_f32_e32 v5, v5, v7
	v_cmp_ngt_f32_e32 vcc_lo, 0xc2ce8ed0, v4
	v_fmamk_f32 v6, v4, 0x32a5705f, v6
	s_delay_alu instid0(VALU_DEP_1) | instskip(SKIP_1) | instid1(VALU_DEP_2)
	v_add_f32_e32 v5, v5, v6
	v_cvt_i32_f32_e32 v6, v7
	v_exp_f32_e32 v5, v5
	s_waitcnt_depctr 0xfff
	v_ldexp_f32 v5, v5, v6
	s_delay_alu instid0(VALU_DEP_1) | instskip(SKIP_1) | instid1(VALU_DEP_2)
	v_cndmask_b32_e32 v5, 0, v5, vcc_lo
	v_cmp_nlt_f32_e32 vcc_lo, 0x42b17218, v4
	v_cndmask_b32_e32 v6, 0x7f800000, v5, vcc_lo
	s_delay_alu instid0(VALU_DEP_1) | instskip(NEXT) | instid1(VALU_DEP_1)
	v_add_f32_e32 v7, 1.0, v6
	v_cvt_f64_f32_e32 v[4:5], v7
	s_delay_alu instid0(VALU_DEP_1) | instskip(SKIP_1) | instid1(VALU_DEP_1)
	v_frexp_exp_i32_f64_e32 v4, v[4:5]
	v_frexp_mant_f32_e32 v5, v7
	v_cmp_gt_f32_e32 vcc_lo, 0x3f2aaaab, v5
	v_add_f32_e32 v5, -1.0, v7
	s_delay_alu instid0(VALU_DEP_1) | instskip(SKIP_1) | instid1(VALU_DEP_2)
	v_sub_f32_e32 v11, v5, v7
	v_sub_f32_e32 v5, v6, v5
	v_add_f32_e32 v11, 1.0, v11
	s_delay_alu instid0(VALU_DEP_1) | instskip(SKIP_2) | instid1(VALU_DEP_2)
	v_add_f32_e32 v5, v5, v11
	v_subrev_co_ci_u32_e32 v4, vcc_lo, 0, v4, vcc_lo
	v_cmp_eq_f32_e32 vcc_lo, 0x7f800000, v6
	v_sub_nc_u32_e32 v9, 0, v4
	v_cvt_f32_i32_e32 v4, v4
	s_delay_alu instid0(VALU_DEP_2) | instskip(SKIP_1) | instid1(VALU_DEP_2)
	v_ldexp_f32 v7, v7, v9
	v_ldexp_f32 v5, v5, v9
	v_add_f32_e32 v12, 1.0, v7
	v_add_f32_e32 v9, -1.0, v7
	s_delay_alu instid0(VALU_DEP_1) | instskip(NEXT) | instid1(VALU_DEP_1)
	v_dual_add_f32 v11, -1.0, v12 :: v_dual_add_f32 v18, 1.0, v9
	v_sub_f32_e32 v11, v7, v11
	s_delay_alu instid0(VALU_DEP_2) | instskip(NEXT) | instid1(VALU_DEP_2)
	v_sub_f32_e32 v7, v7, v18
	v_add_f32_e32 v11, v5, v11
	s_delay_alu instid0(VALU_DEP_2) | instskip(NEXT) | instid1(VALU_DEP_2)
	v_add_f32_e32 v5, v5, v7
	v_add_f32_e32 v18, v12, v11
	s_delay_alu instid0(VALU_DEP_1) | instskip(SKIP_1) | instid1(VALU_DEP_1)
	v_rcp_f32_e32 v7, v18
	v_sub_f32_e32 v12, v12, v18
	v_add_f32_e32 v11, v11, v12
	v_add_f32_e32 v19, v9, v5
	s_waitcnt_depctr 0xfff
	v_mul_f32_e32 v20, v19, v7
	v_sub_f32_e32 v9, v9, v19
	s_delay_alu instid0(VALU_DEP_2) | instskip(NEXT) | instid1(VALU_DEP_2)
	v_mul_f32_e32 v21, v18, v20
	v_add_f32_e32 v5, v5, v9
	s_delay_alu instid0(VALU_DEP_2) | instskip(NEXT) | instid1(VALU_DEP_1)
	v_fma_f32 v12, v20, v18, -v21
	v_fmac_f32_e32 v12, v20, v11
	s_delay_alu instid0(VALU_DEP_1) | instskip(NEXT) | instid1(VALU_DEP_1)
	v_add_f32_e32 v22, v21, v12
	v_sub_f32_e32 v23, v19, v22
	v_sub_f32_e32 v9, v22, v21
	s_delay_alu instid0(VALU_DEP_2) | instskip(NEXT) | instid1(VALU_DEP_2)
	v_sub_f32_e32 v19, v19, v23
	v_sub_f32_e32 v9, v9, v12
	s_delay_alu instid0(VALU_DEP_2) | instskip(NEXT) | instid1(VALU_DEP_1)
	v_sub_f32_e32 v19, v19, v22
	v_add_f32_e32 v5, v5, v19
	s_delay_alu instid0(VALU_DEP_1) | instskip(NEXT) | instid1(VALU_DEP_1)
	v_add_f32_e32 v5, v9, v5
	v_add_f32_e32 v9, v23, v5
	s_delay_alu instid0(VALU_DEP_1) | instskip(NEXT) | instid1(VALU_DEP_1)
	v_mul_f32_e32 v12, v7, v9
	v_dual_sub_f32 v22, v23, v9 :: v_dual_mul_f32 v19, v18, v12
	s_delay_alu instid0(VALU_DEP_1) | instskip(NEXT) | instid1(VALU_DEP_2)
	v_add_f32_e32 v5, v5, v22
	v_fma_f32 v18, v12, v18, -v19
	s_delay_alu instid0(VALU_DEP_1) | instskip(NEXT) | instid1(VALU_DEP_1)
	v_fmac_f32_e32 v18, v12, v11
	v_add_f32_e32 v11, v19, v18
	s_delay_alu instid0(VALU_DEP_1) | instskip(SKIP_1) | instid1(VALU_DEP_2)
	v_sub_f32_e32 v21, v9, v11
	v_sub_f32_e32 v19, v11, v19
	;; [unrolled: 1-line block ×3, first 2 shown]
	s_delay_alu instid0(VALU_DEP_1) | instskip(NEXT) | instid1(VALU_DEP_3)
	v_sub_f32_e32 v9, v9, v11
	v_sub_f32_e32 v11, v19, v18
	s_delay_alu instid0(VALU_DEP_2) | instskip(SKIP_1) | instid1(VALU_DEP_2)
	v_add_f32_e32 v5, v5, v9
	v_add_f32_e32 v9, v20, v12
	;; [unrolled: 1-line block ×3, first 2 shown]
	s_delay_alu instid0(VALU_DEP_2) | instskip(NEXT) | instid1(VALU_DEP_2)
	v_sub_f32_e32 v11, v9, v20
	v_add_f32_e32 v5, v21, v5
	s_delay_alu instid0(VALU_DEP_2) | instskip(NEXT) | instid1(VALU_DEP_2)
	v_sub_f32_e32 v11, v12, v11
	v_mul_f32_e32 v5, v7, v5
	s_delay_alu instid0(VALU_DEP_1) | instskip(NEXT) | instid1(VALU_DEP_1)
	v_add_f32_e32 v5, v11, v5
	v_add_f32_e32 v7, v9, v5
	s_delay_alu instid0(VALU_DEP_1) | instskip(NEXT) | instid1(VALU_DEP_1)
	v_mul_f32_e32 v11, v7, v7
	v_fmaak_f32 v12, s2, v11, 0x3ecc95a3
	v_mul_f32_e32 v18, v7, v11
	v_cmp_gt_f32_e64 s2, 0x33800000, |v6|
	s_delay_alu instid0(VALU_DEP_3) | instskip(SKIP_2) | instid1(VALU_DEP_4)
	v_fmaak_f32 v11, v11, v12, 0x3f2aaada
	v_ldexp_f32 v12, v7, 1
	v_sub_f32_e32 v7, v7, v9
	s_or_b32 vcc_lo, vcc_lo, s2
	s_delay_alu instid0(VALU_DEP_3) | instskip(NEXT) | instid1(VALU_DEP_2)
	v_dual_mul_f32 v11, v18, v11 :: v_dual_mul_f32 v18, 0x3f317218, v4
	v_sub_f32_e32 v5, v5, v7
	s_delay_alu instid0(VALU_DEP_2) | instskip(NEXT) | instid1(VALU_DEP_2)
	v_add_f32_e32 v9, v12, v11
	v_ldexp_f32 v5, v5, 1
	s_delay_alu instid0(VALU_DEP_2) | instskip(SKIP_1) | instid1(VALU_DEP_1)
	v_sub_f32_e32 v7, v9, v12
	v_fma_f32 v12, 0x3f317218, v4, -v18
	v_dual_sub_f32 v7, v11, v7 :: v_dual_fmamk_f32 v4, v4, 0xb102e308, v12
	s_delay_alu instid0(VALU_DEP_1) | instskip(NEXT) | instid1(VALU_DEP_2)
	v_add_f32_e32 v5, v5, v7
	v_add_f32_e32 v7, v18, v4
	s_delay_alu instid0(VALU_DEP_1) | instskip(NEXT) | instid1(VALU_DEP_1)
	v_dual_add_f32 v11, v9, v5 :: v_dual_sub_f32 v18, v7, v18
	v_add_f32_e32 v12, v7, v11
	s_delay_alu instid0(VALU_DEP_2) | instskip(NEXT) | instid1(VALU_DEP_2)
	v_dual_sub_f32 v9, v11, v9 :: v_dual_sub_f32 v4, v4, v18
	v_sub_f32_e32 v19, v12, v7
	s_delay_alu instid0(VALU_DEP_1) | instskip(SKIP_1) | instid1(VALU_DEP_2)
	v_dual_sub_f32 v5, v5, v9 :: v_dual_sub_f32 v20, v12, v19
	v_sub_f32_e32 v9, v11, v19
	v_add_f32_e32 v11, v4, v5
	s_delay_alu instid0(VALU_DEP_3) | instskip(NEXT) | instid1(VALU_DEP_1)
	v_sub_f32_e32 v7, v7, v20
	v_add_f32_e32 v7, v9, v7
	s_delay_alu instid0(VALU_DEP_3) | instskip(NEXT) | instid1(VALU_DEP_2)
	v_sub_f32_e32 v9, v11, v4
	v_add_f32_e32 v7, v11, v7
	s_delay_alu instid0(VALU_DEP_2) | instskip(NEXT) | instid1(VALU_DEP_2)
	v_sub_f32_e32 v11, v11, v9
	v_dual_sub_f32 v5, v5, v9 :: v_dual_add_f32 v18, v12, v7
	s_delay_alu instid0(VALU_DEP_1) | instskip(NEXT) | instid1(VALU_DEP_1)
	v_dual_sub_f32 v4, v4, v11 :: v_dual_sub_f32 v9, v18, v12
	v_dual_add_f32 v4, v5, v4 :: v_dual_sub_f32 v5, v7, v9
	s_delay_alu instid0(VALU_DEP_1) | instskip(NEXT) | instid1(VALU_DEP_1)
	v_add_f32_e32 v4, v4, v5
	v_add_f32_e32 v4, v18, v4
	s_delay_alu instid0(VALU_DEP_1) | instskip(NEXT) | instid1(VALU_DEP_1)
	v_cndmask_b32_e32 v4, v4, v6, vcc_lo
	v_add_f32_e32 v5, v2, v4
.LBB126_227:
	s_or_b32 exec_lo, exec_lo, s1
	s_delay_alu instid0(VALU_DEP_1) | instskip(SKIP_2) | instid1(VALU_DEP_3)
	v_max_f32_e32 v2, v5, v5
	v_cmp_u_f32_e32 vcc_lo, v5, v5
	v_mov_b32_e32 v6, v5
	v_min_f32_e32 v4, v2, v10
	v_max_f32_e32 v2, v2, v10
	s_delay_alu instid0(VALU_DEP_2) | instskip(NEXT) | instid1(VALU_DEP_2)
	v_cndmask_b32_e32 v4, v4, v5, vcc_lo
	v_cndmask_b32_e32 v2, v2, v5, vcc_lo
	s_delay_alu instid0(VALU_DEP_2) | instskip(NEXT) | instid1(VALU_DEP_2)
	v_cndmask_b32_e64 v4, v4, v8, s4
	v_cndmask_b32_e64 v2, v2, v8, s4
	s_delay_alu instid0(VALU_DEP_2) | instskip(NEXT) | instid1(VALU_DEP_2)
	v_cmp_class_f32_e64 s1, v4, 0x1f8
	v_cmp_neq_f32_e32 vcc_lo, v4, v2
	s_delay_alu instid0(VALU_DEP_2) | instskip(NEXT) | instid1(SALU_CYCLE_1)
	s_or_b32 s2, vcc_lo, s1
	s_and_saveexec_b32 s1, s2
	s_cbranch_execz .LBB126_229
; %bb.228:
	v_sub_f32_e32 v4, v4, v2
	s_mov_b32 s2, 0x3e9b6dac
	s_delay_alu instid0(VALU_DEP_1) | instskip(SKIP_1) | instid1(VALU_DEP_2)
	v_mul_f32_e32 v6, 0x3fb8aa3b, v4
	v_cmp_ngt_f32_e32 vcc_lo, 0xc2ce8ed0, v4
	v_fma_f32 v7, 0x3fb8aa3b, v4, -v6
	v_rndne_f32_e32 v8, v6
	s_delay_alu instid0(VALU_DEP_1) | instskip(NEXT) | instid1(VALU_DEP_1)
	v_dual_fmamk_f32 v7, v4, 0x32a5705f, v7 :: v_dual_sub_f32 v6, v6, v8
	v_add_f32_e32 v6, v6, v7
	v_cvt_i32_f32_e32 v7, v8
	s_delay_alu instid0(VALU_DEP_2) | instskip(SKIP_2) | instid1(VALU_DEP_1)
	v_exp_f32_e32 v6, v6
	s_waitcnt_depctr 0xfff
	v_ldexp_f32 v6, v6, v7
	v_cndmask_b32_e32 v6, 0, v6, vcc_lo
	v_cmp_nlt_f32_e32 vcc_lo, 0x42b17218, v4
	s_delay_alu instid0(VALU_DEP_2) | instskip(NEXT) | instid1(VALU_DEP_1)
	v_cndmask_b32_e32 v4, 0x7f800000, v6, vcc_lo
	v_add_f32_e32 v8, 1.0, v4
	s_delay_alu instid0(VALU_DEP_1) | instskip(NEXT) | instid1(VALU_DEP_1)
	v_cvt_f64_f32_e32 v[6:7], v8
	v_frexp_exp_i32_f64_e32 v6, v[6:7]
	v_frexp_mant_f32_e32 v7, v8
	s_delay_alu instid0(VALU_DEP_1) | instskip(SKIP_1) | instid1(VALU_DEP_1)
	v_cmp_gt_f32_e32 vcc_lo, 0x3f2aaaab, v7
	v_add_f32_e32 v7, -1.0, v8
	v_dual_sub_f32 v10, v7, v8 :: v_dual_sub_f32 v7, v4, v7
	s_delay_alu instid0(VALU_DEP_1) | instskip(NEXT) | instid1(VALU_DEP_1)
	v_add_f32_e32 v10, 1.0, v10
	v_add_f32_e32 v7, v7, v10
	v_subrev_co_ci_u32_e32 v6, vcc_lo, 0, v6, vcc_lo
	s_delay_alu instid0(VALU_DEP_1) | instskip(SKIP_1) | instid1(VALU_DEP_2)
	v_sub_nc_u32_e32 v9, 0, v6
	v_cvt_f32_i32_e32 v6, v6
	v_ldexp_f32 v8, v8, v9
	v_ldexp_f32 v7, v7, v9
	s_delay_alu instid0(VALU_DEP_2) | instskip(NEXT) | instid1(VALU_DEP_1)
	v_add_f32_e32 v11, 1.0, v8
	v_dual_add_f32 v9, -1.0, v8 :: v_dual_add_f32 v10, -1.0, v11
	s_delay_alu instid0(VALU_DEP_1) | instskip(NEXT) | instid1(VALU_DEP_2)
	v_add_f32_e32 v12, 1.0, v9
	v_sub_f32_e32 v10, v8, v10
	s_delay_alu instid0(VALU_DEP_2) | instskip(NEXT) | instid1(VALU_DEP_2)
	v_sub_f32_e32 v8, v8, v12
	v_add_f32_e32 v10, v7, v10
	s_delay_alu instid0(VALU_DEP_2) | instskip(SKIP_1) | instid1(VALU_DEP_3)
	v_add_f32_e32 v7, v7, v8
	v_cmp_eq_f32_e32 vcc_lo, 0x7f800000, v4
	v_add_f32_e32 v12, v11, v10
	s_delay_alu instid0(VALU_DEP_1) | instskip(NEXT) | instid1(VALU_DEP_3)
	v_rcp_f32_e32 v8, v12
	v_dual_add_f32 v18, v9, v7 :: v_dual_sub_f32 v11, v11, v12
	s_delay_alu instid0(VALU_DEP_1) | instskip(SKIP_2) | instid1(VALU_DEP_1)
	v_dual_sub_f32 v9, v9, v18 :: v_dual_add_f32 v10, v10, v11
	s_waitcnt_depctr 0xfff
	v_mul_f32_e32 v19, v18, v8
	v_dual_add_f32 v7, v7, v9 :: v_dual_mul_f32 v20, v12, v19
	s_delay_alu instid0(VALU_DEP_1) | instskip(NEXT) | instid1(VALU_DEP_1)
	v_fma_f32 v11, v19, v12, -v20
	v_fmac_f32_e32 v11, v19, v10
	s_delay_alu instid0(VALU_DEP_1) | instskip(NEXT) | instid1(VALU_DEP_1)
	v_add_f32_e32 v21, v20, v11
	v_sub_f32_e32 v22, v18, v21
	s_delay_alu instid0(VALU_DEP_1) | instskip(NEXT) | instid1(VALU_DEP_1)
	v_sub_f32_e32 v18, v18, v22
	v_sub_f32_e32 v18, v18, v21
	s_delay_alu instid0(VALU_DEP_1) | instskip(SKIP_1) | instid1(VALU_DEP_1)
	v_add_f32_e32 v7, v7, v18
	v_sub_f32_e32 v9, v21, v20
	v_sub_f32_e32 v9, v9, v11
	s_delay_alu instid0(VALU_DEP_1) | instskip(NEXT) | instid1(VALU_DEP_1)
	v_add_f32_e32 v7, v9, v7
	v_add_f32_e32 v9, v22, v7
	s_delay_alu instid0(VALU_DEP_1) | instskip(NEXT) | instid1(VALU_DEP_1)
	v_mul_f32_e32 v11, v8, v9
	v_mul_f32_e32 v18, v12, v11
	s_delay_alu instid0(VALU_DEP_1) | instskip(NEXT) | instid1(VALU_DEP_1)
	v_fma_f32 v12, v11, v12, -v18
	v_dual_fmac_f32 v12, v11, v10 :: v_dual_sub_f32 v21, v22, v9
	s_delay_alu instid0(VALU_DEP_1) | instskip(NEXT) | instid1(VALU_DEP_1)
	v_dual_add_f32 v7, v7, v21 :: v_dual_add_f32 v10, v18, v12
	v_sub_f32_e32 v20, v9, v10
	s_delay_alu instid0(VALU_DEP_1) | instskip(NEXT) | instid1(VALU_DEP_1)
	v_sub_f32_e32 v9, v9, v20
	v_sub_f32_e32 v9, v9, v10
	s_delay_alu instid0(VALU_DEP_1) | instskip(SKIP_1) | instid1(VALU_DEP_1)
	v_add_f32_e32 v7, v7, v9
	v_dual_add_f32 v9, v19, v11 :: v_dual_sub_f32 v18, v10, v18
	v_sub_f32_e32 v10, v18, v12
	s_delay_alu instid0(VALU_DEP_1) | instskip(NEXT) | instid1(VALU_DEP_3)
	v_add_f32_e32 v7, v10, v7
	v_sub_f32_e32 v10, v9, v19
	s_delay_alu instid0(VALU_DEP_1) | instskip(NEXT) | instid1(VALU_DEP_1)
	v_dual_sub_f32 v10, v11, v10 :: v_dual_add_f32 v7, v20, v7
	v_mul_f32_e32 v7, v8, v7
	s_delay_alu instid0(VALU_DEP_1) | instskip(NEXT) | instid1(VALU_DEP_1)
	v_add_f32_e32 v7, v10, v7
	v_add_f32_e32 v8, v9, v7
	s_delay_alu instid0(VALU_DEP_1) | instskip(NEXT) | instid1(VALU_DEP_1)
	v_mul_f32_e32 v10, v8, v8
	v_fmaak_f32 v11, s2, v10, 0x3ecc95a3
	v_mul_f32_e32 v12, v8, v10
	v_cmp_gt_f32_e64 s2, 0x33800000, |v4|
	s_delay_alu instid0(VALU_DEP_3) | instskip(SKIP_1) | instid1(VALU_DEP_3)
	v_fmaak_f32 v10, v10, v11, 0x3f2aaada
	v_ldexp_f32 v11, v8, 1
	s_or_b32 vcc_lo, vcc_lo, s2
	s_delay_alu instid0(VALU_DEP_2) | instskip(NEXT) | instid1(VALU_DEP_1)
	v_mul_f32_e32 v10, v12, v10
	v_dual_sub_f32 v8, v8, v9 :: v_dual_add_f32 v9, v11, v10
	s_delay_alu instid0(VALU_DEP_1) | instskip(NEXT) | instid1(VALU_DEP_1)
	v_dual_sub_f32 v7, v7, v8 :: v_dual_sub_f32 v8, v9, v11
	v_ldexp_f32 v7, v7, 1
	s_delay_alu instid0(VALU_DEP_2) | instskip(NEXT) | instid1(VALU_DEP_1)
	v_sub_f32_e32 v8, v10, v8
	v_add_f32_e32 v7, v7, v8
	s_delay_alu instid0(VALU_DEP_1) | instskip(NEXT) | instid1(VALU_DEP_1)
	v_add_f32_e32 v10, v9, v7
	v_dual_mul_f32 v12, 0x3f317218, v6 :: v_dual_sub_f32 v9, v10, v9
	s_delay_alu instid0(VALU_DEP_1) | instskip(NEXT) | instid1(VALU_DEP_1)
	v_fma_f32 v11, 0x3f317218, v6, -v12
	v_dual_sub_f32 v7, v7, v9 :: v_dual_fmamk_f32 v6, v6, 0xb102e308, v11
	s_delay_alu instid0(VALU_DEP_1) | instskip(NEXT) | instid1(VALU_DEP_1)
	v_add_f32_e32 v8, v12, v6
	v_add_f32_e32 v11, v8, v10
	v_sub_f32_e32 v12, v8, v12
	s_delay_alu instid0(VALU_DEP_1) | instskip(NEXT) | instid1(VALU_DEP_3)
	v_sub_f32_e32 v6, v6, v12
	v_sub_f32_e32 v18, v11, v8
	s_delay_alu instid0(VALU_DEP_1) | instskip(SKIP_1) | instid1(VALU_DEP_4)
	v_sub_f32_e32 v19, v11, v18
	v_sub_f32_e32 v9, v10, v18
	v_add_f32_e32 v10, v6, v7
	s_delay_alu instid0(VALU_DEP_3) | instskip(NEXT) | instid1(VALU_DEP_1)
	v_sub_f32_e32 v8, v8, v19
	v_dual_add_f32 v8, v9, v8 :: v_dual_sub_f32 v9, v10, v6
	s_delay_alu instid0(VALU_DEP_1) | instskip(NEXT) | instid1(VALU_DEP_2)
	v_add_f32_e32 v8, v10, v8
	v_sub_f32_e32 v10, v10, v9
	v_sub_f32_e32 v7, v7, v9
	s_delay_alu instid0(VALU_DEP_3) | instskip(NEXT) | instid1(VALU_DEP_1)
	v_add_f32_e32 v12, v11, v8
	v_dual_sub_f32 v9, v12, v11 :: v_dual_sub_f32 v6, v6, v10
	s_delay_alu instid0(VALU_DEP_1) | instskip(NEXT) | instid1(VALU_DEP_1)
	v_dual_add_f32 v6, v7, v6 :: v_dual_sub_f32 v7, v8, v9
	v_add_f32_e32 v6, v6, v7
	s_delay_alu instid0(VALU_DEP_1) | instskip(NEXT) | instid1(VALU_DEP_1)
	v_add_f32_e32 v6, v12, v6
	v_cndmask_b32_e32 v4, v6, v4, vcc_lo
	s_delay_alu instid0(VALU_DEP_1)
	v_add_f32_e32 v6, v2, v4
.LBB126_229:
	s_or_b32 exec_lo, exec_lo, s1
	v_mov_b32_e32 v4, v1
	s_mov_b32 s1, exec_lo
	v_cmpx_eq_u32_e32 0xff, v0
	s_cbranch_execz .LBB126_231
; %bb.230:
	v_dual_mov_b32 v7, 0 :: v_dual_mov_b32 v2, 2
	v_mov_b32_e32 v1, v6
	global_store_b64 v7, v[1:2], s[10:11] offset:256
.LBB126_231:
	s_or_b32 exec_lo, exec_lo, s1
.LBB126_232:
	s_add_u32 s1, s24, s22
	v_lshlrev_b32_e32 v2, 4, v0
	v_lshrrev_b32_e32 v1, 5, v0
	s_addc_u32 s3, s25, s23
	s_add_u32 s2, s1, s20
	s_addc_u32 s3, s3, s21
	s_and_b32 vcc_lo, exec_lo, s0
	s_mov_b32 s0, -1
	s_waitcnt_vscnt null, 0x0
	s_barrier
	buffer_gl0_inv
	s_cbranch_vccz .LBB126_234
; %bb.233:
	v_lshl_add_u32 v7, v17, 2, v2
	v_lshrrev_b32_e32 v8, 5, v15
	v_lshrrev_b32_e32 v9, 5, v13
	v_add_lshl_u32 v10, v1, v0, 2
	s_mov_b32 s0, 0
	ds_store_2addr_b32 v7, v3, v4 offset1:1
	ds_store_2addr_b32 v7, v5, v6 offset0:2 offset1:3
	v_lshrrev_b32_e32 v7, 5, v14
	v_add_lshl_u32 v8, v8, v0, 2
	v_add_lshl_u32 v9, v9, v0, 2
	s_waitcnt lgkmcnt(0)
	s_barrier
	v_add_lshl_u32 v7, v7, v0, 2
	buffer_gl0_inv
	ds_load_b32 v10, v10
	ds_load_b32 v8, v8 offset:1024
	ds_load_b32 v9, v9 offset:2048
	ds_load_b32 v7, v7 offset:3072
	s_waitcnt lgkmcnt(3)
	global_store_b32 v16, v10, s[2:3]
	s_waitcnt lgkmcnt(2)
	global_store_b32 v16, v8, s[2:3] offset:1024
	s_waitcnt lgkmcnt(1)
	global_store_b32 v16, v9, s[2:3] offset:2048
	s_waitcnt lgkmcnt(0)
	global_store_b32 v16, v7, s[2:3] offset:3072
.LBB126_234:
	s_and_not1_b32 vcc_lo, exec_lo, s0
	s_cbranch_vccnz .LBB126_240
; %bb.235:
	v_lshl_add_u32 v2, v17, 2, v2
	v_lshrrev_b32_e32 v7, 5, v15
	v_lshrrev_b32_e32 v8, 5, v13
	v_add_lshl_u32 v1, v1, v0, 2
	ds_store_2addr_b32 v2, v3, v4 offset1:1
	ds_store_2addr_b32 v2, v5, v6 offset0:2 offset1:3
	v_lshrrev_b32_e32 v2, 5, v14
	v_add_lshl_u32 v3, v7, v0, 2
	v_add_lshl_u32 v6, v8, v0, 2
	s_waitcnt lgkmcnt(0)
	s_waitcnt_vscnt null, 0x0
	s_barrier
	v_add_lshl_u32 v2, v2, v0, 2
	buffer_gl0_inv
	ds_load_b32 v5, v1
	ds_load_b32 v4, v3 offset:1024
	ds_load_b32 v6, v6 offset:2048
	;; [unrolled: 1-line block ×3, first 2 shown]
	v_add_co_u32 v2, s0, s2, v16
	v_mov_b32_e32 v1, 0
	v_add_co_ci_u32_e64 v3, null, s3, 0, s0
	s_mov_b32 s0, exec_lo
	v_cmpx_gt_u32_e64 s26, v0
	s_cbranch_execnz .LBB126_244
; %bb.236:
	s_or_b32 exec_lo, exec_lo, s0
	s_delay_alu instid0(SALU_CYCLE_1)
	s_mov_b32 s0, exec_lo
	v_cmpx_gt_u32_e64 s26, v15
	s_cbranch_execnz .LBB126_245
.LBB126_237:
	s_or_b32 exec_lo, exec_lo, s0
	s_delay_alu instid0(SALU_CYCLE_1)
	s_mov_b32 s0, exec_lo
	v_cmpx_gt_u32_e64 s26, v13
	s_cbranch_execnz .LBB126_246
.LBB126_238:
	s_or_b32 exec_lo, exec_lo, s0
	s_delay_alu instid0(SALU_CYCLE_1)
	s_mov_b32 s0, exec_lo
	v_cmpx_gt_u32_e64 s26, v14
	s_cbranch_execnz .LBB126_247
.LBB126_239:
	s_or_b32 exec_lo, exec_lo, s0
	v_cmp_lt_u64_e64 s0, s[18:19], 2
	s_delay_alu instid0(VALU_DEP_1)
	s_and_b32 vcc_lo, exec_lo, s0
	s_cbranch_vccz .LBB126_248
.LBB126_240:
	s_nop 0
	s_sendmsg sendmsg(MSG_DEALLOC_VGPRS)
	s_endpgm
.LBB126_241:
	global_load_b32 v4, v16, s[4:5]
	s_or_b32 exec_lo, exec_lo, s6
	s_delay_alu instid0(SALU_CYCLE_1)
	s_mov_b32 s1, exec_lo
	v_cmpx_gt_u32_e64 s26, v15
	s_cbranch_execz .LBB126_9
.LBB126_242:
	global_load_b32 v1, v16, s[4:5] offset:1024
	s_or_b32 exec_lo, exec_lo, s1
	s_delay_alu instid0(SALU_CYCLE_1)
	s_mov_b32 s1, exec_lo
	v_cmpx_gt_u32_e64 s26, v13
	s_cbranch_execz .LBB126_10
.LBB126_243:
	global_load_b32 v3, v16, s[4:5] offset:2048
	s_or_b32 exec_lo, exec_lo, s1
	s_delay_alu instid0(SALU_CYCLE_1)
	s_mov_b32 s1, exec_lo
	v_cmpx_gt_u32_e64 s26, v14
	s_cbranch_execnz .LBB126_11
	s_branch .LBB126_12
.LBB126_244:
	s_waitcnt lgkmcnt(3)
	global_store_b32 v[2:3], v5, off
	s_or_b32 exec_lo, exec_lo, s0
	s_delay_alu instid0(SALU_CYCLE_1)
	s_mov_b32 s0, exec_lo
	v_cmpx_gt_u32_e64 s26, v15
	s_cbranch_execz .LBB126_237
.LBB126_245:
	s_waitcnt lgkmcnt(2)
	global_store_b32 v[2:3], v4, off offset:1024
	s_or_b32 exec_lo, exec_lo, s0
	s_delay_alu instid0(SALU_CYCLE_1)
	s_mov_b32 s0, exec_lo
	v_cmpx_gt_u32_e64 s26, v13
	s_cbranch_execz .LBB126_238
.LBB126_246:
	s_waitcnt lgkmcnt(1)
	global_store_b32 v[2:3], v6, off offset:2048
	s_or_b32 exec_lo, exec_lo, s0
	s_delay_alu instid0(SALU_CYCLE_1)
	s_mov_b32 s0, exec_lo
	v_cmpx_gt_u32_e64 s26, v14
	s_cbranch_execz .LBB126_239
.LBB126_247:
	s_waitcnt lgkmcnt(0)
	global_store_b32 v[2:3], v7, off offset:3072
	s_or_b32 exec_lo, exec_lo, s0
	v_cmp_lt_u64_e64 s0, s[18:19], 2
	s_delay_alu instid0(VALU_DEP_1)
	s_and_b32 vcc_lo, exec_lo, s0
	s_cbranch_vccnz .LBB126_240
.LBB126_248:
	s_add_u32 s0, s26, -1
	s_addc_u32 s1, s27, -1
	s_delay_alu instid0(SALU_CYCLE_1)
	s_lshr_b64 s[2:3], s[0:1], 2
	s_mov_b32 s1, exec_lo
	v_cmpx_eq_u64_e64 s[2:3], v[0:1]
	s_cbranch_execz .LBB126_240
; %bb.249:
	s_and_b32 s0, s0, 3
	s_mov_b32 s1, 0
	s_delay_alu instid0(SALU_CYCLE_1) | instskip(NEXT) | instid1(VALU_DEP_1)
	v_cmp_lt_i64_e64 s2, s[0:1], 2
	s_and_b32 vcc_lo, exec_lo, s2
	s_mov_b32 s2, -1
	s_cbranch_vccnz .LBB126_255
; %bb.250:
	v_cmp_gt_i64_e64 s2, s[0:1], 2
	s_delay_alu instid0(VALU_DEP_1)
	s_and_b32 vcc_lo, exec_lo, s2
	s_mov_b32 s2, -1
	s_cbranch_vccz .LBB126_252
; %bb.251:
	v_mov_b32_e32 v0, 0
	s_mov_b32 s2, 0
	s_waitcnt lgkmcnt(0)
	global_store_b32 v0, v7, s[14:15]
.LBB126_252:
	s_and_not1_b32 vcc_lo, exec_lo, s2
	s_cbranch_vccnz .LBB126_254
; %bb.253:
	v_mov_b32_e32 v0, 0
	s_waitcnt lgkmcnt(1)
	global_store_b32 v0, v6, s[14:15]
.LBB126_254:
	s_mov_b32 s2, 0
.LBB126_255:
	s_delay_alu instid0(SALU_CYCLE_1)
	s_and_not1_b32 vcc_lo, exec_lo, s2
	s_cbranch_vccnz .LBB126_240
; %bb.256:
	s_cmp_eq_u64 s[0:1], 1
	s_mov_b32 s0, -1
	s_cbranch_scc1 .LBB126_258
; %bb.257:
	v_mov_b32_e32 v0, 0
	s_mov_b32 s0, 0
	s_waitcnt lgkmcnt(3)
	global_store_b32 v0, v5, s[14:15]
.LBB126_258:
	s_and_not1_b32 vcc_lo, exec_lo, s0
	s_cbranch_vccnz .LBB126_240
; %bb.259:
	v_mov_b32_e32 v0, 0
	s_waitcnt lgkmcnt(2)
	global_store_b32 v0, v4, s[14:15]
	s_nop 0
	s_sendmsg sendmsg(MSG_DEALLOC_VGPRS)
	s_endpgm
	.section	.rodata,"a",@progbits
	.p2align	6, 0x0
	.amdhsa_kernel _ZN7rocprim17ROCPRIM_400000_NS6detail17trampoline_kernelINS0_14default_configENS1_20scan_config_selectorIfEEZZNS1_9scan_implILNS1_25lookback_scan_determinismE0ELb0ELb0ES3_PKfPffZZZN2at6native31launch_logcumsumexp_cuda_kernelERKNSB_10TensorBaseESF_lENKUlvE_clEvENKUlvE0_clEvEUlffE_fEEDaPvRmT3_T4_T5_mT6_P12ihipStream_tbENKUlT_T0_E_clISt17integral_constantIbLb1EESW_EEDaSR_SS_EUlSR_E_NS1_11comp_targetILNS1_3genE9ELNS1_11target_archE1100ELNS1_3gpuE3ELNS1_3repE0EEENS1_30default_config_static_selectorELNS0_4arch9wavefront6targetE0EEEvT1_
		.amdhsa_group_segment_fixed_size 4224
		.amdhsa_private_segment_fixed_size 0
		.amdhsa_kernarg_size 96
		.amdhsa_user_sgpr_count 15
		.amdhsa_user_sgpr_dispatch_ptr 0
		.amdhsa_user_sgpr_queue_ptr 0
		.amdhsa_user_sgpr_kernarg_segment_ptr 1
		.amdhsa_user_sgpr_dispatch_id 0
		.amdhsa_user_sgpr_private_segment_size 0
		.amdhsa_wavefront_size32 1
		.amdhsa_uses_dynamic_stack 0
		.amdhsa_enable_private_segment 0
		.amdhsa_system_sgpr_workgroup_id_x 1
		.amdhsa_system_sgpr_workgroup_id_y 0
		.amdhsa_system_sgpr_workgroup_id_z 0
		.amdhsa_system_sgpr_workgroup_info 0
		.amdhsa_system_vgpr_workitem_id 0
		.amdhsa_next_free_vgpr 46
		.amdhsa_next_free_sgpr 34
		.amdhsa_reserve_vcc 1
		.amdhsa_float_round_mode_32 0
		.amdhsa_float_round_mode_16_64 0
		.amdhsa_float_denorm_mode_32 3
		.amdhsa_float_denorm_mode_16_64 3
		.amdhsa_dx10_clamp 1
		.amdhsa_ieee_mode 1
		.amdhsa_fp16_overflow 0
		.amdhsa_workgroup_processor_mode 1
		.amdhsa_memory_ordered 1
		.amdhsa_forward_progress 0
		.amdhsa_shared_vgpr_count 0
		.amdhsa_exception_fp_ieee_invalid_op 0
		.amdhsa_exception_fp_denorm_src 0
		.amdhsa_exception_fp_ieee_div_zero 0
		.amdhsa_exception_fp_ieee_overflow 0
		.amdhsa_exception_fp_ieee_underflow 0
		.amdhsa_exception_fp_ieee_inexact 0
		.amdhsa_exception_int_div_zero 0
	.end_amdhsa_kernel
	.section	.text._ZN7rocprim17ROCPRIM_400000_NS6detail17trampoline_kernelINS0_14default_configENS1_20scan_config_selectorIfEEZZNS1_9scan_implILNS1_25lookback_scan_determinismE0ELb0ELb0ES3_PKfPffZZZN2at6native31launch_logcumsumexp_cuda_kernelERKNSB_10TensorBaseESF_lENKUlvE_clEvENKUlvE0_clEvEUlffE_fEEDaPvRmT3_T4_T5_mT6_P12ihipStream_tbENKUlT_T0_E_clISt17integral_constantIbLb1EESW_EEDaSR_SS_EUlSR_E_NS1_11comp_targetILNS1_3genE9ELNS1_11target_archE1100ELNS1_3gpuE3ELNS1_3repE0EEENS1_30default_config_static_selectorELNS0_4arch9wavefront6targetE0EEEvT1_,"axG",@progbits,_ZN7rocprim17ROCPRIM_400000_NS6detail17trampoline_kernelINS0_14default_configENS1_20scan_config_selectorIfEEZZNS1_9scan_implILNS1_25lookback_scan_determinismE0ELb0ELb0ES3_PKfPffZZZN2at6native31launch_logcumsumexp_cuda_kernelERKNSB_10TensorBaseESF_lENKUlvE_clEvENKUlvE0_clEvEUlffE_fEEDaPvRmT3_T4_T5_mT6_P12ihipStream_tbENKUlT_T0_E_clISt17integral_constantIbLb1EESW_EEDaSR_SS_EUlSR_E_NS1_11comp_targetILNS1_3genE9ELNS1_11target_archE1100ELNS1_3gpuE3ELNS1_3repE0EEENS1_30default_config_static_selectorELNS0_4arch9wavefront6targetE0EEEvT1_,comdat
.Lfunc_end126:
	.size	_ZN7rocprim17ROCPRIM_400000_NS6detail17trampoline_kernelINS0_14default_configENS1_20scan_config_selectorIfEEZZNS1_9scan_implILNS1_25lookback_scan_determinismE0ELb0ELb0ES3_PKfPffZZZN2at6native31launch_logcumsumexp_cuda_kernelERKNSB_10TensorBaseESF_lENKUlvE_clEvENKUlvE0_clEvEUlffE_fEEDaPvRmT3_T4_T5_mT6_P12ihipStream_tbENKUlT_T0_E_clISt17integral_constantIbLb1EESW_EEDaSR_SS_EUlSR_E_NS1_11comp_targetILNS1_3genE9ELNS1_11target_archE1100ELNS1_3gpuE3ELNS1_3repE0EEENS1_30default_config_static_selectorELNS0_4arch9wavefront6targetE0EEEvT1_, .Lfunc_end126-_ZN7rocprim17ROCPRIM_400000_NS6detail17trampoline_kernelINS0_14default_configENS1_20scan_config_selectorIfEEZZNS1_9scan_implILNS1_25lookback_scan_determinismE0ELb0ELb0ES3_PKfPffZZZN2at6native31launch_logcumsumexp_cuda_kernelERKNSB_10TensorBaseESF_lENKUlvE_clEvENKUlvE0_clEvEUlffE_fEEDaPvRmT3_T4_T5_mT6_P12ihipStream_tbENKUlT_T0_E_clISt17integral_constantIbLb1EESW_EEDaSR_SS_EUlSR_E_NS1_11comp_targetILNS1_3genE9ELNS1_11target_archE1100ELNS1_3gpuE3ELNS1_3repE0EEENS1_30default_config_static_selectorELNS0_4arch9wavefront6targetE0EEEvT1_
                                        ; -- End function
	.section	.AMDGPU.csdata,"",@progbits
; Kernel info:
; codeLenInByte = 66332
; NumSgprs: 36
; NumVgprs: 46
; ScratchSize: 0
; MemoryBound: 0
; FloatMode: 240
; IeeeMode: 1
; LDSByteSize: 4224 bytes/workgroup (compile time only)
; SGPRBlocks: 4
; VGPRBlocks: 5
; NumSGPRsForWavesPerEU: 36
; NumVGPRsForWavesPerEU: 46
; Occupancy: 16
; WaveLimiterHint : 1
; COMPUTE_PGM_RSRC2:SCRATCH_EN: 0
; COMPUTE_PGM_RSRC2:USER_SGPR: 15
; COMPUTE_PGM_RSRC2:TRAP_HANDLER: 0
; COMPUTE_PGM_RSRC2:TGID_X_EN: 1
; COMPUTE_PGM_RSRC2:TGID_Y_EN: 0
; COMPUTE_PGM_RSRC2:TGID_Z_EN: 0
; COMPUTE_PGM_RSRC2:TIDIG_COMP_CNT: 0
	.section	.text._ZN7rocprim17ROCPRIM_400000_NS6detail17trampoline_kernelINS0_14default_configENS1_20scan_config_selectorIfEEZZNS1_9scan_implILNS1_25lookback_scan_determinismE0ELb0ELb0ES3_PKfPffZZZN2at6native31launch_logcumsumexp_cuda_kernelERKNSB_10TensorBaseESF_lENKUlvE_clEvENKUlvE0_clEvEUlffE_fEEDaPvRmT3_T4_T5_mT6_P12ihipStream_tbENKUlT_T0_E_clISt17integral_constantIbLb1EESW_EEDaSR_SS_EUlSR_E_NS1_11comp_targetILNS1_3genE8ELNS1_11target_archE1030ELNS1_3gpuE2ELNS1_3repE0EEENS1_30default_config_static_selectorELNS0_4arch9wavefront6targetE0EEEvT1_,"axG",@progbits,_ZN7rocprim17ROCPRIM_400000_NS6detail17trampoline_kernelINS0_14default_configENS1_20scan_config_selectorIfEEZZNS1_9scan_implILNS1_25lookback_scan_determinismE0ELb0ELb0ES3_PKfPffZZZN2at6native31launch_logcumsumexp_cuda_kernelERKNSB_10TensorBaseESF_lENKUlvE_clEvENKUlvE0_clEvEUlffE_fEEDaPvRmT3_T4_T5_mT6_P12ihipStream_tbENKUlT_T0_E_clISt17integral_constantIbLb1EESW_EEDaSR_SS_EUlSR_E_NS1_11comp_targetILNS1_3genE8ELNS1_11target_archE1030ELNS1_3gpuE2ELNS1_3repE0EEENS1_30default_config_static_selectorELNS0_4arch9wavefront6targetE0EEEvT1_,comdat
	.globl	_ZN7rocprim17ROCPRIM_400000_NS6detail17trampoline_kernelINS0_14default_configENS1_20scan_config_selectorIfEEZZNS1_9scan_implILNS1_25lookback_scan_determinismE0ELb0ELb0ES3_PKfPffZZZN2at6native31launch_logcumsumexp_cuda_kernelERKNSB_10TensorBaseESF_lENKUlvE_clEvENKUlvE0_clEvEUlffE_fEEDaPvRmT3_T4_T5_mT6_P12ihipStream_tbENKUlT_T0_E_clISt17integral_constantIbLb1EESW_EEDaSR_SS_EUlSR_E_NS1_11comp_targetILNS1_3genE8ELNS1_11target_archE1030ELNS1_3gpuE2ELNS1_3repE0EEENS1_30default_config_static_selectorELNS0_4arch9wavefront6targetE0EEEvT1_ ; -- Begin function _ZN7rocprim17ROCPRIM_400000_NS6detail17trampoline_kernelINS0_14default_configENS1_20scan_config_selectorIfEEZZNS1_9scan_implILNS1_25lookback_scan_determinismE0ELb0ELb0ES3_PKfPffZZZN2at6native31launch_logcumsumexp_cuda_kernelERKNSB_10TensorBaseESF_lENKUlvE_clEvENKUlvE0_clEvEUlffE_fEEDaPvRmT3_T4_T5_mT6_P12ihipStream_tbENKUlT_T0_E_clISt17integral_constantIbLb1EESW_EEDaSR_SS_EUlSR_E_NS1_11comp_targetILNS1_3genE8ELNS1_11target_archE1030ELNS1_3gpuE2ELNS1_3repE0EEENS1_30default_config_static_selectorELNS0_4arch9wavefront6targetE0EEEvT1_
	.p2align	8
	.type	_ZN7rocprim17ROCPRIM_400000_NS6detail17trampoline_kernelINS0_14default_configENS1_20scan_config_selectorIfEEZZNS1_9scan_implILNS1_25lookback_scan_determinismE0ELb0ELb0ES3_PKfPffZZZN2at6native31launch_logcumsumexp_cuda_kernelERKNSB_10TensorBaseESF_lENKUlvE_clEvENKUlvE0_clEvEUlffE_fEEDaPvRmT3_T4_T5_mT6_P12ihipStream_tbENKUlT_T0_E_clISt17integral_constantIbLb1EESW_EEDaSR_SS_EUlSR_E_NS1_11comp_targetILNS1_3genE8ELNS1_11target_archE1030ELNS1_3gpuE2ELNS1_3repE0EEENS1_30default_config_static_selectorELNS0_4arch9wavefront6targetE0EEEvT1_,@function
_ZN7rocprim17ROCPRIM_400000_NS6detail17trampoline_kernelINS0_14default_configENS1_20scan_config_selectorIfEEZZNS1_9scan_implILNS1_25lookback_scan_determinismE0ELb0ELb0ES3_PKfPffZZZN2at6native31launch_logcumsumexp_cuda_kernelERKNSB_10TensorBaseESF_lENKUlvE_clEvENKUlvE0_clEvEUlffE_fEEDaPvRmT3_T4_T5_mT6_P12ihipStream_tbENKUlT_T0_E_clISt17integral_constantIbLb1EESW_EEDaSR_SS_EUlSR_E_NS1_11comp_targetILNS1_3genE8ELNS1_11target_archE1030ELNS1_3gpuE2ELNS1_3repE0EEENS1_30default_config_static_selectorELNS0_4arch9wavefront6targetE0EEEvT1_: ; @_ZN7rocprim17ROCPRIM_400000_NS6detail17trampoline_kernelINS0_14default_configENS1_20scan_config_selectorIfEEZZNS1_9scan_implILNS1_25lookback_scan_determinismE0ELb0ELb0ES3_PKfPffZZZN2at6native31launch_logcumsumexp_cuda_kernelERKNSB_10TensorBaseESF_lENKUlvE_clEvENKUlvE0_clEvEUlffE_fEEDaPvRmT3_T4_T5_mT6_P12ihipStream_tbENKUlT_T0_E_clISt17integral_constantIbLb1EESW_EEDaSR_SS_EUlSR_E_NS1_11comp_targetILNS1_3genE8ELNS1_11target_archE1030ELNS1_3gpuE2ELNS1_3repE0EEENS1_30default_config_static_selectorELNS0_4arch9wavefront6targetE0EEEvT1_
; %bb.0:
	.section	.rodata,"a",@progbits
	.p2align	6, 0x0
	.amdhsa_kernel _ZN7rocprim17ROCPRIM_400000_NS6detail17trampoline_kernelINS0_14default_configENS1_20scan_config_selectorIfEEZZNS1_9scan_implILNS1_25lookback_scan_determinismE0ELb0ELb0ES3_PKfPffZZZN2at6native31launch_logcumsumexp_cuda_kernelERKNSB_10TensorBaseESF_lENKUlvE_clEvENKUlvE0_clEvEUlffE_fEEDaPvRmT3_T4_T5_mT6_P12ihipStream_tbENKUlT_T0_E_clISt17integral_constantIbLb1EESW_EEDaSR_SS_EUlSR_E_NS1_11comp_targetILNS1_3genE8ELNS1_11target_archE1030ELNS1_3gpuE2ELNS1_3repE0EEENS1_30default_config_static_selectorELNS0_4arch9wavefront6targetE0EEEvT1_
		.amdhsa_group_segment_fixed_size 0
		.amdhsa_private_segment_fixed_size 0
		.amdhsa_kernarg_size 96
		.amdhsa_user_sgpr_count 15
		.amdhsa_user_sgpr_dispatch_ptr 0
		.amdhsa_user_sgpr_queue_ptr 0
		.amdhsa_user_sgpr_kernarg_segment_ptr 1
		.amdhsa_user_sgpr_dispatch_id 0
		.amdhsa_user_sgpr_private_segment_size 0
		.amdhsa_wavefront_size32 1
		.amdhsa_uses_dynamic_stack 0
		.amdhsa_enable_private_segment 0
		.amdhsa_system_sgpr_workgroup_id_x 1
		.amdhsa_system_sgpr_workgroup_id_y 0
		.amdhsa_system_sgpr_workgroup_id_z 0
		.amdhsa_system_sgpr_workgroup_info 0
		.amdhsa_system_vgpr_workitem_id 0
		.amdhsa_next_free_vgpr 1
		.amdhsa_next_free_sgpr 1
		.amdhsa_reserve_vcc 0
		.amdhsa_float_round_mode_32 0
		.amdhsa_float_round_mode_16_64 0
		.amdhsa_float_denorm_mode_32 3
		.amdhsa_float_denorm_mode_16_64 3
		.amdhsa_dx10_clamp 1
		.amdhsa_ieee_mode 1
		.amdhsa_fp16_overflow 0
		.amdhsa_workgroup_processor_mode 1
		.amdhsa_memory_ordered 1
		.amdhsa_forward_progress 0
		.amdhsa_shared_vgpr_count 0
		.amdhsa_exception_fp_ieee_invalid_op 0
		.amdhsa_exception_fp_denorm_src 0
		.amdhsa_exception_fp_ieee_div_zero 0
		.amdhsa_exception_fp_ieee_overflow 0
		.amdhsa_exception_fp_ieee_underflow 0
		.amdhsa_exception_fp_ieee_inexact 0
		.amdhsa_exception_int_div_zero 0
	.end_amdhsa_kernel
	.section	.text._ZN7rocprim17ROCPRIM_400000_NS6detail17trampoline_kernelINS0_14default_configENS1_20scan_config_selectorIfEEZZNS1_9scan_implILNS1_25lookback_scan_determinismE0ELb0ELb0ES3_PKfPffZZZN2at6native31launch_logcumsumexp_cuda_kernelERKNSB_10TensorBaseESF_lENKUlvE_clEvENKUlvE0_clEvEUlffE_fEEDaPvRmT3_T4_T5_mT6_P12ihipStream_tbENKUlT_T0_E_clISt17integral_constantIbLb1EESW_EEDaSR_SS_EUlSR_E_NS1_11comp_targetILNS1_3genE8ELNS1_11target_archE1030ELNS1_3gpuE2ELNS1_3repE0EEENS1_30default_config_static_selectorELNS0_4arch9wavefront6targetE0EEEvT1_,"axG",@progbits,_ZN7rocprim17ROCPRIM_400000_NS6detail17trampoline_kernelINS0_14default_configENS1_20scan_config_selectorIfEEZZNS1_9scan_implILNS1_25lookback_scan_determinismE0ELb0ELb0ES3_PKfPffZZZN2at6native31launch_logcumsumexp_cuda_kernelERKNSB_10TensorBaseESF_lENKUlvE_clEvENKUlvE0_clEvEUlffE_fEEDaPvRmT3_T4_T5_mT6_P12ihipStream_tbENKUlT_T0_E_clISt17integral_constantIbLb1EESW_EEDaSR_SS_EUlSR_E_NS1_11comp_targetILNS1_3genE8ELNS1_11target_archE1030ELNS1_3gpuE2ELNS1_3repE0EEENS1_30default_config_static_selectorELNS0_4arch9wavefront6targetE0EEEvT1_,comdat
.Lfunc_end127:
	.size	_ZN7rocprim17ROCPRIM_400000_NS6detail17trampoline_kernelINS0_14default_configENS1_20scan_config_selectorIfEEZZNS1_9scan_implILNS1_25lookback_scan_determinismE0ELb0ELb0ES3_PKfPffZZZN2at6native31launch_logcumsumexp_cuda_kernelERKNSB_10TensorBaseESF_lENKUlvE_clEvENKUlvE0_clEvEUlffE_fEEDaPvRmT3_T4_T5_mT6_P12ihipStream_tbENKUlT_T0_E_clISt17integral_constantIbLb1EESW_EEDaSR_SS_EUlSR_E_NS1_11comp_targetILNS1_3genE8ELNS1_11target_archE1030ELNS1_3gpuE2ELNS1_3repE0EEENS1_30default_config_static_selectorELNS0_4arch9wavefront6targetE0EEEvT1_, .Lfunc_end127-_ZN7rocprim17ROCPRIM_400000_NS6detail17trampoline_kernelINS0_14default_configENS1_20scan_config_selectorIfEEZZNS1_9scan_implILNS1_25lookback_scan_determinismE0ELb0ELb0ES3_PKfPffZZZN2at6native31launch_logcumsumexp_cuda_kernelERKNSB_10TensorBaseESF_lENKUlvE_clEvENKUlvE0_clEvEUlffE_fEEDaPvRmT3_T4_T5_mT6_P12ihipStream_tbENKUlT_T0_E_clISt17integral_constantIbLb1EESW_EEDaSR_SS_EUlSR_E_NS1_11comp_targetILNS1_3genE8ELNS1_11target_archE1030ELNS1_3gpuE2ELNS1_3repE0EEENS1_30default_config_static_selectorELNS0_4arch9wavefront6targetE0EEEvT1_
                                        ; -- End function
	.section	.AMDGPU.csdata,"",@progbits
; Kernel info:
; codeLenInByte = 0
; NumSgprs: 0
; NumVgprs: 0
; ScratchSize: 0
; MemoryBound: 0
; FloatMode: 240
; IeeeMode: 1
; LDSByteSize: 0 bytes/workgroup (compile time only)
; SGPRBlocks: 0
; VGPRBlocks: 0
; NumSGPRsForWavesPerEU: 1
; NumVGPRsForWavesPerEU: 1
; Occupancy: 16
; WaveLimiterHint : 0
; COMPUTE_PGM_RSRC2:SCRATCH_EN: 0
; COMPUTE_PGM_RSRC2:USER_SGPR: 15
; COMPUTE_PGM_RSRC2:TRAP_HANDLER: 0
; COMPUTE_PGM_RSRC2:TGID_X_EN: 1
; COMPUTE_PGM_RSRC2:TGID_Y_EN: 0
; COMPUTE_PGM_RSRC2:TGID_Z_EN: 0
; COMPUTE_PGM_RSRC2:TIDIG_COMP_CNT: 0
	.section	.text._ZN7rocprim17ROCPRIM_400000_NS6detail17trampoline_kernelINS0_14default_configENS1_20scan_config_selectorIfEEZZNS1_9scan_implILNS1_25lookback_scan_determinismE0ELb0ELb0ES3_PKfPffZZZN2at6native31launch_logcumsumexp_cuda_kernelERKNSB_10TensorBaseESF_lENKUlvE_clEvENKUlvE0_clEvEUlffE_fEEDaPvRmT3_T4_T5_mT6_P12ihipStream_tbENKUlT_T0_E_clISt17integral_constantIbLb1EESW_EEDaSR_SS_EUlSR_E0_NS1_11comp_targetILNS1_3genE0ELNS1_11target_archE4294967295ELNS1_3gpuE0ELNS1_3repE0EEENS1_30default_config_static_selectorELNS0_4arch9wavefront6targetE0EEEvT1_,"axG",@progbits,_ZN7rocprim17ROCPRIM_400000_NS6detail17trampoline_kernelINS0_14default_configENS1_20scan_config_selectorIfEEZZNS1_9scan_implILNS1_25lookback_scan_determinismE0ELb0ELb0ES3_PKfPffZZZN2at6native31launch_logcumsumexp_cuda_kernelERKNSB_10TensorBaseESF_lENKUlvE_clEvENKUlvE0_clEvEUlffE_fEEDaPvRmT3_T4_T5_mT6_P12ihipStream_tbENKUlT_T0_E_clISt17integral_constantIbLb1EESW_EEDaSR_SS_EUlSR_E0_NS1_11comp_targetILNS1_3genE0ELNS1_11target_archE4294967295ELNS1_3gpuE0ELNS1_3repE0EEENS1_30default_config_static_selectorELNS0_4arch9wavefront6targetE0EEEvT1_,comdat
	.globl	_ZN7rocprim17ROCPRIM_400000_NS6detail17trampoline_kernelINS0_14default_configENS1_20scan_config_selectorIfEEZZNS1_9scan_implILNS1_25lookback_scan_determinismE0ELb0ELb0ES3_PKfPffZZZN2at6native31launch_logcumsumexp_cuda_kernelERKNSB_10TensorBaseESF_lENKUlvE_clEvENKUlvE0_clEvEUlffE_fEEDaPvRmT3_T4_T5_mT6_P12ihipStream_tbENKUlT_T0_E_clISt17integral_constantIbLb1EESW_EEDaSR_SS_EUlSR_E0_NS1_11comp_targetILNS1_3genE0ELNS1_11target_archE4294967295ELNS1_3gpuE0ELNS1_3repE0EEENS1_30default_config_static_selectorELNS0_4arch9wavefront6targetE0EEEvT1_ ; -- Begin function _ZN7rocprim17ROCPRIM_400000_NS6detail17trampoline_kernelINS0_14default_configENS1_20scan_config_selectorIfEEZZNS1_9scan_implILNS1_25lookback_scan_determinismE0ELb0ELb0ES3_PKfPffZZZN2at6native31launch_logcumsumexp_cuda_kernelERKNSB_10TensorBaseESF_lENKUlvE_clEvENKUlvE0_clEvEUlffE_fEEDaPvRmT3_T4_T5_mT6_P12ihipStream_tbENKUlT_T0_E_clISt17integral_constantIbLb1EESW_EEDaSR_SS_EUlSR_E0_NS1_11comp_targetILNS1_3genE0ELNS1_11target_archE4294967295ELNS1_3gpuE0ELNS1_3repE0EEENS1_30default_config_static_selectorELNS0_4arch9wavefront6targetE0EEEvT1_
	.p2align	8
	.type	_ZN7rocprim17ROCPRIM_400000_NS6detail17trampoline_kernelINS0_14default_configENS1_20scan_config_selectorIfEEZZNS1_9scan_implILNS1_25lookback_scan_determinismE0ELb0ELb0ES3_PKfPffZZZN2at6native31launch_logcumsumexp_cuda_kernelERKNSB_10TensorBaseESF_lENKUlvE_clEvENKUlvE0_clEvEUlffE_fEEDaPvRmT3_T4_T5_mT6_P12ihipStream_tbENKUlT_T0_E_clISt17integral_constantIbLb1EESW_EEDaSR_SS_EUlSR_E0_NS1_11comp_targetILNS1_3genE0ELNS1_11target_archE4294967295ELNS1_3gpuE0ELNS1_3repE0EEENS1_30default_config_static_selectorELNS0_4arch9wavefront6targetE0EEEvT1_,@function
_ZN7rocprim17ROCPRIM_400000_NS6detail17trampoline_kernelINS0_14default_configENS1_20scan_config_selectorIfEEZZNS1_9scan_implILNS1_25lookback_scan_determinismE0ELb0ELb0ES3_PKfPffZZZN2at6native31launch_logcumsumexp_cuda_kernelERKNSB_10TensorBaseESF_lENKUlvE_clEvENKUlvE0_clEvEUlffE_fEEDaPvRmT3_T4_T5_mT6_P12ihipStream_tbENKUlT_T0_E_clISt17integral_constantIbLb1EESW_EEDaSR_SS_EUlSR_E0_NS1_11comp_targetILNS1_3genE0ELNS1_11target_archE4294967295ELNS1_3gpuE0ELNS1_3repE0EEENS1_30default_config_static_selectorELNS0_4arch9wavefront6targetE0EEEvT1_: ; @_ZN7rocprim17ROCPRIM_400000_NS6detail17trampoline_kernelINS0_14default_configENS1_20scan_config_selectorIfEEZZNS1_9scan_implILNS1_25lookback_scan_determinismE0ELb0ELb0ES3_PKfPffZZZN2at6native31launch_logcumsumexp_cuda_kernelERKNSB_10TensorBaseESF_lENKUlvE_clEvENKUlvE0_clEvEUlffE_fEEDaPvRmT3_T4_T5_mT6_P12ihipStream_tbENKUlT_T0_E_clISt17integral_constantIbLb1EESW_EEDaSR_SS_EUlSR_E0_NS1_11comp_targetILNS1_3genE0ELNS1_11target_archE4294967295ELNS1_3gpuE0ELNS1_3repE0EEENS1_30default_config_static_selectorELNS0_4arch9wavefront6targetE0EEEvT1_
; %bb.0:
	.section	.rodata,"a",@progbits
	.p2align	6, 0x0
	.amdhsa_kernel _ZN7rocprim17ROCPRIM_400000_NS6detail17trampoline_kernelINS0_14default_configENS1_20scan_config_selectorIfEEZZNS1_9scan_implILNS1_25lookback_scan_determinismE0ELb0ELb0ES3_PKfPffZZZN2at6native31launch_logcumsumexp_cuda_kernelERKNSB_10TensorBaseESF_lENKUlvE_clEvENKUlvE0_clEvEUlffE_fEEDaPvRmT3_T4_T5_mT6_P12ihipStream_tbENKUlT_T0_E_clISt17integral_constantIbLb1EESW_EEDaSR_SS_EUlSR_E0_NS1_11comp_targetILNS1_3genE0ELNS1_11target_archE4294967295ELNS1_3gpuE0ELNS1_3repE0EEENS1_30default_config_static_selectorELNS0_4arch9wavefront6targetE0EEEvT1_
		.amdhsa_group_segment_fixed_size 0
		.amdhsa_private_segment_fixed_size 0
		.amdhsa_kernarg_size 32
		.amdhsa_user_sgpr_count 15
		.amdhsa_user_sgpr_dispatch_ptr 0
		.amdhsa_user_sgpr_queue_ptr 0
		.amdhsa_user_sgpr_kernarg_segment_ptr 1
		.amdhsa_user_sgpr_dispatch_id 0
		.amdhsa_user_sgpr_private_segment_size 0
		.amdhsa_wavefront_size32 1
		.amdhsa_uses_dynamic_stack 0
		.amdhsa_enable_private_segment 0
		.amdhsa_system_sgpr_workgroup_id_x 1
		.amdhsa_system_sgpr_workgroup_id_y 0
		.amdhsa_system_sgpr_workgroup_id_z 0
		.amdhsa_system_sgpr_workgroup_info 0
		.amdhsa_system_vgpr_workitem_id 0
		.amdhsa_next_free_vgpr 1
		.amdhsa_next_free_sgpr 1
		.amdhsa_reserve_vcc 0
		.amdhsa_float_round_mode_32 0
		.amdhsa_float_round_mode_16_64 0
		.amdhsa_float_denorm_mode_32 3
		.amdhsa_float_denorm_mode_16_64 3
		.amdhsa_dx10_clamp 1
		.amdhsa_ieee_mode 1
		.amdhsa_fp16_overflow 0
		.amdhsa_workgroup_processor_mode 1
		.amdhsa_memory_ordered 1
		.amdhsa_forward_progress 0
		.amdhsa_shared_vgpr_count 0
		.amdhsa_exception_fp_ieee_invalid_op 0
		.amdhsa_exception_fp_denorm_src 0
		.amdhsa_exception_fp_ieee_div_zero 0
		.amdhsa_exception_fp_ieee_overflow 0
		.amdhsa_exception_fp_ieee_underflow 0
		.amdhsa_exception_fp_ieee_inexact 0
		.amdhsa_exception_int_div_zero 0
	.end_amdhsa_kernel
	.section	.text._ZN7rocprim17ROCPRIM_400000_NS6detail17trampoline_kernelINS0_14default_configENS1_20scan_config_selectorIfEEZZNS1_9scan_implILNS1_25lookback_scan_determinismE0ELb0ELb0ES3_PKfPffZZZN2at6native31launch_logcumsumexp_cuda_kernelERKNSB_10TensorBaseESF_lENKUlvE_clEvENKUlvE0_clEvEUlffE_fEEDaPvRmT3_T4_T5_mT6_P12ihipStream_tbENKUlT_T0_E_clISt17integral_constantIbLb1EESW_EEDaSR_SS_EUlSR_E0_NS1_11comp_targetILNS1_3genE0ELNS1_11target_archE4294967295ELNS1_3gpuE0ELNS1_3repE0EEENS1_30default_config_static_selectorELNS0_4arch9wavefront6targetE0EEEvT1_,"axG",@progbits,_ZN7rocprim17ROCPRIM_400000_NS6detail17trampoline_kernelINS0_14default_configENS1_20scan_config_selectorIfEEZZNS1_9scan_implILNS1_25lookback_scan_determinismE0ELb0ELb0ES3_PKfPffZZZN2at6native31launch_logcumsumexp_cuda_kernelERKNSB_10TensorBaseESF_lENKUlvE_clEvENKUlvE0_clEvEUlffE_fEEDaPvRmT3_T4_T5_mT6_P12ihipStream_tbENKUlT_T0_E_clISt17integral_constantIbLb1EESW_EEDaSR_SS_EUlSR_E0_NS1_11comp_targetILNS1_3genE0ELNS1_11target_archE4294967295ELNS1_3gpuE0ELNS1_3repE0EEENS1_30default_config_static_selectorELNS0_4arch9wavefront6targetE0EEEvT1_,comdat
.Lfunc_end128:
	.size	_ZN7rocprim17ROCPRIM_400000_NS6detail17trampoline_kernelINS0_14default_configENS1_20scan_config_selectorIfEEZZNS1_9scan_implILNS1_25lookback_scan_determinismE0ELb0ELb0ES3_PKfPffZZZN2at6native31launch_logcumsumexp_cuda_kernelERKNSB_10TensorBaseESF_lENKUlvE_clEvENKUlvE0_clEvEUlffE_fEEDaPvRmT3_T4_T5_mT6_P12ihipStream_tbENKUlT_T0_E_clISt17integral_constantIbLb1EESW_EEDaSR_SS_EUlSR_E0_NS1_11comp_targetILNS1_3genE0ELNS1_11target_archE4294967295ELNS1_3gpuE0ELNS1_3repE0EEENS1_30default_config_static_selectorELNS0_4arch9wavefront6targetE0EEEvT1_, .Lfunc_end128-_ZN7rocprim17ROCPRIM_400000_NS6detail17trampoline_kernelINS0_14default_configENS1_20scan_config_selectorIfEEZZNS1_9scan_implILNS1_25lookback_scan_determinismE0ELb0ELb0ES3_PKfPffZZZN2at6native31launch_logcumsumexp_cuda_kernelERKNSB_10TensorBaseESF_lENKUlvE_clEvENKUlvE0_clEvEUlffE_fEEDaPvRmT3_T4_T5_mT6_P12ihipStream_tbENKUlT_T0_E_clISt17integral_constantIbLb1EESW_EEDaSR_SS_EUlSR_E0_NS1_11comp_targetILNS1_3genE0ELNS1_11target_archE4294967295ELNS1_3gpuE0ELNS1_3repE0EEENS1_30default_config_static_selectorELNS0_4arch9wavefront6targetE0EEEvT1_
                                        ; -- End function
	.section	.AMDGPU.csdata,"",@progbits
; Kernel info:
; codeLenInByte = 0
; NumSgprs: 0
; NumVgprs: 0
; ScratchSize: 0
; MemoryBound: 0
; FloatMode: 240
; IeeeMode: 1
; LDSByteSize: 0 bytes/workgroup (compile time only)
; SGPRBlocks: 0
; VGPRBlocks: 0
; NumSGPRsForWavesPerEU: 1
; NumVGPRsForWavesPerEU: 1
; Occupancy: 16
; WaveLimiterHint : 0
; COMPUTE_PGM_RSRC2:SCRATCH_EN: 0
; COMPUTE_PGM_RSRC2:USER_SGPR: 15
; COMPUTE_PGM_RSRC2:TRAP_HANDLER: 0
; COMPUTE_PGM_RSRC2:TGID_X_EN: 1
; COMPUTE_PGM_RSRC2:TGID_Y_EN: 0
; COMPUTE_PGM_RSRC2:TGID_Z_EN: 0
; COMPUTE_PGM_RSRC2:TIDIG_COMP_CNT: 0
	.section	.text._ZN7rocprim17ROCPRIM_400000_NS6detail17trampoline_kernelINS0_14default_configENS1_20scan_config_selectorIfEEZZNS1_9scan_implILNS1_25lookback_scan_determinismE0ELb0ELb0ES3_PKfPffZZZN2at6native31launch_logcumsumexp_cuda_kernelERKNSB_10TensorBaseESF_lENKUlvE_clEvENKUlvE0_clEvEUlffE_fEEDaPvRmT3_T4_T5_mT6_P12ihipStream_tbENKUlT_T0_E_clISt17integral_constantIbLb1EESW_EEDaSR_SS_EUlSR_E0_NS1_11comp_targetILNS1_3genE5ELNS1_11target_archE942ELNS1_3gpuE9ELNS1_3repE0EEENS1_30default_config_static_selectorELNS0_4arch9wavefront6targetE0EEEvT1_,"axG",@progbits,_ZN7rocprim17ROCPRIM_400000_NS6detail17trampoline_kernelINS0_14default_configENS1_20scan_config_selectorIfEEZZNS1_9scan_implILNS1_25lookback_scan_determinismE0ELb0ELb0ES3_PKfPffZZZN2at6native31launch_logcumsumexp_cuda_kernelERKNSB_10TensorBaseESF_lENKUlvE_clEvENKUlvE0_clEvEUlffE_fEEDaPvRmT3_T4_T5_mT6_P12ihipStream_tbENKUlT_T0_E_clISt17integral_constantIbLb1EESW_EEDaSR_SS_EUlSR_E0_NS1_11comp_targetILNS1_3genE5ELNS1_11target_archE942ELNS1_3gpuE9ELNS1_3repE0EEENS1_30default_config_static_selectorELNS0_4arch9wavefront6targetE0EEEvT1_,comdat
	.globl	_ZN7rocprim17ROCPRIM_400000_NS6detail17trampoline_kernelINS0_14default_configENS1_20scan_config_selectorIfEEZZNS1_9scan_implILNS1_25lookback_scan_determinismE0ELb0ELb0ES3_PKfPffZZZN2at6native31launch_logcumsumexp_cuda_kernelERKNSB_10TensorBaseESF_lENKUlvE_clEvENKUlvE0_clEvEUlffE_fEEDaPvRmT3_T4_T5_mT6_P12ihipStream_tbENKUlT_T0_E_clISt17integral_constantIbLb1EESW_EEDaSR_SS_EUlSR_E0_NS1_11comp_targetILNS1_3genE5ELNS1_11target_archE942ELNS1_3gpuE9ELNS1_3repE0EEENS1_30default_config_static_selectorELNS0_4arch9wavefront6targetE0EEEvT1_ ; -- Begin function _ZN7rocprim17ROCPRIM_400000_NS6detail17trampoline_kernelINS0_14default_configENS1_20scan_config_selectorIfEEZZNS1_9scan_implILNS1_25lookback_scan_determinismE0ELb0ELb0ES3_PKfPffZZZN2at6native31launch_logcumsumexp_cuda_kernelERKNSB_10TensorBaseESF_lENKUlvE_clEvENKUlvE0_clEvEUlffE_fEEDaPvRmT3_T4_T5_mT6_P12ihipStream_tbENKUlT_T0_E_clISt17integral_constantIbLb1EESW_EEDaSR_SS_EUlSR_E0_NS1_11comp_targetILNS1_3genE5ELNS1_11target_archE942ELNS1_3gpuE9ELNS1_3repE0EEENS1_30default_config_static_selectorELNS0_4arch9wavefront6targetE0EEEvT1_
	.p2align	8
	.type	_ZN7rocprim17ROCPRIM_400000_NS6detail17trampoline_kernelINS0_14default_configENS1_20scan_config_selectorIfEEZZNS1_9scan_implILNS1_25lookback_scan_determinismE0ELb0ELb0ES3_PKfPffZZZN2at6native31launch_logcumsumexp_cuda_kernelERKNSB_10TensorBaseESF_lENKUlvE_clEvENKUlvE0_clEvEUlffE_fEEDaPvRmT3_T4_T5_mT6_P12ihipStream_tbENKUlT_T0_E_clISt17integral_constantIbLb1EESW_EEDaSR_SS_EUlSR_E0_NS1_11comp_targetILNS1_3genE5ELNS1_11target_archE942ELNS1_3gpuE9ELNS1_3repE0EEENS1_30default_config_static_selectorELNS0_4arch9wavefront6targetE0EEEvT1_,@function
_ZN7rocprim17ROCPRIM_400000_NS6detail17trampoline_kernelINS0_14default_configENS1_20scan_config_selectorIfEEZZNS1_9scan_implILNS1_25lookback_scan_determinismE0ELb0ELb0ES3_PKfPffZZZN2at6native31launch_logcumsumexp_cuda_kernelERKNSB_10TensorBaseESF_lENKUlvE_clEvENKUlvE0_clEvEUlffE_fEEDaPvRmT3_T4_T5_mT6_P12ihipStream_tbENKUlT_T0_E_clISt17integral_constantIbLb1EESW_EEDaSR_SS_EUlSR_E0_NS1_11comp_targetILNS1_3genE5ELNS1_11target_archE942ELNS1_3gpuE9ELNS1_3repE0EEENS1_30default_config_static_selectorELNS0_4arch9wavefront6targetE0EEEvT1_: ; @_ZN7rocprim17ROCPRIM_400000_NS6detail17trampoline_kernelINS0_14default_configENS1_20scan_config_selectorIfEEZZNS1_9scan_implILNS1_25lookback_scan_determinismE0ELb0ELb0ES3_PKfPffZZZN2at6native31launch_logcumsumexp_cuda_kernelERKNSB_10TensorBaseESF_lENKUlvE_clEvENKUlvE0_clEvEUlffE_fEEDaPvRmT3_T4_T5_mT6_P12ihipStream_tbENKUlT_T0_E_clISt17integral_constantIbLb1EESW_EEDaSR_SS_EUlSR_E0_NS1_11comp_targetILNS1_3genE5ELNS1_11target_archE942ELNS1_3gpuE9ELNS1_3repE0EEENS1_30default_config_static_selectorELNS0_4arch9wavefront6targetE0EEEvT1_
; %bb.0:
	.section	.rodata,"a",@progbits
	.p2align	6, 0x0
	.amdhsa_kernel _ZN7rocprim17ROCPRIM_400000_NS6detail17trampoline_kernelINS0_14default_configENS1_20scan_config_selectorIfEEZZNS1_9scan_implILNS1_25lookback_scan_determinismE0ELb0ELb0ES3_PKfPffZZZN2at6native31launch_logcumsumexp_cuda_kernelERKNSB_10TensorBaseESF_lENKUlvE_clEvENKUlvE0_clEvEUlffE_fEEDaPvRmT3_T4_T5_mT6_P12ihipStream_tbENKUlT_T0_E_clISt17integral_constantIbLb1EESW_EEDaSR_SS_EUlSR_E0_NS1_11comp_targetILNS1_3genE5ELNS1_11target_archE942ELNS1_3gpuE9ELNS1_3repE0EEENS1_30default_config_static_selectorELNS0_4arch9wavefront6targetE0EEEvT1_
		.amdhsa_group_segment_fixed_size 0
		.amdhsa_private_segment_fixed_size 0
		.amdhsa_kernarg_size 32
		.amdhsa_user_sgpr_count 15
		.amdhsa_user_sgpr_dispatch_ptr 0
		.amdhsa_user_sgpr_queue_ptr 0
		.amdhsa_user_sgpr_kernarg_segment_ptr 1
		.amdhsa_user_sgpr_dispatch_id 0
		.amdhsa_user_sgpr_private_segment_size 0
		.amdhsa_wavefront_size32 1
		.amdhsa_uses_dynamic_stack 0
		.amdhsa_enable_private_segment 0
		.amdhsa_system_sgpr_workgroup_id_x 1
		.amdhsa_system_sgpr_workgroup_id_y 0
		.amdhsa_system_sgpr_workgroup_id_z 0
		.amdhsa_system_sgpr_workgroup_info 0
		.amdhsa_system_vgpr_workitem_id 0
		.amdhsa_next_free_vgpr 1
		.amdhsa_next_free_sgpr 1
		.amdhsa_reserve_vcc 0
		.amdhsa_float_round_mode_32 0
		.amdhsa_float_round_mode_16_64 0
		.amdhsa_float_denorm_mode_32 3
		.amdhsa_float_denorm_mode_16_64 3
		.amdhsa_dx10_clamp 1
		.amdhsa_ieee_mode 1
		.amdhsa_fp16_overflow 0
		.amdhsa_workgroup_processor_mode 1
		.amdhsa_memory_ordered 1
		.amdhsa_forward_progress 0
		.amdhsa_shared_vgpr_count 0
		.amdhsa_exception_fp_ieee_invalid_op 0
		.amdhsa_exception_fp_denorm_src 0
		.amdhsa_exception_fp_ieee_div_zero 0
		.amdhsa_exception_fp_ieee_overflow 0
		.amdhsa_exception_fp_ieee_underflow 0
		.amdhsa_exception_fp_ieee_inexact 0
		.amdhsa_exception_int_div_zero 0
	.end_amdhsa_kernel
	.section	.text._ZN7rocprim17ROCPRIM_400000_NS6detail17trampoline_kernelINS0_14default_configENS1_20scan_config_selectorIfEEZZNS1_9scan_implILNS1_25lookback_scan_determinismE0ELb0ELb0ES3_PKfPffZZZN2at6native31launch_logcumsumexp_cuda_kernelERKNSB_10TensorBaseESF_lENKUlvE_clEvENKUlvE0_clEvEUlffE_fEEDaPvRmT3_T4_T5_mT6_P12ihipStream_tbENKUlT_T0_E_clISt17integral_constantIbLb1EESW_EEDaSR_SS_EUlSR_E0_NS1_11comp_targetILNS1_3genE5ELNS1_11target_archE942ELNS1_3gpuE9ELNS1_3repE0EEENS1_30default_config_static_selectorELNS0_4arch9wavefront6targetE0EEEvT1_,"axG",@progbits,_ZN7rocprim17ROCPRIM_400000_NS6detail17trampoline_kernelINS0_14default_configENS1_20scan_config_selectorIfEEZZNS1_9scan_implILNS1_25lookback_scan_determinismE0ELb0ELb0ES3_PKfPffZZZN2at6native31launch_logcumsumexp_cuda_kernelERKNSB_10TensorBaseESF_lENKUlvE_clEvENKUlvE0_clEvEUlffE_fEEDaPvRmT3_T4_T5_mT6_P12ihipStream_tbENKUlT_T0_E_clISt17integral_constantIbLb1EESW_EEDaSR_SS_EUlSR_E0_NS1_11comp_targetILNS1_3genE5ELNS1_11target_archE942ELNS1_3gpuE9ELNS1_3repE0EEENS1_30default_config_static_selectorELNS0_4arch9wavefront6targetE0EEEvT1_,comdat
.Lfunc_end129:
	.size	_ZN7rocprim17ROCPRIM_400000_NS6detail17trampoline_kernelINS0_14default_configENS1_20scan_config_selectorIfEEZZNS1_9scan_implILNS1_25lookback_scan_determinismE0ELb0ELb0ES3_PKfPffZZZN2at6native31launch_logcumsumexp_cuda_kernelERKNSB_10TensorBaseESF_lENKUlvE_clEvENKUlvE0_clEvEUlffE_fEEDaPvRmT3_T4_T5_mT6_P12ihipStream_tbENKUlT_T0_E_clISt17integral_constantIbLb1EESW_EEDaSR_SS_EUlSR_E0_NS1_11comp_targetILNS1_3genE5ELNS1_11target_archE942ELNS1_3gpuE9ELNS1_3repE0EEENS1_30default_config_static_selectorELNS0_4arch9wavefront6targetE0EEEvT1_, .Lfunc_end129-_ZN7rocprim17ROCPRIM_400000_NS6detail17trampoline_kernelINS0_14default_configENS1_20scan_config_selectorIfEEZZNS1_9scan_implILNS1_25lookback_scan_determinismE0ELb0ELb0ES3_PKfPffZZZN2at6native31launch_logcumsumexp_cuda_kernelERKNSB_10TensorBaseESF_lENKUlvE_clEvENKUlvE0_clEvEUlffE_fEEDaPvRmT3_T4_T5_mT6_P12ihipStream_tbENKUlT_T0_E_clISt17integral_constantIbLb1EESW_EEDaSR_SS_EUlSR_E0_NS1_11comp_targetILNS1_3genE5ELNS1_11target_archE942ELNS1_3gpuE9ELNS1_3repE0EEENS1_30default_config_static_selectorELNS0_4arch9wavefront6targetE0EEEvT1_
                                        ; -- End function
	.section	.AMDGPU.csdata,"",@progbits
; Kernel info:
; codeLenInByte = 0
; NumSgprs: 0
; NumVgprs: 0
; ScratchSize: 0
; MemoryBound: 0
; FloatMode: 240
; IeeeMode: 1
; LDSByteSize: 0 bytes/workgroup (compile time only)
; SGPRBlocks: 0
; VGPRBlocks: 0
; NumSGPRsForWavesPerEU: 1
; NumVGPRsForWavesPerEU: 1
; Occupancy: 16
; WaveLimiterHint : 0
; COMPUTE_PGM_RSRC2:SCRATCH_EN: 0
; COMPUTE_PGM_RSRC2:USER_SGPR: 15
; COMPUTE_PGM_RSRC2:TRAP_HANDLER: 0
; COMPUTE_PGM_RSRC2:TGID_X_EN: 1
; COMPUTE_PGM_RSRC2:TGID_Y_EN: 0
; COMPUTE_PGM_RSRC2:TGID_Z_EN: 0
; COMPUTE_PGM_RSRC2:TIDIG_COMP_CNT: 0
	.section	.text._ZN7rocprim17ROCPRIM_400000_NS6detail17trampoline_kernelINS0_14default_configENS1_20scan_config_selectorIfEEZZNS1_9scan_implILNS1_25lookback_scan_determinismE0ELb0ELb0ES3_PKfPffZZZN2at6native31launch_logcumsumexp_cuda_kernelERKNSB_10TensorBaseESF_lENKUlvE_clEvENKUlvE0_clEvEUlffE_fEEDaPvRmT3_T4_T5_mT6_P12ihipStream_tbENKUlT_T0_E_clISt17integral_constantIbLb1EESW_EEDaSR_SS_EUlSR_E0_NS1_11comp_targetILNS1_3genE4ELNS1_11target_archE910ELNS1_3gpuE8ELNS1_3repE0EEENS1_30default_config_static_selectorELNS0_4arch9wavefront6targetE0EEEvT1_,"axG",@progbits,_ZN7rocprim17ROCPRIM_400000_NS6detail17trampoline_kernelINS0_14default_configENS1_20scan_config_selectorIfEEZZNS1_9scan_implILNS1_25lookback_scan_determinismE0ELb0ELb0ES3_PKfPffZZZN2at6native31launch_logcumsumexp_cuda_kernelERKNSB_10TensorBaseESF_lENKUlvE_clEvENKUlvE0_clEvEUlffE_fEEDaPvRmT3_T4_T5_mT6_P12ihipStream_tbENKUlT_T0_E_clISt17integral_constantIbLb1EESW_EEDaSR_SS_EUlSR_E0_NS1_11comp_targetILNS1_3genE4ELNS1_11target_archE910ELNS1_3gpuE8ELNS1_3repE0EEENS1_30default_config_static_selectorELNS0_4arch9wavefront6targetE0EEEvT1_,comdat
	.globl	_ZN7rocprim17ROCPRIM_400000_NS6detail17trampoline_kernelINS0_14default_configENS1_20scan_config_selectorIfEEZZNS1_9scan_implILNS1_25lookback_scan_determinismE0ELb0ELb0ES3_PKfPffZZZN2at6native31launch_logcumsumexp_cuda_kernelERKNSB_10TensorBaseESF_lENKUlvE_clEvENKUlvE0_clEvEUlffE_fEEDaPvRmT3_T4_T5_mT6_P12ihipStream_tbENKUlT_T0_E_clISt17integral_constantIbLb1EESW_EEDaSR_SS_EUlSR_E0_NS1_11comp_targetILNS1_3genE4ELNS1_11target_archE910ELNS1_3gpuE8ELNS1_3repE0EEENS1_30default_config_static_selectorELNS0_4arch9wavefront6targetE0EEEvT1_ ; -- Begin function _ZN7rocprim17ROCPRIM_400000_NS6detail17trampoline_kernelINS0_14default_configENS1_20scan_config_selectorIfEEZZNS1_9scan_implILNS1_25lookback_scan_determinismE0ELb0ELb0ES3_PKfPffZZZN2at6native31launch_logcumsumexp_cuda_kernelERKNSB_10TensorBaseESF_lENKUlvE_clEvENKUlvE0_clEvEUlffE_fEEDaPvRmT3_T4_T5_mT6_P12ihipStream_tbENKUlT_T0_E_clISt17integral_constantIbLb1EESW_EEDaSR_SS_EUlSR_E0_NS1_11comp_targetILNS1_3genE4ELNS1_11target_archE910ELNS1_3gpuE8ELNS1_3repE0EEENS1_30default_config_static_selectorELNS0_4arch9wavefront6targetE0EEEvT1_
	.p2align	8
	.type	_ZN7rocprim17ROCPRIM_400000_NS6detail17trampoline_kernelINS0_14default_configENS1_20scan_config_selectorIfEEZZNS1_9scan_implILNS1_25lookback_scan_determinismE0ELb0ELb0ES3_PKfPffZZZN2at6native31launch_logcumsumexp_cuda_kernelERKNSB_10TensorBaseESF_lENKUlvE_clEvENKUlvE0_clEvEUlffE_fEEDaPvRmT3_T4_T5_mT6_P12ihipStream_tbENKUlT_T0_E_clISt17integral_constantIbLb1EESW_EEDaSR_SS_EUlSR_E0_NS1_11comp_targetILNS1_3genE4ELNS1_11target_archE910ELNS1_3gpuE8ELNS1_3repE0EEENS1_30default_config_static_selectorELNS0_4arch9wavefront6targetE0EEEvT1_,@function
_ZN7rocprim17ROCPRIM_400000_NS6detail17trampoline_kernelINS0_14default_configENS1_20scan_config_selectorIfEEZZNS1_9scan_implILNS1_25lookback_scan_determinismE0ELb0ELb0ES3_PKfPffZZZN2at6native31launch_logcumsumexp_cuda_kernelERKNSB_10TensorBaseESF_lENKUlvE_clEvENKUlvE0_clEvEUlffE_fEEDaPvRmT3_T4_T5_mT6_P12ihipStream_tbENKUlT_T0_E_clISt17integral_constantIbLb1EESW_EEDaSR_SS_EUlSR_E0_NS1_11comp_targetILNS1_3genE4ELNS1_11target_archE910ELNS1_3gpuE8ELNS1_3repE0EEENS1_30default_config_static_selectorELNS0_4arch9wavefront6targetE0EEEvT1_: ; @_ZN7rocprim17ROCPRIM_400000_NS6detail17trampoline_kernelINS0_14default_configENS1_20scan_config_selectorIfEEZZNS1_9scan_implILNS1_25lookback_scan_determinismE0ELb0ELb0ES3_PKfPffZZZN2at6native31launch_logcumsumexp_cuda_kernelERKNSB_10TensorBaseESF_lENKUlvE_clEvENKUlvE0_clEvEUlffE_fEEDaPvRmT3_T4_T5_mT6_P12ihipStream_tbENKUlT_T0_E_clISt17integral_constantIbLb1EESW_EEDaSR_SS_EUlSR_E0_NS1_11comp_targetILNS1_3genE4ELNS1_11target_archE910ELNS1_3gpuE8ELNS1_3repE0EEENS1_30default_config_static_selectorELNS0_4arch9wavefront6targetE0EEEvT1_
; %bb.0:
	.section	.rodata,"a",@progbits
	.p2align	6, 0x0
	.amdhsa_kernel _ZN7rocprim17ROCPRIM_400000_NS6detail17trampoline_kernelINS0_14default_configENS1_20scan_config_selectorIfEEZZNS1_9scan_implILNS1_25lookback_scan_determinismE0ELb0ELb0ES3_PKfPffZZZN2at6native31launch_logcumsumexp_cuda_kernelERKNSB_10TensorBaseESF_lENKUlvE_clEvENKUlvE0_clEvEUlffE_fEEDaPvRmT3_T4_T5_mT6_P12ihipStream_tbENKUlT_T0_E_clISt17integral_constantIbLb1EESW_EEDaSR_SS_EUlSR_E0_NS1_11comp_targetILNS1_3genE4ELNS1_11target_archE910ELNS1_3gpuE8ELNS1_3repE0EEENS1_30default_config_static_selectorELNS0_4arch9wavefront6targetE0EEEvT1_
		.amdhsa_group_segment_fixed_size 0
		.amdhsa_private_segment_fixed_size 0
		.amdhsa_kernarg_size 32
		.amdhsa_user_sgpr_count 15
		.amdhsa_user_sgpr_dispatch_ptr 0
		.amdhsa_user_sgpr_queue_ptr 0
		.amdhsa_user_sgpr_kernarg_segment_ptr 1
		.amdhsa_user_sgpr_dispatch_id 0
		.amdhsa_user_sgpr_private_segment_size 0
		.amdhsa_wavefront_size32 1
		.amdhsa_uses_dynamic_stack 0
		.amdhsa_enable_private_segment 0
		.amdhsa_system_sgpr_workgroup_id_x 1
		.amdhsa_system_sgpr_workgroup_id_y 0
		.amdhsa_system_sgpr_workgroup_id_z 0
		.amdhsa_system_sgpr_workgroup_info 0
		.amdhsa_system_vgpr_workitem_id 0
		.amdhsa_next_free_vgpr 1
		.amdhsa_next_free_sgpr 1
		.amdhsa_reserve_vcc 0
		.amdhsa_float_round_mode_32 0
		.amdhsa_float_round_mode_16_64 0
		.amdhsa_float_denorm_mode_32 3
		.amdhsa_float_denorm_mode_16_64 3
		.amdhsa_dx10_clamp 1
		.amdhsa_ieee_mode 1
		.amdhsa_fp16_overflow 0
		.amdhsa_workgroup_processor_mode 1
		.amdhsa_memory_ordered 1
		.amdhsa_forward_progress 0
		.amdhsa_shared_vgpr_count 0
		.amdhsa_exception_fp_ieee_invalid_op 0
		.amdhsa_exception_fp_denorm_src 0
		.amdhsa_exception_fp_ieee_div_zero 0
		.amdhsa_exception_fp_ieee_overflow 0
		.amdhsa_exception_fp_ieee_underflow 0
		.amdhsa_exception_fp_ieee_inexact 0
		.amdhsa_exception_int_div_zero 0
	.end_amdhsa_kernel
	.section	.text._ZN7rocprim17ROCPRIM_400000_NS6detail17trampoline_kernelINS0_14default_configENS1_20scan_config_selectorIfEEZZNS1_9scan_implILNS1_25lookback_scan_determinismE0ELb0ELb0ES3_PKfPffZZZN2at6native31launch_logcumsumexp_cuda_kernelERKNSB_10TensorBaseESF_lENKUlvE_clEvENKUlvE0_clEvEUlffE_fEEDaPvRmT3_T4_T5_mT6_P12ihipStream_tbENKUlT_T0_E_clISt17integral_constantIbLb1EESW_EEDaSR_SS_EUlSR_E0_NS1_11comp_targetILNS1_3genE4ELNS1_11target_archE910ELNS1_3gpuE8ELNS1_3repE0EEENS1_30default_config_static_selectorELNS0_4arch9wavefront6targetE0EEEvT1_,"axG",@progbits,_ZN7rocprim17ROCPRIM_400000_NS6detail17trampoline_kernelINS0_14default_configENS1_20scan_config_selectorIfEEZZNS1_9scan_implILNS1_25lookback_scan_determinismE0ELb0ELb0ES3_PKfPffZZZN2at6native31launch_logcumsumexp_cuda_kernelERKNSB_10TensorBaseESF_lENKUlvE_clEvENKUlvE0_clEvEUlffE_fEEDaPvRmT3_T4_T5_mT6_P12ihipStream_tbENKUlT_T0_E_clISt17integral_constantIbLb1EESW_EEDaSR_SS_EUlSR_E0_NS1_11comp_targetILNS1_3genE4ELNS1_11target_archE910ELNS1_3gpuE8ELNS1_3repE0EEENS1_30default_config_static_selectorELNS0_4arch9wavefront6targetE0EEEvT1_,comdat
.Lfunc_end130:
	.size	_ZN7rocprim17ROCPRIM_400000_NS6detail17trampoline_kernelINS0_14default_configENS1_20scan_config_selectorIfEEZZNS1_9scan_implILNS1_25lookback_scan_determinismE0ELb0ELb0ES3_PKfPffZZZN2at6native31launch_logcumsumexp_cuda_kernelERKNSB_10TensorBaseESF_lENKUlvE_clEvENKUlvE0_clEvEUlffE_fEEDaPvRmT3_T4_T5_mT6_P12ihipStream_tbENKUlT_T0_E_clISt17integral_constantIbLb1EESW_EEDaSR_SS_EUlSR_E0_NS1_11comp_targetILNS1_3genE4ELNS1_11target_archE910ELNS1_3gpuE8ELNS1_3repE0EEENS1_30default_config_static_selectorELNS0_4arch9wavefront6targetE0EEEvT1_, .Lfunc_end130-_ZN7rocprim17ROCPRIM_400000_NS6detail17trampoline_kernelINS0_14default_configENS1_20scan_config_selectorIfEEZZNS1_9scan_implILNS1_25lookback_scan_determinismE0ELb0ELb0ES3_PKfPffZZZN2at6native31launch_logcumsumexp_cuda_kernelERKNSB_10TensorBaseESF_lENKUlvE_clEvENKUlvE0_clEvEUlffE_fEEDaPvRmT3_T4_T5_mT6_P12ihipStream_tbENKUlT_T0_E_clISt17integral_constantIbLb1EESW_EEDaSR_SS_EUlSR_E0_NS1_11comp_targetILNS1_3genE4ELNS1_11target_archE910ELNS1_3gpuE8ELNS1_3repE0EEENS1_30default_config_static_selectorELNS0_4arch9wavefront6targetE0EEEvT1_
                                        ; -- End function
	.section	.AMDGPU.csdata,"",@progbits
; Kernel info:
; codeLenInByte = 0
; NumSgprs: 0
; NumVgprs: 0
; ScratchSize: 0
; MemoryBound: 0
; FloatMode: 240
; IeeeMode: 1
; LDSByteSize: 0 bytes/workgroup (compile time only)
; SGPRBlocks: 0
; VGPRBlocks: 0
; NumSGPRsForWavesPerEU: 1
; NumVGPRsForWavesPerEU: 1
; Occupancy: 16
; WaveLimiterHint : 0
; COMPUTE_PGM_RSRC2:SCRATCH_EN: 0
; COMPUTE_PGM_RSRC2:USER_SGPR: 15
; COMPUTE_PGM_RSRC2:TRAP_HANDLER: 0
; COMPUTE_PGM_RSRC2:TGID_X_EN: 1
; COMPUTE_PGM_RSRC2:TGID_Y_EN: 0
; COMPUTE_PGM_RSRC2:TGID_Z_EN: 0
; COMPUTE_PGM_RSRC2:TIDIG_COMP_CNT: 0
	.section	.text._ZN7rocprim17ROCPRIM_400000_NS6detail17trampoline_kernelINS0_14default_configENS1_20scan_config_selectorIfEEZZNS1_9scan_implILNS1_25lookback_scan_determinismE0ELb0ELb0ES3_PKfPffZZZN2at6native31launch_logcumsumexp_cuda_kernelERKNSB_10TensorBaseESF_lENKUlvE_clEvENKUlvE0_clEvEUlffE_fEEDaPvRmT3_T4_T5_mT6_P12ihipStream_tbENKUlT_T0_E_clISt17integral_constantIbLb1EESW_EEDaSR_SS_EUlSR_E0_NS1_11comp_targetILNS1_3genE3ELNS1_11target_archE908ELNS1_3gpuE7ELNS1_3repE0EEENS1_30default_config_static_selectorELNS0_4arch9wavefront6targetE0EEEvT1_,"axG",@progbits,_ZN7rocprim17ROCPRIM_400000_NS6detail17trampoline_kernelINS0_14default_configENS1_20scan_config_selectorIfEEZZNS1_9scan_implILNS1_25lookback_scan_determinismE0ELb0ELb0ES3_PKfPffZZZN2at6native31launch_logcumsumexp_cuda_kernelERKNSB_10TensorBaseESF_lENKUlvE_clEvENKUlvE0_clEvEUlffE_fEEDaPvRmT3_T4_T5_mT6_P12ihipStream_tbENKUlT_T0_E_clISt17integral_constantIbLb1EESW_EEDaSR_SS_EUlSR_E0_NS1_11comp_targetILNS1_3genE3ELNS1_11target_archE908ELNS1_3gpuE7ELNS1_3repE0EEENS1_30default_config_static_selectorELNS0_4arch9wavefront6targetE0EEEvT1_,comdat
	.globl	_ZN7rocprim17ROCPRIM_400000_NS6detail17trampoline_kernelINS0_14default_configENS1_20scan_config_selectorIfEEZZNS1_9scan_implILNS1_25lookback_scan_determinismE0ELb0ELb0ES3_PKfPffZZZN2at6native31launch_logcumsumexp_cuda_kernelERKNSB_10TensorBaseESF_lENKUlvE_clEvENKUlvE0_clEvEUlffE_fEEDaPvRmT3_T4_T5_mT6_P12ihipStream_tbENKUlT_T0_E_clISt17integral_constantIbLb1EESW_EEDaSR_SS_EUlSR_E0_NS1_11comp_targetILNS1_3genE3ELNS1_11target_archE908ELNS1_3gpuE7ELNS1_3repE0EEENS1_30default_config_static_selectorELNS0_4arch9wavefront6targetE0EEEvT1_ ; -- Begin function _ZN7rocprim17ROCPRIM_400000_NS6detail17trampoline_kernelINS0_14default_configENS1_20scan_config_selectorIfEEZZNS1_9scan_implILNS1_25lookback_scan_determinismE0ELb0ELb0ES3_PKfPffZZZN2at6native31launch_logcumsumexp_cuda_kernelERKNSB_10TensorBaseESF_lENKUlvE_clEvENKUlvE0_clEvEUlffE_fEEDaPvRmT3_T4_T5_mT6_P12ihipStream_tbENKUlT_T0_E_clISt17integral_constantIbLb1EESW_EEDaSR_SS_EUlSR_E0_NS1_11comp_targetILNS1_3genE3ELNS1_11target_archE908ELNS1_3gpuE7ELNS1_3repE0EEENS1_30default_config_static_selectorELNS0_4arch9wavefront6targetE0EEEvT1_
	.p2align	8
	.type	_ZN7rocprim17ROCPRIM_400000_NS6detail17trampoline_kernelINS0_14default_configENS1_20scan_config_selectorIfEEZZNS1_9scan_implILNS1_25lookback_scan_determinismE0ELb0ELb0ES3_PKfPffZZZN2at6native31launch_logcumsumexp_cuda_kernelERKNSB_10TensorBaseESF_lENKUlvE_clEvENKUlvE0_clEvEUlffE_fEEDaPvRmT3_T4_T5_mT6_P12ihipStream_tbENKUlT_T0_E_clISt17integral_constantIbLb1EESW_EEDaSR_SS_EUlSR_E0_NS1_11comp_targetILNS1_3genE3ELNS1_11target_archE908ELNS1_3gpuE7ELNS1_3repE0EEENS1_30default_config_static_selectorELNS0_4arch9wavefront6targetE0EEEvT1_,@function
_ZN7rocprim17ROCPRIM_400000_NS6detail17trampoline_kernelINS0_14default_configENS1_20scan_config_selectorIfEEZZNS1_9scan_implILNS1_25lookback_scan_determinismE0ELb0ELb0ES3_PKfPffZZZN2at6native31launch_logcumsumexp_cuda_kernelERKNSB_10TensorBaseESF_lENKUlvE_clEvENKUlvE0_clEvEUlffE_fEEDaPvRmT3_T4_T5_mT6_P12ihipStream_tbENKUlT_T0_E_clISt17integral_constantIbLb1EESW_EEDaSR_SS_EUlSR_E0_NS1_11comp_targetILNS1_3genE3ELNS1_11target_archE908ELNS1_3gpuE7ELNS1_3repE0EEENS1_30default_config_static_selectorELNS0_4arch9wavefront6targetE0EEEvT1_: ; @_ZN7rocprim17ROCPRIM_400000_NS6detail17trampoline_kernelINS0_14default_configENS1_20scan_config_selectorIfEEZZNS1_9scan_implILNS1_25lookback_scan_determinismE0ELb0ELb0ES3_PKfPffZZZN2at6native31launch_logcumsumexp_cuda_kernelERKNSB_10TensorBaseESF_lENKUlvE_clEvENKUlvE0_clEvEUlffE_fEEDaPvRmT3_T4_T5_mT6_P12ihipStream_tbENKUlT_T0_E_clISt17integral_constantIbLb1EESW_EEDaSR_SS_EUlSR_E0_NS1_11comp_targetILNS1_3genE3ELNS1_11target_archE908ELNS1_3gpuE7ELNS1_3repE0EEENS1_30default_config_static_selectorELNS0_4arch9wavefront6targetE0EEEvT1_
; %bb.0:
	.section	.rodata,"a",@progbits
	.p2align	6, 0x0
	.amdhsa_kernel _ZN7rocprim17ROCPRIM_400000_NS6detail17trampoline_kernelINS0_14default_configENS1_20scan_config_selectorIfEEZZNS1_9scan_implILNS1_25lookback_scan_determinismE0ELb0ELb0ES3_PKfPffZZZN2at6native31launch_logcumsumexp_cuda_kernelERKNSB_10TensorBaseESF_lENKUlvE_clEvENKUlvE0_clEvEUlffE_fEEDaPvRmT3_T4_T5_mT6_P12ihipStream_tbENKUlT_T0_E_clISt17integral_constantIbLb1EESW_EEDaSR_SS_EUlSR_E0_NS1_11comp_targetILNS1_3genE3ELNS1_11target_archE908ELNS1_3gpuE7ELNS1_3repE0EEENS1_30default_config_static_selectorELNS0_4arch9wavefront6targetE0EEEvT1_
		.amdhsa_group_segment_fixed_size 0
		.amdhsa_private_segment_fixed_size 0
		.amdhsa_kernarg_size 32
		.amdhsa_user_sgpr_count 15
		.amdhsa_user_sgpr_dispatch_ptr 0
		.amdhsa_user_sgpr_queue_ptr 0
		.amdhsa_user_sgpr_kernarg_segment_ptr 1
		.amdhsa_user_sgpr_dispatch_id 0
		.amdhsa_user_sgpr_private_segment_size 0
		.amdhsa_wavefront_size32 1
		.amdhsa_uses_dynamic_stack 0
		.amdhsa_enable_private_segment 0
		.amdhsa_system_sgpr_workgroup_id_x 1
		.amdhsa_system_sgpr_workgroup_id_y 0
		.amdhsa_system_sgpr_workgroup_id_z 0
		.amdhsa_system_sgpr_workgroup_info 0
		.amdhsa_system_vgpr_workitem_id 0
		.amdhsa_next_free_vgpr 1
		.amdhsa_next_free_sgpr 1
		.amdhsa_reserve_vcc 0
		.amdhsa_float_round_mode_32 0
		.amdhsa_float_round_mode_16_64 0
		.amdhsa_float_denorm_mode_32 3
		.amdhsa_float_denorm_mode_16_64 3
		.amdhsa_dx10_clamp 1
		.amdhsa_ieee_mode 1
		.amdhsa_fp16_overflow 0
		.amdhsa_workgroup_processor_mode 1
		.amdhsa_memory_ordered 1
		.amdhsa_forward_progress 0
		.amdhsa_shared_vgpr_count 0
		.amdhsa_exception_fp_ieee_invalid_op 0
		.amdhsa_exception_fp_denorm_src 0
		.amdhsa_exception_fp_ieee_div_zero 0
		.amdhsa_exception_fp_ieee_overflow 0
		.amdhsa_exception_fp_ieee_underflow 0
		.amdhsa_exception_fp_ieee_inexact 0
		.amdhsa_exception_int_div_zero 0
	.end_amdhsa_kernel
	.section	.text._ZN7rocprim17ROCPRIM_400000_NS6detail17trampoline_kernelINS0_14default_configENS1_20scan_config_selectorIfEEZZNS1_9scan_implILNS1_25lookback_scan_determinismE0ELb0ELb0ES3_PKfPffZZZN2at6native31launch_logcumsumexp_cuda_kernelERKNSB_10TensorBaseESF_lENKUlvE_clEvENKUlvE0_clEvEUlffE_fEEDaPvRmT3_T4_T5_mT6_P12ihipStream_tbENKUlT_T0_E_clISt17integral_constantIbLb1EESW_EEDaSR_SS_EUlSR_E0_NS1_11comp_targetILNS1_3genE3ELNS1_11target_archE908ELNS1_3gpuE7ELNS1_3repE0EEENS1_30default_config_static_selectorELNS0_4arch9wavefront6targetE0EEEvT1_,"axG",@progbits,_ZN7rocprim17ROCPRIM_400000_NS6detail17trampoline_kernelINS0_14default_configENS1_20scan_config_selectorIfEEZZNS1_9scan_implILNS1_25lookback_scan_determinismE0ELb0ELb0ES3_PKfPffZZZN2at6native31launch_logcumsumexp_cuda_kernelERKNSB_10TensorBaseESF_lENKUlvE_clEvENKUlvE0_clEvEUlffE_fEEDaPvRmT3_T4_T5_mT6_P12ihipStream_tbENKUlT_T0_E_clISt17integral_constantIbLb1EESW_EEDaSR_SS_EUlSR_E0_NS1_11comp_targetILNS1_3genE3ELNS1_11target_archE908ELNS1_3gpuE7ELNS1_3repE0EEENS1_30default_config_static_selectorELNS0_4arch9wavefront6targetE0EEEvT1_,comdat
.Lfunc_end131:
	.size	_ZN7rocprim17ROCPRIM_400000_NS6detail17trampoline_kernelINS0_14default_configENS1_20scan_config_selectorIfEEZZNS1_9scan_implILNS1_25lookback_scan_determinismE0ELb0ELb0ES3_PKfPffZZZN2at6native31launch_logcumsumexp_cuda_kernelERKNSB_10TensorBaseESF_lENKUlvE_clEvENKUlvE0_clEvEUlffE_fEEDaPvRmT3_T4_T5_mT6_P12ihipStream_tbENKUlT_T0_E_clISt17integral_constantIbLb1EESW_EEDaSR_SS_EUlSR_E0_NS1_11comp_targetILNS1_3genE3ELNS1_11target_archE908ELNS1_3gpuE7ELNS1_3repE0EEENS1_30default_config_static_selectorELNS0_4arch9wavefront6targetE0EEEvT1_, .Lfunc_end131-_ZN7rocprim17ROCPRIM_400000_NS6detail17trampoline_kernelINS0_14default_configENS1_20scan_config_selectorIfEEZZNS1_9scan_implILNS1_25lookback_scan_determinismE0ELb0ELb0ES3_PKfPffZZZN2at6native31launch_logcumsumexp_cuda_kernelERKNSB_10TensorBaseESF_lENKUlvE_clEvENKUlvE0_clEvEUlffE_fEEDaPvRmT3_T4_T5_mT6_P12ihipStream_tbENKUlT_T0_E_clISt17integral_constantIbLb1EESW_EEDaSR_SS_EUlSR_E0_NS1_11comp_targetILNS1_3genE3ELNS1_11target_archE908ELNS1_3gpuE7ELNS1_3repE0EEENS1_30default_config_static_selectorELNS0_4arch9wavefront6targetE0EEEvT1_
                                        ; -- End function
	.section	.AMDGPU.csdata,"",@progbits
; Kernel info:
; codeLenInByte = 0
; NumSgprs: 0
; NumVgprs: 0
; ScratchSize: 0
; MemoryBound: 0
; FloatMode: 240
; IeeeMode: 1
; LDSByteSize: 0 bytes/workgroup (compile time only)
; SGPRBlocks: 0
; VGPRBlocks: 0
; NumSGPRsForWavesPerEU: 1
; NumVGPRsForWavesPerEU: 1
; Occupancy: 16
; WaveLimiterHint : 0
; COMPUTE_PGM_RSRC2:SCRATCH_EN: 0
; COMPUTE_PGM_RSRC2:USER_SGPR: 15
; COMPUTE_PGM_RSRC2:TRAP_HANDLER: 0
; COMPUTE_PGM_RSRC2:TGID_X_EN: 1
; COMPUTE_PGM_RSRC2:TGID_Y_EN: 0
; COMPUTE_PGM_RSRC2:TGID_Z_EN: 0
; COMPUTE_PGM_RSRC2:TIDIG_COMP_CNT: 0
	.section	.text._ZN7rocprim17ROCPRIM_400000_NS6detail17trampoline_kernelINS0_14default_configENS1_20scan_config_selectorIfEEZZNS1_9scan_implILNS1_25lookback_scan_determinismE0ELb0ELb0ES3_PKfPffZZZN2at6native31launch_logcumsumexp_cuda_kernelERKNSB_10TensorBaseESF_lENKUlvE_clEvENKUlvE0_clEvEUlffE_fEEDaPvRmT3_T4_T5_mT6_P12ihipStream_tbENKUlT_T0_E_clISt17integral_constantIbLb1EESW_EEDaSR_SS_EUlSR_E0_NS1_11comp_targetILNS1_3genE2ELNS1_11target_archE906ELNS1_3gpuE6ELNS1_3repE0EEENS1_30default_config_static_selectorELNS0_4arch9wavefront6targetE0EEEvT1_,"axG",@progbits,_ZN7rocprim17ROCPRIM_400000_NS6detail17trampoline_kernelINS0_14default_configENS1_20scan_config_selectorIfEEZZNS1_9scan_implILNS1_25lookback_scan_determinismE0ELb0ELb0ES3_PKfPffZZZN2at6native31launch_logcumsumexp_cuda_kernelERKNSB_10TensorBaseESF_lENKUlvE_clEvENKUlvE0_clEvEUlffE_fEEDaPvRmT3_T4_T5_mT6_P12ihipStream_tbENKUlT_T0_E_clISt17integral_constantIbLb1EESW_EEDaSR_SS_EUlSR_E0_NS1_11comp_targetILNS1_3genE2ELNS1_11target_archE906ELNS1_3gpuE6ELNS1_3repE0EEENS1_30default_config_static_selectorELNS0_4arch9wavefront6targetE0EEEvT1_,comdat
	.globl	_ZN7rocprim17ROCPRIM_400000_NS6detail17trampoline_kernelINS0_14default_configENS1_20scan_config_selectorIfEEZZNS1_9scan_implILNS1_25lookback_scan_determinismE0ELb0ELb0ES3_PKfPffZZZN2at6native31launch_logcumsumexp_cuda_kernelERKNSB_10TensorBaseESF_lENKUlvE_clEvENKUlvE0_clEvEUlffE_fEEDaPvRmT3_T4_T5_mT6_P12ihipStream_tbENKUlT_T0_E_clISt17integral_constantIbLb1EESW_EEDaSR_SS_EUlSR_E0_NS1_11comp_targetILNS1_3genE2ELNS1_11target_archE906ELNS1_3gpuE6ELNS1_3repE0EEENS1_30default_config_static_selectorELNS0_4arch9wavefront6targetE0EEEvT1_ ; -- Begin function _ZN7rocprim17ROCPRIM_400000_NS6detail17trampoline_kernelINS0_14default_configENS1_20scan_config_selectorIfEEZZNS1_9scan_implILNS1_25lookback_scan_determinismE0ELb0ELb0ES3_PKfPffZZZN2at6native31launch_logcumsumexp_cuda_kernelERKNSB_10TensorBaseESF_lENKUlvE_clEvENKUlvE0_clEvEUlffE_fEEDaPvRmT3_T4_T5_mT6_P12ihipStream_tbENKUlT_T0_E_clISt17integral_constantIbLb1EESW_EEDaSR_SS_EUlSR_E0_NS1_11comp_targetILNS1_3genE2ELNS1_11target_archE906ELNS1_3gpuE6ELNS1_3repE0EEENS1_30default_config_static_selectorELNS0_4arch9wavefront6targetE0EEEvT1_
	.p2align	8
	.type	_ZN7rocprim17ROCPRIM_400000_NS6detail17trampoline_kernelINS0_14default_configENS1_20scan_config_selectorIfEEZZNS1_9scan_implILNS1_25lookback_scan_determinismE0ELb0ELb0ES3_PKfPffZZZN2at6native31launch_logcumsumexp_cuda_kernelERKNSB_10TensorBaseESF_lENKUlvE_clEvENKUlvE0_clEvEUlffE_fEEDaPvRmT3_T4_T5_mT6_P12ihipStream_tbENKUlT_T0_E_clISt17integral_constantIbLb1EESW_EEDaSR_SS_EUlSR_E0_NS1_11comp_targetILNS1_3genE2ELNS1_11target_archE906ELNS1_3gpuE6ELNS1_3repE0EEENS1_30default_config_static_selectorELNS0_4arch9wavefront6targetE0EEEvT1_,@function
_ZN7rocprim17ROCPRIM_400000_NS6detail17trampoline_kernelINS0_14default_configENS1_20scan_config_selectorIfEEZZNS1_9scan_implILNS1_25lookback_scan_determinismE0ELb0ELb0ES3_PKfPffZZZN2at6native31launch_logcumsumexp_cuda_kernelERKNSB_10TensorBaseESF_lENKUlvE_clEvENKUlvE0_clEvEUlffE_fEEDaPvRmT3_T4_T5_mT6_P12ihipStream_tbENKUlT_T0_E_clISt17integral_constantIbLb1EESW_EEDaSR_SS_EUlSR_E0_NS1_11comp_targetILNS1_3genE2ELNS1_11target_archE906ELNS1_3gpuE6ELNS1_3repE0EEENS1_30default_config_static_selectorELNS0_4arch9wavefront6targetE0EEEvT1_: ; @_ZN7rocprim17ROCPRIM_400000_NS6detail17trampoline_kernelINS0_14default_configENS1_20scan_config_selectorIfEEZZNS1_9scan_implILNS1_25lookback_scan_determinismE0ELb0ELb0ES3_PKfPffZZZN2at6native31launch_logcumsumexp_cuda_kernelERKNSB_10TensorBaseESF_lENKUlvE_clEvENKUlvE0_clEvEUlffE_fEEDaPvRmT3_T4_T5_mT6_P12ihipStream_tbENKUlT_T0_E_clISt17integral_constantIbLb1EESW_EEDaSR_SS_EUlSR_E0_NS1_11comp_targetILNS1_3genE2ELNS1_11target_archE906ELNS1_3gpuE6ELNS1_3repE0EEENS1_30default_config_static_selectorELNS0_4arch9wavefront6targetE0EEEvT1_
; %bb.0:
	.section	.rodata,"a",@progbits
	.p2align	6, 0x0
	.amdhsa_kernel _ZN7rocprim17ROCPRIM_400000_NS6detail17trampoline_kernelINS0_14default_configENS1_20scan_config_selectorIfEEZZNS1_9scan_implILNS1_25lookback_scan_determinismE0ELb0ELb0ES3_PKfPffZZZN2at6native31launch_logcumsumexp_cuda_kernelERKNSB_10TensorBaseESF_lENKUlvE_clEvENKUlvE0_clEvEUlffE_fEEDaPvRmT3_T4_T5_mT6_P12ihipStream_tbENKUlT_T0_E_clISt17integral_constantIbLb1EESW_EEDaSR_SS_EUlSR_E0_NS1_11comp_targetILNS1_3genE2ELNS1_11target_archE906ELNS1_3gpuE6ELNS1_3repE0EEENS1_30default_config_static_selectorELNS0_4arch9wavefront6targetE0EEEvT1_
		.amdhsa_group_segment_fixed_size 0
		.amdhsa_private_segment_fixed_size 0
		.amdhsa_kernarg_size 32
		.amdhsa_user_sgpr_count 15
		.amdhsa_user_sgpr_dispatch_ptr 0
		.amdhsa_user_sgpr_queue_ptr 0
		.amdhsa_user_sgpr_kernarg_segment_ptr 1
		.amdhsa_user_sgpr_dispatch_id 0
		.amdhsa_user_sgpr_private_segment_size 0
		.amdhsa_wavefront_size32 1
		.amdhsa_uses_dynamic_stack 0
		.amdhsa_enable_private_segment 0
		.amdhsa_system_sgpr_workgroup_id_x 1
		.amdhsa_system_sgpr_workgroup_id_y 0
		.amdhsa_system_sgpr_workgroup_id_z 0
		.amdhsa_system_sgpr_workgroup_info 0
		.amdhsa_system_vgpr_workitem_id 0
		.amdhsa_next_free_vgpr 1
		.amdhsa_next_free_sgpr 1
		.amdhsa_reserve_vcc 0
		.amdhsa_float_round_mode_32 0
		.amdhsa_float_round_mode_16_64 0
		.amdhsa_float_denorm_mode_32 3
		.amdhsa_float_denorm_mode_16_64 3
		.amdhsa_dx10_clamp 1
		.amdhsa_ieee_mode 1
		.amdhsa_fp16_overflow 0
		.amdhsa_workgroup_processor_mode 1
		.amdhsa_memory_ordered 1
		.amdhsa_forward_progress 0
		.amdhsa_shared_vgpr_count 0
		.amdhsa_exception_fp_ieee_invalid_op 0
		.amdhsa_exception_fp_denorm_src 0
		.amdhsa_exception_fp_ieee_div_zero 0
		.amdhsa_exception_fp_ieee_overflow 0
		.amdhsa_exception_fp_ieee_underflow 0
		.amdhsa_exception_fp_ieee_inexact 0
		.amdhsa_exception_int_div_zero 0
	.end_amdhsa_kernel
	.section	.text._ZN7rocprim17ROCPRIM_400000_NS6detail17trampoline_kernelINS0_14default_configENS1_20scan_config_selectorIfEEZZNS1_9scan_implILNS1_25lookback_scan_determinismE0ELb0ELb0ES3_PKfPffZZZN2at6native31launch_logcumsumexp_cuda_kernelERKNSB_10TensorBaseESF_lENKUlvE_clEvENKUlvE0_clEvEUlffE_fEEDaPvRmT3_T4_T5_mT6_P12ihipStream_tbENKUlT_T0_E_clISt17integral_constantIbLb1EESW_EEDaSR_SS_EUlSR_E0_NS1_11comp_targetILNS1_3genE2ELNS1_11target_archE906ELNS1_3gpuE6ELNS1_3repE0EEENS1_30default_config_static_selectorELNS0_4arch9wavefront6targetE0EEEvT1_,"axG",@progbits,_ZN7rocprim17ROCPRIM_400000_NS6detail17trampoline_kernelINS0_14default_configENS1_20scan_config_selectorIfEEZZNS1_9scan_implILNS1_25lookback_scan_determinismE0ELb0ELb0ES3_PKfPffZZZN2at6native31launch_logcumsumexp_cuda_kernelERKNSB_10TensorBaseESF_lENKUlvE_clEvENKUlvE0_clEvEUlffE_fEEDaPvRmT3_T4_T5_mT6_P12ihipStream_tbENKUlT_T0_E_clISt17integral_constantIbLb1EESW_EEDaSR_SS_EUlSR_E0_NS1_11comp_targetILNS1_3genE2ELNS1_11target_archE906ELNS1_3gpuE6ELNS1_3repE0EEENS1_30default_config_static_selectorELNS0_4arch9wavefront6targetE0EEEvT1_,comdat
.Lfunc_end132:
	.size	_ZN7rocprim17ROCPRIM_400000_NS6detail17trampoline_kernelINS0_14default_configENS1_20scan_config_selectorIfEEZZNS1_9scan_implILNS1_25lookback_scan_determinismE0ELb0ELb0ES3_PKfPffZZZN2at6native31launch_logcumsumexp_cuda_kernelERKNSB_10TensorBaseESF_lENKUlvE_clEvENKUlvE0_clEvEUlffE_fEEDaPvRmT3_T4_T5_mT6_P12ihipStream_tbENKUlT_T0_E_clISt17integral_constantIbLb1EESW_EEDaSR_SS_EUlSR_E0_NS1_11comp_targetILNS1_3genE2ELNS1_11target_archE906ELNS1_3gpuE6ELNS1_3repE0EEENS1_30default_config_static_selectorELNS0_4arch9wavefront6targetE0EEEvT1_, .Lfunc_end132-_ZN7rocprim17ROCPRIM_400000_NS6detail17trampoline_kernelINS0_14default_configENS1_20scan_config_selectorIfEEZZNS1_9scan_implILNS1_25lookback_scan_determinismE0ELb0ELb0ES3_PKfPffZZZN2at6native31launch_logcumsumexp_cuda_kernelERKNSB_10TensorBaseESF_lENKUlvE_clEvENKUlvE0_clEvEUlffE_fEEDaPvRmT3_T4_T5_mT6_P12ihipStream_tbENKUlT_T0_E_clISt17integral_constantIbLb1EESW_EEDaSR_SS_EUlSR_E0_NS1_11comp_targetILNS1_3genE2ELNS1_11target_archE906ELNS1_3gpuE6ELNS1_3repE0EEENS1_30default_config_static_selectorELNS0_4arch9wavefront6targetE0EEEvT1_
                                        ; -- End function
	.section	.AMDGPU.csdata,"",@progbits
; Kernel info:
; codeLenInByte = 0
; NumSgprs: 0
; NumVgprs: 0
; ScratchSize: 0
; MemoryBound: 0
; FloatMode: 240
; IeeeMode: 1
; LDSByteSize: 0 bytes/workgroup (compile time only)
; SGPRBlocks: 0
; VGPRBlocks: 0
; NumSGPRsForWavesPerEU: 1
; NumVGPRsForWavesPerEU: 1
; Occupancy: 16
; WaveLimiterHint : 0
; COMPUTE_PGM_RSRC2:SCRATCH_EN: 0
; COMPUTE_PGM_RSRC2:USER_SGPR: 15
; COMPUTE_PGM_RSRC2:TRAP_HANDLER: 0
; COMPUTE_PGM_RSRC2:TGID_X_EN: 1
; COMPUTE_PGM_RSRC2:TGID_Y_EN: 0
; COMPUTE_PGM_RSRC2:TGID_Z_EN: 0
; COMPUTE_PGM_RSRC2:TIDIG_COMP_CNT: 0
	.section	.text._ZN7rocprim17ROCPRIM_400000_NS6detail17trampoline_kernelINS0_14default_configENS1_20scan_config_selectorIfEEZZNS1_9scan_implILNS1_25lookback_scan_determinismE0ELb0ELb0ES3_PKfPffZZZN2at6native31launch_logcumsumexp_cuda_kernelERKNSB_10TensorBaseESF_lENKUlvE_clEvENKUlvE0_clEvEUlffE_fEEDaPvRmT3_T4_T5_mT6_P12ihipStream_tbENKUlT_T0_E_clISt17integral_constantIbLb1EESW_EEDaSR_SS_EUlSR_E0_NS1_11comp_targetILNS1_3genE10ELNS1_11target_archE1201ELNS1_3gpuE5ELNS1_3repE0EEENS1_30default_config_static_selectorELNS0_4arch9wavefront6targetE0EEEvT1_,"axG",@progbits,_ZN7rocprim17ROCPRIM_400000_NS6detail17trampoline_kernelINS0_14default_configENS1_20scan_config_selectorIfEEZZNS1_9scan_implILNS1_25lookback_scan_determinismE0ELb0ELb0ES3_PKfPffZZZN2at6native31launch_logcumsumexp_cuda_kernelERKNSB_10TensorBaseESF_lENKUlvE_clEvENKUlvE0_clEvEUlffE_fEEDaPvRmT3_T4_T5_mT6_P12ihipStream_tbENKUlT_T0_E_clISt17integral_constantIbLb1EESW_EEDaSR_SS_EUlSR_E0_NS1_11comp_targetILNS1_3genE10ELNS1_11target_archE1201ELNS1_3gpuE5ELNS1_3repE0EEENS1_30default_config_static_selectorELNS0_4arch9wavefront6targetE0EEEvT1_,comdat
	.globl	_ZN7rocprim17ROCPRIM_400000_NS6detail17trampoline_kernelINS0_14default_configENS1_20scan_config_selectorIfEEZZNS1_9scan_implILNS1_25lookback_scan_determinismE0ELb0ELb0ES3_PKfPffZZZN2at6native31launch_logcumsumexp_cuda_kernelERKNSB_10TensorBaseESF_lENKUlvE_clEvENKUlvE0_clEvEUlffE_fEEDaPvRmT3_T4_T5_mT6_P12ihipStream_tbENKUlT_T0_E_clISt17integral_constantIbLb1EESW_EEDaSR_SS_EUlSR_E0_NS1_11comp_targetILNS1_3genE10ELNS1_11target_archE1201ELNS1_3gpuE5ELNS1_3repE0EEENS1_30default_config_static_selectorELNS0_4arch9wavefront6targetE0EEEvT1_ ; -- Begin function _ZN7rocprim17ROCPRIM_400000_NS6detail17trampoline_kernelINS0_14default_configENS1_20scan_config_selectorIfEEZZNS1_9scan_implILNS1_25lookback_scan_determinismE0ELb0ELb0ES3_PKfPffZZZN2at6native31launch_logcumsumexp_cuda_kernelERKNSB_10TensorBaseESF_lENKUlvE_clEvENKUlvE0_clEvEUlffE_fEEDaPvRmT3_T4_T5_mT6_P12ihipStream_tbENKUlT_T0_E_clISt17integral_constantIbLb1EESW_EEDaSR_SS_EUlSR_E0_NS1_11comp_targetILNS1_3genE10ELNS1_11target_archE1201ELNS1_3gpuE5ELNS1_3repE0EEENS1_30default_config_static_selectorELNS0_4arch9wavefront6targetE0EEEvT1_
	.p2align	8
	.type	_ZN7rocprim17ROCPRIM_400000_NS6detail17trampoline_kernelINS0_14default_configENS1_20scan_config_selectorIfEEZZNS1_9scan_implILNS1_25lookback_scan_determinismE0ELb0ELb0ES3_PKfPffZZZN2at6native31launch_logcumsumexp_cuda_kernelERKNSB_10TensorBaseESF_lENKUlvE_clEvENKUlvE0_clEvEUlffE_fEEDaPvRmT3_T4_T5_mT6_P12ihipStream_tbENKUlT_T0_E_clISt17integral_constantIbLb1EESW_EEDaSR_SS_EUlSR_E0_NS1_11comp_targetILNS1_3genE10ELNS1_11target_archE1201ELNS1_3gpuE5ELNS1_3repE0EEENS1_30default_config_static_selectorELNS0_4arch9wavefront6targetE0EEEvT1_,@function
_ZN7rocprim17ROCPRIM_400000_NS6detail17trampoline_kernelINS0_14default_configENS1_20scan_config_selectorIfEEZZNS1_9scan_implILNS1_25lookback_scan_determinismE0ELb0ELb0ES3_PKfPffZZZN2at6native31launch_logcumsumexp_cuda_kernelERKNSB_10TensorBaseESF_lENKUlvE_clEvENKUlvE0_clEvEUlffE_fEEDaPvRmT3_T4_T5_mT6_P12ihipStream_tbENKUlT_T0_E_clISt17integral_constantIbLb1EESW_EEDaSR_SS_EUlSR_E0_NS1_11comp_targetILNS1_3genE10ELNS1_11target_archE1201ELNS1_3gpuE5ELNS1_3repE0EEENS1_30default_config_static_selectorELNS0_4arch9wavefront6targetE0EEEvT1_: ; @_ZN7rocprim17ROCPRIM_400000_NS6detail17trampoline_kernelINS0_14default_configENS1_20scan_config_selectorIfEEZZNS1_9scan_implILNS1_25lookback_scan_determinismE0ELb0ELb0ES3_PKfPffZZZN2at6native31launch_logcumsumexp_cuda_kernelERKNSB_10TensorBaseESF_lENKUlvE_clEvENKUlvE0_clEvEUlffE_fEEDaPvRmT3_T4_T5_mT6_P12ihipStream_tbENKUlT_T0_E_clISt17integral_constantIbLb1EESW_EEDaSR_SS_EUlSR_E0_NS1_11comp_targetILNS1_3genE10ELNS1_11target_archE1201ELNS1_3gpuE5ELNS1_3repE0EEENS1_30default_config_static_selectorELNS0_4arch9wavefront6targetE0EEEvT1_
; %bb.0:
	.section	.rodata,"a",@progbits
	.p2align	6, 0x0
	.amdhsa_kernel _ZN7rocprim17ROCPRIM_400000_NS6detail17trampoline_kernelINS0_14default_configENS1_20scan_config_selectorIfEEZZNS1_9scan_implILNS1_25lookback_scan_determinismE0ELb0ELb0ES3_PKfPffZZZN2at6native31launch_logcumsumexp_cuda_kernelERKNSB_10TensorBaseESF_lENKUlvE_clEvENKUlvE0_clEvEUlffE_fEEDaPvRmT3_T4_T5_mT6_P12ihipStream_tbENKUlT_T0_E_clISt17integral_constantIbLb1EESW_EEDaSR_SS_EUlSR_E0_NS1_11comp_targetILNS1_3genE10ELNS1_11target_archE1201ELNS1_3gpuE5ELNS1_3repE0EEENS1_30default_config_static_selectorELNS0_4arch9wavefront6targetE0EEEvT1_
		.amdhsa_group_segment_fixed_size 0
		.amdhsa_private_segment_fixed_size 0
		.amdhsa_kernarg_size 32
		.amdhsa_user_sgpr_count 15
		.amdhsa_user_sgpr_dispatch_ptr 0
		.amdhsa_user_sgpr_queue_ptr 0
		.amdhsa_user_sgpr_kernarg_segment_ptr 1
		.amdhsa_user_sgpr_dispatch_id 0
		.amdhsa_user_sgpr_private_segment_size 0
		.amdhsa_wavefront_size32 1
		.amdhsa_uses_dynamic_stack 0
		.amdhsa_enable_private_segment 0
		.amdhsa_system_sgpr_workgroup_id_x 1
		.amdhsa_system_sgpr_workgroup_id_y 0
		.amdhsa_system_sgpr_workgroup_id_z 0
		.amdhsa_system_sgpr_workgroup_info 0
		.amdhsa_system_vgpr_workitem_id 0
		.amdhsa_next_free_vgpr 1
		.amdhsa_next_free_sgpr 1
		.amdhsa_reserve_vcc 0
		.amdhsa_float_round_mode_32 0
		.amdhsa_float_round_mode_16_64 0
		.amdhsa_float_denorm_mode_32 3
		.amdhsa_float_denorm_mode_16_64 3
		.amdhsa_dx10_clamp 1
		.amdhsa_ieee_mode 1
		.amdhsa_fp16_overflow 0
		.amdhsa_workgroup_processor_mode 1
		.amdhsa_memory_ordered 1
		.amdhsa_forward_progress 0
		.amdhsa_shared_vgpr_count 0
		.amdhsa_exception_fp_ieee_invalid_op 0
		.amdhsa_exception_fp_denorm_src 0
		.amdhsa_exception_fp_ieee_div_zero 0
		.amdhsa_exception_fp_ieee_overflow 0
		.amdhsa_exception_fp_ieee_underflow 0
		.amdhsa_exception_fp_ieee_inexact 0
		.amdhsa_exception_int_div_zero 0
	.end_amdhsa_kernel
	.section	.text._ZN7rocprim17ROCPRIM_400000_NS6detail17trampoline_kernelINS0_14default_configENS1_20scan_config_selectorIfEEZZNS1_9scan_implILNS1_25lookback_scan_determinismE0ELb0ELb0ES3_PKfPffZZZN2at6native31launch_logcumsumexp_cuda_kernelERKNSB_10TensorBaseESF_lENKUlvE_clEvENKUlvE0_clEvEUlffE_fEEDaPvRmT3_T4_T5_mT6_P12ihipStream_tbENKUlT_T0_E_clISt17integral_constantIbLb1EESW_EEDaSR_SS_EUlSR_E0_NS1_11comp_targetILNS1_3genE10ELNS1_11target_archE1201ELNS1_3gpuE5ELNS1_3repE0EEENS1_30default_config_static_selectorELNS0_4arch9wavefront6targetE0EEEvT1_,"axG",@progbits,_ZN7rocprim17ROCPRIM_400000_NS6detail17trampoline_kernelINS0_14default_configENS1_20scan_config_selectorIfEEZZNS1_9scan_implILNS1_25lookback_scan_determinismE0ELb0ELb0ES3_PKfPffZZZN2at6native31launch_logcumsumexp_cuda_kernelERKNSB_10TensorBaseESF_lENKUlvE_clEvENKUlvE0_clEvEUlffE_fEEDaPvRmT3_T4_T5_mT6_P12ihipStream_tbENKUlT_T0_E_clISt17integral_constantIbLb1EESW_EEDaSR_SS_EUlSR_E0_NS1_11comp_targetILNS1_3genE10ELNS1_11target_archE1201ELNS1_3gpuE5ELNS1_3repE0EEENS1_30default_config_static_selectorELNS0_4arch9wavefront6targetE0EEEvT1_,comdat
.Lfunc_end133:
	.size	_ZN7rocprim17ROCPRIM_400000_NS6detail17trampoline_kernelINS0_14default_configENS1_20scan_config_selectorIfEEZZNS1_9scan_implILNS1_25lookback_scan_determinismE0ELb0ELb0ES3_PKfPffZZZN2at6native31launch_logcumsumexp_cuda_kernelERKNSB_10TensorBaseESF_lENKUlvE_clEvENKUlvE0_clEvEUlffE_fEEDaPvRmT3_T4_T5_mT6_P12ihipStream_tbENKUlT_T0_E_clISt17integral_constantIbLb1EESW_EEDaSR_SS_EUlSR_E0_NS1_11comp_targetILNS1_3genE10ELNS1_11target_archE1201ELNS1_3gpuE5ELNS1_3repE0EEENS1_30default_config_static_selectorELNS0_4arch9wavefront6targetE0EEEvT1_, .Lfunc_end133-_ZN7rocprim17ROCPRIM_400000_NS6detail17trampoline_kernelINS0_14default_configENS1_20scan_config_selectorIfEEZZNS1_9scan_implILNS1_25lookback_scan_determinismE0ELb0ELb0ES3_PKfPffZZZN2at6native31launch_logcumsumexp_cuda_kernelERKNSB_10TensorBaseESF_lENKUlvE_clEvENKUlvE0_clEvEUlffE_fEEDaPvRmT3_T4_T5_mT6_P12ihipStream_tbENKUlT_T0_E_clISt17integral_constantIbLb1EESW_EEDaSR_SS_EUlSR_E0_NS1_11comp_targetILNS1_3genE10ELNS1_11target_archE1201ELNS1_3gpuE5ELNS1_3repE0EEENS1_30default_config_static_selectorELNS0_4arch9wavefront6targetE0EEEvT1_
                                        ; -- End function
	.section	.AMDGPU.csdata,"",@progbits
; Kernel info:
; codeLenInByte = 0
; NumSgprs: 0
; NumVgprs: 0
; ScratchSize: 0
; MemoryBound: 0
; FloatMode: 240
; IeeeMode: 1
; LDSByteSize: 0 bytes/workgroup (compile time only)
; SGPRBlocks: 0
; VGPRBlocks: 0
; NumSGPRsForWavesPerEU: 1
; NumVGPRsForWavesPerEU: 1
; Occupancy: 16
; WaveLimiterHint : 0
; COMPUTE_PGM_RSRC2:SCRATCH_EN: 0
; COMPUTE_PGM_RSRC2:USER_SGPR: 15
; COMPUTE_PGM_RSRC2:TRAP_HANDLER: 0
; COMPUTE_PGM_RSRC2:TGID_X_EN: 1
; COMPUTE_PGM_RSRC2:TGID_Y_EN: 0
; COMPUTE_PGM_RSRC2:TGID_Z_EN: 0
; COMPUTE_PGM_RSRC2:TIDIG_COMP_CNT: 0
	.section	.text._ZN7rocprim17ROCPRIM_400000_NS6detail17trampoline_kernelINS0_14default_configENS1_20scan_config_selectorIfEEZZNS1_9scan_implILNS1_25lookback_scan_determinismE0ELb0ELb0ES3_PKfPffZZZN2at6native31launch_logcumsumexp_cuda_kernelERKNSB_10TensorBaseESF_lENKUlvE_clEvENKUlvE0_clEvEUlffE_fEEDaPvRmT3_T4_T5_mT6_P12ihipStream_tbENKUlT_T0_E_clISt17integral_constantIbLb1EESW_EEDaSR_SS_EUlSR_E0_NS1_11comp_targetILNS1_3genE10ELNS1_11target_archE1200ELNS1_3gpuE4ELNS1_3repE0EEENS1_30default_config_static_selectorELNS0_4arch9wavefront6targetE0EEEvT1_,"axG",@progbits,_ZN7rocprim17ROCPRIM_400000_NS6detail17trampoline_kernelINS0_14default_configENS1_20scan_config_selectorIfEEZZNS1_9scan_implILNS1_25lookback_scan_determinismE0ELb0ELb0ES3_PKfPffZZZN2at6native31launch_logcumsumexp_cuda_kernelERKNSB_10TensorBaseESF_lENKUlvE_clEvENKUlvE0_clEvEUlffE_fEEDaPvRmT3_T4_T5_mT6_P12ihipStream_tbENKUlT_T0_E_clISt17integral_constantIbLb1EESW_EEDaSR_SS_EUlSR_E0_NS1_11comp_targetILNS1_3genE10ELNS1_11target_archE1200ELNS1_3gpuE4ELNS1_3repE0EEENS1_30default_config_static_selectorELNS0_4arch9wavefront6targetE0EEEvT1_,comdat
	.globl	_ZN7rocprim17ROCPRIM_400000_NS6detail17trampoline_kernelINS0_14default_configENS1_20scan_config_selectorIfEEZZNS1_9scan_implILNS1_25lookback_scan_determinismE0ELb0ELb0ES3_PKfPffZZZN2at6native31launch_logcumsumexp_cuda_kernelERKNSB_10TensorBaseESF_lENKUlvE_clEvENKUlvE0_clEvEUlffE_fEEDaPvRmT3_T4_T5_mT6_P12ihipStream_tbENKUlT_T0_E_clISt17integral_constantIbLb1EESW_EEDaSR_SS_EUlSR_E0_NS1_11comp_targetILNS1_3genE10ELNS1_11target_archE1200ELNS1_3gpuE4ELNS1_3repE0EEENS1_30default_config_static_selectorELNS0_4arch9wavefront6targetE0EEEvT1_ ; -- Begin function _ZN7rocprim17ROCPRIM_400000_NS6detail17trampoline_kernelINS0_14default_configENS1_20scan_config_selectorIfEEZZNS1_9scan_implILNS1_25lookback_scan_determinismE0ELb0ELb0ES3_PKfPffZZZN2at6native31launch_logcumsumexp_cuda_kernelERKNSB_10TensorBaseESF_lENKUlvE_clEvENKUlvE0_clEvEUlffE_fEEDaPvRmT3_T4_T5_mT6_P12ihipStream_tbENKUlT_T0_E_clISt17integral_constantIbLb1EESW_EEDaSR_SS_EUlSR_E0_NS1_11comp_targetILNS1_3genE10ELNS1_11target_archE1200ELNS1_3gpuE4ELNS1_3repE0EEENS1_30default_config_static_selectorELNS0_4arch9wavefront6targetE0EEEvT1_
	.p2align	8
	.type	_ZN7rocprim17ROCPRIM_400000_NS6detail17trampoline_kernelINS0_14default_configENS1_20scan_config_selectorIfEEZZNS1_9scan_implILNS1_25lookback_scan_determinismE0ELb0ELb0ES3_PKfPffZZZN2at6native31launch_logcumsumexp_cuda_kernelERKNSB_10TensorBaseESF_lENKUlvE_clEvENKUlvE0_clEvEUlffE_fEEDaPvRmT3_T4_T5_mT6_P12ihipStream_tbENKUlT_T0_E_clISt17integral_constantIbLb1EESW_EEDaSR_SS_EUlSR_E0_NS1_11comp_targetILNS1_3genE10ELNS1_11target_archE1200ELNS1_3gpuE4ELNS1_3repE0EEENS1_30default_config_static_selectorELNS0_4arch9wavefront6targetE0EEEvT1_,@function
_ZN7rocprim17ROCPRIM_400000_NS6detail17trampoline_kernelINS0_14default_configENS1_20scan_config_selectorIfEEZZNS1_9scan_implILNS1_25lookback_scan_determinismE0ELb0ELb0ES3_PKfPffZZZN2at6native31launch_logcumsumexp_cuda_kernelERKNSB_10TensorBaseESF_lENKUlvE_clEvENKUlvE0_clEvEUlffE_fEEDaPvRmT3_T4_T5_mT6_P12ihipStream_tbENKUlT_T0_E_clISt17integral_constantIbLb1EESW_EEDaSR_SS_EUlSR_E0_NS1_11comp_targetILNS1_3genE10ELNS1_11target_archE1200ELNS1_3gpuE4ELNS1_3repE0EEENS1_30default_config_static_selectorELNS0_4arch9wavefront6targetE0EEEvT1_: ; @_ZN7rocprim17ROCPRIM_400000_NS6detail17trampoline_kernelINS0_14default_configENS1_20scan_config_selectorIfEEZZNS1_9scan_implILNS1_25lookback_scan_determinismE0ELb0ELb0ES3_PKfPffZZZN2at6native31launch_logcumsumexp_cuda_kernelERKNSB_10TensorBaseESF_lENKUlvE_clEvENKUlvE0_clEvEUlffE_fEEDaPvRmT3_T4_T5_mT6_P12ihipStream_tbENKUlT_T0_E_clISt17integral_constantIbLb1EESW_EEDaSR_SS_EUlSR_E0_NS1_11comp_targetILNS1_3genE10ELNS1_11target_archE1200ELNS1_3gpuE4ELNS1_3repE0EEENS1_30default_config_static_selectorELNS0_4arch9wavefront6targetE0EEEvT1_
; %bb.0:
	.section	.rodata,"a",@progbits
	.p2align	6, 0x0
	.amdhsa_kernel _ZN7rocprim17ROCPRIM_400000_NS6detail17trampoline_kernelINS0_14default_configENS1_20scan_config_selectorIfEEZZNS1_9scan_implILNS1_25lookback_scan_determinismE0ELb0ELb0ES3_PKfPffZZZN2at6native31launch_logcumsumexp_cuda_kernelERKNSB_10TensorBaseESF_lENKUlvE_clEvENKUlvE0_clEvEUlffE_fEEDaPvRmT3_T4_T5_mT6_P12ihipStream_tbENKUlT_T0_E_clISt17integral_constantIbLb1EESW_EEDaSR_SS_EUlSR_E0_NS1_11comp_targetILNS1_3genE10ELNS1_11target_archE1200ELNS1_3gpuE4ELNS1_3repE0EEENS1_30default_config_static_selectorELNS0_4arch9wavefront6targetE0EEEvT1_
		.amdhsa_group_segment_fixed_size 0
		.amdhsa_private_segment_fixed_size 0
		.amdhsa_kernarg_size 32
		.amdhsa_user_sgpr_count 15
		.amdhsa_user_sgpr_dispatch_ptr 0
		.amdhsa_user_sgpr_queue_ptr 0
		.amdhsa_user_sgpr_kernarg_segment_ptr 1
		.amdhsa_user_sgpr_dispatch_id 0
		.amdhsa_user_sgpr_private_segment_size 0
		.amdhsa_wavefront_size32 1
		.amdhsa_uses_dynamic_stack 0
		.amdhsa_enable_private_segment 0
		.amdhsa_system_sgpr_workgroup_id_x 1
		.amdhsa_system_sgpr_workgroup_id_y 0
		.amdhsa_system_sgpr_workgroup_id_z 0
		.amdhsa_system_sgpr_workgroup_info 0
		.amdhsa_system_vgpr_workitem_id 0
		.amdhsa_next_free_vgpr 1
		.amdhsa_next_free_sgpr 1
		.amdhsa_reserve_vcc 0
		.amdhsa_float_round_mode_32 0
		.amdhsa_float_round_mode_16_64 0
		.amdhsa_float_denorm_mode_32 3
		.amdhsa_float_denorm_mode_16_64 3
		.amdhsa_dx10_clamp 1
		.amdhsa_ieee_mode 1
		.amdhsa_fp16_overflow 0
		.amdhsa_workgroup_processor_mode 1
		.amdhsa_memory_ordered 1
		.amdhsa_forward_progress 0
		.amdhsa_shared_vgpr_count 0
		.amdhsa_exception_fp_ieee_invalid_op 0
		.amdhsa_exception_fp_denorm_src 0
		.amdhsa_exception_fp_ieee_div_zero 0
		.amdhsa_exception_fp_ieee_overflow 0
		.amdhsa_exception_fp_ieee_underflow 0
		.amdhsa_exception_fp_ieee_inexact 0
		.amdhsa_exception_int_div_zero 0
	.end_amdhsa_kernel
	.section	.text._ZN7rocprim17ROCPRIM_400000_NS6detail17trampoline_kernelINS0_14default_configENS1_20scan_config_selectorIfEEZZNS1_9scan_implILNS1_25lookback_scan_determinismE0ELb0ELb0ES3_PKfPffZZZN2at6native31launch_logcumsumexp_cuda_kernelERKNSB_10TensorBaseESF_lENKUlvE_clEvENKUlvE0_clEvEUlffE_fEEDaPvRmT3_T4_T5_mT6_P12ihipStream_tbENKUlT_T0_E_clISt17integral_constantIbLb1EESW_EEDaSR_SS_EUlSR_E0_NS1_11comp_targetILNS1_3genE10ELNS1_11target_archE1200ELNS1_3gpuE4ELNS1_3repE0EEENS1_30default_config_static_selectorELNS0_4arch9wavefront6targetE0EEEvT1_,"axG",@progbits,_ZN7rocprim17ROCPRIM_400000_NS6detail17trampoline_kernelINS0_14default_configENS1_20scan_config_selectorIfEEZZNS1_9scan_implILNS1_25lookback_scan_determinismE0ELb0ELb0ES3_PKfPffZZZN2at6native31launch_logcumsumexp_cuda_kernelERKNSB_10TensorBaseESF_lENKUlvE_clEvENKUlvE0_clEvEUlffE_fEEDaPvRmT3_T4_T5_mT6_P12ihipStream_tbENKUlT_T0_E_clISt17integral_constantIbLb1EESW_EEDaSR_SS_EUlSR_E0_NS1_11comp_targetILNS1_3genE10ELNS1_11target_archE1200ELNS1_3gpuE4ELNS1_3repE0EEENS1_30default_config_static_selectorELNS0_4arch9wavefront6targetE0EEEvT1_,comdat
.Lfunc_end134:
	.size	_ZN7rocprim17ROCPRIM_400000_NS6detail17trampoline_kernelINS0_14default_configENS1_20scan_config_selectorIfEEZZNS1_9scan_implILNS1_25lookback_scan_determinismE0ELb0ELb0ES3_PKfPffZZZN2at6native31launch_logcumsumexp_cuda_kernelERKNSB_10TensorBaseESF_lENKUlvE_clEvENKUlvE0_clEvEUlffE_fEEDaPvRmT3_T4_T5_mT6_P12ihipStream_tbENKUlT_T0_E_clISt17integral_constantIbLb1EESW_EEDaSR_SS_EUlSR_E0_NS1_11comp_targetILNS1_3genE10ELNS1_11target_archE1200ELNS1_3gpuE4ELNS1_3repE0EEENS1_30default_config_static_selectorELNS0_4arch9wavefront6targetE0EEEvT1_, .Lfunc_end134-_ZN7rocprim17ROCPRIM_400000_NS6detail17trampoline_kernelINS0_14default_configENS1_20scan_config_selectorIfEEZZNS1_9scan_implILNS1_25lookback_scan_determinismE0ELb0ELb0ES3_PKfPffZZZN2at6native31launch_logcumsumexp_cuda_kernelERKNSB_10TensorBaseESF_lENKUlvE_clEvENKUlvE0_clEvEUlffE_fEEDaPvRmT3_T4_T5_mT6_P12ihipStream_tbENKUlT_T0_E_clISt17integral_constantIbLb1EESW_EEDaSR_SS_EUlSR_E0_NS1_11comp_targetILNS1_3genE10ELNS1_11target_archE1200ELNS1_3gpuE4ELNS1_3repE0EEENS1_30default_config_static_selectorELNS0_4arch9wavefront6targetE0EEEvT1_
                                        ; -- End function
	.section	.AMDGPU.csdata,"",@progbits
; Kernel info:
; codeLenInByte = 0
; NumSgprs: 0
; NumVgprs: 0
; ScratchSize: 0
; MemoryBound: 0
; FloatMode: 240
; IeeeMode: 1
; LDSByteSize: 0 bytes/workgroup (compile time only)
; SGPRBlocks: 0
; VGPRBlocks: 0
; NumSGPRsForWavesPerEU: 1
; NumVGPRsForWavesPerEU: 1
; Occupancy: 16
; WaveLimiterHint : 0
; COMPUTE_PGM_RSRC2:SCRATCH_EN: 0
; COMPUTE_PGM_RSRC2:USER_SGPR: 15
; COMPUTE_PGM_RSRC2:TRAP_HANDLER: 0
; COMPUTE_PGM_RSRC2:TGID_X_EN: 1
; COMPUTE_PGM_RSRC2:TGID_Y_EN: 0
; COMPUTE_PGM_RSRC2:TGID_Z_EN: 0
; COMPUTE_PGM_RSRC2:TIDIG_COMP_CNT: 0
	.section	.text._ZN7rocprim17ROCPRIM_400000_NS6detail17trampoline_kernelINS0_14default_configENS1_20scan_config_selectorIfEEZZNS1_9scan_implILNS1_25lookback_scan_determinismE0ELb0ELb0ES3_PKfPffZZZN2at6native31launch_logcumsumexp_cuda_kernelERKNSB_10TensorBaseESF_lENKUlvE_clEvENKUlvE0_clEvEUlffE_fEEDaPvRmT3_T4_T5_mT6_P12ihipStream_tbENKUlT_T0_E_clISt17integral_constantIbLb1EESW_EEDaSR_SS_EUlSR_E0_NS1_11comp_targetILNS1_3genE9ELNS1_11target_archE1100ELNS1_3gpuE3ELNS1_3repE0EEENS1_30default_config_static_selectorELNS0_4arch9wavefront6targetE0EEEvT1_,"axG",@progbits,_ZN7rocprim17ROCPRIM_400000_NS6detail17trampoline_kernelINS0_14default_configENS1_20scan_config_selectorIfEEZZNS1_9scan_implILNS1_25lookback_scan_determinismE0ELb0ELb0ES3_PKfPffZZZN2at6native31launch_logcumsumexp_cuda_kernelERKNSB_10TensorBaseESF_lENKUlvE_clEvENKUlvE0_clEvEUlffE_fEEDaPvRmT3_T4_T5_mT6_P12ihipStream_tbENKUlT_T0_E_clISt17integral_constantIbLb1EESW_EEDaSR_SS_EUlSR_E0_NS1_11comp_targetILNS1_3genE9ELNS1_11target_archE1100ELNS1_3gpuE3ELNS1_3repE0EEENS1_30default_config_static_selectorELNS0_4arch9wavefront6targetE0EEEvT1_,comdat
	.globl	_ZN7rocprim17ROCPRIM_400000_NS6detail17trampoline_kernelINS0_14default_configENS1_20scan_config_selectorIfEEZZNS1_9scan_implILNS1_25lookback_scan_determinismE0ELb0ELb0ES3_PKfPffZZZN2at6native31launch_logcumsumexp_cuda_kernelERKNSB_10TensorBaseESF_lENKUlvE_clEvENKUlvE0_clEvEUlffE_fEEDaPvRmT3_T4_T5_mT6_P12ihipStream_tbENKUlT_T0_E_clISt17integral_constantIbLb1EESW_EEDaSR_SS_EUlSR_E0_NS1_11comp_targetILNS1_3genE9ELNS1_11target_archE1100ELNS1_3gpuE3ELNS1_3repE0EEENS1_30default_config_static_selectorELNS0_4arch9wavefront6targetE0EEEvT1_ ; -- Begin function _ZN7rocprim17ROCPRIM_400000_NS6detail17trampoline_kernelINS0_14default_configENS1_20scan_config_selectorIfEEZZNS1_9scan_implILNS1_25lookback_scan_determinismE0ELb0ELb0ES3_PKfPffZZZN2at6native31launch_logcumsumexp_cuda_kernelERKNSB_10TensorBaseESF_lENKUlvE_clEvENKUlvE0_clEvEUlffE_fEEDaPvRmT3_T4_T5_mT6_P12ihipStream_tbENKUlT_T0_E_clISt17integral_constantIbLb1EESW_EEDaSR_SS_EUlSR_E0_NS1_11comp_targetILNS1_3genE9ELNS1_11target_archE1100ELNS1_3gpuE3ELNS1_3repE0EEENS1_30default_config_static_selectorELNS0_4arch9wavefront6targetE0EEEvT1_
	.p2align	8
	.type	_ZN7rocprim17ROCPRIM_400000_NS6detail17trampoline_kernelINS0_14default_configENS1_20scan_config_selectorIfEEZZNS1_9scan_implILNS1_25lookback_scan_determinismE0ELb0ELb0ES3_PKfPffZZZN2at6native31launch_logcumsumexp_cuda_kernelERKNSB_10TensorBaseESF_lENKUlvE_clEvENKUlvE0_clEvEUlffE_fEEDaPvRmT3_T4_T5_mT6_P12ihipStream_tbENKUlT_T0_E_clISt17integral_constantIbLb1EESW_EEDaSR_SS_EUlSR_E0_NS1_11comp_targetILNS1_3genE9ELNS1_11target_archE1100ELNS1_3gpuE3ELNS1_3repE0EEENS1_30default_config_static_selectorELNS0_4arch9wavefront6targetE0EEEvT1_,@function
_ZN7rocprim17ROCPRIM_400000_NS6detail17trampoline_kernelINS0_14default_configENS1_20scan_config_selectorIfEEZZNS1_9scan_implILNS1_25lookback_scan_determinismE0ELb0ELb0ES3_PKfPffZZZN2at6native31launch_logcumsumexp_cuda_kernelERKNSB_10TensorBaseESF_lENKUlvE_clEvENKUlvE0_clEvEUlffE_fEEDaPvRmT3_T4_T5_mT6_P12ihipStream_tbENKUlT_T0_E_clISt17integral_constantIbLb1EESW_EEDaSR_SS_EUlSR_E0_NS1_11comp_targetILNS1_3genE9ELNS1_11target_archE1100ELNS1_3gpuE3ELNS1_3repE0EEENS1_30default_config_static_selectorELNS0_4arch9wavefront6targetE0EEEvT1_: ; @_ZN7rocprim17ROCPRIM_400000_NS6detail17trampoline_kernelINS0_14default_configENS1_20scan_config_selectorIfEEZZNS1_9scan_implILNS1_25lookback_scan_determinismE0ELb0ELb0ES3_PKfPffZZZN2at6native31launch_logcumsumexp_cuda_kernelERKNSB_10TensorBaseESF_lENKUlvE_clEvENKUlvE0_clEvEUlffE_fEEDaPvRmT3_T4_T5_mT6_P12ihipStream_tbENKUlT_T0_E_clISt17integral_constantIbLb1EESW_EEDaSR_SS_EUlSR_E0_NS1_11comp_targetILNS1_3genE9ELNS1_11target_archE1100ELNS1_3gpuE3ELNS1_3repE0EEENS1_30default_config_static_selectorELNS0_4arch9wavefront6targetE0EEEvT1_
; %bb.0:
	s_load_b128 s[8:11], s[0:1], 0x0
	v_lshlrev_b32_e32 v7, 2, v0
	s_waitcnt lgkmcnt(0)
	s_load_b32 s4, s[8:9], 0x0
	v_cmp_gt_u32_e32 vcc_lo, s10, v0
	s_waitcnt lgkmcnt(0)
	s_mov_b32 s5, s4
	s_mov_b32 s6, s4
	;; [unrolled: 1-line block ×3, first 2 shown]
	s_delay_alu instid0(SALU_CYCLE_1)
	v_dual_mov_b32 v1, s4 :: v_dual_mov_b32 v4, s7
	v_dual_mov_b32 v5, s4 :: v_dual_mov_b32 v2, s5
	v_mov_b32_e32 v3, s6
	s_and_saveexec_b32 s2, vcc_lo
	s_cbranch_execz .LBB135_2
; %bb.1:
	global_load_b32 v5, v7, s[8:9]
	v_dual_mov_b32 v1, s4 :: v_dual_mov_b32 v2, s5
	v_dual_mov_b32 v3, s6 :: v_dual_mov_b32 v4, s7
                                        ; kill: def $vgpr1 killed $vgpr5 killed $exec
.LBB135_2:
	s_or_b32 exec_lo, exec_lo, s2
	v_or_b32_e32 v1, 0x100, v0
	s_delay_alu instid0(VALU_DEP_1) | instskip(NEXT) | instid1(VALU_DEP_1)
	v_cmp_gt_u32_e64 s2, s10, v1
	s_and_saveexec_b32 s3, s2
	s_cbranch_execz .LBB135_4
; %bb.3:
	global_load_b32 v2, v7, s[8:9] offset:1024
.LBB135_4:
	s_or_b32 exec_lo, exec_lo, s3
	v_or_b32_e32 v6, 0x200, v0
	s_delay_alu instid0(VALU_DEP_1) | instskip(NEXT) | instid1(VALU_DEP_1)
	v_cmp_gt_u32_e64 s3, s10, v6
	s_and_saveexec_b32 s4, s3
	s_cbranch_execz .LBB135_6
; %bb.5:
	global_load_b32 v3, v7, s[8:9] offset:2048
.LBB135_6:
	s_or_b32 exec_lo, exec_lo, s4
	v_or_b32_e32 v8, 0x300, v0
	s_delay_alu instid0(VALU_DEP_1) | instskip(NEXT) | instid1(VALU_DEP_1)
	v_cmp_gt_u32_e64 s4, s10, v8
	s_and_saveexec_b32 s5, s4
	s_cbranch_execz .LBB135_8
; %bb.7:
	global_load_b32 v4, v7, s[8:9] offset:3072
.LBB135_8:
	s_or_b32 exec_lo, exec_lo, s5
	v_lshrrev_b32_e32 v12, 3, v0
	v_lshrrev_b32_e32 v1, 3, v1
	;; [unrolled: 1-line block ×4, first 2 shown]
	s_delay_alu instid0(VALU_DEP_4) | instskip(NEXT) | instid1(VALU_DEP_4)
	v_and_b32_e32 v9, 28, v12
	v_and_b32_e32 v1, 60, v1
	s_delay_alu instid0(VALU_DEP_4) | instskip(NEXT) | instid1(VALU_DEP_4)
	v_and_b32_e32 v6, 0x7c, v6
	v_and_b32_e32 v11, 0x7c, v8
	v_add_lshl_u32 v12, v12, v7, 2
	v_add_nc_u32_e32 v8, v9, v7
	v_add_nc_u32_e32 v9, v1, v7
	;; [unrolled: 1-line block ×4, first 2 shown]
	s_waitcnt vmcnt(0)
	ds_store_b32 v8, v5
	ds_store_b32 v9, v2 offset:1024
	ds_store_b32 v10, v3 offset:2048
	;; [unrolled: 1-line block ×3, first 2 shown]
	s_waitcnt lgkmcnt(0)
	s_barrier
	buffer_gl0_inv
	ds_load_2addr_b32 v[1:2], v12 offset1:1
	ds_load_2addr_b32 v[3:4], v12 offset0:2 offset1:3
	s_waitcnt lgkmcnt(0)
	s_barrier
	buffer_gl0_inv
	v_mov_b32_e32 v19, v1
	v_dual_max_f32 v15, v2, v2 :: v_dual_max_f32 v18, v1, v1
	v_cmp_u_f32_e64 s8, v1, v1
	v_cmp_u_f32_e64 s5, v2, v2
	s_delay_alu instid0(VALU_DEP_3) | instskip(SKIP_1) | instid1(VALU_DEP_2)
	v_min_f32_e32 v16, v18, v15
	v_max_f32_e32 v17, v18, v15
	v_cndmask_b32_e64 v5, v16, v1, s8
	s_delay_alu instid0(VALU_DEP_2) | instskip(NEXT) | instid1(VALU_DEP_2)
	v_cndmask_b32_e64 v13, v17, v1, s8
	v_cndmask_b32_e64 v6, v5, v2, s5
	s_delay_alu instid0(VALU_DEP_2) | instskip(NEXT) | instid1(VALU_DEP_2)
	v_cndmask_b32_e64 v5, v13, v2, s5
	v_cmp_class_f32_e64 s7, v6, 0x1f8
	s_delay_alu instid0(VALU_DEP_2) | instskip(NEXT) | instid1(VALU_DEP_1)
	v_cmp_neq_f32_e64 s6, v6, v5
	s_or_b32 s6, s6, s7
	s_delay_alu instid0(SALU_CYCLE_1)
	s_and_saveexec_b32 s7, s6
	s_cbranch_execz .LBB135_10
; %bb.9:
	v_sub_f32_e32 v6, v6, v5
	s_delay_alu instid0(VALU_DEP_1) | instskip(NEXT) | instid1(VALU_DEP_1)
	v_mul_f32_e32 v13, 0x3fb8aa3b, v6
	v_fma_f32 v14, 0x3fb8aa3b, v6, -v13
	v_rndne_f32_e32 v19, v13
	s_delay_alu instid0(VALU_DEP_1) | instskip(SKIP_1) | instid1(VALU_DEP_2)
	v_dual_sub_f32 v13, v13, v19 :: v_dual_fmamk_f32 v14, v6, 0x32a5705f, v14
	v_cmp_ngt_f32_e64 s6, 0xc2ce8ed0, v6
	v_add_f32_e32 v13, v13, v14
	v_cvt_i32_f32_e32 v14, v19
	s_delay_alu instid0(VALU_DEP_2) | instskip(SKIP_2) | instid1(VALU_DEP_1)
	v_exp_f32_e32 v13, v13
	s_waitcnt_depctr 0xfff
	v_ldexp_f32 v13, v13, v14
	v_cndmask_b32_e64 v13, 0, v13, s6
	v_cmp_nlt_f32_e64 s6, 0x42b17218, v6
	s_delay_alu instid0(VALU_DEP_1) | instskip(NEXT) | instid1(VALU_DEP_1)
	v_cndmask_b32_e64 v6, 0x7f800000, v13, s6
	v_add_f32_e32 v19, 1.0, v6
	v_cmp_gt_f32_e64 s9, 0x33800000, |v6|
	s_delay_alu instid0(VALU_DEP_2) | instskip(NEXT) | instid1(VALU_DEP_1)
	v_cvt_f64_f32_e32 v[13:14], v19
	v_frexp_exp_i32_f64_e32 v13, v[13:14]
	v_frexp_mant_f32_e32 v14, v19
	s_delay_alu instid0(VALU_DEP_1) | instskip(SKIP_1) | instid1(VALU_DEP_1)
	v_cmp_gt_f32_e64 s6, 0x3f2aaaab, v14
	v_add_f32_e32 v14, -1.0, v19
	v_sub_f32_e32 v21, v14, v19
	s_delay_alu instid0(VALU_DEP_1) | instskip(NEXT) | instid1(VALU_DEP_4)
	v_dual_sub_f32 v14, v6, v14 :: v_dual_add_f32 v21, 1.0, v21
	v_subrev_co_ci_u32_e64 v13, s6, 0, v13, s6
	s_mov_b32 s6, 0x3e9b6dac
	s_delay_alu instid0(VALU_DEP_1) | instskip(SKIP_1) | instid1(VALU_DEP_2)
	v_sub_nc_u32_e32 v20, 0, v13
	v_cvt_f32_i32_e32 v13, v13
	v_ldexp_f32 v19, v19, v20
	s_delay_alu instid0(VALU_DEP_1) | instskip(NEXT) | instid1(VALU_DEP_1)
	v_add_f32_e32 v22, 1.0, v19
	v_dual_add_f32 v14, v14, v21 :: v_dual_add_f32 v21, -1.0, v22
	s_delay_alu instid0(VALU_DEP_1) | instskip(NEXT) | instid1(VALU_DEP_2)
	v_ldexp_f32 v14, v14, v20
	v_dual_add_f32 v20, -1.0, v19 :: v_dual_sub_f32 v21, v19, v21
	s_delay_alu instid0(VALU_DEP_1) | instskip(NEXT) | instid1(VALU_DEP_2)
	v_add_f32_e32 v23, 1.0, v20
	v_add_f32_e32 v21, v14, v21
	s_delay_alu instid0(VALU_DEP_2) | instskip(NEXT) | instid1(VALU_DEP_1)
	v_sub_f32_e32 v19, v19, v23
	v_add_f32_e32 v14, v14, v19
	s_delay_alu instid0(VALU_DEP_1) | instskip(NEXT) | instid1(VALU_DEP_1)
	v_dual_add_f32 v24, v20, v14 :: v_dual_add_f32 v23, v22, v21
	v_sub_f32_e32 v20, v20, v24
	s_delay_alu instid0(VALU_DEP_2) | instskip(SKIP_1) | instid1(VALU_DEP_1)
	v_rcp_f32_e32 v19, v23
	v_sub_f32_e32 v22, v22, v23
	v_dual_add_f32 v14, v14, v20 :: v_dual_add_f32 v21, v21, v22
	s_waitcnt_depctr 0xfff
	v_mul_f32_e32 v25, v24, v19
	s_delay_alu instid0(VALU_DEP_1) | instskip(NEXT) | instid1(VALU_DEP_1)
	v_mul_f32_e32 v26, v23, v25
	v_fma_f32 v22, v25, v23, -v26
	s_delay_alu instid0(VALU_DEP_1) | instskip(NEXT) | instid1(VALU_DEP_1)
	v_fmac_f32_e32 v22, v25, v21
	v_add_f32_e32 v27, v26, v22
	s_delay_alu instid0(VALU_DEP_1) | instskip(NEXT) | instid1(VALU_DEP_1)
	v_sub_f32_e32 v28, v24, v27
	v_sub_f32_e32 v24, v24, v28
	;; [unrolled: 1-line block ×3, first 2 shown]
	s_delay_alu instid0(VALU_DEP_2) | instskip(NEXT) | instid1(VALU_DEP_2)
	v_sub_f32_e32 v24, v24, v27
	v_sub_f32_e32 v20, v20, v22
	s_delay_alu instid0(VALU_DEP_2) | instskip(NEXT) | instid1(VALU_DEP_1)
	v_add_f32_e32 v14, v14, v24
	v_add_f32_e32 v14, v20, v14
	s_delay_alu instid0(VALU_DEP_1) | instskip(NEXT) | instid1(VALU_DEP_1)
	v_add_f32_e32 v20, v28, v14
	v_mul_f32_e32 v22, v19, v20
	s_delay_alu instid0(VALU_DEP_1) | instskip(NEXT) | instid1(VALU_DEP_1)
	v_dual_sub_f32 v27, v28, v20 :: v_dual_mul_f32 v24, v23, v22
	v_add_f32_e32 v14, v14, v27
	s_delay_alu instid0(VALU_DEP_2) | instskip(NEXT) | instid1(VALU_DEP_1)
	v_fma_f32 v23, v22, v23, -v24
	v_fmac_f32_e32 v23, v22, v21
	s_delay_alu instid0(VALU_DEP_1) | instskip(NEXT) | instid1(VALU_DEP_1)
	v_add_f32_e32 v21, v24, v23
	v_sub_f32_e32 v26, v20, v21
	v_sub_f32_e32 v24, v21, v24
	s_delay_alu instid0(VALU_DEP_2) | instskip(NEXT) | instid1(VALU_DEP_1)
	v_sub_f32_e32 v20, v20, v26
	v_sub_f32_e32 v20, v20, v21
	s_delay_alu instid0(VALU_DEP_1) | instskip(SKIP_1) | instid1(VALU_DEP_1)
	v_dual_sub_f32 v21, v24, v23 :: v_dual_add_f32 v14, v14, v20
	v_add_f32_e32 v20, v25, v22
	v_dual_add_f32 v14, v21, v14 :: v_dual_sub_f32 v21, v20, v25
	s_delay_alu instid0(VALU_DEP_1) | instskip(NEXT) | instid1(VALU_DEP_1)
	v_add_f32_e32 v14, v26, v14
	v_dual_sub_f32 v21, v22, v21 :: v_dual_mul_f32 v14, v19, v14
	s_delay_alu instid0(VALU_DEP_1) | instskip(NEXT) | instid1(VALU_DEP_1)
	v_add_f32_e32 v14, v21, v14
	v_add_f32_e32 v19, v20, v14
	s_delay_alu instid0(VALU_DEP_1) | instskip(NEXT) | instid1(VALU_DEP_1)
	v_mul_f32_e32 v21, v19, v19
	v_fmaak_f32 v22, s6, v21, 0x3ecc95a3
	v_mul_f32_e32 v23, v19, v21
	v_cmp_eq_f32_e64 s6, 0x7f800000, v6
	s_delay_alu instid0(VALU_DEP_3) | instskip(SKIP_2) | instid1(VALU_DEP_4)
	v_fmaak_f32 v21, v21, v22, 0x3f2aaada
	v_ldexp_f32 v22, v19, 1
	v_sub_f32_e32 v19, v19, v20
	s_or_b32 s6, s6, s9
	s_delay_alu instid0(VALU_DEP_3) | instskip(NEXT) | instid1(VALU_DEP_2)
	v_mul_f32_e32 v21, v23, v21
	v_dual_mul_f32 v23, 0x3f317218, v13 :: v_dual_sub_f32 v14, v14, v19
	s_delay_alu instid0(VALU_DEP_2) | instskip(NEXT) | instid1(VALU_DEP_2)
	v_add_f32_e32 v20, v22, v21
	v_ldexp_f32 v14, v14, 1
	s_delay_alu instid0(VALU_DEP_2) | instskip(NEXT) | instid1(VALU_DEP_4)
	v_sub_f32_e32 v19, v20, v22
	v_fma_f32 v22, 0x3f317218, v13, -v23
	s_delay_alu instid0(VALU_DEP_2) | instskip(NEXT) | instid1(VALU_DEP_1)
	v_sub_f32_e32 v19, v21, v19
	v_dual_fmamk_f32 v13, v13, 0xb102e308, v22 :: v_dual_add_f32 v14, v14, v19
	s_delay_alu instid0(VALU_DEP_1) | instskip(NEXT) | instid1(VALU_DEP_1)
	v_add_f32_e32 v19, v23, v13
	v_sub_f32_e32 v23, v19, v23
	s_delay_alu instid0(VALU_DEP_1) | instskip(NEXT) | instid1(VALU_DEP_4)
	v_sub_f32_e32 v13, v13, v23
	v_add_f32_e32 v21, v20, v14
	s_delay_alu instid0(VALU_DEP_1) | instskip(NEXT) | instid1(VALU_DEP_1)
	v_sub_f32_e32 v20, v21, v20
	v_sub_f32_e32 v14, v14, v20
	v_add_f32_e32 v22, v19, v21
	s_delay_alu instid0(VALU_DEP_1) | instskip(NEXT) | instid1(VALU_DEP_1)
	v_sub_f32_e32 v24, v22, v19
	v_sub_f32_e32 v20, v21, v24
	s_delay_alu instid0(VALU_DEP_4) | instskip(SKIP_1) | instid1(VALU_DEP_1)
	v_add_f32_e32 v21, v13, v14
	v_sub_f32_e32 v25, v22, v24
	v_sub_f32_e32 v19, v19, v25
	s_delay_alu instid0(VALU_DEP_1) | instskip(NEXT) | instid1(VALU_DEP_1)
	v_dual_add_f32 v19, v20, v19 :: v_dual_sub_f32 v20, v21, v13
	v_dual_add_f32 v19, v21, v19 :: v_dual_sub_f32 v14, v14, v20
	v_sub_f32_e32 v21, v21, v20
	s_delay_alu instid0(VALU_DEP_2) | instskip(NEXT) | instid1(VALU_DEP_1)
	v_add_f32_e32 v23, v22, v19
	v_dual_sub_f32 v13, v13, v21 :: v_dual_sub_f32 v20, v23, v22
	s_delay_alu instid0(VALU_DEP_1) | instskip(NEXT) | instid1(VALU_DEP_1)
	v_dual_add_f32 v13, v14, v13 :: v_dual_sub_f32 v14, v19, v20
	v_add_f32_e32 v13, v13, v14
	s_delay_alu instid0(VALU_DEP_1) | instskip(NEXT) | instid1(VALU_DEP_1)
	v_add_f32_e32 v13, v23, v13
	v_cndmask_b32_e64 v6, v13, v6, s6
	s_delay_alu instid0(VALU_DEP_1)
	v_add_f32_e32 v19, v5, v6
.LBB135_10:
	s_or_b32 exec_lo, exec_lo, s7
	s_delay_alu instid0(VALU_DEP_1) | instskip(SKIP_2) | instid1(VALU_DEP_2)
	v_max_f32_e32 v5, v19, v19
	v_max_f32_e32 v13, v3, v3
	v_cmp_u_f32_e64 s6, v19, v19
	v_min_f32_e32 v6, v5, v13
	v_max_f32_e32 v5, v5, v13
	s_delay_alu instid0(VALU_DEP_2) | instskip(NEXT) | instid1(VALU_DEP_2)
	v_cndmask_b32_e64 v6, v6, v19, s6
	v_cndmask_b32_e64 v5, v5, v19, s6
	v_cmp_u_f32_e64 s6, v3, v3
	s_delay_alu instid0(VALU_DEP_1) | instskip(NEXT) | instid1(VALU_DEP_3)
	v_cndmask_b32_e64 v6, v6, v3, s6
	v_cndmask_b32_e64 v5, v5, v3, s6
	s_delay_alu instid0(VALU_DEP_2) | instskip(NEXT) | instid1(VALU_DEP_2)
	v_cmp_class_f32_e64 s9, v6, 0x1f8
	v_cmp_neq_f32_e64 s7, v6, v5
	s_delay_alu instid0(VALU_DEP_1) | instskip(NEXT) | instid1(SALU_CYCLE_1)
	s_or_b32 s7, s7, s9
	s_and_saveexec_b32 s9, s7
	s_cbranch_execz .LBB135_12
; %bb.11:
	v_sub_f32_e32 v6, v6, v5
	s_delay_alu instid0(VALU_DEP_1) | instskip(SKIP_1) | instid1(VALU_DEP_2)
	v_mul_f32_e32 v14, 0x3fb8aa3b, v6
	v_cmp_ngt_f32_e64 s7, 0xc2ce8ed0, v6
	v_fma_f32 v19, 0x3fb8aa3b, v6, -v14
	v_rndne_f32_e32 v20, v14
	s_delay_alu instid0(VALU_DEP_2) | instskip(NEXT) | instid1(VALU_DEP_2)
	v_fmamk_f32 v19, v6, 0x32a5705f, v19
	v_sub_f32_e32 v14, v14, v20
	s_delay_alu instid0(VALU_DEP_1) | instskip(SKIP_1) | instid1(VALU_DEP_2)
	v_add_f32_e32 v14, v14, v19
	v_cvt_i32_f32_e32 v19, v20
	v_exp_f32_e32 v14, v14
	s_waitcnt_depctr 0xfff
	v_ldexp_f32 v14, v14, v19
	s_delay_alu instid0(VALU_DEP_1) | instskip(SKIP_1) | instid1(VALU_DEP_1)
	v_cndmask_b32_e64 v14, 0, v14, s7
	v_cmp_nlt_f32_e64 s7, 0x42b17218, v6
	v_cndmask_b32_e64 v6, 0x7f800000, v14, s7
	s_delay_alu instid0(VALU_DEP_1) | instskip(SKIP_1) | instid1(VALU_DEP_2)
	v_add_f32_e32 v14, 1.0, v6
	v_cmp_gt_f32_e64 s10, 0x33800000, |v6|
	v_cvt_f64_f32_e32 v[19:20], v14
	s_delay_alu instid0(VALU_DEP_1) | instskip(SKIP_1) | instid1(VALU_DEP_1)
	v_frexp_exp_i32_f64_e32 v19, v[19:20]
	v_frexp_mant_f32_e32 v20, v14
	v_cmp_gt_f32_e64 s7, 0x3f2aaaab, v20
	v_add_f32_e32 v20, -1.0, v14
	s_delay_alu instid0(VALU_DEP_1) | instskip(NEXT) | instid1(VALU_DEP_1)
	v_sub_f32_e32 v22, v20, v14
	v_add_f32_e32 v22, 1.0, v22
	s_delay_alu instid0(VALU_DEP_4) | instskip(SKIP_1) | instid1(VALU_DEP_1)
	v_subrev_co_ci_u32_e64 v19, s7, 0, v19, s7
	s_mov_b32 s7, 0x3e9b6dac
	v_sub_nc_u32_e32 v21, 0, v19
	v_cvt_f32_i32_e32 v19, v19
	s_delay_alu instid0(VALU_DEP_2) | instskip(NEXT) | instid1(VALU_DEP_1)
	v_ldexp_f32 v14, v14, v21
	v_dual_sub_f32 v20, v6, v20 :: v_dual_add_f32 v23, 1.0, v14
	s_delay_alu instid0(VALU_DEP_1) | instskip(NEXT) | instid1(VALU_DEP_1)
	v_add_f32_e32 v20, v20, v22
	v_ldexp_f32 v20, v20, v21
	s_delay_alu instid0(VALU_DEP_3) | instskip(NEXT) | instid1(VALU_DEP_1)
	v_dual_add_f32 v21, -1.0, v14 :: v_dual_add_f32 v22, -1.0, v23
	v_add_f32_e32 v24, 1.0, v21
	s_delay_alu instid0(VALU_DEP_2) | instskip(NEXT) | instid1(VALU_DEP_2)
	v_sub_f32_e32 v22, v14, v22
	v_sub_f32_e32 v14, v14, v24
	s_delay_alu instid0(VALU_DEP_2) | instskip(NEXT) | instid1(VALU_DEP_2)
	v_add_f32_e32 v22, v20, v22
	v_add_f32_e32 v14, v20, v14
	s_delay_alu instid0(VALU_DEP_2) | instskip(NEXT) | instid1(VALU_DEP_2)
	v_add_f32_e32 v24, v23, v22
	v_add_f32_e32 v25, v21, v14
	s_delay_alu instid0(VALU_DEP_2) | instskip(SKIP_1) | instid1(VALU_DEP_1)
	v_rcp_f32_e32 v20, v24
	v_sub_f32_e32 v23, v23, v24
	v_dual_sub_f32 v21, v21, v25 :: v_dual_add_f32 v22, v22, v23
	s_delay_alu instid0(VALU_DEP_1) | instskip(SKIP_2) | instid1(VALU_DEP_1)
	v_add_f32_e32 v14, v14, v21
	s_waitcnt_depctr 0xfff
	v_mul_f32_e32 v26, v25, v20
	v_mul_f32_e32 v27, v24, v26
	s_delay_alu instid0(VALU_DEP_1) | instskip(NEXT) | instid1(VALU_DEP_1)
	v_fma_f32 v23, v26, v24, -v27
	v_fmac_f32_e32 v23, v26, v22
	s_delay_alu instid0(VALU_DEP_1) | instskip(NEXT) | instid1(VALU_DEP_1)
	v_add_f32_e32 v28, v27, v23
	v_sub_f32_e32 v29, v25, v28
	v_sub_f32_e32 v21, v28, v27
	s_delay_alu instid0(VALU_DEP_2) | instskip(NEXT) | instid1(VALU_DEP_2)
	v_sub_f32_e32 v25, v25, v29
	v_sub_f32_e32 v21, v21, v23
	s_delay_alu instid0(VALU_DEP_2) | instskip(NEXT) | instid1(VALU_DEP_1)
	v_sub_f32_e32 v25, v25, v28
	v_add_f32_e32 v14, v14, v25
	s_delay_alu instid0(VALU_DEP_1) | instskip(NEXT) | instid1(VALU_DEP_1)
	v_add_f32_e32 v14, v21, v14
	v_add_f32_e32 v21, v29, v14
	s_delay_alu instid0(VALU_DEP_1) | instskip(NEXT) | instid1(VALU_DEP_1)
	v_mul_f32_e32 v23, v20, v21
	v_dual_sub_f32 v28, v29, v21 :: v_dual_mul_f32 v25, v24, v23
	s_delay_alu instid0(VALU_DEP_1) | instskip(NEXT) | instid1(VALU_DEP_2)
	v_add_f32_e32 v14, v14, v28
	v_fma_f32 v24, v23, v24, -v25
	s_delay_alu instid0(VALU_DEP_1) | instskip(NEXT) | instid1(VALU_DEP_1)
	v_fmac_f32_e32 v24, v23, v22
	v_add_f32_e32 v22, v25, v24
	s_delay_alu instid0(VALU_DEP_1) | instskip(SKIP_1) | instid1(VALU_DEP_2)
	v_sub_f32_e32 v27, v21, v22
	v_sub_f32_e32 v25, v22, v25
	;; [unrolled: 1-line block ×3, first 2 shown]
	s_delay_alu instid0(VALU_DEP_1) | instskip(NEXT) | instid1(VALU_DEP_3)
	v_sub_f32_e32 v21, v21, v22
	v_sub_f32_e32 v22, v25, v24
	s_delay_alu instid0(VALU_DEP_2) | instskip(SKIP_1) | instid1(VALU_DEP_2)
	v_add_f32_e32 v14, v14, v21
	v_add_f32_e32 v21, v26, v23
	;; [unrolled: 1-line block ×3, first 2 shown]
	s_delay_alu instid0(VALU_DEP_2) | instskip(NEXT) | instid1(VALU_DEP_2)
	v_sub_f32_e32 v22, v21, v26
	v_add_f32_e32 v14, v27, v14
	s_delay_alu instid0(VALU_DEP_2) | instskip(NEXT) | instid1(VALU_DEP_2)
	v_sub_f32_e32 v22, v23, v22
	v_mul_f32_e32 v14, v20, v14
	s_delay_alu instid0(VALU_DEP_1) | instskip(NEXT) | instid1(VALU_DEP_1)
	v_add_f32_e32 v14, v22, v14
	v_add_f32_e32 v20, v21, v14
	s_delay_alu instid0(VALU_DEP_1) | instskip(NEXT) | instid1(VALU_DEP_1)
	v_mul_f32_e32 v22, v20, v20
	v_fmaak_f32 v23, s7, v22, 0x3ecc95a3
	v_mul_f32_e32 v24, v20, v22
	v_cmp_eq_f32_e64 s7, 0x7f800000, v6
	s_delay_alu instid0(VALU_DEP_3) | instskip(SKIP_2) | instid1(VALU_DEP_4)
	v_fmaak_f32 v22, v22, v23, 0x3f2aaada
	v_ldexp_f32 v23, v20, 1
	v_sub_f32_e32 v20, v20, v21
	s_or_b32 s7, s7, s10
	s_delay_alu instid0(VALU_DEP_3) | instskip(SKIP_1) | instid1(VALU_DEP_2)
	v_mul_f32_e32 v22, v24, v22
	v_mul_f32_e32 v24, 0x3f317218, v19
	v_dual_sub_f32 v14, v14, v20 :: v_dual_add_f32 v21, v23, v22
	s_delay_alu instid0(VALU_DEP_1) | instskip(NEXT) | instid1(VALU_DEP_2)
	v_ldexp_f32 v14, v14, 1
	v_sub_f32_e32 v20, v21, v23
	s_delay_alu instid0(VALU_DEP_4) | instskip(NEXT) | instid1(VALU_DEP_1)
	v_fma_f32 v23, 0x3f317218, v19, -v24
	v_dual_sub_f32 v20, v22, v20 :: v_dual_fmamk_f32 v19, v19, 0xb102e308, v23
	s_delay_alu instid0(VALU_DEP_1) | instskip(NEXT) | instid1(VALU_DEP_2)
	v_add_f32_e32 v14, v14, v20
	v_add_f32_e32 v20, v24, v19
	s_delay_alu instid0(VALU_DEP_2) | instskip(NEXT) | instid1(VALU_DEP_2)
	v_add_f32_e32 v22, v21, v14
	v_sub_f32_e32 v24, v20, v24
	s_delay_alu instid0(VALU_DEP_2) | instskip(SKIP_1) | instid1(VALU_DEP_3)
	v_add_f32_e32 v23, v20, v22
	v_sub_f32_e32 v21, v22, v21
	v_sub_f32_e32 v19, v19, v24
	s_delay_alu instid0(VALU_DEP_2) | instskip(NEXT) | instid1(VALU_DEP_1)
	v_dual_sub_f32 v25, v23, v20 :: v_dual_sub_f32 v14, v14, v21
	v_sub_f32_e32 v26, v23, v25
	s_delay_alu instid0(VALU_DEP_2) | instskip(NEXT) | instid1(VALU_DEP_2)
	v_dual_sub_f32 v21, v22, v25 :: v_dual_add_f32 v22, v19, v14
	v_sub_f32_e32 v20, v20, v26
	s_delay_alu instid0(VALU_DEP_1) | instskip(NEXT) | instid1(VALU_DEP_1)
	v_dual_add_f32 v20, v21, v20 :: v_dual_sub_f32 v21, v22, v19
	v_add_f32_e32 v20, v22, v20
	s_delay_alu instid0(VALU_DEP_2) | instskip(SKIP_1) | instid1(VALU_DEP_3)
	v_sub_f32_e32 v22, v22, v21
	v_sub_f32_e32 v14, v14, v21
	v_add_f32_e32 v24, v23, v20
	s_delay_alu instid0(VALU_DEP_3) | instskip(NEXT) | instid1(VALU_DEP_2)
	v_sub_f32_e32 v19, v19, v22
	v_sub_f32_e32 v21, v24, v23
	s_delay_alu instid0(VALU_DEP_1) | instskip(NEXT) | instid1(VALU_DEP_1)
	v_dual_add_f32 v14, v14, v19 :: v_dual_sub_f32 v19, v20, v21
	v_add_f32_e32 v14, v14, v19
	s_delay_alu instid0(VALU_DEP_1) | instskip(NEXT) | instid1(VALU_DEP_1)
	v_add_f32_e32 v14, v24, v14
	v_cndmask_b32_e64 v6, v14, v6, s7
	s_delay_alu instid0(VALU_DEP_1)
	v_add_f32_e32 v19, v5, v6
.LBB135_12:
	s_or_b32 exec_lo, exec_lo, s9
	s_delay_alu instid0(VALU_DEP_1) | instskip(SKIP_1) | instid1(VALU_DEP_2)
	v_dual_max_f32 v5, v19, v19 :: v_dual_max_f32 v14, v4, v4
	v_cmp_u_f32_e64 s7, v19, v19
	v_min_f32_e32 v6, v5, v14
	v_max_f32_e32 v5, v5, v14
	s_delay_alu instid0(VALU_DEP_2) | instskip(NEXT) | instid1(VALU_DEP_2)
	v_cndmask_b32_e64 v6, v6, v19, s7
	v_cndmask_b32_e64 v5, v5, v19, s7
	v_cmp_u_f32_e64 s7, v4, v4
	s_delay_alu instid0(VALU_DEP_1) | instskip(NEXT) | instid1(VALU_DEP_3)
	v_cndmask_b32_e64 v6, v6, v4, s7
	v_cndmask_b32_e64 v5, v5, v4, s7
	s_delay_alu instid0(VALU_DEP_2) | instskip(NEXT) | instid1(VALU_DEP_2)
	v_cmp_class_f32_e64 s10, v6, 0x1f8
	v_cmp_neq_f32_e64 s9, v6, v5
	s_delay_alu instid0(VALU_DEP_1) | instskip(NEXT) | instid1(SALU_CYCLE_1)
	s_or_b32 s9, s9, s10
	s_and_saveexec_b32 s10, s9
	s_cbranch_execz .LBB135_14
; %bb.13:
	v_sub_f32_e32 v6, v6, v5
	s_delay_alu instid0(VALU_DEP_1) | instskip(NEXT) | instid1(VALU_DEP_1)
	v_mul_f32_e32 v19, 0x3fb8aa3b, v6
	v_fma_f32 v20, 0x3fb8aa3b, v6, -v19
	v_rndne_f32_e32 v21, v19
	s_delay_alu instid0(VALU_DEP_1) | instskip(NEXT) | instid1(VALU_DEP_1)
	v_dual_fmamk_f32 v20, v6, 0x32a5705f, v20 :: v_dual_sub_f32 v19, v19, v21
	v_add_f32_e32 v19, v19, v20
	v_cvt_i32_f32_e32 v20, v21
	v_cmp_ngt_f32_e64 s9, 0xc2ce8ed0, v6
	s_delay_alu instid0(VALU_DEP_3) | instskip(SKIP_2) | instid1(VALU_DEP_1)
	v_exp_f32_e32 v19, v19
	s_waitcnt_depctr 0xfff
	v_ldexp_f32 v19, v19, v20
	v_cndmask_b32_e64 v19, 0, v19, s9
	v_cmp_nlt_f32_e64 s9, 0x42b17218, v6
	s_delay_alu instid0(VALU_DEP_1) | instskip(NEXT) | instid1(VALU_DEP_1)
	v_cndmask_b32_e64 v6, 0x7f800000, v19, s9
	v_add_f32_e32 v21, 1.0, v6
	v_cmp_gt_f32_e64 s11, 0x33800000, |v6|
	s_delay_alu instid0(VALU_DEP_2) | instskip(NEXT) | instid1(VALU_DEP_1)
	v_cvt_f64_f32_e32 v[19:20], v21
	v_frexp_exp_i32_f64_e32 v19, v[19:20]
	v_frexp_mant_f32_e32 v20, v21
	s_delay_alu instid0(VALU_DEP_1) | instskip(SKIP_1) | instid1(VALU_DEP_1)
	v_cmp_gt_f32_e64 s9, 0x3f2aaaab, v20
	v_add_f32_e32 v20, -1.0, v21
	v_dual_sub_f32 v23, v20, v21 :: v_dual_sub_f32 v20, v6, v20
	s_delay_alu instid0(VALU_DEP_3) | instskip(SKIP_1) | instid1(VALU_DEP_1)
	v_subrev_co_ci_u32_e64 v19, s9, 0, v19, s9
	s_mov_b32 s9, 0x3e9b6dac
	v_sub_nc_u32_e32 v22, 0, v19
	v_cvt_f32_i32_e32 v19, v19
	s_delay_alu instid0(VALU_DEP_2) | instskip(NEXT) | instid1(VALU_DEP_1)
	v_ldexp_f32 v21, v21, v22
	v_dual_add_f32 v23, 1.0, v23 :: v_dual_add_f32 v24, 1.0, v21
	s_delay_alu instid0(VALU_DEP_1) | instskip(NEXT) | instid1(VALU_DEP_1)
	v_dual_add_f32 v20, v20, v23 :: v_dual_add_f32 v23, -1.0, v24
	v_ldexp_f32 v20, v20, v22
	s_delay_alu instid0(VALU_DEP_2) | instskip(NEXT) | instid1(VALU_DEP_1)
	v_dual_add_f32 v22, -1.0, v21 :: v_dual_sub_f32 v23, v21, v23
	v_add_f32_e32 v25, 1.0, v22
	s_delay_alu instid0(VALU_DEP_2) | instskip(NEXT) | instid1(VALU_DEP_2)
	v_add_f32_e32 v23, v20, v23
	v_sub_f32_e32 v21, v21, v25
	s_delay_alu instid0(VALU_DEP_1) | instskip(NEXT) | instid1(VALU_DEP_1)
	v_add_f32_e32 v20, v20, v21
	v_dual_add_f32 v26, v22, v20 :: v_dual_add_f32 v25, v24, v23
	s_delay_alu instid0(VALU_DEP_1) | instskip(NEXT) | instid1(VALU_DEP_2)
	v_sub_f32_e32 v22, v22, v26
	v_rcp_f32_e32 v21, v25
	v_sub_f32_e32 v24, v24, v25
	s_delay_alu instid0(VALU_DEP_1) | instskip(SKIP_2) | instid1(VALU_DEP_1)
	v_dual_add_f32 v20, v20, v22 :: v_dual_add_f32 v23, v23, v24
	s_waitcnt_depctr 0xfff
	v_mul_f32_e32 v27, v26, v21
	v_mul_f32_e32 v28, v25, v27
	s_delay_alu instid0(VALU_DEP_1) | instskip(NEXT) | instid1(VALU_DEP_1)
	v_fma_f32 v24, v27, v25, -v28
	v_fmac_f32_e32 v24, v27, v23
	s_delay_alu instid0(VALU_DEP_1) | instskip(NEXT) | instid1(VALU_DEP_1)
	v_add_f32_e32 v29, v28, v24
	v_sub_f32_e32 v30, v26, v29
	s_delay_alu instid0(VALU_DEP_1) | instskip(SKIP_1) | instid1(VALU_DEP_2)
	v_sub_f32_e32 v26, v26, v30
	v_sub_f32_e32 v22, v29, v28
	;; [unrolled: 1-line block ×3, first 2 shown]
	s_delay_alu instid0(VALU_DEP_2) | instskip(NEXT) | instid1(VALU_DEP_2)
	v_sub_f32_e32 v22, v22, v24
	v_add_f32_e32 v20, v20, v26
	s_delay_alu instid0(VALU_DEP_1) | instskip(NEXT) | instid1(VALU_DEP_1)
	v_add_f32_e32 v20, v22, v20
	v_add_f32_e32 v22, v30, v20
	s_delay_alu instid0(VALU_DEP_1) | instskip(NEXT) | instid1(VALU_DEP_1)
	v_mul_f32_e32 v24, v21, v22
	v_dual_sub_f32 v29, v30, v22 :: v_dual_mul_f32 v26, v25, v24
	s_delay_alu instid0(VALU_DEP_1) | instskip(NEXT) | instid1(VALU_DEP_2)
	v_add_f32_e32 v20, v20, v29
	v_fma_f32 v25, v24, v25, -v26
	s_delay_alu instid0(VALU_DEP_1) | instskip(NEXT) | instid1(VALU_DEP_1)
	v_fmac_f32_e32 v25, v24, v23
	v_add_f32_e32 v23, v26, v25
	s_delay_alu instid0(VALU_DEP_1) | instskip(SKIP_1) | instid1(VALU_DEP_2)
	v_sub_f32_e32 v28, v22, v23
	v_sub_f32_e32 v26, v23, v26
	;; [unrolled: 1-line block ×3, first 2 shown]
	s_delay_alu instid0(VALU_DEP_1) | instskip(NEXT) | instid1(VALU_DEP_1)
	v_sub_f32_e32 v22, v22, v23
	v_dual_sub_f32 v23, v26, v25 :: v_dual_add_f32 v20, v20, v22
	v_add_f32_e32 v22, v27, v24
	s_delay_alu instid0(VALU_DEP_1) | instskip(NEXT) | instid1(VALU_DEP_1)
	v_dual_add_f32 v20, v23, v20 :: v_dual_sub_f32 v23, v22, v27
	v_add_f32_e32 v20, v28, v20
	s_delay_alu instid0(VALU_DEP_1) | instskip(NEXT) | instid1(VALU_DEP_1)
	v_dual_sub_f32 v23, v24, v23 :: v_dual_mul_f32 v20, v21, v20
	v_add_f32_e32 v20, v23, v20
	s_delay_alu instid0(VALU_DEP_1) | instskip(NEXT) | instid1(VALU_DEP_1)
	v_add_f32_e32 v21, v22, v20
	v_mul_f32_e32 v23, v21, v21
	s_delay_alu instid0(VALU_DEP_1) | instskip(SKIP_2) | instid1(VALU_DEP_3)
	v_fmaak_f32 v24, s9, v23, 0x3ecc95a3
	v_mul_f32_e32 v25, v21, v23
	v_cmp_eq_f32_e64 s9, 0x7f800000, v6
	v_fmaak_f32 v23, v23, v24, 0x3f2aaada
	v_ldexp_f32 v24, v21, 1
	v_sub_f32_e32 v21, v21, v22
	s_delay_alu instid0(VALU_DEP_4) | instskip(NEXT) | instid1(VALU_DEP_3)
	s_or_b32 s9, s9, s11
	v_mul_f32_e32 v23, v25, v23
	s_delay_alu instid0(VALU_DEP_2) | instskip(NEXT) | instid1(VALU_DEP_2)
	v_dual_mul_f32 v25, 0x3f317218, v19 :: v_dual_sub_f32 v20, v20, v21
	v_add_f32_e32 v22, v24, v23
	s_delay_alu instid0(VALU_DEP_2) | instskip(NEXT) | instid1(VALU_DEP_2)
	v_ldexp_f32 v20, v20, 1
	v_sub_f32_e32 v21, v22, v24
	s_delay_alu instid0(VALU_DEP_4) | instskip(NEXT) | instid1(VALU_DEP_2)
	v_fma_f32 v24, 0x3f317218, v19, -v25
	v_sub_f32_e32 v21, v23, v21
	s_delay_alu instid0(VALU_DEP_1) | instskip(NEXT) | instid1(VALU_DEP_1)
	v_dual_fmamk_f32 v19, v19, 0xb102e308, v24 :: v_dual_add_f32 v20, v20, v21
	v_add_f32_e32 v21, v25, v19
	s_delay_alu instid0(VALU_DEP_1) | instskip(NEXT) | instid1(VALU_DEP_1)
	v_sub_f32_e32 v25, v21, v25
	v_sub_f32_e32 v19, v19, v25
	s_delay_alu instid0(VALU_DEP_4) | instskip(NEXT) | instid1(VALU_DEP_1)
	v_add_f32_e32 v23, v22, v20
	v_sub_f32_e32 v22, v23, v22
	s_delay_alu instid0(VALU_DEP_1) | instskip(SKIP_1) | instid1(VALU_DEP_1)
	v_sub_f32_e32 v20, v20, v22
	v_add_f32_e32 v24, v21, v23
	v_sub_f32_e32 v26, v24, v21
	s_delay_alu instid0(VALU_DEP_1) | instskip(NEXT) | instid1(VALU_DEP_4)
	v_sub_f32_e32 v22, v23, v26
	v_add_f32_e32 v23, v19, v20
	v_sub_f32_e32 v27, v24, v26
	s_delay_alu instid0(VALU_DEP_1) | instskip(NEXT) | instid1(VALU_DEP_1)
	v_sub_f32_e32 v21, v21, v27
	v_dual_add_f32 v21, v22, v21 :: v_dual_sub_f32 v22, v23, v19
	s_delay_alu instid0(VALU_DEP_1) | instskip(SKIP_1) | instid1(VALU_DEP_2)
	v_dual_add_f32 v21, v23, v21 :: v_dual_sub_f32 v20, v20, v22
	v_sub_f32_e32 v23, v23, v22
	v_add_f32_e32 v25, v24, v21
	s_delay_alu instid0(VALU_DEP_1) | instskip(NEXT) | instid1(VALU_DEP_1)
	v_dual_sub_f32 v19, v19, v23 :: v_dual_sub_f32 v22, v25, v24
	v_dual_add_f32 v19, v20, v19 :: v_dual_sub_f32 v20, v21, v22
	s_delay_alu instid0(VALU_DEP_1) | instskip(NEXT) | instid1(VALU_DEP_1)
	v_add_f32_e32 v19, v19, v20
	v_add_f32_e32 v19, v25, v19
	s_delay_alu instid0(VALU_DEP_1) | instskip(NEXT) | instid1(VALU_DEP_1)
	v_cndmask_b32_e64 v6, v19, v6, s9
	v_add_f32_e32 v19, v5, v6
.LBB135_14:
	s_or_b32 exec_lo, exec_lo, s10
	s_load_b64 s[10:11], s[0:1], 0x18
	s_mov_b32 s9, exec_lo
	ds_store_b32 v8, v19
	s_waitcnt lgkmcnt(0)
	s_barrier
	buffer_gl0_inv
	v_cmpx_gt_u32_e32 32, v0
	s_cbranch_execz .LBB135_66
; %bb.15:
	v_and_b32_e32 v5, 0xfc, v0
	s_delay_alu instid0(VALU_DEP_1)
	v_lshl_or_b32 v20, v0, 5, v5
	ds_load_2addr_b32 v[5:6], v20 offset1:1
	s_waitcnt lgkmcnt(0)
	v_dual_max_f32 v22, v6, v6 :: v_dual_max_f32 v21, v5, v5
	v_cmp_u_f32_e64 s0, v5, v5
	v_cmp_u_f32_e64 s1, v6, v6
	s_delay_alu instid0(VALU_DEP_3) | instskip(SKIP_1) | instid1(VALU_DEP_2)
	v_min_f32_e32 v23, v21, v22
	v_max_f32_e32 v22, v21, v22
	v_cndmask_b32_e64 v23, v23, v5, s0
	s_delay_alu instid0(VALU_DEP_2) | instskip(NEXT) | instid1(VALU_DEP_2)
	v_cndmask_b32_e64 v24, v22, v5, s0
	v_cndmask_b32_e64 v22, v23, v6, s1
	s_delay_alu instid0(VALU_DEP_2) | instskip(SKIP_1) | instid1(VALU_DEP_3)
	v_cndmask_b32_e64 v6, v24, v6, s1
	v_mov_b32_e32 v23, v5
	v_cmp_class_f32_e64 s12, v22, 0x1f8
	s_delay_alu instid0(VALU_DEP_3) | instskip(NEXT) | instid1(VALU_DEP_1)
	v_cmp_neq_f32_e64 s1, v22, v6
	s_or_b32 s1, s1, s12
	s_delay_alu instid0(SALU_CYCLE_1)
	s_and_saveexec_b32 s12, s1
	s_cbranch_execz .LBB135_17
; %bb.16:
	v_sub_f32_e32 v22, v22, v6
	s_delay_alu instid0(VALU_DEP_1) | instskip(NEXT) | instid1(VALU_DEP_1)
	v_mul_f32_e32 v23, 0x3fb8aa3b, v22
	v_fma_f32 v24, 0x3fb8aa3b, v22, -v23
	v_rndne_f32_e32 v25, v23
	s_delay_alu instid0(VALU_DEP_1) | instskip(SKIP_1) | instid1(VALU_DEP_2)
	v_dual_sub_f32 v23, v23, v25 :: v_dual_fmamk_f32 v24, v22, 0x32a5705f, v24
	v_cmp_ngt_f32_e64 s1, 0xc2ce8ed0, v22
	v_add_f32_e32 v23, v23, v24
	v_cvt_i32_f32_e32 v24, v25
	s_delay_alu instid0(VALU_DEP_2) | instskip(SKIP_2) | instid1(VALU_DEP_1)
	v_exp_f32_e32 v23, v23
	s_waitcnt_depctr 0xfff
	v_ldexp_f32 v23, v23, v24
	v_cndmask_b32_e64 v23, 0, v23, s1
	v_cmp_nlt_f32_e64 s1, 0x42b17218, v22
	s_delay_alu instid0(VALU_DEP_1) | instskip(NEXT) | instid1(VALU_DEP_1)
	v_cndmask_b32_e64 v24, 0x7f800000, v23, s1
	v_add_f32_e32 v25, 1.0, v24
	v_cmp_gt_f32_e64 s13, 0x33800000, |v24|
	s_delay_alu instid0(VALU_DEP_2) | instskip(NEXT) | instid1(VALU_DEP_1)
	v_cvt_f64_f32_e32 v[22:23], v25
	v_frexp_exp_i32_f64_e32 v22, v[22:23]
	v_frexp_mant_f32_e32 v23, v25
	s_delay_alu instid0(VALU_DEP_1) | instskip(SKIP_1) | instid1(VALU_DEP_1)
	v_cmp_gt_f32_e64 s1, 0x3f2aaaab, v23
	v_add_f32_e32 v23, -1.0, v25
	v_sub_f32_e32 v27, v23, v25
	v_sub_f32_e32 v23, v24, v23
	s_delay_alu instid0(VALU_DEP_4) | instskip(SKIP_1) | instid1(VALU_DEP_1)
	v_subrev_co_ci_u32_e64 v22, s1, 0, v22, s1
	s_mov_b32 s1, 0x3e9b6dac
	v_sub_nc_u32_e32 v26, 0, v22
	v_cvt_f32_i32_e32 v22, v22
	s_delay_alu instid0(VALU_DEP_2) | instskip(NEXT) | instid1(VALU_DEP_1)
	v_ldexp_f32 v25, v25, v26
	v_dual_add_f32 v28, 1.0, v25 :: v_dual_add_f32 v27, 1.0, v27
	s_delay_alu instid0(VALU_DEP_1) | instskip(NEXT) | instid1(VALU_DEP_2)
	v_add_f32_e32 v23, v23, v27
	v_add_f32_e32 v27, -1.0, v28
	s_delay_alu instid0(VALU_DEP_2) | instskip(NEXT) | instid1(VALU_DEP_2)
	v_ldexp_f32 v23, v23, v26
	v_dual_add_f32 v26, -1.0, v25 :: v_dual_sub_f32 v27, v25, v27
	s_delay_alu instid0(VALU_DEP_1) | instskip(NEXT) | instid1(VALU_DEP_2)
	v_add_f32_e32 v29, 1.0, v26
	v_add_f32_e32 v27, v23, v27
	s_delay_alu instid0(VALU_DEP_2) | instskip(NEXT) | instid1(VALU_DEP_2)
	v_sub_f32_e32 v25, v25, v29
	v_add_f32_e32 v29, v28, v27
	s_delay_alu instid0(VALU_DEP_2) | instskip(NEXT) | instid1(VALU_DEP_2)
	v_add_f32_e32 v23, v23, v25
	v_rcp_f32_e32 v25, v29
	v_sub_f32_e32 v28, v28, v29
	s_delay_alu instid0(VALU_DEP_1) | instskip(NEXT) | instid1(VALU_DEP_1)
	v_dual_add_f32 v30, v26, v23 :: v_dual_add_f32 v27, v27, v28
	v_sub_f32_e32 v26, v26, v30
	s_waitcnt_depctr 0xfff
	v_mul_f32_e32 v31, v30, v25
	s_delay_alu instid0(VALU_DEP_1) | instskip(NEXT) | instid1(VALU_DEP_1)
	v_dual_add_f32 v23, v23, v26 :: v_dual_mul_f32 v32, v29, v31
	v_fma_f32 v28, v31, v29, -v32
	s_delay_alu instid0(VALU_DEP_1) | instskip(NEXT) | instid1(VALU_DEP_1)
	v_fmac_f32_e32 v28, v31, v27
	v_add_f32_e32 v33, v32, v28
	s_delay_alu instid0(VALU_DEP_1) | instskip(SKIP_1) | instid1(VALU_DEP_2)
	v_sub_f32_e32 v34, v30, v33
	v_sub_f32_e32 v26, v33, v32
	;; [unrolled: 1-line block ×3, first 2 shown]
	s_delay_alu instid0(VALU_DEP_2) | instskip(NEXT) | instid1(VALU_DEP_2)
	v_sub_f32_e32 v26, v26, v28
	v_sub_f32_e32 v30, v30, v33
	s_delay_alu instid0(VALU_DEP_1) | instskip(NEXT) | instid1(VALU_DEP_1)
	v_add_f32_e32 v23, v23, v30
	v_add_f32_e32 v23, v26, v23
	s_delay_alu instid0(VALU_DEP_1) | instskip(NEXT) | instid1(VALU_DEP_1)
	v_add_f32_e32 v26, v34, v23
	v_mul_f32_e32 v28, v25, v26
	s_delay_alu instid0(VALU_DEP_1) | instskip(NEXT) | instid1(VALU_DEP_1)
	v_dual_sub_f32 v33, v34, v26 :: v_dual_mul_f32 v30, v29, v28
	v_add_f32_e32 v23, v23, v33
	s_delay_alu instid0(VALU_DEP_2) | instskip(NEXT) | instid1(VALU_DEP_1)
	v_fma_f32 v29, v28, v29, -v30
	v_fmac_f32_e32 v29, v28, v27
	s_delay_alu instid0(VALU_DEP_1) | instskip(NEXT) | instid1(VALU_DEP_1)
	v_add_f32_e32 v27, v30, v29
	v_sub_f32_e32 v32, v26, v27
	v_sub_f32_e32 v30, v27, v30
	s_delay_alu instid0(VALU_DEP_2) | instskip(NEXT) | instid1(VALU_DEP_1)
	v_sub_f32_e32 v26, v26, v32
	v_sub_f32_e32 v26, v26, v27
	s_delay_alu instid0(VALU_DEP_3) | instskip(NEXT) | instid1(VALU_DEP_2)
	v_sub_f32_e32 v27, v30, v29
	v_add_f32_e32 v23, v23, v26
	v_add_f32_e32 v26, v31, v28
	s_delay_alu instid0(VALU_DEP_2) | instskip(NEXT) | instid1(VALU_DEP_2)
	v_add_f32_e32 v23, v27, v23
	v_sub_f32_e32 v27, v26, v31
	s_delay_alu instid0(VALU_DEP_2) | instskip(NEXT) | instid1(VALU_DEP_2)
	v_add_f32_e32 v23, v32, v23
	v_sub_f32_e32 v27, v28, v27
	s_delay_alu instid0(VALU_DEP_2) | instskip(NEXT) | instid1(VALU_DEP_1)
	v_mul_f32_e32 v23, v25, v23
	v_add_f32_e32 v23, v27, v23
	s_delay_alu instid0(VALU_DEP_1) | instskip(NEXT) | instid1(VALU_DEP_1)
	v_add_f32_e32 v25, v26, v23
	v_mul_f32_e32 v27, v25, v25
	s_delay_alu instid0(VALU_DEP_1) | instskip(SKIP_2) | instid1(VALU_DEP_3)
	v_fmaak_f32 v28, s1, v27, 0x3ecc95a3
	v_mul_f32_e32 v29, v25, v27
	v_cmp_eq_f32_e64 s1, 0x7f800000, v24
	v_fmaak_f32 v27, v27, v28, 0x3f2aaada
	v_ldexp_f32 v28, v25, 1
	v_sub_f32_e32 v25, v25, v26
	s_delay_alu instid0(VALU_DEP_4) | instskip(NEXT) | instid1(VALU_DEP_3)
	s_or_b32 s1, s1, s13
	v_mul_f32_e32 v27, v29, v27
	v_mul_f32_e32 v29, 0x3f317218, v22
	s_delay_alu instid0(VALU_DEP_2) | instskip(NEXT) | instid1(VALU_DEP_1)
	v_dual_sub_f32 v23, v23, v25 :: v_dual_add_f32 v26, v28, v27
	v_ldexp_f32 v23, v23, 1
	s_delay_alu instid0(VALU_DEP_2) | instskip(NEXT) | instid1(VALU_DEP_4)
	v_sub_f32_e32 v25, v26, v28
	v_fma_f32 v28, 0x3f317218, v22, -v29
	s_delay_alu instid0(VALU_DEP_1) | instskip(NEXT) | instid1(VALU_DEP_1)
	v_dual_sub_f32 v25, v27, v25 :: v_dual_fmamk_f32 v22, v22, 0xb102e308, v28
	v_add_f32_e32 v23, v23, v25
	s_delay_alu instid0(VALU_DEP_2) | instskip(NEXT) | instid1(VALU_DEP_2)
	v_add_f32_e32 v25, v29, v22
	v_add_f32_e32 v27, v26, v23
	s_delay_alu instid0(VALU_DEP_2) | instskip(NEXT) | instid1(VALU_DEP_2)
	v_sub_f32_e32 v29, v25, v29
	v_add_f32_e32 v28, v25, v27
	v_sub_f32_e32 v26, v27, v26
	s_delay_alu instid0(VALU_DEP_3) | instskip(NEXT) | instid1(VALU_DEP_2)
	v_sub_f32_e32 v22, v22, v29
	v_dual_sub_f32 v30, v28, v25 :: v_dual_sub_f32 v23, v23, v26
	s_delay_alu instid0(VALU_DEP_1) | instskip(NEXT) | instid1(VALU_DEP_2)
	v_sub_f32_e32 v31, v28, v30
	v_dual_sub_f32 v26, v27, v30 :: v_dual_add_f32 v27, v22, v23
	s_delay_alu instid0(VALU_DEP_2) | instskip(NEXT) | instid1(VALU_DEP_1)
	v_sub_f32_e32 v25, v25, v31
	v_dual_add_f32 v25, v26, v25 :: v_dual_sub_f32 v26, v27, v22
	s_delay_alu instid0(VALU_DEP_1) | instskip(NEXT) | instid1(VALU_DEP_2)
	v_add_f32_e32 v25, v27, v25
	v_sub_f32_e32 v27, v27, v26
	v_sub_f32_e32 v23, v23, v26
	s_delay_alu instid0(VALU_DEP_2) | instskip(NEXT) | instid1(VALU_DEP_1)
	v_dual_add_f32 v29, v28, v25 :: v_dual_sub_f32 v22, v22, v27
	v_sub_f32_e32 v26, v29, v28
	s_delay_alu instid0(VALU_DEP_2) | instskip(NEXT) | instid1(VALU_DEP_2)
	v_add_f32_e32 v22, v23, v22
	v_sub_f32_e32 v23, v25, v26
	s_delay_alu instid0(VALU_DEP_1) | instskip(NEXT) | instid1(VALU_DEP_1)
	v_add_f32_e32 v22, v22, v23
	v_add_f32_e32 v22, v29, v22
	s_delay_alu instid0(VALU_DEP_1) | instskip(NEXT) | instid1(VALU_DEP_1)
	v_cndmask_b32_e64 v22, v22, v24, s1
	v_add_f32_e32 v23, v6, v22
.LBB135_17:
	s_or_b32 exec_lo, exec_lo, s12
	ds_load_b32 v6, v20 offset:8
	v_max_f32_e32 v22, v23, v23
	v_cmp_u_f32_e64 s1, v23, v23
	s_waitcnt lgkmcnt(0)
	v_max_f32_e32 v24, v6, v6
	s_delay_alu instid0(VALU_DEP_1) | instskip(SKIP_1) | instid1(VALU_DEP_2)
	v_min_f32_e32 v25, v22, v24
	v_max_f32_e32 v22, v22, v24
	v_cndmask_b32_e64 v24, v25, v23, s1
	s_delay_alu instid0(VALU_DEP_2) | instskip(SKIP_1) | instid1(VALU_DEP_1)
	v_cndmask_b32_e64 v25, v22, v23, s1
	v_cmp_u_f32_e64 s1, v6, v6
	v_cndmask_b32_e64 v22, v24, v6, s1
	s_delay_alu instid0(VALU_DEP_3) | instskip(NEXT) | instid1(VALU_DEP_2)
	v_cndmask_b32_e64 v6, v25, v6, s1
	v_cmp_class_f32_e64 s12, v22, 0x1f8
	s_delay_alu instid0(VALU_DEP_2) | instskip(NEXT) | instid1(VALU_DEP_1)
	v_cmp_neq_f32_e64 s1, v22, v6
	s_or_b32 s1, s1, s12
	s_delay_alu instid0(SALU_CYCLE_1)
	s_and_saveexec_b32 s12, s1
	s_cbranch_execz .LBB135_19
; %bb.18:
	v_sub_f32_e32 v22, v22, v6
	s_delay_alu instid0(VALU_DEP_1) | instskip(NEXT) | instid1(VALU_DEP_1)
	v_mul_f32_e32 v23, 0x3fb8aa3b, v22
	v_fma_f32 v24, 0x3fb8aa3b, v22, -v23
	v_rndne_f32_e32 v25, v23
	s_delay_alu instid0(VALU_DEP_1) | instskip(SKIP_1) | instid1(VALU_DEP_2)
	v_dual_sub_f32 v23, v23, v25 :: v_dual_fmamk_f32 v24, v22, 0x32a5705f, v24
	v_cmp_ngt_f32_e64 s1, 0xc2ce8ed0, v22
	v_add_f32_e32 v23, v23, v24
	v_cvt_i32_f32_e32 v24, v25
	s_delay_alu instid0(VALU_DEP_2) | instskip(SKIP_2) | instid1(VALU_DEP_1)
	v_exp_f32_e32 v23, v23
	s_waitcnt_depctr 0xfff
	v_ldexp_f32 v23, v23, v24
	v_cndmask_b32_e64 v23, 0, v23, s1
	v_cmp_nlt_f32_e64 s1, 0x42b17218, v22
	s_delay_alu instid0(VALU_DEP_1) | instskip(NEXT) | instid1(VALU_DEP_1)
	v_cndmask_b32_e64 v24, 0x7f800000, v23, s1
	v_add_f32_e32 v25, 1.0, v24
	v_cmp_gt_f32_e64 s13, 0x33800000, |v24|
	s_delay_alu instid0(VALU_DEP_2) | instskip(NEXT) | instid1(VALU_DEP_1)
	v_cvt_f64_f32_e32 v[22:23], v25
	v_frexp_exp_i32_f64_e32 v22, v[22:23]
	v_frexp_mant_f32_e32 v23, v25
	s_delay_alu instid0(VALU_DEP_1) | instskip(SKIP_1) | instid1(VALU_DEP_1)
	v_cmp_gt_f32_e64 s1, 0x3f2aaaab, v23
	v_add_f32_e32 v23, -1.0, v25
	v_sub_f32_e32 v27, v23, v25
	v_sub_f32_e32 v23, v24, v23
	s_delay_alu instid0(VALU_DEP_4) | instskip(SKIP_1) | instid1(VALU_DEP_1)
	v_subrev_co_ci_u32_e64 v22, s1, 0, v22, s1
	s_mov_b32 s1, 0x3e9b6dac
	v_sub_nc_u32_e32 v26, 0, v22
	v_cvt_f32_i32_e32 v22, v22
	s_delay_alu instid0(VALU_DEP_2) | instskip(NEXT) | instid1(VALU_DEP_1)
	v_ldexp_f32 v25, v25, v26
	v_dual_add_f32 v28, 1.0, v25 :: v_dual_add_f32 v27, 1.0, v27
	s_delay_alu instid0(VALU_DEP_1) | instskip(NEXT) | instid1(VALU_DEP_2)
	v_add_f32_e32 v23, v23, v27
	v_add_f32_e32 v27, -1.0, v28
	s_delay_alu instid0(VALU_DEP_2) | instskip(NEXT) | instid1(VALU_DEP_2)
	v_ldexp_f32 v23, v23, v26
	v_dual_add_f32 v26, -1.0, v25 :: v_dual_sub_f32 v27, v25, v27
	s_delay_alu instid0(VALU_DEP_1) | instskip(NEXT) | instid1(VALU_DEP_2)
	v_add_f32_e32 v29, 1.0, v26
	v_add_f32_e32 v27, v23, v27
	s_delay_alu instid0(VALU_DEP_2) | instskip(NEXT) | instid1(VALU_DEP_2)
	v_sub_f32_e32 v25, v25, v29
	v_add_f32_e32 v29, v28, v27
	s_delay_alu instid0(VALU_DEP_2) | instskip(NEXT) | instid1(VALU_DEP_2)
	v_add_f32_e32 v23, v23, v25
	v_rcp_f32_e32 v25, v29
	v_sub_f32_e32 v28, v28, v29
	s_delay_alu instid0(VALU_DEP_1) | instskip(NEXT) | instid1(VALU_DEP_1)
	v_dual_add_f32 v30, v26, v23 :: v_dual_add_f32 v27, v27, v28
	v_sub_f32_e32 v26, v26, v30
	s_waitcnt_depctr 0xfff
	v_mul_f32_e32 v31, v30, v25
	s_delay_alu instid0(VALU_DEP_1) | instskip(NEXT) | instid1(VALU_DEP_1)
	v_dual_add_f32 v23, v23, v26 :: v_dual_mul_f32 v32, v29, v31
	v_fma_f32 v28, v31, v29, -v32
	s_delay_alu instid0(VALU_DEP_1) | instskip(NEXT) | instid1(VALU_DEP_1)
	v_fmac_f32_e32 v28, v31, v27
	v_add_f32_e32 v33, v32, v28
	s_delay_alu instid0(VALU_DEP_1) | instskip(SKIP_1) | instid1(VALU_DEP_2)
	v_sub_f32_e32 v34, v30, v33
	v_sub_f32_e32 v26, v33, v32
	;; [unrolled: 1-line block ×3, first 2 shown]
	s_delay_alu instid0(VALU_DEP_2) | instskip(NEXT) | instid1(VALU_DEP_2)
	v_sub_f32_e32 v26, v26, v28
	v_sub_f32_e32 v30, v30, v33
	s_delay_alu instid0(VALU_DEP_1) | instskip(NEXT) | instid1(VALU_DEP_1)
	v_add_f32_e32 v23, v23, v30
	v_add_f32_e32 v23, v26, v23
	s_delay_alu instid0(VALU_DEP_1) | instskip(NEXT) | instid1(VALU_DEP_1)
	v_add_f32_e32 v26, v34, v23
	v_mul_f32_e32 v28, v25, v26
	s_delay_alu instid0(VALU_DEP_1) | instskip(NEXT) | instid1(VALU_DEP_1)
	v_dual_sub_f32 v33, v34, v26 :: v_dual_mul_f32 v30, v29, v28
	v_add_f32_e32 v23, v23, v33
	s_delay_alu instid0(VALU_DEP_2) | instskip(NEXT) | instid1(VALU_DEP_1)
	v_fma_f32 v29, v28, v29, -v30
	v_fmac_f32_e32 v29, v28, v27
	s_delay_alu instid0(VALU_DEP_1) | instskip(NEXT) | instid1(VALU_DEP_1)
	v_add_f32_e32 v27, v30, v29
	v_sub_f32_e32 v32, v26, v27
	v_sub_f32_e32 v30, v27, v30
	s_delay_alu instid0(VALU_DEP_2) | instskip(NEXT) | instid1(VALU_DEP_1)
	v_sub_f32_e32 v26, v26, v32
	v_sub_f32_e32 v26, v26, v27
	s_delay_alu instid0(VALU_DEP_3) | instskip(NEXT) | instid1(VALU_DEP_2)
	v_sub_f32_e32 v27, v30, v29
	v_add_f32_e32 v23, v23, v26
	v_add_f32_e32 v26, v31, v28
	s_delay_alu instid0(VALU_DEP_2) | instskip(NEXT) | instid1(VALU_DEP_2)
	v_add_f32_e32 v23, v27, v23
	v_sub_f32_e32 v27, v26, v31
	s_delay_alu instid0(VALU_DEP_2) | instskip(NEXT) | instid1(VALU_DEP_2)
	v_add_f32_e32 v23, v32, v23
	v_sub_f32_e32 v27, v28, v27
	s_delay_alu instid0(VALU_DEP_2) | instskip(NEXT) | instid1(VALU_DEP_1)
	v_mul_f32_e32 v23, v25, v23
	v_add_f32_e32 v23, v27, v23
	s_delay_alu instid0(VALU_DEP_1) | instskip(NEXT) | instid1(VALU_DEP_1)
	v_add_f32_e32 v25, v26, v23
	v_mul_f32_e32 v27, v25, v25
	s_delay_alu instid0(VALU_DEP_1) | instskip(SKIP_2) | instid1(VALU_DEP_3)
	v_fmaak_f32 v28, s1, v27, 0x3ecc95a3
	v_mul_f32_e32 v29, v25, v27
	v_cmp_eq_f32_e64 s1, 0x7f800000, v24
	v_fmaak_f32 v27, v27, v28, 0x3f2aaada
	v_ldexp_f32 v28, v25, 1
	v_sub_f32_e32 v25, v25, v26
	s_delay_alu instid0(VALU_DEP_4) | instskip(NEXT) | instid1(VALU_DEP_3)
	s_or_b32 s1, s1, s13
	v_mul_f32_e32 v27, v29, v27
	v_mul_f32_e32 v29, 0x3f317218, v22
	s_delay_alu instid0(VALU_DEP_2) | instskip(NEXT) | instid1(VALU_DEP_1)
	v_dual_sub_f32 v23, v23, v25 :: v_dual_add_f32 v26, v28, v27
	v_ldexp_f32 v23, v23, 1
	s_delay_alu instid0(VALU_DEP_2) | instskip(NEXT) | instid1(VALU_DEP_4)
	v_sub_f32_e32 v25, v26, v28
	v_fma_f32 v28, 0x3f317218, v22, -v29
	s_delay_alu instid0(VALU_DEP_1) | instskip(NEXT) | instid1(VALU_DEP_1)
	v_dual_sub_f32 v25, v27, v25 :: v_dual_fmamk_f32 v22, v22, 0xb102e308, v28
	v_add_f32_e32 v23, v23, v25
	s_delay_alu instid0(VALU_DEP_2) | instskip(NEXT) | instid1(VALU_DEP_2)
	v_add_f32_e32 v25, v29, v22
	v_add_f32_e32 v27, v26, v23
	s_delay_alu instid0(VALU_DEP_2) | instskip(NEXT) | instid1(VALU_DEP_2)
	v_sub_f32_e32 v29, v25, v29
	v_add_f32_e32 v28, v25, v27
	v_sub_f32_e32 v26, v27, v26
	s_delay_alu instid0(VALU_DEP_3) | instskip(NEXT) | instid1(VALU_DEP_2)
	v_sub_f32_e32 v22, v22, v29
	v_dual_sub_f32 v30, v28, v25 :: v_dual_sub_f32 v23, v23, v26
	s_delay_alu instid0(VALU_DEP_1) | instskip(NEXT) | instid1(VALU_DEP_2)
	v_sub_f32_e32 v31, v28, v30
	v_dual_sub_f32 v26, v27, v30 :: v_dual_add_f32 v27, v22, v23
	s_delay_alu instid0(VALU_DEP_2) | instskip(NEXT) | instid1(VALU_DEP_1)
	v_sub_f32_e32 v25, v25, v31
	v_dual_add_f32 v25, v26, v25 :: v_dual_sub_f32 v26, v27, v22
	s_delay_alu instid0(VALU_DEP_1) | instskip(NEXT) | instid1(VALU_DEP_2)
	v_add_f32_e32 v25, v27, v25
	v_sub_f32_e32 v27, v27, v26
	v_sub_f32_e32 v23, v23, v26
	s_delay_alu instid0(VALU_DEP_2) | instskip(NEXT) | instid1(VALU_DEP_1)
	v_dual_add_f32 v29, v28, v25 :: v_dual_sub_f32 v22, v22, v27
	v_sub_f32_e32 v26, v29, v28
	s_delay_alu instid0(VALU_DEP_2) | instskip(NEXT) | instid1(VALU_DEP_2)
	v_add_f32_e32 v22, v23, v22
	v_sub_f32_e32 v23, v25, v26
	s_delay_alu instid0(VALU_DEP_1) | instskip(NEXT) | instid1(VALU_DEP_1)
	v_add_f32_e32 v22, v22, v23
	v_add_f32_e32 v22, v29, v22
	s_delay_alu instid0(VALU_DEP_1) | instskip(NEXT) | instid1(VALU_DEP_1)
	v_cndmask_b32_e64 v22, v22, v24, s1
	v_add_f32_e32 v23, v6, v22
.LBB135_19:
	s_or_b32 exec_lo, exec_lo, s12
	ds_load_b32 v6, v20 offset:12
	v_max_f32_e32 v22, v23, v23
	v_cmp_u_f32_e64 s1, v23, v23
	s_waitcnt lgkmcnt(0)
	v_max_f32_e32 v24, v6, v6
	s_delay_alu instid0(VALU_DEP_1) | instskip(SKIP_1) | instid1(VALU_DEP_2)
	v_min_f32_e32 v25, v22, v24
	v_max_f32_e32 v22, v22, v24
	v_cndmask_b32_e64 v24, v25, v23, s1
	s_delay_alu instid0(VALU_DEP_2) | instskip(SKIP_1) | instid1(VALU_DEP_1)
	v_cndmask_b32_e64 v25, v22, v23, s1
	v_cmp_u_f32_e64 s1, v6, v6
	v_cndmask_b32_e64 v22, v24, v6, s1
	s_delay_alu instid0(VALU_DEP_3) | instskip(NEXT) | instid1(VALU_DEP_2)
	v_cndmask_b32_e64 v6, v25, v6, s1
	v_cmp_class_f32_e64 s12, v22, 0x1f8
	s_delay_alu instid0(VALU_DEP_2) | instskip(NEXT) | instid1(VALU_DEP_1)
	v_cmp_neq_f32_e64 s1, v22, v6
	s_or_b32 s1, s1, s12
	s_delay_alu instid0(SALU_CYCLE_1)
	s_and_saveexec_b32 s12, s1
	s_cbranch_execz .LBB135_21
; %bb.20:
	v_sub_f32_e32 v22, v22, v6
	s_delay_alu instid0(VALU_DEP_1) | instskip(NEXT) | instid1(VALU_DEP_1)
	v_mul_f32_e32 v23, 0x3fb8aa3b, v22
	v_fma_f32 v24, 0x3fb8aa3b, v22, -v23
	v_rndne_f32_e32 v25, v23
	s_delay_alu instid0(VALU_DEP_1) | instskip(SKIP_1) | instid1(VALU_DEP_2)
	v_dual_sub_f32 v23, v23, v25 :: v_dual_fmamk_f32 v24, v22, 0x32a5705f, v24
	v_cmp_ngt_f32_e64 s1, 0xc2ce8ed0, v22
	v_add_f32_e32 v23, v23, v24
	v_cvt_i32_f32_e32 v24, v25
	s_delay_alu instid0(VALU_DEP_2) | instskip(SKIP_2) | instid1(VALU_DEP_1)
	v_exp_f32_e32 v23, v23
	s_waitcnt_depctr 0xfff
	v_ldexp_f32 v23, v23, v24
	v_cndmask_b32_e64 v23, 0, v23, s1
	v_cmp_nlt_f32_e64 s1, 0x42b17218, v22
	s_delay_alu instid0(VALU_DEP_1) | instskip(NEXT) | instid1(VALU_DEP_1)
	v_cndmask_b32_e64 v24, 0x7f800000, v23, s1
	v_add_f32_e32 v25, 1.0, v24
	v_cmp_gt_f32_e64 s13, 0x33800000, |v24|
	s_delay_alu instid0(VALU_DEP_2) | instskip(NEXT) | instid1(VALU_DEP_1)
	v_cvt_f64_f32_e32 v[22:23], v25
	v_frexp_exp_i32_f64_e32 v22, v[22:23]
	v_frexp_mant_f32_e32 v23, v25
	s_delay_alu instid0(VALU_DEP_1) | instskip(SKIP_1) | instid1(VALU_DEP_1)
	v_cmp_gt_f32_e64 s1, 0x3f2aaaab, v23
	v_add_f32_e32 v23, -1.0, v25
	v_sub_f32_e32 v27, v23, v25
	v_sub_f32_e32 v23, v24, v23
	s_delay_alu instid0(VALU_DEP_4) | instskip(SKIP_1) | instid1(VALU_DEP_1)
	v_subrev_co_ci_u32_e64 v22, s1, 0, v22, s1
	s_mov_b32 s1, 0x3e9b6dac
	v_sub_nc_u32_e32 v26, 0, v22
	v_cvt_f32_i32_e32 v22, v22
	s_delay_alu instid0(VALU_DEP_2) | instskip(NEXT) | instid1(VALU_DEP_1)
	v_ldexp_f32 v25, v25, v26
	v_dual_add_f32 v28, 1.0, v25 :: v_dual_add_f32 v27, 1.0, v27
	s_delay_alu instid0(VALU_DEP_1) | instskip(NEXT) | instid1(VALU_DEP_2)
	v_add_f32_e32 v23, v23, v27
	v_add_f32_e32 v27, -1.0, v28
	s_delay_alu instid0(VALU_DEP_2) | instskip(NEXT) | instid1(VALU_DEP_2)
	v_ldexp_f32 v23, v23, v26
	v_dual_add_f32 v26, -1.0, v25 :: v_dual_sub_f32 v27, v25, v27
	s_delay_alu instid0(VALU_DEP_1) | instskip(NEXT) | instid1(VALU_DEP_2)
	v_add_f32_e32 v29, 1.0, v26
	v_add_f32_e32 v27, v23, v27
	s_delay_alu instid0(VALU_DEP_2) | instskip(NEXT) | instid1(VALU_DEP_2)
	v_sub_f32_e32 v25, v25, v29
	v_add_f32_e32 v29, v28, v27
	s_delay_alu instid0(VALU_DEP_2) | instskip(NEXT) | instid1(VALU_DEP_2)
	v_add_f32_e32 v23, v23, v25
	v_rcp_f32_e32 v25, v29
	v_sub_f32_e32 v28, v28, v29
	s_delay_alu instid0(VALU_DEP_1) | instskip(NEXT) | instid1(VALU_DEP_1)
	v_dual_add_f32 v30, v26, v23 :: v_dual_add_f32 v27, v27, v28
	v_sub_f32_e32 v26, v26, v30
	s_waitcnt_depctr 0xfff
	v_mul_f32_e32 v31, v30, v25
	s_delay_alu instid0(VALU_DEP_1) | instskip(NEXT) | instid1(VALU_DEP_1)
	v_dual_add_f32 v23, v23, v26 :: v_dual_mul_f32 v32, v29, v31
	v_fma_f32 v28, v31, v29, -v32
	s_delay_alu instid0(VALU_DEP_1) | instskip(NEXT) | instid1(VALU_DEP_1)
	v_fmac_f32_e32 v28, v31, v27
	v_add_f32_e32 v33, v32, v28
	s_delay_alu instid0(VALU_DEP_1) | instskip(SKIP_1) | instid1(VALU_DEP_2)
	v_sub_f32_e32 v34, v30, v33
	v_sub_f32_e32 v26, v33, v32
	;; [unrolled: 1-line block ×3, first 2 shown]
	s_delay_alu instid0(VALU_DEP_2) | instskip(NEXT) | instid1(VALU_DEP_2)
	v_sub_f32_e32 v26, v26, v28
	v_sub_f32_e32 v30, v30, v33
	s_delay_alu instid0(VALU_DEP_1) | instskip(NEXT) | instid1(VALU_DEP_1)
	v_add_f32_e32 v23, v23, v30
	v_add_f32_e32 v23, v26, v23
	s_delay_alu instid0(VALU_DEP_1) | instskip(NEXT) | instid1(VALU_DEP_1)
	v_add_f32_e32 v26, v34, v23
	v_mul_f32_e32 v28, v25, v26
	s_delay_alu instid0(VALU_DEP_1) | instskip(NEXT) | instid1(VALU_DEP_1)
	v_dual_sub_f32 v33, v34, v26 :: v_dual_mul_f32 v30, v29, v28
	v_add_f32_e32 v23, v23, v33
	s_delay_alu instid0(VALU_DEP_2) | instskip(NEXT) | instid1(VALU_DEP_1)
	v_fma_f32 v29, v28, v29, -v30
	v_fmac_f32_e32 v29, v28, v27
	s_delay_alu instid0(VALU_DEP_1) | instskip(NEXT) | instid1(VALU_DEP_1)
	v_add_f32_e32 v27, v30, v29
	v_sub_f32_e32 v32, v26, v27
	v_sub_f32_e32 v30, v27, v30
	s_delay_alu instid0(VALU_DEP_2) | instskip(NEXT) | instid1(VALU_DEP_1)
	v_sub_f32_e32 v26, v26, v32
	v_sub_f32_e32 v26, v26, v27
	s_delay_alu instid0(VALU_DEP_3) | instskip(NEXT) | instid1(VALU_DEP_2)
	v_sub_f32_e32 v27, v30, v29
	v_add_f32_e32 v23, v23, v26
	v_add_f32_e32 v26, v31, v28
	s_delay_alu instid0(VALU_DEP_2) | instskip(NEXT) | instid1(VALU_DEP_2)
	v_add_f32_e32 v23, v27, v23
	v_sub_f32_e32 v27, v26, v31
	s_delay_alu instid0(VALU_DEP_2) | instskip(NEXT) | instid1(VALU_DEP_2)
	v_add_f32_e32 v23, v32, v23
	v_sub_f32_e32 v27, v28, v27
	s_delay_alu instid0(VALU_DEP_2) | instskip(NEXT) | instid1(VALU_DEP_1)
	v_mul_f32_e32 v23, v25, v23
	v_add_f32_e32 v23, v27, v23
	s_delay_alu instid0(VALU_DEP_1) | instskip(NEXT) | instid1(VALU_DEP_1)
	v_add_f32_e32 v25, v26, v23
	v_mul_f32_e32 v27, v25, v25
	s_delay_alu instid0(VALU_DEP_1) | instskip(SKIP_2) | instid1(VALU_DEP_3)
	v_fmaak_f32 v28, s1, v27, 0x3ecc95a3
	v_mul_f32_e32 v29, v25, v27
	v_cmp_eq_f32_e64 s1, 0x7f800000, v24
	v_fmaak_f32 v27, v27, v28, 0x3f2aaada
	v_ldexp_f32 v28, v25, 1
	v_sub_f32_e32 v25, v25, v26
	s_delay_alu instid0(VALU_DEP_4) | instskip(NEXT) | instid1(VALU_DEP_3)
	s_or_b32 s1, s1, s13
	v_mul_f32_e32 v27, v29, v27
	v_mul_f32_e32 v29, 0x3f317218, v22
	s_delay_alu instid0(VALU_DEP_2) | instskip(NEXT) | instid1(VALU_DEP_1)
	v_dual_sub_f32 v23, v23, v25 :: v_dual_add_f32 v26, v28, v27
	v_ldexp_f32 v23, v23, 1
	s_delay_alu instid0(VALU_DEP_2) | instskip(NEXT) | instid1(VALU_DEP_4)
	v_sub_f32_e32 v25, v26, v28
	v_fma_f32 v28, 0x3f317218, v22, -v29
	s_delay_alu instid0(VALU_DEP_1) | instskip(NEXT) | instid1(VALU_DEP_1)
	v_dual_sub_f32 v25, v27, v25 :: v_dual_fmamk_f32 v22, v22, 0xb102e308, v28
	v_add_f32_e32 v23, v23, v25
	s_delay_alu instid0(VALU_DEP_2) | instskip(NEXT) | instid1(VALU_DEP_2)
	v_add_f32_e32 v25, v29, v22
	v_add_f32_e32 v27, v26, v23
	s_delay_alu instid0(VALU_DEP_2) | instskip(NEXT) | instid1(VALU_DEP_2)
	v_sub_f32_e32 v29, v25, v29
	v_add_f32_e32 v28, v25, v27
	v_sub_f32_e32 v26, v27, v26
	s_delay_alu instid0(VALU_DEP_3) | instskip(NEXT) | instid1(VALU_DEP_2)
	v_sub_f32_e32 v22, v22, v29
	v_dual_sub_f32 v30, v28, v25 :: v_dual_sub_f32 v23, v23, v26
	s_delay_alu instid0(VALU_DEP_1) | instskip(NEXT) | instid1(VALU_DEP_2)
	v_sub_f32_e32 v31, v28, v30
	v_dual_sub_f32 v26, v27, v30 :: v_dual_add_f32 v27, v22, v23
	s_delay_alu instid0(VALU_DEP_2) | instskip(NEXT) | instid1(VALU_DEP_1)
	v_sub_f32_e32 v25, v25, v31
	v_dual_add_f32 v25, v26, v25 :: v_dual_sub_f32 v26, v27, v22
	s_delay_alu instid0(VALU_DEP_1) | instskip(NEXT) | instid1(VALU_DEP_2)
	v_add_f32_e32 v25, v27, v25
	v_sub_f32_e32 v27, v27, v26
	v_sub_f32_e32 v23, v23, v26
	s_delay_alu instid0(VALU_DEP_2) | instskip(NEXT) | instid1(VALU_DEP_1)
	v_dual_add_f32 v29, v28, v25 :: v_dual_sub_f32 v22, v22, v27
	v_sub_f32_e32 v26, v29, v28
	s_delay_alu instid0(VALU_DEP_2) | instskip(NEXT) | instid1(VALU_DEP_2)
	v_add_f32_e32 v22, v23, v22
	v_sub_f32_e32 v23, v25, v26
	s_delay_alu instid0(VALU_DEP_1) | instskip(NEXT) | instid1(VALU_DEP_1)
	v_add_f32_e32 v22, v22, v23
	v_add_f32_e32 v22, v29, v22
	s_delay_alu instid0(VALU_DEP_1) | instskip(NEXT) | instid1(VALU_DEP_1)
	v_cndmask_b32_e64 v22, v22, v24, s1
	v_add_f32_e32 v23, v6, v22
.LBB135_21:
	s_or_b32 exec_lo, exec_lo, s12
	ds_load_b32 v6, v20 offset:16
	v_max_f32_e32 v22, v23, v23
	v_cmp_u_f32_e64 s1, v23, v23
	s_waitcnt lgkmcnt(0)
	v_max_f32_e32 v24, v6, v6
	s_delay_alu instid0(VALU_DEP_1) | instskip(SKIP_1) | instid1(VALU_DEP_2)
	v_min_f32_e32 v25, v22, v24
	v_max_f32_e32 v22, v22, v24
	v_cndmask_b32_e64 v24, v25, v23, s1
	s_delay_alu instid0(VALU_DEP_2) | instskip(SKIP_1) | instid1(VALU_DEP_1)
	v_cndmask_b32_e64 v25, v22, v23, s1
	v_cmp_u_f32_e64 s1, v6, v6
	v_cndmask_b32_e64 v22, v24, v6, s1
	s_delay_alu instid0(VALU_DEP_3) | instskip(NEXT) | instid1(VALU_DEP_2)
	v_cndmask_b32_e64 v6, v25, v6, s1
	v_cmp_class_f32_e64 s12, v22, 0x1f8
	s_delay_alu instid0(VALU_DEP_2) | instskip(NEXT) | instid1(VALU_DEP_1)
	v_cmp_neq_f32_e64 s1, v22, v6
	s_or_b32 s1, s1, s12
	s_delay_alu instid0(SALU_CYCLE_1)
	s_and_saveexec_b32 s12, s1
	s_cbranch_execz .LBB135_23
; %bb.22:
	v_sub_f32_e32 v22, v22, v6
	s_delay_alu instid0(VALU_DEP_1) | instskip(NEXT) | instid1(VALU_DEP_1)
	v_mul_f32_e32 v23, 0x3fb8aa3b, v22
	v_fma_f32 v24, 0x3fb8aa3b, v22, -v23
	v_rndne_f32_e32 v25, v23
	s_delay_alu instid0(VALU_DEP_1) | instskip(SKIP_1) | instid1(VALU_DEP_2)
	v_dual_sub_f32 v23, v23, v25 :: v_dual_fmamk_f32 v24, v22, 0x32a5705f, v24
	v_cmp_ngt_f32_e64 s1, 0xc2ce8ed0, v22
	v_add_f32_e32 v23, v23, v24
	v_cvt_i32_f32_e32 v24, v25
	s_delay_alu instid0(VALU_DEP_2) | instskip(SKIP_2) | instid1(VALU_DEP_1)
	v_exp_f32_e32 v23, v23
	s_waitcnt_depctr 0xfff
	v_ldexp_f32 v23, v23, v24
	v_cndmask_b32_e64 v23, 0, v23, s1
	v_cmp_nlt_f32_e64 s1, 0x42b17218, v22
	s_delay_alu instid0(VALU_DEP_1) | instskip(NEXT) | instid1(VALU_DEP_1)
	v_cndmask_b32_e64 v24, 0x7f800000, v23, s1
	v_add_f32_e32 v25, 1.0, v24
	v_cmp_gt_f32_e64 s13, 0x33800000, |v24|
	s_delay_alu instid0(VALU_DEP_2) | instskip(NEXT) | instid1(VALU_DEP_1)
	v_cvt_f64_f32_e32 v[22:23], v25
	v_frexp_exp_i32_f64_e32 v22, v[22:23]
	v_frexp_mant_f32_e32 v23, v25
	s_delay_alu instid0(VALU_DEP_1) | instskip(SKIP_1) | instid1(VALU_DEP_1)
	v_cmp_gt_f32_e64 s1, 0x3f2aaaab, v23
	v_add_f32_e32 v23, -1.0, v25
	v_sub_f32_e32 v27, v23, v25
	v_sub_f32_e32 v23, v24, v23
	s_delay_alu instid0(VALU_DEP_4) | instskip(SKIP_1) | instid1(VALU_DEP_1)
	v_subrev_co_ci_u32_e64 v22, s1, 0, v22, s1
	s_mov_b32 s1, 0x3e9b6dac
	v_sub_nc_u32_e32 v26, 0, v22
	v_cvt_f32_i32_e32 v22, v22
	s_delay_alu instid0(VALU_DEP_2) | instskip(NEXT) | instid1(VALU_DEP_1)
	v_ldexp_f32 v25, v25, v26
	v_dual_add_f32 v28, 1.0, v25 :: v_dual_add_f32 v27, 1.0, v27
	s_delay_alu instid0(VALU_DEP_1) | instskip(NEXT) | instid1(VALU_DEP_2)
	v_add_f32_e32 v23, v23, v27
	v_add_f32_e32 v27, -1.0, v28
	s_delay_alu instid0(VALU_DEP_2) | instskip(NEXT) | instid1(VALU_DEP_2)
	v_ldexp_f32 v23, v23, v26
	v_dual_add_f32 v26, -1.0, v25 :: v_dual_sub_f32 v27, v25, v27
	s_delay_alu instid0(VALU_DEP_1) | instskip(NEXT) | instid1(VALU_DEP_2)
	v_add_f32_e32 v29, 1.0, v26
	v_add_f32_e32 v27, v23, v27
	s_delay_alu instid0(VALU_DEP_2) | instskip(NEXT) | instid1(VALU_DEP_2)
	v_sub_f32_e32 v25, v25, v29
	v_add_f32_e32 v29, v28, v27
	s_delay_alu instid0(VALU_DEP_2) | instskip(NEXT) | instid1(VALU_DEP_2)
	v_add_f32_e32 v23, v23, v25
	v_rcp_f32_e32 v25, v29
	v_sub_f32_e32 v28, v28, v29
	s_delay_alu instid0(VALU_DEP_1) | instskip(NEXT) | instid1(VALU_DEP_1)
	v_dual_add_f32 v30, v26, v23 :: v_dual_add_f32 v27, v27, v28
	v_sub_f32_e32 v26, v26, v30
	s_waitcnt_depctr 0xfff
	v_mul_f32_e32 v31, v30, v25
	s_delay_alu instid0(VALU_DEP_1) | instskip(NEXT) | instid1(VALU_DEP_1)
	v_dual_add_f32 v23, v23, v26 :: v_dual_mul_f32 v32, v29, v31
	v_fma_f32 v28, v31, v29, -v32
	s_delay_alu instid0(VALU_DEP_1) | instskip(NEXT) | instid1(VALU_DEP_1)
	v_fmac_f32_e32 v28, v31, v27
	v_add_f32_e32 v33, v32, v28
	s_delay_alu instid0(VALU_DEP_1) | instskip(SKIP_1) | instid1(VALU_DEP_2)
	v_sub_f32_e32 v34, v30, v33
	v_sub_f32_e32 v26, v33, v32
	;; [unrolled: 1-line block ×3, first 2 shown]
	s_delay_alu instid0(VALU_DEP_2) | instskip(NEXT) | instid1(VALU_DEP_2)
	v_sub_f32_e32 v26, v26, v28
	v_sub_f32_e32 v30, v30, v33
	s_delay_alu instid0(VALU_DEP_1) | instskip(NEXT) | instid1(VALU_DEP_1)
	v_add_f32_e32 v23, v23, v30
	v_add_f32_e32 v23, v26, v23
	s_delay_alu instid0(VALU_DEP_1) | instskip(NEXT) | instid1(VALU_DEP_1)
	v_add_f32_e32 v26, v34, v23
	v_mul_f32_e32 v28, v25, v26
	s_delay_alu instid0(VALU_DEP_1) | instskip(NEXT) | instid1(VALU_DEP_1)
	v_dual_sub_f32 v33, v34, v26 :: v_dual_mul_f32 v30, v29, v28
	v_add_f32_e32 v23, v23, v33
	s_delay_alu instid0(VALU_DEP_2) | instskip(NEXT) | instid1(VALU_DEP_1)
	v_fma_f32 v29, v28, v29, -v30
	v_fmac_f32_e32 v29, v28, v27
	s_delay_alu instid0(VALU_DEP_1) | instskip(NEXT) | instid1(VALU_DEP_1)
	v_add_f32_e32 v27, v30, v29
	v_sub_f32_e32 v32, v26, v27
	v_sub_f32_e32 v30, v27, v30
	s_delay_alu instid0(VALU_DEP_2) | instskip(NEXT) | instid1(VALU_DEP_1)
	v_sub_f32_e32 v26, v26, v32
	v_sub_f32_e32 v26, v26, v27
	s_delay_alu instid0(VALU_DEP_3) | instskip(NEXT) | instid1(VALU_DEP_2)
	v_sub_f32_e32 v27, v30, v29
	v_add_f32_e32 v23, v23, v26
	v_add_f32_e32 v26, v31, v28
	s_delay_alu instid0(VALU_DEP_2) | instskip(NEXT) | instid1(VALU_DEP_2)
	v_add_f32_e32 v23, v27, v23
	v_sub_f32_e32 v27, v26, v31
	s_delay_alu instid0(VALU_DEP_2) | instskip(NEXT) | instid1(VALU_DEP_2)
	v_add_f32_e32 v23, v32, v23
	v_sub_f32_e32 v27, v28, v27
	s_delay_alu instid0(VALU_DEP_2) | instskip(NEXT) | instid1(VALU_DEP_1)
	v_mul_f32_e32 v23, v25, v23
	v_add_f32_e32 v23, v27, v23
	s_delay_alu instid0(VALU_DEP_1) | instskip(NEXT) | instid1(VALU_DEP_1)
	v_add_f32_e32 v25, v26, v23
	v_mul_f32_e32 v27, v25, v25
	s_delay_alu instid0(VALU_DEP_1) | instskip(SKIP_2) | instid1(VALU_DEP_3)
	v_fmaak_f32 v28, s1, v27, 0x3ecc95a3
	v_mul_f32_e32 v29, v25, v27
	v_cmp_eq_f32_e64 s1, 0x7f800000, v24
	v_fmaak_f32 v27, v27, v28, 0x3f2aaada
	v_ldexp_f32 v28, v25, 1
	v_sub_f32_e32 v25, v25, v26
	s_delay_alu instid0(VALU_DEP_4) | instskip(NEXT) | instid1(VALU_DEP_3)
	s_or_b32 s1, s1, s13
	v_mul_f32_e32 v27, v29, v27
	v_mul_f32_e32 v29, 0x3f317218, v22
	s_delay_alu instid0(VALU_DEP_2) | instskip(NEXT) | instid1(VALU_DEP_1)
	v_dual_sub_f32 v23, v23, v25 :: v_dual_add_f32 v26, v28, v27
	v_ldexp_f32 v23, v23, 1
	s_delay_alu instid0(VALU_DEP_2) | instskip(NEXT) | instid1(VALU_DEP_4)
	v_sub_f32_e32 v25, v26, v28
	v_fma_f32 v28, 0x3f317218, v22, -v29
	s_delay_alu instid0(VALU_DEP_1) | instskip(NEXT) | instid1(VALU_DEP_1)
	v_dual_sub_f32 v25, v27, v25 :: v_dual_fmamk_f32 v22, v22, 0xb102e308, v28
	v_add_f32_e32 v23, v23, v25
	s_delay_alu instid0(VALU_DEP_2) | instskip(NEXT) | instid1(VALU_DEP_2)
	v_add_f32_e32 v25, v29, v22
	v_add_f32_e32 v27, v26, v23
	s_delay_alu instid0(VALU_DEP_2) | instskip(NEXT) | instid1(VALU_DEP_2)
	v_sub_f32_e32 v29, v25, v29
	v_add_f32_e32 v28, v25, v27
	v_sub_f32_e32 v26, v27, v26
	s_delay_alu instid0(VALU_DEP_3) | instskip(NEXT) | instid1(VALU_DEP_2)
	v_sub_f32_e32 v22, v22, v29
	v_dual_sub_f32 v30, v28, v25 :: v_dual_sub_f32 v23, v23, v26
	s_delay_alu instid0(VALU_DEP_1) | instskip(NEXT) | instid1(VALU_DEP_2)
	v_sub_f32_e32 v31, v28, v30
	v_dual_sub_f32 v26, v27, v30 :: v_dual_add_f32 v27, v22, v23
	s_delay_alu instid0(VALU_DEP_2) | instskip(NEXT) | instid1(VALU_DEP_1)
	v_sub_f32_e32 v25, v25, v31
	v_dual_add_f32 v25, v26, v25 :: v_dual_sub_f32 v26, v27, v22
	s_delay_alu instid0(VALU_DEP_1) | instskip(NEXT) | instid1(VALU_DEP_2)
	v_add_f32_e32 v25, v27, v25
	v_sub_f32_e32 v27, v27, v26
	v_sub_f32_e32 v23, v23, v26
	s_delay_alu instid0(VALU_DEP_2) | instskip(NEXT) | instid1(VALU_DEP_1)
	v_dual_add_f32 v29, v28, v25 :: v_dual_sub_f32 v22, v22, v27
	v_sub_f32_e32 v26, v29, v28
	s_delay_alu instid0(VALU_DEP_2) | instskip(NEXT) | instid1(VALU_DEP_2)
	v_add_f32_e32 v22, v23, v22
	v_sub_f32_e32 v23, v25, v26
	s_delay_alu instid0(VALU_DEP_1) | instskip(NEXT) | instid1(VALU_DEP_1)
	v_add_f32_e32 v22, v22, v23
	v_add_f32_e32 v22, v29, v22
	s_delay_alu instid0(VALU_DEP_1) | instskip(NEXT) | instid1(VALU_DEP_1)
	v_cndmask_b32_e64 v22, v22, v24, s1
	v_add_f32_e32 v23, v6, v22
.LBB135_23:
	s_or_b32 exec_lo, exec_lo, s12
	ds_load_b32 v6, v20 offset:20
	v_max_f32_e32 v22, v23, v23
	v_cmp_u_f32_e64 s1, v23, v23
	s_waitcnt lgkmcnt(0)
	v_max_f32_e32 v24, v6, v6
	s_delay_alu instid0(VALU_DEP_1) | instskip(SKIP_1) | instid1(VALU_DEP_2)
	v_min_f32_e32 v25, v22, v24
	v_max_f32_e32 v22, v22, v24
	v_cndmask_b32_e64 v24, v25, v23, s1
	s_delay_alu instid0(VALU_DEP_2) | instskip(SKIP_1) | instid1(VALU_DEP_1)
	v_cndmask_b32_e64 v25, v22, v23, s1
	v_cmp_u_f32_e64 s1, v6, v6
	v_cndmask_b32_e64 v22, v24, v6, s1
	s_delay_alu instid0(VALU_DEP_3) | instskip(NEXT) | instid1(VALU_DEP_2)
	v_cndmask_b32_e64 v6, v25, v6, s1
	v_cmp_class_f32_e64 s12, v22, 0x1f8
	s_delay_alu instid0(VALU_DEP_2) | instskip(NEXT) | instid1(VALU_DEP_1)
	v_cmp_neq_f32_e64 s1, v22, v6
	s_or_b32 s1, s1, s12
	s_delay_alu instid0(SALU_CYCLE_1)
	s_and_saveexec_b32 s12, s1
	s_cbranch_execz .LBB135_25
; %bb.24:
	v_sub_f32_e32 v22, v22, v6
	s_delay_alu instid0(VALU_DEP_1) | instskip(NEXT) | instid1(VALU_DEP_1)
	v_mul_f32_e32 v23, 0x3fb8aa3b, v22
	v_fma_f32 v24, 0x3fb8aa3b, v22, -v23
	v_rndne_f32_e32 v25, v23
	s_delay_alu instid0(VALU_DEP_1) | instskip(SKIP_1) | instid1(VALU_DEP_2)
	v_dual_sub_f32 v23, v23, v25 :: v_dual_fmamk_f32 v24, v22, 0x32a5705f, v24
	v_cmp_ngt_f32_e64 s1, 0xc2ce8ed0, v22
	v_add_f32_e32 v23, v23, v24
	v_cvt_i32_f32_e32 v24, v25
	s_delay_alu instid0(VALU_DEP_2) | instskip(SKIP_2) | instid1(VALU_DEP_1)
	v_exp_f32_e32 v23, v23
	s_waitcnt_depctr 0xfff
	v_ldexp_f32 v23, v23, v24
	v_cndmask_b32_e64 v23, 0, v23, s1
	v_cmp_nlt_f32_e64 s1, 0x42b17218, v22
	s_delay_alu instid0(VALU_DEP_1) | instskip(NEXT) | instid1(VALU_DEP_1)
	v_cndmask_b32_e64 v24, 0x7f800000, v23, s1
	v_add_f32_e32 v25, 1.0, v24
	v_cmp_gt_f32_e64 s13, 0x33800000, |v24|
	s_delay_alu instid0(VALU_DEP_2) | instskip(NEXT) | instid1(VALU_DEP_1)
	v_cvt_f64_f32_e32 v[22:23], v25
	v_frexp_exp_i32_f64_e32 v22, v[22:23]
	v_frexp_mant_f32_e32 v23, v25
	s_delay_alu instid0(VALU_DEP_1) | instskip(SKIP_1) | instid1(VALU_DEP_1)
	v_cmp_gt_f32_e64 s1, 0x3f2aaaab, v23
	v_add_f32_e32 v23, -1.0, v25
	v_sub_f32_e32 v27, v23, v25
	v_sub_f32_e32 v23, v24, v23
	s_delay_alu instid0(VALU_DEP_4) | instskip(SKIP_1) | instid1(VALU_DEP_1)
	v_subrev_co_ci_u32_e64 v22, s1, 0, v22, s1
	s_mov_b32 s1, 0x3e9b6dac
	v_sub_nc_u32_e32 v26, 0, v22
	v_cvt_f32_i32_e32 v22, v22
	s_delay_alu instid0(VALU_DEP_2) | instskip(NEXT) | instid1(VALU_DEP_1)
	v_ldexp_f32 v25, v25, v26
	v_dual_add_f32 v28, 1.0, v25 :: v_dual_add_f32 v27, 1.0, v27
	s_delay_alu instid0(VALU_DEP_1) | instskip(NEXT) | instid1(VALU_DEP_2)
	v_add_f32_e32 v23, v23, v27
	v_add_f32_e32 v27, -1.0, v28
	s_delay_alu instid0(VALU_DEP_2) | instskip(NEXT) | instid1(VALU_DEP_2)
	v_ldexp_f32 v23, v23, v26
	v_dual_add_f32 v26, -1.0, v25 :: v_dual_sub_f32 v27, v25, v27
	s_delay_alu instid0(VALU_DEP_1) | instskip(NEXT) | instid1(VALU_DEP_2)
	v_add_f32_e32 v29, 1.0, v26
	v_add_f32_e32 v27, v23, v27
	s_delay_alu instid0(VALU_DEP_2) | instskip(NEXT) | instid1(VALU_DEP_2)
	v_sub_f32_e32 v25, v25, v29
	v_add_f32_e32 v29, v28, v27
	s_delay_alu instid0(VALU_DEP_2) | instskip(NEXT) | instid1(VALU_DEP_2)
	v_add_f32_e32 v23, v23, v25
	v_rcp_f32_e32 v25, v29
	v_sub_f32_e32 v28, v28, v29
	s_delay_alu instid0(VALU_DEP_1) | instskip(NEXT) | instid1(VALU_DEP_1)
	v_dual_add_f32 v30, v26, v23 :: v_dual_add_f32 v27, v27, v28
	v_sub_f32_e32 v26, v26, v30
	s_waitcnt_depctr 0xfff
	v_mul_f32_e32 v31, v30, v25
	s_delay_alu instid0(VALU_DEP_1) | instskip(NEXT) | instid1(VALU_DEP_1)
	v_dual_add_f32 v23, v23, v26 :: v_dual_mul_f32 v32, v29, v31
	v_fma_f32 v28, v31, v29, -v32
	s_delay_alu instid0(VALU_DEP_1) | instskip(NEXT) | instid1(VALU_DEP_1)
	v_fmac_f32_e32 v28, v31, v27
	v_add_f32_e32 v33, v32, v28
	s_delay_alu instid0(VALU_DEP_1) | instskip(SKIP_1) | instid1(VALU_DEP_2)
	v_sub_f32_e32 v34, v30, v33
	v_sub_f32_e32 v26, v33, v32
	v_sub_f32_e32 v30, v30, v34
	s_delay_alu instid0(VALU_DEP_2) | instskip(NEXT) | instid1(VALU_DEP_2)
	v_sub_f32_e32 v26, v26, v28
	v_sub_f32_e32 v30, v30, v33
	s_delay_alu instid0(VALU_DEP_1) | instskip(NEXT) | instid1(VALU_DEP_1)
	v_add_f32_e32 v23, v23, v30
	v_add_f32_e32 v23, v26, v23
	s_delay_alu instid0(VALU_DEP_1) | instskip(NEXT) | instid1(VALU_DEP_1)
	v_add_f32_e32 v26, v34, v23
	v_mul_f32_e32 v28, v25, v26
	s_delay_alu instid0(VALU_DEP_1) | instskip(NEXT) | instid1(VALU_DEP_1)
	v_dual_sub_f32 v33, v34, v26 :: v_dual_mul_f32 v30, v29, v28
	v_add_f32_e32 v23, v23, v33
	s_delay_alu instid0(VALU_DEP_2) | instskip(NEXT) | instid1(VALU_DEP_1)
	v_fma_f32 v29, v28, v29, -v30
	v_fmac_f32_e32 v29, v28, v27
	s_delay_alu instid0(VALU_DEP_1) | instskip(NEXT) | instid1(VALU_DEP_1)
	v_add_f32_e32 v27, v30, v29
	v_sub_f32_e32 v32, v26, v27
	v_sub_f32_e32 v30, v27, v30
	s_delay_alu instid0(VALU_DEP_2) | instskip(NEXT) | instid1(VALU_DEP_1)
	v_sub_f32_e32 v26, v26, v32
	v_sub_f32_e32 v26, v26, v27
	s_delay_alu instid0(VALU_DEP_3) | instskip(NEXT) | instid1(VALU_DEP_2)
	v_sub_f32_e32 v27, v30, v29
	v_add_f32_e32 v23, v23, v26
	v_add_f32_e32 v26, v31, v28
	s_delay_alu instid0(VALU_DEP_2) | instskip(NEXT) | instid1(VALU_DEP_2)
	v_add_f32_e32 v23, v27, v23
	v_sub_f32_e32 v27, v26, v31
	s_delay_alu instid0(VALU_DEP_2) | instskip(NEXT) | instid1(VALU_DEP_2)
	v_add_f32_e32 v23, v32, v23
	v_sub_f32_e32 v27, v28, v27
	s_delay_alu instid0(VALU_DEP_2) | instskip(NEXT) | instid1(VALU_DEP_1)
	v_mul_f32_e32 v23, v25, v23
	v_add_f32_e32 v23, v27, v23
	s_delay_alu instid0(VALU_DEP_1) | instskip(NEXT) | instid1(VALU_DEP_1)
	v_add_f32_e32 v25, v26, v23
	v_mul_f32_e32 v27, v25, v25
	s_delay_alu instid0(VALU_DEP_1) | instskip(SKIP_2) | instid1(VALU_DEP_3)
	v_fmaak_f32 v28, s1, v27, 0x3ecc95a3
	v_mul_f32_e32 v29, v25, v27
	v_cmp_eq_f32_e64 s1, 0x7f800000, v24
	v_fmaak_f32 v27, v27, v28, 0x3f2aaada
	v_ldexp_f32 v28, v25, 1
	v_sub_f32_e32 v25, v25, v26
	s_delay_alu instid0(VALU_DEP_4) | instskip(NEXT) | instid1(VALU_DEP_3)
	s_or_b32 s1, s1, s13
	v_mul_f32_e32 v27, v29, v27
	v_mul_f32_e32 v29, 0x3f317218, v22
	s_delay_alu instid0(VALU_DEP_2) | instskip(NEXT) | instid1(VALU_DEP_1)
	v_dual_sub_f32 v23, v23, v25 :: v_dual_add_f32 v26, v28, v27
	v_ldexp_f32 v23, v23, 1
	s_delay_alu instid0(VALU_DEP_2) | instskip(NEXT) | instid1(VALU_DEP_4)
	v_sub_f32_e32 v25, v26, v28
	v_fma_f32 v28, 0x3f317218, v22, -v29
	s_delay_alu instid0(VALU_DEP_1) | instskip(NEXT) | instid1(VALU_DEP_1)
	v_dual_sub_f32 v25, v27, v25 :: v_dual_fmamk_f32 v22, v22, 0xb102e308, v28
	v_add_f32_e32 v23, v23, v25
	s_delay_alu instid0(VALU_DEP_2) | instskip(NEXT) | instid1(VALU_DEP_2)
	v_add_f32_e32 v25, v29, v22
	v_add_f32_e32 v27, v26, v23
	s_delay_alu instid0(VALU_DEP_2) | instskip(NEXT) | instid1(VALU_DEP_2)
	v_sub_f32_e32 v29, v25, v29
	v_add_f32_e32 v28, v25, v27
	v_sub_f32_e32 v26, v27, v26
	s_delay_alu instid0(VALU_DEP_3) | instskip(NEXT) | instid1(VALU_DEP_2)
	v_sub_f32_e32 v22, v22, v29
	v_dual_sub_f32 v30, v28, v25 :: v_dual_sub_f32 v23, v23, v26
	s_delay_alu instid0(VALU_DEP_1) | instskip(NEXT) | instid1(VALU_DEP_2)
	v_sub_f32_e32 v31, v28, v30
	v_dual_sub_f32 v26, v27, v30 :: v_dual_add_f32 v27, v22, v23
	s_delay_alu instid0(VALU_DEP_2) | instskip(NEXT) | instid1(VALU_DEP_1)
	v_sub_f32_e32 v25, v25, v31
	v_dual_add_f32 v25, v26, v25 :: v_dual_sub_f32 v26, v27, v22
	s_delay_alu instid0(VALU_DEP_1) | instskip(NEXT) | instid1(VALU_DEP_2)
	v_add_f32_e32 v25, v27, v25
	v_sub_f32_e32 v27, v27, v26
	v_sub_f32_e32 v23, v23, v26
	s_delay_alu instid0(VALU_DEP_2) | instskip(NEXT) | instid1(VALU_DEP_1)
	v_dual_add_f32 v29, v28, v25 :: v_dual_sub_f32 v22, v22, v27
	v_sub_f32_e32 v26, v29, v28
	s_delay_alu instid0(VALU_DEP_2) | instskip(NEXT) | instid1(VALU_DEP_2)
	v_add_f32_e32 v22, v23, v22
	v_sub_f32_e32 v23, v25, v26
	s_delay_alu instid0(VALU_DEP_1) | instskip(NEXT) | instid1(VALU_DEP_1)
	v_add_f32_e32 v22, v22, v23
	v_add_f32_e32 v22, v29, v22
	s_delay_alu instid0(VALU_DEP_1) | instskip(NEXT) | instid1(VALU_DEP_1)
	v_cndmask_b32_e64 v22, v22, v24, s1
	v_add_f32_e32 v23, v6, v22
.LBB135_25:
	s_or_b32 exec_lo, exec_lo, s12
	ds_load_b32 v6, v20 offset:24
	v_max_f32_e32 v22, v23, v23
	v_cmp_u_f32_e64 s1, v23, v23
	s_waitcnt lgkmcnt(0)
	v_max_f32_e32 v24, v6, v6
	s_delay_alu instid0(VALU_DEP_1) | instskip(SKIP_1) | instid1(VALU_DEP_2)
	v_min_f32_e32 v25, v22, v24
	v_max_f32_e32 v22, v22, v24
	v_cndmask_b32_e64 v24, v25, v23, s1
	s_delay_alu instid0(VALU_DEP_2) | instskip(SKIP_1) | instid1(VALU_DEP_1)
	v_cndmask_b32_e64 v25, v22, v23, s1
	v_cmp_u_f32_e64 s1, v6, v6
	v_cndmask_b32_e64 v22, v24, v6, s1
	s_delay_alu instid0(VALU_DEP_3) | instskip(NEXT) | instid1(VALU_DEP_2)
	v_cndmask_b32_e64 v6, v25, v6, s1
	v_cmp_class_f32_e64 s12, v22, 0x1f8
	s_delay_alu instid0(VALU_DEP_2) | instskip(NEXT) | instid1(VALU_DEP_1)
	v_cmp_neq_f32_e64 s1, v22, v6
	s_or_b32 s1, s1, s12
	s_delay_alu instid0(SALU_CYCLE_1)
	s_and_saveexec_b32 s12, s1
	s_cbranch_execz .LBB135_27
; %bb.26:
	v_sub_f32_e32 v22, v22, v6
	s_delay_alu instid0(VALU_DEP_1) | instskip(NEXT) | instid1(VALU_DEP_1)
	v_mul_f32_e32 v23, 0x3fb8aa3b, v22
	v_fma_f32 v24, 0x3fb8aa3b, v22, -v23
	v_rndne_f32_e32 v25, v23
	s_delay_alu instid0(VALU_DEP_1) | instskip(SKIP_1) | instid1(VALU_DEP_2)
	v_dual_sub_f32 v23, v23, v25 :: v_dual_fmamk_f32 v24, v22, 0x32a5705f, v24
	v_cmp_ngt_f32_e64 s1, 0xc2ce8ed0, v22
	v_add_f32_e32 v23, v23, v24
	v_cvt_i32_f32_e32 v24, v25
	s_delay_alu instid0(VALU_DEP_2) | instskip(SKIP_2) | instid1(VALU_DEP_1)
	v_exp_f32_e32 v23, v23
	s_waitcnt_depctr 0xfff
	v_ldexp_f32 v23, v23, v24
	v_cndmask_b32_e64 v23, 0, v23, s1
	v_cmp_nlt_f32_e64 s1, 0x42b17218, v22
	s_delay_alu instid0(VALU_DEP_1) | instskip(NEXT) | instid1(VALU_DEP_1)
	v_cndmask_b32_e64 v24, 0x7f800000, v23, s1
	v_add_f32_e32 v25, 1.0, v24
	v_cmp_gt_f32_e64 s13, 0x33800000, |v24|
	s_delay_alu instid0(VALU_DEP_2) | instskip(NEXT) | instid1(VALU_DEP_1)
	v_cvt_f64_f32_e32 v[22:23], v25
	v_frexp_exp_i32_f64_e32 v22, v[22:23]
	v_frexp_mant_f32_e32 v23, v25
	s_delay_alu instid0(VALU_DEP_1) | instskip(SKIP_1) | instid1(VALU_DEP_1)
	v_cmp_gt_f32_e64 s1, 0x3f2aaaab, v23
	v_add_f32_e32 v23, -1.0, v25
	v_sub_f32_e32 v27, v23, v25
	v_sub_f32_e32 v23, v24, v23
	s_delay_alu instid0(VALU_DEP_4) | instskip(SKIP_1) | instid1(VALU_DEP_1)
	v_subrev_co_ci_u32_e64 v22, s1, 0, v22, s1
	s_mov_b32 s1, 0x3e9b6dac
	v_sub_nc_u32_e32 v26, 0, v22
	v_cvt_f32_i32_e32 v22, v22
	s_delay_alu instid0(VALU_DEP_2) | instskip(NEXT) | instid1(VALU_DEP_1)
	v_ldexp_f32 v25, v25, v26
	v_dual_add_f32 v28, 1.0, v25 :: v_dual_add_f32 v27, 1.0, v27
	s_delay_alu instid0(VALU_DEP_1) | instskip(NEXT) | instid1(VALU_DEP_2)
	v_add_f32_e32 v23, v23, v27
	v_add_f32_e32 v27, -1.0, v28
	s_delay_alu instid0(VALU_DEP_2) | instskip(NEXT) | instid1(VALU_DEP_2)
	v_ldexp_f32 v23, v23, v26
	v_dual_add_f32 v26, -1.0, v25 :: v_dual_sub_f32 v27, v25, v27
	s_delay_alu instid0(VALU_DEP_1) | instskip(NEXT) | instid1(VALU_DEP_2)
	v_add_f32_e32 v29, 1.0, v26
	v_add_f32_e32 v27, v23, v27
	s_delay_alu instid0(VALU_DEP_2) | instskip(NEXT) | instid1(VALU_DEP_2)
	v_sub_f32_e32 v25, v25, v29
	v_add_f32_e32 v29, v28, v27
	s_delay_alu instid0(VALU_DEP_2) | instskip(NEXT) | instid1(VALU_DEP_2)
	v_add_f32_e32 v23, v23, v25
	v_rcp_f32_e32 v25, v29
	v_sub_f32_e32 v28, v28, v29
	s_delay_alu instid0(VALU_DEP_1) | instskip(NEXT) | instid1(VALU_DEP_1)
	v_dual_add_f32 v30, v26, v23 :: v_dual_add_f32 v27, v27, v28
	v_sub_f32_e32 v26, v26, v30
	s_waitcnt_depctr 0xfff
	v_mul_f32_e32 v31, v30, v25
	s_delay_alu instid0(VALU_DEP_1) | instskip(NEXT) | instid1(VALU_DEP_1)
	v_dual_add_f32 v23, v23, v26 :: v_dual_mul_f32 v32, v29, v31
	v_fma_f32 v28, v31, v29, -v32
	s_delay_alu instid0(VALU_DEP_1) | instskip(NEXT) | instid1(VALU_DEP_1)
	v_fmac_f32_e32 v28, v31, v27
	v_add_f32_e32 v33, v32, v28
	s_delay_alu instid0(VALU_DEP_1) | instskip(SKIP_1) | instid1(VALU_DEP_2)
	v_sub_f32_e32 v34, v30, v33
	v_sub_f32_e32 v26, v33, v32
	v_sub_f32_e32 v30, v30, v34
	s_delay_alu instid0(VALU_DEP_2) | instskip(NEXT) | instid1(VALU_DEP_2)
	v_sub_f32_e32 v26, v26, v28
	v_sub_f32_e32 v30, v30, v33
	s_delay_alu instid0(VALU_DEP_1) | instskip(NEXT) | instid1(VALU_DEP_1)
	v_add_f32_e32 v23, v23, v30
	v_add_f32_e32 v23, v26, v23
	s_delay_alu instid0(VALU_DEP_1) | instskip(NEXT) | instid1(VALU_DEP_1)
	v_add_f32_e32 v26, v34, v23
	v_mul_f32_e32 v28, v25, v26
	s_delay_alu instid0(VALU_DEP_1) | instskip(NEXT) | instid1(VALU_DEP_1)
	v_dual_sub_f32 v33, v34, v26 :: v_dual_mul_f32 v30, v29, v28
	v_add_f32_e32 v23, v23, v33
	s_delay_alu instid0(VALU_DEP_2) | instskip(NEXT) | instid1(VALU_DEP_1)
	v_fma_f32 v29, v28, v29, -v30
	v_fmac_f32_e32 v29, v28, v27
	s_delay_alu instid0(VALU_DEP_1) | instskip(NEXT) | instid1(VALU_DEP_1)
	v_add_f32_e32 v27, v30, v29
	v_sub_f32_e32 v32, v26, v27
	v_sub_f32_e32 v30, v27, v30
	s_delay_alu instid0(VALU_DEP_2) | instskip(NEXT) | instid1(VALU_DEP_1)
	v_sub_f32_e32 v26, v26, v32
	v_sub_f32_e32 v26, v26, v27
	s_delay_alu instid0(VALU_DEP_3) | instskip(NEXT) | instid1(VALU_DEP_2)
	v_sub_f32_e32 v27, v30, v29
	v_add_f32_e32 v23, v23, v26
	v_add_f32_e32 v26, v31, v28
	s_delay_alu instid0(VALU_DEP_2) | instskip(NEXT) | instid1(VALU_DEP_2)
	v_add_f32_e32 v23, v27, v23
	v_sub_f32_e32 v27, v26, v31
	s_delay_alu instid0(VALU_DEP_2) | instskip(NEXT) | instid1(VALU_DEP_2)
	v_add_f32_e32 v23, v32, v23
	v_sub_f32_e32 v27, v28, v27
	s_delay_alu instid0(VALU_DEP_2) | instskip(NEXT) | instid1(VALU_DEP_1)
	v_mul_f32_e32 v23, v25, v23
	v_add_f32_e32 v23, v27, v23
	s_delay_alu instid0(VALU_DEP_1) | instskip(NEXT) | instid1(VALU_DEP_1)
	v_add_f32_e32 v25, v26, v23
	v_mul_f32_e32 v27, v25, v25
	s_delay_alu instid0(VALU_DEP_1) | instskip(SKIP_2) | instid1(VALU_DEP_3)
	v_fmaak_f32 v28, s1, v27, 0x3ecc95a3
	v_mul_f32_e32 v29, v25, v27
	v_cmp_eq_f32_e64 s1, 0x7f800000, v24
	v_fmaak_f32 v27, v27, v28, 0x3f2aaada
	v_ldexp_f32 v28, v25, 1
	v_sub_f32_e32 v25, v25, v26
	s_delay_alu instid0(VALU_DEP_4) | instskip(NEXT) | instid1(VALU_DEP_3)
	s_or_b32 s1, s1, s13
	v_mul_f32_e32 v27, v29, v27
	v_mul_f32_e32 v29, 0x3f317218, v22
	s_delay_alu instid0(VALU_DEP_2) | instskip(NEXT) | instid1(VALU_DEP_1)
	v_dual_sub_f32 v23, v23, v25 :: v_dual_add_f32 v26, v28, v27
	v_ldexp_f32 v23, v23, 1
	s_delay_alu instid0(VALU_DEP_2) | instskip(NEXT) | instid1(VALU_DEP_4)
	v_sub_f32_e32 v25, v26, v28
	v_fma_f32 v28, 0x3f317218, v22, -v29
	s_delay_alu instid0(VALU_DEP_1) | instskip(NEXT) | instid1(VALU_DEP_1)
	v_dual_sub_f32 v25, v27, v25 :: v_dual_fmamk_f32 v22, v22, 0xb102e308, v28
	v_add_f32_e32 v23, v23, v25
	s_delay_alu instid0(VALU_DEP_2) | instskip(NEXT) | instid1(VALU_DEP_2)
	v_add_f32_e32 v25, v29, v22
	v_add_f32_e32 v27, v26, v23
	s_delay_alu instid0(VALU_DEP_2) | instskip(NEXT) | instid1(VALU_DEP_2)
	v_sub_f32_e32 v29, v25, v29
	v_add_f32_e32 v28, v25, v27
	v_sub_f32_e32 v26, v27, v26
	s_delay_alu instid0(VALU_DEP_3) | instskip(NEXT) | instid1(VALU_DEP_2)
	v_sub_f32_e32 v22, v22, v29
	v_dual_sub_f32 v30, v28, v25 :: v_dual_sub_f32 v23, v23, v26
	s_delay_alu instid0(VALU_DEP_1) | instskip(NEXT) | instid1(VALU_DEP_2)
	v_sub_f32_e32 v31, v28, v30
	v_dual_sub_f32 v26, v27, v30 :: v_dual_add_f32 v27, v22, v23
	s_delay_alu instid0(VALU_DEP_2) | instskip(NEXT) | instid1(VALU_DEP_1)
	v_sub_f32_e32 v25, v25, v31
	v_dual_add_f32 v25, v26, v25 :: v_dual_sub_f32 v26, v27, v22
	s_delay_alu instid0(VALU_DEP_1) | instskip(NEXT) | instid1(VALU_DEP_2)
	v_add_f32_e32 v25, v27, v25
	v_sub_f32_e32 v27, v27, v26
	v_sub_f32_e32 v23, v23, v26
	s_delay_alu instid0(VALU_DEP_2) | instskip(NEXT) | instid1(VALU_DEP_1)
	v_dual_add_f32 v29, v28, v25 :: v_dual_sub_f32 v22, v22, v27
	v_sub_f32_e32 v26, v29, v28
	s_delay_alu instid0(VALU_DEP_2) | instskip(NEXT) | instid1(VALU_DEP_2)
	v_add_f32_e32 v22, v23, v22
	v_sub_f32_e32 v23, v25, v26
	s_delay_alu instid0(VALU_DEP_1) | instskip(NEXT) | instid1(VALU_DEP_1)
	v_add_f32_e32 v22, v22, v23
	v_add_f32_e32 v22, v29, v22
	s_delay_alu instid0(VALU_DEP_1) | instskip(NEXT) | instid1(VALU_DEP_1)
	v_cndmask_b32_e64 v22, v22, v24, s1
	v_add_f32_e32 v23, v6, v22
.LBB135_27:
	s_or_b32 exec_lo, exec_lo, s12
	ds_load_b32 v6, v20 offset:28
	v_max_f32_e32 v22, v23, v23
	v_cmp_u_f32_e64 s1, v23, v23
	s_waitcnt lgkmcnt(0)
	v_max_f32_e32 v24, v6, v6
	s_delay_alu instid0(VALU_DEP_1) | instskip(SKIP_1) | instid1(VALU_DEP_2)
	v_min_f32_e32 v25, v22, v24
	v_max_f32_e32 v22, v22, v24
	v_cndmask_b32_e64 v24, v25, v23, s1
	s_delay_alu instid0(VALU_DEP_2) | instskip(SKIP_1) | instid1(VALU_DEP_1)
	v_cndmask_b32_e64 v25, v22, v23, s1
	v_cmp_u_f32_e64 s1, v6, v6
	v_cndmask_b32_e64 v22, v24, v6, s1
	s_delay_alu instid0(VALU_DEP_3) | instskip(NEXT) | instid1(VALU_DEP_2)
	v_cndmask_b32_e64 v6, v25, v6, s1
	v_cmp_class_f32_e64 s12, v22, 0x1f8
	s_delay_alu instid0(VALU_DEP_2) | instskip(NEXT) | instid1(VALU_DEP_1)
	v_cmp_neq_f32_e64 s1, v22, v6
	s_or_b32 s1, s1, s12
	s_delay_alu instid0(SALU_CYCLE_1)
	s_and_saveexec_b32 s12, s1
	s_cbranch_execz .LBB135_29
; %bb.28:
	v_sub_f32_e32 v22, v22, v6
	s_delay_alu instid0(VALU_DEP_1) | instskip(NEXT) | instid1(VALU_DEP_1)
	v_mul_f32_e32 v23, 0x3fb8aa3b, v22
	v_fma_f32 v24, 0x3fb8aa3b, v22, -v23
	v_rndne_f32_e32 v25, v23
	s_delay_alu instid0(VALU_DEP_1) | instskip(SKIP_1) | instid1(VALU_DEP_2)
	v_dual_sub_f32 v23, v23, v25 :: v_dual_fmamk_f32 v24, v22, 0x32a5705f, v24
	v_cmp_ngt_f32_e64 s1, 0xc2ce8ed0, v22
	v_add_f32_e32 v23, v23, v24
	v_cvt_i32_f32_e32 v24, v25
	s_delay_alu instid0(VALU_DEP_2) | instskip(SKIP_2) | instid1(VALU_DEP_1)
	v_exp_f32_e32 v23, v23
	s_waitcnt_depctr 0xfff
	v_ldexp_f32 v23, v23, v24
	v_cndmask_b32_e64 v23, 0, v23, s1
	v_cmp_nlt_f32_e64 s1, 0x42b17218, v22
	s_delay_alu instid0(VALU_DEP_1) | instskip(NEXT) | instid1(VALU_DEP_1)
	v_cndmask_b32_e64 v24, 0x7f800000, v23, s1
	v_add_f32_e32 v25, 1.0, v24
	v_cmp_gt_f32_e64 s13, 0x33800000, |v24|
	s_delay_alu instid0(VALU_DEP_2) | instskip(NEXT) | instid1(VALU_DEP_1)
	v_cvt_f64_f32_e32 v[22:23], v25
	v_frexp_exp_i32_f64_e32 v22, v[22:23]
	v_frexp_mant_f32_e32 v23, v25
	s_delay_alu instid0(VALU_DEP_1) | instskip(SKIP_1) | instid1(VALU_DEP_1)
	v_cmp_gt_f32_e64 s1, 0x3f2aaaab, v23
	v_add_f32_e32 v23, -1.0, v25
	v_sub_f32_e32 v27, v23, v25
	v_sub_f32_e32 v23, v24, v23
	s_delay_alu instid0(VALU_DEP_4) | instskip(SKIP_1) | instid1(VALU_DEP_1)
	v_subrev_co_ci_u32_e64 v22, s1, 0, v22, s1
	s_mov_b32 s1, 0x3e9b6dac
	v_sub_nc_u32_e32 v26, 0, v22
	v_cvt_f32_i32_e32 v22, v22
	s_delay_alu instid0(VALU_DEP_2) | instskip(NEXT) | instid1(VALU_DEP_1)
	v_ldexp_f32 v25, v25, v26
	v_dual_add_f32 v28, 1.0, v25 :: v_dual_add_f32 v27, 1.0, v27
	s_delay_alu instid0(VALU_DEP_1) | instskip(NEXT) | instid1(VALU_DEP_2)
	v_add_f32_e32 v23, v23, v27
	v_add_f32_e32 v27, -1.0, v28
	s_delay_alu instid0(VALU_DEP_2) | instskip(NEXT) | instid1(VALU_DEP_2)
	v_ldexp_f32 v23, v23, v26
	v_dual_add_f32 v26, -1.0, v25 :: v_dual_sub_f32 v27, v25, v27
	s_delay_alu instid0(VALU_DEP_1) | instskip(NEXT) | instid1(VALU_DEP_2)
	v_add_f32_e32 v29, 1.0, v26
	v_add_f32_e32 v27, v23, v27
	s_delay_alu instid0(VALU_DEP_2) | instskip(NEXT) | instid1(VALU_DEP_2)
	v_sub_f32_e32 v25, v25, v29
	v_add_f32_e32 v29, v28, v27
	s_delay_alu instid0(VALU_DEP_2) | instskip(NEXT) | instid1(VALU_DEP_2)
	v_add_f32_e32 v23, v23, v25
	v_rcp_f32_e32 v25, v29
	v_sub_f32_e32 v28, v28, v29
	s_delay_alu instid0(VALU_DEP_1) | instskip(NEXT) | instid1(VALU_DEP_1)
	v_dual_add_f32 v30, v26, v23 :: v_dual_add_f32 v27, v27, v28
	v_sub_f32_e32 v26, v26, v30
	s_waitcnt_depctr 0xfff
	v_mul_f32_e32 v31, v30, v25
	s_delay_alu instid0(VALU_DEP_1) | instskip(NEXT) | instid1(VALU_DEP_1)
	v_dual_add_f32 v23, v23, v26 :: v_dual_mul_f32 v32, v29, v31
	v_fma_f32 v28, v31, v29, -v32
	s_delay_alu instid0(VALU_DEP_1) | instskip(NEXT) | instid1(VALU_DEP_1)
	v_fmac_f32_e32 v28, v31, v27
	v_add_f32_e32 v33, v32, v28
	s_delay_alu instid0(VALU_DEP_1) | instskip(SKIP_1) | instid1(VALU_DEP_2)
	v_sub_f32_e32 v34, v30, v33
	v_sub_f32_e32 v26, v33, v32
	;; [unrolled: 1-line block ×3, first 2 shown]
	s_delay_alu instid0(VALU_DEP_2) | instskip(NEXT) | instid1(VALU_DEP_2)
	v_sub_f32_e32 v26, v26, v28
	v_sub_f32_e32 v30, v30, v33
	s_delay_alu instid0(VALU_DEP_1) | instskip(NEXT) | instid1(VALU_DEP_1)
	v_add_f32_e32 v23, v23, v30
	v_add_f32_e32 v23, v26, v23
	s_delay_alu instid0(VALU_DEP_1) | instskip(NEXT) | instid1(VALU_DEP_1)
	v_add_f32_e32 v26, v34, v23
	v_mul_f32_e32 v28, v25, v26
	s_delay_alu instid0(VALU_DEP_1) | instskip(NEXT) | instid1(VALU_DEP_1)
	v_dual_sub_f32 v33, v34, v26 :: v_dual_mul_f32 v30, v29, v28
	v_add_f32_e32 v23, v23, v33
	s_delay_alu instid0(VALU_DEP_2) | instskip(NEXT) | instid1(VALU_DEP_1)
	v_fma_f32 v29, v28, v29, -v30
	v_fmac_f32_e32 v29, v28, v27
	s_delay_alu instid0(VALU_DEP_1) | instskip(NEXT) | instid1(VALU_DEP_1)
	v_add_f32_e32 v27, v30, v29
	v_sub_f32_e32 v32, v26, v27
	v_sub_f32_e32 v30, v27, v30
	s_delay_alu instid0(VALU_DEP_2) | instskip(NEXT) | instid1(VALU_DEP_1)
	v_sub_f32_e32 v26, v26, v32
	v_sub_f32_e32 v26, v26, v27
	s_delay_alu instid0(VALU_DEP_3) | instskip(NEXT) | instid1(VALU_DEP_2)
	v_sub_f32_e32 v27, v30, v29
	v_add_f32_e32 v23, v23, v26
	v_add_f32_e32 v26, v31, v28
	s_delay_alu instid0(VALU_DEP_2) | instskip(NEXT) | instid1(VALU_DEP_2)
	v_add_f32_e32 v23, v27, v23
	v_sub_f32_e32 v27, v26, v31
	s_delay_alu instid0(VALU_DEP_2) | instskip(NEXT) | instid1(VALU_DEP_2)
	v_add_f32_e32 v23, v32, v23
	v_sub_f32_e32 v27, v28, v27
	s_delay_alu instid0(VALU_DEP_2) | instskip(NEXT) | instid1(VALU_DEP_1)
	v_mul_f32_e32 v23, v25, v23
	v_add_f32_e32 v23, v27, v23
	s_delay_alu instid0(VALU_DEP_1) | instskip(NEXT) | instid1(VALU_DEP_1)
	v_add_f32_e32 v25, v26, v23
	v_mul_f32_e32 v27, v25, v25
	s_delay_alu instid0(VALU_DEP_1) | instskip(SKIP_2) | instid1(VALU_DEP_3)
	v_fmaak_f32 v28, s1, v27, 0x3ecc95a3
	v_mul_f32_e32 v29, v25, v27
	v_cmp_eq_f32_e64 s1, 0x7f800000, v24
	v_fmaak_f32 v27, v27, v28, 0x3f2aaada
	v_ldexp_f32 v28, v25, 1
	v_sub_f32_e32 v25, v25, v26
	s_delay_alu instid0(VALU_DEP_4) | instskip(NEXT) | instid1(VALU_DEP_3)
	s_or_b32 s1, s1, s13
	v_mul_f32_e32 v27, v29, v27
	v_mul_f32_e32 v29, 0x3f317218, v22
	s_delay_alu instid0(VALU_DEP_2) | instskip(NEXT) | instid1(VALU_DEP_1)
	v_dual_sub_f32 v23, v23, v25 :: v_dual_add_f32 v26, v28, v27
	v_ldexp_f32 v23, v23, 1
	s_delay_alu instid0(VALU_DEP_2) | instskip(NEXT) | instid1(VALU_DEP_4)
	v_sub_f32_e32 v25, v26, v28
	v_fma_f32 v28, 0x3f317218, v22, -v29
	s_delay_alu instid0(VALU_DEP_1) | instskip(NEXT) | instid1(VALU_DEP_1)
	v_dual_sub_f32 v25, v27, v25 :: v_dual_fmamk_f32 v22, v22, 0xb102e308, v28
	v_add_f32_e32 v23, v23, v25
	s_delay_alu instid0(VALU_DEP_2) | instskip(NEXT) | instid1(VALU_DEP_2)
	v_add_f32_e32 v25, v29, v22
	v_add_f32_e32 v27, v26, v23
	s_delay_alu instid0(VALU_DEP_2) | instskip(NEXT) | instid1(VALU_DEP_2)
	v_sub_f32_e32 v29, v25, v29
	v_add_f32_e32 v28, v25, v27
	v_sub_f32_e32 v26, v27, v26
	s_delay_alu instid0(VALU_DEP_3) | instskip(NEXT) | instid1(VALU_DEP_2)
	v_sub_f32_e32 v22, v22, v29
	v_dual_sub_f32 v30, v28, v25 :: v_dual_sub_f32 v23, v23, v26
	s_delay_alu instid0(VALU_DEP_1) | instskip(NEXT) | instid1(VALU_DEP_2)
	v_sub_f32_e32 v31, v28, v30
	v_dual_sub_f32 v26, v27, v30 :: v_dual_add_f32 v27, v22, v23
	s_delay_alu instid0(VALU_DEP_2) | instskip(NEXT) | instid1(VALU_DEP_1)
	v_sub_f32_e32 v25, v25, v31
	v_dual_add_f32 v25, v26, v25 :: v_dual_sub_f32 v26, v27, v22
	s_delay_alu instid0(VALU_DEP_1) | instskip(NEXT) | instid1(VALU_DEP_2)
	v_add_f32_e32 v25, v27, v25
	v_sub_f32_e32 v27, v27, v26
	v_sub_f32_e32 v23, v23, v26
	s_delay_alu instid0(VALU_DEP_2) | instskip(NEXT) | instid1(VALU_DEP_1)
	v_dual_add_f32 v29, v28, v25 :: v_dual_sub_f32 v22, v22, v27
	v_sub_f32_e32 v26, v29, v28
	s_delay_alu instid0(VALU_DEP_2) | instskip(NEXT) | instid1(VALU_DEP_2)
	v_add_f32_e32 v22, v23, v22
	v_sub_f32_e32 v23, v25, v26
	s_delay_alu instid0(VALU_DEP_1) | instskip(NEXT) | instid1(VALU_DEP_1)
	v_add_f32_e32 v22, v22, v23
	v_add_f32_e32 v22, v29, v22
	s_delay_alu instid0(VALU_DEP_1) | instskip(NEXT) | instid1(VALU_DEP_1)
	v_cndmask_b32_e64 v22, v22, v24, s1
	v_add_f32_e32 v23, v6, v22
.LBB135_29:
	s_or_b32 exec_lo, exec_lo, s12
	v_mbcnt_lo_u32_b32 v6, -1, 0
	s_delay_alu instid0(VALU_DEP_2) | instskip(SKIP_1) | instid1(VALU_DEP_2)
	v_mov_b32_dpp v24, v23 row_shr:1 row_mask:0xf bank_mask:0xf
	s_mov_b32 s12, exec_lo
	v_and_b32_e32 v22, 15, v6
	s_delay_alu instid0(VALU_DEP_1)
	v_cmpx_ne_u32_e32 0, v22
	s_xor_b32 s12, exec_lo, s12
	s_cbranch_execz .LBB135_33
; %bb.30:
	v_dual_max_f32 v25, v23, v23 :: v_dual_max_f32 v26, v24, v24
	v_cmp_u_f32_e64 s1, v24, v24
	s_delay_alu instid0(VALU_DEP_2) | instskip(SKIP_1) | instid1(VALU_DEP_2)
	v_min_f32_e32 v27, v26, v25
	v_max_f32_e32 v25, v26, v25
	v_cndmask_b32_e64 v26, v27, v24, s1
	s_delay_alu instid0(VALU_DEP_2) | instskip(SKIP_1) | instid1(VALU_DEP_1)
	v_cndmask_b32_e64 v27, v25, v24, s1
	v_cmp_u_f32_e64 s1, v23, v23
	v_cndmask_b32_e64 v25, v26, v23, s1
	s_delay_alu instid0(VALU_DEP_3) | instskip(NEXT) | instid1(VALU_DEP_2)
	v_cndmask_b32_e64 v23, v27, v23, s1
	v_cmp_class_f32_e64 s13, v25, 0x1f8
	s_delay_alu instid0(VALU_DEP_2) | instskip(NEXT) | instid1(VALU_DEP_1)
	v_cmp_neq_f32_e64 s1, v25, v23
	s_or_b32 s1, s1, s13
	s_delay_alu instid0(SALU_CYCLE_1)
	s_and_saveexec_b32 s13, s1
	s_cbranch_execz .LBB135_32
; %bb.31:
	v_sub_f32_e32 v24, v25, v23
	s_delay_alu instid0(VALU_DEP_1) | instskip(SKIP_1) | instid1(VALU_DEP_2)
	v_mul_f32_e32 v25, 0x3fb8aa3b, v24
	v_cmp_ngt_f32_e64 s1, 0xc2ce8ed0, v24
	v_fma_f32 v26, 0x3fb8aa3b, v24, -v25
	v_rndne_f32_e32 v27, v25
	s_delay_alu instid0(VALU_DEP_1) | instskip(NEXT) | instid1(VALU_DEP_1)
	v_dual_fmamk_f32 v26, v24, 0x32a5705f, v26 :: v_dual_sub_f32 v25, v25, v27
	v_add_f32_e32 v25, v25, v26
	v_cvt_i32_f32_e32 v26, v27
	s_delay_alu instid0(VALU_DEP_2) | instskip(SKIP_2) | instid1(VALU_DEP_1)
	v_exp_f32_e32 v25, v25
	s_waitcnt_depctr 0xfff
	v_ldexp_f32 v25, v25, v26
	v_cndmask_b32_e64 v25, 0, v25, s1
	v_cmp_nlt_f32_e64 s1, 0x42b17218, v24
	s_delay_alu instid0(VALU_DEP_1) | instskip(NEXT) | instid1(VALU_DEP_1)
	v_cndmask_b32_e64 v26, 0x7f800000, v25, s1
	v_add_f32_e32 v27, 1.0, v26
	v_cmp_gt_f32_e64 s14, 0x33800000, |v26|
	s_delay_alu instid0(VALU_DEP_2) | instskip(NEXT) | instid1(VALU_DEP_1)
	v_cvt_f64_f32_e32 v[24:25], v27
	v_frexp_exp_i32_f64_e32 v24, v[24:25]
	v_frexp_mant_f32_e32 v25, v27
	s_delay_alu instid0(VALU_DEP_1) | instskip(SKIP_1) | instid1(VALU_DEP_1)
	v_cmp_gt_f32_e64 s1, 0x3f2aaaab, v25
	v_add_f32_e32 v25, -1.0, v27
	v_sub_f32_e32 v29, v25, v27
	v_sub_f32_e32 v25, v26, v25
	s_delay_alu instid0(VALU_DEP_4) | instskip(SKIP_1) | instid1(VALU_DEP_1)
	v_subrev_co_ci_u32_e64 v24, s1, 0, v24, s1
	s_mov_b32 s1, 0x3e9b6dac
	v_sub_nc_u32_e32 v28, 0, v24
	v_cvt_f32_i32_e32 v24, v24
	s_delay_alu instid0(VALU_DEP_2) | instskip(NEXT) | instid1(VALU_DEP_1)
	v_ldexp_f32 v27, v27, v28
	v_dual_add_f32 v30, 1.0, v27 :: v_dual_add_f32 v29, 1.0, v29
	s_delay_alu instid0(VALU_DEP_1) | instskip(NEXT) | instid1(VALU_DEP_2)
	v_add_f32_e32 v25, v25, v29
	v_add_f32_e32 v29, -1.0, v30
	s_delay_alu instid0(VALU_DEP_2) | instskip(NEXT) | instid1(VALU_DEP_2)
	v_ldexp_f32 v25, v25, v28
	v_dual_add_f32 v28, -1.0, v27 :: v_dual_sub_f32 v29, v27, v29
	s_delay_alu instid0(VALU_DEP_1) | instskip(NEXT) | instid1(VALU_DEP_2)
	v_add_f32_e32 v31, 1.0, v28
	v_add_f32_e32 v29, v25, v29
	s_delay_alu instid0(VALU_DEP_2) | instskip(NEXT) | instid1(VALU_DEP_2)
	v_sub_f32_e32 v27, v27, v31
	v_add_f32_e32 v31, v30, v29
	s_delay_alu instid0(VALU_DEP_2) | instskip(NEXT) | instid1(VALU_DEP_2)
	v_add_f32_e32 v25, v25, v27
	v_rcp_f32_e32 v27, v31
	v_sub_f32_e32 v30, v30, v31
	s_delay_alu instid0(VALU_DEP_1) | instskip(NEXT) | instid1(VALU_DEP_1)
	v_dual_add_f32 v32, v28, v25 :: v_dual_add_f32 v29, v29, v30
	v_sub_f32_e32 v28, v28, v32
	s_waitcnt_depctr 0xfff
	v_mul_f32_e32 v33, v32, v27
	s_delay_alu instid0(VALU_DEP_1) | instskip(NEXT) | instid1(VALU_DEP_1)
	v_dual_add_f32 v25, v25, v28 :: v_dual_mul_f32 v34, v31, v33
	v_fma_f32 v30, v33, v31, -v34
	s_delay_alu instid0(VALU_DEP_1) | instskip(NEXT) | instid1(VALU_DEP_1)
	v_fmac_f32_e32 v30, v33, v29
	v_add_f32_e32 v35, v34, v30
	s_delay_alu instid0(VALU_DEP_1) | instskip(SKIP_1) | instid1(VALU_DEP_2)
	v_sub_f32_e32 v36, v32, v35
	v_sub_f32_e32 v28, v35, v34
	;; [unrolled: 1-line block ×3, first 2 shown]
	s_delay_alu instid0(VALU_DEP_2) | instskip(NEXT) | instid1(VALU_DEP_2)
	v_sub_f32_e32 v28, v28, v30
	v_sub_f32_e32 v32, v32, v35
	s_delay_alu instid0(VALU_DEP_1) | instskip(NEXT) | instid1(VALU_DEP_1)
	v_add_f32_e32 v25, v25, v32
	v_add_f32_e32 v25, v28, v25
	s_delay_alu instid0(VALU_DEP_1) | instskip(NEXT) | instid1(VALU_DEP_1)
	v_add_f32_e32 v28, v36, v25
	v_mul_f32_e32 v30, v27, v28
	s_delay_alu instid0(VALU_DEP_1) | instskip(NEXT) | instid1(VALU_DEP_1)
	v_dual_sub_f32 v35, v36, v28 :: v_dual_mul_f32 v32, v31, v30
	v_add_f32_e32 v25, v25, v35
	s_delay_alu instid0(VALU_DEP_2) | instskip(NEXT) | instid1(VALU_DEP_1)
	v_fma_f32 v31, v30, v31, -v32
	v_fmac_f32_e32 v31, v30, v29
	s_delay_alu instid0(VALU_DEP_1) | instskip(NEXT) | instid1(VALU_DEP_1)
	v_add_f32_e32 v29, v32, v31
	v_sub_f32_e32 v34, v28, v29
	v_sub_f32_e32 v32, v29, v32
	s_delay_alu instid0(VALU_DEP_2) | instskip(NEXT) | instid1(VALU_DEP_1)
	v_sub_f32_e32 v28, v28, v34
	v_sub_f32_e32 v28, v28, v29
	s_delay_alu instid0(VALU_DEP_3) | instskip(NEXT) | instid1(VALU_DEP_2)
	v_sub_f32_e32 v29, v32, v31
	v_add_f32_e32 v25, v25, v28
	v_add_f32_e32 v28, v33, v30
	s_delay_alu instid0(VALU_DEP_2) | instskip(NEXT) | instid1(VALU_DEP_2)
	v_add_f32_e32 v25, v29, v25
	v_sub_f32_e32 v29, v28, v33
	s_delay_alu instid0(VALU_DEP_2) | instskip(NEXT) | instid1(VALU_DEP_2)
	v_add_f32_e32 v25, v34, v25
	v_sub_f32_e32 v29, v30, v29
	s_delay_alu instid0(VALU_DEP_2) | instskip(NEXT) | instid1(VALU_DEP_1)
	v_mul_f32_e32 v25, v27, v25
	v_add_f32_e32 v25, v29, v25
	s_delay_alu instid0(VALU_DEP_1) | instskip(NEXT) | instid1(VALU_DEP_1)
	v_add_f32_e32 v27, v28, v25
	v_mul_f32_e32 v29, v27, v27
	s_delay_alu instid0(VALU_DEP_1) | instskip(SKIP_2) | instid1(VALU_DEP_3)
	v_fmaak_f32 v30, s1, v29, 0x3ecc95a3
	v_mul_f32_e32 v31, v27, v29
	v_cmp_eq_f32_e64 s1, 0x7f800000, v26
	v_fmaak_f32 v29, v29, v30, 0x3f2aaada
	v_ldexp_f32 v30, v27, 1
	v_sub_f32_e32 v27, v27, v28
	s_delay_alu instid0(VALU_DEP_4) | instskip(NEXT) | instid1(VALU_DEP_3)
	s_or_b32 s1, s1, s14
	v_mul_f32_e32 v29, v31, v29
	v_mul_f32_e32 v31, 0x3f317218, v24
	s_delay_alu instid0(VALU_DEP_2) | instskip(NEXT) | instid1(VALU_DEP_1)
	v_dual_sub_f32 v25, v25, v27 :: v_dual_add_f32 v28, v30, v29
	v_ldexp_f32 v25, v25, 1
	s_delay_alu instid0(VALU_DEP_2) | instskip(NEXT) | instid1(VALU_DEP_4)
	v_sub_f32_e32 v27, v28, v30
	v_fma_f32 v30, 0x3f317218, v24, -v31
	s_delay_alu instid0(VALU_DEP_1) | instskip(NEXT) | instid1(VALU_DEP_1)
	v_dual_sub_f32 v27, v29, v27 :: v_dual_fmamk_f32 v24, v24, 0xb102e308, v30
	v_add_f32_e32 v25, v25, v27
	s_delay_alu instid0(VALU_DEP_2) | instskip(NEXT) | instid1(VALU_DEP_2)
	v_add_f32_e32 v27, v31, v24
	v_add_f32_e32 v29, v28, v25
	s_delay_alu instid0(VALU_DEP_2) | instskip(NEXT) | instid1(VALU_DEP_2)
	v_sub_f32_e32 v31, v27, v31
	v_add_f32_e32 v30, v27, v29
	v_sub_f32_e32 v28, v29, v28
	s_delay_alu instid0(VALU_DEP_3) | instskip(NEXT) | instid1(VALU_DEP_2)
	v_sub_f32_e32 v24, v24, v31
	v_dual_sub_f32 v32, v30, v27 :: v_dual_sub_f32 v25, v25, v28
	s_delay_alu instid0(VALU_DEP_1) | instskip(NEXT) | instid1(VALU_DEP_2)
	v_sub_f32_e32 v33, v30, v32
	v_dual_sub_f32 v28, v29, v32 :: v_dual_add_f32 v29, v24, v25
	s_delay_alu instid0(VALU_DEP_2) | instskip(NEXT) | instid1(VALU_DEP_1)
	v_sub_f32_e32 v27, v27, v33
	v_dual_add_f32 v27, v28, v27 :: v_dual_sub_f32 v28, v29, v24
	s_delay_alu instid0(VALU_DEP_1) | instskip(NEXT) | instid1(VALU_DEP_2)
	v_add_f32_e32 v27, v29, v27
	v_sub_f32_e32 v29, v29, v28
	v_sub_f32_e32 v25, v25, v28
	s_delay_alu instid0(VALU_DEP_2) | instskip(NEXT) | instid1(VALU_DEP_1)
	v_dual_add_f32 v31, v30, v27 :: v_dual_sub_f32 v24, v24, v29
	v_sub_f32_e32 v28, v31, v30
	s_delay_alu instid0(VALU_DEP_2) | instskip(NEXT) | instid1(VALU_DEP_2)
	v_add_f32_e32 v24, v25, v24
	v_sub_f32_e32 v25, v27, v28
	s_delay_alu instid0(VALU_DEP_1) | instskip(NEXT) | instid1(VALU_DEP_1)
	v_add_f32_e32 v24, v24, v25
	v_add_f32_e32 v24, v31, v24
	s_delay_alu instid0(VALU_DEP_1) | instskip(NEXT) | instid1(VALU_DEP_1)
	v_cndmask_b32_e64 v24, v24, v26, s1
	v_add_f32_e32 v24, v23, v24
.LBB135_32:
	s_or_b32 exec_lo, exec_lo, s13
	s_delay_alu instid0(VALU_DEP_1)
	v_mov_b32_e32 v23, v24
.LBB135_33:
	s_or_b32 exec_lo, exec_lo, s12
	s_delay_alu instid0(VALU_DEP_1)
	v_mov_b32_dpp v24, v23 row_shr:2 row_mask:0xf bank_mask:0xf
	s_mov_b32 s12, exec_lo
	v_cmpx_lt_u32_e32 1, v22
	s_cbranch_execz .LBB135_37
; %bb.34:
	s_delay_alu instid0(VALU_DEP_2) | instskip(SKIP_1) | instid1(VALU_DEP_2)
	v_dual_max_f32 v25, v23, v23 :: v_dual_max_f32 v26, v24, v24
	v_cmp_u_f32_e64 s1, v24, v24
	v_min_f32_e32 v27, v26, v25
	v_max_f32_e32 v25, v26, v25
	s_delay_alu instid0(VALU_DEP_2) | instskip(NEXT) | instid1(VALU_DEP_2)
	v_cndmask_b32_e64 v26, v27, v24, s1
	v_cndmask_b32_e64 v27, v25, v24, s1
	v_cmp_u_f32_e64 s1, v23, v23
	s_delay_alu instid0(VALU_DEP_1) | instskip(NEXT) | instid1(VALU_DEP_3)
	v_cndmask_b32_e64 v25, v26, v23, s1
	v_cndmask_b32_e64 v23, v27, v23, s1
	s_delay_alu instid0(VALU_DEP_2) | instskip(NEXT) | instid1(VALU_DEP_2)
	v_cmp_class_f32_e64 s13, v25, 0x1f8
	v_cmp_neq_f32_e64 s1, v25, v23
	s_delay_alu instid0(VALU_DEP_1) | instskip(NEXT) | instid1(SALU_CYCLE_1)
	s_or_b32 s1, s1, s13
	s_and_saveexec_b32 s13, s1
	s_cbranch_execz .LBB135_36
; %bb.35:
	v_sub_f32_e32 v24, v25, v23
	s_delay_alu instid0(VALU_DEP_1) | instskip(SKIP_1) | instid1(VALU_DEP_2)
	v_mul_f32_e32 v25, 0x3fb8aa3b, v24
	v_cmp_ngt_f32_e64 s1, 0xc2ce8ed0, v24
	v_fma_f32 v26, 0x3fb8aa3b, v24, -v25
	v_rndne_f32_e32 v27, v25
	s_delay_alu instid0(VALU_DEP_1) | instskip(NEXT) | instid1(VALU_DEP_1)
	v_dual_fmamk_f32 v26, v24, 0x32a5705f, v26 :: v_dual_sub_f32 v25, v25, v27
	v_add_f32_e32 v25, v25, v26
	v_cvt_i32_f32_e32 v26, v27
	s_delay_alu instid0(VALU_DEP_2) | instskip(SKIP_2) | instid1(VALU_DEP_1)
	v_exp_f32_e32 v25, v25
	s_waitcnt_depctr 0xfff
	v_ldexp_f32 v25, v25, v26
	v_cndmask_b32_e64 v25, 0, v25, s1
	v_cmp_nlt_f32_e64 s1, 0x42b17218, v24
	s_delay_alu instid0(VALU_DEP_1) | instskip(NEXT) | instid1(VALU_DEP_1)
	v_cndmask_b32_e64 v26, 0x7f800000, v25, s1
	v_add_f32_e32 v27, 1.0, v26
	v_cmp_gt_f32_e64 s14, 0x33800000, |v26|
	s_delay_alu instid0(VALU_DEP_2) | instskip(NEXT) | instid1(VALU_DEP_1)
	v_cvt_f64_f32_e32 v[24:25], v27
	v_frexp_exp_i32_f64_e32 v24, v[24:25]
	v_frexp_mant_f32_e32 v25, v27
	s_delay_alu instid0(VALU_DEP_1) | instskip(SKIP_1) | instid1(VALU_DEP_1)
	v_cmp_gt_f32_e64 s1, 0x3f2aaaab, v25
	v_add_f32_e32 v25, -1.0, v27
	v_sub_f32_e32 v29, v25, v27
	v_sub_f32_e32 v25, v26, v25
	s_delay_alu instid0(VALU_DEP_4) | instskip(SKIP_1) | instid1(VALU_DEP_1)
	v_subrev_co_ci_u32_e64 v24, s1, 0, v24, s1
	s_mov_b32 s1, 0x3e9b6dac
	v_sub_nc_u32_e32 v28, 0, v24
	v_cvt_f32_i32_e32 v24, v24
	s_delay_alu instid0(VALU_DEP_2) | instskip(NEXT) | instid1(VALU_DEP_1)
	v_ldexp_f32 v27, v27, v28
	v_dual_add_f32 v30, 1.0, v27 :: v_dual_add_f32 v29, 1.0, v29
	s_delay_alu instid0(VALU_DEP_1) | instskip(NEXT) | instid1(VALU_DEP_2)
	v_add_f32_e32 v25, v25, v29
	v_add_f32_e32 v29, -1.0, v30
	s_delay_alu instid0(VALU_DEP_2) | instskip(NEXT) | instid1(VALU_DEP_2)
	v_ldexp_f32 v25, v25, v28
	v_dual_add_f32 v28, -1.0, v27 :: v_dual_sub_f32 v29, v27, v29
	s_delay_alu instid0(VALU_DEP_1) | instskip(NEXT) | instid1(VALU_DEP_2)
	v_add_f32_e32 v31, 1.0, v28
	v_add_f32_e32 v29, v25, v29
	s_delay_alu instid0(VALU_DEP_2) | instskip(NEXT) | instid1(VALU_DEP_2)
	v_sub_f32_e32 v27, v27, v31
	v_add_f32_e32 v31, v30, v29
	s_delay_alu instid0(VALU_DEP_2) | instskip(NEXT) | instid1(VALU_DEP_2)
	v_add_f32_e32 v25, v25, v27
	v_rcp_f32_e32 v27, v31
	v_sub_f32_e32 v30, v30, v31
	s_delay_alu instid0(VALU_DEP_1) | instskip(NEXT) | instid1(VALU_DEP_1)
	v_dual_add_f32 v32, v28, v25 :: v_dual_add_f32 v29, v29, v30
	v_sub_f32_e32 v28, v28, v32
	s_waitcnt_depctr 0xfff
	v_mul_f32_e32 v33, v32, v27
	s_delay_alu instid0(VALU_DEP_1) | instskip(NEXT) | instid1(VALU_DEP_1)
	v_dual_add_f32 v25, v25, v28 :: v_dual_mul_f32 v34, v31, v33
	v_fma_f32 v30, v33, v31, -v34
	s_delay_alu instid0(VALU_DEP_1) | instskip(NEXT) | instid1(VALU_DEP_1)
	v_fmac_f32_e32 v30, v33, v29
	v_add_f32_e32 v35, v34, v30
	s_delay_alu instid0(VALU_DEP_1) | instskip(SKIP_1) | instid1(VALU_DEP_2)
	v_sub_f32_e32 v36, v32, v35
	v_sub_f32_e32 v28, v35, v34
	;; [unrolled: 1-line block ×3, first 2 shown]
	s_delay_alu instid0(VALU_DEP_2) | instskip(NEXT) | instid1(VALU_DEP_2)
	v_sub_f32_e32 v28, v28, v30
	v_sub_f32_e32 v32, v32, v35
	s_delay_alu instid0(VALU_DEP_1) | instskip(NEXT) | instid1(VALU_DEP_1)
	v_add_f32_e32 v25, v25, v32
	v_add_f32_e32 v25, v28, v25
	s_delay_alu instid0(VALU_DEP_1) | instskip(NEXT) | instid1(VALU_DEP_1)
	v_add_f32_e32 v28, v36, v25
	v_mul_f32_e32 v30, v27, v28
	s_delay_alu instid0(VALU_DEP_1) | instskip(NEXT) | instid1(VALU_DEP_1)
	v_dual_sub_f32 v35, v36, v28 :: v_dual_mul_f32 v32, v31, v30
	v_add_f32_e32 v25, v25, v35
	s_delay_alu instid0(VALU_DEP_2) | instskip(NEXT) | instid1(VALU_DEP_1)
	v_fma_f32 v31, v30, v31, -v32
	v_fmac_f32_e32 v31, v30, v29
	s_delay_alu instid0(VALU_DEP_1) | instskip(NEXT) | instid1(VALU_DEP_1)
	v_add_f32_e32 v29, v32, v31
	v_sub_f32_e32 v34, v28, v29
	v_sub_f32_e32 v32, v29, v32
	s_delay_alu instid0(VALU_DEP_2) | instskip(NEXT) | instid1(VALU_DEP_1)
	v_sub_f32_e32 v28, v28, v34
	v_sub_f32_e32 v28, v28, v29
	s_delay_alu instid0(VALU_DEP_3) | instskip(NEXT) | instid1(VALU_DEP_2)
	v_sub_f32_e32 v29, v32, v31
	v_add_f32_e32 v25, v25, v28
	v_add_f32_e32 v28, v33, v30
	s_delay_alu instid0(VALU_DEP_2) | instskip(NEXT) | instid1(VALU_DEP_2)
	v_add_f32_e32 v25, v29, v25
	v_sub_f32_e32 v29, v28, v33
	s_delay_alu instid0(VALU_DEP_2) | instskip(NEXT) | instid1(VALU_DEP_2)
	v_add_f32_e32 v25, v34, v25
	v_sub_f32_e32 v29, v30, v29
	s_delay_alu instid0(VALU_DEP_2) | instskip(NEXT) | instid1(VALU_DEP_1)
	v_mul_f32_e32 v25, v27, v25
	v_add_f32_e32 v25, v29, v25
	s_delay_alu instid0(VALU_DEP_1) | instskip(NEXT) | instid1(VALU_DEP_1)
	v_add_f32_e32 v27, v28, v25
	v_mul_f32_e32 v29, v27, v27
	s_delay_alu instid0(VALU_DEP_1) | instskip(SKIP_2) | instid1(VALU_DEP_3)
	v_fmaak_f32 v30, s1, v29, 0x3ecc95a3
	v_mul_f32_e32 v31, v27, v29
	v_cmp_eq_f32_e64 s1, 0x7f800000, v26
	v_fmaak_f32 v29, v29, v30, 0x3f2aaada
	v_ldexp_f32 v30, v27, 1
	v_sub_f32_e32 v27, v27, v28
	s_delay_alu instid0(VALU_DEP_4) | instskip(NEXT) | instid1(VALU_DEP_3)
	s_or_b32 s1, s1, s14
	v_mul_f32_e32 v29, v31, v29
	v_mul_f32_e32 v31, 0x3f317218, v24
	s_delay_alu instid0(VALU_DEP_2) | instskip(NEXT) | instid1(VALU_DEP_1)
	v_dual_sub_f32 v25, v25, v27 :: v_dual_add_f32 v28, v30, v29
	v_ldexp_f32 v25, v25, 1
	s_delay_alu instid0(VALU_DEP_2) | instskip(NEXT) | instid1(VALU_DEP_4)
	v_sub_f32_e32 v27, v28, v30
	v_fma_f32 v30, 0x3f317218, v24, -v31
	s_delay_alu instid0(VALU_DEP_1) | instskip(NEXT) | instid1(VALU_DEP_1)
	v_dual_sub_f32 v27, v29, v27 :: v_dual_fmamk_f32 v24, v24, 0xb102e308, v30
	v_add_f32_e32 v25, v25, v27
	s_delay_alu instid0(VALU_DEP_2) | instskip(NEXT) | instid1(VALU_DEP_2)
	v_add_f32_e32 v27, v31, v24
	v_add_f32_e32 v29, v28, v25
	s_delay_alu instid0(VALU_DEP_2) | instskip(NEXT) | instid1(VALU_DEP_2)
	v_sub_f32_e32 v31, v27, v31
	v_add_f32_e32 v30, v27, v29
	v_sub_f32_e32 v28, v29, v28
	s_delay_alu instid0(VALU_DEP_3) | instskip(NEXT) | instid1(VALU_DEP_2)
	v_sub_f32_e32 v24, v24, v31
	v_dual_sub_f32 v32, v30, v27 :: v_dual_sub_f32 v25, v25, v28
	s_delay_alu instid0(VALU_DEP_1) | instskip(NEXT) | instid1(VALU_DEP_2)
	v_sub_f32_e32 v33, v30, v32
	v_dual_sub_f32 v28, v29, v32 :: v_dual_add_f32 v29, v24, v25
	s_delay_alu instid0(VALU_DEP_2) | instskip(NEXT) | instid1(VALU_DEP_1)
	v_sub_f32_e32 v27, v27, v33
	v_dual_add_f32 v27, v28, v27 :: v_dual_sub_f32 v28, v29, v24
	s_delay_alu instid0(VALU_DEP_1) | instskip(NEXT) | instid1(VALU_DEP_2)
	v_add_f32_e32 v27, v29, v27
	v_sub_f32_e32 v29, v29, v28
	v_sub_f32_e32 v25, v25, v28
	s_delay_alu instid0(VALU_DEP_2) | instskip(NEXT) | instid1(VALU_DEP_1)
	v_dual_add_f32 v31, v30, v27 :: v_dual_sub_f32 v24, v24, v29
	v_sub_f32_e32 v28, v31, v30
	s_delay_alu instid0(VALU_DEP_2) | instskip(NEXT) | instid1(VALU_DEP_2)
	v_add_f32_e32 v24, v25, v24
	v_sub_f32_e32 v25, v27, v28
	s_delay_alu instid0(VALU_DEP_1) | instskip(NEXT) | instid1(VALU_DEP_1)
	v_add_f32_e32 v24, v24, v25
	v_add_f32_e32 v24, v31, v24
	s_delay_alu instid0(VALU_DEP_1) | instskip(NEXT) | instid1(VALU_DEP_1)
	v_cndmask_b32_e64 v24, v24, v26, s1
	v_add_f32_e32 v24, v23, v24
.LBB135_36:
	s_or_b32 exec_lo, exec_lo, s13
	s_delay_alu instid0(VALU_DEP_1)
	v_mov_b32_e32 v23, v24
.LBB135_37:
	s_or_b32 exec_lo, exec_lo, s12
	s_delay_alu instid0(VALU_DEP_1)
	v_mov_b32_dpp v24, v23 row_shr:4 row_mask:0xf bank_mask:0xf
	s_mov_b32 s12, exec_lo
	v_cmpx_lt_u32_e32 3, v22
	s_cbranch_execz .LBB135_41
; %bb.38:
	s_delay_alu instid0(VALU_DEP_2) | instskip(SKIP_1) | instid1(VALU_DEP_2)
	v_dual_max_f32 v25, v23, v23 :: v_dual_max_f32 v26, v24, v24
	v_cmp_u_f32_e64 s1, v24, v24
	v_min_f32_e32 v27, v26, v25
	v_max_f32_e32 v25, v26, v25
	s_delay_alu instid0(VALU_DEP_2) | instskip(NEXT) | instid1(VALU_DEP_2)
	v_cndmask_b32_e64 v26, v27, v24, s1
	v_cndmask_b32_e64 v27, v25, v24, s1
	v_cmp_u_f32_e64 s1, v23, v23
	s_delay_alu instid0(VALU_DEP_1) | instskip(NEXT) | instid1(VALU_DEP_3)
	v_cndmask_b32_e64 v25, v26, v23, s1
	v_cndmask_b32_e64 v23, v27, v23, s1
	s_delay_alu instid0(VALU_DEP_2) | instskip(NEXT) | instid1(VALU_DEP_2)
	v_cmp_class_f32_e64 s13, v25, 0x1f8
	v_cmp_neq_f32_e64 s1, v25, v23
	s_delay_alu instid0(VALU_DEP_1) | instskip(NEXT) | instid1(SALU_CYCLE_1)
	s_or_b32 s1, s1, s13
	s_and_saveexec_b32 s13, s1
	s_cbranch_execz .LBB135_40
; %bb.39:
	v_sub_f32_e32 v24, v25, v23
	s_delay_alu instid0(VALU_DEP_1) | instskip(SKIP_1) | instid1(VALU_DEP_2)
	v_mul_f32_e32 v25, 0x3fb8aa3b, v24
	v_cmp_ngt_f32_e64 s1, 0xc2ce8ed0, v24
	v_fma_f32 v26, 0x3fb8aa3b, v24, -v25
	v_rndne_f32_e32 v27, v25
	s_delay_alu instid0(VALU_DEP_1) | instskip(NEXT) | instid1(VALU_DEP_1)
	v_dual_fmamk_f32 v26, v24, 0x32a5705f, v26 :: v_dual_sub_f32 v25, v25, v27
	v_add_f32_e32 v25, v25, v26
	v_cvt_i32_f32_e32 v26, v27
	s_delay_alu instid0(VALU_DEP_2) | instskip(SKIP_2) | instid1(VALU_DEP_1)
	v_exp_f32_e32 v25, v25
	s_waitcnt_depctr 0xfff
	v_ldexp_f32 v25, v25, v26
	v_cndmask_b32_e64 v25, 0, v25, s1
	v_cmp_nlt_f32_e64 s1, 0x42b17218, v24
	s_delay_alu instid0(VALU_DEP_1) | instskip(NEXT) | instid1(VALU_DEP_1)
	v_cndmask_b32_e64 v26, 0x7f800000, v25, s1
	v_add_f32_e32 v27, 1.0, v26
	v_cmp_gt_f32_e64 s14, 0x33800000, |v26|
	s_delay_alu instid0(VALU_DEP_2) | instskip(NEXT) | instid1(VALU_DEP_1)
	v_cvt_f64_f32_e32 v[24:25], v27
	v_frexp_exp_i32_f64_e32 v24, v[24:25]
	v_frexp_mant_f32_e32 v25, v27
	s_delay_alu instid0(VALU_DEP_1) | instskip(SKIP_1) | instid1(VALU_DEP_1)
	v_cmp_gt_f32_e64 s1, 0x3f2aaaab, v25
	v_add_f32_e32 v25, -1.0, v27
	v_sub_f32_e32 v29, v25, v27
	v_sub_f32_e32 v25, v26, v25
	s_delay_alu instid0(VALU_DEP_4) | instskip(SKIP_1) | instid1(VALU_DEP_1)
	v_subrev_co_ci_u32_e64 v24, s1, 0, v24, s1
	s_mov_b32 s1, 0x3e9b6dac
	v_sub_nc_u32_e32 v28, 0, v24
	v_cvt_f32_i32_e32 v24, v24
	s_delay_alu instid0(VALU_DEP_2) | instskip(NEXT) | instid1(VALU_DEP_1)
	v_ldexp_f32 v27, v27, v28
	v_dual_add_f32 v30, 1.0, v27 :: v_dual_add_f32 v29, 1.0, v29
	s_delay_alu instid0(VALU_DEP_1) | instskip(NEXT) | instid1(VALU_DEP_2)
	v_add_f32_e32 v25, v25, v29
	v_add_f32_e32 v29, -1.0, v30
	s_delay_alu instid0(VALU_DEP_2) | instskip(NEXT) | instid1(VALU_DEP_2)
	v_ldexp_f32 v25, v25, v28
	v_dual_add_f32 v28, -1.0, v27 :: v_dual_sub_f32 v29, v27, v29
	s_delay_alu instid0(VALU_DEP_1) | instskip(NEXT) | instid1(VALU_DEP_2)
	v_add_f32_e32 v31, 1.0, v28
	v_add_f32_e32 v29, v25, v29
	s_delay_alu instid0(VALU_DEP_2) | instskip(NEXT) | instid1(VALU_DEP_2)
	v_sub_f32_e32 v27, v27, v31
	v_add_f32_e32 v31, v30, v29
	s_delay_alu instid0(VALU_DEP_2) | instskip(NEXT) | instid1(VALU_DEP_2)
	v_add_f32_e32 v25, v25, v27
	v_rcp_f32_e32 v27, v31
	v_sub_f32_e32 v30, v30, v31
	s_delay_alu instid0(VALU_DEP_1) | instskip(NEXT) | instid1(VALU_DEP_1)
	v_dual_add_f32 v32, v28, v25 :: v_dual_add_f32 v29, v29, v30
	v_sub_f32_e32 v28, v28, v32
	s_waitcnt_depctr 0xfff
	v_mul_f32_e32 v33, v32, v27
	s_delay_alu instid0(VALU_DEP_1) | instskip(NEXT) | instid1(VALU_DEP_1)
	v_dual_add_f32 v25, v25, v28 :: v_dual_mul_f32 v34, v31, v33
	v_fma_f32 v30, v33, v31, -v34
	s_delay_alu instid0(VALU_DEP_1) | instskip(NEXT) | instid1(VALU_DEP_1)
	v_fmac_f32_e32 v30, v33, v29
	v_add_f32_e32 v35, v34, v30
	s_delay_alu instid0(VALU_DEP_1) | instskip(SKIP_1) | instid1(VALU_DEP_2)
	v_sub_f32_e32 v36, v32, v35
	v_sub_f32_e32 v28, v35, v34
	;; [unrolled: 1-line block ×3, first 2 shown]
	s_delay_alu instid0(VALU_DEP_2) | instskip(NEXT) | instid1(VALU_DEP_2)
	v_sub_f32_e32 v28, v28, v30
	v_sub_f32_e32 v32, v32, v35
	s_delay_alu instid0(VALU_DEP_1) | instskip(NEXT) | instid1(VALU_DEP_1)
	v_add_f32_e32 v25, v25, v32
	v_add_f32_e32 v25, v28, v25
	s_delay_alu instid0(VALU_DEP_1) | instskip(NEXT) | instid1(VALU_DEP_1)
	v_add_f32_e32 v28, v36, v25
	v_mul_f32_e32 v30, v27, v28
	s_delay_alu instid0(VALU_DEP_1) | instskip(NEXT) | instid1(VALU_DEP_1)
	v_dual_sub_f32 v35, v36, v28 :: v_dual_mul_f32 v32, v31, v30
	v_add_f32_e32 v25, v25, v35
	s_delay_alu instid0(VALU_DEP_2) | instskip(NEXT) | instid1(VALU_DEP_1)
	v_fma_f32 v31, v30, v31, -v32
	v_fmac_f32_e32 v31, v30, v29
	s_delay_alu instid0(VALU_DEP_1) | instskip(NEXT) | instid1(VALU_DEP_1)
	v_add_f32_e32 v29, v32, v31
	v_sub_f32_e32 v34, v28, v29
	v_sub_f32_e32 v32, v29, v32
	s_delay_alu instid0(VALU_DEP_2) | instskip(NEXT) | instid1(VALU_DEP_1)
	v_sub_f32_e32 v28, v28, v34
	v_sub_f32_e32 v28, v28, v29
	s_delay_alu instid0(VALU_DEP_3) | instskip(NEXT) | instid1(VALU_DEP_2)
	v_sub_f32_e32 v29, v32, v31
	v_add_f32_e32 v25, v25, v28
	v_add_f32_e32 v28, v33, v30
	s_delay_alu instid0(VALU_DEP_2) | instskip(NEXT) | instid1(VALU_DEP_2)
	v_add_f32_e32 v25, v29, v25
	v_sub_f32_e32 v29, v28, v33
	s_delay_alu instid0(VALU_DEP_2) | instskip(NEXT) | instid1(VALU_DEP_2)
	v_add_f32_e32 v25, v34, v25
	v_sub_f32_e32 v29, v30, v29
	s_delay_alu instid0(VALU_DEP_2) | instskip(NEXT) | instid1(VALU_DEP_1)
	v_mul_f32_e32 v25, v27, v25
	v_add_f32_e32 v25, v29, v25
	s_delay_alu instid0(VALU_DEP_1) | instskip(NEXT) | instid1(VALU_DEP_1)
	v_add_f32_e32 v27, v28, v25
	v_mul_f32_e32 v29, v27, v27
	s_delay_alu instid0(VALU_DEP_1) | instskip(SKIP_2) | instid1(VALU_DEP_3)
	v_fmaak_f32 v30, s1, v29, 0x3ecc95a3
	v_mul_f32_e32 v31, v27, v29
	v_cmp_eq_f32_e64 s1, 0x7f800000, v26
	v_fmaak_f32 v29, v29, v30, 0x3f2aaada
	v_ldexp_f32 v30, v27, 1
	v_sub_f32_e32 v27, v27, v28
	s_delay_alu instid0(VALU_DEP_4) | instskip(NEXT) | instid1(VALU_DEP_3)
	s_or_b32 s1, s1, s14
	v_mul_f32_e32 v29, v31, v29
	v_mul_f32_e32 v31, 0x3f317218, v24
	s_delay_alu instid0(VALU_DEP_2) | instskip(NEXT) | instid1(VALU_DEP_1)
	v_dual_sub_f32 v25, v25, v27 :: v_dual_add_f32 v28, v30, v29
	v_ldexp_f32 v25, v25, 1
	s_delay_alu instid0(VALU_DEP_2) | instskip(NEXT) | instid1(VALU_DEP_4)
	v_sub_f32_e32 v27, v28, v30
	v_fma_f32 v30, 0x3f317218, v24, -v31
	s_delay_alu instid0(VALU_DEP_1) | instskip(NEXT) | instid1(VALU_DEP_1)
	v_dual_sub_f32 v27, v29, v27 :: v_dual_fmamk_f32 v24, v24, 0xb102e308, v30
	v_add_f32_e32 v25, v25, v27
	s_delay_alu instid0(VALU_DEP_2) | instskip(NEXT) | instid1(VALU_DEP_2)
	v_add_f32_e32 v27, v31, v24
	v_add_f32_e32 v29, v28, v25
	s_delay_alu instid0(VALU_DEP_2) | instskip(NEXT) | instid1(VALU_DEP_2)
	v_sub_f32_e32 v31, v27, v31
	v_add_f32_e32 v30, v27, v29
	v_sub_f32_e32 v28, v29, v28
	s_delay_alu instid0(VALU_DEP_3) | instskip(NEXT) | instid1(VALU_DEP_2)
	v_sub_f32_e32 v24, v24, v31
	v_dual_sub_f32 v32, v30, v27 :: v_dual_sub_f32 v25, v25, v28
	s_delay_alu instid0(VALU_DEP_1) | instskip(NEXT) | instid1(VALU_DEP_2)
	v_sub_f32_e32 v33, v30, v32
	v_dual_sub_f32 v28, v29, v32 :: v_dual_add_f32 v29, v24, v25
	s_delay_alu instid0(VALU_DEP_2) | instskip(NEXT) | instid1(VALU_DEP_1)
	v_sub_f32_e32 v27, v27, v33
	v_dual_add_f32 v27, v28, v27 :: v_dual_sub_f32 v28, v29, v24
	s_delay_alu instid0(VALU_DEP_1) | instskip(NEXT) | instid1(VALU_DEP_2)
	v_add_f32_e32 v27, v29, v27
	v_sub_f32_e32 v29, v29, v28
	v_sub_f32_e32 v25, v25, v28
	s_delay_alu instid0(VALU_DEP_2) | instskip(NEXT) | instid1(VALU_DEP_1)
	v_dual_add_f32 v31, v30, v27 :: v_dual_sub_f32 v24, v24, v29
	v_sub_f32_e32 v28, v31, v30
	s_delay_alu instid0(VALU_DEP_2) | instskip(NEXT) | instid1(VALU_DEP_2)
	v_add_f32_e32 v24, v25, v24
	v_sub_f32_e32 v25, v27, v28
	s_delay_alu instid0(VALU_DEP_1) | instskip(NEXT) | instid1(VALU_DEP_1)
	v_add_f32_e32 v24, v24, v25
	v_add_f32_e32 v24, v31, v24
	s_delay_alu instid0(VALU_DEP_1) | instskip(NEXT) | instid1(VALU_DEP_1)
	v_cndmask_b32_e64 v24, v24, v26, s1
	v_add_f32_e32 v24, v23, v24
.LBB135_40:
	s_or_b32 exec_lo, exec_lo, s13
	s_delay_alu instid0(VALU_DEP_1)
	v_mov_b32_e32 v23, v24
.LBB135_41:
	s_or_b32 exec_lo, exec_lo, s12
	s_delay_alu instid0(VALU_DEP_1)
	v_mov_b32_dpp v24, v23 row_shr:8 row_mask:0xf bank_mask:0xf
	s_mov_b32 s12, exec_lo
	v_cmpx_lt_u32_e32 7, v22
	s_cbranch_execz .LBB135_45
; %bb.42:
	s_delay_alu instid0(VALU_DEP_2) | instskip(SKIP_1) | instid1(VALU_DEP_2)
	v_dual_max_f32 v22, v23, v23 :: v_dual_max_f32 v25, v24, v24
	v_cmp_u_f32_e64 s1, v24, v24
	v_min_f32_e32 v26, v25, v22
	v_max_f32_e32 v22, v25, v22
	s_delay_alu instid0(VALU_DEP_2) | instskip(NEXT) | instid1(VALU_DEP_2)
	v_cndmask_b32_e64 v25, v26, v24, s1
	v_cndmask_b32_e64 v22, v22, v24, s1
	v_cmp_u_f32_e64 s1, v23, v23
	s_delay_alu instid0(VALU_DEP_1) | instskip(NEXT) | instid1(VALU_DEP_3)
	v_cndmask_b32_e64 v25, v25, v23, s1
	v_cndmask_b32_e64 v22, v22, v23, s1
	s_delay_alu instid0(VALU_DEP_2) | instskip(NEXT) | instid1(VALU_DEP_2)
	v_cmp_class_f32_e64 s13, v25, 0x1f8
	v_cmp_neq_f32_e64 s1, v25, v22
	s_delay_alu instid0(VALU_DEP_1) | instskip(NEXT) | instid1(SALU_CYCLE_1)
	s_or_b32 s1, s1, s13
	s_and_saveexec_b32 s13, s1
	s_cbranch_execz .LBB135_44
; %bb.43:
	v_sub_f32_e32 v23, v25, v22
	s_delay_alu instid0(VALU_DEP_1) | instskip(NEXT) | instid1(VALU_DEP_1)
	v_mul_f32_e32 v24, 0x3fb8aa3b, v23
	v_fma_f32 v25, 0x3fb8aa3b, v23, -v24
	v_rndne_f32_e32 v26, v24
	s_delay_alu instid0(VALU_DEP_1) | instskip(NEXT) | instid1(VALU_DEP_1)
	v_dual_fmamk_f32 v25, v23, 0x32a5705f, v25 :: v_dual_sub_f32 v24, v24, v26
	v_add_f32_e32 v24, v24, v25
	v_cvt_i32_f32_e32 v25, v26
	v_cmp_ngt_f32_e64 s1, 0xc2ce8ed0, v23
	s_delay_alu instid0(VALU_DEP_3) | instskip(SKIP_2) | instid1(VALU_DEP_1)
	v_exp_f32_e32 v24, v24
	s_waitcnt_depctr 0xfff
	v_ldexp_f32 v24, v24, v25
	v_cndmask_b32_e64 v24, 0, v24, s1
	v_cmp_nlt_f32_e64 s1, 0x42b17218, v23
	s_delay_alu instid0(VALU_DEP_1) | instskip(NEXT) | instid1(VALU_DEP_1)
	v_cndmask_b32_e64 v25, 0x7f800000, v24, s1
	v_add_f32_e32 v26, 1.0, v25
	v_cmp_gt_f32_e64 s14, 0x33800000, |v25|
	s_delay_alu instid0(VALU_DEP_2) | instskip(NEXT) | instid1(VALU_DEP_1)
	v_cvt_f64_f32_e32 v[23:24], v26
	v_frexp_exp_i32_f64_e32 v23, v[23:24]
	v_frexp_mant_f32_e32 v24, v26
	s_delay_alu instid0(VALU_DEP_1) | instskip(SKIP_1) | instid1(VALU_DEP_1)
	v_cmp_gt_f32_e64 s1, 0x3f2aaaab, v24
	v_add_f32_e32 v24, -1.0, v26
	v_sub_f32_e32 v28, v24, v26
	s_delay_alu instid0(VALU_DEP_3) | instskip(SKIP_1) | instid1(VALU_DEP_1)
	v_subrev_co_ci_u32_e64 v23, s1, 0, v23, s1
	s_mov_b32 s1, 0x3e9b6dac
	v_sub_nc_u32_e32 v27, 0, v23
	v_cvt_f32_i32_e32 v23, v23
	s_delay_alu instid0(VALU_DEP_2) | instskip(NEXT) | instid1(VALU_DEP_1)
	v_ldexp_f32 v26, v26, v27
	v_dual_sub_f32 v24, v25, v24 :: v_dual_add_f32 v29, 1.0, v26
	v_add_f32_e32 v28, 1.0, v28
	s_delay_alu instid0(VALU_DEP_1) | instskip(NEXT) | instid1(VALU_DEP_3)
	v_add_f32_e32 v24, v24, v28
	v_add_f32_e32 v28, -1.0, v29
	s_delay_alu instid0(VALU_DEP_2) | instskip(NEXT) | instid1(VALU_DEP_2)
	v_ldexp_f32 v24, v24, v27
	v_dual_add_f32 v27, -1.0, v26 :: v_dual_sub_f32 v28, v26, v28
	s_delay_alu instid0(VALU_DEP_1) | instskip(NEXT) | instid1(VALU_DEP_2)
	v_add_f32_e32 v30, 1.0, v27
	v_add_f32_e32 v28, v24, v28
	s_delay_alu instid0(VALU_DEP_2) | instskip(NEXT) | instid1(VALU_DEP_2)
	v_sub_f32_e32 v26, v26, v30
	v_add_f32_e32 v30, v29, v28
	s_delay_alu instid0(VALU_DEP_2) | instskip(NEXT) | instid1(VALU_DEP_2)
	v_add_f32_e32 v24, v24, v26
	v_rcp_f32_e32 v26, v30
	v_sub_f32_e32 v29, v29, v30
	s_delay_alu instid0(VALU_DEP_1) | instskip(NEXT) | instid1(VALU_DEP_1)
	v_dual_add_f32 v31, v27, v24 :: v_dual_add_f32 v28, v28, v29
	v_sub_f32_e32 v27, v27, v31
	s_waitcnt_depctr 0xfff
	v_mul_f32_e32 v32, v31, v26
	s_delay_alu instid0(VALU_DEP_1) | instskip(NEXT) | instid1(VALU_DEP_1)
	v_dual_add_f32 v24, v24, v27 :: v_dual_mul_f32 v33, v30, v32
	v_fma_f32 v29, v32, v30, -v33
	s_delay_alu instid0(VALU_DEP_1) | instskip(NEXT) | instid1(VALU_DEP_1)
	v_fmac_f32_e32 v29, v32, v28
	v_add_f32_e32 v34, v33, v29
	s_delay_alu instid0(VALU_DEP_1) | instskip(SKIP_1) | instid1(VALU_DEP_2)
	v_sub_f32_e32 v35, v31, v34
	v_sub_f32_e32 v27, v34, v33
	v_sub_f32_e32 v31, v31, v35
	s_delay_alu instid0(VALU_DEP_2) | instskip(NEXT) | instid1(VALU_DEP_2)
	v_sub_f32_e32 v27, v27, v29
	v_sub_f32_e32 v31, v31, v34
	s_delay_alu instid0(VALU_DEP_1) | instskip(NEXT) | instid1(VALU_DEP_1)
	v_add_f32_e32 v24, v24, v31
	v_add_f32_e32 v24, v27, v24
	s_delay_alu instid0(VALU_DEP_1) | instskip(NEXT) | instid1(VALU_DEP_1)
	v_add_f32_e32 v27, v35, v24
	v_mul_f32_e32 v29, v26, v27
	s_delay_alu instid0(VALU_DEP_1) | instskip(NEXT) | instid1(VALU_DEP_1)
	v_dual_sub_f32 v34, v35, v27 :: v_dual_mul_f32 v31, v30, v29
	v_add_f32_e32 v24, v24, v34
	s_delay_alu instid0(VALU_DEP_2) | instskip(NEXT) | instid1(VALU_DEP_1)
	v_fma_f32 v30, v29, v30, -v31
	v_fmac_f32_e32 v30, v29, v28
	s_delay_alu instid0(VALU_DEP_1) | instskip(NEXT) | instid1(VALU_DEP_1)
	v_add_f32_e32 v28, v31, v30
	v_sub_f32_e32 v33, v27, v28
	v_sub_f32_e32 v31, v28, v31
	s_delay_alu instid0(VALU_DEP_2) | instskip(NEXT) | instid1(VALU_DEP_1)
	v_sub_f32_e32 v27, v27, v33
	v_sub_f32_e32 v27, v27, v28
	s_delay_alu instid0(VALU_DEP_3) | instskip(NEXT) | instid1(VALU_DEP_2)
	v_sub_f32_e32 v28, v31, v30
	v_add_f32_e32 v24, v24, v27
	v_add_f32_e32 v27, v32, v29
	s_delay_alu instid0(VALU_DEP_2) | instskip(NEXT) | instid1(VALU_DEP_2)
	v_add_f32_e32 v24, v28, v24
	v_sub_f32_e32 v28, v27, v32
	s_delay_alu instid0(VALU_DEP_2) | instskip(NEXT) | instid1(VALU_DEP_2)
	v_add_f32_e32 v24, v33, v24
	v_sub_f32_e32 v28, v29, v28
	s_delay_alu instid0(VALU_DEP_2) | instskip(NEXT) | instid1(VALU_DEP_1)
	v_mul_f32_e32 v24, v26, v24
	v_add_f32_e32 v24, v28, v24
	s_delay_alu instid0(VALU_DEP_1) | instskip(NEXT) | instid1(VALU_DEP_1)
	v_add_f32_e32 v26, v27, v24
	v_mul_f32_e32 v28, v26, v26
	s_delay_alu instid0(VALU_DEP_1) | instskip(SKIP_2) | instid1(VALU_DEP_3)
	v_fmaak_f32 v29, s1, v28, 0x3ecc95a3
	v_mul_f32_e32 v30, v26, v28
	v_cmp_eq_f32_e64 s1, 0x7f800000, v25
	v_fmaak_f32 v28, v28, v29, 0x3f2aaada
	v_ldexp_f32 v29, v26, 1
	v_sub_f32_e32 v26, v26, v27
	s_delay_alu instid0(VALU_DEP_4) | instskip(NEXT) | instid1(VALU_DEP_3)
	s_or_b32 s1, s1, s14
	v_mul_f32_e32 v28, v30, v28
	v_mul_f32_e32 v30, 0x3f317218, v23
	s_delay_alu instid0(VALU_DEP_2) | instskip(NEXT) | instid1(VALU_DEP_1)
	v_dual_sub_f32 v24, v24, v26 :: v_dual_add_f32 v27, v29, v28
	v_ldexp_f32 v24, v24, 1
	s_delay_alu instid0(VALU_DEP_2) | instskip(NEXT) | instid1(VALU_DEP_4)
	v_sub_f32_e32 v26, v27, v29
	v_fma_f32 v29, 0x3f317218, v23, -v30
	s_delay_alu instid0(VALU_DEP_1) | instskip(NEXT) | instid1(VALU_DEP_1)
	v_dual_sub_f32 v26, v28, v26 :: v_dual_fmamk_f32 v23, v23, 0xb102e308, v29
	v_add_f32_e32 v24, v24, v26
	s_delay_alu instid0(VALU_DEP_2) | instskip(NEXT) | instid1(VALU_DEP_2)
	v_add_f32_e32 v26, v30, v23
	v_add_f32_e32 v28, v27, v24
	s_delay_alu instid0(VALU_DEP_2) | instskip(NEXT) | instid1(VALU_DEP_2)
	v_sub_f32_e32 v30, v26, v30
	v_add_f32_e32 v29, v26, v28
	v_sub_f32_e32 v27, v28, v27
	s_delay_alu instid0(VALU_DEP_3) | instskip(NEXT) | instid1(VALU_DEP_2)
	v_sub_f32_e32 v23, v23, v30
	v_dual_sub_f32 v31, v29, v26 :: v_dual_sub_f32 v24, v24, v27
	s_delay_alu instid0(VALU_DEP_1) | instskip(NEXT) | instid1(VALU_DEP_2)
	v_sub_f32_e32 v32, v29, v31
	v_dual_sub_f32 v27, v28, v31 :: v_dual_add_f32 v28, v23, v24
	s_delay_alu instid0(VALU_DEP_2) | instskip(NEXT) | instid1(VALU_DEP_1)
	v_sub_f32_e32 v26, v26, v32
	v_dual_add_f32 v26, v27, v26 :: v_dual_sub_f32 v27, v28, v23
	s_delay_alu instid0(VALU_DEP_1) | instskip(NEXT) | instid1(VALU_DEP_2)
	v_add_f32_e32 v26, v28, v26
	v_sub_f32_e32 v28, v28, v27
	v_sub_f32_e32 v24, v24, v27
	s_delay_alu instid0(VALU_DEP_2) | instskip(NEXT) | instid1(VALU_DEP_1)
	v_dual_add_f32 v30, v29, v26 :: v_dual_sub_f32 v23, v23, v28
	v_sub_f32_e32 v27, v30, v29
	s_delay_alu instid0(VALU_DEP_2) | instskip(NEXT) | instid1(VALU_DEP_2)
	v_add_f32_e32 v23, v24, v23
	v_sub_f32_e32 v24, v26, v27
	s_delay_alu instid0(VALU_DEP_1) | instskip(NEXT) | instid1(VALU_DEP_1)
	v_add_f32_e32 v23, v23, v24
	v_add_f32_e32 v23, v30, v23
	s_delay_alu instid0(VALU_DEP_1) | instskip(NEXT) | instid1(VALU_DEP_1)
	v_cndmask_b32_e64 v23, v23, v25, s1
	v_add_f32_e32 v24, v22, v23
.LBB135_44:
	s_or_b32 exec_lo, exec_lo, s13
	s_delay_alu instid0(VALU_DEP_1)
	v_mov_b32_e32 v23, v24
.LBB135_45:
	s_or_b32 exec_lo, exec_lo, s12
	ds_swizzle_b32 v24, v23 offset:swizzle(BROADCAST,32,15)
	v_and_b32_e32 v22, 16, v6
	s_mov_b32 s12, exec_lo
	s_delay_alu instid0(VALU_DEP_1)
	v_cmpx_ne_u32_e32 0, v22
	s_cbranch_execz .LBB135_49
; %bb.46:
	s_waitcnt lgkmcnt(0)
	v_dual_max_f32 v22, v23, v23 :: v_dual_max_f32 v25, v24, v24
	v_cmp_u_f32_e64 s1, v24, v24
	s_delay_alu instid0(VALU_DEP_2) | instskip(SKIP_1) | instid1(VALU_DEP_2)
	v_min_f32_e32 v26, v25, v22
	v_max_f32_e32 v22, v25, v22
	v_cndmask_b32_e64 v25, v26, v24, s1
	s_delay_alu instid0(VALU_DEP_2) | instskip(SKIP_1) | instid1(VALU_DEP_1)
	v_cndmask_b32_e64 v22, v22, v24, s1
	v_cmp_u_f32_e64 s1, v23, v23
	v_cndmask_b32_e64 v25, v25, v23, s1
	s_delay_alu instid0(VALU_DEP_3) | instskip(NEXT) | instid1(VALU_DEP_2)
	v_cndmask_b32_e64 v22, v22, v23, s1
	v_cmp_class_f32_e64 s13, v25, 0x1f8
	s_delay_alu instid0(VALU_DEP_2) | instskip(NEXT) | instid1(VALU_DEP_1)
	v_cmp_neq_f32_e64 s1, v25, v22
	s_or_b32 s1, s1, s13
	s_delay_alu instid0(SALU_CYCLE_1)
	s_and_saveexec_b32 s13, s1
	s_cbranch_execz .LBB135_48
; %bb.47:
	v_sub_f32_e32 v23, v25, v22
	s_delay_alu instid0(VALU_DEP_1) | instskip(NEXT) | instid1(VALU_DEP_1)
	v_mul_f32_e32 v24, 0x3fb8aa3b, v23
	v_fma_f32 v25, 0x3fb8aa3b, v23, -v24
	v_rndne_f32_e32 v26, v24
	s_delay_alu instid0(VALU_DEP_1) | instskip(NEXT) | instid1(VALU_DEP_1)
	v_dual_fmamk_f32 v25, v23, 0x32a5705f, v25 :: v_dual_sub_f32 v24, v24, v26
	v_add_f32_e32 v24, v24, v25
	v_cvt_i32_f32_e32 v25, v26
	v_cmp_ngt_f32_e64 s1, 0xc2ce8ed0, v23
	s_delay_alu instid0(VALU_DEP_3) | instskip(SKIP_2) | instid1(VALU_DEP_1)
	v_exp_f32_e32 v24, v24
	s_waitcnt_depctr 0xfff
	v_ldexp_f32 v24, v24, v25
	v_cndmask_b32_e64 v24, 0, v24, s1
	v_cmp_nlt_f32_e64 s1, 0x42b17218, v23
	s_delay_alu instid0(VALU_DEP_1) | instskip(NEXT) | instid1(VALU_DEP_1)
	v_cndmask_b32_e64 v25, 0x7f800000, v24, s1
	v_add_f32_e32 v26, 1.0, v25
	v_cmp_gt_f32_e64 s14, 0x33800000, |v25|
	s_delay_alu instid0(VALU_DEP_2) | instskip(NEXT) | instid1(VALU_DEP_1)
	v_cvt_f64_f32_e32 v[23:24], v26
	v_frexp_exp_i32_f64_e32 v23, v[23:24]
	v_frexp_mant_f32_e32 v24, v26
	s_delay_alu instid0(VALU_DEP_1) | instskip(SKIP_1) | instid1(VALU_DEP_1)
	v_cmp_gt_f32_e64 s1, 0x3f2aaaab, v24
	v_add_f32_e32 v24, -1.0, v26
	v_sub_f32_e32 v28, v24, v26
	s_delay_alu instid0(VALU_DEP_3) | instskip(SKIP_1) | instid1(VALU_DEP_1)
	v_subrev_co_ci_u32_e64 v23, s1, 0, v23, s1
	s_mov_b32 s1, 0x3e9b6dac
	v_sub_nc_u32_e32 v27, 0, v23
	v_cvt_f32_i32_e32 v23, v23
	s_delay_alu instid0(VALU_DEP_2) | instskip(NEXT) | instid1(VALU_DEP_1)
	v_ldexp_f32 v26, v26, v27
	v_dual_sub_f32 v24, v25, v24 :: v_dual_add_f32 v29, 1.0, v26
	v_add_f32_e32 v28, 1.0, v28
	s_delay_alu instid0(VALU_DEP_1) | instskip(NEXT) | instid1(VALU_DEP_3)
	v_add_f32_e32 v24, v24, v28
	v_add_f32_e32 v28, -1.0, v29
	s_delay_alu instid0(VALU_DEP_2) | instskip(NEXT) | instid1(VALU_DEP_2)
	v_ldexp_f32 v24, v24, v27
	v_dual_add_f32 v27, -1.0, v26 :: v_dual_sub_f32 v28, v26, v28
	s_delay_alu instid0(VALU_DEP_1) | instskip(NEXT) | instid1(VALU_DEP_2)
	v_add_f32_e32 v30, 1.0, v27
	v_add_f32_e32 v28, v24, v28
	s_delay_alu instid0(VALU_DEP_2) | instskip(NEXT) | instid1(VALU_DEP_2)
	v_sub_f32_e32 v26, v26, v30
	v_add_f32_e32 v30, v29, v28
	s_delay_alu instid0(VALU_DEP_2) | instskip(NEXT) | instid1(VALU_DEP_2)
	v_add_f32_e32 v24, v24, v26
	v_rcp_f32_e32 v26, v30
	v_sub_f32_e32 v29, v29, v30
	s_delay_alu instid0(VALU_DEP_1) | instskip(NEXT) | instid1(VALU_DEP_1)
	v_dual_add_f32 v31, v27, v24 :: v_dual_add_f32 v28, v28, v29
	v_sub_f32_e32 v27, v27, v31
	s_waitcnt_depctr 0xfff
	v_mul_f32_e32 v32, v31, v26
	s_delay_alu instid0(VALU_DEP_1) | instskip(NEXT) | instid1(VALU_DEP_1)
	v_dual_add_f32 v24, v24, v27 :: v_dual_mul_f32 v33, v30, v32
	v_fma_f32 v29, v32, v30, -v33
	s_delay_alu instid0(VALU_DEP_1) | instskip(NEXT) | instid1(VALU_DEP_1)
	v_fmac_f32_e32 v29, v32, v28
	v_add_f32_e32 v34, v33, v29
	s_delay_alu instid0(VALU_DEP_1) | instskip(SKIP_1) | instid1(VALU_DEP_2)
	v_sub_f32_e32 v35, v31, v34
	v_sub_f32_e32 v27, v34, v33
	v_sub_f32_e32 v31, v31, v35
	s_delay_alu instid0(VALU_DEP_2) | instskip(NEXT) | instid1(VALU_DEP_2)
	v_sub_f32_e32 v27, v27, v29
	v_sub_f32_e32 v31, v31, v34
	s_delay_alu instid0(VALU_DEP_1) | instskip(NEXT) | instid1(VALU_DEP_1)
	v_add_f32_e32 v24, v24, v31
	v_add_f32_e32 v24, v27, v24
	s_delay_alu instid0(VALU_DEP_1) | instskip(NEXT) | instid1(VALU_DEP_1)
	v_add_f32_e32 v27, v35, v24
	v_mul_f32_e32 v29, v26, v27
	s_delay_alu instid0(VALU_DEP_1) | instskip(NEXT) | instid1(VALU_DEP_1)
	v_dual_sub_f32 v34, v35, v27 :: v_dual_mul_f32 v31, v30, v29
	v_add_f32_e32 v24, v24, v34
	s_delay_alu instid0(VALU_DEP_2) | instskip(NEXT) | instid1(VALU_DEP_1)
	v_fma_f32 v30, v29, v30, -v31
	v_fmac_f32_e32 v30, v29, v28
	s_delay_alu instid0(VALU_DEP_1) | instskip(NEXT) | instid1(VALU_DEP_1)
	v_add_f32_e32 v28, v31, v30
	v_sub_f32_e32 v33, v27, v28
	v_sub_f32_e32 v31, v28, v31
	s_delay_alu instid0(VALU_DEP_2) | instskip(NEXT) | instid1(VALU_DEP_1)
	v_sub_f32_e32 v27, v27, v33
	v_sub_f32_e32 v27, v27, v28
	s_delay_alu instid0(VALU_DEP_3) | instskip(NEXT) | instid1(VALU_DEP_2)
	v_sub_f32_e32 v28, v31, v30
	v_add_f32_e32 v24, v24, v27
	v_add_f32_e32 v27, v32, v29
	s_delay_alu instid0(VALU_DEP_2) | instskip(NEXT) | instid1(VALU_DEP_2)
	v_add_f32_e32 v24, v28, v24
	v_sub_f32_e32 v28, v27, v32
	s_delay_alu instid0(VALU_DEP_2) | instskip(NEXT) | instid1(VALU_DEP_2)
	v_add_f32_e32 v24, v33, v24
	v_sub_f32_e32 v28, v29, v28
	s_delay_alu instid0(VALU_DEP_2) | instskip(NEXT) | instid1(VALU_DEP_1)
	v_mul_f32_e32 v24, v26, v24
	v_add_f32_e32 v24, v28, v24
	s_delay_alu instid0(VALU_DEP_1) | instskip(NEXT) | instid1(VALU_DEP_1)
	v_add_f32_e32 v26, v27, v24
	v_mul_f32_e32 v28, v26, v26
	s_delay_alu instid0(VALU_DEP_1) | instskip(SKIP_2) | instid1(VALU_DEP_3)
	v_fmaak_f32 v29, s1, v28, 0x3ecc95a3
	v_mul_f32_e32 v30, v26, v28
	v_cmp_eq_f32_e64 s1, 0x7f800000, v25
	v_fmaak_f32 v28, v28, v29, 0x3f2aaada
	v_ldexp_f32 v29, v26, 1
	v_sub_f32_e32 v26, v26, v27
	s_delay_alu instid0(VALU_DEP_4) | instskip(NEXT) | instid1(VALU_DEP_3)
	s_or_b32 s1, s1, s14
	v_mul_f32_e32 v28, v30, v28
	v_mul_f32_e32 v30, 0x3f317218, v23
	s_delay_alu instid0(VALU_DEP_2) | instskip(NEXT) | instid1(VALU_DEP_1)
	v_dual_sub_f32 v24, v24, v26 :: v_dual_add_f32 v27, v29, v28
	v_ldexp_f32 v24, v24, 1
	s_delay_alu instid0(VALU_DEP_2) | instskip(NEXT) | instid1(VALU_DEP_4)
	v_sub_f32_e32 v26, v27, v29
	v_fma_f32 v29, 0x3f317218, v23, -v30
	s_delay_alu instid0(VALU_DEP_1) | instskip(NEXT) | instid1(VALU_DEP_1)
	v_dual_sub_f32 v26, v28, v26 :: v_dual_fmamk_f32 v23, v23, 0xb102e308, v29
	v_add_f32_e32 v24, v24, v26
	s_delay_alu instid0(VALU_DEP_2) | instskip(NEXT) | instid1(VALU_DEP_2)
	v_add_f32_e32 v26, v30, v23
	v_add_f32_e32 v28, v27, v24
	s_delay_alu instid0(VALU_DEP_2) | instskip(NEXT) | instid1(VALU_DEP_2)
	v_sub_f32_e32 v30, v26, v30
	v_add_f32_e32 v29, v26, v28
	v_sub_f32_e32 v27, v28, v27
	s_delay_alu instid0(VALU_DEP_3) | instskip(NEXT) | instid1(VALU_DEP_2)
	v_sub_f32_e32 v23, v23, v30
	v_dual_sub_f32 v31, v29, v26 :: v_dual_sub_f32 v24, v24, v27
	s_delay_alu instid0(VALU_DEP_1) | instskip(NEXT) | instid1(VALU_DEP_2)
	v_sub_f32_e32 v32, v29, v31
	v_dual_sub_f32 v27, v28, v31 :: v_dual_add_f32 v28, v23, v24
	s_delay_alu instid0(VALU_DEP_2) | instskip(NEXT) | instid1(VALU_DEP_1)
	v_sub_f32_e32 v26, v26, v32
	v_dual_add_f32 v26, v27, v26 :: v_dual_sub_f32 v27, v28, v23
	s_delay_alu instid0(VALU_DEP_1) | instskip(NEXT) | instid1(VALU_DEP_2)
	v_add_f32_e32 v26, v28, v26
	v_sub_f32_e32 v28, v28, v27
	v_sub_f32_e32 v24, v24, v27
	s_delay_alu instid0(VALU_DEP_2) | instskip(NEXT) | instid1(VALU_DEP_1)
	v_dual_add_f32 v30, v29, v26 :: v_dual_sub_f32 v23, v23, v28
	v_sub_f32_e32 v27, v30, v29
	s_delay_alu instid0(VALU_DEP_2) | instskip(NEXT) | instid1(VALU_DEP_2)
	v_add_f32_e32 v23, v24, v23
	v_sub_f32_e32 v24, v26, v27
	s_delay_alu instid0(VALU_DEP_1) | instskip(NEXT) | instid1(VALU_DEP_1)
	v_add_f32_e32 v23, v23, v24
	v_add_f32_e32 v23, v30, v23
	s_delay_alu instid0(VALU_DEP_1) | instskip(NEXT) | instid1(VALU_DEP_1)
	v_cndmask_b32_e64 v23, v23, v25, s1
	v_add_f32_e32 v24, v22, v23
.LBB135_48:
	s_or_b32 exec_lo, exec_lo, s13
	s_delay_alu instid0(VALU_DEP_1)
	v_mov_b32_e32 v23, v24
.LBB135_49:
	s_or_b32 exec_lo, exec_lo, s12
	v_add_nc_u32_e32 v22, -1, v6
	s_delay_alu instid0(VALU_DEP_1) | instskip(NEXT) | instid1(VALU_DEP_1)
	v_cmp_gt_i32_e64 s1, 0, v22
	v_cndmask_b32_e64 v6, v22, v6, s1
	s_delay_alu instid0(VALU_DEP_1) | instskip(SKIP_4) | instid1(VALU_DEP_2)
	v_lshlrev_b32_e32 v6, 2, v6
	ds_bpermute_b32 v6, v6, v23
	s_waitcnt lgkmcnt(0)
	v_max_f32_e32 v22, v6, v6
	v_cmp_u_f32_e64 s1, v6, v6
	v_min_f32_e32 v23, v22, v21
	v_max_f32_e32 v21, v22, v21
	s_delay_alu instid0(VALU_DEP_2) | instskip(NEXT) | instid1(VALU_DEP_2)
	v_cndmask_b32_e64 v22, v23, v6, s1
	v_cndmask_b32_e64 v23, v21, v6, s1
	s_delay_alu instid0(VALU_DEP_2) | instskip(NEXT) | instid1(VALU_DEP_2)
	v_cndmask_b32_e64 v21, v22, v5, s0
	v_cndmask_b32_e64 v5, v23, v5, s0
	s_delay_alu instid0(VALU_DEP_2) | instskip(NEXT) | instid1(VALU_DEP_2)
	v_cmp_class_f32_e64 s1, v21, 0x1f8
	v_cmp_neq_f32_e64 s0, v21, v5
	s_delay_alu instid0(VALU_DEP_1) | instskip(NEXT) | instid1(SALU_CYCLE_1)
	s_or_b32 s0, s0, s1
	s_and_saveexec_b32 s1, s0
	s_cbranch_execz .LBB135_51
; %bb.50:
	v_sub_f32_e32 v6, v21, v5
	s_delay_alu instid0(VALU_DEP_1) | instskip(SKIP_1) | instid1(VALU_DEP_2)
	v_mul_f32_e32 v21, 0x3fb8aa3b, v6
	v_cmp_ngt_f32_e64 s0, 0xc2ce8ed0, v6
	v_fma_f32 v22, 0x3fb8aa3b, v6, -v21
	v_rndne_f32_e32 v23, v21
	s_delay_alu instid0(VALU_DEP_1) | instskip(NEXT) | instid1(VALU_DEP_1)
	v_dual_fmamk_f32 v22, v6, 0x32a5705f, v22 :: v_dual_sub_f32 v21, v21, v23
	v_add_f32_e32 v21, v21, v22
	v_cvt_i32_f32_e32 v22, v23
	s_delay_alu instid0(VALU_DEP_2) | instskip(SKIP_2) | instid1(VALU_DEP_1)
	v_exp_f32_e32 v21, v21
	s_waitcnt_depctr 0xfff
	v_ldexp_f32 v21, v21, v22
	v_cndmask_b32_e64 v21, 0, v21, s0
	v_cmp_nlt_f32_e64 s0, 0x42b17218, v6
	s_delay_alu instid0(VALU_DEP_1) | instskip(NEXT) | instid1(VALU_DEP_1)
	v_cndmask_b32_e64 v6, 0x7f800000, v21, s0
	v_add_f32_e32 v23, 1.0, v6
	v_cmp_gt_f32_e64 s12, 0x33800000, |v6|
	s_delay_alu instid0(VALU_DEP_2) | instskip(NEXT) | instid1(VALU_DEP_1)
	v_cvt_f64_f32_e32 v[21:22], v23
	v_frexp_exp_i32_f64_e32 v21, v[21:22]
	v_frexp_mant_f32_e32 v22, v23
	s_delay_alu instid0(VALU_DEP_1) | instskip(SKIP_1) | instid1(VALU_DEP_1)
	v_cmp_gt_f32_e64 s0, 0x3f2aaaab, v22
	v_add_f32_e32 v22, -1.0, v23
	v_sub_f32_e32 v25, v22, v23
	s_delay_alu instid0(VALU_DEP_1) | instskip(NEXT) | instid1(VALU_DEP_1)
	v_dual_sub_f32 v22, v6, v22 :: v_dual_add_f32 v25, 1.0, v25
	v_add_f32_e32 v22, v22, v25
	v_subrev_co_ci_u32_e64 v21, s0, 0, v21, s0
	s_mov_b32 s0, 0x3e9b6dac
	s_delay_alu instid0(VALU_DEP_1) | instskip(SKIP_1) | instid1(VALU_DEP_2)
	v_sub_nc_u32_e32 v24, 0, v21
	v_cvt_f32_i32_e32 v21, v21
	v_ldexp_f32 v23, v23, v24
	v_ldexp_f32 v22, v22, v24
	s_delay_alu instid0(VALU_DEP_2) | instskip(NEXT) | instid1(VALU_DEP_1)
	v_add_f32_e32 v26, 1.0, v23
	v_dual_add_f32 v24, -1.0, v23 :: v_dual_add_f32 v25, -1.0, v26
	s_delay_alu instid0(VALU_DEP_1) | instskip(NEXT) | instid1(VALU_DEP_2)
	v_add_f32_e32 v27, 1.0, v24
	v_sub_f32_e32 v25, v23, v25
	s_delay_alu instid0(VALU_DEP_2) | instskip(NEXT) | instid1(VALU_DEP_2)
	v_sub_f32_e32 v23, v23, v27
	v_add_f32_e32 v25, v22, v25
	s_delay_alu instid0(VALU_DEP_2) | instskip(NEXT) | instid1(VALU_DEP_1)
	v_add_f32_e32 v22, v22, v23
	v_dual_add_f32 v28, v24, v22 :: v_dual_add_f32 v27, v26, v25
	s_delay_alu instid0(VALU_DEP_1) | instskip(NEXT) | instid1(VALU_DEP_2)
	v_sub_f32_e32 v24, v24, v28
	v_rcp_f32_e32 v23, v27
	v_sub_f32_e32 v26, v26, v27
	s_delay_alu instid0(VALU_DEP_1) | instskip(SKIP_2) | instid1(VALU_DEP_1)
	v_dual_add_f32 v22, v22, v24 :: v_dual_add_f32 v25, v25, v26
	s_waitcnt_depctr 0xfff
	v_mul_f32_e32 v29, v28, v23
	v_mul_f32_e32 v30, v27, v29
	s_delay_alu instid0(VALU_DEP_1) | instskip(NEXT) | instid1(VALU_DEP_1)
	v_fma_f32 v26, v29, v27, -v30
	v_fmac_f32_e32 v26, v29, v25
	s_delay_alu instid0(VALU_DEP_1) | instskip(NEXT) | instid1(VALU_DEP_1)
	v_add_f32_e32 v31, v30, v26
	v_sub_f32_e32 v32, v28, v31
	s_delay_alu instid0(VALU_DEP_1) | instskip(SKIP_1) | instid1(VALU_DEP_2)
	v_sub_f32_e32 v28, v28, v32
	v_sub_f32_e32 v24, v31, v30
	;; [unrolled: 1-line block ×3, first 2 shown]
	s_delay_alu instid0(VALU_DEP_2) | instskip(NEXT) | instid1(VALU_DEP_2)
	v_sub_f32_e32 v24, v24, v26
	v_add_f32_e32 v22, v22, v28
	s_delay_alu instid0(VALU_DEP_1) | instskip(NEXT) | instid1(VALU_DEP_1)
	v_add_f32_e32 v22, v24, v22
	v_add_f32_e32 v24, v32, v22
	s_delay_alu instid0(VALU_DEP_1) | instskip(NEXT) | instid1(VALU_DEP_1)
	v_mul_f32_e32 v26, v23, v24
	v_dual_sub_f32 v31, v32, v24 :: v_dual_mul_f32 v28, v27, v26
	s_delay_alu instid0(VALU_DEP_1) | instskip(NEXT) | instid1(VALU_DEP_2)
	v_add_f32_e32 v22, v22, v31
	v_fma_f32 v27, v26, v27, -v28
	s_delay_alu instid0(VALU_DEP_1) | instskip(NEXT) | instid1(VALU_DEP_1)
	v_fmac_f32_e32 v27, v26, v25
	v_add_f32_e32 v25, v28, v27
	s_delay_alu instid0(VALU_DEP_1) | instskip(SKIP_1) | instid1(VALU_DEP_2)
	v_sub_f32_e32 v30, v24, v25
	v_sub_f32_e32 v28, v25, v28
	;; [unrolled: 1-line block ×3, first 2 shown]
	s_delay_alu instid0(VALU_DEP_1) | instskip(NEXT) | instid1(VALU_DEP_1)
	v_sub_f32_e32 v24, v24, v25
	v_dual_sub_f32 v25, v28, v27 :: v_dual_add_f32 v22, v22, v24
	v_add_f32_e32 v24, v29, v26
	s_delay_alu instid0(VALU_DEP_1) | instskip(NEXT) | instid1(VALU_DEP_1)
	v_dual_add_f32 v22, v25, v22 :: v_dual_sub_f32 v25, v24, v29
	v_add_f32_e32 v22, v30, v22
	s_delay_alu instid0(VALU_DEP_1) | instskip(NEXT) | instid1(VALU_DEP_1)
	v_dual_sub_f32 v25, v26, v25 :: v_dual_mul_f32 v22, v23, v22
	v_add_f32_e32 v22, v25, v22
	s_delay_alu instid0(VALU_DEP_1) | instskip(NEXT) | instid1(VALU_DEP_1)
	v_add_f32_e32 v23, v24, v22
	v_mul_f32_e32 v25, v23, v23
	s_delay_alu instid0(VALU_DEP_1) | instskip(SKIP_2) | instid1(VALU_DEP_3)
	v_fmaak_f32 v26, s0, v25, 0x3ecc95a3
	v_mul_f32_e32 v27, v23, v25
	v_cmp_eq_f32_e64 s0, 0x7f800000, v6
	v_fmaak_f32 v25, v25, v26, 0x3f2aaada
	v_ldexp_f32 v26, v23, 1
	v_sub_f32_e32 v23, v23, v24
	s_delay_alu instid0(VALU_DEP_4) | instskip(NEXT) | instid1(VALU_DEP_3)
	s_or_b32 s0, s0, s12
	v_mul_f32_e32 v25, v27, v25
	s_delay_alu instid0(VALU_DEP_2) | instskip(NEXT) | instid1(VALU_DEP_2)
	v_dual_mul_f32 v27, 0x3f317218, v21 :: v_dual_sub_f32 v22, v22, v23
	v_add_f32_e32 v24, v26, v25
	s_delay_alu instid0(VALU_DEP_2) | instskip(NEXT) | instid1(VALU_DEP_2)
	v_ldexp_f32 v22, v22, 1
	v_sub_f32_e32 v23, v24, v26
	s_delay_alu instid0(VALU_DEP_4) | instskip(NEXT) | instid1(VALU_DEP_2)
	v_fma_f32 v26, 0x3f317218, v21, -v27
	v_sub_f32_e32 v23, v25, v23
	s_delay_alu instid0(VALU_DEP_1) | instskip(NEXT) | instid1(VALU_DEP_1)
	v_dual_fmamk_f32 v21, v21, 0xb102e308, v26 :: v_dual_add_f32 v22, v22, v23
	v_add_f32_e32 v23, v27, v21
	s_delay_alu instid0(VALU_DEP_1) | instskip(NEXT) | instid1(VALU_DEP_1)
	v_sub_f32_e32 v27, v23, v27
	v_sub_f32_e32 v21, v21, v27
	s_delay_alu instid0(VALU_DEP_4) | instskip(NEXT) | instid1(VALU_DEP_1)
	v_add_f32_e32 v25, v24, v22
	v_sub_f32_e32 v24, v25, v24
	s_delay_alu instid0(VALU_DEP_1) | instskip(SKIP_1) | instid1(VALU_DEP_1)
	v_sub_f32_e32 v22, v22, v24
	v_add_f32_e32 v26, v23, v25
	v_sub_f32_e32 v28, v26, v23
	s_delay_alu instid0(VALU_DEP_1) | instskip(NEXT) | instid1(VALU_DEP_4)
	v_sub_f32_e32 v24, v25, v28
	v_add_f32_e32 v25, v21, v22
	v_sub_f32_e32 v29, v26, v28
	s_delay_alu instid0(VALU_DEP_1) | instskip(NEXT) | instid1(VALU_DEP_1)
	v_sub_f32_e32 v23, v23, v29
	v_dual_add_f32 v23, v24, v23 :: v_dual_sub_f32 v24, v25, v21
	s_delay_alu instid0(VALU_DEP_1) | instskip(SKIP_1) | instid1(VALU_DEP_2)
	v_dual_add_f32 v23, v25, v23 :: v_dual_sub_f32 v22, v22, v24
	v_sub_f32_e32 v25, v25, v24
	v_add_f32_e32 v27, v26, v23
	s_delay_alu instid0(VALU_DEP_1) | instskip(NEXT) | instid1(VALU_DEP_1)
	v_dual_sub_f32 v21, v21, v25 :: v_dual_sub_f32 v24, v27, v26
	v_dual_add_f32 v21, v22, v21 :: v_dual_sub_f32 v22, v23, v24
	s_delay_alu instid0(VALU_DEP_1) | instskip(NEXT) | instid1(VALU_DEP_1)
	v_add_f32_e32 v21, v21, v22
	v_add_f32_e32 v21, v27, v21
	s_delay_alu instid0(VALU_DEP_1) | instskip(NEXT) | instid1(VALU_DEP_1)
	v_cndmask_b32_e64 v6, v21, v6, s0
	v_add_f32_e32 v6, v5, v6
.LBB135_51:
	s_or_b32 exec_lo, exec_lo, s1
	v_cmp_eq_u32_e64 s0, 0, v0
	; wave barrier
	s_delay_alu instid0(VALU_DEP_1)
	v_cndmask_b32_e64 v5, v6, v19, s0
	ds_store_b32 v20, v5
	; wave barrier
	ds_load_b32 v6, v20 offset:4
	v_max_f32_e32 v21, v5, v5
	v_cmp_u_f32_e64 s0, v5, v5
	s_waitcnt lgkmcnt(0)
	v_max_f32_e32 v22, v6, v6
	s_delay_alu instid0(VALU_DEP_1) | instskip(SKIP_1) | instid1(VALU_DEP_2)
	v_min_f32_e32 v23, v21, v22
	v_max_f32_e32 v21, v21, v22
	v_cndmask_b32_e64 v22, v23, v5, s0
	s_delay_alu instid0(VALU_DEP_2) | instskip(SKIP_1) | instid1(VALU_DEP_1)
	v_cndmask_b32_e64 v23, v21, v5, s0
	v_cmp_u_f32_e64 s0, v6, v6
	v_cndmask_b32_e64 v21, v22, v6, s0
	s_delay_alu instid0(VALU_DEP_3) | instskip(NEXT) | instid1(VALU_DEP_2)
	v_cndmask_b32_e64 v6, v23, v6, s0
	v_cmp_class_f32_e64 s1, v21, 0x1f8
	s_delay_alu instid0(VALU_DEP_2) | instskip(NEXT) | instid1(VALU_DEP_1)
	v_cmp_neq_f32_e64 s0, v21, v6
	s_or_b32 s0, s0, s1
	s_delay_alu instid0(SALU_CYCLE_1)
	s_and_saveexec_b32 s1, s0
	s_cbranch_execz .LBB135_53
; %bb.52:
	v_sub_f32_e32 v5, v21, v6
	s_delay_alu instid0(VALU_DEP_1) | instskip(SKIP_1) | instid1(VALU_DEP_2)
	v_mul_f32_e32 v21, 0x3fb8aa3b, v5
	v_cmp_ngt_f32_e64 s0, 0xc2ce8ed0, v5
	v_fma_f32 v22, 0x3fb8aa3b, v5, -v21
	v_rndne_f32_e32 v23, v21
	s_delay_alu instid0(VALU_DEP_2) | instskip(NEXT) | instid1(VALU_DEP_2)
	v_fmamk_f32 v22, v5, 0x32a5705f, v22
	v_sub_f32_e32 v21, v21, v23
	s_delay_alu instid0(VALU_DEP_1) | instskip(SKIP_1) | instid1(VALU_DEP_2)
	v_add_f32_e32 v21, v21, v22
	v_cvt_i32_f32_e32 v22, v23
	v_exp_f32_e32 v21, v21
	s_waitcnt_depctr 0xfff
	v_ldexp_f32 v21, v21, v22
	s_delay_alu instid0(VALU_DEP_1) | instskip(SKIP_1) | instid1(VALU_DEP_1)
	v_cndmask_b32_e64 v21, 0, v21, s0
	v_cmp_nlt_f32_e64 s0, 0x42b17218, v5
	v_cndmask_b32_e64 v5, 0x7f800000, v21, s0
	s_delay_alu instid0(VALU_DEP_1) | instskip(SKIP_1) | instid1(VALU_DEP_2)
	v_add_f32_e32 v23, 1.0, v5
	v_cmp_gt_f32_e64 s12, 0x33800000, |v5|
	v_cvt_f64_f32_e32 v[21:22], v23
	s_delay_alu instid0(VALU_DEP_1) | instskip(SKIP_1) | instid1(VALU_DEP_1)
	v_frexp_exp_i32_f64_e32 v21, v[21:22]
	v_frexp_mant_f32_e32 v22, v23
	v_cmp_gt_f32_e64 s0, 0x3f2aaaab, v22
	v_add_f32_e32 v22, -1.0, v23
	s_delay_alu instid0(VALU_DEP_1) | instskip(NEXT) | instid1(VALU_DEP_3)
	v_dual_sub_f32 v25, v22, v23 :: v_dual_sub_f32 v22, v5, v22
	v_subrev_co_ci_u32_e64 v21, s0, 0, v21, s0
	s_mov_b32 s0, 0x3e9b6dac
	s_delay_alu instid0(VALU_DEP_1) | instskip(SKIP_1) | instid1(VALU_DEP_2)
	v_sub_nc_u32_e32 v24, 0, v21
	v_cvt_f32_i32_e32 v21, v21
	v_ldexp_f32 v23, v23, v24
	s_delay_alu instid0(VALU_DEP_1) | instskip(NEXT) | instid1(VALU_DEP_1)
	v_dual_add_f32 v25, 1.0, v25 :: v_dual_add_f32 v26, 1.0, v23
	v_add_f32_e32 v22, v22, v25
	s_delay_alu instid0(VALU_DEP_1) | instskip(NEXT) | instid1(VALU_DEP_3)
	v_ldexp_f32 v22, v22, v24
	v_dual_add_f32 v24, -1.0, v23 :: v_dual_add_f32 v25, -1.0, v26
	s_delay_alu instid0(VALU_DEP_1) | instskip(NEXT) | instid1(VALU_DEP_2)
	v_add_f32_e32 v27, 1.0, v24
	v_sub_f32_e32 v25, v23, v25
	s_delay_alu instid0(VALU_DEP_2) | instskip(NEXT) | instid1(VALU_DEP_2)
	v_sub_f32_e32 v23, v23, v27
	v_add_f32_e32 v25, v22, v25
	s_delay_alu instid0(VALU_DEP_2) | instskip(NEXT) | instid1(VALU_DEP_1)
	v_add_f32_e32 v22, v22, v23
	v_dual_add_f32 v28, v24, v22 :: v_dual_add_f32 v27, v26, v25
	s_delay_alu instid0(VALU_DEP_1) | instskip(NEXT) | instid1(VALU_DEP_2)
	v_sub_f32_e32 v24, v24, v28
	v_rcp_f32_e32 v23, v27
	v_sub_f32_e32 v26, v26, v27
	s_delay_alu instid0(VALU_DEP_1) | instskip(SKIP_2) | instid1(VALU_DEP_1)
	v_dual_add_f32 v22, v22, v24 :: v_dual_add_f32 v25, v25, v26
	s_waitcnt_depctr 0xfff
	v_mul_f32_e32 v29, v28, v23
	v_mul_f32_e32 v30, v27, v29
	s_delay_alu instid0(VALU_DEP_1) | instskip(NEXT) | instid1(VALU_DEP_1)
	v_fma_f32 v26, v29, v27, -v30
	v_fmac_f32_e32 v26, v29, v25
	s_delay_alu instid0(VALU_DEP_1) | instskip(NEXT) | instid1(VALU_DEP_1)
	v_add_f32_e32 v31, v30, v26
	v_sub_f32_e32 v32, v28, v31
	v_sub_f32_e32 v24, v31, v30
	s_delay_alu instid0(VALU_DEP_2) | instskip(NEXT) | instid1(VALU_DEP_2)
	v_sub_f32_e32 v28, v28, v32
	v_sub_f32_e32 v24, v24, v26
	s_delay_alu instid0(VALU_DEP_2) | instskip(NEXT) | instid1(VALU_DEP_1)
	v_sub_f32_e32 v28, v28, v31
	v_add_f32_e32 v22, v22, v28
	s_delay_alu instid0(VALU_DEP_1) | instskip(NEXT) | instid1(VALU_DEP_1)
	v_add_f32_e32 v22, v24, v22
	v_add_f32_e32 v24, v32, v22
	s_delay_alu instid0(VALU_DEP_1) | instskip(NEXT) | instid1(VALU_DEP_1)
	v_mul_f32_e32 v26, v23, v24
	v_dual_sub_f32 v31, v32, v24 :: v_dual_mul_f32 v28, v27, v26
	s_delay_alu instid0(VALU_DEP_1) | instskip(NEXT) | instid1(VALU_DEP_2)
	v_add_f32_e32 v22, v22, v31
	v_fma_f32 v27, v26, v27, -v28
	s_delay_alu instid0(VALU_DEP_1) | instskip(NEXT) | instid1(VALU_DEP_1)
	v_fmac_f32_e32 v27, v26, v25
	v_add_f32_e32 v25, v28, v27
	s_delay_alu instid0(VALU_DEP_1) | instskip(NEXT) | instid1(VALU_DEP_1)
	v_sub_f32_e32 v30, v24, v25
	v_sub_f32_e32 v24, v24, v30
	s_delay_alu instid0(VALU_DEP_1) | instskip(NEXT) | instid1(VALU_DEP_1)
	v_sub_f32_e32 v24, v24, v25
	v_add_f32_e32 v22, v22, v24
	v_add_f32_e32 v24, v29, v26
	v_sub_f32_e32 v28, v25, v28
	s_delay_alu instid0(VALU_DEP_1) | instskip(NEXT) | instid1(VALU_DEP_1)
	v_sub_f32_e32 v25, v28, v27
	v_dual_add_f32 v22, v25, v22 :: v_dual_sub_f32 v25, v24, v29
	s_delay_alu instid0(VALU_DEP_1) | instskip(NEXT) | instid1(VALU_DEP_1)
	v_add_f32_e32 v22, v30, v22
	v_dual_sub_f32 v25, v26, v25 :: v_dual_mul_f32 v22, v23, v22
	s_delay_alu instid0(VALU_DEP_1) | instskip(NEXT) | instid1(VALU_DEP_1)
	v_add_f32_e32 v22, v25, v22
	v_add_f32_e32 v23, v24, v22
	s_delay_alu instid0(VALU_DEP_1) | instskip(NEXT) | instid1(VALU_DEP_1)
	v_mul_f32_e32 v25, v23, v23
	v_fmaak_f32 v26, s0, v25, 0x3ecc95a3
	v_mul_f32_e32 v27, v23, v25
	v_cmp_eq_f32_e64 s0, 0x7f800000, v5
	s_delay_alu instid0(VALU_DEP_3) | instskip(SKIP_2) | instid1(VALU_DEP_4)
	v_fmaak_f32 v25, v25, v26, 0x3f2aaada
	v_ldexp_f32 v26, v23, 1
	v_sub_f32_e32 v23, v23, v24
	s_or_b32 s0, s0, s12
	s_delay_alu instid0(VALU_DEP_3) | instskip(NEXT) | instid1(VALU_DEP_2)
	v_mul_f32_e32 v25, v27, v25
	v_dual_mul_f32 v27, 0x3f317218, v21 :: v_dual_sub_f32 v22, v22, v23
	s_delay_alu instid0(VALU_DEP_2) | instskip(NEXT) | instid1(VALU_DEP_2)
	v_add_f32_e32 v24, v26, v25
	v_ldexp_f32 v22, v22, 1
	s_delay_alu instid0(VALU_DEP_2) | instskip(NEXT) | instid1(VALU_DEP_4)
	v_sub_f32_e32 v23, v24, v26
	v_fma_f32 v26, 0x3f317218, v21, -v27
	s_delay_alu instid0(VALU_DEP_2) | instskip(NEXT) | instid1(VALU_DEP_1)
	v_sub_f32_e32 v23, v25, v23
	v_dual_fmamk_f32 v21, v21, 0xb102e308, v26 :: v_dual_add_f32 v22, v22, v23
	s_delay_alu instid0(VALU_DEP_1) | instskip(NEXT) | instid1(VALU_DEP_1)
	v_add_f32_e32 v23, v27, v21
	v_sub_f32_e32 v27, v23, v27
	s_delay_alu instid0(VALU_DEP_1) | instskip(NEXT) | instid1(VALU_DEP_4)
	v_sub_f32_e32 v21, v21, v27
	v_add_f32_e32 v25, v24, v22
	s_delay_alu instid0(VALU_DEP_1) | instskip(NEXT) | instid1(VALU_DEP_1)
	v_sub_f32_e32 v24, v25, v24
	v_sub_f32_e32 v22, v22, v24
	v_add_f32_e32 v26, v23, v25
	s_delay_alu instid0(VALU_DEP_1) | instskip(NEXT) | instid1(VALU_DEP_1)
	v_sub_f32_e32 v28, v26, v23
	v_sub_f32_e32 v24, v25, v28
	s_delay_alu instid0(VALU_DEP_4) | instskip(SKIP_1) | instid1(VALU_DEP_1)
	v_add_f32_e32 v25, v21, v22
	v_sub_f32_e32 v29, v26, v28
	v_sub_f32_e32 v23, v23, v29
	s_delay_alu instid0(VALU_DEP_1) | instskip(NEXT) | instid1(VALU_DEP_1)
	v_dual_add_f32 v23, v24, v23 :: v_dual_sub_f32 v24, v25, v21
	v_dual_add_f32 v23, v25, v23 :: v_dual_sub_f32 v22, v22, v24
	v_sub_f32_e32 v25, v25, v24
	s_delay_alu instid0(VALU_DEP_2) | instskip(NEXT) | instid1(VALU_DEP_1)
	v_add_f32_e32 v27, v26, v23
	v_dual_sub_f32 v21, v21, v25 :: v_dual_sub_f32 v24, v27, v26
	s_delay_alu instid0(VALU_DEP_1) | instskip(NEXT) | instid1(VALU_DEP_1)
	v_dual_add_f32 v21, v22, v21 :: v_dual_sub_f32 v22, v23, v24
	v_add_f32_e32 v21, v21, v22
	s_delay_alu instid0(VALU_DEP_1) | instskip(NEXT) | instid1(VALU_DEP_1)
	v_add_f32_e32 v21, v27, v21
	v_cndmask_b32_e64 v5, v21, v5, s0
	s_delay_alu instid0(VALU_DEP_1)
	v_add_f32_e32 v5, v6, v5
.LBB135_53:
	s_or_b32 exec_lo, exec_lo, s1
	ds_load_b32 v6, v20 offset:8
	v_max_f32_e32 v21, v5, v5
	v_cmp_u_f32_e64 s0, v5, v5
	ds_store_b32 v20, v5 offset:4
	s_waitcnt lgkmcnt(1)
	v_max_f32_e32 v22, v6, v6
	s_delay_alu instid0(VALU_DEP_1) | instskip(SKIP_1) | instid1(VALU_DEP_2)
	v_min_f32_e32 v23, v21, v22
	v_max_f32_e32 v21, v21, v22
	v_cndmask_b32_e64 v22, v23, v5, s0
	s_delay_alu instid0(VALU_DEP_2) | instskip(SKIP_1) | instid1(VALU_DEP_1)
	v_cndmask_b32_e64 v23, v21, v5, s0
	v_cmp_u_f32_e64 s0, v6, v6
	v_cndmask_b32_e64 v21, v22, v6, s0
	s_delay_alu instid0(VALU_DEP_3) | instskip(NEXT) | instid1(VALU_DEP_2)
	v_cndmask_b32_e64 v6, v23, v6, s0
	v_cmp_class_f32_e64 s1, v21, 0x1f8
	s_delay_alu instid0(VALU_DEP_2) | instskip(NEXT) | instid1(VALU_DEP_1)
	v_cmp_neq_f32_e64 s0, v21, v6
	s_or_b32 s0, s0, s1
	s_delay_alu instid0(SALU_CYCLE_1)
	s_and_saveexec_b32 s1, s0
	s_cbranch_execz .LBB135_55
; %bb.54:
	v_sub_f32_e32 v5, v21, v6
	s_delay_alu instid0(VALU_DEP_1) | instskip(SKIP_1) | instid1(VALU_DEP_2)
	v_mul_f32_e32 v21, 0x3fb8aa3b, v5
	v_cmp_ngt_f32_e64 s0, 0xc2ce8ed0, v5
	v_fma_f32 v22, 0x3fb8aa3b, v5, -v21
	v_rndne_f32_e32 v23, v21
	s_delay_alu instid0(VALU_DEP_2) | instskip(NEXT) | instid1(VALU_DEP_2)
	v_fmamk_f32 v22, v5, 0x32a5705f, v22
	v_sub_f32_e32 v21, v21, v23
	s_delay_alu instid0(VALU_DEP_1) | instskip(SKIP_1) | instid1(VALU_DEP_2)
	v_add_f32_e32 v21, v21, v22
	v_cvt_i32_f32_e32 v22, v23
	v_exp_f32_e32 v21, v21
	s_waitcnt_depctr 0xfff
	v_ldexp_f32 v21, v21, v22
	s_delay_alu instid0(VALU_DEP_1) | instskip(SKIP_1) | instid1(VALU_DEP_1)
	v_cndmask_b32_e64 v21, 0, v21, s0
	v_cmp_nlt_f32_e64 s0, 0x42b17218, v5
	v_cndmask_b32_e64 v5, 0x7f800000, v21, s0
	s_delay_alu instid0(VALU_DEP_1) | instskip(SKIP_1) | instid1(VALU_DEP_2)
	v_add_f32_e32 v23, 1.0, v5
	v_cmp_gt_f32_e64 s12, 0x33800000, |v5|
	v_cvt_f64_f32_e32 v[21:22], v23
	s_delay_alu instid0(VALU_DEP_1) | instskip(SKIP_1) | instid1(VALU_DEP_1)
	v_frexp_exp_i32_f64_e32 v21, v[21:22]
	v_frexp_mant_f32_e32 v22, v23
	v_cmp_gt_f32_e64 s0, 0x3f2aaaab, v22
	v_add_f32_e32 v22, -1.0, v23
	s_delay_alu instid0(VALU_DEP_1) | instskip(NEXT) | instid1(VALU_DEP_3)
	v_dual_sub_f32 v25, v22, v23 :: v_dual_sub_f32 v22, v5, v22
	v_subrev_co_ci_u32_e64 v21, s0, 0, v21, s0
	s_mov_b32 s0, 0x3e9b6dac
	s_delay_alu instid0(VALU_DEP_1) | instskip(SKIP_1) | instid1(VALU_DEP_2)
	v_sub_nc_u32_e32 v24, 0, v21
	v_cvt_f32_i32_e32 v21, v21
	v_ldexp_f32 v23, v23, v24
	s_delay_alu instid0(VALU_DEP_1) | instskip(NEXT) | instid1(VALU_DEP_1)
	v_dual_add_f32 v25, 1.0, v25 :: v_dual_add_f32 v26, 1.0, v23
	v_add_f32_e32 v22, v22, v25
	s_delay_alu instid0(VALU_DEP_1) | instskip(NEXT) | instid1(VALU_DEP_3)
	v_ldexp_f32 v22, v22, v24
	v_dual_add_f32 v24, -1.0, v23 :: v_dual_add_f32 v25, -1.0, v26
	s_delay_alu instid0(VALU_DEP_1) | instskip(NEXT) | instid1(VALU_DEP_2)
	v_add_f32_e32 v27, 1.0, v24
	v_sub_f32_e32 v25, v23, v25
	s_delay_alu instid0(VALU_DEP_2) | instskip(NEXT) | instid1(VALU_DEP_2)
	v_sub_f32_e32 v23, v23, v27
	v_add_f32_e32 v25, v22, v25
	s_delay_alu instid0(VALU_DEP_2) | instskip(NEXT) | instid1(VALU_DEP_1)
	v_add_f32_e32 v22, v22, v23
	v_dual_add_f32 v28, v24, v22 :: v_dual_add_f32 v27, v26, v25
	s_delay_alu instid0(VALU_DEP_1) | instskip(NEXT) | instid1(VALU_DEP_2)
	v_sub_f32_e32 v24, v24, v28
	v_rcp_f32_e32 v23, v27
	v_sub_f32_e32 v26, v26, v27
	s_delay_alu instid0(VALU_DEP_1) | instskip(SKIP_2) | instid1(VALU_DEP_1)
	v_dual_add_f32 v22, v22, v24 :: v_dual_add_f32 v25, v25, v26
	s_waitcnt_depctr 0xfff
	v_mul_f32_e32 v29, v28, v23
	v_mul_f32_e32 v30, v27, v29
	s_delay_alu instid0(VALU_DEP_1) | instskip(NEXT) | instid1(VALU_DEP_1)
	v_fma_f32 v26, v29, v27, -v30
	v_fmac_f32_e32 v26, v29, v25
	s_delay_alu instid0(VALU_DEP_1) | instskip(NEXT) | instid1(VALU_DEP_1)
	v_add_f32_e32 v31, v30, v26
	v_sub_f32_e32 v32, v28, v31
	v_sub_f32_e32 v24, v31, v30
	s_delay_alu instid0(VALU_DEP_2) | instskip(NEXT) | instid1(VALU_DEP_2)
	v_sub_f32_e32 v28, v28, v32
	v_sub_f32_e32 v24, v24, v26
	s_delay_alu instid0(VALU_DEP_2) | instskip(NEXT) | instid1(VALU_DEP_1)
	v_sub_f32_e32 v28, v28, v31
	v_add_f32_e32 v22, v22, v28
	s_delay_alu instid0(VALU_DEP_1) | instskip(NEXT) | instid1(VALU_DEP_1)
	v_add_f32_e32 v22, v24, v22
	v_add_f32_e32 v24, v32, v22
	s_delay_alu instid0(VALU_DEP_1) | instskip(NEXT) | instid1(VALU_DEP_1)
	v_mul_f32_e32 v26, v23, v24
	v_dual_sub_f32 v31, v32, v24 :: v_dual_mul_f32 v28, v27, v26
	s_delay_alu instid0(VALU_DEP_1) | instskip(NEXT) | instid1(VALU_DEP_2)
	v_add_f32_e32 v22, v22, v31
	v_fma_f32 v27, v26, v27, -v28
	s_delay_alu instid0(VALU_DEP_1) | instskip(NEXT) | instid1(VALU_DEP_1)
	v_fmac_f32_e32 v27, v26, v25
	v_add_f32_e32 v25, v28, v27
	s_delay_alu instid0(VALU_DEP_1) | instskip(NEXT) | instid1(VALU_DEP_1)
	v_sub_f32_e32 v30, v24, v25
	v_sub_f32_e32 v24, v24, v30
	s_delay_alu instid0(VALU_DEP_1) | instskip(NEXT) | instid1(VALU_DEP_1)
	v_sub_f32_e32 v24, v24, v25
	v_add_f32_e32 v22, v22, v24
	v_add_f32_e32 v24, v29, v26
	v_sub_f32_e32 v28, v25, v28
	s_delay_alu instid0(VALU_DEP_1) | instskip(NEXT) | instid1(VALU_DEP_1)
	v_sub_f32_e32 v25, v28, v27
	v_dual_add_f32 v22, v25, v22 :: v_dual_sub_f32 v25, v24, v29
	s_delay_alu instid0(VALU_DEP_1) | instskip(NEXT) | instid1(VALU_DEP_1)
	v_add_f32_e32 v22, v30, v22
	v_dual_sub_f32 v25, v26, v25 :: v_dual_mul_f32 v22, v23, v22
	s_delay_alu instid0(VALU_DEP_1) | instskip(NEXT) | instid1(VALU_DEP_1)
	v_add_f32_e32 v22, v25, v22
	v_add_f32_e32 v23, v24, v22
	s_delay_alu instid0(VALU_DEP_1) | instskip(NEXT) | instid1(VALU_DEP_1)
	v_mul_f32_e32 v25, v23, v23
	v_fmaak_f32 v26, s0, v25, 0x3ecc95a3
	v_mul_f32_e32 v27, v23, v25
	v_cmp_eq_f32_e64 s0, 0x7f800000, v5
	s_delay_alu instid0(VALU_DEP_3) | instskip(SKIP_2) | instid1(VALU_DEP_4)
	v_fmaak_f32 v25, v25, v26, 0x3f2aaada
	v_ldexp_f32 v26, v23, 1
	v_sub_f32_e32 v23, v23, v24
	s_or_b32 s0, s0, s12
	s_delay_alu instid0(VALU_DEP_3) | instskip(NEXT) | instid1(VALU_DEP_2)
	v_mul_f32_e32 v25, v27, v25
	v_dual_mul_f32 v27, 0x3f317218, v21 :: v_dual_sub_f32 v22, v22, v23
	s_delay_alu instid0(VALU_DEP_2) | instskip(NEXT) | instid1(VALU_DEP_2)
	v_add_f32_e32 v24, v26, v25
	v_ldexp_f32 v22, v22, 1
	s_delay_alu instid0(VALU_DEP_2) | instskip(NEXT) | instid1(VALU_DEP_4)
	v_sub_f32_e32 v23, v24, v26
	v_fma_f32 v26, 0x3f317218, v21, -v27
	s_delay_alu instid0(VALU_DEP_2) | instskip(NEXT) | instid1(VALU_DEP_1)
	v_sub_f32_e32 v23, v25, v23
	v_dual_fmamk_f32 v21, v21, 0xb102e308, v26 :: v_dual_add_f32 v22, v22, v23
	s_delay_alu instid0(VALU_DEP_1) | instskip(NEXT) | instid1(VALU_DEP_1)
	v_add_f32_e32 v23, v27, v21
	v_sub_f32_e32 v27, v23, v27
	s_delay_alu instid0(VALU_DEP_1) | instskip(NEXT) | instid1(VALU_DEP_4)
	v_sub_f32_e32 v21, v21, v27
	v_add_f32_e32 v25, v24, v22
	s_delay_alu instid0(VALU_DEP_1) | instskip(NEXT) | instid1(VALU_DEP_1)
	v_sub_f32_e32 v24, v25, v24
	v_sub_f32_e32 v22, v22, v24
	v_add_f32_e32 v26, v23, v25
	s_delay_alu instid0(VALU_DEP_1) | instskip(NEXT) | instid1(VALU_DEP_1)
	v_sub_f32_e32 v28, v26, v23
	v_sub_f32_e32 v24, v25, v28
	s_delay_alu instid0(VALU_DEP_4) | instskip(SKIP_1) | instid1(VALU_DEP_1)
	v_add_f32_e32 v25, v21, v22
	v_sub_f32_e32 v29, v26, v28
	v_sub_f32_e32 v23, v23, v29
	s_delay_alu instid0(VALU_DEP_1) | instskip(NEXT) | instid1(VALU_DEP_1)
	v_dual_add_f32 v23, v24, v23 :: v_dual_sub_f32 v24, v25, v21
	v_dual_add_f32 v23, v25, v23 :: v_dual_sub_f32 v22, v22, v24
	v_sub_f32_e32 v25, v25, v24
	s_delay_alu instid0(VALU_DEP_2) | instskip(NEXT) | instid1(VALU_DEP_1)
	v_add_f32_e32 v27, v26, v23
	v_dual_sub_f32 v21, v21, v25 :: v_dual_sub_f32 v24, v27, v26
	s_delay_alu instid0(VALU_DEP_1) | instskip(NEXT) | instid1(VALU_DEP_1)
	v_dual_add_f32 v21, v22, v21 :: v_dual_sub_f32 v22, v23, v24
	v_add_f32_e32 v21, v21, v22
	s_delay_alu instid0(VALU_DEP_1) | instskip(NEXT) | instid1(VALU_DEP_1)
	v_add_f32_e32 v21, v27, v21
	v_cndmask_b32_e64 v5, v21, v5, s0
	s_delay_alu instid0(VALU_DEP_1)
	v_add_f32_e32 v5, v6, v5
.LBB135_55:
	s_or_b32 exec_lo, exec_lo, s1
	ds_load_b32 v6, v20 offset:12
	v_max_f32_e32 v21, v5, v5
	v_cmp_u_f32_e64 s0, v5, v5
	ds_store_b32 v20, v5 offset:8
	s_waitcnt lgkmcnt(1)
	v_max_f32_e32 v22, v6, v6
	s_delay_alu instid0(VALU_DEP_1) | instskip(SKIP_1) | instid1(VALU_DEP_2)
	v_min_f32_e32 v23, v21, v22
	v_max_f32_e32 v21, v21, v22
	v_cndmask_b32_e64 v22, v23, v5, s0
	s_delay_alu instid0(VALU_DEP_2) | instskip(SKIP_1) | instid1(VALU_DEP_1)
	v_cndmask_b32_e64 v23, v21, v5, s0
	v_cmp_u_f32_e64 s0, v6, v6
	v_cndmask_b32_e64 v21, v22, v6, s0
	s_delay_alu instid0(VALU_DEP_3) | instskip(NEXT) | instid1(VALU_DEP_2)
	v_cndmask_b32_e64 v6, v23, v6, s0
	v_cmp_class_f32_e64 s1, v21, 0x1f8
	s_delay_alu instid0(VALU_DEP_2) | instskip(NEXT) | instid1(VALU_DEP_1)
	v_cmp_neq_f32_e64 s0, v21, v6
	s_or_b32 s0, s0, s1
	s_delay_alu instid0(SALU_CYCLE_1)
	s_and_saveexec_b32 s1, s0
	s_cbranch_execz .LBB135_57
; %bb.56:
	v_sub_f32_e32 v5, v21, v6
	s_delay_alu instid0(VALU_DEP_1) | instskip(SKIP_1) | instid1(VALU_DEP_2)
	v_mul_f32_e32 v21, 0x3fb8aa3b, v5
	v_cmp_ngt_f32_e64 s0, 0xc2ce8ed0, v5
	v_fma_f32 v22, 0x3fb8aa3b, v5, -v21
	v_rndne_f32_e32 v23, v21
	s_delay_alu instid0(VALU_DEP_2) | instskip(NEXT) | instid1(VALU_DEP_2)
	v_fmamk_f32 v22, v5, 0x32a5705f, v22
	v_sub_f32_e32 v21, v21, v23
	s_delay_alu instid0(VALU_DEP_1) | instskip(SKIP_1) | instid1(VALU_DEP_2)
	v_add_f32_e32 v21, v21, v22
	v_cvt_i32_f32_e32 v22, v23
	v_exp_f32_e32 v21, v21
	s_waitcnt_depctr 0xfff
	v_ldexp_f32 v21, v21, v22
	s_delay_alu instid0(VALU_DEP_1) | instskip(SKIP_1) | instid1(VALU_DEP_1)
	v_cndmask_b32_e64 v21, 0, v21, s0
	v_cmp_nlt_f32_e64 s0, 0x42b17218, v5
	v_cndmask_b32_e64 v5, 0x7f800000, v21, s0
	s_delay_alu instid0(VALU_DEP_1) | instskip(SKIP_1) | instid1(VALU_DEP_2)
	v_add_f32_e32 v23, 1.0, v5
	v_cmp_gt_f32_e64 s12, 0x33800000, |v5|
	v_cvt_f64_f32_e32 v[21:22], v23
	s_delay_alu instid0(VALU_DEP_1) | instskip(SKIP_1) | instid1(VALU_DEP_1)
	v_frexp_exp_i32_f64_e32 v21, v[21:22]
	v_frexp_mant_f32_e32 v22, v23
	v_cmp_gt_f32_e64 s0, 0x3f2aaaab, v22
	v_add_f32_e32 v22, -1.0, v23
	s_delay_alu instid0(VALU_DEP_1) | instskip(NEXT) | instid1(VALU_DEP_3)
	v_dual_sub_f32 v25, v22, v23 :: v_dual_sub_f32 v22, v5, v22
	v_subrev_co_ci_u32_e64 v21, s0, 0, v21, s0
	s_mov_b32 s0, 0x3e9b6dac
	s_delay_alu instid0(VALU_DEP_1) | instskip(SKIP_1) | instid1(VALU_DEP_2)
	v_sub_nc_u32_e32 v24, 0, v21
	v_cvt_f32_i32_e32 v21, v21
	v_ldexp_f32 v23, v23, v24
	s_delay_alu instid0(VALU_DEP_1) | instskip(NEXT) | instid1(VALU_DEP_1)
	v_dual_add_f32 v25, 1.0, v25 :: v_dual_add_f32 v26, 1.0, v23
	v_add_f32_e32 v22, v22, v25
	s_delay_alu instid0(VALU_DEP_1) | instskip(NEXT) | instid1(VALU_DEP_3)
	v_ldexp_f32 v22, v22, v24
	v_dual_add_f32 v24, -1.0, v23 :: v_dual_add_f32 v25, -1.0, v26
	s_delay_alu instid0(VALU_DEP_1) | instskip(NEXT) | instid1(VALU_DEP_2)
	v_add_f32_e32 v27, 1.0, v24
	v_sub_f32_e32 v25, v23, v25
	s_delay_alu instid0(VALU_DEP_2) | instskip(NEXT) | instid1(VALU_DEP_2)
	v_sub_f32_e32 v23, v23, v27
	v_add_f32_e32 v25, v22, v25
	s_delay_alu instid0(VALU_DEP_2) | instskip(NEXT) | instid1(VALU_DEP_1)
	v_add_f32_e32 v22, v22, v23
	v_dual_add_f32 v28, v24, v22 :: v_dual_add_f32 v27, v26, v25
	s_delay_alu instid0(VALU_DEP_1) | instskip(NEXT) | instid1(VALU_DEP_2)
	v_sub_f32_e32 v24, v24, v28
	v_rcp_f32_e32 v23, v27
	v_sub_f32_e32 v26, v26, v27
	s_delay_alu instid0(VALU_DEP_1) | instskip(SKIP_2) | instid1(VALU_DEP_1)
	v_dual_add_f32 v22, v22, v24 :: v_dual_add_f32 v25, v25, v26
	s_waitcnt_depctr 0xfff
	v_mul_f32_e32 v29, v28, v23
	v_mul_f32_e32 v30, v27, v29
	s_delay_alu instid0(VALU_DEP_1) | instskip(NEXT) | instid1(VALU_DEP_1)
	v_fma_f32 v26, v29, v27, -v30
	v_fmac_f32_e32 v26, v29, v25
	s_delay_alu instid0(VALU_DEP_1) | instskip(NEXT) | instid1(VALU_DEP_1)
	v_add_f32_e32 v31, v30, v26
	v_sub_f32_e32 v32, v28, v31
	v_sub_f32_e32 v24, v31, v30
	s_delay_alu instid0(VALU_DEP_2) | instskip(NEXT) | instid1(VALU_DEP_2)
	v_sub_f32_e32 v28, v28, v32
	v_sub_f32_e32 v24, v24, v26
	s_delay_alu instid0(VALU_DEP_2) | instskip(NEXT) | instid1(VALU_DEP_1)
	v_sub_f32_e32 v28, v28, v31
	v_add_f32_e32 v22, v22, v28
	s_delay_alu instid0(VALU_DEP_1) | instskip(NEXT) | instid1(VALU_DEP_1)
	v_add_f32_e32 v22, v24, v22
	v_add_f32_e32 v24, v32, v22
	s_delay_alu instid0(VALU_DEP_1) | instskip(NEXT) | instid1(VALU_DEP_1)
	v_mul_f32_e32 v26, v23, v24
	v_dual_sub_f32 v31, v32, v24 :: v_dual_mul_f32 v28, v27, v26
	s_delay_alu instid0(VALU_DEP_1) | instskip(NEXT) | instid1(VALU_DEP_2)
	v_add_f32_e32 v22, v22, v31
	v_fma_f32 v27, v26, v27, -v28
	s_delay_alu instid0(VALU_DEP_1) | instskip(NEXT) | instid1(VALU_DEP_1)
	v_fmac_f32_e32 v27, v26, v25
	v_add_f32_e32 v25, v28, v27
	s_delay_alu instid0(VALU_DEP_1) | instskip(NEXT) | instid1(VALU_DEP_1)
	v_sub_f32_e32 v30, v24, v25
	v_sub_f32_e32 v24, v24, v30
	s_delay_alu instid0(VALU_DEP_1) | instskip(NEXT) | instid1(VALU_DEP_1)
	v_sub_f32_e32 v24, v24, v25
	v_add_f32_e32 v22, v22, v24
	v_add_f32_e32 v24, v29, v26
	v_sub_f32_e32 v28, v25, v28
	s_delay_alu instid0(VALU_DEP_1) | instskip(NEXT) | instid1(VALU_DEP_1)
	v_sub_f32_e32 v25, v28, v27
	v_dual_add_f32 v22, v25, v22 :: v_dual_sub_f32 v25, v24, v29
	s_delay_alu instid0(VALU_DEP_1) | instskip(NEXT) | instid1(VALU_DEP_1)
	v_add_f32_e32 v22, v30, v22
	v_dual_sub_f32 v25, v26, v25 :: v_dual_mul_f32 v22, v23, v22
	s_delay_alu instid0(VALU_DEP_1) | instskip(NEXT) | instid1(VALU_DEP_1)
	v_add_f32_e32 v22, v25, v22
	v_add_f32_e32 v23, v24, v22
	s_delay_alu instid0(VALU_DEP_1) | instskip(NEXT) | instid1(VALU_DEP_1)
	v_mul_f32_e32 v25, v23, v23
	v_fmaak_f32 v26, s0, v25, 0x3ecc95a3
	v_mul_f32_e32 v27, v23, v25
	v_cmp_eq_f32_e64 s0, 0x7f800000, v5
	s_delay_alu instid0(VALU_DEP_3) | instskip(SKIP_2) | instid1(VALU_DEP_4)
	v_fmaak_f32 v25, v25, v26, 0x3f2aaada
	v_ldexp_f32 v26, v23, 1
	v_sub_f32_e32 v23, v23, v24
	s_or_b32 s0, s0, s12
	s_delay_alu instid0(VALU_DEP_3) | instskip(NEXT) | instid1(VALU_DEP_2)
	v_mul_f32_e32 v25, v27, v25
	v_dual_mul_f32 v27, 0x3f317218, v21 :: v_dual_sub_f32 v22, v22, v23
	s_delay_alu instid0(VALU_DEP_2) | instskip(NEXT) | instid1(VALU_DEP_2)
	v_add_f32_e32 v24, v26, v25
	v_ldexp_f32 v22, v22, 1
	s_delay_alu instid0(VALU_DEP_2) | instskip(NEXT) | instid1(VALU_DEP_4)
	v_sub_f32_e32 v23, v24, v26
	v_fma_f32 v26, 0x3f317218, v21, -v27
	s_delay_alu instid0(VALU_DEP_2) | instskip(NEXT) | instid1(VALU_DEP_1)
	v_sub_f32_e32 v23, v25, v23
	v_dual_fmamk_f32 v21, v21, 0xb102e308, v26 :: v_dual_add_f32 v22, v22, v23
	s_delay_alu instid0(VALU_DEP_1) | instskip(NEXT) | instid1(VALU_DEP_1)
	v_add_f32_e32 v23, v27, v21
	v_sub_f32_e32 v27, v23, v27
	s_delay_alu instid0(VALU_DEP_1) | instskip(NEXT) | instid1(VALU_DEP_4)
	v_sub_f32_e32 v21, v21, v27
	v_add_f32_e32 v25, v24, v22
	s_delay_alu instid0(VALU_DEP_1) | instskip(NEXT) | instid1(VALU_DEP_1)
	v_sub_f32_e32 v24, v25, v24
	v_sub_f32_e32 v22, v22, v24
	v_add_f32_e32 v26, v23, v25
	s_delay_alu instid0(VALU_DEP_1) | instskip(NEXT) | instid1(VALU_DEP_1)
	v_sub_f32_e32 v28, v26, v23
	v_sub_f32_e32 v24, v25, v28
	s_delay_alu instid0(VALU_DEP_4) | instskip(SKIP_1) | instid1(VALU_DEP_1)
	v_add_f32_e32 v25, v21, v22
	v_sub_f32_e32 v29, v26, v28
	v_sub_f32_e32 v23, v23, v29
	s_delay_alu instid0(VALU_DEP_1) | instskip(NEXT) | instid1(VALU_DEP_1)
	v_dual_add_f32 v23, v24, v23 :: v_dual_sub_f32 v24, v25, v21
	v_dual_add_f32 v23, v25, v23 :: v_dual_sub_f32 v22, v22, v24
	v_sub_f32_e32 v25, v25, v24
	s_delay_alu instid0(VALU_DEP_2) | instskip(NEXT) | instid1(VALU_DEP_1)
	v_add_f32_e32 v27, v26, v23
	v_dual_sub_f32 v21, v21, v25 :: v_dual_sub_f32 v24, v27, v26
	s_delay_alu instid0(VALU_DEP_1) | instskip(NEXT) | instid1(VALU_DEP_1)
	v_dual_add_f32 v21, v22, v21 :: v_dual_sub_f32 v22, v23, v24
	v_add_f32_e32 v21, v21, v22
	s_delay_alu instid0(VALU_DEP_1) | instskip(NEXT) | instid1(VALU_DEP_1)
	v_add_f32_e32 v21, v27, v21
	v_cndmask_b32_e64 v5, v21, v5, s0
	s_delay_alu instid0(VALU_DEP_1)
	v_add_f32_e32 v5, v6, v5
.LBB135_57:
	s_or_b32 exec_lo, exec_lo, s1
	ds_load_b32 v6, v20 offset:16
	v_max_f32_e32 v21, v5, v5
	v_cmp_u_f32_e64 s0, v5, v5
	ds_store_b32 v20, v5 offset:12
	s_waitcnt lgkmcnt(1)
	v_max_f32_e32 v22, v6, v6
	s_delay_alu instid0(VALU_DEP_1) | instskip(SKIP_1) | instid1(VALU_DEP_2)
	v_min_f32_e32 v23, v21, v22
	v_max_f32_e32 v21, v21, v22
	v_cndmask_b32_e64 v22, v23, v5, s0
	s_delay_alu instid0(VALU_DEP_2) | instskip(SKIP_1) | instid1(VALU_DEP_1)
	v_cndmask_b32_e64 v23, v21, v5, s0
	v_cmp_u_f32_e64 s0, v6, v6
	v_cndmask_b32_e64 v21, v22, v6, s0
	s_delay_alu instid0(VALU_DEP_3) | instskip(NEXT) | instid1(VALU_DEP_2)
	v_cndmask_b32_e64 v6, v23, v6, s0
	v_cmp_class_f32_e64 s1, v21, 0x1f8
	s_delay_alu instid0(VALU_DEP_2) | instskip(NEXT) | instid1(VALU_DEP_1)
	v_cmp_neq_f32_e64 s0, v21, v6
	s_or_b32 s0, s0, s1
	s_delay_alu instid0(SALU_CYCLE_1)
	s_and_saveexec_b32 s1, s0
	s_cbranch_execz .LBB135_59
; %bb.58:
	v_sub_f32_e32 v5, v21, v6
	s_delay_alu instid0(VALU_DEP_1) | instskip(SKIP_1) | instid1(VALU_DEP_2)
	v_mul_f32_e32 v21, 0x3fb8aa3b, v5
	v_cmp_ngt_f32_e64 s0, 0xc2ce8ed0, v5
	v_fma_f32 v22, 0x3fb8aa3b, v5, -v21
	v_rndne_f32_e32 v23, v21
	s_delay_alu instid0(VALU_DEP_2) | instskip(NEXT) | instid1(VALU_DEP_2)
	v_fmamk_f32 v22, v5, 0x32a5705f, v22
	v_sub_f32_e32 v21, v21, v23
	s_delay_alu instid0(VALU_DEP_1) | instskip(SKIP_1) | instid1(VALU_DEP_2)
	v_add_f32_e32 v21, v21, v22
	v_cvt_i32_f32_e32 v22, v23
	v_exp_f32_e32 v21, v21
	s_waitcnt_depctr 0xfff
	v_ldexp_f32 v21, v21, v22
	s_delay_alu instid0(VALU_DEP_1) | instskip(SKIP_1) | instid1(VALU_DEP_1)
	v_cndmask_b32_e64 v21, 0, v21, s0
	v_cmp_nlt_f32_e64 s0, 0x42b17218, v5
	v_cndmask_b32_e64 v5, 0x7f800000, v21, s0
	s_delay_alu instid0(VALU_DEP_1) | instskip(SKIP_1) | instid1(VALU_DEP_2)
	v_add_f32_e32 v23, 1.0, v5
	v_cmp_gt_f32_e64 s12, 0x33800000, |v5|
	v_cvt_f64_f32_e32 v[21:22], v23
	s_delay_alu instid0(VALU_DEP_1) | instskip(SKIP_1) | instid1(VALU_DEP_1)
	v_frexp_exp_i32_f64_e32 v21, v[21:22]
	v_frexp_mant_f32_e32 v22, v23
	v_cmp_gt_f32_e64 s0, 0x3f2aaaab, v22
	v_add_f32_e32 v22, -1.0, v23
	s_delay_alu instid0(VALU_DEP_1) | instskip(NEXT) | instid1(VALU_DEP_3)
	v_dual_sub_f32 v25, v22, v23 :: v_dual_sub_f32 v22, v5, v22
	v_subrev_co_ci_u32_e64 v21, s0, 0, v21, s0
	s_mov_b32 s0, 0x3e9b6dac
	s_delay_alu instid0(VALU_DEP_1) | instskip(SKIP_1) | instid1(VALU_DEP_2)
	v_sub_nc_u32_e32 v24, 0, v21
	v_cvt_f32_i32_e32 v21, v21
	v_ldexp_f32 v23, v23, v24
	s_delay_alu instid0(VALU_DEP_1) | instskip(NEXT) | instid1(VALU_DEP_1)
	v_dual_add_f32 v25, 1.0, v25 :: v_dual_add_f32 v26, 1.0, v23
	v_add_f32_e32 v22, v22, v25
	s_delay_alu instid0(VALU_DEP_1) | instskip(NEXT) | instid1(VALU_DEP_3)
	v_ldexp_f32 v22, v22, v24
	v_dual_add_f32 v24, -1.0, v23 :: v_dual_add_f32 v25, -1.0, v26
	s_delay_alu instid0(VALU_DEP_1) | instskip(NEXT) | instid1(VALU_DEP_2)
	v_add_f32_e32 v27, 1.0, v24
	v_sub_f32_e32 v25, v23, v25
	s_delay_alu instid0(VALU_DEP_2) | instskip(NEXT) | instid1(VALU_DEP_2)
	v_sub_f32_e32 v23, v23, v27
	v_add_f32_e32 v25, v22, v25
	s_delay_alu instid0(VALU_DEP_2) | instskip(NEXT) | instid1(VALU_DEP_1)
	v_add_f32_e32 v22, v22, v23
	v_dual_add_f32 v28, v24, v22 :: v_dual_add_f32 v27, v26, v25
	s_delay_alu instid0(VALU_DEP_1) | instskip(NEXT) | instid1(VALU_DEP_2)
	v_sub_f32_e32 v24, v24, v28
	v_rcp_f32_e32 v23, v27
	v_sub_f32_e32 v26, v26, v27
	s_delay_alu instid0(VALU_DEP_1) | instskip(SKIP_2) | instid1(VALU_DEP_1)
	v_dual_add_f32 v22, v22, v24 :: v_dual_add_f32 v25, v25, v26
	s_waitcnt_depctr 0xfff
	v_mul_f32_e32 v29, v28, v23
	v_mul_f32_e32 v30, v27, v29
	s_delay_alu instid0(VALU_DEP_1) | instskip(NEXT) | instid1(VALU_DEP_1)
	v_fma_f32 v26, v29, v27, -v30
	v_fmac_f32_e32 v26, v29, v25
	s_delay_alu instid0(VALU_DEP_1) | instskip(NEXT) | instid1(VALU_DEP_1)
	v_add_f32_e32 v31, v30, v26
	v_sub_f32_e32 v32, v28, v31
	v_sub_f32_e32 v24, v31, v30
	s_delay_alu instid0(VALU_DEP_2) | instskip(NEXT) | instid1(VALU_DEP_2)
	v_sub_f32_e32 v28, v28, v32
	v_sub_f32_e32 v24, v24, v26
	s_delay_alu instid0(VALU_DEP_2) | instskip(NEXT) | instid1(VALU_DEP_1)
	v_sub_f32_e32 v28, v28, v31
	v_add_f32_e32 v22, v22, v28
	s_delay_alu instid0(VALU_DEP_1) | instskip(NEXT) | instid1(VALU_DEP_1)
	v_add_f32_e32 v22, v24, v22
	v_add_f32_e32 v24, v32, v22
	s_delay_alu instid0(VALU_DEP_1) | instskip(NEXT) | instid1(VALU_DEP_1)
	v_mul_f32_e32 v26, v23, v24
	v_dual_sub_f32 v31, v32, v24 :: v_dual_mul_f32 v28, v27, v26
	s_delay_alu instid0(VALU_DEP_1) | instskip(NEXT) | instid1(VALU_DEP_2)
	v_add_f32_e32 v22, v22, v31
	v_fma_f32 v27, v26, v27, -v28
	s_delay_alu instid0(VALU_DEP_1) | instskip(NEXT) | instid1(VALU_DEP_1)
	v_fmac_f32_e32 v27, v26, v25
	v_add_f32_e32 v25, v28, v27
	s_delay_alu instid0(VALU_DEP_1) | instskip(NEXT) | instid1(VALU_DEP_1)
	v_sub_f32_e32 v30, v24, v25
	v_sub_f32_e32 v24, v24, v30
	s_delay_alu instid0(VALU_DEP_1) | instskip(NEXT) | instid1(VALU_DEP_1)
	v_sub_f32_e32 v24, v24, v25
	v_add_f32_e32 v22, v22, v24
	v_add_f32_e32 v24, v29, v26
	v_sub_f32_e32 v28, v25, v28
	s_delay_alu instid0(VALU_DEP_1) | instskip(NEXT) | instid1(VALU_DEP_1)
	v_sub_f32_e32 v25, v28, v27
	v_dual_add_f32 v22, v25, v22 :: v_dual_sub_f32 v25, v24, v29
	s_delay_alu instid0(VALU_DEP_1) | instskip(NEXT) | instid1(VALU_DEP_1)
	v_add_f32_e32 v22, v30, v22
	v_dual_sub_f32 v25, v26, v25 :: v_dual_mul_f32 v22, v23, v22
	s_delay_alu instid0(VALU_DEP_1) | instskip(NEXT) | instid1(VALU_DEP_1)
	v_add_f32_e32 v22, v25, v22
	v_add_f32_e32 v23, v24, v22
	s_delay_alu instid0(VALU_DEP_1) | instskip(NEXT) | instid1(VALU_DEP_1)
	v_mul_f32_e32 v25, v23, v23
	v_fmaak_f32 v26, s0, v25, 0x3ecc95a3
	v_mul_f32_e32 v27, v23, v25
	v_cmp_eq_f32_e64 s0, 0x7f800000, v5
	s_delay_alu instid0(VALU_DEP_3) | instskip(SKIP_2) | instid1(VALU_DEP_4)
	v_fmaak_f32 v25, v25, v26, 0x3f2aaada
	v_ldexp_f32 v26, v23, 1
	v_sub_f32_e32 v23, v23, v24
	s_or_b32 s0, s0, s12
	s_delay_alu instid0(VALU_DEP_3) | instskip(NEXT) | instid1(VALU_DEP_2)
	v_mul_f32_e32 v25, v27, v25
	v_dual_mul_f32 v27, 0x3f317218, v21 :: v_dual_sub_f32 v22, v22, v23
	s_delay_alu instid0(VALU_DEP_2) | instskip(NEXT) | instid1(VALU_DEP_2)
	v_add_f32_e32 v24, v26, v25
	v_ldexp_f32 v22, v22, 1
	s_delay_alu instid0(VALU_DEP_2) | instskip(NEXT) | instid1(VALU_DEP_4)
	v_sub_f32_e32 v23, v24, v26
	v_fma_f32 v26, 0x3f317218, v21, -v27
	s_delay_alu instid0(VALU_DEP_2) | instskip(NEXT) | instid1(VALU_DEP_1)
	v_sub_f32_e32 v23, v25, v23
	v_dual_fmamk_f32 v21, v21, 0xb102e308, v26 :: v_dual_add_f32 v22, v22, v23
	s_delay_alu instid0(VALU_DEP_1) | instskip(NEXT) | instid1(VALU_DEP_1)
	v_add_f32_e32 v23, v27, v21
	v_sub_f32_e32 v27, v23, v27
	s_delay_alu instid0(VALU_DEP_1) | instskip(NEXT) | instid1(VALU_DEP_4)
	v_sub_f32_e32 v21, v21, v27
	v_add_f32_e32 v25, v24, v22
	s_delay_alu instid0(VALU_DEP_1) | instskip(NEXT) | instid1(VALU_DEP_1)
	v_sub_f32_e32 v24, v25, v24
	v_sub_f32_e32 v22, v22, v24
	v_add_f32_e32 v26, v23, v25
	s_delay_alu instid0(VALU_DEP_1) | instskip(NEXT) | instid1(VALU_DEP_1)
	v_sub_f32_e32 v28, v26, v23
	v_sub_f32_e32 v24, v25, v28
	s_delay_alu instid0(VALU_DEP_4) | instskip(SKIP_1) | instid1(VALU_DEP_1)
	v_add_f32_e32 v25, v21, v22
	v_sub_f32_e32 v29, v26, v28
	v_sub_f32_e32 v23, v23, v29
	s_delay_alu instid0(VALU_DEP_1) | instskip(NEXT) | instid1(VALU_DEP_1)
	v_dual_add_f32 v23, v24, v23 :: v_dual_sub_f32 v24, v25, v21
	v_dual_add_f32 v23, v25, v23 :: v_dual_sub_f32 v22, v22, v24
	v_sub_f32_e32 v25, v25, v24
	s_delay_alu instid0(VALU_DEP_2) | instskip(NEXT) | instid1(VALU_DEP_1)
	v_add_f32_e32 v27, v26, v23
	v_dual_sub_f32 v21, v21, v25 :: v_dual_sub_f32 v24, v27, v26
	s_delay_alu instid0(VALU_DEP_1) | instskip(NEXT) | instid1(VALU_DEP_1)
	v_dual_add_f32 v21, v22, v21 :: v_dual_sub_f32 v22, v23, v24
	v_add_f32_e32 v21, v21, v22
	s_delay_alu instid0(VALU_DEP_1) | instskip(NEXT) | instid1(VALU_DEP_1)
	v_add_f32_e32 v21, v27, v21
	v_cndmask_b32_e64 v5, v21, v5, s0
	s_delay_alu instid0(VALU_DEP_1)
	v_add_f32_e32 v5, v6, v5
.LBB135_59:
	s_or_b32 exec_lo, exec_lo, s1
	ds_load_b32 v6, v20 offset:20
	v_max_f32_e32 v21, v5, v5
	v_cmp_u_f32_e64 s0, v5, v5
	ds_store_b32 v20, v5 offset:16
	s_waitcnt lgkmcnt(1)
	v_max_f32_e32 v22, v6, v6
	s_delay_alu instid0(VALU_DEP_1) | instskip(SKIP_1) | instid1(VALU_DEP_2)
	v_min_f32_e32 v23, v21, v22
	v_max_f32_e32 v21, v21, v22
	v_cndmask_b32_e64 v22, v23, v5, s0
	s_delay_alu instid0(VALU_DEP_2) | instskip(SKIP_1) | instid1(VALU_DEP_1)
	v_cndmask_b32_e64 v23, v21, v5, s0
	v_cmp_u_f32_e64 s0, v6, v6
	v_cndmask_b32_e64 v21, v22, v6, s0
	s_delay_alu instid0(VALU_DEP_3) | instskip(NEXT) | instid1(VALU_DEP_2)
	v_cndmask_b32_e64 v6, v23, v6, s0
	v_cmp_class_f32_e64 s1, v21, 0x1f8
	s_delay_alu instid0(VALU_DEP_2) | instskip(NEXT) | instid1(VALU_DEP_1)
	v_cmp_neq_f32_e64 s0, v21, v6
	s_or_b32 s0, s0, s1
	s_delay_alu instid0(SALU_CYCLE_1)
	s_and_saveexec_b32 s1, s0
	s_cbranch_execz .LBB135_61
; %bb.60:
	v_sub_f32_e32 v5, v21, v6
	s_delay_alu instid0(VALU_DEP_1) | instskip(SKIP_1) | instid1(VALU_DEP_2)
	v_mul_f32_e32 v21, 0x3fb8aa3b, v5
	v_cmp_ngt_f32_e64 s0, 0xc2ce8ed0, v5
	v_fma_f32 v22, 0x3fb8aa3b, v5, -v21
	v_rndne_f32_e32 v23, v21
	s_delay_alu instid0(VALU_DEP_2) | instskip(NEXT) | instid1(VALU_DEP_2)
	v_fmamk_f32 v22, v5, 0x32a5705f, v22
	v_sub_f32_e32 v21, v21, v23
	s_delay_alu instid0(VALU_DEP_1) | instskip(SKIP_1) | instid1(VALU_DEP_2)
	v_add_f32_e32 v21, v21, v22
	v_cvt_i32_f32_e32 v22, v23
	v_exp_f32_e32 v21, v21
	s_waitcnt_depctr 0xfff
	v_ldexp_f32 v21, v21, v22
	s_delay_alu instid0(VALU_DEP_1) | instskip(SKIP_1) | instid1(VALU_DEP_1)
	v_cndmask_b32_e64 v21, 0, v21, s0
	v_cmp_nlt_f32_e64 s0, 0x42b17218, v5
	v_cndmask_b32_e64 v5, 0x7f800000, v21, s0
	s_delay_alu instid0(VALU_DEP_1) | instskip(SKIP_1) | instid1(VALU_DEP_2)
	v_add_f32_e32 v23, 1.0, v5
	v_cmp_gt_f32_e64 s12, 0x33800000, |v5|
	v_cvt_f64_f32_e32 v[21:22], v23
	s_delay_alu instid0(VALU_DEP_1) | instskip(SKIP_1) | instid1(VALU_DEP_1)
	v_frexp_exp_i32_f64_e32 v21, v[21:22]
	v_frexp_mant_f32_e32 v22, v23
	v_cmp_gt_f32_e64 s0, 0x3f2aaaab, v22
	v_add_f32_e32 v22, -1.0, v23
	s_delay_alu instid0(VALU_DEP_1) | instskip(NEXT) | instid1(VALU_DEP_3)
	v_dual_sub_f32 v25, v22, v23 :: v_dual_sub_f32 v22, v5, v22
	v_subrev_co_ci_u32_e64 v21, s0, 0, v21, s0
	s_mov_b32 s0, 0x3e9b6dac
	s_delay_alu instid0(VALU_DEP_1) | instskip(SKIP_1) | instid1(VALU_DEP_2)
	v_sub_nc_u32_e32 v24, 0, v21
	v_cvt_f32_i32_e32 v21, v21
	v_ldexp_f32 v23, v23, v24
	s_delay_alu instid0(VALU_DEP_1) | instskip(NEXT) | instid1(VALU_DEP_1)
	v_dual_add_f32 v25, 1.0, v25 :: v_dual_add_f32 v26, 1.0, v23
	v_add_f32_e32 v22, v22, v25
	s_delay_alu instid0(VALU_DEP_1) | instskip(NEXT) | instid1(VALU_DEP_3)
	v_ldexp_f32 v22, v22, v24
	v_dual_add_f32 v24, -1.0, v23 :: v_dual_add_f32 v25, -1.0, v26
	s_delay_alu instid0(VALU_DEP_1) | instskip(NEXT) | instid1(VALU_DEP_2)
	v_add_f32_e32 v27, 1.0, v24
	v_sub_f32_e32 v25, v23, v25
	s_delay_alu instid0(VALU_DEP_2) | instskip(NEXT) | instid1(VALU_DEP_2)
	v_sub_f32_e32 v23, v23, v27
	v_add_f32_e32 v25, v22, v25
	s_delay_alu instid0(VALU_DEP_2) | instskip(NEXT) | instid1(VALU_DEP_1)
	v_add_f32_e32 v22, v22, v23
	v_dual_add_f32 v28, v24, v22 :: v_dual_add_f32 v27, v26, v25
	s_delay_alu instid0(VALU_DEP_1) | instskip(NEXT) | instid1(VALU_DEP_2)
	v_sub_f32_e32 v24, v24, v28
	v_rcp_f32_e32 v23, v27
	v_sub_f32_e32 v26, v26, v27
	s_delay_alu instid0(VALU_DEP_1) | instskip(SKIP_2) | instid1(VALU_DEP_1)
	v_dual_add_f32 v22, v22, v24 :: v_dual_add_f32 v25, v25, v26
	s_waitcnt_depctr 0xfff
	v_mul_f32_e32 v29, v28, v23
	v_mul_f32_e32 v30, v27, v29
	s_delay_alu instid0(VALU_DEP_1) | instskip(NEXT) | instid1(VALU_DEP_1)
	v_fma_f32 v26, v29, v27, -v30
	v_fmac_f32_e32 v26, v29, v25
	s_delay_alu instid0(VALU_DEP_1) | instskip(NEXT) | instid1(VALU_DEP_1)
	v_add_f32_e32 v31, v30, v26
	v_sub_f32_e32 v32, v28, v31
	v_sub_f32_e32 v24, v31, v30
	s_delay_alu instid0(VALU_DEP_2) | instskip(NEXT) | instid1(VALU_DEP_2)
	v_sub_f32_e32 v28, v28, v32
	v_sub_f32_e32 v24, v24, v26
	s_delay_alu instid0(VALU_DEP_2) | instskip(NEXT) | instid1(VALU_DEP_1)
	v_sub_f32_e32 v28, v28, v31
	v_add_f32_e32 v22, v22, v28
	s_delay_alu instid0(VALU_DEP_1) | instskip(NEXT) | instid1(VALU_DEP_1)
	v_add_f32_e32 v22, v24, v22
	v_add_f32_e32 v24, v32, v22
	s_delay_alu instid0(VALU_DEP_1) | instskip(NEXT) | instid1(VALU_DEP_1)
	v_mul_f32_e32 v26, v23, v24
	v_dual_sub_f32 v31, v32, v24 :: v_dual_mul_f32 v28, v27, v26
	s_delay_alu instid0(VALU_DEP_1) | instskip(NEXT) | instid1(VALU_DEP_2)
	v_add_f32_e32 v22, v22, v31
	v_fma_f32 v27, v26, v27, -v28
	s_delay_alu instid0(VALU_DEP_1) | instskip(NEXT) | instid1(VALU_DEP_1)
	v_fmac_f32_e32 v27, v26, v25
	v_add_f32_e32 v25, v28, v27
	s_delay_alu instid0(VALU_DEP_1) | instskip(NEXT) | instid1(VALU_DEP_1)
	v_sub_f32_e32 v30, v24, v25
	v_sub_f32_e32 v24, v24, v30
	s_delay_alu instid0(VALU_DEP_1) | instskip(NEXT) | instid1(VALU_DEP_1)
	v_sub_f32_e32 v24, v24, v25
	v_add_f32_e32 v22, v22, v24
	v_add_f32_e32 v24, v29, v26
	v_sub_f32_e32 v28, v25, v28
	s_delay_alu instid0(VALU_DEP_1) | instskip(NEXT) | instid1(VALU_DEP_1)
	v_sub_f32_e32 v25, v28, v27
	v_dual_add_f32 v22, v25, v22 :: v_dual_sub_f32 v25, v24, v29
	s_delay_alu instid0(VALU_DEP_1) | instskip(NEXT) | instid1(VALU_DEP_1)
	v_add_f32_e32 v22, v30, v22
	v_dual_sub_f32 v25, v26, v25 :: v_dual_mul_f32 v22, v23, v22
	s_delay_alu instid0(VALU_DEP_1) | instskip(NEXT) | instid1(VALU_DEP_1)
	v_add_f32_e32 v22, v25, v22
	v_add_f32_e32 v23, v24, v22
	s_delay_alu instid0(VALU_DEP_1) | instskip(NEXT) | instid1(VALU_DEP_1)
	v_mul_f32_e32 v25, v23, v23
	v_fmaak_f32 v26, s0, v25, 0x3ecc95a3
	v_mul_f32_e32 v27, v23, v25
	v_cmp_eq_f32_e64 s0, 0x7f800000, v5
	s_delay_alu instid0(VALU_DEP_3) | instskip(SKIP_2) | instid1(VALU_DEP_4)
	v_fmaak_f32 v25, v25, v26, 0x3f2aaada
	v_ldexp_f32 v26, v23, 1
	v_sub_f32_e32 v23, v23, v24
	s_or_b32 s0, s0, s12
	s_delay_alu instid0(VALU_DEP_3) | instskip(NEXT) | instid1(VALU_DEP_2)
	v_mul_f32_e32 v25, v27, v25
	v_dual_mul_f32 v27, 0x3f317218, v21 :: v_dual_sub_f32 v22, v22, v23
	s_delay_alu instid0(VALU_DEP_2) | instskip(NEXT) | instid1(VALU_DEP_2)
	v_add_f32_e32 v24, v26, v25
	v_ldexp_f32 v22, v22, 1
	s_delay_alu instid0(VALU_DEP_2) | instskip(NEXT) | instid1(VALU_DEP_4)
	v_sub_f32_e32 v23, v24, v26
	v_fma_f32 v26, 0x3f317218, v21, -v27
	s_delay_alu instid0(VALU_DEP_2) | instskip(NEXT) | instid1(VALU_DEP_1)
	v_sub_f32_e32 v23, v25, v23
	v_dual_fmamk_f32 v21, v21, 0xb102e308, v26 :: v_dual_add_f32 v22, v22, v23
	s_delay_alu instid0(VALU_DEP_1) | instskip(NEXT) | instid1(VALU_DEP_1)
	v_add_f32_e32 v23, v27, v21
	v_sub_f32_e32 v27, v23, v27
	s_delay_alu instid0(VALU_DEP_1) | instskip(NEXT) | instid1(VALU_DEP_4)
	v_sub_f32_e32 v21, v21, v27
	v_add_f32_e32 v25, v24, v22
	s_delay_alu instid0(VALU_DEP_1) | instskip(NEXT) | instid1(VALU_DEP_1)
	v_sub_f32_e32 v24, v25, v24
	v_sub_f32_e32 v22, v22, v24
	v_add_f32_e32 v26, v23, v25
	s_delay_alu instid0(VALU_DEP_1) | instskip(NEXT) | instid1(VALU_DEP_1)
	v_sub_f32_e32 v28, v26, v23
	v_sub_f32_e32 v24, v25, v28
	s_delay_alu instid0(VALU_DEP_4) | instskip(SKIP_1) | instid1(VALU_DEP_1)
	v_add_f32_e32 v25, v21, v22
	v_sub_f32_e32 v29, v26, v28
	v_sub_f32_e32 v23, v23, v29
	s_delay_alu instid0(VALU_DEP_1) | instskip(NEXT) | instid1(VALU_DEP_1)
	v_dual_add_f32 v23, v24, v23 :: v_dual_sub_f32 v24, v25, v21
	v_dual_add_f32 v23, v25, v23 :: v_dual_sub_f32 v22, v22, v24
	v_sub_f32_e32 v25, v25, v24
	s_delay_alu instid0(VALU_DEP_2) | instskip(NEXT) | instid1(VALU_DEP_1)
	v_add_f32_e32 v27, v26, v23
	v_dual_sub_f32 v21, v21, v25 :: v_dual_sub_f32 v24, v27, v26
	s_delay_alu instid0(VALU_DEP_1) | instskip(NEXT) | instid1(VALU_DEP_1)
	v_dual_add_f32 v21, v22, v21 :: v_dual_sub_f32 v22, v23, v24
	v_add_f32_e32 v21, v21, v22
	s_delay_alu instid0(VALU_DEP_1) | instskip(NEXT) | instid1(VALU_DEP_1)
	v_add_f32_e32 v21, v27, v21
	v_cndmask_b32_e64 v5, v21, v5, s0
	s_delay_alu instid0(VALU_DEP_1)
	v_add_f32_e32 v5, v6, v5
.LBB135_61:
	s_or_b32 exec_lo, exec_lo, s1
	ds_load_b32 v6, v20 offset:24
	v_max_f32_e32 v21, v5, v5
	v_cmp_u_f32_e64 s0, v5, v5
	ds_store_b32 v20, v5 offset:20
	s_waitcnt lgkmcnt(1)
	v_max_f32_e32 v22, v6, v6
	s_delay_alu instid0(VALU_DEP_1) | instskip(SKIP_1) | instid1(VALU_DEP_2)
	v_min_f32_e32 v23, v21, v22
	v_max_f32_e32 v21, v21, v22
	v_cndmask_b32_e64 v22, v23, v5, s0
	s_delay_alu instid0(VALU_DEP_2) | instskip(SKIP_1) | instid1(VALU_DEP_1)
	v_cndmask_b32_e64 v23, v21, v5, s0
	v_cmp_u_f32_e64 s0, v6, v6
	v_cndmask_b32_e64 v21, v22, v6, s0
	s_delay_alu instid0(VALU_DEP_3) | instskip(NEXT) | instid1(VALU_DEP_2)
	v_cndmask_b32_e64 v6, v23, v6, s0
	v_cmp_class_f32_e64 s1, v21, 0x1f8
	s_delay_alu instid0(VALU_DEP_2) | instskip(NEXT) | instid1(VALU_DEP_1)
	v_cmp_neq_f32_e64 s0, v21, v6
	s_or_b32 s0, s0, s1
	s_delay_alu instid0(SALU_CYCLE_1)
	s_and_saveexec_b32 s1, s0
	s_cbranch_execz .LBB135_63
; %bb.62:
	v_sub_f32_e32 v5, v21, v6
	s_delay_alu instid0(VALU_DEP_1) | instskip(SKIP_1) | instid1(VALU_DEP_2)
	v_mul_f32_e32 v21, 0x3fb8aa3b, v5
	v_cmp_ngt_f32_e64 s0, 0xc2ce8ed0, v5
	v_fma_f32 v22, 0x3fb8aa3b, v5, -v21
	v_rndne_f32_e32 v23, v21
	s_delay_alu instid0(VALU_DEP_2) | instskip(NEXT) | instid1(VALU_DEP_2)
	v_fmamk_f32 v22, v5, 0x32a5705f, v22
	v_sub_f32_e32 v21, v21, v23
	s_delay_alu instid0(VALU_DEP_1) | instskip(SKIP_1) | instid1(VALU_DEP_2)
	v_add_f32_e32 v21, v21, v22
	v_cvt_i32_f32_e32 v22, v23
	v_exp_f32_e32 v21, v21
	s_waitcnt_depctr 0xfff
	v_ldexp_f32 v21, v21, v22
	s_delay_alu instid0(VALU_DEP_1) | instskip(SKIP_1) | instid1(VALU_DEP_1)
	v_cndmask_b32_e64 v21, 0, v21, s0
	v_cmp_nlt_f32_e64 s0, 0x42b17218, v5
	v_cndmask_b32_e64 v5, 0x7f800000, v21, s0
	s_delay_alu instid0(VALU_DEP_1) | instskip(SKIP_1) | instid1(VALU_DEP_2)
	v_add_f32_e32 v23, 1.0, v5
	v_cmp_gt_f32_e64 s12, 0x33800000, |v5|
	v_cvt_f64_f32_e32 v[21:22], v23
	s_delay_alu instid0(VALU_DEP_1) | instskip(SKIP_1) | instid1(VALU_DEP_1)
	v_frexp_exp_i32_f64_e32 v21, v[21:22]
	v_frexp_mant_f32_e32 v22, v23
	v_cmp_gt_f32_e64 s0, 0x3f2aaaab, v22
	v_add_f32_e32 v22, -1.0, v23
	s_delay_alu instid0(VALU_DEP_1) | instskip(NEXT) | instid1(VALU_DEP_3)
	v_dual_sub_f32 v25, v22, v23 :: v_dual_sub_f32 v22, v5, v22
	v_subrev_co_ci_u32_e64 v21, s0, 0, v21, s0
	s_mov_b32 s0, 0x3e9b6dac
	s_delay_alu instid0(VALU_DEP_1) | instskip(SKIP_1) | instid1(VALU_DEP_2)
	v_sub_nc_u32_e32 v24, 0, v21
	v_cvt_f32_i32_e32 v21, v21
	v_ldexp_f32 v23, v23, v24
	s_delay_alu instid0(VALU_DEP_1) | instskip(NEXT) | instid1(VALU_DEP_1)
	v_dual_add_f32 v25, 1.0, v25 :: v_dual_add_f32 v26, 1.0, v23
	v_add_f32_e32 v22, v22, v25
	s_delay_alu instid0(VALU_DEP_1) | instskip(NEXT) | instid1(VALU_DEP_3)
	v_ldexp_f32 v22, v22, v24
	v_dual_add_f32 v24, -1.0, v23 :: v_dual_add_f32 v25, -1.0, v26
	s_delay_alu instid0(VALU_DEP_1) | instskip(NEXT) | instid1(VALU_DEP_2)
	v_add_f32_e32 v27, 1.0, v24
	v_sub_f32_e32 v25, v23, v25
	s_delay_alu instid0(VALU_DEP_2) | instskip(NEXT) | instid1(VALU_DEP_2)
	v_sub_f32_e32 v23, v23, v27
	v_add_f32_e32 v25, v22, v25
	s_delay_alu instid0(VALU_DEP_2) | instskip(NEXT) | instid1(VALU_DEP_1)
	v_add_f32_e32 v22, v22, v23
	v_dual_add_f32 v28, v24, v22 :: v_dual_add_f32 v27, v26, v25
	s_delay_alu instid0(VALU_DEP_1) | instskip(NEXT) | instid1(VALU_DEP_2)
	v_sub_f32_e32 v24, v24, v28
	v_rcp_f32_e32 v23, v27
	v_sub_f32_e32 v26, v26, v27
	s_delay_alu instid0(VALU_DEP_1) | instskip(SKIP_2) | instid1(VALU_DEP_1)
	v_dual_add_f32 v22, v22, v24 :: v_dual_add_f32 v25, v25, v26
	s_waitcnt_depctr 0xfff
	v_mul_f32_e32 v29, v28, v23
	v_mul_f32_e32 v30, v27, v29
	s_delay_alu instid0(VALU_DEP_1) | instskip(NEXT) | instid1(VALU_DEP_1)
	v_fma_f32 v26, v29, v27, -v30
	v_fmac_f32_e32 v26, v29, v25
	s_delay_alu instid0(VALU_DEP_1) | instskip(NEXT) | instid1(VALU_DEP_1)
	v_add_f32_e32 v31, v30, v26
	v_sub_f32_e32 v32, v28, v31
	v_sub_f32_e32 v24, v31, v30
	s_delay_alu instid0(VALU_DEP_2) | instskip(NEXT) | instid1(VALU_DEP_2)
	v_sub_f32_e32 v28, v28, v32
	v_sub_f32_e32 v24, v24, v26
	s_delay_alu instid0(VALU_DEP_2) | instskip(NEXT) | instid1(VALU_DEP_1)
	v_sub_f32_e32 v28, v28, v31
	v_add_f32_e32 v22, v22, v28
	s_delay_alu instid0(VALU_DEP_1) | instskip(NEXT) | instid1(VALU_DEP_1)
	v_add_f32_e32 v22, v24, v22
	v_add_f32_e32 v24, v32, v22
	s_delay_alu instid0(VALU_DEP_1) | instskip(NEXT) | instid1(VALU_DEP_1)
	v_mul_f32_e32 v26, v23, v24
	v_dual_sub_f32 v31, v32, v24 :: v_dual_mul_f32 v28, v27, v26
	s_delay_alu instid0(VALU_DEP_1) | instskip(NEXT) | instid1(VALU_DEP_2)
	v_add_f32_e32 v22, v22, v31
	v_fma_f32 v27, v26, v27, -v28
	s_delay_alu instid0(VALU_DEP_1) | instskip(NEXT) | instid1(VALU_DEP_1)
	v_fmac_f32_e32 v27, v26, v25
	v_add_f32_e32 v25, v28, v27
	s_delay_alu instid0(VALU_DEP_1) | instskip(NEXT) | instid1(VALU_DEP_1)
	v_sub_f32_e32 v30, v24, v25
	v_sub_f32_e32 v24, v24, v30
	s_delay_alu instid0(VALU_DEP_1) | instskip(NEXT) | instid1(VALU_DEP_1)
	v_sub_f32_e32 v24, v24, v25
	v_add_f32_e32 v22, v22, v24
	v_add_f32_e32 v24, v29, v26
	v_sub_f32_e32 v28, v25, v28
	s_delay_alu instid0(VALU_DEP_1) | instskip(NEXT) | instid1(VALU_DEP_1)
	v_sub_f32_e32 v25, v28, v27
	v_dual_add_f32 v22, v25, v22 :: v_dual_sub_f32 v25, v24, v29
	s_delay_alu instid0(VALU_DEP_1) | instskip(NEXT) | instid1(VALU_DEP_1)
	v_add_f32_e32 v22, v30, v22
	v_dual_sub_f32 v25, v26, v25 :: v_dual_mul_f32 v22, v23, v22
	s_delay_alu instid0(VALU_DEP_1) | instskip(NEXT) | instid1(VALU_DEP_1)
	v_add_f32_e32 v22, v25, v22
	v_add_f32_e32 v23, v24, v22
	s_delay_alu instid0(VALU_DEP_1) | instskip(NEXT) | instid1(VALU_DEP_1)
	v_mul_f32_e32 v25, v23, v23
	v_fmaak_f32 v26, s0, v25, 0x3ecc95a3
	v_mul_f32_e32 v27, v23, v25
	v_cmp_eq_f32_e64 s0, 0x7f800000, v5
	s_delay_alu instid0(VALU_DEP_3) | instskip(SKIP_2) | instid1(VALU_DEP_4)
	v_fmaak_f32 v25, v25, v26, 0x3f2aaada
	v_ldexp_f32 v26, v23, 1
	v_sub_f32_e32 v23, v23, v24
	s_or_b32 s0, s0, s12
	s_delay_alu instid0(VALU_DEP_3) | instskip(NEXT) | instid1(VALU_DEP_2)
	v_mul_f32_e32 v25, v27, v25
	v_dual_mul_f32 v27, 0x3f317218, v21 :: v_dual_sub_f32 v22, v22, v23
	s_delay_alu instid0(VALU_DEP_2) | instskip(NEXT) | instid1(VALU_DEP_2)
	v_add_f32_e32 v24, v26, v25
	v_ldexp_f32 v22, v22, 1
	s_delay_alu instid0(VALU_DEP_2) | instskip(NEXT) | instid1(VALU_DEP_4)
	v_sub_f32_e32 v23, v24, v26
	v_fma_f32 v26, 0x3f317218, v21, -v27
	s_delay_alu instid0(VALU_DEP_2) | instskip(NEXT) | instid1(VALU_DEP_1)
	v_sub_f32_e32 v23, v25, v23
	v_dual_fmamk_f32 v21, v21, 0xb102e308, v26 :: v_dual_add_f32 v22, v22, v23
	s_delay_alu instid0(VALU_DEP_1) | instskip(NEXT) | instid1(VALU_DEP_1)
	v_add_f32_e32 v23, v27, v21
	v_sub_f32_e32 v27, v23, v27
	s_delay_alu instid0(VALU_DEP_1) | instskip(NEXT) | instid1(VALU_DEP_4)
	v_sub_f32_e32 v21, v21, v27
	v_add_f32_e32 v25, v24, v22
	s_delay_alu instid0(VALU_DEP_1) | instskip(NEXT) | instid1(VALU_DEP_1)
	v_sub_f32_e32 v24, v25, v24
	v_sub_f32_e32 v22, v22, v24
	v_add_f32_e32 v26, v23, v25
	s_delay_alu instid0(VALU_DEP_1) | instskip(NEXT) | instid1(VALU_DEP_1)
	v_sub_f32_e32 v28, v26, v23
	v_sub_f32_e32 v24, v25, v28
	s_delay_alu instid0(VALU_DEP_4) | instskip(SKIP_1) | instid1(VALU_DEP_1)
	v_add_f32_e32 v25, v21, v22
	v_sub_f32_e32 v29, v26, v28
	v_sub_f32_e32 v23, v23, v29
	s_delay_alu instid0(VALU_DEP_1) | instskip(NEXT) | instid1(VALU_DEP_1)
	v_dual_add_f32 v23, v24, v23 :: v_dual_sub_f32 v24, v25, v21
	v_dual_add_f32 v23, v25, v23 :: v_dual_sub_f32 v22, v22, v24
	v_sub_f32_e32 v25, v25, v24
	s_delay_alu instid0(VALU_DEP_2) | instskip(NEXT) | instid1(VALU_DEP_1)
	v_add_f32_e32 v27, v26, v23
	v_dual_sub_f32 v21, v21, v25 :: v_dual_sub_f32 v24, v27, v26
	s_delay_alu instid0(VALU_DEP_1) | instskip(NEXT) | instid1(VALU_DEP_1)
	v_dual_add_f32 v21, v22, v21 :: v_dual_sub_f32 v22, v23, v24
	v_add_f32_e32 v21, v21, v22
	s_delay_alu instid0(VALU_DEP_1) | instskip(NEXT) | instid1(VALU_DEP_1)
	v_add_f32_e32 v21, v27, v21
	v_cndmask_b32_e64 v5, v21, v5, s0
	s_delay_alu instid0(VALU_DEP_1)
	v_add_f32_e32 v5, v6, v5
.LBB135_63:
	s_or_b32 exec_lo, exec_lo, s1
	ds_load_b32 v6, v20 offset:28
	v_max_f32_e32 v21, v5, v5
	v_cmp_u_f32_e64 s0, v5, v5
	ds_store_b32 v20, v5 offset:24
	s_waitcnt lgkmcnt(1)
	v_max_f32_e32 v22, v6, v6
	s_delay_alu instid0(VALU_DEP_1) | instskip(SKIP_1) | instid1(VALU_DEP_2)
	v_min_f32_e32 v23, v21, v22
	v_max_f32_e32 v21, v21, v22
	v_cndmask_b32_e64 v22, v23, v5, s0
	s_delay_alu instid0(VALU_DEP_2) | instskip(SKIP_1) | instid1(VALU_DEP_1)
	v_cndmask_b32_e64 v23, v21, v5, s0
	v_cmp_u_f32_e64 s0, v6, v6
	v_cndmask_b32_e64 v21, v22, v6, s0
	s_delay_alu instid0(VALU_DEP_3) | instskip(NEXT) | instid1(VALU_DEP_2)
	v_cndmask_b32_e64 v6, v23, v6, s0
	v_cmp_class_f32_e64 s1, v21, 0x1f8
	s_delay_alu instid0(VALU_DEP_2) | instskip(NEXT) | instid1(VALU_DEP_1)
	v_cmp_neq_f32_e64 s0, v21, v6
	s_or_b32 s0, s0, s1
	s_delay_alu instid0(SALU_CYCLE_1)
	s_and_saveexec_b32 s1, s0
	s_cbranch_execz .LBB135_65
; %bb.64:
	v_sub_f32_e32 v5, v21, v6
	s_delay_alu instid0(VALU_DEP_1) | instskip(SKIP_1) | instid1(VALU_DEP_2)
	v_mul_f32_e32 v21, 0x3fb8aa3b, v5
	v_cmp_ngt_f32_e64 s0, 0xc2ce8ed0, v5
	v_fma_f32 v22, 0x3fb8aa3b, v5, -v21
	v_rndne_f32_e32 v23, v21
	s_delay_alu instid0(VALU_DEP_2) | instskip(NEXT) | instid1(VALU_DEP_2)
	v_fmamk_f32 v22, v5, 0x32a5705f, v22
	v_sub_f32_e32 v21, v21, v23
	s_delay_alu instid0(VALU_DEP_1) | instskip(SKIP_1) | instid1(VALU_DEP_2)
	v_add_f32_e32 v21, v21, v22
	v_cvt_i32_f32_e32 v22, v23
	v_exp_f32_e32 v21, v21
	s_waitcnt_depctr 0xfff
	v_ldexp_f32 v21, v21, v22
	s_delay_alu instid0(VALU_DEP_1) | instskip(SKIP_1) | instid1(VALU_DEP_1)
	v_cndmask_b32_e64 v21, 0, v21, s0
	v_cmp_nlt_f32_e64 s0, 0x42b17218, v5
	v_cndmask_b32_e64 v5, 0x7f800000, v21, s0
	s_delay_alu instid0(VALU_DEP_1) | instskip(SKIP_1) | instid1(VALU_DEP_2)
	v_add_f32_e32 v23, 1.0, v5
	v_cmp_gt_f32_e64 s12, 0x33800000, |v5|
	v_cvt_f64_f32_e32 v[21:22], v23
	s_delay_alu instid0(VALU_DEP_1) | instskip(SKIP_1) | instid1(VALU_DEP_1)
	v_frexp_exp_i32_f64_e32 v21, v[21:22]
	v_frexp_mant_f32_e32 v22, v23
	v_cmp_gt_f32_e64 s0, 0x3f2aaaab, v22
	v_add_f32_e32 v22, -1.0, v23
	s_delay_alu instid0(VALU_DEP_1) | instskip(NEXT) | instid1(VALU_DEP_3)
	v_dual_sub_f32 v25, v22, v23 :: v_dual_sub_f32 v22, v5, v22
	v_subrev_co_ci_u32_e64 v21, s0, 0, v21, s0
	s_mov_b32 s0, 0x3e9b6dac
	s_delay_alu instid0(VALU_DEP_1) | instskip(SKIP_1) | instid1(VALU_DEP_2)
	v_sub_nc_u32_e32 v24, 0, v21
	v_cvt_f32_i32_e32 v21, v21
	v_ldexp_f32 v23, v23, v24
	s_delay_alu instid0(VALU_DEP_1) | instskip(NEXT) | instid1(VALU_DEP_1)
	v_dual_add_f32 v25, 1.0, v25 :: v_dual_add_f32 v26, 1.0, v23
	v_add_f32_e32 v22, v22, v25
	s_delay_alu instid0(VALU_DEP_1) | instskip(NEXT) | instid1(VALU_DEP_3)
	v_ldexp_f32 v22, v22, v24
	v_dual_add_f32 v24, -1.0, v23 :: v_dual_add_f32 v25, -1.0, v26
	s_delay_alu instid0(VALU_DEP_1) | instskip(NEXT) | instid1(VALU_DEP_2)
	v_add_f32_e32 v27, 1.0, v24
	v_sub_f32_e32 v25, v23, v25
	s_delay_alu instid0(VALU_DEP_2) | instskip(NEXT) | instid1(VALU_DEP_2)
	v_sub_f32_e32 v23, v23, v27
	v_add_f32_e32 v25, v22, v25
	s_delay_alu instid0(VALU_DEP_2) | instskip(NEXT) | instid1(VALU_DEP_1)
	v_add_f32_e32 v22, v22, v23
	v_dual_add_f32 v28, v24, v22 :: v_dual_add_f32 v27, v26, v25
	s_delay_alu instid0(VALU_DEP_1) | instskip(NEXT) | instid1(VALU_DEP_2)
	v_sub_f32_e32 v24, v24, v28
	v_rcp_f32_e32 v23, v27
	v_sub_f32_e32 v26, v26, v27
	s_delay_alu instid0(VALU_DEP_1) | instskip(SKIP_2) | instid1(VALU_DEP_1)
	v_dual_add_f32 v22, v22, v24 :: v_dual_add_f32 v25, v25, v26
	s_waitcnt_depctr 0xfff
	v_mul_f32_e32 v29, v28, v23
	v_mul_f32_e32 v30, v27, v29
	s_delay_alu instid0(VALU_DEP_1) | instskip(NEXT) | instid1(VALU_DEP_1)
	v_fma_f32 v26, v29, v27, -v30
	v_fmac_f32_e32 v26, v29, v25
	s_delay_alu instid0(VALU_DEP_1) | instskip(NEXT) | instid1(VALU_DEP_1)
	v_add_f32_e32 v31, v30, v26
	v_sub_f32_e32 v32, v28, v31
	v_sub_f32_e32 v24, v31, v30
	s_delay_alu instid0(VALU_DEP_2) | instskip(NEXT) | instid1(VALU_DEP_2)
	v_sub_f32_e32 v28, v28, v32
	v_sub_f32_e32 v24, v24, v26
	s_delay_alu instid0(VALU_DEP_2) | instskip(NEXT) | instid1(VALU_DEP_1)
	v_sub_f32_e32 v28, v28, v31
	v_add_f32_e32 v22, v22, v28
	s_delay_alu instid0(VALU_DEP_1) | instskip(NEXT) | instid1(VALU_DEP_1)
	v_add_f32_e32 v22, v24, v22
	v_add_f32_e32 v24, v32, v22
	s_delay_alu instid0(VALU_DEP_1) | instskip(NEXT) | instid1(VALU_DEP_1)
	v_mul_f32_e32 v26, v23, v24
	v_dual_sub_f32 v31, v32, v24 :: v_dual_mul_f32 v28, v27, v26
	s_delay_alu instid0(VALU_DEP_1) | instskip(NEXT) | instid1(VALU_DEP_2)
	v_add_f32_e32 v22, v22, v31
	v_fma_f32 v27, v26, v27, -v28
	s_delay_alu instid0(VALU_DEP_1) | instskip(NEXT) | instid1(VALU_DEP_1)
	v_fmac_f32_e32 v27, v26, v25
	v_add_f32_e32 v25, v28, v27
	s_delay_alu instid0(VALU_DEP_1) | instskip(NEXT) | instid1(VALU_DEP_1)
	v_sub_f32_e32 v30, v24, v25
	v_sub_f32_e32 v24, v24, v30
	s_delay_alu instid0(VALU_DEP_1) | instskip(NEXT) | instid1(VALU_DEP_1)
	v_sub_f32_e32 v24, v24, v25
	v_add_f32_e32 v22, v22, v24
	v_add_f32_e32 v24, v29, v26
	v_sub_f32_e32 v28, v25, v28
	s_delay_alu instid0(VALU_DEP_1) | instskip(NEXT) | instid1(VALU_DEP_1)
	v_sub_f32_e32 v25, v28, v27
	v_dual_add_f32 v22, v25, v22 :: v_dual_sub_f32 v25, v24, v29
	s_delay_alu instid0(VALU_DEP_1) | instskip(NEXT) | instid1(VALU_DEP_1)
	v_add_f32_e32 v22, v30, v22
	v_dual_sub_f32 v25, v26, v25 :: v_dual_mul_f32 v22, v23, v22
	s_delay_alu instid0(VALU_DEP_1) | instskip(NEXT) | instid1(VALU_DEP_1)
	v_add_f32_e32 v22, v25, v22
	v_add_f32_e32 v23, v24, v22
	s_delay_alu instid0(VALU_DEP_1) | instskip(NEXT) | instid1(VALU_DEP_1)
	v_mul_f32_e32 v25, v23, v23
	v_fmaak_f32 v26, s0, v25, 0x3ecc95a3
	v_mul_f32_e32 v27, v23, v25
	v_cmp_eq_f32_e64 s0, 0x7f800000, v5
	s_delay_alu instid0(VALU_DEP_3) | instskip(SKIP_2) | instid1(VALU_DEP_4)
	v_fmaak_f32 v25, v25, v26, 0x3f2aaada
	v_ldexp_f32 v26, v23, 1
	v_sub_f32_e32 v23, v23, v24
	s_or_b32 s0, s0, s12
	s_delay_alu instid0(VALU_DEP_3) | instskip(NEXT) | instid1(VALU_DEP_2)
	v_mul_f32_e32 v25, v27, v25
	v_dual_mul_f32 v27, 0x3f317218, v21 :: v_dual_sub_f32 v22, v22, v23
	s_delay_alu instid0(VALU_DEP_2) | instskip(NEXT) | instid1(VALU_DEP_2)
	v_add_f32_e32 v24, v26, v25
	v_ldexp_f32 v22, v22, 1
	s_delay_alu instid0(VALU_DEP_2) | instskip(NEXT) | instid1(VALU_DEP_4)
	v_sub_f32_e32 v23, v24, v26
	v_fma_f32 v26, 0x3f317218, v21, -v27
	s_delay_alu instid0(VALU_DEP_2) | instskip(NEXT) | instid1(VALU_DEP_1)
	v_sub_f32_e32 v23, v25, v23
	v_dual_fmamk_f32 v21, v21, 0xb102e308, v26 :: v_dual_add_f32 v22, v22, v23
	s_delay_alu instid0(VALU_DEP_1) | instskip(NEXT) | instid1(VALU_DEP_1)
	v_add_f32_e32 v23, v27, v21
	v_sub_f32_e32 v27, v23, v27
	s_delay_alu instid0(VALU_DEP_1) | instskip(NEXT) | instid1(VALU_DEP_4)
	v_sub_f32_e32 v21, v21, v27
	v_add_f32_e32 v25, v24, v22
	s_delay_alu instid0(VALU_DEP_1) | instskip(NEXT) | instid1(VALU_DEP_1)
	v_sub_f32_e32 v24, v25, v24
	v_sub_f32_e32 v22, v22, v24
	v_add_f32_e32 v26, v23, v25
	s_delay_alu instid0(VALU_DEP_1) | instskip(NEXT) | instid1(VALU_DEP_1)
	v_sub_f32_e32 v28, v26, v23
	v_sub_f32_e32 v24, v25, v28
	s_delay_alu instid0(VALU_DEP_4) | instskip(SKIP_1) | instid1(VALU_DEP_1)
	v_add_f32_e32 v25, v21, v22
	v_sub_f32_e32 v29, v26, v28
	v_sub_f32_e32 v23, v23, v29
	s_delay_alu instid0(VALU_DEP_1) | instskip(NEXT) | instid1(VALU_DEP_1)
	v_dual_add_f32 v23, v24, v23 :: v_dual_sub_f32 v24, v25, v21
	v_dual_add_f32 v23, v25, v23 :: v_dual_sub_f32 v22, v22, v24
	v_sub_f32_e32 v25, v25, v24
	s_delay_alu instid0(VALU_DEP_2) | instskip(NEXT) | instid1(VALU_DEP_1)
	v_add_f32_e32 v27, v26, v23
	v_dual_sub_f32 v21, v21, v25 :: v_dual_sub_f32 v24, v27, v26
	s_delay_alu instid0(VALU_DEP_1) | instskip(NEXT) | instid1(VALU_DEP_1)
	v_dual_add_f32 v21, v22, v21 :: v_dual_sub_f32 v22, v23, v24
	v_add_f32_e32 v21, v21, v22
	s_delay_alu instid0(VALU_DEP_1) | instskip(NEXT) | instid1(VALU_DEP_1)
	v_add_f32_e32 v21, v27, v21
	v_cndmask_b32_e64 v5, v21, v5, s0
	s_delay_alu instid0(VALU_DEP_1)
	v_add_f32_e32 v5, v6, v5
.LBB135_65:
	s_or_b32 exec_lo, exec_lo, s1
	ds_store_b32 v20, v5 offset:28
.LBB135_66:
	s_or_b32 exec_lo, exec_lo, s9
	v_cmp_ne_u32_e64 s0, 0, v0
	s_waitcnt lgkmcnt(0)
	s_barrier
	buffer_gl0_inv
	s_and_saveexec_b32 s1, s0
	s_cbranch_execz .LBB135_68
; %bb.67:
	v_add_nc_u32_e32 v0, -1, v0
	s_delay_alu instid0(VALU_DEP_1) | instskip(NEXT) | instid1(VALU_DEP_1)
	v_lshrrev_b32_e32 v5, 5, v0
	v_add_lshl_u32 v0, v5, v0, 2
	ds_load_b32 v19, v0
.LBB135_68:
	s_or_b32 exec_lo, exec_lo, s1
	s_and_saveexec_b32 s1, s0
	s_cbranch_execz .LBB135_72
; %bb.69:
	s_waitcnt lgkmcnt(0)
	v_max_f32_e32 v0, v19, v19
	v_cmp_u_f32_e64 s0, v19, v19
	s_delay_alu instid0(VALU_DEP_2) | instskip(SKIP_1) | instid1(VALU_DEP_2)
	v_min_f32_e32 v5, v0, v18
	v_max_f32_e32 v0, v0, v18
	v_cndmask_b32_e64 v5, v5, v19, s0
	s_delay_alu instid0(VALU_DEP_2) | instskip(NEXT) | instid1(VALU_DEP_2)
	v_cndmask_b32_e64 v0, v0, v19, s0
	v_cndmask_b32_e64 v5, v5, v1, s8
	s_delay_alu instid0(VALU_DEP_2) | instskip(NEXT) | instid1(VALU_DEP_2)
	v_cndmask_b32_e64 v0, v0, v1, s8
	v_cmp_class_f32_e64 s8, v5, 0x1f8
	s_delay_alu instid0(VALU_DEP_2) | instskip(NEXT) | instid1(VALU_DEP_1)
	v_cmp_neq_f32_e64 s0, v5, v0
	s_or_b32 s0, s0, s8
	s_delay_alu instid0(SALU_CYCLE_1)
	s_and_saveexec_b32 s8, s0
	s_cbranch_execz .LBB135_71
; %bb.70:
	v_sub_f32_e32 v1, v5, v0
	s_delay_alu instid0(VALU_DEP_1) | instskip(SKIP_1) | instid1(VALU_DEP_2)
	v_mul_f32_e32 v5, 0x3fb8aa3b, v1
	v_cmp_ngt_f32_e64 s0, 0xc2ce8ed0, v1
	v_fma_f32 v6, 0x3fb8aa3b, v1, -v5
	v_rndne_f32_e32 v16, v5
	s_delay_alu instid0(VALU_DEP_2) | instskip(NEXT) | instid1(VALU_DEP_2)
	v_fmamk_f32 v6, v1, 0x32a5705f, v6
	v_sub_f32_e32 v5, v5, v16
	s_delay_alu instid0(VALU_DEP_1) | instskip(SKIP_1) | instid1(VALU_DEP_2)
	v_add_f32_e32 v5, v5, v6
	v_cvt_i32_f32_e32 v6, v16
	v_exp_f32_e32 v5, v5
	s_waitcnt_depctr 0xfff
	v_ldexp_f32 v5, v5, v6
	s_delay_alu instid0(VALU_DEP_1) | instskip(SKIP_1) | instid1(VALU_DEP_1)
	v_cndmask_b32_e64 v5, 0, v5, s0
	v_cmp_nlt_f32_e64 s0, 0x42b17218, v1
	v_cndmask_b32_e64 v1, 0x7f800000, v5, s0
	s_delay_alu instid0(VALU_DEP_1) | instskip(SKIP_1) | instid1(VALU_DEP_2)
	v_add_f32_e32 v16, 1.0, v1
	v_cmp_gt_f32_e64 s9, 0x33800000, |v1|
	v_cvt_f64_f32_e32 v[5:6], v16
	s_delay_alu instid0(VALU_DEP_1) | instskip(SKIP_1) | instid1(VALU_DEP_1)
	v_frexp_exp_i32_f64_e32 v5, v[5:6]
	v_frexp_mant_f32_e32 v6, v16
	v_cmp_gt_f32_e64 s0, 0x3f2aaaab, v6
	v_add_f32_e32 v6, -1.0, v16
	s_delay_alu instid0(VALU_DEP_1) | instskip(NEXT) | instid1(VALU_DEP_1)
	v_sub_f32_e32 v18, v6, v16
	v_add_f32_e32 v18, 1.0, v18
	s_delay_alu instid0(VALU_DEP_4) | instskip(SKIP_1) | instid1(VALU_DEP_1)
	v_subrev_co_ci_u32_e64 v5, s0, 0, v5, s0
	s_mov_b32 s0, 0x3e9b6dac
	v_sub_nc_u32_e32 v17, 0, v5
	v_cvt_f32_i32_e32 v5, v5
	s_delay_alu instid0(VALU_DEP_2) | instskip(NEXT) | instid1(VALU_DEP_1)
	v_ldexp_f32 v16, v16, v17
	v_dual_sub_f32 v6, v1, v6 :: v_dual_add_f32 v19, 1.0, v16
	s_delay_alu instid0(VALU_DEP_1) | instskip(NEXT) | instid1(VALU_DEP_1)
	v_add_f32_e32 v6, v6, v18
	v_ldexp_f32 v6, v6, v17
	s_delay_alu instid0(VALU_DEP_3) | instskip(NEXT) | instid1(VALU_DEP_1)
	v_dual_add_f32 v17, -1.0, v16 :: v_dual_add_f32 v18, -1.0, v19
	v_add_f32_e32 v20, 1.0, v17
	s_delay_alu instid0(VALU_DEP_2) | instskip(NEXT) | instid1(VALU_DEP_2)
	v_sub_f32_e32 v18, v16, v18
	v_sub_f32_e32 v16, v16, v20
	s_delay_alu instid0(VALU_DEP_2) | instskip(NEXT) | instid1(VALU_DEP_2)
	v_add_f32_e32 v18, v6, v18
	v_add_f32_e32 v6, v6, v16
	s_delay_alu instid0(VALU_DEP_1) | instskip(NEXT) | instid1(VALU_DEP_1)
	v_add_f32_e32 v21, v17, v6
	v_dual_sub_f32 v17, v17, v21 :: v_dual_add_f32 v20, v19, v18
	s_delay_alu instid0(VALU_DEP_1) | instskip(SKIP_1) | instid1(VALU_DEP_1)
	v_rcp_f32_e32 v16, v20
	v_sub_f32_e32 v19, v19, v20
	v_add_f32_e32 v18, v18, v19
	s_waitcnt_depctr 0xfff
	v_mul_f32_e32 v22, v21, v16
	s_delay_alu instid0(VALU_DEP_1) | instskip(NEXT) | instid1(VALU_DEP_1)
	v_mul_f32_e32 v23, v20, v22
	v_fma_f32 v19, v22, v20, -v23
	s_delay_alu instid0(VALU_DEP_1) | instskip(SKIP_1) | instid1(VALU_DEP_2)
	v_fmac_f32_e32 v19, v22, v18
	v_add_f32_e32 v6, v6, v17
	v_add_f32_e32 v24, v23, v19
	s_delay_alu instid0(VALU_DEP_1) | instskip(SKIP_1) | instid1(VALU_DEP_2)
	v_sub_f32_e32 v25, v21, v24
	v_sub_f32_e32 v17, v24, v23
	;; [unrolled: 1-line block ×3, first 2 shown]
	s_delay_alu instid0(VALU_DEP_2) | instskip(NEXT) | instid1(VALU_DEP_2)
	v_sub_f32_e32 v17, v17, v19
	v_sub_f32_e32 v21, v21, v24
	s_delay_alu instid0(VALU_DEP_1) | instskip(NEXT) | instid1(VALU_DEP_1)
	v_add_f32_e32 v6, v6, v21
	v_add_f32_e32 v6, v17, v6
	s_delay_alu instid0(VALU_DEP_1) | instskip(NEXT) | instid1(VALU_DEP_1)
	v_add_f32_e32 v17, v25, v6
	v_mul_f32_e32 v19, v16, v17
	s_delay_alu instid0(VALU_DEP_1) | instskip(NEXT) | instid1(VALU_DEP_1)
	v_dual_sub_f32 v24, v25, v17 :: v_dual_mul_f32 v21, v20, v19
	v_fma_f32 v20, v19, v20, -v21
	s_delay_alu instid0(VALU_DEP_1) | instskip(NEXT) | instid1(VALU_DEP_1)
	v_fmac_f32_e32 v20, v19, v18
	v_add_f32_e32 v18, v21, v20
	s_delay_alu instid0(VALU_DEP_1) | instskip(SKIP_1) | instid1(VALU_DEP_1)
	v_sub_f32_e32 v21, v18, v21
	v_dual_sub_f32 v23, v17, v18 :: v_dual_add_f32 v6, v6, v24
	v_sub_f32_e32 v17, v17, v23
	s_delay_alu instid0(VALU_DEP_1) | instskip(NEXT) | instid1(VALU_DEP_4)
	v_sub_f32_e32 v17, v17, v18
	v_sub_f32_e32 v18, v21, v20
	s_delay_alu instid0(VALU_DEP_2) | instskip(SKIP_1) | instid1(VALU_DEP_2)
	v_add_f32_e32 v6, v6, v17
	v_add_f32_e32 v17, v22, v19
	;; [unrolled: 1-line block ×3, first 2 shown]
	s_delay_alu instid0(VALU_DEP_2) | instskip(NEXT) | instid1(VALU_DEP_2)
	v_sub_f32_e32 v18, v17, v22
	v_add_f32_e32 v6, v23, v6
	s_delay_alu instid0(VALU_DEP_2) | instskip(NEXT) | instid1(VALU_DEP_2)
	v_sub_f32_e32 v18, v19, v18
	v_mul_f32_e32 v6, v16, v6
	s_delay_alu instid0(VALU_DEP_1) | instskip(NEXT) | instid1(VALU_DEP_1)
	v_add_f32_e32 v6, v18, v6
	v_add_f32_e32 v16, v17, v6
	s_delay_alu instid0(VALU_DEP_1) | instskip(NEXT) | instid1(VALU_DEP_1)
	v_mul_f32_e32 v18, v16, v16
	v_fmaak_f32 v19, s0, v18, 0x3ecc95a3
	v_mul_f32_e32 v20, v16, v18
	v_cmp_eq_f32_e64 s0, 0x7f800000, v1
	s_delay_alu instid0(VALU_DEP_3) | instskip(SKIP_2) | instid1(VALU_DEP_4)
	v_fmaak_f32 v18, v18, v19, 0x3f2aaada
	v_ldexp_f32 v19, v16, 1
	v_sub_f32_e32 v16, v16, v17
	s_or_b32 s0, s0, s9
	s_delay_alu instid0(VALU_DEP_3) | instskip(NEXT) | instid1(VALU_DEP_1)
	v_mul_f32_e32 v18, v20, v18
	v_dual_sub_f32 v6, v6, v16 :: v_dual_add_f32 v17, v19, v18
	s_delay_alu instid0(VALU_DEP_1) | instskip(NEXT) | instid1(VALU_DEP_2)
	v_ldexp_f32 v6, v6, 1
	v_sub_f32_e32 v16, v17, v19
	s_delay_alu instid0(VALU_DEP_1) | instskip(NEXT) | instid1(VALU_DEP_1)
	v_sub_f32_e32 v16, v18, v16
	v_add_f32_e32 v6, v6, v16
	s_delay_alu instid0(VALU_DEP_1) | instskip(SKIP_1) | instid1(VALU_DEP_2)
	v_add_f32_e32 v18, v17, v6
	v_mul_f32_e32 v20, 0x3f317218, v5
	v_sub_f32_e32 v17, v18, v17
	s_delay_alu instid0(VALU_DEP_2) | instskip(NEXT) | instid1(VALU_DEP_1)
	v_fma_f32 v19, 0x3f317218, v5, -v20
	v_dual_sub_f32 v6, v6, v17 :: v_dual_fmamk_f32 v5, v5, 0xb102e308, v19
	s_delay_alu instid0(VALU_DEP_1) | instskip(NEXT) | instid1(VALU_DEP_1)
	v_add_f32_e32 v16, v20, v5
	v_add_f32_e32 v19, v16, v18
	v_sub_f32_e32 v20, v16, v20
	s_delay_alu instid0(VALU_DEP_2) | instskip(NEXT) | instid1(VALU_DEP_1)
	v_sub_f32_e32 v21, v19, v16
	v_dual_sub_f32 v5, v5, v20 :: v_dual_sub_f32 v22, v19, v21
	s_delay_alu instid0(VALU_DEP_1) | instskip(NEXT) | instid1(VALU_DEP_2)
	v_dual_sub_f32 v17, v18, v21 :: v_dual_add_f32 v18, v5, v6
	v_sub_f32_e32 v16, v16, v22
	s_delay_alu instid0(VALU_DEP_1) | instskip(NEXT) | instid1(VALU_DEP_1)
	v_dual_add_f32 v16, v17, v16 :: v_dual_sub_f32 v17, v18, v5
	v_add_f32_e32 v16, v18, v16
	s_delay_alu instid0(VALU_DEP_2) | instskip(SKIP_1) | instid1(VALU_DEP_2)
	v_sub_f32_e32 v18, v18, v17
	v_sub_f32_e32 v6, v6, v17
	v_dual_add_f32 v20, v19, v16 :: v_dual_sub_f32 v5, v5, v18
	s_delay_alu instid0(VALU_DEP_1) | instskip(NEXT) | instid1(VALU_DEP_2)
	v_sub_f32_e32 v17, v20, v19
	v_add_f32_e32 v5, v6, v5
	s_delay_alu instid0(VALU_DEP_2) | instskip(NEXT) | instid1(VALU_DEP_1)
	v_sub_f32_e32 v6, v16, v17
	v_add_f32_e32 v5, v5, v6
	s_delay_alu instid0(VALU_DEP_1) | instskip(NEXT) | instid1(VALU_DEP_1)
	v_add_f32_e32 v5, v20, v5
	v_cndmask_b32_e64 v1, v5, v1, s0
	s_delay_alu instid0(VALU_DEP_1)
	v_add_f32_e32 v19, v0, v1
.LBB135_71:
	s_or_b32 exec_lo, exec_lo, s8
	s_delay_alu instid0(VALU_DEP_1) | instskip(SKIP_1) | instid1(VALU_DEP_1)
	v_max_f32_e32 v0, v19, v19
	;;#ASMSTART
	;;#ASMEND
	v_dual_mov_b32 v1, v19 :: v_dual_min_f32 v16, v0, v15
	v_max_f32_e32 v17, v0, v15
.LBB135_72:
	s_or_b32 exec_lo, exec_lo, s1
	s_delay_alu instid0(VALU_DEP_2) | instskip(NEXT) | instid1(VALU_DEP_1)
	v_cmp_u_f32_e64 s0, v1, v1
	v_cndmask_b32_e64 v0, v16, v1, s0
	s_delay_alu instid0(VALU_DEP_3) | instskip(NEXT) | instid1(VALU_DEP_2)
	v_cndmask_b32_e64 v6, v17, v1, s0
	v_cndmask_b32_e64 v5, v0, v2, s5
	s_delay_alu instid0(VALU_DEP_2) | instskip(SKIP_1) | instid1(VALU_DEP_3)
	v_cndmask_b32_e64 v2, v6, v2, s5
	v_mov_b32_e32 v0, v1
	v_cmp_class_f32_e64 s1, v5, 0x1f8
	s_delay_alu instid0(VALU_DEP_3) | instskip(NEXT) | instid1(VALU_DEP_1)
	v_cmp_neq_f32_e64 s0, v5, v2
	s_or_b32 s0, s0, s1
	s_delay_alu instid0(SALU_CYCLE_1)
	s_and_saveexec_b32 s1, s0
	s_cbranch_execz .LBB135_74
; %bb.73:
	v_sub_f32_e32 v0, v5, v2
	s_delay_alu instid0(VALU_DEP_1) | instskip(SKIP_1) | instid1(VALU_DEP_2)
	v_mul_f32_e32 v5, 0x3fb8aa3b, v0
	v_cmp_ngt_f32_e64 s0, 0xc2ce8ed0, v0
	v_fma_f32 v6, 0x3fb8aa3b, v0, -v5
	v_rndne_f32_e32 v15, v5
	s_delay_alu instid0(VALU_DEP_1) | instskip(NEXT) | instid1(VALU_DEP_1)
	v_dual_fmamk_f32 v6, v0, 0x32a5705f, v6 :: v_dual_sub_f32 v5, v5, v15
	v_add_f32_e32 v5, v5, v6
	v_cvt_i32_f32_e32 v6, v15
	s_delay_alu instid0(VALU_DEP_2) | instskip(SKIP_2) | instid1(VALU_DEP_1)
	v_exp_f32_e32 v5, v5
	s_waitcnt_depctr 0xfff
	v_ldexp_f32 v5, v5, v6
	v_cndmask_b32_e64 v5, 0, v5, s0
	v_cmp_nlt_f32_e64 s0, 0x42b17218, v0
	s_delay_alu instid0(VALU_DEP_1) | instskip(NEXT) | instid1(VALU_DEP_1)
	v_cndmask_b32_e64 v0, 0x7f800000, v5, s0
	v_add_f32_e32 v15, 1.0, v0
	v_cmp_gt_f32_e64 s5, 0x33800000, |v0|
	s_delay_alu instid0(VALU_DEP_2) | instskip(NEXT) | instid1(VALU_DEP_1)
	v_cvt_f64_f32_e32 v[5:6], v15
	v_frexp_exp_i32_f64_e32 v5, v[5:6]
	v_frexp_mant_f32_e32 v6, v15
	s_delay_alu instid0(VALU_DEP_1) | instskip(SKIP_1) | instid1(VALU_DEP_1)
	v_cmp_gt_f32_e64 s0, 0x3f2aaaab, v6
	v_add_f32_e32 v6, -1.0, v15
	v_dual_sub_f32 v17, v6, v15 :: v_dual_sub_f32 v6, v0, v6
	s_delay_alu instid0(VALU_DEP_3) | instskip(SKIP_1) | instid1(VALU_DEP_1)
	v_subrev_co_ci_u32_e64 v5, s0, 0, v5, s0
	s_mov_b32 s0, 0x3e9b6dac
	v_sub_nc_u32_e32 v16, 0, v5
	v_cvt_f32_i32_e32 v5, v5
	s_delay_alu instid0(VALU_DEP_2) | instskip(NEXT) | instid1(VALU_DEP_1)
	v_ldexp_f32 v15, v15, v16
	v_dual_add_f32 v17, 1.0, v17 :: v_dual_add_f32 v18, 1.0, v15
	s_delay_alu instid0(VALU_DEP_1) | instskip(NEXT) | instid1(VALU_DEP_1)
	v_dual_add_f32 v6, v6, v17 :: v_dual_add_f32 v17, -1.0, v18
	v_ldexp_f32 v6, v6, v16
	s_delay_alu instid0(VALU_DEP_2) | instskip(SKIP_1) | instid1(VALU_DEP_1)
	v_dual_add_f32 v16, -1.0, v15 :: v_dual_sub_f32 v17, v15, v17
	s_waitcnt lgkmcnt(0)
	v_add_f32_e32 v19, 1.0, v16
	s_delay_alu instid0(VALU_DEP_2) | instskip(NEXT) | instid1(VALU_DEP_2)
	v_add_f32_e32 v17, v6, v17
	v_sub_f32_e32 v15, v15, v19
	s_delay_alu instid0(VALU_DEP_1) | instskip(NEXT) | instid1(VALU_DEP_1)
	v_add_f32_e32 v6, v6, v15
	v_dual_add_f32 v20, v16, v6 :: v_dual_add_f32 v19, v18, v17
	s_delay_alu instid0(VALU_DEP_1) | instskip(NEXT) | instid1(VALU_DEP_2)
	v_sub_f32_e32 v16, v16, v20
	v_rcp_f32_e32 v15, v19
	v_sub_f32_e32 v18, v18, v19
	s_delay_alu instid0(VALU_DEP_1) | instskip(SKIP_2) | instid1(VALU_DEP_1)
	v_dual_add_f32 v6, v6, v16 :: v_dual_add_f32 v17, v17, v18
	s_waitcnt_depctr 0xfff
	v_mul_f32_e32 v21, v20, v15
	v_mul_f32_e32 v22, v19, v21
	s_delay_alu instid0(VALU_DEP_1) | instskip(NEXT) | instid1(VALU_DEP_1)
	v_fma_f32 v18, v21, v19, -v22
	v_fmac_f32_e32 v18, v21, v17
	s_delay_alu instid0(VALU_DEP_1) | instskip(NEXT) | instid1(VALU_DEP_1)
	v_add_f32_e32 v23, v22, v18
	v_sub_f32_e32 v24, v20, v23
	s_delay_alu instid0(VALU_DEP_1) | instskip(SKIP_1) | instid1(VALU_DEP_2)
	v_sub_f32_e32 v20, v20, v24
	v_sub_f32_e32 v16, v23, v22
	;; [unrolled: 1-line block ×3, first 2 shown]
	s_delay_alu instid0(VALU_DEP_2) | instskip(NEXT) | instid1(VALU_DEP_2)
	v_sub_f32_e32 v16, v16, v18
	v_add_f32_e32 v6, v6, v20
	s_delay_alu instid0(VALU_DEP_1) | instskip(NEXT) | instid1(VALU_DEP_1)
	v_add_f32_e32 v6, v16, v6
	v_add_f32_e32 v16, v24, v6
	s_delay_alu instid0(VALU_DEP_1) | instskip(NEXT) | instid1(VALU_DEP_1)
	v_mul_f32_e32 v18, v15, v16
	v_dual_sub_f32 v23, v24, v16 :: v_dual_mul_f32 v20, v19, v18
	s_delay_alu instid0(VALU_DEP_1) | instskip(NEXT) | instid1(VALU_DEP_2)
	v_add_f32_e32 v6, v6, v23
	v_fma_f32 v19, v18, v19, -v20
	s_delay_alu instid0(VALU_DEP_1) | instskip(NEXT) | instid1(VALU_DEP_1)
	v_fmac_f32_e32 v19, v18, v17
	v_add_f32_e32 v17, v20, v19
	s_delay_alu instid0(VALU_DEP_1) | instskip(SKIP_1) | instid1(VALU_DEP_2)
	v_sub_f32_e32 v22, v16, v17
	v_sub_f32_e32 v20, v17, v20
	;; [unrolled: 1-line block ×3, first 2 shown]
	s_delay_alu instid0(VALU_DEP_1) | instskip(NEXT) | instid1(VALU_DEP_1)
	v_sub_f32_e32 v16, v16, v17
	v_dual_sub_f32 v17, v20, v19 :: v_dual_add_f32 v6, v6, v16
	v_add_f32_e32 v16, v21, v18
	s_delay_alu instid0(VALU_DEP_1) | instskip(NEXT) | instid1(VALU_DEP_1)
	v_dual_add_f32 v6, v17, v6 :: v_dual_sub_f32 v17, v16, v21
	v_add_f32_e32 v6, v22, v6
	s_delay_alu instid0(VALU_DEP_1) | instskip(NEXT) | instid1(VALU_DEP_1)
	v_dual_sub_f32 v17, v18, v17 :: v_dual_mul_f32 v6, v15, v6
	v_add_f32_e32 v6, v17, v6
	s_delay_alu instid0(VALU_DEP_1) | instskip(NEXT) | instid1(VALU_DEP_1)
	v_add_f32_e32 v15, v16, v6
	v_mul_f32_e32 v17, v15, v15
	s_delay_alu instid0(VALU_DEP_1) | instskip(SKIP_2) | instid1(VALU_DEP_3)
	v_fmaak_f32 v18, s0, v17, 0x3ecc95a3
	v_mul_f32_e32 v19, v15, v17
	v_cmp_eq_f32_e64 s0, 0x7f800000, v0
	v_fmaak_f32 v17, v17, v18, 0x3f2aaada
	v_ldexp_f32 v18, v15, 1
	v_sub_f32_e32 v15, v15, v16
	s_delay_alu instid0(VALU_DEP_4) | instskip(NEXT) | instid1(VALU_DEP_3)
	s_or_b32 s0, s0, s5
	v_mul_f32_e32 v17, v19, v17
	s_delay_alu instid0(VALU_DEP_2) | instskip(NEXT) | instid1(VALU_DEP_2)
	v_dual_mul_f32 v19, 0x3f317218, v5 :: v_dual_sub_f32 v6, v6, v15
	v_add_f32_e32 v16, v18, v17
	s_delay_alu instid0(VALU_DEP_2) | instskip(NEXT) | instid1(VALU_DEP_2)
	v_ldexp_f32 v6, v6, 1
	v_sub_f32_e32 v15, v16, v18
	s_delay_alu instid0(VALU_DEP_4) | instskip(NEXT) | instid1(VALU_DEP_2)
	v_fma_f32 v18, 0x3f317218, v5, -v19
	v_sub_f32_e32 v15, v17, v15
	s_delay_alu instid0(VALU_DEP_1) | instskip(NEXT) | instid1(VALU_DEP_1)
	v_dual_fmamk_f32 v5, v5, 0xb102e308, v18 :: v_dual_add_f32 v6, v6, v15
	v_add_f32_e32 v15, v19, v5
	s_delay_alu instid0(VALU_DEP_1) | instskip(NEXT) | instid1(VALU_DEP_1)
	v_sub_f32_e32 v19, v15, v19
	v_sub_f32_e32 v5, v5, v19
	s_delay_alu instid0(VALU_DEP_4) | instskip(NEXT) | instid1(VALU_DEP_1)
	v_add_f32_e32 v17, v16, v6
	v_sub_f32_e32 v16, v17, v16
	s_delay_alu instid0(VALU_DEP_1) | instskip(SKIP_1) | instid1(VALU_DEP_1)
	v_sub_f32_e32 v6, v6, v16
	v_add_f32_e32 v18, v15, v17
	v_sub_f32_e32 v20, v18, v15
	s_delay_alu instid0(VALU_DEP_1) | instskip(NEXT) | instid1(VALU_DEP_4)
	v_sub_f32_e32 v16, v17, v20
	v_add_f32_e32 v17, v5, v6
	v_sub_f32_e32 v21, v18, v20
	s_delay_alu instid0(VALU_DEP_1) | instskip(NEXT) | instid1(VALU_DEP_1)
	v_sub_f32_e32 v15, v15, v21
	v_dual_add_f32 v15, v16, v15 :: v_dual_sub_f32 v16, v17, v5
	s_delay_alu instid0(VALU_DEP_1) | instskip(SKIP_1) | instid1(VALU_DEP_2)
	v_dual_add_f32 v15, v17, v15 :: v_dual_sub_f32 v6, v6, v16
	v_sub_f32_e32 v17, v17, v16
	v_add_f32_e32 v19, v18, v15
	s_delay_alu instid0(VALU_DEP_1) | instskip(NEXT) | instid1(VALU_DEP_1)
	v_dual_sub_f32 v5, v5, v17 :: v_dual_sub_f32 v16, v19, v18
	v_dual_add_f32 v5, v6, v5 :: v_dual_sub_f32 v6, v15, v16
	s_delay_alu instid0(VALU_DEP_1) | instskip(NEXT) | instid1(VALU_DEP_1)
	v_add_f32_e32 v5, v5, v6
	v_add_f32_e32 v5, v19, v5
	s_delay_alu instid0(VALU_DEP_1) | instskip(NEXT) | instid1(VALU_DEP_1)
	v_cndmask_b32_e64 v0, v5, v0, s0
	v_add_f32_e32 v0, v2, v0
.LBB135_74:
	s_or_b32 exec_lo, exec_lo, s1
	s_delay_alu instid0(VALU_DEP_1) | instskip(SKIP_1) | instid1(VALU_DEP_2)
	v_max_f32_e32 v2, v0, v0
	v_cmp_u_f32_e64 s0, v0, v0
	v_min_f32_e32 v5, v2, v13
	v_max_f32_e32 v2, v2, v13
	s_delay_alu instid0(VALU_DEP_2) | instskip(NEXT) | instid1(VALU_DEP_2)
	v_cndmask_b32_e64 v5, v5, v0, s0
	v_cndmask_b32_e64 v2, v2, v0, s0
	s_delay_alu instid0(VALU_DEP_2) | instskip(NEXT) | instid1(VALU_DEP_2)
	v_cndmask_b32_e64 v5, v5, v3, s6
	v_cndmask_b32_e64 v3, v2, v3, s6
	v_mov_b32_e32 v2, v0
	s_delay_alu instid0(VALU_DEP_3) | instskip(NEXT) | instid1(VALU_DEP_3)
	v_cmp_class_f32_e64 s1, v5, 0x1f8
	v_cmp_neq_f32_e64 s0, v5, v3
	s_delay_alu instid0(VALU_DEP_1) | instskip(NEXT) | instid1(SALU_CYCLE_1)
	s_or_b32 s0, s0, s1
	s_and_saveexec_b32 s1, s0
	s_cbranch_execz .LBB135_76
; %bb.75:
	v_sub_f32_e32 v2, v5, v3
	s_delay_alu instid0(VALU_DEP_1) | instskip(SKIP_1) | instid1(VALU_DEP_2)
	v_mul_f32_e32 v5, 0x3fb8aa3b, v2
	v_cmp_ngt_f32_e64 s0, 0xc2ce8ed0, v2
	v_fma_f32 v6, 0x3fb8aa3b, v2, -v5
	v_rndne_f32_e32 v13, v5
	s_delay_alu instid0(VALU_DEP_1) | instskip(NEXT) | instid1(VALU_DEP_1)
	v_dual_fmamk_f32 v6, v2, 0x32a5705f, v6 :: v_dual_sub_f32 v5, v5, v13
	v_add_f32_e32 v5, v5, v6
	v_cvt_i32_f32_e32 v6, v13
	s_delay_alu instid0(VALU_DEP_2) | instskip(SKIP_2) | instid1(VALU_DEP_1)
	v_exp_f32_e32 v5, v5
	s_waitcnt_depctr 0xfff
	v_ldexp_f32 v5, v5, v6
	v_cndmask_b32_e64 v5, 0, v5, s0
	v_cmp_nlt_f32_e64 s0, 0x42b17218, v2
	s_delay_alu instid0(VALU_DEP_1) | instskip(NEXT) | instid1(VALU_DEP_1)
	v_cndmask_b32_e64 v2, 0x7f800000, v5, s0
	v_add_f32_e32 v13, 1.0, v2
	v_cmp_gt_f32_e64 s5, 0x33800000, |v2|
	s_delay_alu instid0(VALU_DEP_2) | instskip(NEXT) | instid1(VALU_DEP_1)
	v_cvt_f64_f32_e32 v[5:6], v13
	v_frexp_exp_i32_f64_e32 v5, v[5:6]
	v_frexp_mant_f32_e32 v6, v13
	s_delay_alu instid0(VALU_DEP_1) | instskip(SKIP_1) | instid1(VALU_DEP_1)
	v_cmp_gt_f32_e64 s0, 0x3f2aaaab, v6
	v_add_f32_e32 v6, -1.0, v13
	v_sub_f32_e32 v16, v6, v13
	s_delay_alu instid0(VALU_DEP_1) | instskip(NEXT) | instid1(VALU_DEP_4)
	v_add_f32_e32 v16, 1.0, v16
	v_subrev_co_ci_u32_e64 v5, s0, 0, v5, s0
	s_mov_b32 s0, 0x3e9b6dac
	s_delay_alu instid0(VALU_DEP_1) | instskip(SKIP_1) | instid1(VALU_DEP_2)
	v_sub_nc_u32_e32 v15, 0, v5
	v_cvt_f32_i32_e32 v5, v5
	v_ldexp_f32 v13, v13, v15
	s_delay_alu instid0(VALU_DEP_1) | instskip(NEXT) | instid1(VALU_DEP_1)
	v_dual_sub_f32 v6, v2, v6 :: v_dual_add_f32 v17, 1.0, v13
	v_add_f32_e32 v6, v6, v16
	s_delay_alu instid0(VALU_DEP_1) | instskip(SKIP_1) | instid1(VALU_DEP_4)
	v_ldexp_f32 v6, v6, v15
	v_add_f32_e32 v15, -1.0, v13
	v_add_f32_e32 v16, -1.0, v17
	s_delay_alu instid0(VALU_DEP_2) | instskip(NEXT) | instid1(VALU_DEP_2)
	v_add_f32_e32 v18, 1.0, v15
	v_sub_f32_e32 v16, v13, v16
	s_delay_alu instid0(VALU_DEP_1) | instskip(NEXT) | instid1(VALU_DEP_1)
	v_dual_sub_f32 v13, v13, v18 :: v_dual_add_f32 v16, v6, v16
	v_add_f32_e32 v6, v6, v13
	s_waitcnt lgkmcnt(0)
	s_delay_alu instid0(VALU_DEP_1) | instskip(NEXT) | instid1(VALU_DEP_1)
	v_dual_add_f32 v19, v15, v6 :: v_dual_add_f32 v18, v17, v16
	v_sub_f32_e32 v15, v15, v19
	s_delay_alu instid0(VALU_DEP_2) | instskip(SKIP_1) | instid1(VALU_DEP_1)
	v_rcp_f32_e32 v13, v18
	v_sub_f32_e32 v17, v17, v18
	v_add_f32_e32 v16, v16, v17
	s_waitcnt_depctr 0xfff
	v_mul_f32_e32 v20, v19, v13
	s_delay_alu instid0(VALU_DEP_1) | instskip(NEXT) | instid1(VALU_DEP_1)
	v_mul_f32_e32 v21, v18, v20
	v_fma_f32 v17, v20, v18, -v21
	s_delay_alu instid0(VALU_DEP_1) | instskip(NEXT) | instid1(VALU_DEP_1)
	v_fmac_f32_e32 v17, v20, v16
	v_add_f32_e32 v22, v21, v17
	s_delay_alu instid0(VALU_DEP_1) | instskip(NEXT) | instid1(VALU_DEP_1)
	v_sub_f32_e32 v23, v19, v22
	v_sub_f32_e32 v19, v19, v23
	v_add_f32_e32 v6, v6, v15
	v_sub_f32_e32 v15, v22, v21
	s_delay_alu instid0(VALU_DEP_3) | instskip(NEXT) | instid1(VALU_DEP_1)
	v_sub_f32_e32 v19, v19, v22
	v_dual_sub_f32 v15, v15, v17 :: v_dual_add_f32 v6, v6, v19
	s_delay_alu instid0(VALU_DEP_1) | instskip(NEXT) | instid1(VALU_DEP_1)
	v_add_f32_e32 v6, v15, v6
	v_add_f32_e32 v15, v23, v6
	s_delay_alu instid0(VALU_DEP_1) | instskip(NEXT) | instid1(VALU_DEP_1)
	v_mul_f32_e32 v17, v13, v15
	v_dual_sub_f32 v22, v23, v15 :: v_dual_mul_f32 v19, v18, v17
	s_delay_alu instid0(VALU_DEP_1) | instskip(NEXT) | instid1(VALU_DEP_2)
	v_add_f32_e32 v6, v6, v22
	v_fma_f32 v18, v17, v18, -v19
	s_delay_alu instid0(VALU_DEP_1) | instskip(NEXT) | instid1(VALU_DEP_1)
	v_fmac_f32_e32 v18, v17, v16
	v_add_f32_e32 v16, v19, v18
	s_delay_alu instid0(VALU_DEP_1) | instskip(NEXT) | instid1(VALU_DEP_1)
	v_sub_f32_e32 v21, v15, v16
	v_sub_f32_e32 v15, v15, v21
	s_delay_alu instid0(VALU_DEP_1) | instskip(NEXT) | instid1(VALU_DEP_1)
	v_sub_f32_e32 v15, v15, v16
	v_dual_add_f32 v6, v6, v15 :: v_dual_add_f32 v15, v20, v17
	v_sub_f32_e32 v19, v16, v19
	s_delay_alu instid0(VALU_DEP_1) | instskip(NEXT) | instid1(VALU_DEP_1)
	v_sub_f32_e32 v16, v19, v18
	v_add_f32_e32 v6, v16, v6
	s_delay_alu instid0(VALU_DEP_4) | instskip(NEXT) | instid1(VALU_DEP_2)
	v_sub_f32_e32 v16, v15, v20
	v_add_f32_e32 v6, v21, v6
	s_delay_alu instid0(VALU_DEP_2) | instskip(NEXT) | instid1(VALU_DEP_2)
	v_sub_f32_e32 v16, v17, v16
	v_mul_f32_e32 v6, v13, v6
	s_delay_alu instid0(VALU_DEP_1) | instskip(NEXT) | instid1(VALU_DEP_1)
	v_add_f32_e32 v6, v16, v6
	v_add_f32_e32 v13, v15, v6
	s_delay_alu instid0(VALU_DEP_1) | instskip(NEXT) | instid1(VALU_DEP_1)
	v_mul_f32_e32 v16, v13, v13
	v_fmaak_f32 v17, s0, v16, 0x3ecc95a3
	v_mul_f32_e32 v18, v13, v16
	v_cmp_eq_f32_e64 s0, 0x7f800000, v2
	s_delay_alu instid0(VALU_DEP_3) | instskip(SKIP_2) | instid1(VALU_DEP_4)
	v_fmaak_f32 v16, v16, v17, 0x3f2aaada
	v_ldexp_f32 v17, v13, 1
	v_sub_f32_e32 v13, v13, v15
	s_or_b32 s0, s0, s5
	s_delay_alu instid0(VALU_DEP_3) | instskip(NEXT) | instid1(VALU_DEP_1)
	v_mul_f32_e32 v16, v18, v16
	v_dual_add_f32 v15, v17, v16 :: v_dual_sub_f32 v6, v6, v13
	s_delay_alu instid0(VALU_DEP_1) | instskip(NEXT) | instid1(VALU_DEP_2)
	v_sub_f32_e32 v13, v15, v17
	v_ldexp_f32 v6, v6, 1
	s_delay_alu instid0(VALU_DEP_2) | instskip(NEXT) | instid1(VALU_DEP_1)
	v_sub_f32_e32 v13, v16, v13
	v_add_f32_e32 v6, v6, v13
	s_delay_alu instid0(VALU_DEP_1) | instskip(NEXT) | instid1(VALU_DEP_1)
	v_add_f32_e32 v16, v15, v6
	v_dual_mul_f32 v18, 0x3f317218, v5 :: v_dual_sub_f32 v15, v16, v15
	s_delay_alu instid0(VALU_DEP_1) | instskip(NEXT) | instid1(VALU_DEP_1)
	v_fma_f32 v17, 0x3f317218, v5, -v18
	v_fmamk_f32 v5, v5, 0xb102e308, v17
	s_delay_alu instid0(VALU_DEP_1) | instskip(NEXT) | instid1(VALU_DEP_1)
	v_add_f32_e32 v13, v18, v5
	v_add_f32_e32 v17, v13, v16
	s_delay_alu instid0(VALU_DEP_1) | instskip(NEXT) | instid1(VALU_DEP_1)
	v_sub_f32_e32 v19, v17, v13
	v_sub_f32_e32 v20, v17, v19
	v_sub_f32_e32 v18, v13, v18
	s_delay_alu instid0(VALU_DEP_2) | instskip(SKIP_1) | instid1(VALU_DEP_3)
	v_dual_sub_f32 v13, v13, v20 :: v_dual_sub_f32 v6, v6, v15
	v_sub_f32_e32 v15, v16, v19
	v_sub_f32_e32 v5, v5, v18
	s_delay_alu instid0(VALU_DEP_1) | instskip(NEXT) | instid1(VALU_DEP_1)
	v_dual_add_f32 v13, v15, v13 :: v_dual_add_f32 v16, v5, v6
	v_sub_f32_e32 v15, v16, v5
	s_delay_alu instid0(VALU_DEP_1) | instskip(SKIP_1) | instid1(VALU_DEP_2)
	v_dual_add_f32 v13, v16, v13 :: v_dual_sub_f32 v6, v6, v15
	v_sub_f32_e32 v16, v16, v15
	v_add_f32_e32 v18, v17, v13
	s_delay_alu instid0(VALU_DEP_2) | instskip(NEXT) | instid1(VALU_DEP_2)
	v_sub_f32_e32 v5, v5, v16
	v_sub_f32_e32 v15, v18, v17
	s_delay_alu instid0(VALU_DEP_1) | instskip(NEXT) | instid1(VALU_DEP_1)
	v_dual_add_f32 v5, v6, v5 :: v_dual_sub_f32 v6, v13, v15
	v_add_f32_e32 v5, v5, v6
	s_delay_alu instid0(VALU_DEP_1) | instskip(NEXT) | instid1(VALU_DEP_1)
	v_add_f32_e32 v5, v18, v5
	v_cndmask_b32_e64 v2, v5, v2, s0
	s_delay_alu instid0(VALU_DEP_1)
	v_add_f32_e32 v2, v3, v2
.LBB135_76:
	s_or_b32 exec_lo, exec_lo, s1
	s_delay_alu instid0(VALU_DEP_1) | instskip(SKIP_1) | instid1(VALU_DEP_2)
	v_max_f32_e32 v3, v2, v2
	v_cmp_u_f32_e64 s0, v2, v2
	v_min_f32_e32 v5, v3, v14
	v_max_f32_e32 v3, v3, v14
	s_delay_alu instid0(VALU_DEP_2) | instskip(NEXT) | instid1(VALU_DEP_2)
	v_cndmask_b32_e64 v5, v5, v2, s0
	v_cndmask_b32_e64 v3, v3, v2, s0
	s_delay_alu instid0(VALU_DEP_2) | instskip(NEXT) | instid1(VALU_DEP_2)
	v_cndmask_b32_e64 v5, v5, v4, s7
	v_cndmask_b32_e64 v3, v3, v4, s7
	v_mov_b32_e32 v4, v2
	s_delay_alu instid0(VALU_DEP_3) | instskip(NEXT) | instid1(VALU_DEP_3)
	v_cmp_class_f32_e64 s1, v5, 0x1f8
	v_cmp_neq_f32_e64 s0, v5, v3
	s_delay_alu instid0(VALU_DEP_1) | instskip(NEXT) | instid1(SALU_CYCLE_1)
	s_or_b32 s0, s0, s1
	s_and_saveexec_b32 s1, s0
	s_cbranch_execz .LBB135_78
; %bb.77:
	v_sub_f32_e32 v4, v5, v3
	s_delay_alu instid0(VALU_DEP_1) | instskip(SKIP_1) | instid1(VALU_DEP_2)
	v_mul_f32_e32 v5, 0x3fb8aa3b, v4
	v_cmp_ngt_f32_e64 s0, 0xc2ce8ed0, v4
	v_fma_f32 v6, 0x3fb8aa3b, v4, -v5
	v_rndne_f32_e32 v13, v5
	s_delay_alu instid0(VALU_DEP_1) | instskip(NEXT) | instid1(VALU_DEP_1)
	v_dual_fmamk_f32 v6, v4, 0x32a5705f, v6 :: v_dual_sub_f32 v5, v5, v13
	v_add_f32_e32 v5, v5, v6
	v_cvt_i32_f32_e32 v6, v13
	s_delay_alu instid0(VALU_DEP_2) | instskip(SKIP_2) | instid1(VALU_DEP_1)
	v_exp_f32_e32 v5, v5
	s_waitcnt_depctr 0xfff
	v_ldexp_f32 v5, v5, v6
	v_cndmask_b32_e64 v5, 0, v5, s0
	v_cmp_nlt_f32_e64 s0, 0x42b17218, v4
	s_delay_alu instid0(VALU_DEP_1) | instskip(NEXT) | instid1(VALU_DEP_1)
	v_cndmask_b32_e64 v6, 0x7f800000, v5, s0
	v_add_f32_e32 v13, 1.0, v6
	v_cmp_gt_f32_e64 s5, 0x33800000, |v6|
	s_delay_alu instid0(VALU_DEP_2) | instskip(NEXT) | instid1(VALU_DEP_1)
	v_cvt_f64_f32_e32 v[4:5], v13
	v_frexp_exp_i32_f64_e32 v4, v[4:5]
	v_frexp_mant_f32_e32 v5, v13
	s_delay_alu instid0(VALU_DEP_1) | instskip(SKIP_1) | instid1(VALU_DEP_1)
	v_cmp_gt_f32_e64 s0, 0x3f2aaaab, v5
	v_add_f32_e32 v5, -1.0, v13
	v_sub_f32_e32 v15, v5, v13
	v_sub_f32_e32 v5, v6, v5
	s_delay_alu instid0(VALU_DEP_2) | instskip(SKIP_2) | instid1(VALU_DEP_1)
	v_add_f32_e32 v15, 1.0, v15
	v_subrev_co_ci_u32_e64 v4, s0, 0, v4, s0
	s_mov_b32 s0, 0x3e9b6dac
	v_sub_nc_u32_e32 v14, 0, v4
	v_cvt_f32_i32_e32 v4, v4
	s_delay_alu instid0(VALU_DEP_2) | instskip(NEXT) | instid1(VALU_DEP_1)
	v_ldexp_f32 v13, v13, v14
	v_dual_add_f32 v16, 1.0, v13 :: v_dual_add_f32 v5, v5, v15
	s_delay_alu instid0(VALU_DEP_1) | instskip(NEXT) | instid1(VALU_DEP_2)
	v_add_f32_e32 v15, -1.0, v16
	v_ldexp_f32 v5, v5, v14
	s_delay_alu instid0(VALU_DEP_2) | instskip(NEXT) | instid1(VALU_DEP_1)
	v_dual_add_f32 v14, -1.0, v13 :: v_dual_sub_f32 v15, v13, v15
	v_add_f32_e32 v17, 1.0, v14
	s_delay_alu instid0(VALU_DEP_2) | instskip(NEXT) | instid1(VALU_DEP_2)
	v_add_f32_e32 v15, v5, v15
	v_sub_f32_e32 v13, v13, v17
	s_delay_alu instid0(VALU_DEP_2) | instskip(NEXT) | instid1(VALU_DEP_2)
	v_add_f32_e32 v17, v16, v15
	v_add_f32_e32 v5, v5, v13
	s_delay_alu instid0(VALU_DEP_2) | instskip(SKIP_1) | instid1(VALU_DEP_1)
	v_rcp_f32_e32 v13, v17
	v_sub_f32_e32 v16, v16, v17
	v_dual_add_f32 v18, v14, v5 :: v_dual_add_f32 v15, v15, v16
	s_delay_alu instid0(VALU_DEP_1) | instskip(SKIP_4) | instid1(VALU_DEP_2)
	v_sub_f32_e32 v14, v14, v18
	s_waitcnt lgkmcnt(0)
	s_waitcnt_depctr 0xfff
	v_mul_f32_e32 v19, v18, v13
	v_add_f32_e32 v5, v5, v14
	v_mul_f32_e32 v20, v17, v19
	s_delay_alu instid0(VALU_DEP_1) | instskip(NEXT) | instid1(VALU_DEP_1)
	v_fma_f32 v16, v19, v17, -v20
	v_fmac_f32_e32 v16, v19, v15
	s_delay_alu instid0(VALU_DEP_1) | instskip(NEXT) | instid1(VALU_DEP_1)
	v_add_f32_e32 v21, v20, v16
	v_sub_f32_e32 v22, v18, v21
	v_sub_f32_e32 v14, v21, v20
	s_delay_alu instid0(VALU_DEP_2) | instskip(NEXT) | instid1(VALU_DEP_2)
	v_sub_f32_e32 v18, v18, v22
	v_sub_f32_e32 v14, v14, v16
	s_delay_alu instid0(VALU_DEP_2) | instskip(NEXT) | instid1(VALU_DEP_1)
	v_sub_f32_e32 v18, v18, v21
	v_add_f32_e32 v5, v5, v18
	s_delay_alu instid0(VALU_DEP_1) | instskip(NEXT) | instid1(VALU_DEP_1)
	v_add_f32_e32 v5, v14, v5
	v_add_f32_e32 v14, v22, v5
	s_delay_alu instid0(VALU_DEP_1) | instskip(NEXT) | instid1(VALU_DEP_1)
	v_mul_f32_e32 v16, v13, v14
	v_dual_sub_f32 v21, v22, v14 :: v_dual_mul_f32 v18, v17, v16
	s_delay_alu instid0(VALU_DEP_1) | instskip(NEXT) | instid1(VALU_DEP_2)
	v_add_f32_e32 v5, v5, v21
	v_fma_f32 v17, v16, v17, -v18
	s_delay_alu instid0(VALU_DEP_1) | instskip(NEXT) | instid1(VALU_DEP_1)
	v_fmac_f32_e32 v17, v16, v15
	v_add_f32_e32 v15, v18, v17
	s_delay_alu instid0(VALU_DEP_1) | instskip(SKIP_1) | instid1(VALU_DEP_2)
	v_sub_f32_e32 v20, v14, v15
	v_sub_f32_e32 v18, v15, v18
	;; [unrolled: 1-line block ×3, first 2 shown]
	s_delay_alu instid0(VALU_DEP_1) | instskip(NEXT) | instid1(VALU_DEP_1)
	v_sub_f32_e32 v14, v14, v15
	v_dual_add_f32 v5, v5, v14 :: v_dual_add_f32 v14, v19, v16
	s_delay_alu instid0(VALU_DEP_4) | instskip(NEXT) | instid1(VALU_DEP_1)
	v_sub_f32_e32 v15, v18, v17
	v_add_f32_e32 v5, v15, v5
	s_delay_alu instid0(VALU_DEP_3) | instskip(NEXT) | instid1(VALU_DEP_2)
	v_sub_f32_e32 v15, v14, v19
	v_add_f32_e32 v5, v20, v5
	s_delay_alu instid0(VALU_DEP_2) | instskip(NEXT) | instid1(VALU_DEP_2)
	v_sub_f32_e32 v15, v16, v15
	v_mul_f32_e32 v5, v13, v5
	s_delay_alu instid0(VALU_DEP_1) | instskip(NEXT) | instid1(VALU_DEP_1)
	v_add_f32_e32 v5, v15, v5
	v_add_f32_e32 v13, v14, v5
	s_delay_alu instid0(VALU_DEP_1) | instskip(NEXT) | instid1(VALU_DEP_1)
	v_mul_f32_e32 v15, v13, v13
	v_fmaak_f32 v16, s0, v15, 0x3ecc95a3
	v_mul_f32_e32 v17, v13, v15
	v_cmp_eq_f32_e64 s0, 0x7f800000, v6
	s_delay_alu instid0(VALU_DEP_3) | instskip(SKIP_2) | instid1(VALU_DEP_4)
	v_fmaak_f32 v15, v15, v16, 0x3f2aaada
	v_ldexp_f32 v16, v13, 1
	v_sub_f32_e32 v13, v13, v14
	s_or_b32 s0, s0, s5
	s_delay_alu instid0(VALU_DEP_3) | instskip(SKIP_1) | instid1(VALU_DEP_2)
	v_mul_f32_e32 v15, v17, v15
	v_mul_f32_e32 v17, 0x3f317218, v4
	v_dual_sub_f32 v5, v5, v13 :: v_dual_add_f32 v14, v16, v15
	s_delay_alu instid0(VALU_DEP_1) | instskip(NEXT) | instid1(VALU_DEP_2)
	v_ldexp_f32 v5, v5, 1
	v_sub_f32_e32 v13, v14, v16
	s_delay_alu instid0(VALU_DEP_4) | instskip(NEXT) | instid1(VALU_DEP_1)
	v_fma_f32 v16, 0x3f317218, v4, -v17
	v_dual_sub_f32 v13, v15, v13 :: v_dual_fmamk_f32 v4, v4, 0xb102e308, v16
	s_delay_alu instid0(VALU_DEP_1) | instskip(NEXT) | instid1(VALU_DEP_2)
	v_add_f32_e32 v5, v5, v13
	v_add_f32_e32 v13, v17, v4
	s_delay_alu instid0(VALU_DEP_2) | instskip(NEXT) | instid1(VALU_DEP_2)
	v_add_f32_e32 v15, v14, v5
	v_sub_f32_e32 v17, v13, v17
	s_delay_alu instid0(VALU_DEP_2) | instskip(SKIP_1) | instid1(VALU_DEP_3)
	v_add_f32_e32 v16, v13, v15
	v_sub_f32_e32 v14, v15, v14
	v_sub_f32_e32 v4, v4, v17
	s_delay_alu instid0(VALU_DEP_2) | instskip(NEXT) | instid1(VALU_DEP_1)
	v_dual_sub_f32 v18, v16, v13 :: v_dual_sub_f32 v5, v5, v14
	v_sub_f32_e32 v19, v16, v18
	s_delay_alu instid0(VALU_DEP_2) | instskip(NEXT) | instid1(VALU_DEP_2)
	v_dual_sub_f32 v14, v15, v18 :: v_dual_add_f32 v15, v4, v5
	v_sub_f32_e32 v13, v13, v19
	s_delay_alu instid0(VALU_DEP_1) | instskip(NEXT) | instid1(VALU_DEP_1)
	v_dual_add_f32 v13, v14, v13 :: v_dual_sub_f32 v14, v15, v4
	v_add_f32_e32 v13, v15, v13
	s_delay_alu instid0(VALU_DEP_2) | instskip(SKIP_1) | instid1(VALU_DEP_3)
	v_sub_f32_e32 v15, v15, v14
	v_sub_f32_e32 v5, v5, v14
	v_add_f32_e32 v17, v16, v13
	s_delay_alu instid0(VALU_DEP_3) | instskip(NEXT) | instid1(VALU_DEP_2)
	v_sub_f32_e32 v4, v4, v15
	v_sub_f32_e32 v14, v17, v16
	s_delay_alu instid0(VALU_DEP_2) | instskip(NEXT) | instid1(VALU_DEP_2)
	v_add_f32_e32 v4, v5, v4
	v_sub_f32_e32 v5, v13, v14
	s_delay_alu instid0(VALU_DEP_1) | instskip(NEXT) | instid1(VALU_DEP_1)
	v_add_f32_e32 v4, v4, v5
	v_add_f32_e32 v4, v17, v4
	s_delay_alu instid0(VALU_DEP_1) | instskip(NEXT) | instid1(VALU_DEP_1)
	v_cndmask_b32_e64 v4, v4, v6, s0
	v_add_f32_e32 v4, v3, v4
.LBB135_78:
	s_or_b32 exec_lo, exec_lo, s1
	s_waitcnt lgkmcnt(0)
	s_barrier
	buffer_gl0_inv
	ds_store_2addr_b32 v12, v1, v0 offset1:1
	ds_store_2addr_b32 v12, v2, v4 offset0:2 offset1:3
	s_waitcnt lgkmcnt(0)
	s_barrier
	buffer_gl0_inv
	ds_load_b32 v4, v9 offset:1024
	ds_load_b32 v3, v10 offset:2048
	;; [unrolled: 1-line block ×3, first 2 shown]
	v_add_co_u32 v0, s0, s10, v7
	s_delay_alu instid0(VALU_DEP_1)
	v_add_co_ci_u32_e64 v1, null, s11, 0, s0
	s_and_saveexec_b32 s0, vcc_lo
	s_cbranch_execnz .LBB135_83
; %bb.79:
	s_or_b32 exec_lo, exec_lo, s0
	s_and_saveexec_b32 s0, s2
	s_cbranch_execnz .LBB135_84
.LBB135_80:
	s_or_b32 exec_lo, exec_lo, s0
	s_and_saveexec_b32 s0, s3
	s_cbranch_execnz .LBB135_85
.LBB135_81:
	s_or_b32 exec_lo, exec_lo, s0
	s_and_saveexec_b32 s0, s4
	s_cbranch_execnz .LBB135_86
.LBB135_82:
	s_nop 0
	s_sendmsg sendmsg(MSG_DEALLOC_VGPRS)
	s_endpgm
.LBB135_83:
	ds_load_b32 v5, v8
	s_waitcnt lgkmcnt(0)
	global_store_b32 v[0:1], v5, off
	s_or_b32 exec_lo, exec_lo, s0
	s_and_saveexec_b32 s0, s2
	s_cbranch_execz .LBB135_80
.LBB135_84:
	s_waitcnt lgkmcnt(2)
	global_store_b32 v[0:1], v4, off offset:1024
	s_or_b32 exec_lo, exec_lo, s0
	s_and_saveexec_b32 s0, s3
	s_cbranch_execz .LBB135_81
.LBB135_85:
	s_waitcnt lgkmcnt(1)
	global_store_b32 v[0:1], v3, off offset:2048
	s_or_b32 exec_lo, exec_lo, s0
	s_and_saveexec_b32 s0, s4
	s_cbranch_execz .LBB135_82
.LBB135_86:
	s_waitcnt lgkmcnt(0)
	global_store_b32 v[0:1], v2, off offset:3072
	s_nop 0
	s_sendmsg sendmsg(MSG_DEALLOC_VGPRS)
	s_endpgm
	.section	.rodata,"a",@progbits
	.p2align	6, 0x0
	.amdhsa_kernel _ZN7rocprim17ROCPRIM_400000_NS6detail17trampoline_kernelINS0_14default_configENS1_20scan_config_selectorIfEEZZNS1_9scan_implILNS1_25lookback_scan_determinismE0ELb0ELb0ES3_PKfPffZZZN2at6native31launch_logcumsumexp_cuda_kernelERKNSB_10TensorBaseESF_lENKUlvE_clEvENKUlvE0_clEvEUlffE_fEEDaPvRmT3_T4_T5_mT6_P12ihipStream_tbENKUlT_T0_E_clISt17integral_constantIbLb1EESW_EEDaSR_SS_EUlSR_E0_NS1_11comp_targetILNS1_3genE9ELNS1_11target_archE1100ELNS1_3gpuE3ELNS1_3repE0EEENS1_30default_config_static_selectorELNS0_4arch9wavefront6targetE0EEEvT1_
		.amdhsa_group_segment_fixed_size 4224
		.amdhsa_private_segment_fixed_size 0
		.amdhsa_kernarg_size 32
		.amdhsa_user_sgpr_count 15
		.amdhsa_user_sgpr_dispatch_ptr 0
		.amdhsa_user_sgpr_queue_ptr 0
		.amdhsa_user_sgpr_kernarg_segment_ptr 1
		.amdhsa_user_sgpr_dispatch_id 0
		.amdhsa_user_sgpr_private_segment_size 0
		.amdhsa_wavefront_size32 1
		.amdhsa_uses_dynamic_stack 0
		.amdhsa_enable_private_segment 0
		.amdhsa_system_sgpr_workgroup_id_x 1
		.amdhsa_system_sgpr_workgroup_id_y 0
		.amdhsa_system_sgpr_workgroup_id_z 0
		.amdhsa_system_sgpr_workgroup_info 0
		.amdhsa_system_vgpr_workitem_id 0
		.amdhsa_next_free_vgpr 37
		.amdhsa_next_free_sgpr 15
		.amdhsa_reserve_vcc 1
		.amdhsa_float_round_mode_32 0
		.amdhsa_float_round_mode_16_64 0
		.amdhsa_float_denorm_mode_32 3
		.amdhsa_float_denorm_mode_16_64 3
		.amdhsa_dx10_clamp 1
		.amdhsa_ieee_mode 1
		.amdhsa_fp16_overflow 0
		.amdhsa_workgroup_processor_mode 1
		.amdhsa_memory_ordered 1
		.amdhsa_forward_progress 0
		.amdhsa_shared_vgpr_count 0
		.amdhsa_exception_fp_ieee_invalid_op 0
		.amdhsa_exception_fp_denorm_src 0
		.amdhsa_exception_fp_ieee_div_zero 0
		.amdhsa_exception_fp_ieee_overflow 0
		.amdhsa_exception_fp_ieee_underflow 0
		.amdhsa_exception_fp_ieee_inexact 0
		.amdhsa_exception_int_div_zero 0
	.end_amdhsa_kernel
	.section	.text._ZN7rocprim17ROCPRIM_400000_NS6detail17trampoline_kernelINS0_14default_configENS1_20scan_config_selectorIfEEZZNS1_9scan_implILNS1_25lookback_scan_determinismE0ELb0ELb0ES3_PKfPffZZZN2at6native31launch_logcumsumexp_cuda_kernelERKNSB_10TensorBaseESF_lENKUlvE_clEvENKUlvE0_clEvEUlffE_fEEDaPvRmT3_T4_T5_mT6_P12ihipStream_tbENKUlT_T0_E_clISt17integral_constantIbLb1EESW_EEDaSR_SS_EUlSR_E0_NS1_11comp_targetILNS1_3genE9ELNS1_11target_archE1100ELNS1_3gpuE3ELNS1_3repE0EEENS1_30default_config_static_selectorELNS0_4arch9wavefront6targetE0EEEvT1_,"axG",@progbits,_ZN7rocprim17ROCPRIM_400000_NS6detail17trampoline_kernelINS0_14default_configENS1_20scan_config_selectorIfEEZZNS1_9scan_implILNS1_25lookback_scan_determinismE0ELb0ELb0ES3_PKfPffZZZN2at6native31launch_logcumsumexp_cuda_kernelERKNSB_10TensorBaseESF_lENKUlvE_clEvENKUlvE0_clEvEUlffE_fEEDaPvRmT3_T4_T5_mT6_P12ihipStream_tbENKUlT_T0_E_clISt17integral_constantIbLb1EESW_EEDaSR_SS_EUlSR_E0_NS1_11comp_targetILNS1_3genE9ELNS1_11target_archE1100ELNS1_3gpuE3ELNS1_3repE0EEENS1_30default_config_static_selectorELNS0_4arch9wavefront6targetE0EEEvT1_,comdat
.Lfunc_end135:
	.size	_ZN7rocprim17ROCPRIM_400000_NS6detail17trampoline_kernelINS0_14default_configENS1_20scan_config_selectorIfEEZZNS1_9scan_implILNS1_25lookback_scan_determinismE0ELb0ELb0ES3_PKfPffZZZN2at6native31launch_logcumsumexp_cuda_kernelERKNSB_10TensorBaseESF_lENKUlvE_clEvENKUlvE0_clEvEUlffE_fEEDaPvRmT3_T4_T5_mT6_P12ihipStream_tbENKUlT_T0_E_clISt17integral_constantIbLb1EESW_EEDaSR_SS_EUlSR_E0_NS1_11comp_targetILNS1_3genE9ELNS1_11target_archE1100ELNS1_3gpuE3ELNS1_3repE0EEENS1_30default_config_static_selectorELNS0_4arch9wavefront6targetE0EEEvT1_, .Lfunc_end135-_ZN7rocprim17ROCPRIM_400000_NS6detail17trampoline_kernelINS0_14default_configENS1_20scan_config_selectorIfEEZZNS1_9scan_implILNS1_25lookback_scan_determinismE0ELb0ELb0ES3_PKfPffZZZN2at6native31launch_logcumsumexp_cuda_kernelERKNSB_10TensorBaseESF_lENKUlvE_clEvENKUlvE0_clEvEUlffE_fEEDaPvRmT3_T4_T5_mT6_P12ihipStream_tbENKUlT_T0_E_clISt17integral_constantIbLb1EESW_EEDaSR_SS_EUlSR_E0_NS1_11comp_targetILNS1_3genE9ELNS1_11target_archE1100ELNS1_3gpuE3ELNS1_3repE0EEENS1_30default_config_static_selectorELNS0_4arch9wavefront6targetE0EEEvT1_
                                        ; -- End function
	.section	.AMDGPU.csdata,"",@progbits
; Kernel info:
; codeLenInByte = 26408
; NumSgprs: 17
; NumVgprs: 37
; ScratchSize: 0
; MemoryBound: 0
; FloatMode: 240
; IeeeMode: 1
; LDSByteSize: 4224 bytes/workgroup (compile time only)
; SGPRBlocks: 2
; VGPRBlocks: 4
; NumSGPRsForWavesPerEU: 17
; NumVGPRsForWavesPerEU: 37
; Occupancy: 16
; WaveLimiterHint : 0
; COMPUTE_PGM_RSRC2:SCRATCH_EN: 0
; COMPUTE_PGM_RSRC2:USER_SGPR: 15
; COMPUTE_PGM_RSRC2:TRAP_HANDLER: 0
; COMPUTE_PGM_RSRC2:TGID_X_EN: 1
; COMPUTE_PGM_RSRC2:TGID_Y_EN: 0
; COMPUTE_PGM_RSRC2:TGID_Z_EN: 0
; COMPUTE_PGM_RSRC2:TIDIG_COMP_CNT: 0
	.section	.text._ZN7rocprim17ROCPRIM_400000_NS6detail17trampoline_kernelINS0_14default_configENS1_20scan_config_selectorIfEEZZNS1_9scan_implILNS1_25lookback_scan_determinismE0ELb0ELb0ES3_PKfPffZZZN2at6native31launch_logcumsumexp_cuda_kernelERKNSB_10TensorBaseESF_lENKUlvE_clEvENKUlvE0_clEvEUlffE_fEEDaPvRmT3_T4_T5_mT6_P12ihipStream_tbENKUlT_T0_E_clISt17integral_constantIbLb1EESW_EEDaSR_SS_EUlSR_E0_NS1_11comp_targetILNS1_3genE8ELNS1_11target_archE1030ELNS1_3gpuE2ELNS1_3repE0EEENS1_30default_config_static_selectorELNS0_4arch9wavefront6targetE0EEEvT1_,"axG",@progbits,_ZN7rocprim17ROCPRIM_400000_NS6detail17trampoline_kernelINS0_14default_configENS1_20scan_config_selectorIfEEZZNS1_9scan_implILNS1_25lookback_scan_determinismE0ELb0ELb0ES3_PKfPffZZZN2at6native31launch_logcumsumexp_cuda_kernelERKNSB_10TensorBaseESF_lENKUlvE_clEvENKUlvE0_clEvEUlffE_fEEDaPvRmT3_T4_T5_mT6_P12ihipStream_tbENKUlT_T0_E_clISt17integral_constantIbLb1EESW_EEDaSR_SS_EUlSR_E0_NS1_11comp_targetILNS1_3genE8ELNS1_11target_archE1030ELNS1_3gpuE2ELNS1_3repE0EEENS1_30default_config_static_selectorELNS0_4arch9wavefront6targetE0EEEvT1_,comdat
	.globl	_ZN7rocprim17ROCPRIM_400000_NS6detail17trampoline_kernelINS0_14default_configENS1_20scan_config_selectorIfEEZZNS1_9scan_implILNS1_25lookback_scan_determinismE0ELb0ELb0ES3_PKfPffZZZN2at6native31launch_logcumsumexp_cuda_kernelERKNSB_10TensorBaseESF_lENKUlvE_clEvENKUlvE0_clEvEUlffE_fEEDaPvRmT3_T4_T5_mT6_P12ihipStream_tbENKUlT_T0_E_clISt17integral_constantIbLb1EESW_EEDaSR_SS_EUlSR_E0_NS1_11comp_targetILNS1_3genE8ELNS1_11target_archE1030ELNS1_3gpuE2ELNS1_3repE0EEENS1_30default_config_static_selectorELNS0_4arch9wavefront6targetE0EEEvT1_ ; -- Begin function _ZN7rocprim17ROCPRIM_400000_NS6detail17trampoline_kernelINS0_14default_configENS1_20scan_config_selectorIfEEZZNS1_9scan_implILNS1_25lookback_scan_determinismE0ELb0ELb0ES3_PKfPffZZZN2at6native31launch_logcumsumexp_cuda_kernelERKNSB_10TensorBaseESF_lENKUlvE_clEvENKUlvE0_clEvEUlffE_fEEDaPvRmT3_T4_T5_mT6_P12ihipStream_tbENKUlT_T0_E_clISt17integral_constantIbLb1EESW_EEDaSR_SS_EUlSR_E0_NS1_11comp_targetILNS1_3genE8ELNS1_11target_archE1030ELNS1_3gpuE2ELNS1_3repE0EEENS1_30default_config_static_selectorELNS0_4arch9wavefront6targetE0EEEvT1_
	.p2align	8
	.type	_ZN7rocprim17ROCPRIM_400000_NS6detail17trampoline_kernelINS0_14default_configENS1_20scan_config_selectorIfEEZZNS1_9scan_implILNS1_25lookback_scan_determinismE0ELb0ELb0ES3_PKfPffZZZN2at6native31launch_logcumsumexp_cuda_kernelERKNSB_10TensorBaseESF_lENKUlvE_clEvENKUlvE0_clEvEUlffE_fEEDaPvRmT3_T4_T5_mT6_P12ihipStream_tbENKUlT_T0_E_clISt17integral_constantIbLb1EESW_EEDaSR_SS_EUlSR_E0_NS1_11comp_targetILNS1_3genE8ELNS1_11target_archE1030ELNS1_3gpuE2ELNS1_3repE0EEENS1_30default_config_static_selectorELNS0_4arch9wavefront6targetE0EEEvT1_,@function
_ZN7rocprim17ROCPRIM_400000_NS6detail17trampoline_kernelINS0_14default_configENS1_20scan_config_selectorIfEEZZNS1_9scan_implILNS1_25lookback_scan_determinismE0ELb0ELb0ES3_PKfPffZZZN2at6native31launch_logcumsumexp_cuda_kernelERKNSB_10TensorBaseESF_lENKUlvE_clEvENKUlvE0_clEvEUlffE_fEEDaPvRmT3_T4_T5_mT6_P12ihipStream_tbENKUlT_T0_E_clISt17integral_constantIbLb1EESW_EEDaSR_SS_EUlSR_E0_NS1_11comp_targetILNS1_3genE8ELNS1_11target_archE1030ELNS1_3gpuE2ELNS1_3repE0EEENS1_30default_config_static_selectorELNS0_4arch9wavefront6targetE0EEEvT1_: ; @_ZN7rocprim17ROCPRIM_400000_NS6detail17trampoline_kernelINS0_14default_configENS1_20scan_config_selectorIfEEZZNS1_9scan_implILNS1_25lookback_scan_determinismE0ELb0ELb0ES3_PKfPffZZZN2at6native31launch_logcumsumexp_cuda_kernelERKNSB_10TensorBaseESF_lENKUlvE_clEvENKUlvE0_clEvEUlffE_fEEDaPvRmT3_T4_T5_mT6_P12ihipStream_tbENKUlT_T0_E_clISt17integral_constantIbLb1EESW_EEDaSR_SS_EUlSR_E0_NS1_11comp_targetILNS1_3genE8ELNS1_11target_archE1030ELNS1_3gpuE2ELNS1_3repE0EEENS1_30default_config_static_selectorELNS0_4arch9wavefront6targetE0EEEvT1_
; %bb.0:
	.section	.rodata,"a",@progbits
	.p2align	6, 0x0
	.amdhsa_kernel _ZN7rocprim17ROCPRIM_400000_NS6detail17trampoline_kernelINS0_14default_configENS1_20scan_config_selectorIfEEZZNS1_9scan_implILNS1_25lookback_scan_determinismE0ELb0ELb0ES3_PKfPffZZZN2at6native31launch_logcumsumexp_cuda_kernelERKNSB_10TensorBaseESF_lENKUlvE_clEvENKUlvE0_clEvEUlffE_fEEDaPvRmT3_T4_T5_mT6_P12ihipStream_tbENKUlT_T0_E_clISt17integral_constantIbLb1EESW_EEDaSR_SS_EUlSR_E0_NS1_11comp_targetILNS1_3genE8ELNS1_11target_archE1030ELNS1_3gpuE2ELNS1_3repE0EEENS1_30default_config_static_selectorELNS0_4arch9wavefront6targetE0EEEvT1_
		.amdhsa_group_segment_fixed_size 0
		.amdhsa_private_segment_fixed_size 0
		.amdhsa_kernarg_size 32
		.amdhsa_user_sgpr_count 15
		.amdhsa_user_sgpr_dispatch_ptr 0
		.amdhsa_user_sgpr_queue_ptr 0
		.amdhsa_user_sgpr_kernarg_segment_ptr 1
		.amdhsa_user_sgpr_dispatch_id 0
		.amdhsa_user_sgpr_private_segment_size 0
		.amdhsa_wavefront_size32 1
		.amdhsa_uses_dynamic_stack 0
		.amdhsa_enable_private_segment 0
		.amdhsa_system_sgpr_workgroup_id_x 1
		.amdhsa_system_sgpr_workgroup_id_y 0
		.amdhsa_system_sgpr_workgroup_id_z 0
		.amdhsa_system_sgpr_workgroup_info 0
		.amdhsa_system_vgpr_workitem_id 0
		.amdhsa_next_free_vgpr 1
		.amdhsa_next_free_sgpr 1
		.amdhsa_reserve_vcc 0
		.amdhsa_float_round_mode_32 0
		.amdhsa_float_round_mode_16_64 0
		.amdhsa_float_denorm_mode_32 3
		.amdhsa_float_denorm_mode_16_64 3
		.amdhsa_dx10_clamp 1
		.amdhsa_ieee_mode 1
		.amdhsa_fp16_overflow 0
		.amdhsa_workgroup_processor_mode 1
		.amdhsa_memory_ordered 1
		.amdhsa_forward_progress 0
		.amdhsa_shared_vgpr_count 0
		.amdhsa_exception_fp_ieee_invalid_op 0
		.amdhsa_exception_fp_denorm_src 0
		.amdhsa_exception_fp_ieee_div_zero 0
		.amdhsa_exception_fp_ieee_overflow 0
		.amdhsa_exception_fp_ieee_underflow 0
		.amdhsa_exception_fp_ieee_inexact 0
		.amdhsa_exception_int_div_zero 0
	.end_amdhsa_kernel
	.section	.text._ZN7rocprim17ROCPRIM_400000_NS6detail17trampoline_kernelINS0_14default_configENS1_20scan_config_selectorIfEEZZNS1_9scan_implILNS1_25lookback_scan_determinismE0ELb0ELb0ES3_PKfPffZZZN2at6native31launch_logcumsumexp_cuda_kernelERKNSB_10TensorBaseESF_lENKUlvE_clEvENKUlvE0_clEvEUlffE_fEEDaPvRmT3_T4_T5_mT6_P12ihipStream_tbENKUlT_T0_E_clISt17integral_constantIbLb1EESW_EEDaSR_SS_EUlSR_E0_NS1_11comp_targetILNS1_3genE8ELNS1_11target_archE1030ELNS1_3gpuE2ELNS1_3repE0EEENS1_30default_config_static_selectorELNS0_4arch9wavefront6targetE0EEEvT1_,"axG",@progbits,_ZN7rocprim17ROCPRIM_400000_NS6detail17trampoline_kernelINS0_14default_configENS1_20scan_config_selectorIfEEZZNS1_9scan_implILNS1_25lookback_scan_determinismE0ELb0ELb0ES3_PKfPffZZZN2at6native31launch_logcumsumexp_cuda_kernelERKNSB_10TensorBaseESF_lENKUlvE_clEvENKUlvE0_clEvEUlffE_fEEDaPvRmT3_T4_T5_mT6_P12ihipStream_tbENKUlT_T0_E_clISt17integral_constantIbLb1EESW_EEDaSR_SS_EUlSR_E0_NS1_11comp_targetILNS1_3genE8ELNS1_11target_archE1030ELNS1_3gpuE2ELNS1_3repE0EEENS1_30default_config_static_selectorELNS0_4arch9wavefront6targetE0EEEvT1_,comdat
.Lfunc_end136:
	.size	_ZN7rocprim17ROCPRIM_400000_NS6detail17trampoline_kernelINS0_14default_configENS1_20scan_config_selectorIfEEZZNS1_9scan_implILNS1_25lookback_scan_determinismE0ELb0ELb0ES3_PKfPffZZZN2at6native31launch_logcumsumexp_cuda_kernelERKNSB_10TensorBaseESF_lENKUlvE_clEvENKUlvE0_clEvEUlffE_fEEDaPvRmT3_T4_T5_mT6_P12ihipStream_tbENKUlT_T0_E_clISt17integral_constantIbLb1EESW_EEDaSR_SS_EUlSR_E0_NS1_11comp_targetILNS1_3genE8ELNS1_11target_archE1030ELNS1_3gpuE2ELNS1_3repE0EEENS1_30default_config_static_selectorELNS0_4arch9wavefront6targetE0EEEvT1_, .Lfunc_end136-_ZN7rocprim17ROCPRIM_400000_NS6detail17trampoline_kernelINS0_14default_configENS1_20scan_config_selectorIfEEZZNS1_9scan_implILNS1_25lookback_scan_determinismE0ELb0ELb0ES3_PKfPffZZZN2at6native31launch_logcumsumexp_cuda_kernelERKNSB_10TensorBaseESF_lENKUlvE_clEvENKUlvE0_clEvEUlffE_fEEDaPvRmT3_T4_T5_mT6_P12ihipStream_tbENKUlT_T0_E_clISt17integral_constantIbLb1EESW_EEDaSR_SS_EUlSR_E0_NS1_11comp_targetILNS1_3genE8ELNS1_11target_archE1030ELNS1_3gpuE2ELNS1_3repE0EEENS1_30default_config_static_selectorELNS0_4arch9wavefront6targetE0EEEvT1_
                                        ; -- End function
	.section	.AMDGPU.csdata,"",@progbits
; Kernel info:
; codeLenInByte = 0
; NumSgprs: 0
; NumVgprs: 0
; ScratchSize: 0
; MemoryBound: 0
; FloatMode: 240
; IeeeMode: 1
; LDSByteSize: 0 bytes/workgroup (compile time only)
; SGPRBlocks: 0
; VGPRBlocks: 0
; NumSGPRsForWavesPerEU: 1
; NumVGPRsForWavesPerEU: 1
; Occupancy: 16
; WaveLimiterHint : 0
; COMPUTE_PGM_RSRC2:SCRATCH_EN: 0
; COMPUTE_PGM_RSRC2:USER_SGPR: 15
; COMPUTE_PGM_RSRC2:TRAP_HANDLER: 0
; COMPUTE_PGM_RSRC2:TGID_X_EN: 1
; COMPUTE_PGM_RSRC2:TGID_Y_EN: 0
; COMPUTE_PGM_RSRC2:TGID_Z_EN: 0
; COMPUTE_PGM_RSRC2:TIDIG_COMP_CNT: 0
	.section	.text._ZN7rocprim17ROCPRIM_400000_NS6detail31init_lookback_scan_state_kernelINS1_19lookback_scan_stateIfLb1ELb1EEENS1_16block_id_wrapperIjLb0EEEEEvT_jT0_jPNS7_10value_typeE,"axG",@progbits,_ZN7rocprim17ROCPRIM_400000_NS6detail31init_lookback_scan_state_kernelINS1_19lookback_scan_stateIfLb1ELb1EEENS1_16block_id_wrapperIjLb0EEEEEvT_jT0_jPNS7_10value_typeE,comdat
	.protected	_ZN7rocprim17ROCPRIM_400000_NS6detail31init_lookback_scan_state_kernelINS1_19lookback_scan_stateIfLb1ELb1EEENS1_16block_id_wrapperIjLb0EEEEEvT_jT0_jPNS7_10value_typeE ; -- Begin function _ZN7rocprim17ROCPRIM_400000_NS6detail31init_lookback_scan_state_kernelINS1_19lookback_scan_stateIfLb1ELb1EEENS1_16block_id_wrapperIjLb0EEEEEvT_jT0_jPNS7_10value_typeE
	.globl	_ZN7rocprim17ROCPRIM_400000_NS6detail31init_lookback_scan_state_kernelINS1_19lookback_scan_stateIfLb1ELb1EEENS1_16block_id_wrapperIjLb0EEEEEvT_jT0_jPNS7_10value_typeE
	.p2align	8
	.type	_ZN7rocprim17ROCPRIM_400000_NS6detail31init_lookback_scan_state_kernelINS1_19lookback_scan_stateIfLb1ELb1EEENS1_16block_id_wrapperIjLb0EEEEEvT_jT0_jPNS7_10value_typeE,@function
_ZN7rocprim17ROCPRIM_400000_NS6detail31init_lookback_scan_state_kernelINS1_19lookback_scan_stateIfLb1ELb1EEENS1_16block_id_wrapperIjLb0EEEEEvT_jT0_jPNS7_10value_typeE: ; @_ZN7rocprim17ROCPRIM_400000_NS6detail31init_lookback_scan_state_kernelINS1_19lookback_scan_stateIfLb1ELb1EEENS1_16block_id_wrapperIjLb0EEEEEvT_jT0_jPNS7_10value_typeE
; %bb.0:
	s_clause 0x3
	s_load_b32 s7, s[0:1], 0x2c
	s_load_b64 s[4:5], s[0:1], 0x18
	s_load_b64 s[2:3], s[0:1], 0x0
	s_load_b32 s6, s[0:1], 0x8
	s_waitcnt lgkmcnt(0)
	s_and_b32 s7, s7, 0xffff
	s_cmp_eq_u64 s[4:5], 0
	v_mad_u64_u32 v[1:2], null, s15, s7, v[0:1]
	s_cbranch_scc1 .LBB137_9
; %bb.1:
	s_load_b32 s0, s[0:1], 0x10
	s_waitcnt lgkmcnt(0)
	s_cmp_lt_u32 s0, s6
	s_cselect_b32 s1, s0, 0
	s_delay_alu instid0(VALU_DEP_1) | instid1(SALU_CYCLE_1)
	v_cmp_eq_u32_e32 vcc_lo, s1, v1
	s_mov_b32 s1, 0
	s_and_saveexec_b32 s7, vcc_lo
	s_cbranch_execz .LBB137_8
; %bb.2:
	s_add_i32 s0, s0, 32
	v_mov_b32_e32 v2, 0
	s_lshl_b64 s[0:1], s[0:1], 3
	s_delay_alu instid0(SALU_CYCLE_1) | instskip(SKIP_4) | instid1(VALU_DEP_1)
	s_add_u32 s0, s2, s0
	s_addc_u32 s1, s3, s1
	global_load_b64 v[4:5], v2, s[0:1] glc
	s_waitcnt vmcnt(0)
	v_and_b32_e32 v3, 0xff, v5
	v_cmp_ne_u64_e32 vcc_lo, 0, v[2:3]
	s_cbranch_vccnz .LBB137_7
; %bb.3:
	s_mov_b32 s8, 1
.LBB137_4:                              ; =>This Loop Header: Depth=1
                                        ;     Child Loop BB137_5 Depth 2
	s_delay_alu instid0(SALU_CYCLE_1)
	s_max_u32 s9, s8, 1
.LBB137_5:                              ;   Parent Loop BB137_4 Depth=1
                                        ; =>  This Inner Loop Header: Depth=2
	s_delay_alu instid0(SALU_CYCLE_1)
	s_add_i32 s9, s9, -1
	s_sleep 1
	s_cmp_eq_u32 s9, 0
	s_cbranch_scc0 .LBB137_5
; %bb.6:                                ;   in Loop: Header=BB137_4 Depth=1
	global_load_b64 v[4:5], v2, s[0:1] glc
	s_cmp_lt_u32 s8, 32
	s_cselect_b32 s9, -1, 0
	s_delay_alu instid0(SALU_CYCLE_1) | instskip(SKIP_3) | instid1(VALU_DEP_1)
	s_cmp_lg_u32 s9, 0
	s_addc_u32 s8, s8, 0
	s_waitcnt vmcnt(0)
	v_and_b32_e32 v3, 0xff, v5
	v_cmp_ne_u64_e32 vcc_lo, 0, v[2:3]
	s_cbranch_vccz .LBB137_4
.LBB137_7:
	v_mov_b32_e32 v0, 0
	global_store_b32 v0, v4, s[4:5]
.LBB137_8:
	s_or_b32 exec_lo, exec_lo, s7
.LBB137_9:
	s_delay_alu instid0(SALU_CYCLE_1) | instskip(NEXT) | instid1(VALU_DEP_1)
	s_mov_b32 s0, exec_lo
	v_cmpx_gt_u32_e64 s6, v1
	s_cbranch_execz .LBB137_11
; %bb.10:
	v_dual_mov_b32 v3, 0 :: v_dual_add_nc_u32 v2, 32, v1
	s_delay_alu instid0(VALU_DEP_1) | instskip(SKIP_1) | instid1(VALU_DEP_2)
	v_lshlrev_b64 v[4:5], 3, v[2:3]
	v_mov_b32_e32 v2, v3
	v_add_co_u32 v4, vcc_lo, s2, v4
	s_delay_alu instid0(VALU_DEP_3)
	v_add_co_ci_u32_e32 v5, vcc_lo, s3, v5, vcc_lo
	global_store_b64 v[4:5], v[2:3], off
.LBB137_11:
	s_or_b32 exec_lo, exec_lo, s0
	s_delay_alu instid0(SALU_CYCLE_1)
	s_mov_b32 s0, exec_lo
	v_cmpx_gt_u32_e32 32, v1
	s_cbranch_execz .LBB137_13
; %bb.12:
	v_dual_mov_b32 v2, 0 :: v_dual_mov_b32 v3, 0xff
	s_delay_alu instid0(VALU_DEP_1) | instskip(NEXT) | instid1(VALU_DEP_1)
	v_lshlrev_b64 v[0:1], 3, v[1:2]
	v_add_co_u32 v0, vcc_lo, s2, v0
	s_delay_alu instid0(VALU_DEP_2)
	v_add_co_ci_u32_e32 v1, vcc_lo, s3, v1, vcc_lo
	global_store_b64 v[0:1], v[2:3], off
.LBB137_13:
	s_nop 0
	s_sendmsg sendmsg(MSG_DEALLOC_VGPRS)
	s_endpgm
	.section	.rodata,"a",@progbits
	.p2align	6, 0x0
	.amdhsa_kernel _ZN7rocprim17ROCPRIM_400000_NS6detail31init_lookback_scan_state_kernelINS1_19lookback_scan_stateIfLb1ELb1EEENS1_16block_id_wrapperIjLb0EEEEEvT_jT0_jPNS7_10value_typeE
		.amdhsa_group_segment_fixed_size 0
		.amdhsa_private_segment_fixed_size 0
		.amdhsa_kernarg_size 288
		.amdhsa_user_sgpr_count 15
		.amdhsa_user_sgpr_dispatch_ptr 0
		.amdhsa_user_sgpr_queue_ptr 0
		.amdhsa_user_sgpr_kernarg_segment_ptr 1
		.amdhsa_user_sgpr_dispatch_id 0
		.amdhsa_user_sgpr_private_segment_size 0
		.amdhsa_wavefront_size32 1
		.amdhsa_uses_dynamic_stack 0
		.amdhsa_enable_private_segment 0
		.amdhsa_system_sgpr_workgroup_id_x 1
		.amdhsa_system_sgpr_workgroup_id_y 0
		.amdhsa_system_sgpr_workgroup_id_z 0
		.amdhsa_system_sgpr_workgroup_info 0
		.amdhsa_system_vgpr_workitem_id 0
		.amdhsa_next_free_vgpr 6
		.amdhsa_next_free_sgpr 16
		.amdhsa_reserve_vcc 1
		.amdhsa_float_round_mode_32 0
		.amdhsa_float_round_mode_16_64 0
		.amdhsa_float_denorm_mode_32 3
		.amdhsa_float_denorm_mode_16_64 3
		.amdhsa_dx10_clamp 1
		.amdhsa_ieee_mode 1
		.amdhsa_fp16_overflow 0
		.amdhsa_workgroup_processor_mode 1
		.amdhsa_memory_ordered 1
		.amdhsa_forward_progress 0
		.amdhsa_shared_vgpr_count 0
		.amdhsa_exception_fp_ieee_invalid_op 0
		.amdhsa_exception_fp_denorm_src 0
		.amdhsa_exception_fp_ieee_div_zero 0
		.amdhsa_exception_fp_ieee_overflow 0
		.amdhsa_exception_fp_ieee_underflow 0
		.amdhsa_exception_fp_ieee_inexact 0
		.amdhsa_exception_int_div_zero 0
	.end_amdhsa_kernel
	.section	.text._ZN7rocprim17ROCPRIM_400000_NS6detail31init_lookback_scan_state_kernelINS1_19lookback_scan_stateIfLb1ELb1EEENS1_16block_id_wrapperIjLb0EEEEEvT_jT0_jPNS7_10value_typeE,"axG",@progbits,_ZN7rocprim17ROCPRIM_400000_NS6detail31init_lookback_scan_state_kernelINS1_19lookback_scan_stateIfLb1ELb1EEENS1_16block_id_wrapperIjLb0EEEEEvT_jT0_jPNS7_10value_typeE,comdat
.Lfunc_end137:
	.size	_ZN7rocprim17ROCPRIM_400000_NS6detail31init_lookback_scan_state_kernelINS1_19lookback_scan_stateIfLb1ELb1EEENS1_16block_id_wrapperIjLb0EEEEEvT_jT0_jPNS7_10value_typeE, .Lfunc_end137-_ZN7rocprim17ROCPRIM_400000_NS6detail31init_lookback_scan_state_kernelINS1_19lookback_scan_stateIfLb1ELb1EEENS1_16block_id_wrapperIjLb0EEEEEvT_jT0_jPNS7_10value_typeE
                                        ; -- End function
	.section	.AMDGPU.csdata,"",@progbits
; Kernel info:
; codeLenInByte = 400
; NumSgprs: 18
; NumVgprs: 6
; ScratchSize: 0
; MemoryBound: 0
; FloatMode: 240
; IeeeMode: 1
; LDSByteSize: 0 bytes/workgroup (compile time only)
; SGPRBlocks: 2
; VGPRBlocks: 0
; NumSGPRsForWavesPerEU: 18
; NumVGPRsForWavesPerEU: 6
; Occupancy: 16
; WaveLimiterHint : 0
; COMPUTE_PGM_RSRC2:SCRATCH_EN: 0
; COMPUTE_PGM_RSRC2:USER_SGPR: 15
; COMPUTE_PGM_RSRC2:TRAP_HANDLER: 0
; COMPUTE_PGM_RSRC2:TGID_X_EN: 1
; COMPUTE_PGM_RSRC2:TGID_Y_EN: 0
; COMPUTE_PGM_RSRC2:TGID_Z_EN: 0
; COMPUTE_PGM_RSRC2:TIDIG_COMP_CNT: 0
	.section	.text._ZN7rocprim17ROCPRIM_400000_NS6detail17trampoline_kernelINS0_14default_configENS1_20scan_config_selectorIfEEZZNS1_9scan_implILNS1_25lookback_scan_determinismE0ELb0ELb0ES3_PKfPffZZZN2at6native31launch_logcumsumexp_cuda_kernelERKNSB_10TensorBaseESF_lENKUlvE_clEvENKUlvE0_clEvEUlffE_fEEDaPvRmT3_T4_T5_mT6_P12ihipStream_tbENKUlT_T0_E_clISt17integral_constantIbLb1EESV_IbLb0EEEEDaSR_SS_EUlSR_E_NS1_11comp_targetILNS1_3genE0ELNS1_11target_archE4294967295ELNS1_3gpuE0ELNS1_3repE0EEENS1_30default_config_static_selectorELNS0_4arch9wavefront6targetE0EEEvT1_,"axG",@progbits,_ZN7rocprim17ROCPRIM_400000_NS6detail17trampoline_kernelINS0_14default_configENS1_20scan_config_selectorIfEEZZNS1_9scan_implILNS1_25lookback_scan_determinismE0ELb0ELb0ES3_PKfPffZZZN2at6native31launch_logcumsumexp_cuda_kernelERKNSB_10TensorBaseESF_lENKUlvE_clEvENKUlvE0_clEvEUlffE_fEEDaPvRmT3_T4_T5_mT6_P12ihipStream_tbENKUlT_T0_E_clISt17integral_constantIbLb1EESV_IbLb0EEEEDaSR_SS_EUlSR_E_NS1_11comp_targetILNS1_3genE0ELNS1_11target_archE4294967295ELNS1_3gpuE0ELNS1_3repE0EEENS1_30default_config_static_selectorELNS0_4arch9wavefront6targetE0EEEvT1_,comdat
	.globl	_ZN7rocprim17ROCPRIM_400000_NS6detail17trampoline_kernelINS0_14default_configENS1_20scan_config_selectorIfEEZZNS1_9scan_implILNS1_25lookback_scan_determinismE0ELb0ELb0ES3_PKfPffZZZN2at6native31launch_logcumsumexp_cuda_kernelERKNSB_10TensorBaseESF_lENKUlvE_clEvENKUlvE0_clEvEUlffE_fEEDaPvRmT3_T4_T5_mT6_P12ihipStream_tbENKUlT_T0_E_clISt17integral_constantIbLb1EESV_IbLb0EEEEDaSR_SS_EUlSR_E_NS1_11comp_targetILNS1_3genE0ELNS1_11target_archE4294967295ELNS1_3gpuE0ELNS1_3repE0EEENS1_30default_config_static_selectorELNS0_4arch9wavefront6targetE0EEEvT1_ ; -- Begin function _ZN7rocprim17ROCPRIM_400000_NS6detail17trampoline_kernelINS0_14default_configENS1_20scan_config_selectorIfEEZZNS1_9scan_implILNS1_25lookback_scan_determinismE0ELb0ELb0ES3_PKfPffZZZN2at6native31launch_logcumsumexp_cuda_kernelERKNSB_10TensorBaseESF_lENKUlvE_clEvENKUlvE0_clEvEUlffE_fEEDaPvRmT3_T4_T5_mT6_P12ihipStream_tbENKUlT_T0_E_clISt17integral_constantIbLb1EESV_IbLb0EEEEDaSR_SS_EUlSR_E_NS1_11comp_targetILNS1_3genE0ELNS1_11target_archE4294967295ELNS1_3gpuE0ELNS1_3repE0EEENS1_30default_config_static_selectorELNS0_4arch9wavefront6targetE0EEEvT1_
	.p2align	8
	.type	_ZN7rocprim17ROCPRIM_400000_NS6detail17trampoline_kernelINS0_14default_configENS1_20scan_config_selectorIfEEZZNS1_9scan_implILNS1_25lookback_scan_determinismE0ELb0ELb0ES3_PKfPffZZZN2at6native31launch_logcumsumexp_cuda_kernelERKNSB_10TensorBaseESF_lENKUlvE_clEvENKUlvE0_clEvEUlffE_fEEDaPvRmT3_T4_T5_mT6_P12ihipStream_tbENKUlT_T0_E_clISt17integral_constantIbLb1EESV_IbLb0EEEEDaSR_SS_EUlSR_E_NS1_11comp_targetILNS1_3genE0ELNS1_11target_archE4294967295ELNS1_3gpuE0ELNS1_3repE0EEENS1_30default_config_static_selectorELNS0_4arch9wavefront6targetE0EEEvT1_,@function
_ZN7rocprim17ROCPRIM_400000_NS6detail17trampoline_kernelINS0_14default_configENS1_20scan_config_selectorIfEEZZNS1_9scan_implILNS1_25lookback_scan_determinismE0ELb0ELb0ES3_PKfPffZZZN2at6native31launch_logcumsumexp_cuda_kernelERKNSB_10TensorBaseESF_lENKUlvE_clEvENKUlvE0_clEvEUlffE_fEEDaPvRmT3_T4_T5_mT6_P12ihipStream_tbENKUlT_T0_E_clISt17integral_constantIbLb1EESV_IbLb0EEEEDaSR_SS_EUlSR_E_NS1_11comp_targetILNS1_3genE0ELNS1_11target_archE4294967295ELNS1_3gpuE0ELNS1_3repE0EEENS1_30default_config_static_selectorELNS0_4arch9wavefront6targetE0EEEvT1_: ; @_ZN7rocprim17ROCPRIM_400000_NS6detail17trampoline_kernelINS0_14default_configENS1_20scan_config_selectorIfEEZZNS1_9scan_implILNS1_25lookback_scan_determinismE0ELb0ELb0ES3_PKfPffZZZN2at6native31launch_logcumsumexp_cuda_kernelERKNSB_10TensorBaseESF_lENKUlvE_clEvENKUlvE0_clEvEUlffE_fEEDaPvRmT3_T4_T5_mT6_P12ihipStream_tbENKUlT_T0_E_clISt17integral_constantIbLb1EESV_IbLb0EEEEDaSR_SS_EUlSR_E_NS1_11comp_targetILNS1_3genE0ELNS1_11target_archE4294967295ELNS1_3gpuE0ELNS1_3repE0EEENS1_30default_config_static_selectorELNS0_4arch9wavefront6targetE0EEEvT1_
; %bb.0:
	.section	.rodata,"a",@progbits
	.p2align	6, 0x0
	.amdhsa_kernel _ZN7rocprim17ROCPRIM_400000_NS6detail17trampoline_kernelINS0_14default_configENS1_20scan_config_selectorIfEEZZNS1_9scan_implILNS1_25lookback_scan_determinismE0ELb0ELb0ES3_PKfPffZZZN2at6native31launch_logcumsumexp_cuda_kernelERKNSB_10TensorBaseESF_lENKUlvE_clEvENKUlvE0_clEvEUlffE_fEEDaPvRmT3_T4_T5_mT6_P12ihipStream_tbENKUlT_T0_E_clISt17integral_constantIbLb1EESV_IbLb0EEEEDaSR_SS_EUlSR_E_NS1_11comp_targetILNS1_3genE0ELNS1_11target_archE4294967295ELNS1_3gpuE0ELNS1_3repE0EEENS1_30default_config_static_selectorELNS0_4arch9wavefront6targetE0EEEvT1_
		.amdhsa_group_segment_fixed_size 0
		.amdhsa_private_segment_fixed_size 0
		.amdhsa_kernarg_size 96
		.amdhsa_user_sgpr_count 15
		.amdhsa_user_sgpr_dispatch_ptr 0
		.amdhsa_user_sgpr_queue_ptr 0
		.amdhsa_user_sgpr_kernarg_segment_ptr 1
		.amdhsa_user_sgpr_dispatch_id 0
		.amdhsa_user_sgpr_private_segment_size 0
		.amdhsa_wavefront_size32 1
		.amdhsa_uses_dynamic_stack 0
		.amdhsa_enable_private_segment 0
		.amdhsa_system_sgpr_workgroup_id_x 1
		.amdhsa_system_sgpr_workgroup_id_y 0
		.amdhsa_system_sgpr_workgroup_id_z 0
		.amdhsa_system_sgpr_workgroup_info 0
		.amdhsa_system_vgpr_workitem_id 0
		.amdhsa_next_free_vgpr 1
		.amdhsa_next_free_sgpr 1
		.amdhsa_reserve_vcc 0
		.amdhsa_float_round_mode_32 0
		.amdhsa_float_round_mode_16_64 0
		.amdhsa_float_denorm_mode_32 3
		.amdhsa_float_denorm_mode_16_64 3
		.amdhsa_dx10_clamp 1
		.amdhsa_ieee_mode 1
		.amdhsa_fp16_overflow 0
		.amdhsa_workgroup_processor_mode 1
		.amdhsa_memory_ordered 1
		.amdhsa_forward_progress 0
		.amdhsa_shared_vgpr_count 0
		.amdhsa_exception_fp_ieee_invalid_op 0
		.amdhsa_exception_fp_denorm_src 0
		.amdhsa_exception_fp_ieee_div_zero 0
		.amdhsa_exception_fp_ieee_overflow 0
		.amdhsa_exception_fp_ieee_underflow 0
		.amdhsa_exception_fp_ieee_inexact 0
		.amdhsa_exception_int_div_zero 0
	.end_amdhsa_kernel
	.section	.text._ZN7rocprim17ROCPRIM_400000_NS6detail17trampoline_kernelINS0_14default_configENS1_20scan_config_selectorIfEEZZNS1_9scan_implILNS1_25lookback_scan_determinismE0ELb0ELb0ES3_PKfPffZZZN2at6native31launch_logcumsumexp_cuda_kernelERKNSB_10TensorBaseESF_lENKUlvE_clEvENKUlvE0_clEvEUlffE_fEEDaPvRmT3_T4_T5_mT6_P12ihipStream_tbENKUlT_T0_E_clISt17integral_constantIbLb1EESV_IbLb0EEEEDaSR_SS_EUlSR_E_NS1_11comp_targetILNS1_3genE0ELNS1_11target_archE4294967295ELNS1_3gpuE0ELNS1_3repE0EEENS1_30default_config_static_selectorELNS0_4arch9wavefront6targetE0EEEvT1_,"axG",@progbits,_ZN7rocprim17ROCPRIM_400000_NS6detail17trampoline_kernelINS0_14default_configENS1_20scan_config_selectorIfEEZZNS1_9scan_implILNS1_25lookback_scan_determinismE0ELb0ELb0ES3_PKfPffZZZN2at6native31launch_logcumsumexp_cuda_kernelERKNSB_10TensorBaseESF_lENKUlvE_clEvENKUlvE0_clEvEUlffE_fEEDaPvRmT3_T4_T5_mT6_P12ihipStream_tbENKUlT_T0_E_clISt17integral_constantIbLb1EESV_IbLb0EEEEDaSR_SS_EUlSR_E_NS1_11comp_targetILNS1_3genE0ELNS1_11target_archE4294967295ELNS1_3gpuE0ELNS1_3repE0EEENS1_30default_config_static_selectorELNS0_4arch9wavefront6targetE0EEEvT1_,comdat
.Lfunc_end138:
	.size	_ZN7rocprim17ROCPRIM_400000_NS6detail17trampoline_kernelINS0_14default_configENS1_20scan_config_selectorIfEEZZNS1_9scan_implILNS1_25lookback_scan_determinismE0ELb0ELb0ES3_PKfPffZZZN2at6native31launch_logcumsumexp_cuda_kernelERKNSB_10TensorBaseESF_lENKUlvE_clEvENKUlvE0_clEvEUlffE_fEEDaPvRmT3_T4_T5_mT6_P12ihipStream_tbENKUlT_T0_E_clISt17integral_constantIbLb1EESV_IbLb0EEEEDaSR_SS_EUlSR_E_NS1_11comp_targetILNS1_3genE0ELNS1_11target_archE4294967295ELNS1_3gpuE0ELNS1_3repE0EEENS1_30default_config_static_selectorELNS0_4arch9wavefront6targetE0EEEvT1_, .Lfunc_end138-_ZN7rocprim17ROCPRIM_400000_NS6detail17trampoline_kernelINS0_14default_configENS1_20scan_config_selectorIfEEZZNS1_9scan_implILNS1_25lookback_scan_determinismE0ELb0ELb0ES3_PKfPffZZZN2at6native31launch_logcumsumexp_cuda_kernelERKNSB_10TensorBaseESF_lENKUlvE_clEvENKUlvE0_clEvEUlffE_fEEDaPvRmT3_T4_T5_mT6_P12ihipStream_tbENKUlT_T0_E_clISt17integral_constantIbLb1EESV_IbLb0EEEEDaSR_SS_EUlSR_E_NS1_11comp_targetILNS1_3genE0ELNS1_11target_archE4294967295ELNS1_3gpuE0ELNS1_3repE0EEENS1_30default_config_static_selectorELNS0_4arch9wavefront6targetE0EEEvT1_
                                        ; -- End function
	.section	.AMDGPU.csdata,"",@progbits
; Kernel info:
; codeLenInByte = 0
; NumSgprs: 0
; NumVgprs: 0
; ScratchSize: 0
; MemoryBound: 0
; FloatMode: 240
; IeeeMode: 1
; LDSByteSize: 0 bytes/workgroup (compile time only)
; SGPRBlocks: 0
; VGPRBlocks: 0
; NumSGPRsForWavesPerEU: 1
; NumVGPRsForWavesPerEU: 1
; Occupancy: 16
; WaveLimiterHint : 0
; COMPUTE_PGM_RSRC2:SCRATCH_EN: 0
; COMPUTE_PGM_RSRC2:USER_SGPR: 15
; COMPUTE_PGM_RSRC2:TRAP_HANDLER: 0
; COMPUTE_PGM_RSRC2:TGID_X_EN: 1
; COMPUTE_PGM_RSRC2:TGID_Y_EN: 0
; COMPUTE_PGM_RSRC2:TGID_Z_EN: 0
; COMPUTE_PGM_RSRC2:TIDIG_COMP_CNT: 0
	.section	.text._ZN7rocprim17ROCPRIM_400000_NS6detail17trampoline_kernelINS0_14default_configENS1_20scan_config_selectorIfEEZZNS1_9scan_implILNS1_25lookback_scan_determinismE0ELb0ELb0ES3_PKfPffZZZN2at6native31launch_logcumsumexp_cuda_kernelERKNSB_10TensorBaseESF_lENKUlvE_clEvENKUlvE0_clEvEUlffE_fEEDaPvRmT3_T4_T5_mT6_P12ihipStream_tbENKUlT_T0_E_clISt17integral_constantIbLb1EESV_IbLb0EEEEDaSR_SS_EUlSR_E_NS1_11comp_targetILNS1_3genE5ELNS1_11target_archE942ELNS1_3gpuE9ELNS1_3repE0EEENS1_30default_config_static_selectorELNS0_4arch9wavefront6targetE0EEEvT1_,"axG",@progbits,_ZN7rocprim17ROCPRIM_400000_NS6detail17trampoline_kernelINS0_14default_configENS1_20scan_config_selectorIfEEZZNS1_9scan_implILNS1_25lookback_scan_determinismE0ELb0ELb0ES3_PKfPffZZZN2at6native31launch_logcumsumexp_cuda_kernelERKNSB_10TensorBaseESF_lENKUlvE_clEvENKUlvE0_clEvEUlffE_fEEDaPvRmT3_T4_T5_mT6_P12ihipStream_tbENKUlT_T0_E_clISt17integral_constantIbLb1EESV_IbLb0EEEEDaSR_SS_EUlSR_E_NS1_11comp_targetILNS1_3genE5ELNS1_11target_archE942ELNS1_3gpuE9ELNS1_3repE0EEENS1_30default_config_static_selectorELNS0_4arch9wavefront6targetE0EEEvT1_,comdat
	.globl	_ZN7rocprim17ROCPRIM_400000_NS6detail17trampoline_kernelINS0_14default_configENS1_20scan_config_selectorIfEEZZNS1_9scan_implILNS1_25lookback_scan_determinismE0ELb0ELb0ES3_PKfPffZZZN2at6native31launch_logcumsumexp_cuda_kernelERKNSB_10TensorBaseESF_lENKUlvE_clEvENKUlvE0_clEvEUlffE_fEEDaPvRmT3_T4_T5_mT6_P12ihipStream_tbENKUlT_T0_E_clISt17integral_constantIbLb1EESV_IbLb0EEEEDaSR_SS_EUlSR_E_NS1_11comp_targetILNS1_3genE5ELNS1_11target_archE942ELNS1_3gpuE9ELNS1_3repE0EEENS1_30default_config_static_selectorELNS0_4arch9wavefront6targetE0EEEvT1_ ; -- Begin function _ZN7rocprim17ROCPRIM_400000_NS6detail17trampoline_kernelINS0_14default_configENS1_20scan_config_selectorIfEEZZNS1_9scan_implILNS1_25lookback_scan_determinismE0ELb0ELb0ES3_PKfPffZZZN2at6native31launch_logcumsumexp_cuda_kernelERKNSB_10TensorBaseESF_lENKUlvE_clEvENKUlvE0_clEvEUlffE_fEEDaPvRmT3_T4_T5_mT6_P12ihipStream_tbENKUlT_T0_E_clISt17integral_constantIbLb1EESV_IbLb0EEEEDaSR_SS_EUlSR_E_NS1_11comp_targetILNS1_3genE5ELNS1_11target_archE942ELNS1_3gpuE9ELNS1_3repE0EEENS1_30default_config_static_selectorELNS0_4arch9wavefront6targetE0EEEvT1_
	.p2align	8
	.type	_ZN7rocprim17ROCPRIM_400000_NS6detail17trampoline_kernelINS0_14default_configENS1_20scan_config_selectorIfEEZZNS1_9scan_implILNS1_25lookback_scan_determinismE0ELb0ELb0ES3_PKfPffZZZN2at6native31launch_logcumsumexp_cuda_kernelERKNSB_10TensorBaseESF_lENKUlvE_clEvENKUlvE0_clEvEUlffE_fEEDaPvRmT3_T4_T5_mT6_P12ihipStream_tbENKUlT_T0_E_clISt17integral_constantIbLb1EESV_IbLb0EEEEDaSR_SS_EUlSR_E_NS1_11comp_targetILNS1_3genE5ELNS1_11target_archE942ELNS1_3gpuE9ELNS1_3repE0EEENS1_30default_config_static_selectorELNS0_4arch9wavefront6targetE0EEEvT1_,@function
_ZN7rocprim17ROCPRIM_400000_NS6detail17trampoline_kernelINS0_14default_configENS1_20scan_config_selectorIfEEZZNS1_9scan_implILNS1_25lookback_scan_determinismE0ELb0ELb0ES3_PKfPffZZZN2at6native31launch_logcumsumexp_cuda_kernelERKNSB_10TensorBaseESF_lENKUlvE_clEvENKUlvE0_clEvEUlffE_fEEDaPvRmT3_T4_T5_mT6_P12ihipStream_tbENKUlT_T0_E_clISt17integral_constantIbLb1EESV_IbLb0EEEEDaSR_SS_EUlSR_E_NS1_11comp_targetILNS1_3genE5ELNS1_11target_archE942ELNS1_3gpuE9ELNS1_3repE0EEENS1_30default_config_static_selectorELNS0_4arch9wavefront6targetE0EEEvT1_: ; @_ZN7rocprim17ROCPRIM_400000_NS6detail17trampoline_kernelINS0_14default_configENS1_20scan_config_selectorIfEEZZNS1_9scan_implILNS1_25lookback_scan_determinismE0ELb0ELb0ES3_PKfPffZZZN2at6native31launch_logcumsumexp_cuda_kernelERKNSB_10TensorBaseESF_lENKUlvE_clEvENKUlvE0_clEvEUlffE_fEEDaPvRmT3_T4_T5_mT6_P12ihipStream_tbENKUlT_T0_E_clISt17integral_constantIbLb1EESV_IbLb0EEEEDaSR_SS_EUlSR_E_NS1_11comp_targetILNS1_3genE5ELNS1_11target_archE942ELNS1_3gpuE9ELNS1_3repE0EEENS1_30default_config_static_selectorELNS0_4arch9wavefront6targetE0EEEvT1_
; %bb.0:
	.section	.rodata,"a",@progbits
	.p2align	6, 0x0
	.amdhsa_kernel _ZN7rocprim17ROCPRIM_400000_NS6detail17trampoline_kernelINS0_14default_configENS1_20scan_config_selectorIfEEZZNS1_9scan_implILNS1_25lookback_scan_determinismE0ELb0ELb0ES3_PKfPffZZZN2at6native31launch_logcumsumexp_cuda_kernelERKNSB_10TensorBaseESF_lENKUlvE_clEvENKUlvE0_clEvEUlffE_fEEDaPvRmT3_T4_T5_mT6_P12ihipStream_tbENKUlT_T0_E_clISt17integral_constantIbLb1EESV_IbLb0EEEEDaSR_SS_EUlSR_E_NS1_11comp_targetILNS1_3genE5ELNS1_11target_archE942ELNS1_3gpuE9ELNS1_3repE0EEENS1_30default_config_static_selectorELNS0_4arch9wavefront6targetE0EEEvT1_
		.amdhsa_group_segment_fixed_size 0
		.amdhsa_private_segment_fixed_size 0
		.amdhsa_kernarg_size 96
		.amdhsa_user_sgpr_count 15
		.amdhsa_user_sgpr_dispatch_ptr 0
		.amdhsa_user_sgpr_queue_ptr 0
		.amdhsa_user_sgpr_kernarg_segment_ptr 1
		.amdhsa_user_sgpr_dispatch_id 0
		.amdhsa_user_sgpr_private_segment_size 0
		.amdhsa_wavefront_size32 1
		.amdhsa_uses_dynamic_stack 0
		.amdhsa_enable_private_segment 0
		.amdhsa_system_sgpr_workgroup_id_x 1
		.amdhsa_system_sgpr_workgroup_id_y 0
		.amdhsa_system_sgpr_workgroup_id_z 0
		.amdhsa_system_sgpr_workgroup_info 0
		.amdhsa_system_vgpr_workitem_id 0
		.amdhsa_next_free_vgpr 1
		.amdhsa_next_free_sgpr 1
		.amdhsa_reserve_vcc 0
		.amdhsa_float_round_mode_32 0
		.amdhsa_float_round_mode_16_64 0
		.amdhsa_float_denorm_mode_32 3
		.amdhsa_float_denorm_mode_16_64 3
		.amdhsa_dx10_clamp 1
		.amdhsa_ieee_mode 1
		.amdhsa_fp16_overflow 0
		.amdhsa_workgroup_processor_mode 1
		.amdhsa_memory_ordered 1
		.amdhsa_forward_progress 0
		.amdhsa_shared_vgpr_count 0
		.amdhsa_exception_fp_ieee_invalid_op 0
		.amdhsa_exception_fp_denorm_src 0
		.amdhsa_exception_fp_ieee_div_zero 0
		.amdhsa_exception_fp_ieee_overflow 0
		.amdhsa_exception_fp_ieee_underflow 0
		.amdhsa_exception_fp_ieee_inexact 0
		.amdhsa_exception_int_div_zero 0
	.end_amdhsa_kernel
	.section	.text._ZN7rocprim17ROCPRIM_400000_NS6detail17trampoline_kernelINS0_14default_configENS1_20scan_config_selectorIfEEZZNS1_9scan_implILNS1_25lookback_scan_determinismE0ELb0ELb0ES3_PKfPffZZZN2at6native31launch_logcumsumexp_cuda_kernelERKNSB_10TensorBaseESF_lENKUlvE_clEvENKUlvE0_clEvEUlffE_fEEDaPvRmT3_T4_T5_mT6_P12ihipStream_tbENKUlT_T0_E_clISt17integral_constantIbLb1EESV_IbLb0EEEEDaSR_SS_EUlSR_E_NS1_11comp_targetILNS1_3genE5ELNS1_11target_archE942ELNS1_3gpuE9ELNS1_3repE0EEENS1_30default_config_static_selectorELNS0_4arch9wavefront6targetE0EEEvT1_,"axG",@progbits,_ZN7rocprim17ROCPRIM_400000_NS6detail17trampoline_kernelINS0_14default_configENS1_20scan_config_selectorIfEEZZNS1_9scan_implILNS1_25lookback_scan_determinismE0ELb0ELb0ES3_PKfPffZZZN2at6native31launch_logcumsumexp_cuda_kernelERKNSB_10TensorBaseESF_lENKUlvE_clEvENKUlvE0_clEvEUlffE_fEEDaPvRmT3_T4_T5_mT6_P12ihipStream_tbENKUlT_T0_E_clISt17integral_constantIbLb1EESV_IbLb0EEEEDaSR_SS_EUlSR_E_NS1_11comp_targetILNS1_3genE5ELNS1_11target_archE942ELNS1_3gpuE9ELNS1_3repE0EEENS1_30default_config_static_selectorELNS0_4arch9wavefront6targetE0EEEvT1_,comdat
.Lfunc_end139:
	.size	_ZN7rocprim17ROCPRIM_400000_NS6detail17trampoline_kernelINS0_14default_configENS1_20scan_config_selectorIfEEZZNS1_9scan_implILNS1_25lookback_scan_determinismE0ELb0ELb0ES3_PKfPffZZZN2at6native31launch_logcumsumexp_cuda_kernelERKNSB_10TensorBaseESF_lENKUlvE_clEvENKUlvE0_clEvEUlffE_fEEDaPvRmT3_T4_T5_mT6_P12ihipStream_tbENKUlT_T0_E_clISt17integral_constantIbLb1EESV_IbLb0EEEEDaSR_SS_EUlSR_E_NS1_11comp_targetILNS1_3genE5ELNS1_11target_archE942ELNS1_3gpuE9ELNS1_3repE0EEENS1_30default_config_static_selectorELNS0_4arch9wavefront6targetE0EEEvT1_, .Lfunc_end139-_ZN7rocprim17ROCPRIM_400000_NS6detail17trampoline_kernelINS0_14default_configENS1_20scan_config_selectorIfEEZZNS1_9scan_implILNS1_25lookback_scan_determinismE0ELb0ELb0ES3_PKfPffZZZN2at6native31launch_logcumsumexp_cuda_kernelERKNSB_10TensorBaseESF_lENKUlvE_clEvENKUlvE0_clEvEUlffE_fEEDaPvRmT3_T4_T5_mT6_P12ihipStream_tbENKUlT_T0_E_clISt17integral_constantIbLb1EESV_IbLb0EEEEDaSR_SS_EUlSR_E_NS1_11comp_targetILNS1_3genE5ELNS1_11target_archE942ELNS1_3gpuE9ELNS1_3repE0EEENS1_30default_config_static_selectorELNS0_4arch9wavefront6targetE0EEEvT1_
                                        ; -- End function
	.section	.AMDGPU.csdata,"",@progbits
; Kernel info:
; codeLenInByte = 0
; NumSgprs: 0
; NumVgprs: 0
; ScratchSize: 0
; MemoryBound: 0
; FloatMode: 240
; IeeeMode: 1
; LDSByteSize: 0 bytes/workgroup (compile time only)
; SGPRBlocks: 0
; VGPRBlocks: 0
; NumSGPRsForWavesPerEU: 1
; NumVGPRsForWavesPerEU: 1
; Occupancy: 16
; WaveLimiterHint : 0
; COMPUTE_PGM_RSRC2:SCRATCH_EN: 0
; COMPUTE_PGM_RSRC2:USER_SGPR: 15
; COMPUTE_PGM_RSRC2:TRAP_HANDLER: 0
; COMPUTE_PGM_RSRC2:TGID_X_EN: 1
; COMPUTE_PGM_RSRC2:TGID_Y_EN: 0
; COMPUTE_PGM_RSRC2:TGID_Z_EN: 0
; COMPUTE_PGM_RSRC2:TIDIG_COMP_CNT: 0
	.section	.text._ZN7rocprim17ROCPRIM_400000_NS6detail17trampoline_kernelINS0_14default_configENS1_20scan_config_selectorIfEEZZNS1_9scan_implILNS1_25lookback_scan_determinismE0ELb0ELb0ES3_PKfPffZZZN2at6native31launch_logcumsumexp_cuda_kernelERKNSB_10TensorBaseESF_lENKUlvE_clEvENKUlvE0_clEvEUlffE_fEEDaPvRmT3_T4_T5_mT6_P12ihipStream_tbENKUlT_T0_E_clISt17integral_constantIbLb1EESV_IbLb0EEEEDaSR_SS_EUlSR_E_NS1_11comp_targetILNS1_3genE4ELNS1_11target_archE910ELNS1_3gpuE8ELNS1_3repE0EEENS1_30default_config_static_selectorELNS0_4arch9wavefront6targetE0EEEvT1_,"axG",@progbits,_ZN7rocprim17ROCPRIM_400000_NS6detail17trampoline_kernelINS0_14default_configENS1_20scan_config_selectorIfEEZZNS1_9scan_implILNS1_25lookback_scan_determinismE0ELb0ELb0ES3_PKfPffZZZN2at6native31launch_logcumsumexp_cuda_kernelERKNSB_10TensorBaseESF_lENKUlvE_clEvENKUlvE0_clEvEUlffE_fEEDaPvRmT3_T4_T5_mT6_P12ihipStream_tbENKUlT_T0_E_clISt17integral_constantIbLb1EESV_IbLb0EEEEDaSR_SS_EUlSR_E_NS1_11comp_targetILNS1_3genE4ELNS1_11target_archE910ELNS1_3gpuE8ELNS1_3repE0EEENS1_30default_config_static_selectorELNS0_4arch9wavefront6targetE0EEEvT1_,comdat
	.globl	_ZN7rocprim17ROCPRIM_400000_NS6detail17trampoline_kernelINS0_14default_configENS1_20scan_config_selectorIfEEZZNS1_9scan_implILNS1_25lookback_scan_determinismE0ELb0ELb0ES3_PKfPffZZZN2at6native31launch_logcumsumexp_cuda_kernelERKNSB_10TensorBaseESF_lENKUlvE_clEvENKUlvE0_clEvEUlffE_fEEDaPvRmT3_T4_T5_mT6_P12ihipStream_tbENKUlT_T0_E_clISt17integral_constantIbLb1EESV_IbLb0EEEEDaSR_SS_EUlSR_E_NS1_11comp_targetILNS1_3genE4ELNS1_11target_archE910ELNS1_3gpuE8ELNS1_3repE0EEENS1_30default_config_static_selectorELNS0_4arch9wavefront6targetE0EEEvT1_ ; -- Begin function _ZN7rocprim17ROCPRIM_400000_NS6detail17trampoline_kernelINS0_14default_configENS1_20scan_config_selectorIfEEZZNS1_9scan_implILNS1_25lookback_scan_determinismE0ELb0ELb0ES3_PKfPffZZZN2at6native31launch_logcumsumexp_cuda_kernelERKNSB_10TensorBaseESF_lENKUlvE_clEvENKUlvE0_clEvEUlffE_fEEDaPvRmT3_T4_T5_mT6_P12ihipStream_tbENKUlT_T0_E_clISt17integral_constantIbLb1EESV_IbLb0EEEEDaSR_SS_EUlSR_E_NS1_11comp_targetILNS1_3genE4ELNS1_11target_archE910ELNS1_3gpuE8ELNS1_3repE0EEENS1_30default_config_static_selectorELNS0_4arch9wavefront6targetE0EEEvT1_
	.p2align	8
	.type	_ZN7rocprim17ROCPRIM_400000_NS6detail17trampoline_kernelINS0_14default_configENS1_20scan_config_selectorIfEEZZNS1_9scan_implILNS1_25lookback_scan_determinismE0ELb0ELb0ES3_PKfPffZZZN2at6native31launch_logcumsumexp_cuda_kernelERKNSB_10TensorBaseESF_lENKUlvE_clEvENKUlvE0_clEvEUlffE_fEEDaPvRmT3_T4_T5_mT6_P12ihipStream_tbENKUlT_T0_E_clISt17integral_constantIbLb1EESV_IbLb0EEEEDaSR_SS_EUlSR_E_NS1_11comp_targetILNS1_3genE4ELNS1_11target_archE910ELNS1_3gpuE8ELNS1_3repE0EEENS1_30default_config_static_selectorELNS0_4arch9wavefront6targetE0EEEvT1_,@function
_ZN7rocprim17ROCPRIM_400000_NS6detail17trampoline_kernelINS0_14default_configENS1_20scan_config_selectorIfEEZZNS1_9scan_implILNS1_25lookback_scan_determinismE0ELb0ELb0ES3_PKfPffZZZN2at6native31launch_logcumsumexp_cuda_kernelERKNSB_10TensorBaseESF_lENKUlvE_clEvENKUlvE0_clEvEUlffE_fEEDaPvRmT3_T4_T5_mT6_P12ihipStream_tbENKUlT_T0_E_clISt17integral_constantIbLb1EESV_IbLb0EEEEDaSR_SS_EUlSR_E_NS1_11comp_targetILNS1_3genE4ELNS1_11target_archE910ELNS1_3gpuE8ELNS1_3repE0EEENS1_30default_config_static_selectorELNS0_4arch9wavefront6targetE0EEEvT1_: ; @_ZN7rocprim17ROCPRIM_400000_NS6detail17trampoline_kernelINS0_14default_configENS1_20scan_config_selectorIfEEZZNS1_9scan_implILNS1_25lookback_scan_determinismE0ELb0ELb0ES3_PKfPffZZZN2at6native31launch_logcumsumexp_cuda_kernelERKNSB_10TensorBaseESF_lENKUlvE_clEvENKUlvE0_clEvEUlffE_fEEDaPvRmT3_T4_T5_mT6_P12ihipStream_tbENKUlT_T0_E_clISt17integral_constantIbLb1EESV_IbLb0EEEEDaSR_SS_EUlSR_E_NS1_11comp_targetILNS1_3genE4ELNS1_11target_archE910ELNS1_3gpuE8ELNS1_3repE0EEENS1_30default_config_static_selectorELNS0_4arch9wavefront6targetE0EEEvT1_
; %bb.0:
	.section	.rodata,"a",@progbits
	.p2align	6, 0x0
	.amdhsa_kernel _ZN7rocprim17ROCPRIM_400000_NS6detail17trampoline_kernelINS0_14default_configENS1_20scan_config_selectorIfEEZZNS1_9scan_implILNS1_25lookback_scan_determinismE0ELb0ELb0ES3_PKfPffZZZN2at6native31launch_logcumsumexp_cuda_kernelERKNSB_10TensorBaseESF_lENKUlvE_clEvENKUlvE0_clEvEUlffE_fEEDaPvRmT3_T4_T5_mT6_P12ihipStream_tbENKUlT_T0_E_clISt17integral_constantIbLb1EESV_IbLb0EEEEDaSR_SS_EUlSR_E_NS1_11comp_targetILNS1_3genE4ELNS1_11target_archE910ELNS1_3gpuE8ELNS1_3repE0EEENS1_30default_config_static_selectorELNS0_4arch9wavefront6targetE0EEEvT1_
		.amdhsa_group_segment_fixed_size 0
		.amdhsa_private_segment_fixed_size 0
		.amdhsa_kernarg_size 96
		.amdhsa_user_sgpr_count 15
		.amdhsa_user_sgpr_dispatch_ptr 0
		.amdhsa_user_sgpr_queue_ptr 0
		.amdhsa_user_sgpr_kernarg_segment_ptr 1
		.amdhsa_user_sgpr_dispatch_id 0
		.amdhsa_user_sgpr_private_segment_size 0
		.amdhsa_wavefront_size32 1
		.amdhsa_uses_dynamic_stack 0
		.amdhsa_enable_private_segment 0
		.amdhsa_system_sgpr_workgroup_id_x 1
		.amdhsa_system_sgpr_workgroup_id_y 0
		.amdhsa_system_sgpr_workgroup_id_z 0
		.amdhsa_system_sgpr_workgroup_info 0
		.amdhsa_system_vgpr_workitem_id 0
		.amdhsa_next_free_vgpr 1
		.amdhsa_next_free_sgpr 1
		.amdhsa_reserve_vcc 0
		.amdhsa_float_round_mode_32 0
		.amdhsa_float_round_mode_16_64 0
		.amdhsa_float_denorm_mode_32 3
		.amdhsa_float_denorm_mode_16_64 3
		.amdhsa_dx10_clamp 1
		.amdhsa_ieee_mode 1
		.amdhsa_fp16_overflow 0
		.amdhsa_workgroup_processor_mode 1
		.amdhsa_memory_ordered 1
		.amdhsa_forward_progress 0
		.amdhsa_shared_vgpr_count 0
		.amdhsa_exception_fp_ieee_invalid_op 0
		.amdhsa_exception_fp_denorm_src 0
		.amdhsa_exception_fp_ieee_div_zero 0
		.amdhsa_exception_fp_ieee_overflow 0
		.amdhsa_exception_fp_ieee_underflow 0
		.amdhsa_exception_fp_ieee_inexact 0
		.amdhsa_exception_int_div_zero 0
	.end_amdhsa_kernel
	.section	.text._ZN7rocprim17ROCPRIM_400000_NS6detail17trampoline_kernelINS0_14default_configENS1_20scan_config_selectorIfEEZZNS1_9scan_implILNS1_25lookback_scan_determinismE0ELb0ELb0ES3_PKfPffZZZN2at6native31launch_logcumsumexp_cuda_kernelERKNSB_10TensorBaseESF_lENKUlvE_clEvENKUlvE0_clEvEUlffE_fEEDaPvRmT3_T4_T5_mT6_P12ihipStream_tbENKUlT_T0_E_clISt17integral_constantIbLb1EESV_IbLb0EEEEDaSR_SS_EUlSR_E_NS1_11comp_targetILNS1_3genE4ELNS1_11target_archE910ELNS1_3gpuE8ELNS1_3repE0EEENS1_30default_config_static_selectorELNS0_4arch9wavefront6targetE0EEEvT1_,"axG",@progbits,_ZN7rocprim17ROCPRIM_400000_NS6detail17trampoline_kernelINS0_14default_configENS1_20scan_config_selectorIfEEZZNS1_9scan_implILNS1_25lookback_scan_determinismE0ELb0ELb0ES3_PKfPffZZZN2at6native31launch_logcumsumexp_cuda_kernelERKNSB_10TensorBaseESF_lENKUlvE_clEvENKUlvE0_clEvEUlffE_fEEDaPvRmT3_T4_T5_mT6_P12ihipStream_tbENKUlT_T0_E_clISt17integral_constantIbLb1EESV_IbLb0EEEEDaSR_SS_EUlSR_E_NS1_11comp_targetILNS1_3genE4ELNS1_11target_archE910ELNS1_3gpuE8ELNS1_3repE0EEENS1_30default_config_static_selectorELNS0_4arch9wavefront6targetE0EEEvT1_,comdat
.Lfunc_end140:
	.size	_ZN7rocprim17ROCPRIM_400000_NS6detail17trampoline_kernelINS0_14default_configENS1_20scan_config_selectorIfEEZZNS1_9scan_implILNS1_25lookback_scan_determinismE0ELb0ELb0ES3_PKfPffZZZN2at6native31launch_logcumsumexp_cuda_kernelERKNSB_10TensorBaseESF_lENKUlvE_clEvENKUlvE0_clEvEUlffE_fEEDaPvRmT3_T4_T5_mT6_P12ihipStream_tbENKUlT_T0_E_clISt17integral_constantIbLb1EESV_IbLb0EEEEDaSR_SS_EUlSR_E_NS1_11comp_targetILNS1_3genE4ELNS1_11target_archE910ELNS1_3gpuE8ELNS1_3repE0EEENS1_30default_config_static_selectorELNS0_4arch9wavefront6targetE0EEEvT1_, .Lfunc_end140-_ZN7rocprim17ROCPRIM_400000_NS6detail17trampoline_kernelINS0_14default_configENS1_20scan_config_selectorIfEEZZNS1_9scan_implILNS1_25lookback_scan_determinismE0ELb0ELb0ES3_PKfPffZZZN2at6native31launch_logcumsumexp_cuda_kernelERKNSB_10TensorBaseESF_lENKUlvE_clEvENKUlvE0_clEvEUlffE_fEEDaPvRmT3_T4_T5_mT6_P12ihipStream_tbENKUlT_T0_E_clISt17integral_constantIbLb1EESV_IbLb0EEEEDaSR_SS_EUlSR_E_NS1_11comp_targetILNS1_3genE4ELNS1_11target_archE910ELNS1_3gpuE8ELNS1_3repE0EEENS1_30default_config_static_selectorELNS0_4arch9wavefront6targetE0EEEvT1_
                                        ; -- End function
	.section	.AMDGPU.csdata,"",@progbits
; Kernel info:
; codeLenInByte = 0
; NumSgprs: 0
; NumVgprs: 0
; ScratchSize: 0
; MemoryBound: 0
; FloatMode: 240
; IeeeMode: 1
; LDSByteSize: 0 bytes/workgroup (compile time only)
; SGPRBlocks: 0
; VGPRBlocks: 0
; NumSGPRsForWavesPerEU: 1
; NumVGPRsForWavesPerEU: 1
; Occupancy: 16
; WaveLimiterHint : 0
; COMPUTE_PGM_RSRC2:SCRATCH_EN: 0
; COMPUTE_PGM_RSRC2:USER_SGPR: 15
; COMPUTE_PGM_RSRC2:TRAP_HANDLER: 0
; COMPUTE_PGM_RSRC2:TGID_X_EN: 1
; COMPUTE_PGM_RSRC2:TGID_Y_EN: 0
; COMPUTE_PGM_RSRC2:TGID_Z_EN: 0
; COMPUTE_PGM_RSRC2:TIDIG_COMP_CNT: 0
	.section	.text._ZN7rocprim17ROCPRIM_400000_NS6detail17trampoline_kernelINS0_14default_configENS1_20scan_config_selectorIfEEZZNS1_9scan_implILNS1_25lookback_scan_determinismE0ELb0ELb0ES3_PKfPffZZZN2at6native31launch_logcumsumexp_cuda_kernelERKNSB_10TensorBaseESF_lENKUlvE_clEvENKUlvE0_clEvEUlffE_fEEDaPvRmT3_T4_T5_mT6_P12ihipStream_tbENKUlT_T0_E_clISt17integral_constantIbLb1EESV_IbLb0EEEEDaSR_SS_EUlSR_E_NS1_11comp_targetILNS1_3genE3ELNS1_11target_archE908ELNS1_3gpuE7ELNS1_3repE0EEENS1_30default_config_static_selectorELNS0_4arch9wavefront6targetE0EEEvT1_,"axG",@progbits,_ZN7rocprim17ROCPRIM_400000_NS6detail17trampoline_kernelINS0_14default_configENS1_20scan_config_selectorIfEEZZNS1_9scan_implILNS1_25lookback_scan_determinismE0ELb0ELb0ES3_PKfPffZZZN2at6native31launch_logcumsumexp_cuda_kernelERKNSB_10TensorBaseESF_lENKUlvE_clEvENKUlvE0_clEvEUlffE_fEEDaPvRmT3_T4_T5_mT6_P12ihipStream_tbENKUlT_T0_E_clISt17integral_constantIbLb1EESV_IbLb0EEEEDaSR_SS_EUlSR_E_NS1_11comp_targetILNS1_3genE3ELNS1_11target_archE908ELNS1_3gpuE7ELNS1_3repE0EEENS1_30default_config_static_selectorELNS0_4arch9wavefront6targetE0EEEvT1_,comdat
	.globl	_ZN7rocprim17ROCPRIM_400000_NS6detail17trampoline_kernelINS0_14default_configENS1_20scan_config_selectorIfEEZZNS1_9scan_implILNS1_25lookback_scan_determinismE0ELb0ELb0ES3_PKfPffZZZN2at6native31launch_logcumsumexp_cuda_kernelERKNSB_10TensorBaseESF_lENKUlvE_clEvENKUlvE0_clEvEUlffE_fEEDaPvRmT3_T4_T5_mT6_P12ihipStream_tbENKUlT_T0_E_clISt17integral_constantIbLb1EESV_IbLb0EEEEDaSR_SS_EUlSR_E_NS1_11comp_targetILNS1_3genE3ELNS1_11target_archE908ELNS1_3gpuE7ELNS1_3repE0EEENS1_30default_config_static_selectorELNS0_4arch9wavefront6targetE0EEEvT1_ ; -- Begin function _ZN7rocprim17ROCPRIM_400000_NS6detail17trampoline_kernelINS0_14default_configENS1_20scan_config_selectorIfEEZZNS1_9scan_implILNS1_25lookback_scan_determinismE0ELb0ELb0ES3_PKfPffZZZN2at6native31launch_logcumsumexp_cuda_kernelERKNSB_10TensorBaseESF_lENKUlvE_clEvENKUlvE0_clEvEUlffE_fEEDaPvRmT3_T4_T5_mT6_P12ihipStream_tbENKUlT_T0_E_clISt17integral_constantIbLb1EESV_IbLb0EEEEDaSR_SS_EUlSR_E_NS1_11comp_targetILNS1_3genE3ELNS1_11target_archE908ELNS1_3gpuE7ELNS1_3repE0EEENS1_30default_config_static_selectorELNS0_4arch9wavefront6targetE0EEEvT1_
	.p2align	8
	.type	_ZN7rocprim17ROCPRIM_400000_NS6detail17trampoline_kernelINS0_14default_configENS1_20scan_config_selectorIfEEZZNS1_9scan_implILNS1_25lookback_scan_determinismE0ELb0ELb0ES3_PKfPffZZZN2at6native31launch_logcumsumexp_cuda_kernelERKNSB_10TensorBaseESF_lENKUlvE_clEvENKUlvE0_clEvEUlffE_fEEDaPvRmT3_T4_T5_mT6_P12ihipStream_tbENKUlT_T0_E_clISt17integral_constantIbLb1EESV_IbLb0EEEEDaSR_SS_EUlSR_E_NS1_11comp_targetILNS1_3genE3ELNS1_11target_archE908ELNS1_3gpuE7ELNS1_3repE0EEENS1_30default_config_static_selectorELNS0_4arch9wavefront6targetE0EEEvT1_,@function
_ZN7rocprim17ROCPRIM_400000_NS6detail17trampoline_kernelINS0_14default_configENS1_20scan_config_selectorIfEEZZNS1_9scan_implILNS1_25lookback_scan_determinismE0ELb0ELb0ES3_PKfPffZZZN2at6native31launch_logcumsumexp_cuda_kernelERKNSB_10TensorBaseESF_lENKUlvE_clEvENKUlvE0_clEvEUlffE_fEEDaPvRmT3_T4_T5_mT6_P12ihipStream_tbENKUlT_T0_E_clISt17integral_constantIbLb1EESV_IbLb0EEEEDaSR_SS_EUlSR_E_NS1_11comp_targetILNS1_3genE3ELNS1_11target_archE908ELNS1_3gpuE7ELNS1_3repE0EEENS1_30default_config_static_selectorELNS0_4arch9wavefront6targetE0EEEvT1_: ; @_ZN7rocprim17ROCPRIM_400000_NS6detail17trampoline_kernelINS0_14default_configENS1_20scan_config_selectorIfEEZZNS1_9scan_implILNS1_25lookback_scan_determinismE0ELb0ELb0ES3_PKfPffZZZN2at6native31launch_logcumsumexp_cuda_kernelERKNSB_10TensorBaseESF_lENKUlvE_clEvENKUlvE0_clEvEUlffE_fEEDaPvRmT3_T4_T5_mT6_P12ihipStream_tbENKUlT_T0_E_clISt17integral_constantIbLb1EESV_IbLb0EEEEDaSR_SS_EUlSR_E_NS1_11comp_targetILNS1_3genE3ELNS1_11target_archE908ELNS1_3gpuE7ELNS1_3repE0EEENS1_30default_config_static_selectorELNS0_4arch9wavefront6targetE0EEEvT1_
; %bb.0:
	.section	.rodata,"a",@progbits
	.p2align	6, 0x0
	.amdhsa_kernel _ZN7rocprim17ROCPRIM_400000_NS6detail17trampoline_kernelINS0_14default_configENS1_20scan_config_selectorIfEEZZNS1_9scan_implILNS1_25lookback_scan_determinismE0ELb0ELb0ES3_PKfPffZZZN2at6native31launch_logcumsumexp_cuda_kernelERKNSB_10TensorBaseESF_lENKUlvE_clEvENKUlvE0_clEvEUlffE_fEEDaPvRmT3_T4_T5_mT6_P12ihipStream_tbENKUlT_T0_E_clISt17integral_constantIbLb1EESV_IbLb0EEEEDaSR_SS_EUlSR_E_NS1_11comp_targetILNS1_3genE3ELNS1_11target_archE908ELNS1_3gpuE7ELNS1_3repE0EEENS1_30default_config_static_selectorELNS0_4arch9wavefront6targetE0EEEvT1_
		.amdhsa_group_segment_fixed_size 0
		.amdhsa_private_segment_fixed_size 0
		.amdhsa_kernarg_size 96
		.amdhsa_user_sgpr_count 15
		.amdhsa_user_sgpr_dispatch_ptr 0
		.amdhsa_user_sgpr_queue_ptr 0
		.amdhsa_user_sgpr_kernarg_segment_ptr 1
		.amdhsa_user_sgpr_dispatch_id 0
		.amdhsa_user_sgpr_private_segment_size 0
		.amdhsa_wavefront_size32 1
		.amdhsa_uses_dynamic_stack 0
		.amdhsa_enable_private_segment 0
		.amdhsa_system_sgpr_workgroup_id_x 1
		.amdhsa_system_sgpr_workgroup_id_y 0
		.amdhsa_system_sgpr_workgroup_id_z 0
		.amdhsa_system_sgpr_workgroup_info 0
		.amdhsa_system_vgpr_workitem_id 0
		.amdhsa_next_free_vgpr 1
		.amdhsa_next_free_sgpr 1
		.amdhsa_reserve_vcc 0
		.amdhsa_float_round_mode_32 0
		.amdhsa_float_round_mode_16_64 0
		.amdhsa_float_denorm_mode_32 3
		.amdhsa_float_denorm_mode_16_64 3
		.amdhsa_dx10_clamp 1
		.amdhsa_ieee_mode 1
		.amdhsa_fp16_overflow 0
		.amdhsa_workgroup_processor_mode 1
		.amdhsa_memory_ordered 1
		.amdhsa_forward_progress 0
		.amdhsa_shared_vgpr_count 0
		.amdhsa_exception_fp_ieee_invalid_op 0
		.amdhsa_exception_fp_denorm_src 0
		.amdhsa_exception_fp_ieee_div_zero 0
		.amdhsa_exception_fp_ieee_overflow 0
		.amdhsa_exception_fp_ieee_underflow 0
		.amdhsa_exception_fp_ieee_inexact 0
		.amdhsa_exception_int_div_zero 0
	.end_amdhsa_kernel
	.section	.text._ZN7rocprim17ROCPRIM_400000_NS6detail17trampoline_kernelINS0_14default_configENS1_20scan_config_selectorIfEEZZNS1_9scan_implILNS1_25lookback_scan_determinismE0ELb0ELb0ES3_PKfPffZZZN2at6native31launch_logcumsumexp_cuda_kernelERKNSB_10TensorBaseESF_lENKUlvE_clEvENKUlvE0_clEvEUlffE_fEEDaPvRmT3_T4_T5_mT6_P12ihipStream_tbENKUlT_T0_E_clISt17integral_constantIbLb1EESV_IbLb0EEEEDaSR_SS_EUlSR_E_NS1_11comp_targetILNS1_3genE3ELNS1_11target_archE908ELNS1_3gpuE7ELNS1_3repE0EEENS1_30default_config_static_selectorELNS0_4arch9wavefront6targetE0EEEvT1_,"axG",@progbits,_ZN7rocprim17ROCPRIM_400000_NS6detail17trampoline_kernelINS0_14default_configENS1_20scan_config_selectorIfEEZZNS1_9scan_implILNS1_25lookback_scan_determinismE0ELb0ELb0ES3_PKfPffZZZN2at6native31launch_logcumsumexp_cuda_kernelERKNSB_10TensorBaseESF_lENKUlvE_clEvENKUlvE0_clEvEUlffE_fEEDaPvRmT3_T4_T5_mT6_P12ihipStream_tbENKUlT_T0_E_clISt17integral_constantIbLb1EESV_IbLb0EEEEDaSR_SS_EUlSR_E_NS1_11comp_targetILNS1_3genE3ELNS1_11target_archE908ELNS1_3gpuE7ELNS1_3repE0EEENS1_30default_config_static_selectorELNS0_4arch9wavefront6targetE0EEEvT1_,comdat
.Lfunc_end141:
	.size	_ZN7rocprim17ROCPRIM_400000_NS6detail17trampoline_kernelINS0_14default_configENS1_20scan_config_selectorIfEEZZNS1_9scan_implILNS1_25lookback_scan_determinismE0ELb0ELb0ES3_PKfPffZZZN2at6native31launch_logcumsumexp_cuda_kernelERKNSB_10TensorBaseESF_lENKUlvE_clEvENKUlvE0_clEvEUlffE_fEEDaPvRmT3_T4_T5_mT6_P12ihipStream_tbENKUlT_T0_E_clISt17integral_constantIbLb1EESV_IbLb0EEEEDaSR_SS_EUlSR_E_NS1_11comp_targetILNS1_3genE3ELNS1_11target_archE908ELNS1_3gpuE7ELNS1_3repE0EEENS1_30default_config_static_selectorELNS0_4arch9wavefront6targetE0EEEvT1_, .Lfunc_end141-_ZN7rocprim17ROCPRIM_400000_NS6detail17trampoline_kernelINS0_14default_configENS1_20scan_config_selectorIfEEZZNS1_9scan_implILNS1_25lookback_scan_determinismE0ELb0ELb0ES3_PKfPffZZZN2at6native31launch_logcumsumexp_cuda_kernelERKNSB_10TensorBaseESF_lENKUlvE_clEvENKUlvE0_clEvEUlffE_fEEDaPvRmT3_T4_T5_mT6_P12ihipStream_tbENKUlT_T0_E_clISt17integral_constantIbLb1EESV_IbLb0EEEEDaSR_SS_EUlSR_E_NS1_11comp_targetILNS1_3genE3ELNS1_11target_archE908ELNS1_3gpuE7ELNS1_3repE0EEENS1_30default_config_static_selectorELNS0_4arch9wavefront6targetE0EEEvT1_
                                        ; -- End function
	.section	.AMDGPU.csdata,"",@progbits
; Kernel info:
; codeLenInByte = 0
; NumSgprs: 0
; NumVgprs: 0
; ScratchSize: 0
; MemoryBound: 0
; FloatMode: 240
; IeeeMode: 1
; LDSByteSize: 0 bytes/workgroup (compile time only)
; SGPRBlocks: 0
; VGPRBlocks: 0
; NumSGPRsForWavesPerEU: 1
; NumVGPRsForWavesPerEU: 1
; Occupancy: 16
; WaveLimiterHint : 0
; COMPUTE_PGM_RSRC2:SCRATCH_EN: 0
; COMPUTE_PGM_RSRC2:USER_SGPR: 15
; COMPUTE_PGM_RSRC2:TRAP_HANDLER: 0
; COMPUTE_PGM_RSRC2:TGID_X_EN: 1
; COMPUTE_PGM_RSRC2:TGID_Y_EN: 0
; COMPUTE_PGM_RSRC2:TGID_Z_EN: 0
; COMPUTE_PGM_RSRC2:TIDIG_COMP_CNT: 0
	.section	.text._ZN7rocprim17ROCPRIM_400000_NS6detail17trampoline_kernelINS0_14default_configENS1_20scan_config_selectorIfEEZZNS1_9scan_implILNS1_25lookback_scan_determinismE0ELb0ELb0ES3_PKfPffZZZN2at6native31launch_logcumsumexp_cuda_kernelERKNSB_10TensorBaseESF_lENKUlvE_clEvENKUlvE0_clEvEUlffE_fEEDaPvRmT3_T4_T5_mT6_P12ihipStream_tbENKUlT_T0_E_clISt17integral_constantIbLb1EESV_IbLb0EEEEDaSR_SS_EUlSR_E_NS1_11comp_targetILNS1_3genE2ELNS1_11target_archE906ELNS1_3gpuE6ELNS1_3repE0EEENS1_30default_config_static_selectorELNS0_4arch9wavefront6targetE0EEEvT1_,"axG",@progbits,_ZN7rocprim17ROCPRIM_400000_NS6detail17trampoline_kernelINS0_14default_configENS1_20scan_config_selectorIfEEZZNS1_9scan_implILNS1_25lookback_scan_determinismE0ELb0ELb0ES3_PKfPffZZZN2at6native31launch_logcumsumexp_cuda_kernelERKNSB_10TensorBaseESF_lENKUlvE_clEvENKUlvE0_clEvEUlffE_fEEDaPvRmT3_T4_T5_mT6_P12ihipStream_tbENKUlT_T0_E_clISt17integral_constantIbLb1EESV_IbLb0EEEEDaSR_SS_EUlSR_E_NS1_11comp_targetILNS1_3genE2ELNS1_11target_archE906ELNS1_3gpuE6ELNS1_3repE0EEENS1_30default_config_static_selectorELNS0_4arch9wavefront6targetE0EEEvT1_,comdat
	.globl	_ZN7rocprim17ROCPRIM_400000_NS6detail17trampoline_kernelINS0_14default_configENS1_20scan_config_selectorIfEEZZNS1_9scan_implILNS1_25lookback_scan_determinismE0ELb0ELb0ES3_PKfPffZZZN2at6native31launch_logcumsumexp_cuda_kernelERKNSB_10TensorBaseESF_lENKUlvE_clEvENKUlvE0_clEvEUlffE_fEEDaPvRmT3_T4_T5_mT6_P12ihipStream_tbENKUlT_T0_E_clISt17integral_constantIbLb1EESV_IbLb0EEEEDaSR_SS_EUlSR_E_NS1_11comp_targetILNS1_3genE2ELNS1_11target_archE906ELNS1_3gpuE6ELNS1_3repE0EEENS1_30default_config_static_selectorELNS0_4arch9wavefront6targetE0EEEvT1_ ; -- Begin function _ZN7rocprim17ROCPRIM_400000_NS6detail17trampoline_kernelINS0_14default_configENS1_20scan_config_selectorIfEEZZNS1_9scan_implILNS1_25lookback_scan_determinismE0ELb0ELb0ES3_PKfPffZZZN2at6native31launch_logcumsumexp_cuda_kernelERKNSB_10TensorBaseESF_lENKUlvE_clEvENKUlvE0_clEvEUlffE_fEEDaPvRmT3_T4_T5_mT6_P12ihipStream_tbENKUlT_T0_E_clISt17integral_constantIbLb1EESV_IbLb0EEEEDaSR_SS_EUlSR_E_NS1_11comp_targetILNS1_3genE2ELNS1_11target_archE906ELNS1_3gpuE6ELNS1_3repE0EEENS1_30default_config_static_selectorELNS0_4arch9wavefront6targetE0EEEvT1_
	.p2align	8
	.type	_ZN7rocprim17ROCPRIM_400000_NS6detail17trampoline_kernelINS0_14default_configENS1_20scan_config_selectorIfEEZZNS1_9scan_implILNS1_25lookback_scan_determinismE0ELb0ELb0ES3_PKfPffZZZN2at6native31launch_logcumsumexp_cuda_kernelERKNSB_10TensorBaseESF_lENKUlvE_clEvENKUlvE0_clEvEUlffE_fEEDaPvRmT3_T4_T5_mT6_P12ihipStream_tbENKUlT_T0_E_clISt17integral_constantIbLb1EESV_IbLb0EEEEDaSR_SS_EUlSR_E_NS1_11comp_targetILNS1_3genE2ELNS1_11target_archE906ELNS1_3gpuE6ELNS1_3repE0EEENS1_30default_config_static_selectorELNS0_4arch9wavefront6targetE0EEEvT1_,@function
_ZN7rocprim17ROCPRIM_400000_NS6detail17trampoline_kernelINS0_14default_configENS1_20scan_config_selectorIfEEZZNS1_9scan_implILNS1_25lookback_scan_determinismE0ELb0ELb0ES3_PKfPffZZZN2at6native31launch_logcumsumexp_cuda_kernelERKNSB_10TensorBaseESF_lENKUlvE_clEvENKUlvE0_clEvEUlffE_fEEDaPvRmT3_T4_T5_mT6_P12ihipStream_tbENKUlT_T0_E_clISt17integral_constantIbLb1EESV_IbLb0EEEEDaSR_SS_EUlSR_E_NS1_11comp_targetILNS1_3genE2ELNS1_11target_archE906ELNS1_3gpuE6ELNS1_3repE0EEENS1_30default_config_static_selectorELNS0_4arch9wavefront6targetE0EEEvT1_: ; @_ZN7rocprim17ROCPRIM_400000_NS6detail17trampoline_kernelINS0_14default_configENS1_20scan_config_selectorIfEEZZNS1_9scan_implILNS1_25lookback_scan_determinismE0ELb0ELb0ES3_PKfPffZZZN2at6native31launch_logcumsumexp_cuda_kernelERKNSB_10TensorBaseESF_lENKUlvE_clEvENKUlvE0_clEvEUlffE_fEEDaPvRmT3_T4_T5_mT6_P12ihipStream_tbENKUlT_T0_E_clISt17integral_constantIbLb1EESV_IbLb0EEEEDaSR_SS_EUlSR_E_NS1_11comp_targetILNS1_3genE2ELNS1_11target_archE906ELNS1_3gpuE6ELNS1_3repE0EEENS1_30default_config_static_selectorELNS0_4arch9wavefront6targetE0EEEvT1_
; %bb.0:
	.section	.rodata,"a",@progbits
	.p2align	6, 0x0
	.amdhsa_kernel _ZN7rocprim17ROCPRIM_400000_NS6detail17trampoline_kernelINS0_14default_configENS1_20scan_config_selectorIfEEZZNS1_9scan_implILNS1_25lookback_scan_determinismE0ELb0ELb0ES3_PKfPffZZZN2at6native31launch_logcumsumexp_cuda_kernelERKNSB_10TensorBaseESF_lENKUlvE_clEvENKUlvE0_clEvEUlffE_fEEDaPvRmT3_T4_T5_mT6_P12ihipStream_tbENKUlT_T0_E_clISt17integral_constantIbLb1EESV_IbLb0EEEEDaSR_SS_EUlSR_E_NS1_11comp_targetILNS1_3genE2ELNS1_11target_archE906ELNS1_3gpuE6ELNS1_3repE0EEENS1_30default_config_static_selectorELNS0_4arch9wavefront6targetE0EEEvT1_
		.amdhsa_group_segment_fixed_size 0
		.amdhsa_private_segment_fixed_size 0
		.amdhsa_kernarg_size 96
		.amdhsa_user_sgpr_count 15
		.amdhsa_user_sgpr_dispatch_ptr 0
		.amdhsa_user_sgpr_queue_ptr 0
		.amdhsa_user_sgpr_kernarg_segment_ptr 1
		.amdhsa_user_sgpr_dispatch_id 0
		.amdhsa_user_sgpr_private_segment_size 0
		.amdhsa_wavefront_size32 1
		.amdhsa_uses_dynamic_stack 0
		.amdhsa_enable_private_segment 0
		.amdhsa_system_sgpr_workgroup_id_x 1
		.amdhsa_system_sgpr_workgroup_id_y 0
		.amdhsa_system_sgpr_workgroup_id_z 0
		.amdhsa_system_sgpr_workgroup_info 0
		.amdhsa_system_vgpr_workitem_id 0
		.amdhsa_next_free_vgpr 1
		.amdhsa_next_free_sgpr 1
		.amdhsa_reserve_vcc 0
		.amdhsa_float_round_mode_32 0
		.amdhsa_float_round_mode_16_64 0
		.amdhsa_float_denorm_mode_32 3
		.amdhsa_float_denorm_mode_16_64 3
		.amdhsa_dx10_clamp 1
		.amdhsa_ieee_mode 1
		.amdhsa_fp16_overflow 0
		.amdhsa_workgroup_processor_mode 1
		.amdhsa_memory_ordered 1
		.amdhsa_forward_progress 0
		.amdhsa_shared_vgpr_count 0
		.amdhsa_exception_fp_ieee_invalid_op 0
		.amdhsa_exception_fp_denorm_src 0
		.amdhsa_exception_fp_ieee_div_zero 0
		.amdhsa_exception_fp_ieee_overflow 0
		.amdhsa_exception_fp_ieee_underflow 0
		.amdhsa_exception_fp_ieee_inexact 0
		.amdhsa_exception_int_div_zero 0
	.end_amdhsa_kernel
	.section	.text._ZN7rocprim17ROCPRIM_400000_NS6detail17trampoline_kernelINS0_14default_configENS1_20scan_config_selectorIfEEZZNS1_9scan_implILNS1_25lookback_scan_determinismE0ELb0ELb0ES3_PKfPffZZZN2at6native31launch_logcumsumexp_cuda_kernelERKNSB_10TensorBaseESF_lENKUlvE_clEvENKUlvE0_clEvEUlffE_fEEDaPvRmT3_T4_T5_mT6_P12ihipStream_tbENKUlT_T0_E_clISt17integral_constantIbLb1EESV_IbLb0EEEEDaSR_SS_EUlSR_E_NS1_11comp_targetILNS1_3genE2ELNS1_11target_archE906ELNS1_3gpuE6ELNS1_3repE0EEENS1_30default_config_static_selectorELNS0_4arch9wavefront6targetE0EEEvT1_,"axG",@progbits,_ZN7rocprim17ROCPRIM_400000_NS6detail17trampoline_kernelINS0_14default_configENS1_20scan_config_selectorIfEEZZNS1_9scan_implILNS1_25lookback_scan_determinismE0ELb0ELb0ES3_PKfPffZZZN2at6native31launch_logcumsumexp_cuda_kernelERKNSB_10TensorBaseESF_lENKUlvE_clEvENKUlvE0_clEvEUlffE_fEEDaPvRmT3_T4_T5_mT6_P12ihipStream_tbENKUlT_T0_E_clISt17integral_constantIbLb1EESV_IbLb0EEEEDaSR_SS_EUlSR_E_NS1_11comp_targetILNS1_3genE2ELNS1_11target_archE906ELNS1_3gpuE6ELNS1_3repE0EEENS1_30default_config_static_selectorELNS0_4arch9wavefront6targetE0EEEvT1_,comdat
.Lfunc_end142:
	.size	_ZN7rocprim17ROCPRIM_400000_NS6detail17trampoline_kernelINS0_14default_configENS1_20scan_config_selectorIfEEZZNS1_9scan_implILNS1_25lookback_scan_determinismE0ELb0ELb0ES3_PKfPffZZZN2at6native31launch_logcumsumexp_cuda_kernelERKNSB_10TensorBaseESF_lENKUlvE_clEvENKUlvE0_clEvEUlffE_fEEDaPvRmT3_T4_T5_mT6_P12ihipStream_tbENKUlT_T0_E_clISt17integral_constantIbLb1EESV_IbLb0EEEEDaSR_SS_EUlSR_E_NS1_11comp_targetILNS1_3genE2ELNS1_11target_archE906ELNS1_3gpuE6ELNS1_3repE0EEENS1_30default_config_static_selectorELNS0_4arch9wavefront6targetE0EEEvT1_, .Lfunc_end142-_ZN7rocprim17ROCPRIM_400000_NS6detail17trampoline_kernelINS0_14default_configENS1_20scan_config_selectorIfEEZZNS1_9scan_implILNS1_25lookback_scan_determinismE0ELb0ELb0ES3_PKfPffZZZN2at6native31launch_logcumsumexp_cuda_kernelERKNSB_10TensorBaseESF_lENKUlvE_clEvENKUlvE0_clEvEUlffE_fEEDaPvRmT3_T4_T5_mT6_P12ihipStream_tbENKUlT_T0_E_clISt17integral_constantIbLb1EESV_IbLb0EEEEDaSR_SS_EUlSR_E_NS1_11comp_targetILNS1_3genE2ELNS1_11target_archE906ELNS1_3gpuE6ELNS1_3repE0EEENS1_30default_config_static_selectorELNS0_4arch9wavefront6targetE0EEEvT1_
                                        ; -- End function
	.section	.AMDGPU.csdata,"",@progbits
; Kernel info:
; codeLenInByte = 0
; NumSgprs: 0
; NumVgprs: 0
; ScratchSize: 0
; MemoryBound: 0
; FloatMode: 240
; IeeeMode: 1
; LDSByteSize: 0 bytes/workgroup (compile time only)
; SGPRBlocks: 0
; VGPRBlocks: 0
; NumSGPRsForWavesPerEU: 1
; NumVGPRsForWavesPerEU: 1
; Occupancy: 16
; WaveLimiterHint : 0
; COMPUTE_PGM_RSRC2:SCRATCH_EN: 0
; COMPUTE_PGM_RSRC2:USER_SGPR: 15
; COMPUTE_PGM_RSRC2:TRAP_HANDLER: 0
; COMPUTE_PGM_RSRC2:TGID_X_EN: 1
; COMPUTE_PGM_RSRC2:TGID_Y_EN: 0
; COMPUTE_PGM_RSRC2:TGID_Z_EN: 0
; COMPUTE_PGM_RSRC2:TIDIG_COMP_CNT: 0
	.section	.text._ZN7rocprim17ROCPRIM_400000_NS6detail17trampoline_kernelINS0_14default_configENS1_20scan_config_selectorIfEEZZNS1_9scan_implILNS1_25lookback_scan_determinismE0ELb0ELb0ES3_PKfPffZZZN2at6native31launch_logcumsumexp_cuda_kernelERKNSB_10TensorBaseESF_lENKUlvE_clEvENKUlvE0_clEvEUlffE_fEEDaPvRmT3_T4_T5_mT6_P12ihipStream_tbENKUlT_T0_E_clISt17integral_constantIbLb1EESV_IbLb0EEEEDaSR_SS_EUlSR_E_NS1_11comp_targetILNS1_3genE10ELNS1_11target_archE1201ELNS1_3gpuE5ELNS1_3repE0EEENS1_30default_config_static_selectorELNS0_4arch9wavefront6targetE0EEEvT1_,"axG",@progbits,_ZN7rocprim17ROCPRIM_400000_NS6detail17trampoline_kernelINS0_14default_configENS1_20scan_config_selectorIfEEZZNS1_9scan_implILNS1_25lookback_scan_determinismE0ELb0ELb0ES3_PKfPffZZZN2at6native31launch_logcumsumexp_cuda_kernelERKNSB_10TensorBaseESF_lENKUlvE_clEvENKUlvE0_clEvEUlffE_fEEDaPvRmT3_T4_T5_mT6_P12ihipStream_tbENKUlT_T0_E_clISt17integral_constantIbLb1EESV_IbLb0EEEEDaSR_SS_EUlSR_E_NS1_11comp_targetILNS1_3genE10ELNS1_11target_archE1201ELNS1_3gpuE5ELNS1_3repE0EEENS1_30default_config_static_selectorELNS0_4arch9wavefront6targetE0EEEvT1_,comdat
	.globl	_ZN7rocprim17ROCPRIM_400000_NS6detail17trampoline_kernelINS0_14default_configENS1_20scan_config_selectorIfEEZZNS1_9scan_implILNS1_25lookback_scan_determinismE0ELb0ELb0ES3_PKfPffZZZN2at6native31launch_logcumsumexp_cuda_kernelERKNSB_10TensorBaseESF_lENKUlvE_clEvENKUlvE0_clEvEUlffE_fEEDaPvRmT3_T4_T5_mT6_P12ihipStream_tbENKUlT_T0_E_clISt17integral_constantIbLb1EESV_IbLb0EEEEDaSR_SS_EUlSR_E_NS1_11comp_targetILNS1_3genE10ELNS1_11target_archE1201ELNS1_3gpuE5ELNS1_3repE0EEENS1_30default_config_static_selectorELNS0_4arch9wavefront6targetE0EEEvT1_ ; -- Begin function _ZN7rocprim17ROCPRIM_400000_NS6detail17trampoline_kernelINS0_14default_configENS1_20scan_config_selectorIfEEZZNS1_9scan_implILNS1_25lookback_scan_determinismE0ELb0ELb0ES3_PKfPffZZZN2at6native31launch_logcumsumexp_cuda_kernelERKNSB_10TensorBaseESF_lENKUlvE_clEvENKUlvE0_clEvEUlffE_fEEDaPvRmT3_T4_T5_mT6_P12ihipStream_tbENKUlT_T0_E_clISt17integral_constantIbLb1EESV_IbLb0EEEEDaSR_SS_EUlSR_E_NS1_11comp_targetILNS1_3genE10ELNS1_11target_archE1201ELNS1_3gpuE5ELNS1_3repE0EEENS1_30default_config_static_selectorELNS0_4arch9wavefront6targetE0EEEvT1_
	.p2align	8
	.type	_ZN7rocprim17ROCPRIM_400000_NS6detail17trampoline_kernelINS0_14default_configENS1_20scan_config_selectorIfEEZZNS1_9scan_implILNS1_25lookback_scan_determinismE0ELb0ELb0ES3_PKfPffZZZN2at6native31launch_logcumsumexp_cuda_kernelERKNSB_10TensorBaseESF_lENKUlvE_clEvENKUlvE0_clEvEUlffE_fEEDaPvRmT3_T4_T5_mT6_P12ihipStream_tbENKUlT_T0_E_clISt17integral_constantIbLb1EESV_IbLb0EEEEDaSR_SS_EUlSR_E_NS1_11comp_targetILNS1_3genE10ELNS1_11target_archE1201ELNS1_3gpuE5ELNS1_3repE0EEENS1_30default_config_static_selectorELNS0_4arch9wavefront6targetE0EEEvT1_,@function
_ZN7rocprim17ROCPRIM_400000_NS6detail17trampoline_kernelINS0_14default_configENS1_20scan_config_selectorIfEEZZNS1_9scan_implILNS1_25lookback_scan_determinismE0ELb0ELb0ES3_PKfPffZZZN2at6native31launch_logcumsumexp_cuda_kernelERKNSB_10TensorBaseESF_lENKUlvE_clEvENKUlvE0_clEvEUlffE_fEEDaPvRmT3_T4_T5_mT6_P12ihipStream_tbENKUlT_T0_E_clISt17integral_constantIbLb1EESV_IbLb0EEEEDaSR_SS_EUlSR_E_NS1_11comp_targetILNS1_3genE10ELNS1_11target_archE1201ELNS1_3gpuE5ELNS1_3repE0EEENS1_30default_config_static_selectorELNS0_4arch9wavefront6targetE0EEEvT1_: ; @_ZN7rocprim17ROCPRIM_400000_NS6detail17trampoline_kernelINS0_14default_configENS1_20scan_config_selectorIfEEZZNS1_9scan_implILNS1_25lookback_scan_determinismE0ELb0ELb0ES3_PKfPffZZZN2at6native31launch_logcumsumexp_cuda_kernelERKNSB_10TensorBaseESF_lENKUlvE_clEvENKUlvE0_clEvEUlffE_fEEDaPvRmT3_T4_T5_mT6_P12ihipStream_tbENKUlT_T0_E_clISt17integral_constantIbLb1EESV_IbLb0EEEEDaSR_SS_EUlSR_E_NS1_11comp_targetILNS1_3genE10ELNS1_11target_archE1201ELNS1_3gpuE5ELNS1_3repE0EEENS1_30default_config_static_selectorELNS0_4arch9wavefront6targetE0EEEvT1_
; %bb.0:
	.section	.rodata,"a",@progbits
	.p2align	6, 0x0
	.amdhsa_kernel _ZN7rocprim17ROCPRIM_400000_NS6detail17trampoline_kernelINS0_14default_configENS1_20scan_config_selectorIfEEZZNS1_9scan_implILNS1_25lookback_scan_determinismE0ELb0ELb0ES3_PKfPffZZZN2at6native31launch_logcumsumexp_cuda_kernelERKNSB_10TensorBaseESF_lENKUlvE_clEvENKUlvE0_clEvEUlffE_fEEDaPvRmT3_T4_T5_mT6_P12ihipStream_tbENKUlT_T0_E_clISt17integral_constantIbLb1EESV_IbLb0EEEEDaSR_SS_EUlSR_E_NS1_11comp_targetILNS1_3genE10ELNS1_11target_archE1201ELNS1_3gpuE5ELNS1_3repE0EEENS1_30default_config_static_selectorELNS0_4arch9wavefront6targetE0EEEvT1_
		.amdhsa_group_segment_fixed_size 0
		.amdhsa_private_segment_fixed_size 0
		.amdhsa_kernarg_size 96
		.amdhsa_user_sgpr_count 15
		.amdhsa_user_sgpr_dispatch_ptr 0
		.amdhsa_user_sgpr_queue_ptr 0
		.amdhsa_user_sgpr_kernarg_segment_ptr 1
		.amdhsa_user_sgpr_dispatch_id 0
		.amdhsa_user_sgpr_private_segment_size 0
		.amdhsa_wavefront_size32 1
		.amdhsa_uses_dynamic_stack 0
		.amdhsa_enable_private_segment 0
		.amdhsa_system_sgpr_workgroup_id_x 1
		.amdhsa_system_sgpr_workgroup_id_y 0
		.amdhsa_system_sgpr_workgroup_id_z 0
		.amdhsa_system_sgpr_workgroup_info 0
		.amdhsa_system_vgpr_workitem_id 0
		.amdhsa_next_free_vgpr 1
		.amdhsa_next_free_sgpr 1
		.amdhsa_reserve_vcc 0
		.amdhsa_float_round_mode_32 0
		.amdhsa_float_round_mode_16_64 0
		.amdhsa_float_denorm_mode_32 3
		.amdhsa_float_denorm_mode_16_64 3
		.amdhsa_dx10_clamp 1
		.amdhsa_ieee_mode 1
		.amdhsa_fp16_overflow 0
		.amdhsa_workgroup_processor_mode 1
		.amdhsa_memory_ordered 1
		.amdhsa_forward_progress 0
		.amdhsa_shared_vgpr_count 0
		.amdhsa_exception_fp_ieee_invalid_op 0
		.amdhsa_exception_fp_denorm_src 0
		.amdhsa_exception_fp_ieee_div_zero 0
		.amdhsa_exception_fp_ieee_overflow 0
		.amdhsa_exception_fp_ieee_underflow 0
		.amdhsa_exception_fp_ieee_inexact 0
		.amdhsa_exception_int_div_zero 0
	.end_amdhsa_kernel
	.section	.text._ZN7rocprim17ROCPRIM_400000_NS6detail17trampoline_kernelINS0_14default_configENS1_20scan_config_selectorIfEEZZNS1_9scan_implILNS1_25lookback_scan_determinismE0ELb0ELb0ES3_PKfPffZZZN2at6native31launch_logcumsumexp_cuda_kernelERKNSB_10TensorBaseESF_lENKUlvE_clEvENKUlvE0_clEvEUlffE_fEEDaPvRmT3_T4_T5_mT6_P12ihipStream_tbENKUlT_T0_E_clISt17integral_constantIbLb1EESV_IbLb0EEEEDaSR_SS_EUlSR_E_NS1_11comp_targetILNS1_3genE10ELNS1_11target_archE1201ELNS1_3gpuE5ELNS1_3repE0EEENS1_30default_config_static_selectorELNS0_4arch9wavefront6targetE0EEEvT1_,"axG",@progbits,_ZN7rocprim17ROCPRIM_400000_NS6detail17trampoline_kernelINS0_14default_configENS1_20scan_config_selectorIfEEZZNS1_9scan_implILNS1_25lookback_scan_determinismE0ELb0ELb0ES3_PKfPffZZZN2at6native31launch_logcumsumexp_cuda_kernelERKNSB_10TensorBaseESF_lENKUlvE_clEvENKUlvE0_clEvEUlffE_fEEDaPvRmT3_T4_T5_mT6_P12ihipStream_tbENKUlT_T0_E_clISt17integral_constantIbLb1EESV_IbLb0EEEEDaSR_SS_EUlSR_E_NS1_11comp_targetILNS1_3genE10ELNS1_11target_archE1201ELNS1_3gpuE5ELNS1_3repE0EEENS1_30default_config_static_selectorELNS0_4arch9wavefront6targetE0EEEvT1_,comdat
.Lfunc_end143:
	.size	_ZN7rocprim17ROCPRIM_400000_NS6detail17trampoline_kernelINS0_14default_configENS1_20scan_config_selectorIfEEZZNS1_9scan_implILNS1_25lookback_scan_determinismE0ELb0ELb0ES3_PKfPffZZZN2at6native31launch_logcumsumexp_cuda_kernelERKNSB_10TensorBaseESF_lENKUlvE_clEvENKUlvE0_clEvEUlffE_fEEDaPvRmT3_T4_T5_mT6_P12ihipStream_tbENKUlT_T0_E_clISt17integral_constantIbLb1EESV_IbLb0EEEEDaSR_SS_EUlSR_E_NS1_11comp_targetILNS1_3genE10ELNS1_11target_archE1201ELNS1_3gpuE5ELNS1_3repE0EEENS1_30default_config_static_selectorELNS0_4arch9wavefront6targetE0EEEvT1_, .Lfunc_end143-_ZN7rocprim17ROCPRIM_400000_NS6detail17trampoline_kernelINS0_14default_configENS1_20scan_config_selectorIfEEZZNS1_9scan_implILNS1_25lookback_scan_determinismE0ELb0ELb0ES3_PKfPffZZZN2at6native31launch_logcumsumexp_cuda_kernelERKNSB_10TensorBaseESF_lENKUlvE_clEvENKUlvE0_clEvEUlffE_fEEDaPvRmT3_T4_T5_mT6_P12ihipStream_tbENKUlT_T0_E_clISt17integral_constantIbLb1EESV_IbLb0EEEEDaSR_SS_EUlSR_E_NS1_11comp_targetILNS1_3genE10ELNS1_11target_archE1201ELNS1_3gpuE5ELNS1_3repE0EEENS1_30default_config_static_selectorELNS0_4arch9wavefront6targetE0EEEvT1_
                                        ; -- End function
	.section	.AMDGPU.csdata,"",@progbits
; Kernel info:
; codeLenInByte = 0
; NumSgprs: 0
; NumVgprs: 0
; ScratchSize: 0
; MemoryBound: 0
; FloatMode: 240
; IeeeMode: 1
; LDSByteSize: 0 bytes/workgroup (compile time only)
; SGPRBlocks: 0
; VGPRBlocks: 0
; NumSGPRsForWavesPerEU: 1
; NumVGPRsForWavesPerEU: 1
; Occupancy: 16
; WaveLimiterHint : 0
; COMPUTE_PGM_RSRC2:SCRATCH_EN: 0
; COMPUTE_PGM_RSRC2:USER_SGPR: 15
; COMPUTE_PGM_RSRC2:TRAP_HANDLER: 0
; COMPUTE_PGM_RSRC2:TGID_X_EN: 1
; COMPUTE_PGM_RSRC2:TGID_Y_EN: 0
; COMPUTE_PGM_RSRC2:TGID_Z_EN: 0
; COMPUTE_PGM_RSRC2:TIDIG_COMP_CNT: 0
	.section	.text._ZN7rocprim17ROCPRIM_400000_NS6detail17trampoline_kernelINS0_14default_configENS1_20scan_config_selectorIfEEZZNS1_9scan_implILNS1_25lookback_scan_determinismE0ELb0ELb0ES3_PKfPffZZZN2at6native31launch_logcumsumexp_cuda_kernelERKNSB_10TensorBaseESF_lENKUlvE_clEvENKUlvE0_clEvEUlffE_fEEDaPvRmT3_T4_T5_mT6_P12ihipStream_tbENKUlT_T0_E_clISt17integral_constantIbLb1EESV_IbLb0EEEEDaSR_SS_EUlSR_E_NS1_11comp_targetILNS1_3genE10ELNS1_11target_archE1200ELNS1_3gpuE4ELNS1_3repE0EEENS1_30default_config_static_selectorELNS0_4arch9wavefront6targetE0EEEvT1_,"axG",@progbits,_ZN7rocprim17ROCPRIM_400000_NS6detail17trampoline_kernelINS0_14default_configENS1_20scan_config_selectorIfEEZZNS1_9scan_implILNS1_25lookback_scan_determinismE0ELb0ELb0ES3_PKfPffZZZN2at6native31launch_logcumsumexp_cuda_kernelERKNSB_10TensorBaseESF_lENKUlvE_clEvENKUlvE0_clEvEUlffE_fEEDaPvRmT3_T4_T5_mT6_P12ihipStream_tbENKUlT_T0_E_clISt17integral_constantIbLb1EESV_IbLb0EEEEDaSR_SS_EUlSR_E_NS1_11comp_targetILNS1_3genE10ELNS1_11target_archE1200ELNS1_3gpuE4ELNS1_3repE0EEENS1_30default_config_static_selectorELNS0_4arch9wavefront6targetE0EEEvT1_,comdat
	.globl	_ZN7rocprim17ROCPRIM_400000_NS6detail17trampoline_kernelINS0_14default_configENS1_20scan_config_selectorIfEEZZNS1_9scan_implILNS1_25lookback_scan_determinismE0ELb0ELb0ES3_PKfPffZZZN2at6native31launch_logcumsumexp_cuda_kernelERKNSB_10TensorBaseESF_lENKUlvE_clEvENKUlvE0_clEvEUlffE_fEEDaPvRmT3_T4_T5_mT6_P12ihipStream_tbENKUlT_T0_E_clISt17integral_constantIbLb1EESV_IbLb0EEEEDaSR_SS_EUlSR_E_NS1_11comp_targetILNS1_3genE10ELNS1_11target_archE1200ELNS1_3gpuE4ELNS1_3repE0EEENS1_30default_config_static_selectorELNS0_4arch9wavefront6targetE0EEEvT1_ ; -- Begin function _ZN7rocprim17ROCPRIM_400000_NS6detail17trampoline_kernelINS0_14default_configENS1_20scan_config_selectorIfEEZZNS1_9scan_implILNS1_25lookback_scan_determinismE0ELb0ELb0ES3_PKfPffZZZN2at6native31launch_logcumsumexp_cuda_kernelERKNSB_10TensorBaseESF_lENKUlvE_clEvENKUlvE0_clEvEUlffE_fEEDaPvRmT3_T4_T5_mT6_P12ihipStream_tbENKUlT_T0_E_clISt17integral_constantIbLb1EESV_IbLb0EEEEDaSR_SS_EUlSR_E_NS1_11comp_targetILNS1_3genE10ELNS1_11target_archE1200ELNS1_3gpuE4ELNS1_3repE0EEENS1_30default_config_static_selectorELNS0_4arch9wavefront6targetE0EEEvT1_
	.p2align	8
	.type	_ZN7rocprim17ROCPRIM_400000_NS6detail17trampoline_kernelINS0_14default_configENS1_20scan_config_selectorIfEEZZNS1_9scan_implILNS1_25lookback_scan_determinismE0ELb0ELb0ES3_PKfPffZZZN2at6native31launch_logcumsumexp_cuda_kernelERKNSB_10TensorBaseESF_lENKUlvE_clEvENKUlvE0_clEvEUlffE_fEEDaPvRmT3_T4_T5_mT6_P12ihipStream_tbENKUlT_T0_E_clISt17integral_constantIbLb1EESV_IbLb0EEEEDaSR_SS_EUlSR_E_NS1_11comp_targetILNS1_3genE10ELNS1_11target_archE1200ELNS1_3gpuE4ELNS1_3repE0EEENS1_30default_config_static_selectorELNS0_4arch9wavefront6targetE0EEEvT1_,@function
_ZN7rocprim17ROCPRIM_400000_NS6detail17trampoline_kernelINS0_14default_configENS1_20scan_config_selectorIfEEZZNS1_9scan_implILNS1_25lookback_scan_determinismE0ELb0ELb0ES3_PKfPffZZZN2at6native31launch_logcumsumexp_cuda_kernelERKNSB_10TensorBaseESF_lENKUlvE_clEvENKUlvE0_clEvEUlffE_fEEDaPvRmT3_T4_T5_mT6_P12ihipStream_tbENKUlT_T0_E_clISt17integral_constantIbLb1EESV_IbLb0EEEEDaSR_SS_EUlSR_E_NS1_11comp_targetILNS1_3genE10ELNS1_11target_archE1200ELNS1_3gpuE4ELNS1_3repE0EEENS1_30default_config_static_selectorELNS0_4arch9wavefront6targetE0EEEvT1_: ; @_ZN7rocprim17ROCPRIM_400000_NS6detail17trampoline_kernelINS0_14default_configENS1_20scan_config_selectorIfEEZZNS1_9scan_implILNS1_25lookback_scan_determinismE0ELb0ELb0ES3_PKfPffZZZN2at6native31launch_logcumsumexp_cuda_kernelERKNSB_10TensorBaseESF_lENKUlvE_clEvENKUlvE0_clEvEUlffE_fEEDaPvRmT3_T4_T5_mT6_P12ihipStream_tbENKUlT_T0_E_clISt17integral_constantIbLb1EESV_IbLb0EEEEDaSR_SS_EUlSR_E_NS1_11comp_targetILNS1_3genE10ELNS1_11target_archE1200ELNS1_3gpuE4ELNS1_3repE0EEENS1_30default_config_static_selectorELNS0_4arch9wavefront6targetE0EEEvT1_
; %bb.0:
	.section	.rodata,"a",@progbits
	.p2align	6, 0x0
	.amdhsa_kernel _ZN7rocprim17ROCPRIM_400000_NS6detail17trampoline_kernelINS0_14default_configENS1_20scan_config_selectorIfEEZZNS1_9scan_implILNS1_25lookback_scan_determinismE0ELb0ELb0ES3_PKfPffZZZN2at6native31launch_logcumsumexp_cuda_kernelERKNSB_10TensorBaseESF_lENKUlvE_clEvENKUlvE0_clEvEUlffE_fEEDaPvRmT3_T4_T5_mT6_P12ihipStream_tbENKUlT_T0_E_clISt17integral_constantIbLb1EESV_IbLb0EEEEDaSR_SS_EUlSR_E_NS1_11comp_targetILNS1_3genE10ELNS1_11target_archE1200ELNS1_3gpuE4ELNS1_3repE0EEENS1_30default_config_static_selectorELNS0_4arch9wavefront6targetE0EEEvT1_
		.amdhsa_group_segment_fixed_size 0
		.amdhsa_private_segment_fixed_size 0
		.amdhsa_kernarg_size 96
		.amdhsa_user_sgpr_count 15
		.amdhsa_user_sgpr_dispatch_ptr 0
		.amdhsa_user_sgpr_queue_ptr 0
		.amdhsa_user_sgpr_kernarg_segment_ptr 1
		.amdhsa_user_sgpr_dispatch_id 0
		.amdhsa_user_sgpr_private_segment_size 0
		.amdhsa_wavefront_size32 1
		.amdhsa_uses_dynamic_stack 0
		.amdhsa_enable_private_segment 0
		.amdhsa_system_sgpr_workgroup_id_x 1
		.amdhsa_system_sgpr_workgroup_id_y 0
		.amdhsa_system_sgpr_workgroup_id_z 0
		.amdhsa_system_sgpr_workgroup_info 0
		.amdhsa_system_vgpr_workitem_id 0
		.amdhsa_next_free_vgpr 1
		.amdhsa_next_free_sgpr 1
		.amdhsa_reserve_vcc 0
		.amdhsa_float_round_mode_32 0
		.amdhsa_float_round_mode_16_64 0
		.amdhsa_float_denorm_mode_32 3
		.amdhsa_float_denorm_mode_16_64 3
		.amdhsa_dx10_clamp 1
		.amdhsa_ieee_mode 1
		.amdhsa_fp16_overflow 0
		.amdhsa_workgroup_processor_mode 1
		.amdhsa_memory_ordered 1
		.amdhsa_forward_progress 0
		.amdhsa_shared_vgpr_count 0
		.amdhsa_exception_fp_ieee_invalid_op 0
		.amdhsa_exception_fp_denorm_src 0
		.amdhsa_exception_fp_ieee_div_zero 0
		.amdhsa_exception_fp_ieee_overflow 0
		.amdhsa_exception_fp_ieee_underflow 0
		.amdhsa_exception_fp_ieee_inexact 0
		.amdhsa_exception_int_div_zero 0
	.end_amdhsa_kernel
	.section	.text._ZN7rocprim17ROCPRIM_400000_NS6detail17trampoline_kernelINS0_14default_configENS1_20scan_config_selectorIfEEZZNS1_9scan_implILNS1_25lookback_scan_determinismE0ELb0ELb0ES3_PKfPffZZZN2at6native31launch_logcumsumexp_cuda_kernelERKNSB_10TensorBaseESF_lENKUlvE_clEvENKUlvE0_clEvEUlffE_fEEDaPvRmT3_T4_T5_mT6_P12ihipStream_tbENKUlT_T0_E_clISt17integral_constantIbLb1EESV_IbLb0EEEEDaSR_SS_EUlSR_E_NS1_11comp_targetILNS1_3genE10ELNS1_11target_archE1200ELNS1_3gpuE4ELNS1_3repE0EEENS1_30default_config_static_selectorELNS0_4arch9wavefront6targetE0EEEvT1_,"axG",@progbits,_ZN7rocprim17ROCPRIM_400000_NS6detail17trampoline_kernelINS0_14default_configENS1_20scan_config_selectorIfEEZZNS1_9scan_implILNS1_25lookback_scan_determinismE0ELb0ELb0ES3_PKfPffZZZN2at6native31launch_logcumsumexp_cuda_kernelERKNSB_10TensorBaseESF_lENKUlvE_clEvENKUlvE0_clEvEUlffE_fEEDaPvRmT3_T4_T5_mT6_P12ihipStream_tbENKUlT_T0_E_clISt17integral_constantIbLb1EESV_IbLb0EEEEDaSR_SS_EUlSR_E_NS1_11comp_targetILNS1_3genE10ELNS1_11target_archE1200ELNS1_3gpuE4ELNS1_3repE0EEENS1_30default_config_static_selectorELNS0_4arch9wavefront6targetE0EEEvT1_,comdat
.Lfunc_end144:
	.size	_ZN7rocprim17ROCPRIM_400000_NS6detail17trampoline_kernelINS0_14default_configENS1_20scan_config_selectorIfEEZZNS1_9scan_implILNS1_25lookback_scan_determinismE0ELb0ELb0ES3_PKfPffZZZN2at6native31launch_logcumsumexp_cuda_kernelERKNSB_10TensorBaseESF_lENKUlvE_clEvENKUlvE0_clEvEUlffE_fEEDaPvRmT3_T4_T5_mT6_P12ihipStream_tbENKUlT_T0_E_clISt17integral_constantIbLb1EESV_IbLb0EEEEDaSR_SS_EUlSR_E_NS1_11comp_targetILNS1_3genE10ELNS1_11target_archE1200ELNS1_3gpuE4ELNS1_3repE0EEENS1_30default_config_static_selectorELNS0_4arch9wavefront6targetE0EEEvT1_, .Lfunc_end144-_ZN7rocprim17ROCPRIM_400000_NS6detail17trampoline_kernelINS0_14default_configENS1_20scan_config_selectorIfEEZZNS1_9scan_implILNS1_25lookback_scan_determinismE0ELb0ELb0ES3_PKfPffZZZN2at6native31launch_logcumsumexp_cuda_kernelERKNSB_10TensorBaseESF_lENKUlvE_clEvENKUlvE0_clEvEUlffE_fEEDaPvRmT3_T4_T5_mT6_P12ihipStream_tbENKUlT_T0_E_clISt17integral_constantIbLb1EESV_IbLb0EEEEDaSR_SS_EUlSR_E_NS1_11comp_targetILNS1_3genE10ELNS1_11target_archE1200ELNS1_3gpuE4ELNS1_3repE0EEENS1_30default_config_static_selectorELNS0_4arch9wavefront6targetE0EEEvT1_
                                        ; -- End function
	.section	.AMDGPU.csdata,"",@progbits
; Kernel info:
; codeLenInByte = 0
; NumSgprs: 0
; NumVgprs: 0
; ScratchSize: 0
; MemoryBound: 0
; FloatMode: 240
; IeeeMode: 1
; LDSByteSize: 0 bytes/workgroup (compile time only)
; SGPRBlocks: 0
; VGPRBlocks: 0
; NumSGPRsForWavesPerEU: 1
; NumVGPRsForWavesPerEU: 1
; Occupancy: 16
; WaveLimiterHint : 0
; COMPUTE_PGM_RSRC2:SCRATCH_EN: 0
; COMPUTE_PGM_RSRC2:USER_SGPR: 15
; COMPUTE_PGM_RSRC2:TRAP_HANDLER: 0
; COMPUTE_PGM_RSRC2:TGID_X_EN: 1
; COMPUTE_PGM_RSRC2:TGID_Y_EN: 0
; COMPUTE_PGM_RSRC2:TGID_Z_EN: 0
; COMPUTE_PGM_RSRC2:TIDIG_COMP_CNT: 0
	.section	.text._ZN7rocprim17ROCPRIM_400000_NS6detail17trampoline_kernelINS0_14default_configENS1_20scan_config_selectorIfEEZZNS1_9scan_implILNS1_25lookback_scan_determinismE0ELb0ELb0ES3_PKfPffZZZN2at6native31launch_logcumsumexp_cuda_kernelERKNSB_10TensorBaseESF_lENKUlvE_clEvENKUlvE0_clEvEUlffE_fEEDaPvRmT3_T4_T5_mT6_P12ihipStream_tbENKUlT_T0_E_clISt17integral_constantIbLb1EESV_IbLb0EEEEDaSR_SS_EUlSR_E_NS1_11comp_targetILNS1_3genE9ELNS1_11target_archE1100ELNS1_3gpuE3ELNS1_3repE0EEENS1_30default_config_static_selectorELNS0_4arch9wavefront6targetE0EEEvT1_,"axG",@progbits,_ZN7rocprim17ROCPRIM_400000_NS6detail17trampoline_kernelINS0_14default_configENS1_20scan_config_selectorIfEEZZNS1_9scan_implILNS1_25lookback_scan_determinismE0ELb0ELb0ES3_PKfPffZZZN2at6native31launch_logcumsumexp_cuda_kernelERKNSB_10TensorBaseESF_lENKUlvE_clEvENKUlvE0_clEvEUlffE_fEEDaPvRmT3_T4_T5_mT6_P12ihipStream_tbENKUlT_T0_E_clISt17integral_constantIbLb1EESV_IbLb0EEEEDaSR_SS_EUlSR_E_NS1_11comp_targetILNS1_3genE9ELNS1_11target_archE1100ELNS1_3gpuE3ELNS1_3repE0EEENS1_30default_config_static_selectorELNS0_4arch9wavefront6targetE0EEEvT1_,comdat
	.globl	_ZN7rocprim17ROCPRIM_400000_NS6detail17trampoline_kernelINS0_14default_configENS1_20scan_config_selectorIfEEZZNS1_9scan_implILNS1_25lookback_scan_determinismE0ELb0ELb0ES3_PKfPffZZZN2at6native31launch_logcumsumexp_cuda_kernelERKNSB_10TensorBaseESF_lENKUlvE_clEvENKUlvE0_clEvEUlffE_fEEDaPvRmT3_T4_T5_mT6_P12ihipStream_tbENKUlT_T0_E_clISt17integral_constantIbLb1EESV_IbLb0EEEEDaSR_SS_EUlSR_E_NS1_11comp_targetILNS1_3genE9ELNS1_11target_archE1100ELNS1_3gpuE3ELNS1_3repE0EEENS1_30default_config_static_selectorELNS0_4arch9wavefront6targetE0EEEvT1_ ; -- Begin function _ZN7rocprim17ROCPRIM_400000_NS6detail17trampoline_kernelINS0_14default_configENS1_20scan_config_selectorIfEEZZNS1_9scan_implILNS1_25lookback_scan_determinismE0ELb0ELb0ES3_PKfPffZZZN2at6native31launch_logcumsumexp_cuda_kernelERKNSB_10TensorBaseESF_lENKUlvE_clEvENKUlvE0_clEvEUlffE_fEEDaPvRmT3_T4_T5_mT6_P12ihipStream_tbENKUlT_T0_E_clISt17integral_constantIbLb1EESV_IbLb0EEEEDaSR_SS_EUlSR_E_NS1_11comp_targetILNS1_3genE9ELNS1_11target_archE1100ELNS1_3gpuE3ELNS1_3repE0EEENS1_30default_config_static_selectorELNS0_4arch9wavefront6targetE0EEEvT1_
	.p2align	8
	.type	_ZN7rocprim17ROCPRIM_400000_NS6detail17trampoline_kernelINS0_14default_configENS1_20scan_config_selectorIfEEZZNS1_9scan_implILNS1_25lookback_scan_determinismE0ELb0ELb0ES3_PKfPffZZZN2at6native31launch_logcumsumexp_cuda_kernelERKNSB_10TensorBaseESF_lENKUlvE_clEvENKUlvE0_clEvEUlffE_fEEDaPvRmT3_T4_T5_mT6_P12ihipStream_tbENKUlT_T0_E_clISt17integral_constantIbLb1EESV_IbLb0EEEEDaSR_SS_EUlSR_E_NS1_11comp_targetILNS1_3genE9ELNS1_11target_archE1100ELNS1_3gpuE3ELNS1_3repE0EEENS1_30default_config_static_selectorELNS0_4arch9wavefront6targetE0EEEvT1_,@function
_ZN7rocprim17ROCPRIM_400000_NS6detail17trampoline_kernelINS0_14default_configENS1_20scan_config_selectorIfEEZZNS1_9scan_implILNS1_25lookback_scan_determinismE0ELb0ELb0ES3_PKfPffZZZN2at6native31launch_logcumsumexp_cuda_kernelERKNSB_10TensorBaseESF_lENKUlvE_clEvENKUlvE0_clEvEUlffE_fEEDaPvRmT3_T4_T5_mT6_P12ihipStream_tbENKUlT_T0_E_clISt17integral_constantIbLb1EESV_IbLb0EEEEDaSR_SS_EUlSR_E_NS1_11comp_targetILNS1_3genE9ELNS1_11target_archE1100ELNS1_3gpuE3ELNS1_3repE0EEENS1_30default_config_static_selectorELNS0_4arch9wavefront6targetE0EEEvT1_: ; @_ZN7rocprim17ROCPRIM_400000_NS6detail17trampoline_kernelINS0_14default_configENS1_20scan_config_selectorIfEEZZNS1_9scan_implILNS1_25lookback_scan_determinismE0ELb0ELb0ES3_PKfPffZZZN2at6native31launch_logcumsumexp_cuda_kernelERKNSB_10TensorBaseESF_lENKUlvE_clEvENKUlvE0_clEvEUlffE_fEEDaPvRmT3_T4_T5_mT6_P12ihipStream_tbENKUlT_T0_E_clISt17integral_constantIbLb1EESV_IbLb0EEEEDaSR_SS_EUlSR_E_NS1_11comp_targetILNS1_3genE9ELNS1_11target_archE1100ELNS1_3gpuE3ELNS1_3repE0EEENS1_30default_config_static_selectorELNS0_4arch9wavefront6targetE0EEEvT1_
; %bb.0:
	s_clause 0x1
	s_load_b256 s[16:23], s[0:1], 0x0
	s_load_b32 s2, s[0:1], 0x30
	s_mov_b32 s3, 0
	v_lshlrev_b32_e32 v16, 2, v0
	v_lshrrev_b32_e32 v17, 3, v0
	v_or_b32_e32 v15, 0x100, v0
	v_or_b32_e32 v14, 0x200, v0
	;; [unrolled: 1-line block ×3, first 2 shown]
	s_waitcnt lgkmcnt(0)
	s_lshl_b64 s[18:19], s[18:19], 2
	s_delay_alu instid0(SALU_CYCLE_1) | instskip(SKIP_4) | instid1(SALU_CYCLE_1)
	s_add_u32 s4, s16, s18
	s_addc_u32 s5, s17, s19
	s_add_i32 s6, s2, -1
	s_lshl_b32 s2, s15, 10
	s_lshl_b32 s7, s6, 10
	s_sub_u32 s24, s22, s7
	s_subb_u32 s25, s23, 0
	s_cmp_lg_u32 s15, s6
	s_cselect_b32 s26, -1, 0
	s_lshl_b64 s[16:17], s[2:3], 2
	s_mov_b32 s3, -1
	s_add_u32 s8, s4, s16
	s_addc_u32 s9, s5, s17
	s_and_b32 vcc_lo, exec_lo, s26
	s_cbranch_vccz .LBB145_2
; %bb.1:
	s_clause 0x3
	global_load_b32 v1, v16, s[8:9]
	global_load_b32 v2, v16, s[8:9] offset:1024
	global_load_b32 v3, v16, s[8:9] offset:2048
	;; [unrolled: 1-line block ×3, first 2 shown]
	v_lshrrev_b32_e32 v5, 3, v15
	v_lshrrev_b32_e32 v6, 3, v14
	;; [unrolled: 1-line block ×3, first 2 shown]
	v_and_b32_e32 v8, 28, v17
	s_mov_b32 s3, 0
	v_and_b32_e32 v5, 60, v5
	v_and_b32_e32 v6, 0x5c, v6
	;; [unrolled: 1-line block ×3, first 2 shown]
	v_add_nc_u32_e32 v8, v8, v16
	s_delay_alu instid0(VALU_DEP_4) | instskip(NEXT) | instid1(VALU_DEP_4)
	v_add_nc_u32_e32 v5, v5, v16
	v_add_nc_u32_e32 v6, v6, v16
	s_delay_alu instid0(VALU_DEP_4)
	v_add_nc_u32_e32 v7, v7, v16
	s_waitcnt vmcnt(3)
	ds_store_b32 v8, v1
	s_waitcnt vmcnt(2)
	ds_store_b32 v5, v2 offset:1024
	s_waitcnt vmcnt(1)
	ds_store_b32 v6, v3 offset:2048
	;; [unrolled: 2-line block ×3, first 2 shown]
	s_waitcnt lgkmcnt(0)
	s_barrier
.LBB145_2:
	s_load_b64 s[22:23], s[0:1], 0x28
	v_cmp_gt_u32_e64 s2, s24, v0
	s_and_not1_b32 vcc_lo, exec_lo, s3
	s_cbranch_vccnz .LBB145_9
; %bb.3:
	s_load_b32 s4, s[8:9], 0x0
	s_waitcnt lgkmcnt(0)
	s_mov_b32 s5, s4
	s_mov_b32 s6, s4
	;; [unrolled: 1-line block ×3, first 2 shown]
	v_dual_mov_b32 v1, s4 :: v_dual_mov_b32 v2, s5
	v_dual_mov_b32 v3, s6 :: v_dual_mov_b32 v4, s7
	v_mov_b32_e32 v5, s4
	s_and_saveexec_b32 s3, s2
	s_cbranch_execnz .LBB145_237
; %bb.4:
	s_or_b32 exec_lo, exec_lo, s3
	s_delay_alu instid0(SALU_CYCLE_1)
	s_mov_b32 s2, exec_lo
	v_cmpx_gt_u32_e64 s24, v15
	s_cbranch_execnz .LBB145_238
.LBB145_5:
	s_or_b32 exec_lo, exec_lo, s2
	s_delay_alu instid0(SALU_CYCLE_1)
	s_mov_b32 s2, exec_lo
	v_cmpx_gt_u32_e64 s24, v14
	s_cbranch_execnz .LBB145_239
.LBB145_6:
	s_or_b32 exec_lo, exec_lo, s2
	s_delay_alu instid0(SALU_CYCLE_1)
	s_mov_b32 s2, exec_lo
	v_cmpx_gt_u32_e64 s24, v13
	s_cbranch_execz .LBB145_8
.LBB145_7:
	global_load_b32 v4, v16, s[8:9] offset:3072
.LBB145_8:
	s_or_b32 exec_lo, exec_lo, s2
	v_lshrrev_b32_e32 v1, 3, v15
	v_lshrrev_b32_e32 v6, 3, v14
	;; [unrolled: 1-line block ×3, first 2 shown]
	v_and_b32_e32 v8, 28, v17
	s_delay_alu instid0(VALU_DEP_4) | instskip(NEXT) | instid1(VALU_DEP_4)
	v_and_b32_e32 v1, 60, v1
	v_and_b32_e32 v6, 0x7c, v6
	s_delay_alu instid0(VALU_DEP_4) | instskip(NEXT) | instid1(VALU_DEP_4)
	v_and_b32_e32 v7, 0x7c, v7
	v_add_nc_u32_e32 v8, v8, v16
	s_delay_alu instid0(VALU_DEP_4) | instskip(NEXT) | instid1(VALU_DEP_4)
	v_add_nc_u32_e32 v1, v1, v16
	v_add_nc_u32_e32 v6, v6, v16
	s_delay_alu instid0(VALU_DEP_4)
	v_add_nc_u32_e32 v7, v7, v16
	s_waitcnt vmcnt(0)
	ds_store_b32 v8, v5
	ds_store_b32 v1, v2 offset:1024
	ds_store_b32 v6, v3 offset:2048
	;; [unrolled: 1-line block ×3, first 2 shown]
	s_waitcnt lgkmcnt(0)
	s_barrier
.LBB145_9:
	v_add_lshl_u32 v3, v17, v16, 2
	s_waitcnt lgkmcnt(0)
	buffer_gl0_inv
	s_cmp_lg_u32 s15, 0
	ds_load_2addr_b32 v[1:2], v3 offset1:1
	ds_load_2addr_b32 v[7:8], v3 offset0:2 offset1:3
	s_waitcnt lgkmcnt(0)
	s_barrier
	buffer_gl0_inv
	v_cmp_u_f32_e64 s2, v2, v2
	v_max_f32_e32 v18, v2, v2
	s_cbranch_scc0 .LBB145_150
; %bb.10:
	v_max_f32_e32 v21, v1, v1
	v_cmp_u_f32_e64 s5, v1, v1
	v_mov_b32_e32 v22, v1
	s_delay_alu instid0(VALU_DEP_3) | instskip(SKIP_1) | instid1(VALU_DEP_2)
	v_min_f32_e32 v3, v21, v18
	v_max_f32_e32 v4, v21, v18
	v_cndmask_b32_e64 v3, v3, v1, s5
	s_delay_alu instid0(VALU_DEP_2) | instskip(NEXT) | instid1(VALU_DEP_2)
	v_cndmask_b32_e64 v5, v4, v1, s5
	v_cndmask_b32_e64 v4, v3, v2, s2
	s_delay_alu instid0(VALU_DEP_2) | instskip(NEXT) | instid1(VALU_DEP_2)
	v_cndmask_b32_e64 v3, v5, v2, s2
	v_cmp_class_f32_e64 s3, v4, 0x1f8
	s_delay_alu instid0(VALU_DEP_2) | instskip(NEXT) | instid1(VALU_DEP_2)
	v_cmp_neq_f32_e32 vcc_lo, v4, v3
	s_or_b32 s4, vcc_lo, s3
	s_delay_alu instid0(SALU_CYCLE_1)
	s_and_saveexec_b32 s3, s4
	s_cbranch_execz .LBB145_12
; %bb.11:
	v_sub_f32_e32 v4, v4, v3
	s_mov_b32 s4, 0x3e9b6dac
	s_delay_alu instid0(VALU_DEP_1) | instskip(NEXT) | instid1(VALU_DEP_1)
	v_mul_f32_e32 v5, 0x3fb8aa3b, v4
	v_fma_f32 v6, 0x3fb8aa3b, v4, -v5
	v_rndne_f32_e32 v9, v5
	s_delay_alu instid0(VALU_DEP_1) | instskip(SKIP_1) | instid1(VALU_DEP_4)
	v_sub_f32_e32 v5, v5, v9
	v_cmp_ngt_f32_e32 vcc_lo, 0xc2ce8ed0, v4
	v_fmamk_f32 v6, v4, 0x32a5705f, v6
	s_delay_alu instid0(VALU_DEP_1) | instskip(SKIP_1) | instid1(VALU_DEP_2)
	v_add_f32_e32 v5, v5, v6
	v_cvt_i32_f32_e32 v6, v9
	v_exp_f32_e32 v5, v5
	s_waitcnt_depctr 0xfff
	v_ldexp_f32 v5, v5, v6
	s_delay_alu instid0(VALU_DEP_1) | instskip(SKIP_1) | instid1(VALU_DEP_2)
	v_cndmask_b32_e32 v5, 0, v5, vcc_lo
	v_cmp_nlt_f32_e32 vcc_lo, 0x42b17218, v4
	v_cndmask_b32_e32 v6, 0x7f800000, v5, vcc_lo
	s_delay_alu instid0(VALU_DEP_1) | instskip(NEXT) | instid1(VALU_DEP_1)
	v_add_f32_e32 v9, 1.0, v6
	v_cvt_f64_f32_e32 v[4:5], v9
	s_delay_alu instid0(VALU_DEP_1) | instskip(SKIP_1) | instid1(VALU_DEP_1)
	v_frexp_exp_i32_f64_e32 v4, v[4:5]
	v_frexp_mant_f32_e32 v5, v9
	v_cmp_gt_f32_e32 vcc_lo, 0x3f2aaaab, v5
	v_add_f32_e32 v5, -1.0, v9
	s_delay_alu instid0(VALU_DEP_1) | instskip(NEXT) | instid1(VALU_DEP_1)
	v_sub_f32_e32 v11, v5, v9
	v_add_f32_e32 v11, 1.0, v11
	v_sub_f32_e32 v5, v6, v5
	s_delay_alu instid0(VALU_DEP_1) | instskip(SKIP_2) | instid1(VALU_DEP_2)
	v_add_f32_e32 v5, v5, v11
	v_subrev_co_ci_u32_e32 v4, vcc_lo, 0, v4, vcc_lo
	v_cmp_eq_f32_e32 vcc_lo, 0x7f800000, v6
	v_sub_nc_u32_e32 v10, 0, v4
	v_cvt_f32_i32_e32 v4, v4
	s_delay_alu instid0(VALU_DEP_2) | instskip(SKIP_1) | instid1(VALU_DEP_2)
	v_ldexp_f32 v9, v9, v10
	v_ldexp_f32 v5, v5, v10
	v_add_f32_e32 v12, 1.0, v9
	s_delay_alu instid0(VALU_DEP_1) | instskip(NEXT) | instid1(VALU_DEP_1)
	v_dual_add_f32 v10, -1.0, v9 :: v_dual_add_f32 v11, -1.0, v12
	v_add_f32_e32 v19, 1.0, v10
	s_delay_alu instid0(VALU_DEP_2) | instskip(NEXT) | instid1(VALU_DEP_2)
	v_sub_f32_e32 v11, v9, v11
	v_sub_f32_e32 v9, v9, v19
	s_delay_alu instid0(VALU_DEP_2) | instskip(NEXT) | instid1(VALU_DEP_1)
	v_add_f32_e32 v11, v5, v11
	v_add_f32_e32 v19, v12, v11
	s_delay_alu instid0(VALU_DEP_3) | instskip(NEXT) | instid1(VALU_DEP_2)
	v_add_f32_e32 v5, v5, v9
	v_rcp_f32_e32 v9, v19
	s_delay_alu instid0(VALU_DEP_1) | instskip(SKIP_1) | instid1(VALU_DEP_2)
	v_add_f32_e32 v20, v10, v5
	v_sub_f32_e32 v12, v12, v19
	v_sub_f32_e32 v10, v10, v20
	s_waitcnt_depctr 0xfff
	v_dual_add_f32 v11, v11, v12 :: v_dual_mul_f32 v22, v20, v9
	v_add_f32_e32 v5, v5, v10
	s_delay_alu instid0(VALU_DEP_2) | instskip(NEXT) | instid1(VALU_DEP_1)
	v_mul_f32_e32 v23, v19, v22
	v_fma_f32 v12, v22, v19, -v23
	s_delay_alu instid0(VALU_DEP_1) | instskip(NEXT) | instid1(VALU_DEP_1)
	v_fmac_f32_e32 v12, v22, v11
	v_add_f32_e32 v24, v23, v12
	s_delay_alu instid0(VALU_DEP_1) | instskip(SKIP_1) | instid1(VALU_DEP_2)
	v_sub_f32_e32 v25, v20, v24
	v_sub_f32_e32 v10, v24, v23
	;; [unrolled: 1-line block ×3, first 2 shown]
	s_delay_alu instid0(VALU_DEP_2) | instskip(NEXT) | instid1(VALU_DEP_2)
	v_sub_f32_e32 v10, v10, v12
	v_sub_f32_e32 v20, v20, v24
	s_delay_alu instid0(VALU_DEP_1) | instskip(NEXT) | instid1(VALU_DEP_1)
	v_add_f32_e32 v5, v5, v20
	v_add_f32_e32 v5, v10, v5
	s_delay_alu instid0(VALU_DEP_1) | instskip(NEXT) | instid1(VALU_DEP_1)
	v_add_f32_e32 v10, v25, v5
	v_sub_f32_e32 v24, v25, v10
	v_mul_f32_e32 v12, v9, v10
	s_delay_alu instid0(VALU_DEP_2) | instskip(NEXT) | instid1(VALU_DEP_2)
	v_add_f32_e32 v5, v5, v24
	v_mul_f32_e32 v20, v19, v12
	s_delay_alu instid0(VALU_DEP_1) | instskip(NEXT) | instid1(VALU_DEP_1)
	v_fma_f32 v19, v12, v19, -v20
	v_fmac_f32_e32 v19, v12, v11
	s_delay_alu instid0(VALU_DEP_1) | instskip(NEXT) | instid1(VALU_DEP_1)
	v_add_f32_e32 v11, v20, v19
	v_dual_sub_f32 v23, v10, v11 :: v_dual_sub_f32 v20, v11, v20
	s_delay_alu instid0(VALU_DEP_1) | instskip(NEXT) | instid1(VALU_DEP_1)
	v_sub_f32_e32 v10, v10, v23
	v_sub_f32_e32 v10, v10, v11
	s_delay_alu instid0(VALU_DEP_1) | instskip(NEXT) | instid1(VALU_DEP_4)
	v_dual_add_f32 v5, v5, v10 :: v_dual_add_f32 v10, v22, v12
	v_sub_f32_e32 v11, v20, v19
	s_delay_alu instid0(VALU_DEP_1) | instskip(NEXT) | instid1(VALU_DEP_3)
	v_add_f32_e32 v5, v11, v5
	v_sub_f32_e32 v11, v10, v22
	s_delay_alu instid0(VALU_DEP_2) | instskip(NEXT) | instid1(VALU_DEP_2)
	v_add_f32_e32 v5, v23, v5
	v_sub_f32_e32 v11, v12, v11
	s_delay_alu instid0(VALU_DEP_2) | instskip(NEXT) | instid1(VALU_DEP_1)
	v_mul_f32_e32 v5, v9, v5
	v_add_f32_e32 v5, v11, v5
	s_delay_alu instid0(VALU_DEP_1) | instskip(NEXT) | instid1(VALU_DEP_1)
	v_add_f32_e32 v9, v10, v5
	v_mul_f32_e32 v11, v9, v9
	s_delay_alu instid0(VALU_DEP_1) | instskip(SKIP_2) | instid1(VALU_DEP_3)
	v_fmaak_f32 v12, s4, v11, 0x3ecc95a3
	v_mul_f32_e32 v19, v9, v11
	v_cmp_gt_f32_e64 s4, 0x33800000, |v6|
	v_fmaak_f32 v11, v11, v12, 0x3f2aaada
	v_ldexp_f32 v12, v9, 1
	v_sub_f32_e32 v9, v9, v10
	s_delay_alu instid0(VALU_DEP_4) | instskip(NEXT) | instid1(VALU_DEP_3)
	s_or_b32 vcc_lo, vcc_lo, s4
	v_mul_f32_e32 v11, v19, v11
	v_mul_f32_e32 v19, 0x3f317218, v4
	s_delay_alu instid0(VALU_DEP_2) | instskip(NEXT) | instid1(VALU_DEP_1)
	v_dual_sub_f32 v5, v5, v9 :: v_dual_add_f32 v10, v12, v11
	v_ldexp_f32 v5, v5, 1
	s_delay_alu instid0(VALU_DEP_2) | instskip(NEXT) | instid1(VALU_DEP_4)
	v_sub_f32_e32 v9, v10, v12
	v_fma_f32 v12, 0x3f317218, v4, -v19
	s_delay_alu instid0(VALU_DEP_1) | instskip(NEXT) | instid1(VALU_DEP_1)
	v_dual_sub_f32 v9, v11, v9 :: v_dual_fmamk_f32 v4, v4, 0xb102e308, v12
	v_add_f32_e32 v5, v5, v9
	s_delay_alu instid0(VALU_DEP_2) | instskip(NEXT) | instid1(VALU_DEP_2)
	v_add_f32_e32 v9, v19, v4
	v_add_f32_e32 v11, v10, v5
	s_delay_alu instid0(VALU_DEP_2) | instskip(NEXT) | instid1(VALU_DEP_2)
	v_sub_f32_e32 v19, v9, v19
	v_add_f32_e32 v12, v9, v11
	v_sub_f32_e32 v10, v11, v10
	s_delay_alu instid0(VALU_DEP_3) | instskip(NEXT) | instid1(VALU_DEP_2)
	v_sub_f32_e32 v4, v4, v19
	v_dual_sub_f32 v20, v12, v9 :: v_dual_sub_f32 v5, v5, v10
	s_delay_alu instid0(VALU_DEP_1) | instskip(NEXT) | instid1(VALU_DEP_2)
	v_sub_f32_e32 v22, v12, v20
	v_dual_sub_f32 v10, v11, v20 :: v_dual_add_f32 v11, v4, v5
	s_delay_alu instid0(VALU_DEP_2) | instskip(NEXT) | instid1(VALU_DEP_1)
	v_sub_f32_e32 v9, v9, v22
	v_dual_add_f32 v9, v10, v9 :: v_dual_sub_f32 v10, v11, v4
	s_delay_alu instid0(VALU_DEP_1) | instskip(NEXT) | instid1(VALU_DEP_2)
	v_add_f32_e32 v9, v11, v9
	v_sub_f32_e32 v11, v11, v10
	v_sub_f32_e32 v5, v5, v10
	s_delay_alu instid0(VALU_DEP_3) | instskip(NEXT) | instid1(VALU_DEP_3)
	v_add_f32_e32 v19, v12, v9
	v_sub_f32_e32 v4, v4, v11
	s_delay_alu instid0(VALU_DEP_2) | instskip(NEXT) | instid1(VALU_DEP_2)
	v_sub_f32_e32 v10, v19, v12
	v_add_f32_e32 v4, v5, v4
	s_delay_alu instid0(VALU_DEP_2) | instskip(NEXT) | instid1(VALU_DEP_1)
	v_sub_f32_e32 v5, v9, v10
	v_add_f32_e32 v4, v4, v5
	s_delay_alu instid0(VALU_DEP_1) | instskip(NEXT) | instid1(VALU_DEP_1)
	v_add_f32_e32 v4, v19, v4
	v_cndmask_b32_e32 v4, v4, v6, vcc_lo
	s_delay_alu instid0(VALU_DEP_1)
	v_add_f32_e32 v22, v3, v4
.LBB145_12:
	s_or_b32 exec_lo, exec_lo, s3
	s_delay_alu instid0(VALU_DEP_1) | instskip(SKIP_3) | instid1(VALU_DEP_2)
	v_max_f32_e32 v3, v22, v22
	v_cmp_u_f32_e32 vcc_lo, v22, v22
	v_max_f32_e32 v19, v7, v7
	v_cmp_u_f32_e64 s3, v7, v7
	v_min_f32_e32 v4, v3, v19
	s_delay_alu instid0(VALU_DEP_1) | instskip(NEXT) | instid1(VALU_DEP_1)
	v_dual_cndmask_b32 v4, v4, v22 :: v_dual_max_f32 v3, v3, v19
	v_cndmask_b32_e64 v4, v4, v7, s3
	s_delay_alu instid0(VALU_DEP_2) | instskip(NEXT) | instid1(VALU_DEP_2)
	v_cndmask_b32_e32 v3, v3, v22, vcc_lo
	v_cmp_class_f32_e64 s4, v4, 0x1f8
	s_delay_alu instid0(VALU_DEP_2) | instskip(NEXT) | instid1(VALU_DEP_1)
	v_cndmask_b32_e64 v3, v3, v7, s3
	v_cmp_neq_f32_e32 vcc_lo, v4, v3
	s_delay_alu instid0(VALU_DEP_3) | instskip(NEXT) | instid1(SALU_CYCLE_1)
	s_or_b32 s6, vcc_lo, s4
	s_and_saveexec_b32 s4, s6
	s_cbranch_execz .LBB145_14
; %bb.13:
	v_sub_f32_e32 v4, v4, v3
	s_mov_b32 s6, 0x3e9b6dac
	s_delay_alu instid0(VALU_DEP_1) | instskip(NEXT) | instid1(VALU_DEP_1)
	v_mul_f32_e32 v5, 0x3fb8aa3b, v4
	v_fma_f32 v6, 0x3fb8aa3b, v4, -v5
	v_rndne_f32_e32 v9, v5
	s_delay_alu instid0(VALU_DEP_1) | instskip(SKIP_1) | instid1(VALU_DEP_4)
	v_sub_f32_e32 v5, v5, v9
	v_cmp_ngt_f32_e32 vcc_lo, 0xc2ce8ed0, v4
	v_fmamk_f32 v6, v4, 0x32a5705f, v6
	s_delay_alu instid0(VALU_DEP_1) | instskip(SKIP_1) | instid1(VALU_DEP_2)
	v_add_f32_e32 v5, v5, v6
	v_cvt_i32_f32_e32 v6, v9
	v_exp_f32_e32 v5, v5
	s_waitcnt_depctr 0xfff
	v_ldexp_f32 v5, v5, v6
	s_delay_alu instid0(VALU_DEP_1) | instskip(SKIP_1) | instid1(VALU_DEP_2)
	v_cndmask_b32_e32 v5, 0, v5, vcc_lo
	v_cmp_nlt_f32_e32 vcc_lo, 0x42b17218, v4
	v_cndmask_b32_e32 v6, 0x7f800000, v5, vcc_lo
	s_delay_alu instid0(VALU_DEP_1) | instskip(NEXT) | instid1(VALU_DEP_1)
	v_add_f32_e32 v9, 1.0, v6
	v_cvt_f64_f32_e32 v[4:5], v9
	s_delay_alu instid0(VALU_DEP_1) | instskip(SKIP_1) | instid1(VALU_DEP_1)
	v_frexp_exp_i32_f64_e32 v4, v[4:5]
	v_frexp_mant_f32_e32 v5, v9
	v_cmp_gt_f32_e32 vcc_lo, 0x3f2aaaab, v5
	v_add_f32_e32 v5, -1.0, v9
	s_delay_alu instid0(VALU_DEP_1) | instskip(NEXT) | instid1(VALU_DEP_1)
	v_sub_f32_e32 v11, v5, v9
	v_add_f32_e32 v11, 1.0, v11
	v_sub_f32_e32 v5, v6, v5
	s_delay_alu instid0(VALU_DEP_1) | instskip(SKIP_2) | instid1(VALU_DEP_2)
	v_add_f32_e32 v5, v5, v11
	v_subrev_co_ci_u32_e32 v4, vcc_lo, 0, v4, vcc_lo
	v_cmp_eq_f32_e32 vcc_lo, 0x7f800000, v6
	v_sub_nc_u32_e32 v10, 0, v4
	v_cvt_f32_i32_e32 v4, v4
	s_delay_alu instid0(VALU_DEP_2) | instskip(SKIP_1) | instid1(VALU_DEP_2)
	v_ldexp_f32 v9, v9, v10
	v_ldexp_f32 v5, v5, v10
	v_add_f32_e32 v12, 1.0, v9
	s_delay_alu instid0(VALU_DEP_1) | instskip(NEXT) | instid1(VALU_DEP_1)
	v_dual_add_f32 v10, -1.0, v9 :: v_dual_add_f32 v11, -1.0, v12
	v_dual_add_f32 v20, 1.0, v10 :: v_dual_sub_f32 v11, v9, v11
	s_delay_alu instid0(VALU_DEP_1) | instskip(NEXT) | instid1(VALU_DEP_2)
	v_sub_f32_e32 v9, v9, v20
	v_add_f32_e32 v11, v5, v11
	s_delay_alu instid0(VALU_DEP_1) | instskip(NEXT) | instid1(VALU_DEP_1)
	v_dual_add_f32 v5, v5, v9 :: v_dual_add_f32 v20, v12, v11
	v_add_f32_e32 v22, v10, v5
	s_delay_alu instid0(VALU_DEP_2) | instskip(SKIP_1) | instid1(VALU_DEP_1)
	v_rcp_f32_e32 v9, v20
	v_sub_f32_e32 v12, v12, v20
	v_dual_sub_f32 v10, v10, v22 :: v_dual_add_f32 v11, v11, v12
	s_delay_alu instid0(VALU_DEP_1) | instskip(SKIP_2) | instid1(VALU_DEP_1)
	v_add_f32_e32 v5, v5, v10
	s_waitcnt_depctr 0xfff
	v_mul_f32_e32 v23, v22, v9
	v_mul_f32_e32 v24, v20, v23
	s_delay_alu instid0(VALU_DEP_1) | instskip(NEXT) | instid1(VALU_DEP_1)
	v_fma_f32 v12, v23, v20, -v24
	v_fmac_f32_e32 v12, v23, v11
	s_delay_alu instid0(VALU_DEP_1) | instskip(NEXT) | instid1(VALU_DEP_1)
	v_add_f32_e32 v25, v24, v12
	v_sub_f32_e32 v26, v22, v25
	v_sub_f32_e32 v10, v25, v24
	s_delay_alu instid0(VALU_DEP_2) | instskip(NEXT) | instid1(VALU_DEP_2)
	v_sub_f32_e32 v22, v22, v26
	v_sub_f32_e32 v10, v10, v12
	s_delay_alu instid0(VALU_DEP_2) | instskip(NEXT) | instid1(VALU_DEP_1)
	v_sub_f32_e32 v22, v22, v25
	v_add_f32_e32 v5, v5, v22
	s_delay_alu instid0(VALU_DEP_1) | instskip(NEXT) | instid1(VALU_DEP_1)
	v_add_f32_e32 v5, v10, v5
	v_add_f32_e32 v10, v26, v5
	s_delay_alu instid0(VALU_DEP_1) | instskip(NEXT) | instid1(VALU_DEP_1)
	v_mul_f32_e32 v12, v9, v10
	v_dual_sub_f32 v25, v26, v10 :: v_dual_mul_f32 v22, v20, v12
	s_delay_alu instid0(VALU_DEP_1) | instskip(NEXT) | instid1(VALU_DEP_2)
	v_add_f32_e32 v5, v5, v25
	v_fma_f32 v20, v12, v20, -v22
	s_delay_alu instid0(VALU_DEP_1) | instskip(NEXT) | instid1(VALU_DEP_1)
	v_fmac_f32_e32 v20, v12, v11
	v_add_f32_e32 v11, v22, v20
	s_delay_alu instid0(VALU_DEP_1) | instskip(NEXT) | instid1(VALU_DEP_1)
	v_sub_f32_e32 v24, v10, v11
	v_sub_f32_e32 v10, v10, v24
	s_delay_alu instid0(VALU_DEP_1) | instskip(NEXT) | instid1(VALU_DEP_1)
	v_sub_f32_e32 v10, v10, v11
	v_dual_add_f32 v5, v5, v10 :: v_dual_add_f32 v10, v23, v12
	v_sub_f32_e32 v22, v11, v22
	s_delay_alu instid0(VALU_DEP_1) | instskip(NEXT) | instid1(VALU_DEP_1)
	v_sub_f32_e32 v11, v22, v20
	v_add_f32_e32 v5, v11, v5
	s_delay_alu instid0(VALU_DEP_4) | instskip(NEXT) | instid1(VALU_DEP_2)
	v_sub_f32_e32 v11, v10, v23
	v_add_f32_e32 v5, v24, v5
	s_delay_alu instid0(VALU_DEP_2) | instskip(NEXT) | instid1(VALU_DEP_2)
	v_sub_f32_e32 v11, v12, v11
	v_mul_f32_e32 v5, v9, v5
	s_delay_alu instid0(VALU_DEP_1) | instskip(NEXT) | instid1(VALU_DEP_1)
	v_add_f32_e32 v5, v11, v5
	v_add_f32_e32 v9, v10, v5
	s_delay_alu instid0(VALU_DEP_1) | instskip(NEXT) | instid1(VALU_DEP_1)
	v_mul_f32_e32 v11, v9, v9
	v_fmaak_f32 v12, s6, v11, 0x3ecc95a3
	v_mul_f32_e32 v20, v9, v11
	v_cmp_gt_f32_e64 s6, 0x33800000, |v6|
	s_delay_alu instid0(VALU_DEP_3) | instskip(SKIP_2) | instid1(VALU_DEP_4)
	v_fmaak_f32 v11, v11, v12, 0x3f2aaada
	v_ldexp_f32 v12, v9, 1
	v_sub_f32_e32 v9, v9, v10
	s_or_b32 vcc_lo, vcc_lo, s6
	s_delay_alu instid0(VALU_DEP_3) | instskip(NEXT) | instid1(VALU_DEP_1)
	v_dual_mul_f32 v11, v20, v11 :: v_dual_mul_f32 v20, 0x3f317218, v4
	v_dual_sub_f32 v5, v5, v9 :: v_dual_add_f32 v10, v12, v11
	s_delay_alu instid0(VALU_DEP_1) | instskip(NEXT) | instid1(VALU_DEP_2)
	v_ldexp_f32 v5, v5, 1
	v_sub_f32_e32 v9, v10, v12
	s_delay_alu instid0(VALU_DEP_4) | instskip(NEXT) | instid1(VALU_DEP_1)
	v_fma_f32 v12, 0x3f317218, v4, -v20
	v_dual_sub_f32 v9, v11, v9 :: v_dual_fmamk_f32 v4, v4, 0xb102e308, v12
	s_delay_alu instid0(VALU_DEP_1) | instskip(NEXT) | instid1(VALU_DEP_2)
	v_add_f32_e32 v5, v5, v9
	v_add_f32_e32 v9, v20, v4
	s_delay_alu instid0(VALU_DEP_1) | instskip(NEXT) | instid1(VALU_DEP_1)
	v_dual_add_f32 v11, v10, v5 :: v_dual_sub_f32 v20, v9, v20
	v_sub_f32_e32 v10, v11, v10
	s_delay_alu instid0(VALU_DEP_1) | instskip(SKIP_1) | instid1(VALU_DEP_1)
	v_dual_sub_f32 v4, v4, v20 :: v_dual_sub_f32 v5, v5, v10
	v_add_f32_e32 v12, v9, v11
	v_sub_f32_e32 v22, v12, v9
	s_delay_alu instid0(VALU_DEP_1) | instskip(SKIP_1) | instid1(VALU_DEP_1)
	v_dual_sub_f32 v10, v11, v22 :: v_dual_add_f32 v11, v4, v5
	v_sub_f32_e32 v23, v12, v22
	v_sub_f32_e32 v9, v9, v23
	s_delay_alu instid0(VALU_DEP_1) | instskip(NEXT) | instid1(VALU_DEP_1)
	v_dual_add_f32 v9, v10, v9 :: v_dual_sub_f32 v10, v11, v4
	v_add_f32_e32 v9, v11, v9
	s_delay_alu instid0(VALU_DEP_2) | instskip(NEXT) | instid1(VALU_DEP_2)
	v_sub_f32_e32 v11, v11, v10
	v_dual_sub_f32 v5, v5, v10 :: v_dual_add_f32 v20, v12, v9
	s_delay_alu instid0(VALU_DEP_2) | instskip(NEXT) | instid1(VALU_DEP_2)
	v_sub_f32_e32 v4, v4, v11
	v_sub_f32_e32 v10, v20, v12
	s_delay_alu instid0(VALU_DEP_2) | instskip(NEXT) | instid1(VALU_DEP_2)
	v_add_f32_e32 v4, v5, v4
	v_sub_f32_e32 v5, v9, v10
	s_delay_alu instid0(VALU_DEP_1) | instskip(NEXT) | instid1(VALU_DEP_1)
	v_add_f32_e32 v4, v4, v5
	v_add_f32_e32 v4, v20, v4
	s_delay_alu instid0(VALU_DEP_1) | instskip(NEXT) | instid1(VALU_DEP_1)
	v_cndmask_b32_e32 v4, v4, v6, vcc_lo
	v_add_f32_e32 v22, v3, v4
.LBB145_14:
	s_or_b32 exec_lo, exec_lo, s4
	s_delay_alu instid0(VALU_DEP_1) | instskip(SKIP_2) | instid1(VALU_DEP_3)
	v_dual_max_f32 v20, v8, v8 :: v_dual_max_f32 v3, v22, v22
	v_cmp_u_f32_e32 vcc_lo, v22, v22
	v_cmp_u_f32_e64 s4, v8, v8
	v_min_f32_e32 v4, v3, v20
	s_delay_alu instid0(VALU_DEP_1) | instskip(NEXT) | instid1(VALU_DEP_1)
	v_dual_max_f32 v3, v3, v20 :: v_dual_cndmask_b32 v4, v4, v22
	v_cndmask_b32_e32 v3, v3, v22, vcc_lo
	s_delay_alu instid0(VALU_DEP_2) | instskip(NEXT) | instid1(VALU_DEP_2)
	v_cndmask_b32_e64 v4, v4, v8, s4
	v_cndmask_b32_e64 v3, v3, v8, s4
	s_delay_alu instid0(VALU_DEP_2) | instskip(NEXT) | instid1(VALU_DEP_2)
	v_cmp_class_f32_e64 s6, v4, 0x1f8
	v_cmp_neq_f32_e32 vcc_lo, v4, v3
	s_delay_alu instid0(VALU_DEP_2) | instskip(NEXT) | instid1(SALU_CYCLE_1)
	s_or_b32 s7, vcc_lo, s6
	s_and_saveexec_b32 s6, s7
	s_cbranch_execz .LBB145_16
; %bb.15:
	v_sub_f32_e32 v4, v4, v3
	s_mov_b32 s7, 0x3e9b6dac
	s_delay_alu instid0(VALU_DEP_1) | instskip(NEXT) | instid1(VALU_DEP_1)
	v_mul_f32_e32 v5, 0x3fb8aa3b, v4
	v_fma_f32 v6, 0x3fb8aa3b, v4, -v5
	v_rndne_f32_e32 v9, v5
	s_delay_alu instid0(VALU_DEP_1) | instskip(SKIP_1) | instid1(VALU_DEP_4)
	v_sub_f32_e32 v5, v5, v9
	v_cmp_ngt_f32_e32 vcc_lo, 0xc2ce8ed0, v4
	v_fmamk_f32 v6, v4, 0x32a5705f, v6
	s_delay_alu instid0(VALU_DEP_1) | instskip(SKIP_1) | instid1(VALU_DEP_2)
	v_add_f32_e32 v5, v5, v6
	v_cvt_i32_f32_e32 v6, v9
	v_exp_f32_e32 v5, v5
	s_waitcnt_depctr 0xfff
	v_ldexp_f32 v5, v5, v6
	s_delay_alu instid0(VALU_DEP_1) | instskip(SKIP_1) | instid1(VALU_DEP_2)
	v_cndmask_b32_e32 v5, 0, v5, vcc_lo
	v_cmp_nlt_f32_e32 vcc_lo, 0x42b17218, v4
	v_cndmask_b32_e32 v6, 0x7f800000, v5, vcc_lo
	s_delay_alu instid0(VALU_DEP_1) | instskip(NEXT) | instid1(VALU_DEP_1)
	v_add_f32_e32 v9, 1.0, v6
	v_cvt_f64_f32_e32 v[4:5], v9
	s_delay_alu instid0(VALU_DEP_1) | instskip(SKIP_1) | instid1(VALU_DEP_1)
	v_frexp_exp_i32_f64_e32 v4, v[4:5]
	v_frexp_mant_f32_e32 v5, v9
	v_cmp_gt_f32_e32 vcc_lo, 0x3f2aaaab, v5
	v_add_f32_e32 v5, -1.0, v9
	s_delay_alu instid0(VALU_DEP_1) | instskip(NEXT) | instid1(VALU_DEP_1)
	v_sub_f32_e32 v11, v5, v9
	v_add_f32_e32 v11, 1.0, v11
	v_sub_f32_e32 v5, v6, v5
	s_delay_alu instid0(VALU_DEP_1) | instskip(SKIP_2) | instid1(VALU_DEP_2)
	v_add_f32_e32 v5, v5, v11
	v_subrev_co_ci_u32_e32 v4, vcc_lo, 0, v4, vcc_lo
	v_cmp_eq_f32_e32 vcc_lo, 0x7f800000, v6
	v_sub_nc_u32_e32 v10, 0, v4
	v_cvt_f32_i32_e32 v4, v4
	s_delay_alu instid0(VALU_DEP_2) | instskip(SKIP_1) | instid1(VALU_DEP_2)
	v_ldexp_f32 v9, v9, v10
	v_ldexp_f32 v5, v5, v10
	v_add_f32_e32 v12, 1.0, v9
	s_delay_alu instid0(VALU_DEP_1) | instskip(NEXT) | instid1(VALU_DEP_1)
	v_dual_add_f32 v10, -1.0, v9 :: v_dual_add_f32 v11, -1.0, v12
	v_dual_add_f32 v22, 1.0, v10 :: v_dual_sub_f32 v11, v9, v11
	s_delay_alu instid0(VALU_DEP_1) | instskip(NEXT) | instid1(VALU_DEP_2)
	v_sub_f32_e32 v9, v9, v22
	v_add_f32_e32 v11, v5, v11
	s_delay_alu instid0(VALU_DEP_1) | instskip(NEXT) | instid1(VALU_DEP_1)
	v_add_f32_e32 v22, v12, v11
	v_sub_f32_e32 v12, v12, v22
	s_delay_alu instid0(VALU_DEP_1) | instskip(SKIP_2) | instid1(VALU_DEP_1)
	v_add_f32_e32 v11, v11, v12
	v_add_f32_e32 v5, v5, v9
	v_rcp_f32_e32 v9, v22
	v_add_f32_e32 v23, v10, v5
	s_waitcnt_depctr 0xfff
	v_mul_f32_e32 v24, v23, v9
	s_delay_alu instid0(VALU_DEP_1) | instskip(NEXT) | instid1(VALU_DEP_1)
	v_mul_f32_e32 v25, v22, v24
	v_fma_f32 v12, v24, v22, -v25
	s_delay_alu instid0(VALU_DEP_1) | instskip(NEXT) | instid1(VALU_DEP_1)
	v_fmac_f32_e32 v12, v24, v11
	v_add_f32_e32 v26, v25, v12
	s_delay_alu instid0(VALU_DEP_1) | instskip(NEXT) | instid1(VALU_DEP_1)
	v_dual_sub_f32 v10, v10, v23 :: v_dual_sub_f32 v27, v23, v26
	v_dual_add_f32 v5, v5, v10 :: v_dual_sub_f32 v10, v26, v25
	s_delay_alu instid0(VALU_DEP_1) | instskip(NEXT) | instid1(VALU_DEP_1)
	v_dual_sub_f32 v23, v23, v27 :: v_dual_sub_f32 v10, v10, v12
	v_sub_f32_e32 v23, v23, v26
	s_delay_alu instid0(VALU_DEP_1) | instskip(NEXT) | instid1(VALU_DEP_1)
	v_add_f32_e32 v5, v5, v23
	v_add_f32_e32 v5, v10, v5
	s_delay_alu instid0(VALU_DEP_1) | instskip(NEXT) | instid1(VALU_DEP_1)
	v_add_f32_e32 v10, v27, v5
	v_mul_f32_e32 v12, v9, v10
	s_delay_alu instid0(VALU_DEP_1) | instskip(NEXT) | instid1(VALU_DEP_1)
	v_dual_sub_f32 v26, v27, v10 :: v_dual_mul_f32 v23, v22, v12
	v_add_f32_e32 v5, v5, v26
	s_delay_alu instid0(VALU_DEP_2) | instskip(NEXT) | instid1(VALU_DEP_1)
	v_fma_f32 v22, v12, v22, -v23
	v_fmac_f32_e32 v22, v12, v11
	s_delay_alu instid0(VALU_DEP_1) | instskip(NEXT) | instid1(VALU_DEP_1)
	v_add_f32_e32 v11, v23, v22
	v_sub_f32_e32 v25, v10, v11
	s_delay_alu instid0(VALU_DEP_1) | instskip(NEXT) | instid1(VALU_DEP_1)
	v_dual_sub_f32 v23, v11, v23 :: v_dual_sub_f32 v10, v10, v25
	v_dual_sub_f32 v10, v10, v11 :: v_dual_sub_f32 v11, v23, v22
	s_delay_alu instid0(VALU_DEP_1) | instskip(NEXT) | instid1(VALU_DEP_1)
	v_dual_add_f32 v5, v5, v10 :: v_dual_add_f32 v10, v24, v12
	v_add_f32_e32 v5, v11, v5
	s_delay_alu instid0(VALU_DEP_2) | instskip(NEXT) | instid1(VALU_DEP_2)
	v_sub_f32_e32 v11, v10, v24
	v_add_f32_e32 v5, v25, v5
	s_delay_alu instid0(VALU_DEP_2) | instskip(NEXT) | instid1(VALU_DEP_2)
	v_sub_f32_e32 v11, v12, v11
	v_mul_f32_e32 v5, v9, v5
	s_delay_alu instid0(VALU_DEP_1) | instskip(NEXT) | instid1(VALU_DEP_1)
	v_add_f32_e32 v5, v11, v5
	v_add_f32_e32 v9, v10, v5
	s_delay_alu instid0(VALU_DEP_1) | instskip(NEXT) | instid1(VALU_DEP_1)
	v_mul_f32_e32 v11, v9, v9
	v_fmaak_f32 v12, s7, v11, 0x3ecc95a3
	v_cmp_gt_f32_e64 s7, 0x33800000, |v6|
	v_mul_f32_e32 v22, v9, v11
	s_delay_alu instid0(VALU_DEP_2) | instskip(NEXT) | instid1(VALU_DEP_3)
	s_or_b32 vcc_lo, vcc_lo, s7
	v_fmaak_f32 v11, v11, v12, 0x3f2aaada
	v_ldexp_f32 v12, v9, 1
	v_sub_f32_e32 v9, v9, v10
	s_delay_alu instid0(VALU_DEP_3) | instskip(NEXT) | instid1(VALU_DEP_1)
	v_dual_mul_f32 v11, v22, v11 :: v_dual_mul_f32 v22, 0x3f317218, v4
	v_dual_sub_f32 v5, v5, v9 :: v_dual_add_f32 v10, v12, v11
	s_delay_alu instid0(VALU_DEP_1) | instskip(NEXT) | instid1(VALU_DEP_2)
	v_ldexp_f32 v5, v5, 1
	v_sub_f32_e32 v9, v10, v12
	s_delay_alu instid0(VALU_DEP_4) | instskip(NEXT) | instid1(VALU_DEP_1)
	v_fma_f32 v12, 0x3f317218, v4, -v22
	v_dual_sub_f32 v9, v11, v9 :: v_dual_fmamk_f32 v4, v4, 0xb102e308, v12
	s_delay_alu instid0(VALU_DEP_1) | instskip(NEXT) | instid1(VALU_DEP_2)
	v_add_f32_e32 v5, v5, v9
	v_add_f32_e32 v9, v22, v4
	s_delay_alu instid0(VALU_DEP_1) | instskip(NEXT) | instid1(VALU_DEP_1)
	v_dual_add_f32 v11, v10, v5 :: v_dual_sub_f32 v22, v9, v22
	v_add_f32_e32 v12, v9, v11
	v_sub_f32_e32 v10, v11, v10
	s_delay_alu instid0(VALU_DEP_3) | instskip(NEXT) | instid1(VALU_DEP_3)
	v_sub_f32_e32 v4, v4, v22
	v_sub_f32_e32 v23, v12, v9
	s_delay_alu instid0(VALU_DEP_1) | instskip(NEXT) | instid1(VALU_DEP_1)
	v_dual_sub_f32 v5, v5, v10 :: v_dual_sub_f32 v24, v12, v23
	v_dual_sub_f32 v10, v11, v23 :: v_dual_add_f32 v11, v4, v5
	s_delay_alu instid0(VALU_DEP_2) | instskip(NEXT) | instid1(VALU_DEP_1)
	v_sub_f32_e32 v9, v9, v24
	v_dual_add_f32 v9, v10, v9 :: v_dual_sub_f32 v10, v11, v4
	s_delay_alu instid0(VALU_DEP_1) | instskip(NEXT) | instid1(VALU_DEP_2)
	v_add_f32_e32 v9, v11, v9
	v_sub_f32_e32 v11, v11, v10
	s_delay_alu instid0(VALU_DEP_2) | instskip(NEXT) | instid1(VALU_DEP_2)
	v_dual_sub_f32 v5, v5, v10 :: v_dual_add_f32 v22, v12, v9
	v_sub_f32_e32 v4, v4, v11
	s_delay_alu instid0(VALU_DEP_2) | instskip(NEXT) | instid1(VALU_DEP_2)
	v_sub_f32_e32 v10, v22, v12
	v_add_f32_e32 v4, v5, v4
	s_delay_alu instid0(VALU_DEP_2) | instskip(NEXT) | instid1(VALU_DEP_1)
	v_sub_f32_e32 v5, v9, v10
	v_add_f32_e32 v4, v4, v5
	s_delay_alu instid0(VALU_DEP_1) | instskip(NEXT) | instid1(VALU_DEP_1)
	v_add_f32_e32 v4, v22, v4
	v_cndmask_b32_e32 v4, v4, v6, vcc_lo
	s_delay_alu instid0(VALU_DEP_1)
	v_add_f32_e32 v22, v3, v4
.LBB145_16:
	s_or_b32 exec_lo, exec_lo, s6
	v_lshrrev_b32_e32 v3, 5, v0
	v_cmp_gt_u32_e32 vcc_lo, 32, v0
	s_delay_alu instid0(VALU_DEP_2)
	v_add_lshl_u32 v3, v3, v0, 2
	ds_store_b32 v3, v22
	s_waitcnt lgkmcnt(0)
	s_barrier
	buffer_gl0_inv
	s_and_saveexec_b32 s8, vcc_lo
	s_cbranch_execz .LBB145_68
; %bb.17:
	v_and_b32_e32 v3, 0xfc, v0
	s_delay_alu instid0(VALU_DEP_1)
	v_lshl_or_b32 v5, v0, 5, v3
	ds_load_2addr_b32 v[3:4], v5 offset1:1
	s_waitcnt lgkmcnt(0)
	v_dual_max_f32 v9, v4, v4 :: v_dual_max_f32 v6, v3, v3
	v_cmp_u_f32_e64 s6, v3, v3
	v_cmp_u_f32_e64 s7, v4, v4
	s_delay_alu instid0(VALU_DEP_3) | instskip(SKIP_1) | instid1(VALU_DEP_2)
	v_min_f32_e32 v10, v6, v9
	v_max_f32_e32 v9, v6, v9
	v_cndmask_b32_e64 v10, v10, v3, s6
	s_delay_alu instid0(VALU_DEP_2) | instskip(NEXT) | instid1(VALU_DEP_2)
	v_cndmask_b32_e64 v11, v9, v3, s6
	v_cndmask_b32_e64 v9, v10, v4, s7
	v_mov_b32_e32 v10, v3
	s_delay_alu instid0(VALU_DEP_3) | instskip(NEXT) | instid1(VALU_DEP_3)
	v_cndmask_b32_e64 v4, v11, v4, s7
	v_cmp_class_f32_e64 s9, v9, 0x1f8
	s_delay_alu instid0(VALU_DEP_2) | instskip(NEXT) | instid1(VALU_DEP_1)
	v_cmp_neq_f32_e64 s7, v9, v4
	s_or_b32 s7, s7, s9
	s_delay_alu instid0(SALU_CYCLE_1)
	s_and_saveexec_b32 s9, s7
	s_cbranch_execz .LBB145_19
; %bb.18:
	v_sub_f32_e32 v9, v9, v4
	s_delay_alu instid0(VALU_DEP_1) | instskip(NEXT) | instid1(VALU_DEP_1)
	v_mul_f32_e32 v10, 0x3fb8aa3b, v9
	v_fma_f32 v11, 0x3fb8aa3b, v9, -v10
	v_rndne_f32_e32 v12, v10
	s_delay_alu instid0(VALU_DEP_1) | instskip(NEXT) | instid1(VALU_DEP_1)
	v_dual_fmamk_f32 v11, v9, 0x32a5705f, v11 :: v_dual_sub_f32 v10, v10, v12
	v_add_f32_e32 v10, v10, v11
	v_cvt_i32_f32_e32 v11, v12
	v_cmp_ngt_f32_e64 s7, 0xc2ce8ed0, v9
	s_delay_alu instid0(VALU_DEP_3) | instskip(SKIP_2) | instid1(VALU_DEP_1)
	v_exp_f32_e32 v10, v10
	s_waitcnt_depctr 0xfff
	v_ldexp_f32 v10, v10, v11
	v_cndmask_b32_e64 v10, 0, v10, s7
	v_cmp_nlt_f32_e64 s7, 0x42b17218, v9
	s_delay_alu instid0(VALU_DEP_1) | instskip(NEXT) | instid1(VALU_DEP_1)
	v_cndmask_b32_e64 v11, 0x7f800000, v10, s7
	v_add_f32_e32 v12, 1.0, v11
	v_cmp_gt_f32_e64 s10, 0x33800000, |v11|
	s_delay_alu instid0(VALU_DEP_2) | instskip(NEXT) | instid1(VALU_DEP_1)
	v_cvt_f64_f32_e32 v[9:10], v12
	v_frexp_exp_i32_f64_e32 v9, v[9:10]
	v_frexp_mant_f32_e32 v10, v12
	s_delay_alu instid0(VALU_DEP_1) | instskip(SKIP_1) | instid1(VALU_DEP_1)
	v_cmp_gt_f32_e64 s7, 0x3f2aaaab, v10
	v_add_f32_e32 v10, -1.0, v12
	v_sub_f32_e32 v24, v10, v12
	s_delay_alu instid0(VALU_DEP_1) | instskip(NEXT) | instid1(VALU_DEP_4)
	v_add_f32_e32 v24, 1.0, v24
	v_subrev_co_ci_u32_e64 v9, s7, 0, v9, s7
	s_mov_b32 s7, 0x3e9b6dac
	s_delay_alu instid0(VALU_DEP_1) | instskip(SKIP_1) | instid1(VALU_DEP_2)
	v_sub_nc_u32_e32 v23, 0, v9
	v_cvt_f32_i32_e32 v9, v9
	v_ldexp_f32 v12, v12, v23
	s_delay_alu instid0(VALU_DEP_1) | instskip(NEXT) | instid1(VALU_DEP_1)
	v_dual_sub_f32 v10, v11, v10 :: v_dual_add_f32 v25, 1.0, v12
	v_add_f32_e32 v10, v10, v24
	s_delay_alu instid0(VALU_DEP_2) | instskip(NEXT) | instid1(VALU_DEP_2)
	v_add_f32_e32 v24, -1.0, v25
	v_ldexp_f32 v10, v10, v23
	v_add_f32_e32 v23, -1.0, v12
	s_delay_alu instid0(VALU_DEP_3) | instskip(NEXT) | instid1(VALU_DEP_2)
	v_sub_f32_e32 v24, v12, v24
	v_add_f32_e32 v26, 1.0, v23
	s_delay_alu instid0(VALU_DEP_2) | instskip(NEXT) | instid1(VALU_DEP_2)
	v_add_f32_e32 v24, v10, v24
	v_sub_f32_e32 v12, v12, v26
	s_delay_alu instid0(VALU_DEP_2) | instskip(NEXT) | instid1(VALU_DEP_2)
	v_add_f32_e32 v26, v25, v24
	v_add_f32_e32 v10, v10, v12
	s_delay_alu instid0(VALU_DEP_2) | instskip(SKIP_1) | instid1(VALU_DEP_1)
	v_rcp_f32_e32 v12, v26
	v_sub_f32_e32 v25, v25, v26
	v_dual_add_f32 v27, v23, v10 :: v_dual_add_f32 v24, v24, v25
	s_delay_alu instid0(VALU_DEP_1) | instskip(SKIP_3) | instid1(VALU_DEP_2)
	v_sub_f32_e32 v23, v23, v27
	s_waitcnt_depctr 0xfff
	v_mul_f32_e32 v28, v27, v12
	v_add_f32_e32 v10, v10, v23
	v_mul_f32_e32 v29, v26, v28
	s_delay_alu instid0(VALU_DEP_1) | instskip(NEXT) | instid1(VALU_DEP_1)
	v_fma_f32 v25, v28, v26, -v29
	v_fmac_f32_e32 v25, v28, v24
	s_delay_alu instid0(VALU_DEP_1) | instskip(NEXT) | instid1(VALU_DEP_1)
	v_add_f32_e32 v30, v29, v25
	v_sub_f32_e32 v31, v27, v30
	v_sub_f32_e32 v23, v30, v29
	s_delay_alu instid0(VALU_DEP_2) | instskip(NEXT) | instid1(VALU_DEP_2)
	v_sub_f32_e32 v27, v27, v31
	v_sub_f32_e32 v23, v23, v25
	s_delay_alu instid0(VALU_DEP_2) | instskip(NEXT) | instid1(VALU_DEP_1)
	v_sub_f32_e32 v27, v27, v30
	v_add_f32_e32 v10, v10, v27
	s_delay_alu instid0(VALU_DEP_1) | instskip(NEXT) | instid1(VALU_DEP_1)
	v_add_f32_e32 v10, v23, v10
	v_add_f32_e32 v23, v31, v10
	s_delay_alu instid0(VALU_DEP_1) | instskip(NEXT) | instid1(VALU_DEP_1)
	v_mul_f32_e32 v25, v12, v23
	v_dual_sub_f32 v30, v31, v23 :: v_dual_mul_f32 v27, v26, v25
	s_delay_alu instid0(VALU_DEP_1) | instskip(NEXT) | instid1(VALU_DEP_1)
	v_fma_f32 v26, v25, v26, -v27
	v_fmac_f32_e32 v26, v25, v24
	s_delay_alu instid0(VALU_DEP_1) | instskip(NEXT) | instid1(VALU_DEP_1)
	v_add_f32_e32 v24, v27, v26
	v_sub_f32_e32 v29, v23, v24
	v_dual_sub_f32 v27, v24, v27 :: v_dual_add_f32 v10, v10, v30
	s_delay_alu instid0(VALU_DEP_2) | instskip(NEXT) | instid1(VALU_DEP_1)
	v_sub_f32_e32 v23, v23, v29
	v_sub_f32_e32 v23, v23, v24
	s_delay_alu instid0(VALU_DEP_1) | instskip(NEXT) | instid1(VALU_DEP_4)
	v_dual_add_f32 v10, v10, v23 :: v_dual_add_f32 v23, v28, v25
	v_sub_f32_e32 v24, v27, v26
	s_delay_alu instid0(VALU_DEP_1) | instskip(NEXT) | instid1(VALU_DEP_3)
	v_add_f32_e32 v10, v24, v10
	v_sub_f32_e32 v24, v23, v28
	s_delay_alu instid0(VALU_DEP_2) | instskip(NEXT) | instid1(VALU_DEP_2)
	v_add_f32_e32 v10, v29, v10
	v_sub_f32_e32 v24, v25, v24
	s_delay_alu instid0(VALU_DEP_2) | instskip(NEXT) | instid1(VALU_DEP_1)
	v_mul_f32_e32 v10, v12, v10
	v_add_f32_e32 v10, v24, v10
	s_delay_alu instid0(VALU_DEP_1) | instskip(NEXT) | instid1(VALU_DEP_1)
	v_add_f32_e32 v12, v23, v10
	v_mul_f32_e32 v24, v12, v12
	s_delay_alu instid0(VALU_DEP_1) | instskip(SKIP_2) | instid1(VALU_DEP_3)
	v_fmaak_f32 v25, s7, v24, 0x3ecc95a3
	v_mul_f32_e32 v26, v12, v24
	v_cmp_eq_f32_e64 s7, 0x7f800000, v11
	v_fmaak_f32 v24, v24, v25, 0x3f2aaada
	v_ldexp_f32 v25, v12, 1
	v_sub_f32_e32 v12, v12, v23
	s_delay_alu instid0(VALU_DEP_4) | instskip(NEXT) | instid1(VALU_DEP_3)
	s_or_b32 s7, s7, s10
	v_mul_f32_e32 v24, v26, v24
	v_mul_f32_e32 v26, 0x3f317218, v9
	s_delay_alu instid0(VALU_DEP_3) | instskip(NEXT) | instid1(VALU_DEP_3)
	v_sub_f32_e32 v10, v10, v12
	v_add_f32_e32 v23, v25, v24
	s_delay_alu instid0(VALU_DEP_2) | instskip(NEXT) | instid1(VALU_DEP_2)
	v_ldexp_f32 v10, v10, 1
	v_sub_f32_e32 v12, v23, v25
	v_fma_f32 v25, 0x3f317218, v9, -v26
	s_delay_alu instid0(VALU_DEP_1) | instskip(NEXT) | instid1(VALU_DEP_1)
	v_dual_sub_f32 v12, v24, v12 :: v_dual_fmamk_f32 v9, v9, 0xb102e308, v25
	v_add_f32_e32 v10, v10, v12
	s_delay_alu instid0(VALU_DEP_2) | instskip(NEXT) | instid1(VALU_DEP_2)
	v_add_f32_e32 v12, v26, v9
	v_add_f32_e32 v24, v23, v10
	s_delay_alu instid0(VALU_DEP_2) | instskip(NEXT) | instid1(VALU_DEP_2)
	v_sub_f32_e32 v26, v12, v26
	v_add_f32_e32 v25, v12, v24
	v_sub_f32_e32 v23, v24, v23
	s_delay_alu instid0(VALU_DEP_3) | instskip(NEXT) | instid1(VALU_DEP_2)
	v_sub_f32_e32 v9, v9, v26
	v_dual_sub_f32 v27, v25, v12 :: v_dual_sub_f32 v10, v10, v23
	s_delay_alu instid0(VALU_DEP_1) | instskip(NEXT) | instid1(VALU_DEP_2)
	v_sub_f32_e32 v28, v25, v27
	v_dual_sub_f32 v23, v24, v27 :: v_dual_add_f32 v24, v9, v10
	s_delay_alu instid0(VALU_DEP_2) | instskip(NEXT) | instid1(VALU_DEP_1)
	v_sub_f32_e32 v12, v12, v28
	v_dual_add_f32 v12, v23, v12 :: v_dual_sub_f32 v23, v24, v9
	s_delay_alu instid0(VALU_DEP_1) | instskip(NEXT) | instid1(VALU_DEP_2)
	v_add_f32_e32 v12, v24, v12
	v_sub_f32_e32 v24, v24, v23
	v_sub_f32_e32 v10, v10, v23
	s_delay_alu instid0(VALU_DEP_3) | instskip(NEXT) | instid1(VALU_DEP_3)
	v_add_f32_e32 v26, v25, v12
	v_sub_f32_e32 v9, v9, v24
	s_delay_alu instid0(VALU_DEP_2) | instskip(NEXT) | instid1(VALU_DEP_1)
	v_sub_f32_e32 v23, v26, v25
	v_dual_add_f32 v9, v10, v9 :: v_dual_sub_f32 v10, v12, v23
	s_delay_alu instid0(VALU_DEP_1) | instskip(NEXT) | instid1(VALU_DEP_1)
	v_add_f32_e32 v9, v9, v10
	v_add_f32_e32 v9, v26, v9
	s_delay_alu instid0(VALU_DEP_1) | instskip(NEXT) | instid1(VALU_DEP_1)
	v_cndmask_b32_e64 v9, v9, v11, s7
	v_add_f32_e32 v10, v4, v9
.LBB145_19:
	s_or_b32 exec_lo, exec_lo, s9
	ds_load_b32 v4, v5 offset:8
	v_max_f32_e32 v9, v10, v10
	v_cmp_u_f32_e64 s7, v10, v10
	s_waitcnt lgkmcnt(0)
	v_max_f32_e32 v11, v4, v4
	s_delay_alu instid0(VALU_DEP_1) | instskip(SKIP_1) | instid1(VALU_DEP_2)
	v_min_f32_e32 v12, v9, v11
	v_max_f32_e32 v9, v9, v11
	v_cndmask_b32_e64 v11, v12, v10, s7
	s_delay_alu instid0(VALU_DEP_2) | instskip(SKIP_1) | instid1(VALU_DEP_1)
	v_cndmask_b32_e64 v12, v9, v10, s7
	v_cmp_u_f32_e64 s7, v4, v4
	v_cndmask_b32_e64 v9, v11, v4, s7
	s_delay_alu instid0(VALU_DEP_3) | instskip(NEXT) | instid1(VALU_DEP_2)
	v_cndmask_b32_e64 v4, v12, v4, s7
	v_cmp_class_f32_e64 s9, v9, 0x1f8
	s_delay_alu instid0(VALU_DEP_2) | instskip(NEXT) | instid1(VALU_DEP_1)
	v_cmp_neq_f32_e64 s7, v9, v4
	s_or_b32 s7, s7, s9
	s_delay_alu instid0(SALU_CYCLE_1)
	s_and_saveexec_b32 s9, s7
	s_cbranch_execz .LBB145_21
; %bb.20:
	v_sub_f32_e32 v9, v9, v4
	s_delay_alu instid0(VALU_DEP_1) | instskip(NEXT) | instid1(VALU_DEP_1)
	v_mul_f32_e32 v10, 0x3fb8aa3b, v9
	v_fma_f32 v11, 0x3fb8aa3b, v9, -v10
	v_rndne_f32_e32 v12, v10
	s_delay_alu instid0(VALU_DEP_1) | instskip(NEXT) | instid1(VALU_DEP_1)
	v_dual_fmamk_f32 v11, v9, 0x32a5705f, v11 :: v_dual_sub_f32 v10, v10, v12
	v_add_f32_e32 v10, v10, v11
	v_cvt_i32_f32_e32 v11, v12
	v_cmp_ngt_f32_e64 s7, 0xc2ce8ed0, v9
	s_delay_alu instid0(VALU_DEP_3) | instskip(SKIP_2) | instid1(VALU_DEP_1)
	v_exp_f32_e32 v10, v10
	s_waitcnt_depctr 0xfff
	v_ldexp_f32 v10, v10, v11
	v_cndmask_b32_e64 v10, 0, v10, s7
	v_cmp_nlt_f32_e64 s7, 0x42b17218, v9
	s_delay_alu instid0(VALU_DEP_1) | instskip(NEXT) | instid1(VALU_DEP_1)
	v_cndmask_b32_e64 v11, 0x7f800000, v10, s7
	v_add_f32_e32 v12, 1.0, v11
	v_cmp_gt_f32_e64 s10, 0x33800000, |v11|
	s_delay_alu instid0(VALU_DEP_2) | instskip(NEXT) | instid1(VALU_DEP_1)
	v_cvt_f64_f32_e32 v[9:10], v12
	v_frexp_exp_i32_f64_e32 v9, v[9:10]
	v_frexp_mant_f32_e32 v10, v12
	s_delay_alu instid0(VALU_DEP_1) | instskip(SKIP_1) | instid1(VALU_DEP_1)
	v_cmp_gt_f32_e64 s7, 0x3f2aaaab, v10
	v_add_f32_e32 v10, -1.0, v12
	v_sub_f32_e32 v24, v10, v12
	s_delay_alu instid0(VALU_DEP_1) | instskip(NEXT) | instid1(VALU_DEP_4)
	v_add_f32_e32 v24, 1.0, v24
	v_subrev_co_ci_u32_e64 v9, s7, 0, v9, s7
	s_mov_b32 s7, 0x3e9b6dac
	s_delay_alu instid0(VALU_DEP_1) | instskip(SKIP_1) | instid1(VALU_DEP_2)
	v_sub_nc_u32_e32 v23, 0, v9
	v_cvt_f32_i32_e32 v9, v9
	v_ldexp_f32 v12, v12, v23
	s_delay_alu instid0(VALU_DEP_1) | instskip(NEXT) | instid1(VALU_DEP_1)
	v_dual_sub_f32 v10, v11, v10 :: v_dual_add_f32 v25, 1.0, v12
	v_add_f32_e32 v10, v10, v24
	s_delay_alu instid0(VALU_DEP_2) | instskip(NEXT) | instid1(VALU_DEP_2)
	v_add_f32_e32 v24, -1.0, v25
	v_ldexp_f32 v10, v10, v23
	v_add_f32_e32 v23, -1.0, v12
	s_delay_alu instid0(VALU_DEP_3) | instskip(NEXT) | instid1(VALU_DEP_2)
	v_sub_f32_e32 v24, v12, v24
	v_add_f32_e32 v26, 1.0, v23
	s_delay_alu instid0(VALU_DEP_2) | instskip(NEXT) | instid1(VALU_DEP_2)
	v_add_f32_e32 v24, v10, v24
	v_sub_f32_e32 v12, v12, v26
	s_delay_alu instid0(VALU_DEP_2) | instskip(NEXT) | instid1(VALU_DEP_2)
	v_add_f32_e32 v26, v25, v24
	v_add_f32_e32 v10, v10, v12
	s_delay_alu instid0(VALU_DEP_2) | instskip(SKIP_1) | instid1(VALU_DEP_1)
	v_rcp_f32_e32 v12, v26
	v_sub_f32_e32 v25, v25, v26
	v_dual_add_f32 v27, v23, v10 :: v_dual_add_f32 v24, v24, v25
	s_delay_alu instid0(VALU_DEP_1) | instskip(SKIP_3) | instid1(VALU_DEP_2)
	v_sub_f32_e32 v23, v23, v27
	s_waitcnt_depctr 0xfff
	v_mul_f32_e32 v28, v27, v12
	v_add_f32_e32 v10, v10, v23
	v_mul_f32_e32 v29, v26, v28
	s_delay_alu instid0(VALU_DEP_1) | instskip(NEXT) | instid1(VALU_DEP_1)
	v_fma_f32 v25, v28, v26, -v29
	v_fmac_f32_e32 v25, v28, v24
	s_delay_alu instid0(VALU_DEP_1) | instskip(NEXT) | instid1(VALU_DEP_1)
	v_add_f32_e32 v30, v29, v25
	v_sub_f32_e32 v31, v27, v30
	v_sub_f32_e32 v23, v30, v29
	s_delay_alu instid0(VALU_DEP_2) | instskip(NEXT) | instid1(VALU_DEP_2)
	v_sub_f32_e32 v27, v27, v31
	v_sub_f32_e32 v23, v23, v25
	s_delay_alu instid0(VALU_DEP_2) | instskip(NEXT) | instid1(VALU_DEP_1)
	v_sub_f32_e32 v27, v27, v30
	v_add_f32_e32 v10, v10, v27
	s_delay_alu instid0(VALU_DEP_1) | instskip(NEXT) | instid1(VALU_DEP_1)
	v_add_f32_e32 v10, v23, v10
	v_add_f32_e32 v23, v31, v10
	s_delay_alu instid0(VALU_DEP_1) | instskip(NEXT) | instid1(VALU_DEP_1)
	v_mul_f32_e32 v25, v12, v23
	v_dual_sub_f32 v30, v31, v23 :: v_dual_mul_f32 v27, v26, v25
	s_delay_alu instid0(VALU_DEP_1) | instskip(NEXT) | instid1(VALU_DEP_1)
	v_fma_f32 v26, v25, v26, -v27
	v_fmac_f32_e32 v26, v25, v24
	s_delay_alu instid0(VALU_DEP_1) | instskip(NEXT) | instid1(VALU_DEP_1)
	v_add_f32_e32 v24, v27, v26
	v_sub_f32_e32 v29, v23, v24
	v_dual_sub_f32 v27, v24, v27 :: v_dual_add_f32 v10, v10, v30
	s_delay_alu instid0(VALU_DEP_2) | instskip(NEXT) | instid1(VALU_DEP_1)
	v_sub_f32_e32 v23, v23, v29
	v_sub_f32_e32 v23, v23, v24
	s_delay_alu instid0(VALU_DEP_1) | instskip(NEXT) | instid1(VALU_DEP_4)
	v_dual_add_f32 v10, v10, v23 :: v_dual_add_f32 v23, v28, v25
	v_sub_f32_e32 v24, v27, v26
	s_delay_alu instid0(VALU_DEP_1) | instskip(NEXT) | instid1(VALU_DEP_3)
	v_add_f32_e32 v10, v24, v10
	v_sub_f32_e32 v24, v23, v28
	s_delay_alu instid0(VALU_DEP_2) | instskip(NEXT) | instid1(VALU_DEP_2)
	v_add_f32_e32 v10, v29, v10
	v_sub_f32_e32 v24, v25, v24
	s_delay_alu instid0(VALU_DEP_2) | instskip(NEXT) | instid1(VALU_DEP_1)
	v_mul_f32_e32 v10, v12, v10
	v_add_f32_e32 v10, v24, v10
	s_delay_alu instid0(VALU_DEP_1) | instskip(NEXT) | instid1(VALU_DEP_1)
	v_add_f32_e32 v12, v23, v10
	v_mul_f32_e32 v24, v12, v12
	s_delay_alu instid0(VALU_DEP_1) | instskip(SKIP_2) | instid1(VALU_DEP_3)
	v_fmaak_f32 v25, s7, v24, 0x3ecc95a3
	v_mul_f32_e32 v26, v12, v24
	v_cmp_eq_f32_e64 s7, 0x7f800000, v11
	v_fmaak_f32 v24, v24, v25, 0x3f2aaada
	v_ldexp_f32 v25, v12, 1
	v_sub_f32_e32 v12, v12, v23
	s_delay_alu instid0(VALU_DEP_4) | instskip(NEXT) | instid1(VALU_DEP_3)
	s_or_b32 s7, s7, s10
	v_mul_f32_e32 v24, v26, v24
	v_mul_f32_e32 v26, 0x3f317218, v9
	s_delay_alu instid0(VALU_DEP_3) | instskip(NEXT) | instid1(VALU_DEP_3)
	v_sub_f32_e32 v10, v10, v12
	v_add_f32_e32 v23, v25, v24
	s_delay_alu instid0(VALU_DEP_2) | instskip(NEXT) | instid1(VALU_DEP_2)
	v_ldexp_f32 v10, v10, 1
	v_sub_f32_e32 v12, v23, v25
	v_fma_f32 v25, 0x3f317218, v9, -v26
	s_delay_alu instid0(VALU_DEP_1) | instskip(NEXT) | instid1(VALU_DEP_1)
	v_dual_sub_f32 v12, v24, v12 :: v_dual_fmamk_f32 v9, v9, 0xb102e308, v25
	v_add_f32_e32 v10, v10, v12
	s_delay_alu instid0(VALU_DEP_2) | instskip(NEXT) | instid1(VALU_DEP_2)
	v_add_f32_e32 v12, v26, v9
	v_add_f32_e32 v24, v23, v10
	s_delay_alu instid0(VALU_DEP_2) | instskip(NEXT) | instid1(VALU_DEP_2)
	v_sub_f32_e32 v26, v12, v26
	v_add_f32_e32 v25, v12, v24
	v_sub_f32_e32 v23, v24, v23
	s_delay_alu instid0(VALU_DEP_3) | instskip(NEXT) | instid1(VALU_DEP_2)
	v_sub_f32_e32 v9, v9, v26
	v_dual_sub_f32 v27, v25, v12 :: v_dual_sub_f32 v10, v10, v23
	s_delay_alu instid0(VALU_DEP_1) | instskip(NEXT) | instid1(VALU_DEP_2)
	v_sub_f32_e32 v28, v25, v27
	v_dual_sub_f32 v23, v24, v27 :: v_dual_add_f32 v24, v9, v10
	s_delay_alu instid0(VALU_DEP_2) | instskip(NEXT) | instid1(VALU_DEP_1)
	v_sub_f32_e32 v12, v12, v28
	v_dual_add_f32 v12, v23, v12 :: v_dual_sub_f32 v23, v24, v9
	s_delay_alu instid0(VALU_DEP_1) | instskip(NEXT) | instid1(VALU_DEP_2)
	v_add_f32_e32 v12, v24, v12
	v_sub_f32_e32 v24, v24, v23
	v_sub_f32_e32 v10, v10, v23
	s_delay_alu instid0(VALU_DEP_3) | instskip(NEXT) | instid1(VALU_DEP_3)
	v_add_f32_e32 v26, v25, v12
	v_sub_f32_e32 v9, v9, v24
	s_delay_alu instid0(VALU_DEP_2) | instskip(NEXT) | instid1(VALU_DEP_1)
	v_sub_f32_e32 v23, v26, v25
	v_dual_add_f32 v9, v10, v9 :: v_dual_sub_f32 v10, v12, v23
	s_delay_alu instid0(VALU_DEP_1) | instskip(NEXT) | instid1(VALU_DEP_1)
	v_add_f32_e32 v9, v9, v10
	v_add_f32_e32 v9, v26, v9
	s_delay_alu instid0(VALU_DEP_1) | instskip(NEXT) | instid1(VALU_DEP_1)
	v_cndmask_b32_e64 v9, v9, v11, s7
	v_add_f32_e32 v10, v4, v9
.LBB145_21:
	s_or_b32 exec_lo, exec_lo, s9
	ds_load_b32 v4, v5 offset:12
	v_max_f32_e32 v9, v10, v10
	v_cmp_u_f32_e64 s7, v10, v10
	s_waitcnt lgkmcnt(0)
	v_max_f32_e32 v11, v4, v4
	s_delay_alu instid0(VALU_DEP_1) | instskip(SKIP_1) | instid1(VALU_DEP_2)
	v_min_f32_e32 v12, v9, v11
	v_max_f32_e32 v9, v9, v11
	v_cndmask_b32_e64 v11, v12, v10, s7
	s_delay_alu instid0(VALU_DEP_2) | instskip(SKIP_1) | instid1(VALU_DEP_1)
	v_cndmask_b32_e64 v12, v9, v10, s7
	v_cmp_u_f32_e64 s7, v4, v4
	v_cndmask_b32_e64 v9, v11, v4, s7
	s_delay_alu instid0(VALU_DEP_3) | instskip(NEXT) | instid1(VALU_DEP_2)
	v_cndmask_b32_e64 v4, v12, v4, s7
	v_cmp_class_f32_e64 s9, v9, 0x1f8
	s_delay_alu instid0(VALU_DEP_2) | instskip(NEXT) | instid1(VALU_DEP_1)
	v_cmp_neq_f32_e64 s7, v9, v4
	s_or_b32 s7, s7, s9
	s_delay_alu instid0(SALU_CYCLE_1)
	s_and_saveexec_b32 s9, s7
	s_cbranch_execz .LBB145_23
; %bb.22:
	v_sub_f32_e32 v9, v9, v4
	s_delay_alu instid0(VALU_DEP_1) | instskip(NEXT) | instid1(VALU_DEP_1)
	v_mul_f32_e32 v10, 0x3fb8aa3b, v9
	v_fma_f32 v11, 0x3fb8aa3b, v9, -v10
	v_rndne_f32_e32 v12, v10
	s_delay_alu instid0(VALU_DEP_1) | instskip(NEXT) | instid1(VALU_DEP_1)
	v_dual_fmamk_f32 v11, v9, 0x32a5705f, v11 :: v_dual_sub_f32 v10, v10, v12
	v_add_f32_e32 v10, v10, v11
	v_cvt_i32_f32_e32 v11, v12
	v_cmp_ngt_f32_e64 s7, 0xc2ce8ed0, v9
	s_delay_alu instid0(VALU_DEP_3) | instskip(SKIP_2) | instid1(VALU_DEP_1)
	v_exp_f32_e32 v10, v10
	s_waitcnt_depctr 0xfff
	v_ldexp_f32 v10, v10, v11
	v_cndmask_b32_e64 v10, 0, v10, s7
	v_cmp_nlt_f32_e64 s7, 0x42b17218, v9
	s_delay_alu instid0(VALU_DEP_1) | instskip(NEXT) | instid1(VALU_DEP_1)
	v_cndmask_b32_e64 v11, 0x7f800000, v10, s7
	v_add_f32_e32 v12, 1.0, v11
	v_cmp_gt_f32_e64 s10, 0x33800000, |v11|
	s_delay_alu instid0(VALU_DEP_2) | instskip(NEXT) | instid1(VALU_DEP_1)
	v_cvt_f64_f32_e32 v[9:10], v12
	v_frexp_exp_i32_f64_e32 v9, v[9:10]
	v_frexp_mant_f32_e32 v10, v12
	s_delay_alu instid0(VALU_DEP_1) | instskip(SKIP_1) | instid1(VALU_DEP_1)
	v_cmp_gt_f32_e64 s7, 0x3f2aaaab, v10
	v_add_f32_e32 v10, -1.0, v12
	v_sub_f32_e32 v24, v10, v12
	s_delay_alu instid0(VALU_DEP_1) | instskip(NEXT) | instid1(VALU_DEP_4)
	v_add_f32_e32 v24, 1.0, v24
	v_subrev_co_ci_u32_e64 v9, s7, 0, v9, s7
	s_mov_b32 s7, 0x3e9b6dac
	s_delay_alu instid0(VALU_DEP_1) | instskip(SKIP_1) | instid1(VALU_DEP_2)
	v_sub_nc_u32_e32 v23, 0, v9
	v_cvt_f32_i32_e32 v9, v9
	v_ldexp_f32 v12, v12, v23
	s_delay_alu instid0(VALU_DEP_1) | instskip(NEXT) | instid1(VALU_DEP_1)
	v_dual_sub_f32 v10, v11, v10 :: v_dual_add_f32 v25, 1.0, v12
	v_add_f32_e32 v10, v10, v24
	s_delay_alu instid0(VALU_DEP_2) | instskip(NEXT) | instid1(VALU_DEP_2)
	v_add_f32_e32 v24, -1.0, v25
	v_ldexp_f32 v10, v10, v23
	v_add_f32_e32 v23, -1.0, v12
	s_delay_alu instid0(VALU_DEP_3) | instskip(NEXT) | instid1(VALU_DEP_2)
	v_sub_f32_e32 v24, v12, v24
	v_add_f32_e32 v26, 1.0, v23
	s_delay_alu instid0(VALU_DEP_2) | instskip(NEXT) | instid1(VALU_DEP_2)
	v_add_f32_e32 v24, v10, v24
	v_sub_f32_e32 v12, v12, v26
	s_delay_alu instid0(VALU_DEP_2) | instskip(NEXT) | instid1(VALU_DEP_2)
	v_add_f32_e32 v26, v25, v24
	v_add_f32_e32 v10, v10, v12
	s_delay_alu instid0(VALU_DEP_2) | instskip(SKIP_1) | instid1(VALU_DEP_1)
	v_rcp_f32_e32 v12, v26
	v_sub_f32_e32 v25, v25, v26
	v_dual_add_f32 v27, v23, v10 :: v_dual_add_f32 v24, v24, v25
	s_delay_alu instid0(VALU_DEP_1) | instskip(SKIP_3) | instid1(VALU_DEP_2)
	v_sub_f32_e32 v23, v23, v27
	s_waitcnt_depctr 0xfff
	v_mul_f32_e32 v28, v27, v12
	v_add_f32_e32 v10, v10, v23
	v_mul_f32_e32 v29, v26, v28
	s_delay_alu instid0(VALU_DEP_1) | instskip(NEXT) | instid1(VALU_DEP_1)
	v_fma_f32 v25, v28, v26, -v29
	v_fmac_f32_e32 v25, v28, v24
	s_delay_alu instid0(VALU_DEP_1) | instskip(NEXT) | instid1(VALU_DEP_1)
	v_add_f32_e32 v30, v29, v25
	v_sub_f32_e32 v31, v27, v30
	v_sub_f32_e32 v23, v30, v29
	s_delay_alu instid0(VALU_DEP_2) | instskip(NEXT) | instid1(VALU_DEP_2)
	v_sub_f32_e32 v27, v27, v31
	v_sub_f32_e32 v23, v23, v25
	s_delay_alu instid0(VALU_DEP_2) | instskip(NEXT) | instid1(VALU_DEP_1)
	v_sub_f32_e32 v27, v27, v30
	v_add_f32_e32 v10, v10, v27
	s_delay_alu instid0(VALU_DEP_1) | instskip(NEXT) | instid1(VALU_DEP_1)
	v_add_f32_e32 v10, v23, v10
	v_add_f32_e32 v23, v31, v10
	s_delay_alu instid0(VALU_DEP_1) | instskip(NEXT) | instid1(VALU_DEP_1)
	v_mul_f32_e32 v25, v12, v23
	v_dual_sub_f32 v30, v31, v23 :: v_dual_mul_f32 v27, v26, v25
	s_delay_alu instid0(VALU_DEP_1) | instskip(NEXT) | instid1(VALU_DEP_1)
	v_fma_f32 v26, v25, v26, -v27
	v_fmac_f32_e32 v26, v25, v24
	s_delay_alu instid0(VALU_DEP_1) | instskip(NEXT) | instid1(VALU_DEP_1)
	v_add_f32_e32 v24, v27, v26
	v_sub_f32_e32 v29, v23, v24
	v_dual_sub_f32 v27, v24, v27 :: v_dual_add_f32 v10, v10, v30
	s_delay_alu instid0(VALU_DEP_2) | instskip(NEXT) | instid1(VALU_DEP_1)
	v_sub_f32_e32 v23, v23, v29
	v_sub_f32_e32 v23, v23, v24
	s_delay_alu instid0(VALU_DEP_1) | instskip(NEXT) | instid1(VALU_DEP_4)
	v_dual_add_f32 v10, v10, v23 :: v_dual_add_f32 v23, v28, v25
	v_sub_f32_e32 v24, v27, v26
	s_delay_alu instid0(VALU_DEP_1) | instskip(NEXT) | instid1(VALU_DEP_3)
	v_add_f32_e32 v10, v24, v10
	v_sub_f32_e32 v24, v23, v28
	s_delay_alu instid0(VALU_DEP_2) | instskip(NEXT) | instid1(VALU_DEP_2)
	v_add_f32_e32 v10, v29, v10
	v_sub_f32_e32 v24, v25, v24
	s_delay_alu instid0(VALU_DEP_2) | instskip(NEXT) | instid1(VALU_DEP_1)
	v_mul_f32_e32 v10, v12, v10
	v_add_f32_e32 v10, v24, v10
	s_delay_alu instid0(VALU_DEP_1) | instskip(NEXT) | instid1(VALU_DEP_1)
	v_add_f32_e32 v12, v23, v10
	v_mul_f32_e32 v24, v12, v12
	s_delay_alu instid0(VALU_DEP_1) | instskip(SKIP_2) | instid1(VALU_DEP_3)
	v_fmaak_f32 v25, s7, v24, 0x3ecc95a3
	v_mul_f32_e32 v26, v12, v24
	v_cmp_eq_f32_e64 s7, 0x7f800000, v11
	v_fmaak_f32 v24, v24, v25, 0x3f2aaada
	v_ldexp_f32 v25, v12, 1
	v_sub_f32_e32 v12, v12, v23
	s_delay_alu instid0(VALU_DEP_4) | instskip(NEXT) | instid1(VALU_DEP_3)
	s_or_b32 s7, s7, s10
	v_mul_f32_e32 v24, v26, v24
	v_mul_f32_e32 v26, 0x3f317218, v9
	s_delay_alu instid0(VALU_DEP_3) | instskip(NEXT) | instid1(VALU_DEP_3)
	v_sub_f32_e32 v10, v10, v12
	v_add_f32_e32 v23, v25, v24
	s_delay_alu instid0(VALU_DEP_2) | instskip(NEXT) | instid1(VALU_DEP_2)
	v_ldexp_f32 v10, v10, 1
	v_sub_f32_e32 v12, v23, v25
	v_fma_f32 v25, 0x3f317218, v9, -v26
	s_delay_alu instid0(VALU_DEP_1) | instskip(NEXT) | instid1(VALU_DEP_1)
	v_dual_sub_f32 v12, v24, v12 :: v_dual_fmamk_f32 v9, v9, 0xb102e308, v25
	v_add_f32_e32 v10, v10, v12
	s_delay_alu instid0(VALU_DEP_2) | instskip(NEXT) | instid1(VALU_DEP_2)
	v_add_f32_e32 v12, v26, v9
	v_add_f32_e32 v24, v23, v10
	s_delay_alu instid0(VALU_DEP_2) | instskip(NEXT) | instid1(VALU_DEP_2)
	v_sub_f32_e32 v26, v12, v26
	v_add_f32_e32 v25, v12, v24
	v_sub_f32_e32 v23, v24, v23
	s_delay_alu instid0(VALU_DEP_3) | instskip(NEXT) | instid1(VALU_DEP_2)
	v_sub_f32_e32 v9, v9, v26
	v_dual_sub_f32 v27, v25, v12 :: v_dual_sub_f32 v10, v10, v23
	s_delay_alu instid0(VALU_DEP_1) | instskip(NEXT) | instid1(VALU_DEP_2)
	v_sub_f32_e32 v28, v25, v27
	v_dual_sub_f32 v23, v24, v27 :: v_dual_add_f32 v24, v9, v10
	s_delay_alu instid0(VALU_DEP_2) | instskip(NEXT) | instid1(VALU_DEP_1)
	v_sub_f32_e32 v12, v12, v28
	v_dual_add_f32 v12, v23, v12 :: v_dual_sub_f32 v23, v24, v9
	s_delay_alu instid0(VALU_DEP_1) | instskip(NEXT) | instid1(VALU_DEP_2)
	v_add_f32_e32 v12, v24, v12
	v_sub_f32_e32 v24, v24, v23
	v_sub_f32_e32 v10, v10, v23
	s_delay_alu instid0(VALU_DEP_3) | instskip(NEXT) | instid1(VALU_DEP_3)
	v_add_f32_e32 v26, v25, v12
	v_sub_f32_e32 v9, v9, v24
	s_delay_alu instid0(VALU_DEP_2) | instskip(NEXT) | instid1(VALU_DEP_1)
	v_sub_f32_e32 v23, v26, v25
	v_dual_add_f32 v9, v10, v9 :: v_dual_sub_f32 v10, v12, v23
	s_delay_alu instid0(VALU_DEP_1) | instskip(NEXT) | instid1(VALU_DEP_1)
	v_add_f32_e32 v9, v9, v10
	v_add_f32_e32 v9, v26, v9
	s_delay_alu instid0(VALU_DEP_1) | instskip(NEXT) | instid1(VALU_DEP_1)
	v_cndmask_b32_e64 v9, v9, v11, s7
	v_add_f32_e32 v10, v4, v9
.LBB145_23:
	s_or_b32 exec_lo, exec_lo, s9
	ds_load_b32 v4, v5 offset:16
	v_max_f32_e32 v9, v10, v10
	v_cmp_u_f32_e64 s7, v10, v10
	s_waitcnt lgkmcnt(0)
	v_max_f32_e32 v11, v4, v4
	s_delay_alu instid0(VALU_DEP_1) | instskip(SKIP_1) | instid1(VALU_DEP_2)
	v_min_f32_e32 v12, v9, v11
	v_max_f32_e32 v9, v9, v11
	v_cndmask_b32_e64 v11, v12, v10, s7
	s_delay_alu instid0(VALU_DEP_2) | instskip(SKIP_1) | instid1(VALU_DEP_1)
	v_cndmask_b32_e64 v12, v9, v10, s7
	v_cmp_u_f32_e64 s7, v4, v4
	v_cndmask_b32_e64 v9, v11, v4, s7
	s_delay_alu instid0(VALU_DEP_3) | instskip(NEXT) | instid1(VALU_DEP_2)
	v_cndmask_b32_e64 v4, v12, v4, s7
	v_cmp_class_f32_e64 s9, v9, 0x1f8
	s_delay_alu instid0(VALU_DEP_2) | instskip(NEXT) | instid1(VALU_DEP_1)
	v_cmp_neq_f32_e64 s7, v9, v4
	s_or_b32 s7, s7, s9
	s_delay_alu instid0(SALU_CYCLE_1)
	s_and_saveexec_b32 s9, s7
	s_cbranch_execz .LBB145_25
; %bb.24:
	v_sub_f32_e32 v9, v9, v4
	s_delay_alu instid0(VALU_DEP_1) | instskip(NEXT) | instid1(VALU_DEP_1)
	v_mul_f32_e32 v10, 0x3fb8aa3b, v9
	v_fma_f32 v11, 0x3fb8aa3b, v9, -v10
	v_rndne_f32_e32 v12, v10
	s_delay_alu instid0(VALU_DEP_1) | instskip(NEXT) | instid1(VALU_DEP_1)
	v_dual_fmamk_f32 v11, v9, 0x32a5705f, v11 :: v_dual_sub_f32 v10, v10, v12
	v_add_f32_e32 v10, v10, v11
	v_cvt_i32_f32_e32 v11, v12
	v_cmp_ngt_f32_e64 s7, 0xc2ce8ed0, v9
	s_delay_alu instid0(VALU_DEP_3) | instskip(SKIP_2) | instid1(VALU_DEP_1)
	v_exp_f32_e32 v10, v10
	s_waitcnt_depctr 0xfff
	v_ldexp_f32 v10, v10, v11
	v_cndmask_b32_e64 v10, 0, v10, s7
	v_cmp_nlt_f32_e64 s7, 0x42b17218, v9
	s_delay_alu instid0(VALU_DEP_1) | instskip(NEXT) | instid1(VALU_DEP_1)
	v_cndmask_b32_e64 v11, 0x7f800000, v10, s7
	v_add_f32_e32 v12, 1.0, v11
	v_cmp_gt_f32_e64 s10, 0x33800000, |v11|
	s_delay_alu instid0(VALU_DEP_2) | instskip(NEXT) | instid1(VALU_DEP_1)
	v_cvt_f64_f32_e32 v[9:10], v12
	v_frexp_exp_i32_f64_e32 v9, v[9:10]
	v_frexp_mant_f32_e32 v10, v12
	s_delay_alu instid0(VALU_DEP_1) | instskip(SKIP_1) | instid1(VALU_DEP_1)
	v_cmp_gt_f32_e64 s7, 0x3f2aaaab, v10
	v_add_f32_e32 v10, -1.0, v12
	v_sub_f32_e32 v24, v10, v12
	s_delay_alu instid0(VALU_DEP_1) | instskip(NEXT) | instid1(VALU_DEP_4)
	v_add_f32_e32 v24, 1.0, v24
	v_subrev_co_ci_u32_e64 v9, s7, 0, v9, s7
	s_mov_b32 s7, 0x3e9b6dac
	s_delay_alu instid0(VALU_DEP_1) | instskip(SKIP_1) | instid1(VALU_DEP_2)
	v_sub_nc_u32_e32 v23, 0, v9
	v_cvt_f32_i32_e32 v9, v9
	v_ldexp_f32 v12, v12, v23
	s_delay_alu instid0(VALU_DEP_1) | instskip(NEXT) | instid1(VALU_DEP_1)
	v_dual_sub_f32 v10, v11, v10 :: v_dual_add_f32 v25, 1.0, v12
	v_add_f32_e32 v10, v10, v24
	s_delay_alu instid0(VALU_DEP_2) | instskip(NEXT) | instid1(VALU_DEP_2)
	v_add_f32_e32 v24, -1.0, v25
	v_ldexp_f32 v10, v10, v23
	v_add_f32_e32 v23, -1.0, v12
	s_delay_alu instid0(VALU_DEP_3) | instskip(NEXT) | instid1(VALU_DEP_2)
	v_sub_f32_e32 v24, v12, v24
	v_add_f32_e32 v26, 1.0, v23
	s_delay_alu instid0(VALU_DEP_2) | instskip(NEXT) | instid1(VALU_DEP_2)
	v_add_f32_e32 v24, v10, v24
	v_sub_f32_e32 v12, v12, v26
	s_delay_alu instid0(VALU_DEP_2) | instskip(NEXT) | instid1(VALU_DEP_2)
	v_add_f32_e32 v26, v25, v24
	v_add_f32_e32 v10, v10, v12
	s_delay_alu instid0(VALU_DEP_2) | instskip(SKIP_1) | instid1(VALU_DEP_1)
	v_rcp_f32_e32 v12, v26
	v_sub_f32_e32 v25, v25, v26
	v_dual_add_f32 v27, v23, v10 :: v_dual_add_f32 v24, v24, v25
	s_delay_alu instid0(VALU_DEP_1) | instskip(SKIP_3) | instid1(VALU_DEP_2)
	v_sub_f32_e32 v23, v23, v27
	s_waitcnt_depctr 0xfff
	v_mul_f32_e32 v28, v27, v12
	v_add_f32_e32 v10, v10, v23
	v_mul_f32_e32 v29, v26, v28
	s_delay_alu instid0(VALU_DEP_1) | instskip(NEXT) | instid1(VALU_DEP_1)
	v_fma_f32 v25, v28, v26, -v29
	v_fmac_f32_e32 v25, v28, v24
	s_delay_alu instid0(VALU_DEP_1) | instskip(NEXT) | instid1(VALU_DEP_1)
	v_add_f32_e32 v30, v29, v25
	v_sub_f32_e32 v31, v27, v30
	v_sub_f32_e32 v23, v30, v29
	s_delay_alu instid0(VALU_DEP_2) | instskip(NEXT) | instid1(VALU_DEP_2)
	v_sub_f32_e32 v27, v27, v31
	v_sub_f32_e32 v23, v23, v25
	s_delay_alu instid0(VALU_DEP_2) | instskip(NEXT) | instid1(VALU_DEP_1)
	v_sub_f32_e32 v27, v27, v30
	v_add_f32_e32 v10, v10, v27
	s_delay_alu instid0(VALU_DEP_1) | instskip(NEXT) | instid1(VALU_DEP_1)
	v_add_f32_e32 v10, v23, v10
	v_add_f32_e32 v23, v31, v10
	s_delay_alu instid0(VALU_DEP_1) | instskip(NEXT) | instid1(VALU_DEP_1)
	v_mul_f32_e32 v25, v12, v23
	v_dual_sub_f32 v30, v31, v23 :: v_dual_mul_f32 v27, v26, v25
	s_delay_alu instid0(VALU_DEP_1) | instskip(NEXT) | instid1(VALU_DEP_1)
	v_fma_f32 v26, v25, v26, -v27
	v_fmac_f32_e32 v26, v25, v24
	s_delay_alu instid0(VALU_DEP_1) | instskip(NEXT) | instid1(VALU_DEP_1)
	v_add_f32_e32 v24, v27, v26
	v_sub_f32_e32 v29, v23, v24
	v_dual_sub_f32 v27, v24, v27 :: v_dual_add_f32 v10, v10, v30
	s_delay_alu instid0(VALU_DEP_2) | instskip(NEXT) | instid1(VALU_DEP_1)
	v_sub_f32_e32 v23, v23, v29
	v_sub_f32_e32 v23, v23, v24
	s_delay_alu instid0(VALU_DEP_1) | instskip(NEXT) | instid1(VALU_DEP_4)
	v_dual_add_f32 v10, v10, v23 :: v_dual_add_f32 v23, v28, v25
	v_sub_f32_e32 v24, v27, v26
	s_delay_alu instid0(VALU_DEP_1) | instskip(NEXT) | instid1(VALU_DEP_3)
	v_add_f32_e32 v10, v24, v10
	v_sub_f32_e32 v24, v23, v28
	s_delay_alu instid0(VALU_DEP_2) | instskip(NEXT) | instid1(VALU_DEP_2)
	v_add_f32_e32 v10, v29, v10
	v_sub_f32_e32 v24, v25, v24
	s_delay_alu instid0(VALU_DEP_2) | instskip(NEXT) | instid1(VALU_DEP_1)
	v_mul_f32_e32 v10, v12, v10
	v_add_f32_e32 v10, v24, v10
	s_delay_alu instid0(VALU_DEP_1) | instskip(NEXT) | instid1(VALU_DEP_1)
	v_add_f32_e32 v12, v23, v10
	v_mul_f32_e32 v24, v12, v12
	s_delay_alu instid0(VALU_DEP_1) | instskip(SKIP_2) | instid1(VALU_DEP_3)
	v_fmaak_f32 v25, s7, v24, 0x3ecc95a3
	v_mul_f32_e32 v26, v12, v24
	v_cmp_eq_f32_e64 s7, 0x7f800000, v11
	v_fmaak_f32 v24, v24, v25, 0x3f2aaada
	v_ldexp_f32 v25, v12, 1
	v_sub_f32_e32 v12, v12, v23
	s_delay_alu instid0(VALU_DEP_4) | instskip(NEXT) | instid1(VALU_DEP_3)
	s_or_b32 s7, s7, s10
	v_mul_f32_e32 v24, v26, v24
	v_mul_f32_e32 v26, 0x3f317218, v9
	s_delay_alu instid0(VALU_DEP_3) | instskip(NEXT) | instid1(VALU_DEP_3)
	v_sub_f32_e32 v10, v10, v12
	v_add_f32_e32 v23, v25, v24
	s_delay_alu instid0(VALU_DEP_2) | instskip(NEXT) | instid1(VALU_DEP_2)
	v_ldexp_f32 v10, v10, 1
	v_sub_f32_e32 v12, v23, v25
	v_fma_f32 v25, 0x3f317218, v9, -v26
	s_delay_alu instid0(VALU_DEP_1) | instskip(NEXT) | instid1(VALU_DEP_1)
	v_dual_sub_f32 v12, v24, v12 :: v_dual_fmamk_f32 v9, v9, 0xb102e308, v25
	v_add_f32_e32 v10, v10, v12
	s_delay_alu instid0(VALU_DEP_2) | instskip(NEXT) | instid1(VALU_DEP_2)
	v_add_f32_e32 v12, v26, v9
	v_add_f32_e32 v24, v23, v10
	s_delay_alu instid0(VALU_DEP_2) | instskip(NEXT) | instid1(VALU_DEP_2)
	v_sub_f32_e32 v26, v12, v26
	v_add_f32_e32 v25, v12, v24
	v_sub_f32_e32 v23, v24, v23
	s_delay_alu instid0(VALU_DEP_3) | instskip(NEXT) | instid1(VALU_DEP_2)
	v_sub_f32_e32 v9, v9, v26
	v_dual_sub_f32 v27, v25, v12 :: v_dual_sub_f32 v10, v10, v23
	s_delay_alu instid0(VALU_DEP_1) | instskip(NEXT) | instid1(VALU_DEP_2)
	v_sub_f32_e32 v28, v25, v27
	v_dual_sub_f32 v23, v24, v27 :: v_dual_add_f32 v24, v9, v10
	s_delay_alu instid0(VALU_DEP_2) | instskip(NEXT) | instid1(VALU_DEP_1)
	v_sub_f32_e32 v12, v12, v28
	v_dual_add_f32 v12, v23, v12 :: v_dual_sub_f32 v23, v24, v9
	s_delay_alu instid0(VALU_DEP_1) | instskip(NEXT) | instid1(VALU_DEP_2)
	v_add_f32_e32 v12, v24, v12
	v_sub_f32_e32 v24, v24, v23
	v_sub_f32_e32 v10, v10, v23
	s_delay_alu instid0(VALU_DEP_3) | instskip(NEXT) | instid1(VALU_DEP_3)
	v_add_f32_e32 v26, v25, v12
	v_sub_f32_e32 v9, v9, v24
	s_delay_alu instid0(VALU_DEP_2) | instskip(NEXT) | instid1(VALU_DEP_1)
	v_sub_f32_e32 v23, v26, v25
	v_dual_add_f32 v9, v10, v9 :: v_dual_sub_f32 v10, v12, v23
	s_delay_alu instid0(VALU_DEP_1) | instskip(NEXT) | instid1(VALU_DEP_1)
	v_add_f32_e32 v9, v9, v10
	v_add_f32_e32 v9, v26, v9
	s_delay_alu instid0(VALU_DEP_1) | instskip(NEXT) | instid1(VALU_DEP_1)
	v_cndmask_b32_e64 v9, v9, v11, s7
	v_add_f32_e32 v10, v4, v9
.LBB145_25:
	s_or_b32 exec_lo, exec_lo, s9
	ds_load_b32 v4, v5 offset:20
	v_max_f32_e32 v9, v10, v10
	v_cmp_u_f32_e64 s7, v10, v10
	s_waitcnt lgkmcnt(0)
	v_max_f32_e32 v11, v4, v4
	s_delay_alu instid0(VALU_DEP_1) | instskip(SKIP_1) | instid1(VALU_DEP_2)
	v_min_f32_e32 v12, v9, v11
	v_max_f32_e32 v9, v9, v11
	v_cndmask_b32_e64 v11, v12, v10, s7
	s_delay_alu instid0(VALU_DEP_2) | instskip(SKIP_1) | instid1(VALU_DEP_1)
	v_cndmask_b32_e64 v12, v9, v10, s7
	v_cmp_u_f32_e64 s7, v4, v4
	v_cndmask_b32_e64 v9, v11, v4, s7
	s_delay_alu instid0(VALU_DEP_3) | instskip(NEXT) | instid1(VALU_DEP_2)
	v_cndmask_b32_e64 v4, v12, v4, s7
	v_cmp_class_f32_e64 s9, v9, 0x1f8
	s_delay_alu instid0(VALU_DEP_2) | instskip(NEXT) | instid1(VALU_DEP_1)
	v_cmp_neq_f32_e64 s7, v9, v4
	s_or_b32 s7, s7, s9
	s_delay_alu instid0(SALU_CYCLE_1)
	s_and_saveexec_b32 s9, s7
	s_cbranch_execz .LBB145_27
; %bb.26:
	v_sub_f32_e32 v9, v9, v4
	s_delay_alu instid0(VALU_DEP_1) | instskip(NEXT) | instid1(VALU_DEP_1)
	v_mul_f32_e32 v10, 0x3fb8aa3b, v9
	v_fma_f32 v11, 0x3fb8aa3b, v9, -v10
	v_rndne_f32_e32 v12, v10
	s_delay_alu instid0(VALU_DEP_1) | instskip(NEXT) | instid1(VALU_DEP_1)
	v_dual_fmamk_f32 v11, v9, 0x32a5705f, v11 :: v_dual_sub_f32 v10, v10, v12
	v_add_f32_e32 v10, v10, v11
	v_cvt_i32_f32_e32 v11, v12
	v_cmp_ngt_f32_e64 s7, 0xc2ce8ed0, v9
	s_delay_alu instid0(VALU_DEP_3) | instskip(SKIP_2) | instid1(VALU_DEP_1)
	v_exp_f32_e32 v10, v10
	s_waitcnt_depctr 0xfff
	v_ldexp_f32 v10, v10, v11
	v_cndmask_b32_e64 v10, 0, v10, s7
	v_cmp_nlt_f32_e64 s7, 0x42b17218, v9
	s_delay_alu instid0(VALU_DEP_1) | instskip(NEXT) | instid1(VALU_DEP_1)
	v_cndmask_b32_e64 v11, 0x7f800000, v10, s7
	v_add_f32_e32 v12, 1.0, v11
	v_cmp_gt_f32_e64 s10, 0x33800000, |v11|
	s_delay_alu instid0(VALU_DEP_2) | instskip(NEXT) | instid1(VALU_DEP_1)
	v_cvt_f64_f32_e32 v[9:10], v12
	v_frexp_exp_i32_f64_e32 v9, v[9:10]
	v_frexp_mant_f32_e32 v10, v12
	s_delay_alu instid0(VALU_DEP_1) | instskip(SKIP_1) | instid1(VALU_DEP_1)
	v_cmp_gt_f32_e64 s7, 0x3f2aaaab, v10
	v_add_f32_e32 v10, -1.0, v12
	v_sub_f32_e32 v24, v10, v12
	s_delay_alu instid0(VALU_DEP_1) | instskip(NEXT) | instid1(VALU_DEP_4)
	v_add_f32_e32 v24, 1.0, v24
	v_subrev_co_ci_u32_e64 v9, s7, 0, v9, s7
	s_mov_b32 s7, 0x3e9b6dac
	s_delay_alu instid0(VALU_DEP_1) | instskip(SKIP_1) | instid1(VALU_DEP_2)
	v_sub_nc_u32_e32 v23, 0, v9
	v_cvt_f32_i32_e32 v9, v9
	v_ldexp_f32 v12, v12, v23
	s_delay_alu instid0(VALU_DEP_1) | instskip(NEXT) | instid1(VALU_DEP_1)
	v_dual_sub_f32 v10, v11, v10 :: v_dual_add_f32 v25, 1.0, v12
	v_add_f32_e32 v10, v10, v24
	s_delay_alu instid0(VALU_DEP_2) | instskip(NEXT) | instid1(VALU_DEP_2)
	v_add_f32_e32 v24, -1.0, v25
	v_ldexp_f32 v10, v10, v23
	v_add_f32_e32 v23, -1.0, v12
	s_delay_alu instid0(VALU_DEP_3) | instskip(NEXT) | instid1(VALU_DEP_2)
	v_sub_f32_e32 v24, v12, v24
	v_add_f32_e32 v26, 1.0, v23
	s_delay_alu instid0(VALU_DEP_2) | instskip(NEXT) | instid1(VALU_DEP_2)
	v_add_f32_e32 v24, v10, v24
	v_sub_f32_e32 v12, v12, v26
	s_delay_alu instid0(VALU_DEP_2) | instskip(NEXT) | instid1(VALU_DEP_2)
	v_add_f32_e32 v26, v25, v24
	v_add_f32_e32 v10, v10, v12
	s_delay_alu instid0(VALU_DEP_2) | instskip(SKIP_1) | instid1(VALU_DEP_1)
	v_rcp_f32_e32 v12, v26
	v_sub_f32_e32 v25, v25, v26
	v_dual_add_f32 v27, v23, v10 :: v_dual_add_f32 v24, v24, v25
	s_delay_alu instid0(VALU_DEP_1) | instskip(SKIP_3) | instid1(VALU_DEP_2)
	v_sub_f32_e32 v23, v23, v27
	s_waitcnt_depctr 0xfff
	v_mul_f32_e32 v28, v27, v12
	v_add_f32_e32 v10, v10, v23
	v_mul_f32_e32 v29, v26, v28
	s_delay_alu instid0(VALU_DEP_1) | instskip(NEXT) | instid1(VALU_DEP_1)
	v_fma_f32 v25, v28, v26, -v29
	v_fmac_f32_e32 v25, v28, v24
	s_delay_alu instid0(VALU_DEP_1) | instskip(NEXT) | instid1(VALU_DEP_1)
	v_add_f32_e32 v30, v29, v25
	v_sub_f32_e32 v31, v27, v30
	v_sub_f32_e32 v23, v30, v29
	s_delay_alu instid0(VALU_DEP_2) | instskip(NEXT) | instid1(VALU_DEP_2)
	v_sub_f32_e32 v27, v27, v31
	v_sub_f32_e32 v23, v23, v25
	s_delay_alu instid0(VALU_DEP_2) | instskip(NEXT) | instid1(VALU_DEP_1)
	v_sub_f32_e32 v27, v27, v30
	v_add_f32_e32 v10, v10, v27
	s_delay_alu instid0(VALU_DEP_1) | instskip(NEXT) | instid1(VALU_DEP_1)
	v_add_f32_e32 v10, v23, v10
	v_add_f32_e32 v23, v31, v10
	s_delay_alu instid0(VALU_DEP_1) | instskip(NEXT) | instid1(VALU_DEP_1)
	v_mul_f32_e32 v25, v12, v23
	v_dual_sub_f32 v30, v31, v23 :: v_dual_mul_f32 v27, v26, v25
	s_delay_alu instid0(VALU_DEP_1) | instskip(NEXT) | instid1(VALU_DEP_1)
	v_fma_f32 v26, v25, v26, -v27
	v_fmac_f32_e32 v26, v25, v24
	s_delay_alu instid0(VALU_DEP_1) | instskip(NEXT) | instid1(VALU_DEP_1)
	v_add_f32_e32 v24, v27, v26
	v_sub_f32_e32 v29, v23, v24
	v_dual_sub_f32 v27, v24, v27 :: v_dual_add_f32 v10, v10, v30
	s_delay_alu instid0(VALU_DEP_2) | instskip(NEXT) | instid1(VALU_DEP_1)
	v_sub_f32_e32 v23, v23, v29
	v_sub_f32_e32 v23, v23, v24
	s_delay_alu instid0(VALU_DEP_1) | instskip(NEXT) | instid1(VALU_DEP_4)
	v_dual_add_f32 v10, v10, v23 :: v_dual_add_f32 v23, v28, v25
	v_sub_f32_e32 v24, v27, v26
	s_delay_alu instid0(VALU_DEP_1) | instskip(NEXT) | instid1(VALU_DEP_3)
	v_add_f32_e32 v10, v24, v10
	v_sub_f32_e32 v24, v23, v28
	s_delay_alu instid0(VALU_DEP_2) | instskip(NEXT) | instid1(VALU_DEP_2)
	v_add_f32_e32 v10, v29, v10
	v_sub_f32_e32 v24, v25, v24
	s_delay_alu instid0(VALU_DEP_2) | instskip(NEXT) | instid1(VALU_DEP_1)
	v_mul_f32_e32 v10, v12, v10
	v_add_f32_e32 v10, v24, v10
	s_delay_alu instid0(VALU_DEP_1) | instskip(NEXT) | instid1(VALU_DEP_1)
	v_add_f32_e32 v12, v23, v10
	v_mul_f32_e32 v24, v12, v12
	s_delay_alu instid0(VALU_DEP_1) | instskip(SKIP_2) | instid1(VALU_DEP_3)
	v_fmaak_f32 v25, s7, v24, 0x3ecc95a3
	v_mul_f32_e32 v26, v12, v24
	v_cmp_eq_f32_e64 s7, 0x7f800000, v11
	v_fmaak_f32 v24, v24, v25, 0x3f2aaada
	v_ldexp_f32 v25, v12, 1
	v_sub_f32_e32 v12, v12, v23
	s_delay_alu instid0(VALU_DEP_4) | instskip(NEXT) | instid1(VALU_DEP_3)
	s_or_b32 s7, s7, s10
	v_mul_f32_e32 v24, v26, v24
	v_mul_f32_e32 v26, 0x3f317218, v9
	s_delay_alu instid0(VALU_DEP_3) | instskip(NEXT) | instid1(VALU_DEP_3)
	v_sub_f32_e32 v10, v10, v12
	v_add_f32_e32 v23, v25, v24
	s_delay_alu instid0(VALU_DEP_2) | instskip(NEXT) | instid1(VALU_DEP_2)
	v_ldexp_f32 v10, v10, 1
	v_sub_f32_e32 v12, v23, v25
	v_fma_f32 v25, 0x3f317218, v9, -v26
	s_delay_alu instid0(VALU_DEP_1) | instskip(NEXT) | instid1(VALU_DEP_1)
	v_dual_sub_f32 v12, v24, v12 :: v_dual_fmamk_f32 v9, v9, 0xb102e308, v25
	v_add_f32_e32 v10, v10, v12
	s_delay_alu instid0(VALU_DEP_2) | instskip(NEXT) | instid1(VALU_DEP_2)
	v_add_f32_e32 v12, v26, v9
	v_add_f32_e32 v24, v23, v10
	s_delay_alu instid0(VALU_DEP_2) | instskip(NEXT) | instid1(VALU_DEP_2)
	v_sub_f32_e32 v26, v12, v26
	v_add_f32_e32 v25, v12, v24
	v_sub_f32_e32 v23, v24, v23
	s_delay_alu instid0(VALU_DEP_3) | instskip(NEXT) | instid1(VALU_DEP_2)
	v_sub_f32_e32 v9, v9, v26
	v_dual_sub_f32 v27, v25, v12 :: v_dual_sub_f32 v10, v10, v23
	s_delay_alu instid0(VALU_DEP_1) | instskip(NEXT) | instid1(VALU_DEP_2)
	v_sub_f32_e32 v28, v25, v27
	v_dual_sub_f32 v23, v24, v27 :: v_dual_add_f32 v24, v9, v10
	s_delay_alu instid0(VALU_DEP_2) | instskip(NEXT) | instid1(VALU_DEP_1)
	v_sub_f32_e32 v12, v12, v28
	v_dual_add_f32 v12, v23, v12 :: v_dual_sub_f32 v23, v24, v9
	s_delay_alu instid0(VALU_DEP_1) | instskip(NEXT) | instid1(VALU_DEP_2)
	v_add_f32_e32 v12, v24, v12
	v_sub_f32_e32 v24, v24, v23
	v_sub_f32_e32 v10, v10, v23
	s_delay_alu instid0(VALU_DEP_3) | instskip(NEXT) | instid1(VALU_DEP_3)
	v_add_f32_e32 v26, v25, v12
	v_sub_f32_e32 v9, v9, v24
	s_delay_alu instid0(VALU_DEP_2) | instskip(NEXT) | instid1(VALU_DEP_1)
	v_sub_f32_e32 v23, v26, v25
	v_dual_add_f32 v9, v10, v9 :: v_dual_sub_f32 v10, v12, v23
	s_delay_alu instid0(VALU_DEP_1) | instskip(NEXT) | instid1(VALU_DEP_1)
	v_add_f32_e32 v9, v9, v10
	v_add_f32_e32 v9, v26, v9
	s_delay_alu instid0(VALU_DEP_1) | instskip(NEXT) | instid1(VALU_DEP_1)
	v_cndmask_b32_e64 v9, v9, v11, s7
	v_add_f32_e32 v10, v4, v9
.LBB145_27:
	s_or_b32 exec_lo, exec_lo, s9
	ds_load_b32 v4, v5 offset:24
	v_max_f32_e32 v9, v10, v10
	v_cmp_u_f32_e64 s7, v10, v10
	s_waitcnt lgkmcnt(0)
	v_max_f32_e32 v11, v4, v4
	s_delay_alu instid0(VALU_DEP_1) | instskip(SKIP_1) | instid1(VALU_DEP_2)
	v_min_f32_e32 v12, v9, v11
	v_max_f32_e32 v9, v9, v11
	v_cndmask_b32_e64 v11, v12, v10, s7
	s_delay_alu instid0(VALU_DEP_2) | instskip(SKIP_1) | instid1(VALU_DEP_1)
	v_cndmask_b32_e64 v12, v9, v10, s7
	v_cmp_u_f32_e64 s7, v4, v4
	v_cndmask_b32_e64 v9, v11, v4, s7
	s_delay_alu instid0(VALU_DEP_3) | instskip(NEXT) | instid1(VALU_DEP_2)
	v_cndmask_b32_e64 v4, v12, v4, s7
	v_cmp_class_f32_e64 s9, v9, 0x1f8
	s_delay_alu instid0(VALU_DEP_2) | instskip(NEXT) | instid1(VALU_DEP_1)
	v_cmp_neq_f32_e64 s7, v9, v4
	s_or_b32 s7, s7, s9
	s_delay_alu instid0(SALU_CYCLE_1)
	s_and_saveexec_b32 s9, s7
	s_cbranch_execz .LBB145_29
; %bb.28:
	v_sub_f32_e32 v9, v9, v4
	s_delay_alu instid0(VALU_DEP_1) | instskip(NEXT) | instid1(VALU_DEP_1)
	v_mul_f32_e32 v10, 0x3fb8aa3b, v9
	v_fma_f32 v11, 0x3fb8aa3b, v9, -v10
	v_rndne_f32_e32 v12, v10
	s_delay_alu instid0(VALU_DEP_1) | instskip(NEXT) | instid1(VALU_DEP_1)
	v_dual_fmamk_f32 v11, v9, 0x32a5705f, v11 :: v_dual_sub_f32 v10, v10, v12
	v_add_f32_e32 v10, v10, v11
	v_cvt_i32_f32_e32 v11, v12
	v_cmp_ngt_f32_e64 s7, 0xc2ce8ed0, v9
	s_delay_alu instid0(VALU_DEP_3) | instskip(SKIP_2) | instid1(VALU_DEP_1)
	v_exp_f32_e32 v10, v10
	s_waitcnt_depctr 0xfff
	v_ldexp_f32 v10, v10, v11
	v_cndmask_b32_e64 v10, 0, v10, s7
	v_cmp_nlt_f32_e64 s7, 0x42b17218, v9
	s_delay_alu instid0(VALU_DEP_1) | instskip(NEXT) | instid1(VALU_DEP_1)
	v_cndmask_b32_e64 v11, 0x7f800000, v10, s7
	v_add_f32_e32 v12, 1.0, v11
	v_cmp_gt_f32_e64 s10, 0x33800000, |v11|
	s_delay_alu instid0(VALU_DEP_2) | instskip(NEXT) | instid1(VALU_DEP_1)
	v_cvt_f64_f32_e32 v[9:10], v12
	v_frexp_exp_i32_f64_e32 v9, v[9:10]
	v_frexp_mant_f32_e32 v10, v12
	s_delay_alu instid0(VALU_DEP_1) | instskip(SKIP_1) | instid1(VALU_DEP_1)
	v_cmp_gt_f32_e64 s7, 0x3f2aaaab, v10
	v_add_f32_e32 v10, -1.0, v12
	v_sub_f32_e32 v24, v10, v12
	s_delay_alu instid0(VALU_DEP_1) | instskip(NEXT) | instid1(VALU_DEP_4)
	v_add_f32_e32 v24, 1.0, v24
	v_subrev_co_ci_u32_e64 v9, s7, 0, v9, s7
	s_mov_b32 s7, 0x3e9b6dac
	s_delay_alu instid0(VALU_DEP_1) | instskip(SKIP_1) | instid1(VALU_DEP_2)
	v_sub_nc_u32_e32 v23, 0, v9
	v_cvt_f32_i32_e32 v9, v9
	v_ldexp_f32 v12, v12, v23
	s_delay_alu instid0(VALU_DEP_1) | instskip(NEXT) | instid1(VALU_DEP_1)
	v_dual_sub_f32 v10, v11, v10 :: v_dual_add_f32 v25, 1.0, v12
	v_add_f32_e32 v10, v10, v24
	s_delay_alu instid0(VALU_DEP_2) | instskip(NEXT) | instid1(VALU_DEP_2)
	v_add_f32_e32 v24, -1.0, v25
	v_ldexp_f32 v10, v10, v23
	v_add_f32_e32 v23, -1.0, v12
	s_delay_alu instid0(VALU_DEP_3) | instskip(NEXT) | instid1(VALU_DEP_2)
	v_sub_f32_e32 v24, v12, v24
	v_add_f32_e32 v26, 1.0, v23
	s_delay_alu instid0(VALU_DEP_2) | instskip(NEXT) | instid1(VALU_DEP_2)
	v_add_f32_e32 v24, v10, v24
	v_sub_f32_e32 v12, v12, v26
	s_delay_alu instid0(VALU_DEP_2) | instskip(NEXT) | instid1(VALU_DEP_2)
	v_add_f32_e32 v26, v25, v24
	v_add_f32_e32 v10, v10, v12
	s_delay_alu instid0(VALU_DEP_2) | instskip(SKIP_1) | instid1(VALU_DEP_1)
	v_rcp_f32_e32 v12, v26
	v_sub_f32_e32 v25, v25, v26
	v_dual_add_f32 v27, v23, v10 :: v_dual_add_f32 v24, v24, v25
	s_delay_alu instid0(VALU_DEP_1) | instskip(SKIP_3) | instid1(VALU_DEP_2)
	v_sub_f32_e32 v23, v23, v27
	s_waitcnt_depctr 0xfff
	v_mul_f32_e32 v28, v27, v12
	v_add_f32_e32 v10, v10, v23
	v_mul_f32_e32 v29, v26, v28
	s_delay_alu instid0(VALU_DEP_1) | instskip(NEXT) | instid1(VALU_DEP_1)
	v_fma_f32 v25, v28, v26, -v29
	v_fmac_f32_e32 v25, v28, v24
	s_delay_alu instid0(VALU_DEP_1) | instskip(NEXT) | instid1(VALU_DEP_1)
	v_add_f32_e32 v30, v29, v25
	v_sub_f32_e32 v31, v27, v30
	v_sub_f32_e32 v23, v30, v29
	s_delay_alu instid0(VALU_DEP_2) | instskip(NEXT) | instid1(VALU_DEP_2)
	v_sub_f32_e32 v27, v27, v31
	v_sub_f32_e32 v23, v23, v25
	s_delay_alu instid0(VALU_DEP_2) | instskip(NEXT) | instid1(VALU_DEP_1)
	v_sub_f32_e32 v27, v27, v30
	v_add_f32_e32 v10, v10, v27
	s_delay_alu instid0(VALU_DEP_1) | instskip(NEXT) | instid1(VALU_DEP_1)
	v_add_f32_e32 v10, v23, v10
	v_add_f32_e32 v23, v31, v10
	s_delay_alu instid0(VALU_DEP_1) | instskip(NEXT) | instid1(VALU_DEP_1)
	v_mul_f32_e32 v25, v12, v23
	v_dual_sub_f32 v30, v31, v23 :: v_dual_mul_f32 v27, v26, v25
	s_delay_alu instid0(VALU_DEP_1) | instskip(NEXT) | instid1(VALU_DEP_1)
	v_fma_f32 v26, v25, v26, -v27
	v_fmac_f32_e32 v26, v25, v24
	s_delay_alu instid0(VALU_DEP_1) | instskip(NEXT) | instid1(VALU_DEP_1)
	v_add_f32_e32 v24, v27, v26
	v_sub_f32_e32 v29, v23, v24
	v_dual_sub_f32 v27, v24, v27 :: v_dual_add_f32 v10, v10, v30
	s_delay_alu instid0(VALU_DEP_2) | instskip(NEXT) | instid1(VALU_DEP_1)
	v_sub_f32_e32 v23, v23, v29
	v_sub_f32_e32 v23, v23, v24
	s_delay_alu instid0(VALU_DEP_1) | instskip(NEXT) | instid1(VALU_DEP_4)
	v_dual_add_f32 v10, v10, v23 :: v_dual_add_f32 v23, v28, v25
	v_sub_f32_e32 v24, v27, v26
	s_delay_alu instid0(VALU_DEP_1) | instskip(NEXT) | instid1(VALU_DEP_3)
	v_add_f32_e32 v10, v24, v10
	v_sub_f32_e32 v24, v23, v28
	s_delay_alu instid0(VALU_DEP_2) | instskip(NEXT) | instid1(VALU_DEP_2)
	v_add_f32_e32 v10, v29, v10
	v_sub_f32_e32 v24, v25, v24
	s_delay_alu instid0(VALU_DEP_2) | instskip(NEXT) | instid1(VALU_DEP_1)
	v_mul_f32_e32 v10, v12, v10
	v_add_f32_e32 v10, v24, v10
	s_delay_alu instid0(VALU_DEP_1) | instskip(NEXT) | instid1(VALU_DEP_1)
	v_add_f32_e32 v12, v23, v10
	v_mul_f32_e32 v24, v12, v12
	s_delay_alu instid0(VALU_DEP_1) | instskip(SKIP_2) | instid1(VALU_DEP_3)
	v_fmaak_f32 v25, s7, v24, 0x3ecc95a3
	v_mul_f32_e32 v26, v12, v24
	v_cmp_eq_f32_e64 s7, 0x7f800000, v11
	v_fmaak_f32 v24, v24, v25, 0x3f2aaada
	v_ldexp_f32 v25, v12, 1
	v_sub_f32_e32 v12, v12, v23
	s_delay_alu instid0(VALU_DEP_4) | instskip(NEXT) | instid1(VALU_DEP_3)
	s_or_b32 s7, s7, s10
	v_mul_f32_e32 v24, v26, v24
	v_mul_f32_e32 v26, 0x3f317218, v9
	s_delay_alu instid0(VALU_DEP_3) | instskip(NEXT) | instid1(VALU_DEP_3)
	v_sub_f32_e32 v10, v10, v12
	v_add_f32_e32 v23, v25, v24
	s_delay_alu instid0(VALU_DEP_2) | instskip(NEXT) | instid1(VALU_DEP_2)
	v_ldexp_f32 v10, v10, 1
	v_sub_f32_e32 v12, v23, v25
	v_fma_f32 v25, 0x3f317218, v9, -v26
	s_delay_alu instid0(VALU_DEP_1) | instskip(NEXT) | instid1(VALU_DEP_1)
	v_dual_sub_f32 v12, v24, v12 :: v_dual_fmamk_f32 v9, v9, 0xb102e308, v25
	v_add_f32_e32 v10, v10, v12
	s_delay_alu instid0(VALU_DEP_2) | instskip(NEXT) | instid1(VALU_DEP_2)
	v_add_f32_e32 v12, v26, v9
	v_add_f32_e32 v24, v23, v10
	s_delay_alu instid0(VALU_DEP_2) | instskip(NEXT) | instid1(VALU_DEP_2)
	v_sub_f32_e32 v26, v12, v26
	v_add_f32_e32 v25, v12, v24
	v_sub_f32_e32 v23, v24, v23
	s_delay_alu instid0(VALU_DEP_3) | instskip(NEXT) | instid1(VALU_DEP_2)
	v_sub_f32_e32 v9, v9, v26
	v_dual_sub_f32 v27, v25, v12 :: v_dual_sub_f32 v10, v10, v23
	s_delay_alu instid0(VALU_DEP_1) | instskip(NEXT) | instid1(VALU_DEP_2)
	v_sub_f32_e32 v28, v25, v27
	v_dual_sub_f32 v23, v24, v27 :: v_dual_add_f32 v24, v9, v10
	s_delay_alu instid0(VALU_DEP_2) | instskip(NEXT) | instid1(VALU_DEP_1)
	v_sub_f32_e32 v12, v12, v28
	v_dual_add_f32 v12, v23, v12 :: v_dual_sub_f32 v23, v24, v9
	s_delay_alu instid0(VALU_DEP_1) | instskip(NEXT) | instid1(VALU_DEP_2)
	v_add_f32_e32 v12, v24, v12
	v_sub_f32_e32 v24, v24, v23
	v_sub_f32_e32 v10, v10, v23
	s_delay_alu instid0(VALU_DEP_3) | instskip(NEXT) | instid1(VALU_DEP_3)
	v_add_f32_e32 v26, v25, v12
	v_sub_f32_e32 v9, v9, v24
	s_delay_alu instid0(VALU_DEP_2) | instskip(NEXT) | instid1(VALU_DEP_1)
	v_sub_f32_e32 v23, v26, v25
	v_dual_add_f32 v9, v10, v9 :: v_dual_sub_f32 v10, v12, v23
	s_delay_alu instid0(VALU_DEP_1) | instskip(NEXT) | instid1(VALU_DEP_1)
	v_add_f32_e32 v9, v9, v10
	v_add_f32_e32 v9, v26, v9
	s_delay_alu instid0(VALU_DEP_1) | instskip(NEXT) | instid1(VALU_DEP_1)
	v_cndmask_b32_e64 v9, v9, v11, s7
	v_add_f32_e32 v10, v4, v9
.LBB145_29:
	s_or_b32 exec_lo, exec_lo, s9
	ds_load_b32 v4, v5 offset:28
	v_max_f32_e32 v9, v10, v10
	v_cmp_u_f32_e64 s7, v10, v10
	s_waitcnt lgkmcnt(0)
	v_max_f32_e32 v11, v4, v4
	s_delay_alu instid0(VALU_DEP_1) | instskip(SKIP_1) | instid1(VALU_DEP_2)
	v_min_f32_e32 v12, v9, v11
	v_max_f32_e32 v9, v9, v11
	v_cndmask_b32_e64 v11, v12, v10, s7
	s_delay_alu instid0(VALU_DEP_2) | instskip(SKIP_1) | instid1(VALU_DEP_1)
	v_cndmask_b32_e64 v12, v9, v10, s7
	v_cmp_u_f32_e64 s7, v4, v4
	v_cndmask_b32_e64 v9, v11, v4, s7
	s_delay_alu instid0(VALU_DEP_3) | instskip(NEXT) | instid1(VALU_DEP_2)
	v_cndmask_b32_e64 v4, v12, v4, s7
	v_cmp_class_f32_e64 s9, v9, 0x1f8
	s_delay_alu instid0(VALU_DEP_2) | instskip(NEXT) | instid1(VALU_DEP_1)
	v_cmp_neq_f32_e64 s7, v9, v4
	s_or_b32 s7, s7, s9
	s_delay_alu instid0(SALU_CYCLE_1)
	s_and_saveexec_b32 s9, s7
	s_cbranch_execz .LBB145_31
; %bb.30:
	v_sub_f32_e32 v9, v9, v4
	s_delay_alu instid0(VALU_DEP_1) | instskip(NEXT) | instid1(VALU_DEP_1)
	v_mul_f32_e32 v10, 0x3fb8aa3b, v9
	v_fma_f32 v11, 0x3fb8aa3b, v9, -v10
	v_rndne_f32_e32 v12, v10
	s_delay_alu instid0(VALU_DEP_1) | instskip(NEXT) | instid1(VALU_DEP_1)
	v_dual_fmamk_f32 v11, v9, 0x32a5705f, v11 :: v_dual_sub_f32 v10, v10, v12
	v_add_f32_e32 v10, v10, v11
	v_cvt_i32_f32_e32 v11, v12
	v_cmp_ngt_f32_e64 s7, 0xc2ce8ed0, v9
	s_delay_alu instid0(VALU_DEP_3) | instskip(SKIP_2) | instid1(VALU_DEP_1)
	v_exp_f32_e32 v10, v10
	s_waitcnt_depctr 0xfff
	v_ldexp_f32 v10, v10, v11
	v_cndmask_b32_e64 v10, 0, v10, s7
	v_cmp_nlt_f32_e64 s7, 0x42b17218, v9
	s_delay_alu instid0(VALU_DEP_1) | instskip(NEXT) | instid1(VALU_DEP_1)
	v_cndmask_b32_e64 v11, 0x7f800000, v10, s7
	v_add_f32_e32 v12, 1.0, v11
	v_cmp_gt_f32_e64 s10, 0x33800000, |v11|
	s_delay_alu instid0(VALU_DEP_2) | instskip(NEXT) | instid1(VALU_DEP_1)
	v_cvt_f64_f32_e32 v[9:10], v12
	v_frexp_exp_i32_f64_e32 v9, v[9:10]
	v_frexp_mant_f32_e32 v10, v12
	s_delay_alu instid0(VALU_DEP_1) | instskip(SKIP_1) | instid1(VALU_DEP_1)
	v_cmp_gt_f32_e64 s7, 0x3f2aaaab, v10
	v_add_f32_e32 v10, -1.0, v12
	v_sub_f32_e32 v24, v10, v12
	s_delay_alu instid0(VALU_DEP_1) | instskip(NEXT) | instid1(VALU_DEP_4)
	v_add_f32_e32 v24, 1.0, v24
	v_subrev_co_ci_u32_e64 v9, s7, 0, v9, s7
	s_mov_b32 s7, 0x3e9b6dac
	s_delay_alu instid0(VALU_DEP_1) | instskip(SKIP_1) | instid1(VALU_DEP_2)
	v_sub_nc_u32_e32 v23, 0, v9
	v_cvt_f32_i32_e32 v9, v9
	v_ldexp_f32 v12, v12, v23
	s_delay_alu instid0(VALU_DEP_1) | instskip(NEXT) | instid1(VALU_DEP_1)
	v_dual_sub_f32 v10, v11, v10 :: v_dual_add_f32 v25, 1.0, v12
	v_add_f32_e32 v10, v10, v24
	s_delay_alu instid0(VALU_DEP_2) | instskip(NEXT) | instid1(VALU_DEP_2)
	v_add_f32_e32 v24, -1.0, v25
	v_ldexp_f32 v10, v10, v23
	v_add_f32_e32 v23, -1.0, v12
	s_delay_alu instid0(VALU_DEP_3) | instskip(NEXT) | instid1(VALU_DEP_2)
	v_sub_f32_e32 v24, v12, v24
	v_add_f32_e32 v26, 1.0, v23
	s_delay_alu instid0(VALU_DEP_2) | instskip(NEXT) | instid1(VALU_DEP_2)
	v_add_f32_e32 v24, v10, v24
	v_sub_f32_e32 v12, v12, v26
	s_delay_alu instid0(VALU_DEP_2) | instskip(NEXT) | instid1(VALU_DEP_2)
	v_add_f32_e32 v26, v25, v24
	v_add_f32_e32 v10, v10, v12
	s_delay_alu instid0(VALU_DEP_2) | instskip(SKIP_1) | instid1(VALU_DEP_1)
	v_rcp_f32_e32 v12, v26
	v_sub_f32_e32 v25, v25, v26
	v_dual_add_f32 v27, v23, v10 :: v_dual_add_f32 v24, v24, v25
	s_delay_alu instid0(VALU_DEP_1) | instskip(SKIP_3) | instid1(VALU_DEP_2)
	v_sub_f32_e32 v23, v23, v27
	s_waitcnt_depctr 0xfff
	v_mul_f32_e32 v28, v27, v12
	v_add_f32_e32 v10, v10, v23
	v_mul_f32_e32 v29, v26, v28
	s_delay_alu instid0(VALU_DEP_1) | instskip(NEXT) | instid1(VALU_DEP_1)
	v_fma_f32 v25, v28, v26, -v29
	v_fmac_f32_e32 v25, v28, v24
	s_delay_alu instid0(VALU_DEP_1) | instskip(NEXT) | instid1(VALU_DEP_1)
	v_add_f32_e32 v30, v29, v25
	v_sub_f32_e32 v31, v27, v30
	v_sub_f32_e32 v23, v30, v29
	s_delay_alu instid0(VALU_DEP_2) | instskip(NEXT) | instid1(VALU_DEP_2)
	v_sub_f32_e32 v27, v27, v31
	v_sub_f32_e32 v23, v23, v25
	s_delay_alu instid0(VALU_DEP_2) | instskip(NEXT) | instid1(VALU_DEP_1)
	v_sub_f32_e32 v27, v27, v30
	v_add_f32_e32 v10, v10, v27
	s_delay_alu instid0(VALU_DEP_1) | instskip(NEXT) | instid1(VALU_DEP_1)
	v_add_f32_e32 v10, v23, v10
	v_add_f32_e32 v23, v31, v10
	s_delay_alu instid0(VALU_DEP_1) | instskip(NEXT) | instid1(VALU_DEP_1)
	v_mul_f32_e32 v25, v12, v23
	v_dual_sub_f32 v30, v31, v23 :: v_dual_mul_f32 v27, v26, v25
	s_delay_alu instid0(VALU_DEP_1) | instskip(NEXT) | instid1(VALU_DEP_1)
	v_fma_f32 v26, v25, v26, -v27
	v_fmac_f32_e32 v26, v25, v24
	s_delay_alu instid0(VALU_DEP_1) | instskip(NEXT) | instid1(VALU_DEP_1)
	v_add_f32_e32 v24, v27, v26
	v_sub_f32_e32 v29, v23, v24
	v_dual_sub_f32 v27, v24, v27 :: v_dual_add_f32 v10, v10, v30
	s_delay_alu instid0(VALU_DEP_2) | instskip(NEXT) | instid1(VALU_DEP_1)
	v_sub_f32_e32 v23, v23, v29
	v_sub_f32_e32 v23, v23, v24
	s_delay_alu instid0(VALU_DEP_1) | instskip(NEXT) | instid1(VALU_DEP_4)
	v_dual_add_f32 v10, v10, v23 :: v_dual_add_f32 v23, v28, v25
	v_sub_f32_e32 v24, v27, v26
	s_delay_alu instid0(VALU_DEP_1) | instskip(NEXT) | instid1(VALU_DEP_3)
	v_add_f32_e32 v10, v24, v10
	v_sub_f32_e32 v24, v23, v28
	s_delay_alu instid0(VALU_DEP_2) | instskip(NEXT) | instid1(VALU_DEP_2)
	v_add_f32_e32 v10, v29, v10
	v_sub_f32_e32 v24, v25, v24
	s_delay_alu instid0(VALU_DEP_2) | instskip(NEXT) | instid1(VALU_DEP_1)
	v_mul_f32_e32 v10, v12, v10
	v_add_f32_e32 v10, v24, v10
	s_delay_alu instid0(VALU_DEP_1) | instskip(NEXT) | instid1(VALU_DEP_1)
	v_add_f32_e32 v12, v23, v10
	v_mul_f32_e32 v24, v12, v12
	s_delay_alu instid0(VALU_DEP_1) | instskip(SKIP_2) | instid1(VALU_DEP_3)
	v_fmaak_f32 v25, s7, v24, 0x3ecc95a3
	v_mul_f32_e32 v26, v12, v24
	v_cmp_eq_f32_e64 s7, 0x7f800000, v11
	v_fmaak_f32 v24, v24, v25, 0x3f2aaada
	v_ldexp_f32 v25, v12, 1
	v_sub_f32_e32 v12, v12, v23
	s_delay_alu instid0(VALU_DEP_4) | instskip(NEXT) | instid1(VALU_DEP_3)
	s_or_b32 s7, s7, s10
	v_mul_f32_e32 v24, v26, v24
	v_mul_f32_e32 v26, 0x3f317218, v9
	s_delay_alu instid0(VALU_DEP_3) | instskip(NEXT) | instid1(VALU_DEP_3)
	v_sub_f32_e32 v10, v10, v12
	v_add_f32_e32 v23, v25, v24
	s_delay_alu instid0(VALU_DEP_2) | instskip(NEXT) | instid1(VALU_DEP_2)
	v_ldexp_f32 v10, v10, 1
	v_sub_f32_e32 v12, v23, v25
	v_fma_f32 v25, 0x3f317218, v9, -v26
	s_delay_alu instid0(VALU_DEP_1) | instskip(NEXT) | instid1(VALU_DEP_1)
	v_dual_sub_f32 v12, v24, v12 :: v_dual_fmamk_f32 v9, v9, 0xb102e308, v25
	v_add_f32_e32 v10, v10, v12
	s_delay_alu instid0(VALU_DEP_2) | instskip(NEXT) | instid1(VALU_DEP_2)
	v_add_f32_e32 v12, v26, v9
	v_add_f32_e32 v24, v23, v10
	s_delay_alu instid0(VALU_DEP_2) | instskip(NEXT) | instid1(VALU_DEP_2)
	v_sub_f32_e32 v26, v12, v26
	v_add_f32_e32 v25, v12, v24
	v_sub_f32_e32 v23, v24, v23
	s_delay_alu instid0(VALU_DEP_3) | instskip(NEXT) | instid1(VALU_DEP_2)
	v_sub_f32_e32 v9, v9, v26
	v_dual_sub_f32 v27, v25, v12 :: v_dual_sub_f32 v10, v10, v23
	s_delay_alu instid0(VALU_DEP_1) | instskip(NEXT) | instid1(VALU_DEP_2)
	v_sub_f32_e32 v28, v25, v27
	v_dual_sub_f32 v23, v24, v27 :: v_dual_add_f32 v24, v9, v10
	s_delay_alu instid0(VALU_DEP_2) | instskip(NEXT) | instid1(VALU_DEP_1)
	v_sub_f32_e32 v12, v12, v28
	v_dual_add_f32 v12, v23, v12 :: v_dual_sub_f32 v23, v24, v9
	s_delay_alu instid0(VALU_DEP_1) | instskip(NEXT) | instid1(VALU_DEP_2)
	v_add_f32_e32 v12, v24, v12
	v_sub_f32_e32 v24, v24, v23
	v_sub_f32_e32 v10, v10, v23
	s_delay_alu instid0(VALU_DEP_3) | instskip(NEXT) | instid1(VALU_DEP_3)
	v_add_f32_e32 v26, v25, v12
	v_sub_f32_e32 v9, v9, v24
	s_delay_alu instid0(VALU_DEP_2) | instskip(NEXT) | instid1(VALU_DEP_1)
	v_sub_f32_e32 v23, v26, v25
	v_dual_add_f32 v9, v10, v9 :: v_dual_sub_f32 v10, v12, v23
	s_delay_alu instid0(VALU_DEP_1) | instskip(NEXT) | instid1(VALU_DEP_1)
	v_add_f32_e32 v9, v9, v10
	v_add_f32_e32 v9, v26, v9
	s_delay_alu instid0(VALU_DEP_1) | instskip(NEXT) | instid1(VALU_DEP_1)
	v_cndmask_b32_e64 v9, v9, v11, s7
	v_add_f32_e32 v10, v4, v9
.LBB145_31:
	s_or_b32 exec_lo, exec_lo, s9
	v_mbcnt_lo_u32_b32 v4, -1, 0
	s_delay_alu instid0(VALU_DEP_2) | instskip(SKIP_1) | instid1(VALU_DEP_2)
	v_mov_b32_dpp v11, v10 row_shr:1 row_mask:0xf bank_mask:0xf
	s_mov_b32 s9, exec_lo
	v_and_b32_e32 v9, 15, v4
	s_delay_alu instid0(VALU_DEP_1)
	v_cmpx_ne_u32_e32 0, v9
	s_xor_b32 s9, exec_lo, s9
	s_cbranch_execz .LBB145_35
; %bb.32:
	v_dual_max_f32 v12, v10, v10 :: v_dual_max_f32 v23, v11, v11
	v_cmp_u_f32_e64 s7, v11, v11
	s_delay_alu instid0(VALU_DEP_2) | instskip(SKIP_1) | instid1(VALU_DEP_2)
	v_min_f32_e32 v24, v23, v12
	v_max_f32_e32 v12, v23, v12
	v_cndmask_b32_e64 v23, v24, v11, s7
	s_delay_alu instid0(VALU_DEP_2) | instskip(SKIP_1) | instid1(VALU_DEP_1)
	v_cndmask_b32_e64 v24, v12, v11, s7
	v_cmp_u_f32_e64 s7, v10, v10
	v_cndmask_b32_e64 v12, v23, v10, s7
	s_delay_alu instid0(VALU_DEP_3) | instskip(NEXT) | instid1(VALU_DEP_2)
	v_cndmask_b32_e64 v10, v24, v10, s7
	v_cmp_class_f32_e64 s10, v12, 0x1f8
	s_delay_alu instid0(VALU_DEP_2) | instskip(NEXT) | instid1(VALU_DEP_1)
	v_cmp_neq_f32_e64 s7, v12, v10
	s_or_b32 s7, s7, s10
	s_delay_alu instid0(SALU_CYCLE_1)
	s_and_saveexec_b32 s10, s7
	s_cbranch_execz .LBB145_34
; %bb.33:
	v_sub_f32_e32 v11, v12, v10
	s_delay_alu instid0(VALU_DEP_1) | instskip(SKIP_1) | instid1(VALU_DEP_2)
	v_mul_f32_e32 v12, 0x3fb8aa3b, v11
	v_cmp_ngt_f32_e64 s7, 0xc2ce8ed0, v11
	v_fma_f32 v23, 0x3fb8aa3b, v11, -v12
	v_rndne_f32_e32 v24, v12
	s_delay_alu instid0(VALU_DEP_1) | instskip(NEXT) | instid1(VALU_DEP_1)
	v_dual_fmamk_f32 v23, v11, 0x32a5705f, v23 :: v_dual_sub_f32 v12, v12, v24
	v_add_f32_e32 v12, v12, v23
	v_cvt_i32_f32_e32 v23, v24
	s_delay_alu instid0(VALU_DEP_2) | instskip(SKIP_2) | instid1(VALU_DEP_1)
	v_exp_f32_e32 v12, v12
	s_waitcnt_depctr 0xfff
	v_ldexp_f32 v12, v12, v23
	v_cndmask_b32_e64 v12, 0, v12, s7
	v_cmp_nlt_f32_e64 s7, 0x42b17218, v11
	s_delay_alu instid0(VALU_DEP_1) | instskip(NEXT) | instid1(VALU_DEP_1)
	v_cndmask_b32_e64 v23, 0x7f800000, v12, s7
	v_add_f32_e32 v24, 1.0, v23
	v_cmp_gt_f32_e64 s11, 0x33800000, |v23|
	s_delay_alu instid0(VALU_DEP_2) | instskip(NEXT) | instid1(VALU_DEP_1)
	v_cvt_f64_f32_e32 v[11:12], v24
	v_frexp_exp_i32_f64_e32 v11, v[11:12]
	v_frexp_mant_f32_e32 v12, v24
	s_delay_alu instid0(VALU_DEP_1) | instskip(SKIP_1) | instid1(VALU_DEP_1)
	v_cmp_gt_f32_e64 s7, 0x3f2aaaab, v12
	v_add_f32_e32 v12, -1.0, v24
	v_sub_f32_e32 v26, v12, v24
	v_sub_f32_e32 v12, v23, v12
	s_delay_alu instid0(VALU_DEP_2) | instskip(SKIP_2) | instid1(VALU_DEP_1)
	v_add_f32_e32 v26, 1.0, v26
	v_subrev_co_ci_u32_e64 v11, s7, 0, v11, s7
	s_mov_b32 s7, 0x3e9b6dac
	v_sub_nc_u32_e32 v25, 0, v11
	v_cvt_f32_i32_e32 v11, v11
	s_delay_alu instid0(VALU_DEP_2) | instskip(NEXT) | instid1(VALU_DEP_1)
	v_ldexp_f32 v24, v24, v25
	v_dual_add_f32 v27, 1.0, v24 :: v_dual_add_f32 v12, v12, v26
	s_delay_alu instid0(VALU_DEP_1) | instskip(NEXT) | instid1(VALU_DEP_2)
	v_add_f32_e32 v26, -1.0, v27
	v_ldexp_f32 v12, v12, v25
	s_delay_alu instid0(VALU_DEP_2) | instskip(NEXT) | instid1(VALU_DEP_1)
	v_dual_add_f32 v25, -1.0, v24 :: v_dual_sub_f32 v26, v24, v26
	v_add_f32_e32 v28, 1.0, v25
	s_delay_alu instid0(VALU_DEP_2) | instskip(NEXT) | instid1(VALU_DEP_2)
	v_add_f32_e32 v26, v12, v26
	v_sub_f32_e32 v24, v24, v28
	s_delay_alu instid0(VALU_DEP_2) | instskip(NEXT) | instid1(VALU_DEP_2)
	v_add_f32_e32 v28, v27, v26
	v_add_f32_e32 v12, v12, v24
	s_delay_alu instid0(VALU_DEP_2) | instskip(SKIP_1) | instid1(VALU_DEP_1)
	v_rcp_f32_e32 v24, v28
	v_sub_f32_e32 v27, v27, v28
	v_dual_add_f32 v29, v25, v12 :: v_dual_add_f32 v26, v26, v27
	s_delay_alu instid0(VALU_DEP_1) | instskip(SKIP_3) | instid1(VALU_DEP_2)
	v_sub_f32_e32 v25, v25, v29
	s_waitcnt_depctr 0xfff
	v_mul_f32_e32 v30, v29, v24
	v_add_f32_e32 v12, v12, v25
	v_mul_f32_e32 v31, v28, v30
	s_delay_alu instid0(VALU_DEP_1) | instskip(NEXT) | instid1(VALU_DEP_1)
	v_fma_f32 v27, v30, v28, -v31
	v_fmac_f32_e32 v27, v30, v26
	s_delay_alu instid0(VALU_DEP_1) | instskip(NEXT) | instid1(VALU_DEP_1)
	v_add_f32_e32 v32, v31, v27
	v_sub_f32_e32 v33, v29, v32
	v_sub_f32_e32 v25, v32, v31
	s_delay_alu instid0(VALU_DEP_2) | instskip(NEXT) | instid1(VALU_DEP_2)
	v_sub_f32_e32 v29, v29, v33
	v_sub_f32_e32 v25, v25, v27
	s_delay_alu instid0(VALU_DEP_2) | instskip(NEXT) | instid1(VALU_DEP_1)
	v_sub_f32_e32 v29, v29, v32
	v_add_f32_e32 v12, v12, v29
	s_delay_alu instid0(VALU_DEP_1) | instskip(NEXT) | instid1(VALU_DEP_1)
	v_add_f32_e32 v12, v25, v12
	v_add_f32_e32 v25, v33, v12
	s_delay_alu instid0(VALU_DEP_1) | instskip(NEXT) | instid1(VALU_DEP_1)
	v_mul_f32_e32 v27, v24, v25
	v_dual_sub_f32 v32, v33, v25 :: v_dual_mul_f32 v29, v28, v27
	s_delay_alu instid0(VALU_DEP_1) | instskip(NEXT) | instid1(VALU_DEP_2)
	v_add_f32_e32 v12, v12, v32
	v_fma_f32 v28, v27, v28, -v29
	s_delay_alu instid0(VALU_DEP_1) | instskip(NEXT) | instid1(VALU_DEP_1)
	v_fmac_f32_e32 v28, v27, v26
	v_add_f32_e32 v26, v29, v28
	s_delay_alu instid0(VALU_DEP_1) | instskip(SKIP_1) | instid1(VALU_DEP_2)
	v_sub_f32_e32 v31, v25, v26
	v_sub_f32_e32 v29, v26, v29
	;; [unrolled: 1-line block ×3, first 2 shown]
	s_delay_alu instid0(VALU_DEP_1) | instskip(NEXT) | instid1(VALU_DEP_1)
	v_sub_f32_e32 v25, v25, v26
	v_dual_add_f32 v12, v12, v25 :: v_dual_add_f32 v25, v30, v27
	s_delay_alu instid0(VALU_DEP_4) | instskip(NEXT) | instid1(VALU_DEP_1)
	v_sub_f32_e32 v26, v29, v28
	v_add_f32_e32 v12, v26, v12
	s_delay_alu instid0(VALU_DEP_3) | instskip(NEXT) | instid1(VALU_DEP_2)
	v_sub_f32_e32 v26, v25, v30
	v_add_f32_e32 v12, v31, v12
	s_delay_alu instid0(VALU_DEP_2) | instskip(NEXT) | instid1(VALU_DEP_2)
	v_sub_f32_e32 v26, v27, v26
	v_mul_f32_e32 v12, v24, v12
	s_delay_alu instid0(VALU_DEP_1) | instskip(NEXT) | instid1(VALU_DEP_1)
	v_add_f32_e32 v12, v26, v12
	v_add_f32_e32 v24, v25, v12
	s_delay_alu instid0(VALU_DEP_1) | instskip(NEXT) | instid1(VALU_DEP_1)
	v_mul_f32_e32 v26, v24, v24
	v_fmaak_f32 v27, s7, v26, 0x3ecc95a3
	v_mul_f32_e32 v28, v24, v26
	v_cmp_eq_f32_e64 s7, 0x7f800000, v23
	s_delay_alu instid0(VALU_DEP_3) | instskip(SKIP_2) | instid1(VALU_DEP_4)
	v_fmaak_f32 v26, v26, v27, 0x3f2aaada
	v_ldexp_f32 v27, v24, 1
	v_sub_f32_e32 v24, v24, v25
	s_or_b32 s7, s7, s11
	s_delay_alu instid0(VALU_DEP_3) | instskip(SKIP_1) | instid1(VALU_DEP_2)
	v_mul_f32_e32 v26, v28, v26
	v_mul_f32_e32 v28, 0x3f317218, v11
	v_dual_sub_f32 v12, v12, v24 :: v_dual_add_f32 v25, v27, v26
	s_delay_alu instid0(VALU_DEP_1) | instskip(NEXT) | instid1(VALU_DEP_2)
	v_ldexp_f32 v12, v12, 1
	v_sub_f32_e32 v24, v25, v27
	s_delay_alu instid0(VALU_DEP_4) | instskip(NEXT) | instid1(VALU_DEP_1)
	v_fma_f32 v27, 0x3f317218, v11, -v28
	v_dual_sub_f32 v24, v26, v24 :: v_dual_fmamk_f32 v11, v11, 0xb102e308, v27
	s_delay_alu instid0(VALU_DEP_1) | instskip(NEXT) | instid1(VALU_DEP_2)
	v_add_f32_e32 v12, v12, v24
	v_add_f32_e32 v24, v28, v11
	s_delay_alu instid0(VALU_DEP_2) | instskip(NEXT) | instid1(VALU_DEP_2)
	v_add_f32_e32 v26, v25, v12
	v_sub_f32_e32 v28, v24, v28
	s_delay_alu instid0(VALU_DEP_2) | instskip(SKIP_1) | instid1(VALU_DEP_3)
	v_add_f32_e32 v27, v24, v26
	v_sub_f32_e32 v25, v26, v25
	v_sub_f32_e32 v11, v11, v28
	s_delay_alu instid0(VALU_DEP_2) | instskip(NEXT) | instid1(VALU_DEP_1)
	v_dual_sub_f32 v29, v27, v24 :: v_dual_sub_f32 v12, v12, v25
	v_sub_f32_e32 v30, v27, v29
	s_delay_alu instid0(VALU_DEP_2) | instskip(NEXT) | instid1(VALU_DEP_2)
	v_dual_sub_f32 v25, v26, v29 :: v_dual_add_f32 v26, v11, v12
	v_sub_f32_e32 v24, v24, v30
	s_delay_alu instid0(VALU_DEP_1) | instskip(NEXT) | instid1(VALU_DEP_1)
	v_dual_add_f32 v24, v25, v24 :: v_dual_sub_f32 v25, v26, v11
	v_add_f32_e32 v24, v26, v24
	s_delay_alu instid0(VALU_DEP_2) | instskip(SKIP_1) | instid1(VALU_DEP_3)
	v_sub_f32_e32 v26, v26, v25
	v_sub_f32_e32 v12, v12, v25
	v_add_f32_e32 v28, v27, v24
	s_delay_alu instid0(VALU_DEP_3) | instskip(NEXT) | instid1(VALU_DEP_2)
	v_sub_f32_e32 v11, v11, v26
	v_sub_f32_e32 v25, v28, v27
	s_delay_alu instid0(VALU_DEP_2) | instskip(NEXT) | instid1(VALU_DEP_2)
	v_add_f32_e32 v11, v12, v11
	v_sub_f32_e32 v12, v24, v25
	s_delay_alu instid0(VALU_DEP_1) | instskip(NEXT) | instid1(VALU_DEP_1)
	v_add_f32_e32 v11, v11, v12
	v_add_f32_e32 v11, v28, v11
	s_delay_alu instid0(VALU_DEP_1) | instskip(NEXT) | instid1(VALU_DEP_1)
	v_cndmask_b32_e64 v11, v11, v23, s7
	v_add_f32_e32 v11, v10, v11
.LBB145_34:
	s_or_b32 exec_lo, exec_lo, s10
	s_delay_alu instid0(VALU_DEP_1)
	v_mov_b32_e32 v10, v11
.LBB145_35:
	s_or_b32 exec_lo, exec_lo, s9
	s_delay_alu instid0(VALU_DEP_1)
	v_mov_b32_dpp v11, v10 row_shr:2 row_mask:0xf bank_mask:0xf
	s_mov_b32 s9, exec_lo
	v_cmpx_lt_u32_e32 1, v9
	s_cbranch_execz .LBB145_39
; %bb.36:
	s_delay_alu instid0(VALU_DEP_2) | instskip(SKIP_1) | instid1(VALU_DEP_2)
	v_dual_max_f32 v12, v10, v10 :: v_dual_max_f32 v23, v11, v11
	v_cmp_u_f32_e64 s7, v11, v11
	v_min_f32_e32 v24, v23, v12
	v_max_f32_e32 v12, v23, v12
	s_delay_alu instid0(VALU_DEP_2) | instskip(NEXT) | instid1(VALU_DEP_2)
	v_cndmask_b32_e64 v23, v24, v11, s7
	v_cndmask_b32_e64 v24, v12, v11, s7
	v_cmp_u_f32_e64 s7, v10, v10
	s_delay_alu instid0(VALU_DEP_1) | instskip(NEXT) | instid1(VALU_DEP_3)
	v_cndmask_b32_e64 v12, v23, v10, s7
	v_cndmask_b32_e64 v10, v24, v10, s7
	s_delay_alu instid0(VALU_DEP_2) | instskip(NEXT) | instid1(VALU_DEP_2)
	v_cmp_class_f32_e64 s10, v12, 0x1f8
	v_cmp_neq_f32_e64 s7, v12, v10
	s_delay_alu instid0(VALU_DEP_1) | instskip(NEXT) | instid1(SALU_CYCLE_1)
	s_or_b32 s7, s7, s10
	s_and_saveexec_b32 s10, s7
	s_cbranch_execz .LBB145_38
; %bb.37:
	v_sub_f32_e32 v11, v12, v10
	s_delay_alu instid0(VALU_DEP_1) | instskip(SKIP_1) | instid1(VALU_DEP_2)
	v_mul_f32_e32 v12, 0x3fb8aa3b, v11
	v_cmp_ngt_f32_e64 s7, 0xc2ce8ed0, v11
	v_fma_f32 v23, 0x3fb8aa3b, v11, -v12
	v_rndne_f32_e32 v24, v12
	s_delay_alu instid0(VALU_DEP_1) | instskip(NEXT) | instid1(VALU_DEP_1)
	v_dual_fmamk_f32 v23, v11, 0x32a5705f, v23 :: v_dual_sub_f32 v12, v12, v24
	v_add_f32_e32 v12, v12, v23
	v_cvt_i32_f32_e32 v23, v24
	s_delay_alu instid0(VALU_DEP_2) | instskip(SKIP_2) | instid1(VALU_DEP_1)
	v_exp_f32_e32 v12, v12
	s_waitcnt_depctr 0xfff
	v_ldexp_f32 v12, v12, v23
	v_cndmask_b32_e64 v12, 0, v12, s7
	v_cmp_nlt_f32_e64 s7, 0x42b17218, v11
	s_delay_alu instid0(VALU_DEP_1) | instskip(NEXT) | instid1(VALU_DEP_1)
	v_cndmask_b32_e64 v23, 0x7f800000, v12, s7
	v_add_f32_e32 v24, 1.0, v23
	v_cmp_gt_f32_e64 s11, 0x33800000, |v23|
	s_delay_alu instid0(VALU_DEP_2) | instskip(NEXT) | instid1(VALU_DEP_1)
	v_cvt_f64_f32_e32 v[11:12], v24
	v_frexp_exp_i32_f64_e32 v11, v[11:12]
	v_frexp_mant_f32_e32 v12, v24
	s_delay_alu instid0(VALU_DEP_1) | instskip(SKIP_1) | instid1(VALU_DEP_1)
	v_cmp_gt_f32_e64 s7, 0x3f2aaaab, v12
	v_add_f32_e32 v12, -1.0, v24
	v_sub_f32_e32 v26, v12, v24
	v_sub_f32_e32 v12, v23, v12
	s_delay_alu instid0(VALU_DEP_2) | instskip(SKIP_2) | instid1(VALU_DEP_1)
	v_add_f32_e32 v26, 1.0, v26
	v_subrev_co_ci_u32_e64 v11, s7, 0, v11, s7
	s_mov_b32 s7, 0x3e9b6dac
	v_sub_nc_u32_e32 v25, 0, v11
	v_cvt_f32_i32_e32 v11, v11
	s_delay_alu instid0(VALU_DEP_2) | instskip(NEXT) | instid1(VALU_DEP_1)
	v_ldexp_f32 v24, v24, v25
	v_dual_add_f32 v27, 1.0, v24 :: v_dual_add_f32 v12, v12, v26
	s_delay_alu instid0(VALU_DEP_1) | instskip(NEXT) | instid1(VALU_DEP_2)
	v_add_f32_e32 v26, -1.0, v27
	v_ldexp_f32 v12, v12, v25
	s_delay_alu instid0(VALU_DEP_2) | instskip(NEXT) | instid1(VALU_DEP_1)
	v_dual_add_f32 v25, -1.0, v24 :: v_dual_sub_f32 v26, v24, v26
	v_add_f32_e32 v28, 1.0, v25
	s_delay_alu instid0(VALU_DEP_2) | instskip(NEXT) | instid1(VALU_DEP_2)
	v_add_f32_e32 v26, v12, v26
	v_sub_f32_e32 v24, v24, v28
	s_delay_alu instid0(VALU_DEP_2) | instskip(NEXT) | instid1(VALU_DEP_2)
	v_add_f32_e32 v28, v27, v26
	v_add_f32_e32 v12, v12, v24
	s_delay_alu instid0(VALU_DEP_2) | instskip(SKIP_1) | instid1(VALU_DEP_1)
	v_rcp_f32_e32 v24, v28
	v_sub_f32_e32 v27, v27, v28
	v_dual_add_f32 v29, v25, v12 :: v_dual_add_f32 v26, v26, v27
	s_delay_alu instid0(VALU_DEP_1) | instskip(SKIP_3) | instid1(VALU_DEP_2)
	v_sub_f32_e32 v25, v25, v29
	s_waitcnt_depctr 0xfff
	v_mul_f32_e32 v30, v29, v24
	v_add_f32_e32 v12, v12, v25
	v_mul_f32_e32 v31, v28, v30
	s_delay_alu instid0(VALU_DEP_1) | instskip(NEXT) | instid1(VALU_DEP_1)
	v_fma_f32 v27, v30, v28, -v31
	v_fmac_f32_e32 v27, v30, v26
	s_delay_alu instid0(VALU_DEP_1) | instskip(NEXT) | instid1(VALU_DEP_1)
	v_add_f32_e32 v32, v31, v27
	v_sub_f32_e32 v33, v29, v32
	v_sub_f32_e32 v25, v32, v31
	s_delay_alu instid0(VALU_DEP_2) | instskip(NEXT) | instid1(VALU_DEP_2)
	v_sub_f32_e32 v29, v29, v33
	v_sub_f32_e32 v25, v25, v27
	s_delay_alu instid0(VALU_DEP_2) | instskip(NEXT) | instid1(VALU_DEP_1)
	v_sub_f32_e32 v29, v29, v32
	v_add_f32_e32 v12, v12, v29
	s_delay_alu instid0(VALU_DEP_1) | instskip(NEXT) | instid1(VALU_DEP_1)
	v_add_f32_e32 v12, v25, v12
	v_add_f32_e32 v25, v33, v12
	s_delay_alu instid0(VALU_DEP_1) | instskip(NEXT) | instid1(VALU_DEP_1)
	v_mul_f32_e32 v27, v24, v25
	v_dual_sub_f32 v32, v33, v25 :: v_dual_mul_f32 v29, v28, v27
	s_delay_alu instid0(VALU_DEP_1) | instskip(NEXT) | instid1(VALU_DEP_2)
	v_add_f32_e32 v12, v12, v32
	v_fma_f32 v28, v27, v28, -v29
	s_delay_alu instid0(VALU_DEP_1) | instskip(NEXT) | instid1(VALU_DEP_1)
	v_fmac_f32_e32 v28, v27, v26
	v_add_f32_e32 v26, v29, v28
	s_delay_alu instid0(VALU_DEP_1) | instskip(SKIP_1) | instid1(VALU_DEP_2)
	v_sub_f32_e32 v31, v25, v26
	v_sub_f32_e32 v29, v26, v29
	;; [unrolled: 1-line block ×3, first 2 shown]
	s_delay_alu instid0(VALU_DEP_1) | instskip(NEXT) | instid1(VALU_DEP_1)
	v_sub_f32_e32 v25, v25, v26
	v_dual_add_f32 v12, v12, v25 :: v_dual_add_f32 v25, v30, v27
	s_delay_alu instid0(VALU_DEP_4) | instskip(NEXT) | instid1(VALU_DEP_1)
	v_sub_f32_e32 v26, v29, v28
	v_add_f32_e32 v12, v26, v12
	s_delay_alu instid0(VALU_DEP_3) | instskip(NEXT) | instid1(VALU_DEP_2)
	v_sub_f32_e32 v26, v25, v30
	v_add_f32_e32 v12, v31, v12
	s_delay_alu instid0(VALU_DEP_2) | instskip(NEXT) | instid1(VALU_DEP_2)
	v_sub_f32_e32 v26, v27, v26
	v_mul_f32_e32 v12, v24, v12
	s_delay_alu instid0(VALU_DEP_1) | instskip(NEXT) | instid1(VALU_DEP_1)
	v_add_f32_e32 v12, v26, v12
	v_add_f32_e32 v24, v25, v12
	s_delay_alu instid0(VALU_DEP_1) | instskip(NEXT) | instid1(VALU_DEP_1)
	v_mul_f32_e32 v26, v24, v24
	v_fmaak_f32 v27, s7, v26, 0x3ecc95a3
	v_mul_f32_e32 v28, v24, v26
	v_cmp_eq_f32_e64 s7, 0x7f800000, v23
	s_delay_alu instid0(VALU_DEP_3) | instskip(SKIP_2) | instid1(VALU_DEP_4)
	v_fmaak_f32 v26, v26, v27, 0x3f2aaada
	v_ldexp_f32 v27, v24, 1
	v_sub_f32_e32 v24, v24, v25
	s_or_b32 s7, s7, s11
	s_delay_alu instid0(VALU_DEP_3) | instskip(SKIP_1) | instid1(VALU_DEP_2)
	v_mul_f32_e32 v26, v28, v26
	v_mul_f32_e32 v28, 0x3f317218, v11
	v_dual_sub_f32 v12, v12, v24 :: v_dual_add_f32 v25, v27, v26
	s_delay_alu instid0(VALU_DEP_1) | instskip(NEXT) | instid1(VALU_DEP_2)
	v_ldexp_f32 v12, v12, 1
	v_sub_f32_e32 v24, v25, v27
	s_delay_alu instid0(VALU_DEP_4) | instskip(NEXT) | instid1(VALU_DEP_1)
	v_fma_f32 v27, 0x3f317218, v11, -v28
	v_dual_sub_f32 v24, v26, v24 :: v_dual_fmamk_f32 v11, v11, 0xb102e308, v27
	s_delay_alu instid0(VALU_DEP_1) | instskip(NEXT) | instid1(VALU_DEP_2)
	v_add_f32_e32 v12, v12, v24
	v_add_f32_e32 v24, v28, v11
	s_delay_alu instid0(VALU_DEP_2) | instskip(NEXT) | instid1(VALU_DEP_2)
	v_add_f32_e32 v26, v25, v12
	v_sub_f32_e32 v28, v24, v28
	s_delay_alu instid0(VALU_DEP_2) | instskip(SKIP_1) | instid1(VALU_DEP_3)
	v_add_f32_e32 v27, v24, v26
	v_sub_f32_e32 v25, v26, v25
	v_sub_f32_e32 v11, v11, v28
	s_delay_alu instid0(VALU_DEP_2) | instskip(NEXT) | instid1(VALU_DEP_1)
	v_dual_sub_f32 v29, v27, v24 :: v_dual_sub_f32 v12, v12, v25
	v_sub_f32_e32 v30, v27, v29
	s_delay_alu instid0(VALU_DEP_2) | instskip(NEXT) | instid1(VALU_DEP_2)
	v_dual_sub_f32 v25, v26, v29 :: v_dual_add_f32 v26, v11, v12
	v_sub_f32_e32 v24, v24, v30
	s_delay_alu instid0(VALU_DEP_1) | instskip(NEXT) | instid1(VALU_DEP_1)
	v_dual_add_f32 v24, v25, v24 :: v_dual_sub_f32 v25, v26, v11
	v_add_f32_e32 v24, v26, v24
	s_delay_alu instid0(VALU_DEP_2) | instskip(SKIP_1) | instid1(VALU_DEP_3)
	v_sub_f32_e32 v26, v26, v25
	v_sub_f32_e32 v12, v12, v25
	v_add_f32_e32 v28, v27, v24
	s_delay_alu instid0(VALU_DEP_3) | instskip(NEXT) | instid1(VALU_DEP_2)
	v_sub_f32_e32 v11, v11, v26
	v_sub_f32_e32 v25, v28, v27
	s_delay_alu instid0(VALU_DEP_2) | instskip(NEXT) | instid1(VALU_DEP_2)
	v_add_f32_e32 v11, v12, v11
	v_sub_f32_e32 v12, v24, v25
	s_delay_alu instid0(VALU_DEP_1) | instskip(NEXT) | instid1(VALU_DEP_1)
	v_add_f32_e32 v11, v11, v12
	v_add_f32_e32 v11, v28, v11
	s_delay_alu instid0(VALU_DEP_1) | instskip(NEXT) | instid1(VALU_DEP_1)
	v_cndmask_b32_e64 v11, v11, v23, s7
	v_add_f32_e32 v11, v10, v11
.LBB145_38:
	s_or_b32 exec_lo, exec_lo, s10
	s_delay_alu instid0(VALU_DEP_1)
	v_mov_b32_e32 v10, v11
.LBB145_39:
	s_or_b32 exec_lo, exec_lo, s9
	s_delay_alu instid0(VALU_DEP_1)
	v_mov_b32_dpp v11, v10 row_shr:4 row_mask:0xf bank_mask:0xf
	s_mov_b32 s9, exec_lo
	v_cmpx_lt_u32_e32 3, v9
	s_cbranch_execz .LBB145_43
; %bb.40:
	s_delay_alu instid0(VALU_DEP_2) | instskip(SKIP_1) | instid1(VALU_DEP_2)
	v_dual_max_f32 v12, v10, v10 :: v_dual_max_f32 v23, v11, v11
	v_cmp_u_f32_e64 s7, v11, v11
	v_min_f32_e32 v24, v23, v12
	v_max_f32_e32 v12, v23, v12
	s_delay_alu instid0(VALU_DEP_2) | instskip(NEXT) | instid1(VALU_DEP_2)
	v_cndmask_b32_e64 v23, v24, v11, s7
	v_cndmask_b32_e64 v24, v12, v11, s7
	v_cmp_u_f32_e64 s7, v10, v10
	s_delay_alu instid0(VALU_DEP_1) | instskip(NEXT) | instid1(VALU_DEP_3)
	v_cndmask_b32_e64 v12, v23, v10, s7
	v_cndmask_b32_e64 v10, v24, v10, s7
	s_delay_alu instid0(VALU_DEP_2) | instskip(NEXT) | instid1(VALU_DEP_2)
	v_cmp_class_f32_e64 s10, v12, 0x1f8
	v_cmp_neq_f32_e64 s7, v12, v10
	s_delay_alu instid0(VALU_DEP_1) | instskip(NEXT) | instid1(SALU_CYCLE_1)
	s_or_b32 s7, s7, s10
	s_and_saveexec_b32 s10, s7
	s_cbranch_execz .LBB145_42
; %bb.41:
	v_sub_f32_e32 v11, v12, v10
	s_delay_alu instid0(VALU_DEP_1) | instskip(SKIP_1) | instid1(VALU_DEP_2)
	v_mul_f32_e32 v12, 0x3fb8aa3b, v11
	v_cmp_ngt_f32_e64 s7, 0xc2ce8ed0, v11
	v_fma_f32 v23, 0x3fb8aa3b, v11, -v12
	v_rndne_f32_e32 v24, v12
	s_delay_alu instid0(VALU_DEP_1) | instskip(NEXT) | instid1(VALU_DEP_1)
	v_dual_fmamk_f32 v23, v11, 0x32a5705f, v23 :: v_dual_sub_f32 v12, v12, v24
	v_add_f32_e32 v12, v12, v23
	v_cvt_i32_f32_e32 v23, v24
	s_delay_alu instid0(VALU_DEP_2) | instskip(SKIP_2) | instid1(VALU_DEP_1)
	v_exp_f32_e32 v12, v12
	s_waitcnt_depctr 0xfff
	v_ldexp_f32 v12, v12, v23
	v_cndmask_b32_e64 v12, 0, v12, s7
	v_cmp_nlt_f32_e64 s7, 0x42b17218, v11
	s_delay_alu instid0(VALU_DEP_1) | instskip(NEXT) | instid1(VALU_DEP_1)
	v_cndmask_b32_e64 v23, 0x7f800000, v12, s7
	v_add_f32_e32 v24, 1.0, v23
	v_cmp_gt_f32_e64 s11, 0x33800000, |v23|
	s_delay_alu instid0(VALU_DEP_2) | instskip(NEXT) | instid1(VALU_DEP_1)
	v_cvt_f64_f32_e32 v[11:12], v24
	v_frexp_exp_i32_f64_e32 v11, v[11:12]
	v_frexp_mant_f32_e32 v12, v24
	s_delay_alu instid0(VALU_DEP_1) | instskip(SKIP_1) | instid1(VALU_DEP_1)
	v_cmp_gt_f32_e64 s7, 0x3f2aaaab, v12
	v_add_f32_e32 v12, -1.0, v24
	v_sub_f32_e32 v26, v12, v24
	v_sub_f32_e32 v12, v23, v12
	s_delay_alu instid0(VALU_DEP_2) | instskip(SKIP_2) | instid1(VALU_DEP_1)
	v_add_f32_e32 v26, 1.0, v26
	v_subrev_co_ci_u32_e64 v11, s7, 0, v11, s7
	s_mov_b32 s7, 0x3e9b6dac
	v_sub_nc_u32_e32 v25, 0, v11
	v_cvt_f32_i32_e32 v11, v11
	s_delay_alu instid0(VALU_DEP_2) | instskip(NEXT) | instid1(VALU_DEP_1)
	v_ldexp_f32 v24, v24, v25
	v_dual_add_f32 v27, 1.0, v24 :: v_dual_add_f32 v12, v12, v26
	s_delay_alu instid0(VALU_DEP_1) | instskip(NEXT) | instid1(VALU_DEP_2)
	v_add_f32_e32 v26, -1.0, v27
	v_ldexp_f32 v12, v12, v25
	s_delay_alu instid0(VALU_DEP_2) | instskip(NEXT) | instid1(VALU_DEP_1)
	v_dual_add_f32 v25, -1.0, v24 :: v_dual_sub_f32 v26, v24, v26
	v_add_f32_e32 v28, 1.0, v25
	s_delay_alu instid0(VALU_DEP_2) | instskip(NEXT) | instid1(VALU_DEP_2)
	v_add_f32_e32 v26, v12, v26
	v_sub_f32_e32 v24, v24, v28
	s_delay_alu instid0(VALU_DEP_2) | instskip(NEXT) | instid1(VALU_DEP_2)
	v_add_f32_e32 v28, v27, v26
	v_add_f32_e32 v12, v12, v24
	s_delay_alu instid0(VALU_DEP_2) | instskip(SKIP_1) | instid1(VALU_DEP_1)
	v_rcp_f32_e32 v24, v28
	v_sub_f32_e32 v27, v27, v28
	v_dual_add_f32 v29, v25, v12 :: v_dual_add_f32 v26, v26, v27
	s_delay_alu instid0(VALU_DEP_1) | instskip(SKIP_3) | instid1(VALU_DEP_2)
	v_sub_f32_e32 v25, v25, v29
	s_waitcnt_depctr 0xfff
	v_mul_f32_e32 v30, v29, v24
	v_add_f32_e32 v12, v12, v25
	v_mul_f32_e32 v31, v28, v30
	s_delay_alu instid0(VALU_DEP_1) | instskip(NEXT) | instid1(VALU_DEP_1)
	v_fma_f32 v27, v30, v28, -v31
	v_fmac_f32_e32 v27, v30, v26
	s_delay_alu instid0(VALU_DEP_1) | instskip(NEXT) | instid1(VALU_DEP_1)
	v_add_f32_e32 v32, v31, v27
	v_sub_f32_e32 v33, v29, v32
	v_sub_f32_e32 v25, v32, v31
	s_delay_alu instid0(VALU_DEP_2) | instskip(NEXT) | instid1(VALU_DEP_2)
	v_sub_f32_e32 v29, v29, v33
	v_sub_f32_e32 v25, v25, v27
	s_delay_alu instid0(VALU_DEP_2) | instskip(NEXT) | instid1(VALU_DEP_1)
	v_sub_f32_e32 v29, v29, v32
	v_add_f32_e32 v12, v12, v29
	s_delay_alu instid0(VALU_DEP_1) | instskip(NEXT) | instid1(VALU_DEP_1)
	v_add_f32_e32 v12, v25, v12
	v_add_f32_e32 v25, v33, v12
	s_delay_alu instid0(VALU_DEP_1) | instskip(NEXT) | instid1(VALU_DEP_1)
	v_mul_f32_e32 v27, v24, v25
	v_dual_sub_f32 v32, v33, v25 :: v_dual_mul_f32 v29, v28, v27
	s_delay_alu instid0(VALU_DEP_1) | instskip(NEXT) | instid1(VALU_DEP_2)
	v_add_f32_e32 v12, v12, v32
	v_fma_f32 v28, v27, v28, -v29
	s_delay_alu instid0(VALU_DEP_1) | instskip(NEXT) | instid1(VALU_DEP_1)
	v_fmac_f32_e32 v28, v27, v26
	v_add_f32_e32 v26, v29, v28
	s_delay_alu instid0(VALU_DEP_1) | instskip(SKIP_1) | instid1(VALU_DEP_2)
	v_sub_f32_e32 v31, v25, v26
	v_sub_f32_e32 v29, v26, v29
	;; [unrolled: 1-line block ×3, first 2 shown]
	s_delay_alu instid0(VALU_DEP_1) | instskip(NEXT) | instid1(VALU_DEP_1)
	v_sub_f32_e32 v25, v25, v26
	v_dual_add_f32 v12, v12, v25 :: v_dual_add_f32 v25, v30, v27
	s_delay_alu instid0(VALU_DEP_4) | instskip(NEXT) | instid1(VALU_DEP_1)
	v_sub_f32_e32 v26, v29, v28
	v_add_f32_e32 v12, v26, v12
	s_delay_alu instid0(VALU_DEP_3) | instskip(NEXT) | instid1(VALU_DEP_2)
	v_sub_f32_e32 v26, v25, v30
	v_add_f32_e32 v12, v31, v12
	s_delay_alu instid0(VALU_DEP_2) | instskip(NEXT) | instid1(VALU_DEP_2)
	v_sub_f32_e32 v26, v27, v26
	v_mul_f32_e32 v12, v24, v12
	s_delay_alu instid0(VALU_DEP_1) | instskip(NEXT) | instid1(VALU_DEP_1)
	v_add_f32_e32 v12, v26, v12
	v_add_f32_e32 v24, v25, v12
	s_delay_alu instid0(VALU_DEP_1) | instskip(NEXT) | instid1(VALU_DEP_1)
	v_mul_f32_e32 v26, v24, v24
	v_fmaak_f32 v27, s7, v26, 0x3ecc95a3
	v_mul_f32_e32 v28, v24, v26
	v_cmp_eq_f32_e64 s7, 0x7f800000, v23
	s_delay_alu instid0(VALU_DEP_3) | instskip(SKIP_2) | instid1(VALU_DEP_4)
	v_fmaak_f32 v26, v26, v27, 0x3f2aaada
	v_ldexp_f32 v27, v24, 1
	v_sub_f32_e32 v24, v24, v25
	s_or_b32 s7, s7, s11
	s_delay_alu instid0(VALU_DEP_3) | instskip(SKIP_1) | instid1(VALU_DEP_2)
	v_mul_f32_e32 v26, v28, v26
	v_mul_f32_e32 v28, 0x3f317218, v11
	v_dual_sub_f32 v12, v12, v24 :: v_dual_add_f32 v25, v27, v26
	s_delay_alu instid0(VALU_DEP_1) | instskip(NEXT) | instid1(VALU_DEP_2)
	v_ldexp_f32 v12, v12, 1
	v_sub_f32_e32 v24, v25, v27
	s_delay_alu instid0(VALU_DEP_4) | instskip(NEXT) | instid1(VALU_DEP_1)
	v_fma_f32 v27, 0x3f317218, v11, -v28
	v_dual_sub_f32 v24, v26, v24 :: v_dual_fmamk_f32 v11, v11, 0xb102e308, v27
	s_delay_alu instid0(VALU_DEP_1) | instskip(NEXT) | instid1(VALU_DEP_2)
	v_add_f32_e32 v12, v12, v24
	v_add_f32_e32 v24, v28, v11
	s_delay_alu instid0(VALU_DEP_2) | instskip(NEXT) | instid1(VALU_DEP_2)
	v_add_f32_e32 v26, v25, v12
	v_sub_f32_e32 v28, v24, v28
	s_delay_alu instid0(VALU_DEP_2) | instskip(SKIP_1) | instid1(VALU_DEP_3)
	v_add_f32_e32 v27, v24, v26
	v_sub_f32_e32 v25, v26, v25
	v_sub_f32_e32 v11, v11, v28
	s_delay_alu instid0(VALU_DEP_2) | instskip(NEXT) | instid1(VALU_DEP_1)
	v_dual_sub_f32 v29, v27, v24 :: v_dual_sub_f32 v12, v12, v25
	v_sub_f32_e32 v30, v27, v29
	s_delay_alu instid0(VALU_DEP_2) | instskip(NEXT) | instid1(VALU_DEP_2)
	v_dual_sub_f32 v25, v26, v29 :: v_dual_add_f32 v26, v11, v12
	v_sub_f32_e32 v24, v24, v30
	s_delay_alu instid0(VALU_DEP_1) | instskip(NEXT) | instid1(VALU_DEP_1)
	v_dual_add_f32 v24, v25, v24 :: v_dual_sub_f32 v25, v26, v11
	v_add_f32_e32 v24, v26, v24
	s_delay_alu instid0(VALU_DEP_2) | instskip(SKIP_1) | instid1(VALU_DEP_3)
	v_sub_f32_e32 v26, v26, v25
	v_sub_f32_e32 v12, v12, v25
	v_add_f32_e32 v28, v27, v24
	s_delay_alu instid0(VALU_DEP_3) | instskip(NEXT) | instid1(VALU_DEP_2)
	v_sub_f32_e32 v11, v11, v26
	v_sub_f32_e32 v25, v28, v27
	s_delay_alu instid0(VALU_DEP_2) | instskip(NEXT) | instid1(VALU_DEP_2)
	v_add_f32_e32 v11, v12, v11
	v_sub_f32_e32 v12, v24, v25
	s_delay_alu instid0(VALU_DEP_1) | instskip(NEXT) | instid1(VALU_DEP_1)
	v_add_f32_e32 v11, v11, v12
	v_add_f32_e32 v11, v28, v11
	s_delay_alu instid0(VALU_DEP_1) | instskip(NEXT) | instid1(VALU_DEP_1)
	v_cndmask_b32_e64 v11, v11, v23, s7
	v_add_f32_e32 v11, v10, v11
.LBB145_42:
	s_or_b32 exec_lo, exec_lo, s10
	s_delay_alu instid0(VALU_DEP_1)
	v_mov_b32_e32 v10, v11
.LBB145_43:
	s_or_b32 exec_lo, exec_lo, s9
	s_delay_alu instid0(VALU_DEP_1)
	v_mov_b32_dpp v11, v10 row_shr:8 row_mask:0xf bank_mask:0xf
	s_mov_b32 s9, exec_lo
	v_cmpx_lt_u32_e32 7, v9
	s_cbranch_execz .LBB145_47
; %bb.44:
	s_delay_alu instid0(VALU_DEP_2) | instskip(SKIP_1) | instid1(VALU_DEP_2)
	v_dual_max_f32 v9, v10, v10 :: v_dual_max_f32 v12, v11, v11
	v_cmp_u_f32_e64 s7, v11, v11
	v_min_f32_e32 v23, v12, v9
	v_max_f32_e32 v9, v12, v9
	s_delay_alu instid0(VALU_DEP_2) | instskip(NEXT) | instid1(VALU_DEP_2)
	v_cndmask_b32_e64 v12, v23, v11, s7
	v_cndmask_b32_e64 v9, v9, v11, s7
	v_cmp_u_f32_e64 s7, v10, v10
	s_delay_alu instid0(VALU_DEP_1) | instskip(NEXT) | instid1(VALU_DEP_3)
	v_cndmask_b32_e64 v12, v12, v10, s7
	v_cndmask_b32_e64 v9, v9, v10, s7
	s_delay_alu instid0(VALU_DEP_2) | instskip(NEXT) | instid1(VALU_DEP_2)
	v_cmp_class_f32_e64 s10, v12, 0x1f8
	v_cmp_neq_f32_e64 s7, v12, v9
	s_delay_alu instid0(VALU_DEP_1) | instskip(NEXT) | instid1(SALU_CYCLE_1)
	s_or_b32 s7, s7, s10
	s_and_saveexec_b32 s10, s7
	s_cbranch_execz .LBB145_46
; %bb.45:
	v_sub_f32_e32 v10, v12, v9
	s_delay_alu instid0(VALU_DEP_1) | instskip(NEXT) | instid1(VALU_DEP_1)
	v_mul_f32_e32 v11, 0x3fb8aa3b, v10
	v_fma_f32 v12, 0x3fb8aa3b, v10, -v11
	v_rndne_f32_e32 v23, v11
	s_delay_alu instid0(VALU_DEP_1) | instskip(SKIP_1) | instid1(VALU_DEP_2)
	v_dual_sub_f32 v11, v11, v23 :: v_dual_fmamk_f32 v12, v10, 0x32a5705f, v12
	v_cmp_ngt_f32_e64 s7, 0xc2ce8ed0, v10
	v_add_f32_e32 v11, v11, v12
	v_cvt_i32_f32_e32 v12, v23
	s_delay_alu instid0(VALU_DEP_2) | instskip(SKIP_2) | instid1(VALU_DEP_1)
	v_exp_f32_e32 v11, v11
	s_waitcnt_depctr 0xfff
	v_ldexp_f32 v11, v11, v12
	v_cndmask_b32_e64 v11, 0, v11, s7
	v_cmp_nlt_f32_e64 s7, 0x42b17218, v10
	s_delay_alu instid0(VALU_DEP_1) | instskip(NEXT) | instid1(VALU_DEP_1)
	v_cndmask_b32_e64 v12, 0x7f800000, v11, s7
	v_add_f32_e32 v23, 1.0, v12
	v_cmp_gt_f32_e64 s11, 0x33800000, |v12|
	s_delay_alu instid0(VALU_DEP_2) | instskip(NEXT) | instid1(VALU_DEP_1)
	v_cvt_f64_f32_e32 v[10:11], v23
	v_frexp_exp_i32_f64_e32 v10, v[10:11]
	v_frexp_mant_f32_e32 v11, v23
	s_delay_alu instid0(VALU_DEP_1) | instskip(SKIP_1) | instid1(VALU_DEP_1)
	v_cmp_gt_f32_e64 s7, 0x3f2aaaab, v11
	v_add_f32_e32 v11, -1.0, v23
	v_sub_f32_e32 v25, v11, v23
	v_sub_f32_e32 v11, v12, v11
	s_delay_alu instid0(VALU_DEP_4) | instskip(SKIP_1) | instid1(VALU_DEP_1)
	v_subrev_co_ci_u32_e64 v10, s7, 0, v10, s7
	s_mov_b32 s7, 0x3e9b6dac
	v_sub_nc_u32_e32 v24, 0, v10
	v_cvt_f32_i32_e32 v10, v10
	s_delay_alu instid0(VALU_DEP_2) | instskip(NEXT) | instid1(VALU_DEP_1)
	v_ldexp_f32 v23, v23, v24
	v_dual_add_f32 v26, 1.0, v23 :: v_dual_add_f32 v25, 1.0, v25
	s_delay_alu instid0(VALU_DEP_1) | instskip(NEXT) | instid1(VALU_DEP_2)
	v_add_f32_e32 v11, v11, v25
	v_add_f32_e32 v25, -1.0, v26
	s_delay_alu instid0(VALU_DEP_2) | instskip(NEXT) | instid1(VALU_DEP_2)
	v_ldexp_f32 v11, v11, v24
	v_dual_add_f32 v24, -1.0, v23 :: v_dual_sub_f32 v25, v23, v25
	s_delay_alu instid0(VALU_DEP_1) | instskip(NEXT) | instid1(VALU_DEP_2)
	v_add_f32_e32 v27, 1.0, v24
	v_add_f32_e32 v25, v11, v25
	s_delay_alu instid0(VALU_DEP_2) | instskip(NEXT) | instid1(VALU_DEP_2)
	v_sub_f32_e32 v23, v23, v27
	v_add_f32_e32 v27, v26, v25
	s_delay_alu instid0(VALU_DEP_2) | instskip(NEXT) | instid1(VALU_DEP_2)
	v_add_f32_e32 v11, v11, v23
	v_rcp_f32_e32 v23, v27
	v_sub_f32_e32 v26, v26, v27
	s_delay_alu instid0(VALU_DEP_1) | instskip(NEXT) | instid1(VALU_DEP_1)
	v_dual_add_f32 v28, v24, v11 :: v_dual_add_f32 v25, v25, v26
	v_sub_f32_e32 v24, v24, v28
	s_waitcnt_depctr 0xfff
	v_mul_f32_e32 v29, v28, v23
	v_add_f32_e32 v11, v11, v24
	s_delay_alu instid0(VALU_DEP_2) | instskip(NEXT) | instid1(VALU_DEP_1)
	v_mul_f32_e32 v30, v27, v29
	v_fma_f32 v26, v29, v27, -v30
	s_delay_alu instid0(VALU_DEP_1) | instskip(NEXT) | instid1(VALU_DEP_1)
	v_fmac_f32_e32 v26, v29, v25
	v_add_f32_e32 v31, v30, v26
	s_delay_alu instid0(VALU_DEP_1) | instskip(SKIP_1) | instid1(VALU_DEP_2)
	v_sub_f32_e32 v32, v28, v31
	v_sub_f32_e32 v24, v31, v30
	;; [unrolled: 1-line block ×3, first 2 shown]
	s_delay_alu instid0(VALU_DEP_2) | instskip(NEXT) | instid1(VALU_DEP_2)
	v_sub_f32_e32 v24, v24, v26
	v_sub_f32_e32 v28, v28, v31
	s_delay_alu instid0(VALU_DEP_1) | instskip(NEXT) | instid1(VALU_DEP_1)
	v_add_f32_e32 v11, v11, v28
	v_add_f32_e32 v11, v24, v11
	s_delay_alu instid0(VALU_DEP_1) | instskip(NEXT) | instid1(VALU_DEP_1)
	v_add_f32_e32 v24, v32, v11
	v_mul_f32_e32 v26, v23, v24
	s_delay_alu instid0(VALU_DEP_1) | instskip(NEXT) | instid1(VALU_DEP_1)
	v_dual_sub_f32 v31, v32, v24 :: v_dual_mul_f32 v28, v27, v26
	v_add_f32_e32 v11, v11, v31
	s_delay_alu instid0(VALU_DEP_2) | instskip(NEXT) | instid1(VALU_DEP_1)
	v_fma_f32 v27, v26, v27, -v28
	v_fmac_f32_e32 v27, v26, v25
	s_delay_alu instid0(VALU_DEP_1) | instskip(NEXT) | instid1(VALU_DEP_1)
	v_add_f32_e32 v25, v28, v27
	v_sub_f32_e32 v30, v24, v25
	v_sub_f32_e32 v28, v25, v28
	s_delay_alu instid0(VALU_DEP_2) | instskip(NEXT) | instid1(VALU_DEP_1)
	v_sub_f32_e32 v24, v24, v30
	v_sub_f32_e32 v24, v24, v25
	s_delay_alu instid0(VALU_DEP_3) | instskip(NEXT) | instid1(VALU_DEP_2)
	v_sub_f32_e32 v25, v28, v27
	v_dual_add_f32 v11, v11, v24 :: v_dual_add_f32 v24, v29, v26
	s_delay_alu instid0(VALU_DEP_1) | instskip(NEXT) | instid1(VALU_DEP_2)
	v_add_f32_e32 v11, v25, v11
	v_sub_f32_e32 v25, v24, v29
	s_delay_alu instid0(VALU_DEP_2) | instskip(NEXT) | instid1(VALU_DEP_2)
	v_add_f32_e32 v11, v30, v11
	v_sub_f32_e32 v25, v26, v25
	s_delay_alu instid0(VALU_DEP_2) | instskip(NEXT) | instid1(VALU_DEP_1)
	v_mul_f32_e32 v11, v23, v11
	v_add_f32_e32 v11, v25, v11
	s_delay_alu instid0(VALU_DEP_1) | instskip(NEXT) | instid1(VALU_DEP_1)
	v_add_f32_e32 v23, v24, v11
	v_mul_f32_e32 v25, v23, v23
	s_delay_alu instid0(VALU_DEP_1) | instskip(SKIP_2) | instid1(VALU_DEP_3)
	v_fmaak_f32 v26, s7, v25, 0x3ecc95a3
	v_mul_f32_e32 v27, v23, v25
	v_cmp_eq_f32_e64 s7, 0x7f800000, v12
	v_fmaak_f32 v25, v25, v26, 0x3f2aaada
	v_ldexp_f32 v26, v23, 1
	v_sub_f32_e32 v23, v23, v24
	s_delay_alu instid0(VALU_DEP_4) | instskip(NEXT) | instid1(VALU_DEP_3)
	s_or_b32 s7, s7, s11
	v_mul_f32_e32 v25, v27, v25
	v_mul_f32_e32 v27, 0x3f317218, v10
	s_delay_alu instid0(VALU_DEP_2) | instskip(NEXT) | instid1(VALU_DEP_1)
	v_dual_sub_f32 v11, v11, v23 :: v_dual_add_f32 v24, v26, v25
	v_ldexp_f32 v11, v11, 1
	s_delay_alu instid0(VALU_DEP_2) | instskip(NEXT) | instid1(VALU_DEP_4)
	v_sub_f32_e32 v23, v24, v26
	v_fma_f32 v26, 0x3f317218, v10, -v27
	s_delay_alu instid0(VALU_DEP_1) | instskip(NEXT) | instid1(VALU_DEP_1)
	v_dual_sub_f32 v23, v25, v23 :: v_dual_fmamk_f32 v10, v10, 0xb102e308, v26
	v_add_f32_e32 v11, v11, v23
	s_delay_alu instid0(VALU_DEP_2) | instskip(NEXT) | instid1(VALU_DEP_2)
	v_add_f32_e32 v23, v27, v10
	v_add_f32_e32 v25, v24, v11
	s_delay_alu instid0(VALU_DEP_2) | instskip(NEXT) | instid1(VALU_DEP_2)
	v_sub_f32_e32 v27, v23, v27
	v_add_f32_e32 v26, v23, v25
	v_sub_f32_e32 v24, v25, v24
	s_delay_alu instid0(VALU_DEP_3) | instskip(NEXT) | instid1(VALU_DEP_2)
	v_sub_f32_e32 v10, v10, v27
	v_dual_sub_f32 v28, v26, v23 :: v_dual_sub_f32 v11, v11, v24
	s_delay_alu instid0(VALU_DEP_1) | instskip(NEXT) | instid1(VALU_DEP_2)
	v_sub_f32_e32 v29, v26, v28
	v_dual_sub_f32 v24, v25, v28 :: v_dual_add_f32 v25, v10, v11
	s_delay_alu instid0(VALU_DEP_2) | instskip(NEXT) | instid1(VALU_DEP_1)
	v_sub_f32_e32 v23, v23, v29
	v_dual_add_f32 v23, v24, v23 :: v_dual_sub_f32 v24, v25, v10
	s_delay_alu instid0(VALU_DEP_1) | instskip(NEXT) | instid1(VALU_DEP_2)
	v_add_f32_e32 v23, v25, v23
	v_sub_f32_e32 v25, v25, v24
	v_sub_f32_e32 v11, v11, v24
	s_delay_alu instid0(VALU_DEP_3) | instskip(NEXT) | instid1(VALU_DEP_3)
	v_add_f32_e32 v27, v26, v23
	v_sub_f32_e32 v10, v10, v25
	s_delay_alu instid0(VALU_DEP_2) | instskip(NEXT) | instid1(VALU_DEP_2)
	v_sub_f32_e32 v24, v27, v26
	v_add_f32_e32 v10, v11, v10
	s_delay_alu instid0(VALU_DEP_2) | instskip(NEXT) | instid1(VALU_DEP_1)
	v_sub_f32_e32 v11, v23, v24
	v_add_f32_e32 v10, v10, v11
	s_delay_alu instid0(VALU_DEP_1) | instskip(NEXT) | instid1(VALU_DEP_1)
	v_add_f32_e32 v10, v27, v10
	v_cndmask_b32_e64 v10, v10, v12, s7
	s_delay_alu instid0(VALU_DEP_1)
	v_add_f32_e32 v11, v9, v10
.LBB145_46:
	s_or_b32 exec_lo, exec_lo, s10
	s_delay_alu instid0(VALU_DEP_1)
	v_mov_b32_e32 v10, v11
.LBB145_47:
	s_or_b32 exec_lo, exec_lo, s9
	ds_swizzle_b32 v11, v10 offset:swizzle(BROADCAST,32,15)
	v_and_b32_e32 v9, 16, v4
	s_mov_b32 s9, exec_lo
	s_delay_alu instid0(VALU_DEP_1)
	v_cmpx_ne_u32_e32 0, v9
	s_cbranch_execz .LBB145_51
; %bb.48:
	s_waitcnt lgkmcnt(0)
	v_dual_max_f32 v9, v10, v10 :: v_dual_max_f32 v12, v11, v11
	v_cmp_u_f32_e64 s7, v11, v11
	s_delay_alu instid0(VALU_DEP_2) | instskip(SKIP_1) | instid1(VALU_DEP_2)
	v_min_f32_e32 v23, v12, v9
	v_max_f32_e32 v9, v12, v9
	v_cndmask_b32_e64 v12, v23, v11, s7
	s_delay_alu instid0(VALU_DEP_2) | instskip(SKIP_1) | instid1(VALU_DEP_1)
	v_cndmask_b32_e64 v9, v9, v11, s7
	v_cmp_u_f32_e64 s7, v10, v10
	v_cndmask_b32_e64 v12, v12, v10, s7
	s_delay_alu instid0(VALU_DEP_3) | instskip(NEXT) | instid1(VALU_DEP_2)
	v_cndmask_b32_e64 v9, v9, v10, s7
	v_cmp_class_f32_e64 s10, v12, 0x1f8
	s_delay_alu instid0(VALU_DEP_2) | instskip(NEXT) | instid1(VALU_DEP_1)
	v_cmp_neq_f32_e64 s7, v12, v9
	s_or_b32 s7, s7, s10
	s_delay_alu instid0(SALU_CYCLE_1)
	s_and_saveexec_b32 s10, s7
	s_cbranch_execz .LBB145_50
; %bb.49:
	v_sub_f32_e32 v10, v12, v9
	s_delay_alu instid0(VALU_DEP_1) | instskip(NEXT) | instid1(VALU_DEP_1)
	v_mul_f32_e32 v11, 0x3fb8aa3b, v10
	v_fma_f32 v12, 0x3fb8aa3b, v10, -v11
	v_rndne_f32_e32 v23, v11
	s_delay_alu instid0(VALU_DEP_1) | instskip(SKIP_1) | instid1(VALU_DEP_2)
	v_dual_sub_f32 v11, v11, v23 :: v_dual_fmamk_f32 v12, v10, 0x32a5705f, v12
	v_cmp_ngt_f32_e64 s7, 0xc2ce8ed0, v10
	v_add_f32_e32 v11, v11, v12
	v_cvt_i32_f32_e32 v12, v23
	s_delay_alu instid0(VALU_DEP_2) | instskip(SKIP_2) | instid1(VALU_DEP_1)
	v_exp_f32_e32 v11, v11
	s_waitcnt_depctr 0xfff
	v_ldexp_f32 v11, v11, v12
	v_cndmask_b32_e64 v11, 0, v11, s7
	v_cmp_nlt_f32_e64 s7, 0x42b17218, v10
	s_delay_alu instid0(VALU_DEP_1) | instskip(NEXT) | instid1(VALU_DEP_1)
	v_cndmask_b32_e64 v12, 0x7f800000, v11, s7
	v_add_f32_e32 v23, 1.0, v12
	v_cmp_gt_f32_e64 s11, 0x33800000, |v12|
	s_delay_alu instid0(VALU_DEP_2) | instskip(NEXT) | instid1(VALU_DEP_1)
	v_cvt_f64_f32_e32 v[10:11], v23
	v_frexp_exp_i32_f64_e32 v10, v[10:11]
	v_frexp_mant_f32_e32 v11, v23
	s_delay_alu instid0(VALU_DEP_1) | instskip(SKIP_1) | instid1(VALU_DEP_1)
	v_cmp_gt_f32_e64 s7, 0x3f2aaaab, v11
	v_add_f32_e32 v11, -1.0, v23
	v_sub_f32_e32 v25, v11, v23
	v_sub_f32_e32 v11, v12, v11
	s_delay_alu instid0(VALU_DEP_4) | instskip(SKIP_1) | instid1(VALU_DEP_1)
	v_subrev_co_ci_u32_e64 v10, s7, 0, v10, s7
	s_mov_b32 s7, 0x3e9b6dac
	v_sub_nc_u32_e32 v24, 0, v10
	v_cvt_f32_i32_e32 v10, v10
	s_delay_alu instid0(VALU_DEP_2) | instskip(NEXT) | instid1(VALU_DEP_1)
	v_ldexp_f32 v23, v23, v24
	v_dual_add_f32 v26, 1.0, v23 :: v_dual_add_f32 v25, 1.0, v25
	s_delay_alu instid0(VALU_DEP_1) | instskip(NEXT) | instid1(VALU_DEP_2)
	v_add_f32_e32 v11, v11, v25
	v_add_f32_e32 v25, -1.0, v26
	s_delay_alu instid0(VALU_DEP_2) | instskip(NEXT) | instid1(VALU_DEP_2)
	v_ldexp_f32 v11, v11, v24
	v_dual_add_f32 v24, -1.0, v23 :: v_dual_sub_f32 v25, v23, v25
	s_delay_alu instid0(VALU_DEP_1) | instskip(NEXT) | instid1(VALU_DEP_2)
	v_add_f32_e32 v27, 1.0, v24
	v_add_f32_e32 v25, v11, v25
	s_delay_alu instid0(VALU_DEP_2) | instskip(NEXT) | instid1(VALU_DEP_2)
	v_sub_f32_e32 v23, v23, v27
	v_add_f32_e32 v27, v26, v25
	s_delay_alu instid0(VALU_DEP_2) | instskip(NEXT) | instid1(VALU_DEP_2)
	v_add_f32_e32 v11, v11, v23
	v_rcp_f32_e32 v23, v27
	v_sub_f32_e32 v26, v26, v27
	s_delay_alu instid0(VALU_DEP_1) | instskip(NEXT) | instid1(VALU_DEP_1)
	v_dual_add_f32 v28, v24, v11 :: v_dual_add_f32 v25, v25, v26
	v_sub_f32_e32 v24, v24, v28
	s_waitcnt_depctr 0xfff
	v_mul_f32_e32 v29, v28, v23
	v_add_f32_e32 v11, v11, v24
	s_delay_alu instid0(VALU_DEP_2) | instskip(NEXT) | instid1(VALU_DEP_1)
	v_mul_f32_e32 v30, v27, v29
	v_fma_f32 v26, v29, v27, -v30
	s_delay_alu instid0(VALU_DEP_1) | instskip(NEXT) | instid1(VALU_DEP_1)
	v_fmac_f32_e32 v26, v29, v25
	v_add_f32_e32 v31, v30, v26
	s_delay_alu instid0(VALU_DEP_1) | instskip(SKIP_1) | instid1(VALU_DEP_2)
	v_sub_f32_e32 v32, v28, v31
	v_sub_f32_e32 v24, v31, v30
	;; [unrolled: 1-line block ×3, first 2 shown]
	s_delay_alu instid0(VALU_DEP_2) | instskip(NEXT) | instid1(VALU_DEP_2)
	v_sub_f32_e32 v24, v24, v26
	v_sub_f32_e32 v28, v28, v31
	s_delay_alu instid0(VALU_DEP_1) | instskip(NEXT) | instid1(VALU_DEP_1)
	v_add_f32_e32 v11, v11, v28
	v_add_f32_e32 v11, v24, v11
	s_delay_alu instid0(VALU_DEP_1) | instskip(NEXT) | instid1(VALU_DEP_1)
	v_add_f32_e32 v24, v32, v11
	v_mul_f32_e32 v26, v23, v24
	s_delay_alu instid0(VALU_DEP_1) | instskip(NEXT) | instid1(VALU_DEP_1)
	v_dual_sub_f32 v31, v32, v24 :: v_dual_mul_f32 v28, v27, v26
	v_add_f32_e32 v11, v11, v31
	s_delay_alu instid0(VALU_DEP_2) | instskip(NEXT) | instid1(VALU_DEP_1)
	v_fma_f32 v27, v26, v27, -v28
	v_fmac_f32_e32 v27, v26, v25
	s_delay_alu instid0(VALU_DEP_1) | instskip(NEXT) | instid1(VALU_DEP_1)
	v_add_f32_e32 v25, v28, v27
	v_sub_f32_e32 v30, v24, v25
	v_sub_f32_e32 v28, v25, v28
	s_delay_alu instid0(VALU_DEP_2) | instskip(NEXT) | instid1(VALU_DEP_1)
	v_sub_f32_e32 v24, v24, v30
	v_sub_f32_e32 v24, v24, v25
	s_delay_alu instid0(VALU_DEP_3) | instskip(NEXT) | instid1(VALU_DEP_2)
	v_sub_f32_e32 v25, v28, v27
	v_dual_add_f32 v11, v11, v24 :: v_dual_add_f32 v24, v29, v26
	s_delay_alu instid0(VALU_DEP_1) | instskip(NEXT) | instid1(VALU_DEP_2)
	v_add_f32_e32 v11, v25, v11
	v_sub_f32_e32 v25, v24, v29
	s_delay_alu instid0(VALU_DEP_2) | instskip(NEXT) | instid1(VALU_DEP_2)
	v_add_f32_e32 v11, v30, v11
	v_sub_f32_e32 v25, v26, v25
	s_delay_alu instid0(VALU_DEP_2) | instskip(NEXT) | instid1(VALU_DEP_1)
	v_mul_f32_e32 v11, v23, v11
	v_add_f32_e32 v11, v25, v11
	s_delay_alu instid0(VALU_DEP_1) | instskip(NEXT) | instid1(VALU_DEP_1)
	v_add_f32_e32 v23, v24, v11
	v_mul_f32_e32 v25, v23, v23
	s_delay_alu instid0(VALU_DEP_1) | instskip(SKIP_2) | instid1(VALU_DEP_3)
	v_fmaak_f32 v26, s7, v25, 0x3ecc95a3
	v_mul_f32_e32 v27, v23, v25
	v_cmp_eq_f32_e64 s7, 0x7f800000, v12
	v_fmaak_f32 v25, v25, v26, 0x3f2aaada
	v_ldexp_f32 v26, v23, 1
	v_sub_f32_e32 v23, v23, v24
	s_delay_alu instid0(VALU_DEP_4) | instskip(NEXT) | instid1(VALU_DEP_3)
	s_or_b32 s7, s7, s11
	v_mul_f32_e32 v25, v27, v25
	v_mul_f32_e32 v27, 0x3f317218, v10
	s_delay_alu instid0(VALU_DEP_2) | instskip(NEXT) | instid1(VALU_DEP_1)
	v_dual_sub_f32 v11, v11, v23 :: v_dual_add_f32 v24, v26, v25
	v_ldexp_f32 v11, v11, 1
	s_delay_alu instid0(VALU_DEP_2) | instskip(NEXT) | instid1(VALU_DEP_4)
	v_sub_f32_e32 v23, v24, v26
	v_fma_f32 v26, 0x3f317218, v10, -v27
	s_delay_alu instid0(VALU_DEP_1) | instskip(NEXT) | instid1(VALU_DEP_1)
	v_dual_sub_f32 v23, v25, v23 :: v_dual_fmamk_f32 v10, v10, 0xb102e308, v26
	v_add_f32_e32 v11, v11, v23
	s_delay_alu instid0(VALU_DEP_2) | instskip(NEXT) | instid1(VALU_DEP_2)
	v_add_f32_e32 v23, v27, v10
	v_add_f32_e32 v25, v24, v11
	s_delay_alu instid0(VALU_DEP_2) | instskip(NEXT) | instid1(VALU_DEP_2)
	v_sub_f32_e32 v27, v23, v27
	v_add_f32_e32 v26, v23, v25
	v_sub_f32_e32 v24, v25, v24
	s_delay_alu instid0(VALU_DEP_3) | instskip(NEXT) | instid1(VALU_DEP_2)
	v_sub_f32_e32 v10, v10, v27
	v_dual_sub_f32 v28, v26, v23 :: v_dual_sub_f32 v11, v11, v24
	s_delay_alu instid0(VALU_DEP_1) | instskip(NEXT) | instid1(VALU_DEP_2)
	v_sub_f32_e32 v29, v26, v28
	v_dual_sub_f32 v24, v25, v28 :: v_dual_add_f32 v25, v10, v11
	s_delay_alu instid0(VALU_DEP_2) | instskip(NEXT) | instid1(VALU_DEP_1)
	v_sub_f32_e32 v23, v23, v29
	v_dual_add_f32 v23, v24, v23 :: v_dual_sub_f32 v24, v25, v10
	s_delay_alu instid0(VALU_DEP_1) | instskip(NEXT) | instid1(VALU_DEP_2)
	v_add_f32_e32 v23, v25, v23
	v_sub_f32_e32 v25, v25, v24
	v_sub_f32_e32 v11, v11, v24
	s_delay_alu instid0(VALU_DEP_3) | instskip(NEXT) | instid1(VALU_DEP_3)
	v_add_f32_e32 v27, v26, v23
	v_sub_f32_e32 v10, v10, v25
	s_delay_alu instid0(VALU_DEP_2) | instskip(NEXT) | instid1(VALU_DEP_2)
	v_sub_f32_e32 v24, v27, v26
	v_add_f32_e32 v10, v11, v10
	s_delay_alu instid0(VALU_DEP_2) | instskip(NEXT) | instid1(VALU_DEP_1)
	v_sub_f32_e32 v11, v23, v24
	v_add_f32_e32 v10, v10, v11
	s_delay_alu instid0(VALU_DEP_1) | instskip(NEXT) | instid1(VALU_DEP_1)
	v_add_f32_e32 v10, v27, v10
	v_cndmask_b32_e64 v10, v10, v12, s7
	s_delay_alu instid0(VALU_DEP_1)
	v_add_f32_e32 v11, v9, v10
.LBB145_50:
	s_or_b32 exec_lo, exec_lo, s10
	s_delay_alu instid0(VALU_DEP_1)
	v_mov_b32_e32 v10, v11
.LBB145_51:
	s_or_b32 exec_lo, exec_lo, s9
	v_add_nc_u32_e32 v9, -1, v4
	s_delay_alu instid0(VALU_DEP_1) | instskip(NEXT) | instid1(VALU_DEP_1)
	v_cmp_gt_i32_e64 s7, 0, v9
	v_cndmask_b32_e64 v4, v9, v4, s7
	s_delay_alu instid0(VALU_DEP_1) | instskip(SKIP_4) | instid1(VALU_DEP_2)
	v_lshlrev_b32_e32 v4, 2, v4
	ds_bpermute_b32 v4, v4, v10
	s_waitcnt lgkmcnt(0)
	v_max_f32_e32 v9, v4, v4
	v_cmp_u_f32_e64 s7, v4, v4
	v_min_f32_e32 v10, v9, v6
	v_max_f32_e32 v6, v9, v6
	s_delay_alu instid0(VALU_DEP_2) | instskip(NEXT) | instid1(VALU_DEP_2)
	v_cndmask_b32_e64 v9, v10, v4, s7
	v_cndmask_b32_e64 v10, v6, v4, s7
	s_delay_alu instid0(VALU_DEP_2) | instskip(NEXT) | instid1(VALU_DEP_2)
	v_cndmask_b32_e64 v6, v9, v3, s6
	v_cndmask_b32_e64 v3, v10, v3, s6
	s_delay_alu instid0(VALU_DEP_2) | instskip(NEXT) | instid1(VALU_DEP_2)
	v_cmp_class_f32_e64 s7, v6, 0x1f8
	v_cmp_neq_f32_e64 s6, v6, v3
	s_delay_alu instid0(VALU_DEP_1) | instskip(NEXT) | instid1(SALU_CYCLE_1)
	s_or_b32 s6, s6, s7
	s_and_saveexec_b32 s7, s6
	s_cbranch_execz .LBB145_53
; %bb.52:
	v_sub_f32_e32 v4, v6, v3
	s_delay_alu instid0(VALU_DEP_1) | instskip(SKIP_1) | instid1(VALU_DEP_2)
	v_mul_f32_e32 v6, 0x3fb8aa3b, v4
	v_cmp_ngt_f32_e64 s6, 0xc2ce8ed0, v4
	v_fma_f32 v9, 0x3fb8aa3b, v4, -v6
	v_rndne_f32_e32 v10, v6
	s_delay_alu instid0(VALU_DEP_1) | instskip(NEXT) | instid1(VALU_DEP_1)
	v_dual_fmamk_f32 v9, v4, 0x32a5705f, v9 :: v_dual_sub_f32 v6, v6, v10
	v_add_f32_e32 v6, v6, v9
	v_cvt_i32_f32_e32 v9, v10
	s_delay_alu instid0(VALU_DEP_2) | instskip(SKIP_2) | instid1(VALU_DEP_1)
	v_exp_f32_e32 v6, v6
	s_waitcnt_depctr 0xfff
	v_ldexp_f32 v6, v6, v9
	v_cndmask_b32_e64 v6, 0, v6, s6
	v_cmp_nlt_f32_e64 s6, 0x42b17218, v4
	s_delay_alu instid0(VALU_DEP_1) | instskip(NEXT) | instid1(VALU_DEP_1)
	v_cndmask_b32_e64 v4, 0x7f800000, v6, s6
	v_add_f32_e32 v6, 1.0, v4
	v_cmp_gt_f32_e64 s9, 0x33800000, |v4|
	s_delay_alu instid0(VALU_DEP_2) | instskip(NEXT) | instid1(VALU_DEP_1)
	v_cvt_f64_f32_e32 v[9:10], v6
	v_frexp_exp_i32_f64_e32 v9, v[9:10]
	v_frexp_mant_f32_e32 v10, v6
	s_delay_alu instid0(VALU_DEP_1) | instskip(SKIP_1) | instid1(VALU_DEP_1)
	v_cmp_gt_f32_e64 s6, 0x3f2aaaab, v10
	v_add_f32_e32 v10, -1.0, v6
	v_sub_f32_e32 v12, v10, v6
	v_sub_f32_e32 v10, v4, v10
	s_delay_alu instid0(VALU_DEP_4) | instskip(SKIP_1) | instid1(VALU_DEP_1)
	v_subrev_co_ci_u32_e64 v9, s6, 0, v9, s6
	s_mov_b32 s6, 0x3e9b6dac
	v_sub_nc_u32_e32 v11, 0, v9
	v_cvt_f32_i32_e32 v9, v9
	s_delay_alu instid0(VALU_DEP_2) | instskip(NEXT) | instid1(VALU_DEP_1)
	v_ldexp_f32 v6, v6, v11
	v_dual_add_f32 v12, 1.0, v12 :: v_dual_add_f32 v23, 1.0, v6
	s_delay_alu instid0(VALU_DEP_1) | instskip(NEXT) | instid1(VALU_DEP_2)
	v_add_f32_e32 v10, v10, v12
	v_add_f32_e32 v12, -1.0, v23
	s_delay_alu instid0(VALU_DEP_2) | instskip(NEXT) | instid1(VALU_DEP_2)
	v_ldexp_f32 v10, v10, v11
	v_dual_add_f32 v11, -1.0, v6 :: v_dual_sub_f32 v12, v6, v12
	s_delay_alu instid0(VALU_DEP_1) | instskip(NEXT) | instid1(VALU_DEP_2)
	v_add_f32_e32 v24, 1.0, v11
	v_add_f32_e32 v12, v10, v12
	s_delay_alu instid0(VALU_DEP_2) | instskip(NEXT) | instid1(VALU_DEP_2)
	v_sub_f32_e32 v6, v6, v24
	v_add_f32_e32 v24, v23, v12
	s_delay_alu instid0(VALU_DEP_2) | instskip(NEXT) | instid1(VALU_DEP_2)
	v_add_f32_e32 v6, v10, v6
	v_rcp_f32_e32 v10, v24
	v_sub_f32_e32 v23, v23, v24
	s_delay_alu instid0(VALU_DEP_1) | instskip(SKIP_2) | instid1(VALU_DEP_1)
	v_dual_add_f32 v25, v11, v6 :: v_dual_add_f32 v12, v12, v23
	s_waitcnt_depctr 0xfff
	v_dual_sub_f32 v11, v11, v25 :: v_dual_mul_f32 v26, v25, v10
	v_dual_add_f32 v6, v6, v11 :: v_dual_mul_f32 v27, v24, v26
	s_delay_alu instid0(VALU_DEP_1) | instskip(NEXT) | instid1(VALU_DEP_1)
	v_fma_f32 v23, v26, v24, -v27
	v_fmac_f32_e32 v23, v26, v12
	s_delay_alu instid0(VALU_DEP_1) | instskip(NEXT) | instid1(VALU_DEP_1)
	v_add_f32_e32 v28, v27, v23
	v_sub_f32_e32 v29, v25, v28
	v_sub_f32_e32 v11, v28, v27
	s_delay_alu instid0(VALU_DEP_2) | instskip(NEXT) | instid1(VALU_DEP_2)
	v_sub_f32_e32 v25, v25, v29
	v_sub_f32_e32 v11, v11, v23
	s_delay_alu instid0(VALU_DEP_2) | instskip(NEXT) | instid1(VALU_DEP_1)
	v_sub_f32_e32 v25, v25, v28
	v_add_f32_e32 v6, v6, v25
	s_delay_alu instid0(VALU_DEP_1) | instskip(NEXT) | instid1(VALU_DEP_1)
	v_add_f32_e32 v6, v11, v6
	v_add_f32_e32 v11, v29, v6
	s_delay_alu instid0(VALU_DEP_1) | instskip(SKIP_1) | instid1(VALU_DEP_1)
	v_mul_f32_e32 v23, v10, v11
	v_sub_f32_e32 v28, v29, v11
	v_dual_mul_f32 v25, v24, v23 :: v_dual_add_f32 v6, v6, v28
	s_delay_alu instid0(VALU_DEP_1) | instskip(NEXT) | instid1(VALU_DEP_1)
	v_fma_f32 v24, v23, v24, -v25
	v_fmac_f32_e32 v24, v23, v12
	s_delay_alu instid0(VALU_DEP_1) | instskip(NEXT) | instid1(VALU_DEP_1)
	v_add_f32_e32 v12, v25, v24
	v_sub_f32_e32 v27, v11, v12
	v_sub_f32_e32 v25, v12, v25
	s_delay_alu instid0(VALU_DEP_2) | instskip(NEXT) | instid1(VALU_DEP_1)
	v_sub_f32_e32 v11, v11, v27
	v_sub_f32_e32 v11, v11, v12
	s_delay_alu instid0(VALU_DEP_3) | instskip(NEXT) | instid1(VALU_DEP_2)
	v_sub_f32_e32 v12, v25, v24
	v_add_f32_e32 v6, v6, v11
	s_delay_alu instid0(VALU_DEP_1) | instskip(NEXT) | instid1(VALU_DEP_1)
	v_dual_add_f32 v11, v26, v23 :: v_dual_add_f32 v6, v12, v6
	v_sub_f32_e32 v12, v11, v26
	s_delay_alu instid0(VALU_DEP_2) | instskip(NEXT) | instid1(VALU_DEP_2)
	v_add_f32_e32 v6, v27, v6
	v_sub_f32_e32 v12, v23, v12
	s_delay_alu instid0(VALU_DEP_2) | instskip(NEXT) | instid1(VALU_DEP_1)
	v_mul_f32_e32 v6, v10, v6
	v_add_f32_e32 v6, v12, v6
	s_delay_alu instid0(VALU_DEP_1) | instskip(NEXT) | instid1(VALU_DEP_1)
	v_add_f32_e32 v10, v11, v6
	v_mul_f32_e32 v12, v10, v10
	s_delay_alu instid0(VALU_DEP_1) | instskip(SKIP_2) | instid1(VALU_DEP_3)
	v_fmaak_f32 v23, s6, v12, 0x3ecc95a3
	v_mul_f32_e32 v24, v10, v12
	v_cmp_eq_f32_e64 s6, 0x7f800000, v4
	v_fmaak_f32 v12, v12, v23, 0x3f2aaada
	v_ldexp_f32 v23, v10, 1
	v_sub_f32_e32 v10, v10, v11
	s_delay_alu instid0(VALU_DEP_4) | instskip(NEXT) | instid1(VALU_DEP_3)
	s_or_b32 s6, s6, s9
	v_mul_f32_e32 v12, v24, v12
	v_mul_f32_e32 v24, 0x3f317218, v9
	s_delay_alu instid0(VALU_DEP_2) | instskip(NEXT) | instid1(VALU_DEP_1)
	v_dual_sub_f32 v6, v6, v10 :: v_dual_add_f32 v11, v23, v12
	v_ldexp_f32 v6, v6, 1
	s_delay_alu instid0(VALU_DEP_2) | instskip(NEXT) | instid1(VALU_DEP_4)
	v_sub_f32_e32 v10, v11, v23
	v_fma_f32 v23, 0x3f317218, v9, -v24
	s_delay_alu instid0(VALU_DEP_1) | instskip(NEXT) | instid1(VALU_DEP_1)
	v_dual_sub_f32 v10, v12, v10 :: v_dual_fmamk_f32 v9, v9, 0xb102e308, v23
	v_add_f32_e32 v6, v6, v10
	s_delay_alu instid0(VALU_DEP_2) | instskip(NEXT) | instid1(VALU_DEP_2)
	v_add_f32_e32 v10, v24, v9
	v_add_f32_e32 v12, v11, v6
	s_delay_alu instid0(VALU_DEP_2) | instskip(NEXT) | instid1(VALU_DEP_2)
	v_sub_f32_e32 v24, v10, v24
	v_add_f32_e32 v23, v10, v12
	v_sub_f32_e32 v11, v12, v11
	s_delay_alu instid0(VALU_DEP_3) | instskip(NEXT) | instid1(VALU_DEP_2)
	v_sub_f32_e32 v9, v9, v24
	v_dual_sub_f32 v25, v23, v10 :: v_dual_sub_f32 v6, v6, v11
	s_delay_alu instid0(VALU_DEP_1) | instskip(NEXT) | instid1(VALU_DEP_2)
	v_sub_f32_e32 v26, v23, v25
	v_dual_sub_f32 v11, v12, v25 :: v_dual_add_f32 v12, v9, v6
	s_delay_alu instid0(VALU_DEP_2) | instskip(NEXT) | instid1(VALU_DEP_1)
	v_sub_f32_e32 v10, v10, v26
	v_dual_add_f32 v10, v11, v10 :: v_dual_sub_f32 v11, v12, v9
	s_delay_alu instid0(VALU_DEP_1) | instskip(NEXT) | instid1(VALU_DEP_2)
	v_add_f32_e32 v10, v12, v10
	v_sub_f32_e32 v12, v12, v11
	v_sub_f32_e32 v6, v6, v11
	s_delay_alu instid0(VALU_DEP_2) | instskip(NEXT) | instid1(VALU_DEP_1)
	v_dual_add_f32 v24, v23, v10 :: v_dual_sub_f32 v9, v9, v12
	v_dual_sub_f32 v11, v24, v23 :: v_dual_add_f32 v6, v6, v9
	s_delay_alu instid0(VALU_DEP_1) | instskip(NEXT) | instid1(VALU_DEP_1)
	v_sub_f32_e32 v9, v10, v11
	v_add_f32_e32 v6, v6, v9
	s_delay_alu instid0(VALU_DEP_1) | instskip(NEXT) | instid1(VALU_DEP_1)
	v_add_f32_e32 v6, v24, v6
	v_cndmask_b32_e64 v4, v6, v4, s6
	s_delay_alu instid0(VALU_DEP_1)
	v_add_f32_e32 v4, v3, v4
.LBB145_53:
	s_or_b32 exec_lo, exec_lo, s7
	v_cmp_eq_u32_e64 s6, 0, v0
	; wave barrier
	s_delay_alu instid0(VALU_DEP_1)
	v_cndmask_b32_e64 v3, v4, v22, s6
	ds_store_b32 v5, v3
	; wave barrier
	ds_load_b32 v4, v5 offset:4
	v_max_f32_e32 v6, v3, v3
	v_cmp_u_f32_e64 s6, v3, v3
	s_waitcnt lgkmcnt(0)
	v_max_f32_e32 v9, v4, v4
	s_delay_alu instid0(VALU_DEP_1) | instskip(SKIP_1) | instid1(VALU_DEP_2)
	v_min_f32_e32 v10, v6, v9
	v_max_f32_e32 v6, v6, v9
	v_cndmask_b32_e64 v9, v10, v3, s6
	s_delay_alu instid0(VALU_DEP_2) | instskip(SKIP_1) | instid1(VALU_DEP_1)
	v_cndmask_b32_e64 v10, v6, v3, s6
	v_cmp_u_f32_e64 s6, v4, v4
	v_cndmask_b32_e64 v6, v9, v4, s6
	s_delay_alu instid0(VALU_DEP_3) | instskip(NEXT) | instid1(VALU_DEP_2)
	v_cndmask_b32_e64 v4, v10, v4, s6
	v_cmp_class_f32_e64 s7, v6, 0x1f8
	s_delay_alu instid0(VALU_DEP_2) | instskip(NEXT) | instid1(VALU_DEP_1)
	v_cmp_neq_f32_e64 s6, v6, v4
	s_or_b32 s6, s6, s7
	s_delay_alu instid0(SALU_CYCLE_1)
	s_and_saveexec_b32 s7, s6
	s_cbranch_execz .LBB145_55
; %bb.54:
	v_sub_f32_e32 v3, v6, v4
	s_delay_alu instid0(VALU_DEP_1) | instskip(SKIP_1) | instid1(VALU_DEP_2)
	v_mul_f32_e32 v6, 0x3fb8aa3b, v3
	v_cmp_ngt_f32_e64 s6, 0xc2ce8ed0, v3
	v_fma_f32 v9, 0x3fb8aa3b, v3, -v6
	v_rndne_f32_e32 v10, v6
	s_delay_alu instid0(VALU_DEP_1) | instskip(NEXT) | instid1(VALU_DEP_1)
	v_dual_fmamk_f32 v9, v3, 0x32a5705f, v9 :: v_dual_sub_f32 v6, v6, v10
	v_add_f32_e32 v6, v6, v9
	v_cvt_i32_f32_e32 v9, v10
	s_delay_alu instid0(VALU_DEP_2) | instskip(SKIP_2) | instid1(VALU_DEP_1)
	v_exp_f32_e32 v6, v6
	s_waitcnt_depctr 0xfff
	v_ldexp_f32 v6, v6, v9
	v_cndmask_b32_e64 v6, 0, v6, s6
	v_cmp_nlt_f32_e64 s6, 0x42b17218, v3
	s_delay_alu instid0(VALU_DEP_1) | instskip(NEXT) | instid1(VALU_DEP_1)
	v_cndmask_b32_e64 v3, 0x7f800000, v6, s6
	v_add_f32_e32 v6, 1.0, v3
	v_cmp_gt_f32_e64 s9, 0x33800000, |v3|
	s_delay_alu instid0(VALU_DEP_2) | instskip(NEXT) | instid1(VALU_DEP_1)
	v_cvt_f64_f32_e32 v[9:10], v6
	v_frexp_exp_i32_f64_e32 v9, v[9:10]
	v_frexp_mant_f32_e32 v10, v6
	s_delay_alu instid0(VALU_DEP_1) | instskip(SKIP_1) | instid1(VALU_DEP_1)
	v_cmp_gt_f32_e64 s6, 0x3f2aaaab, v10
	v_add_f32_e32 v10, -1.0, v6
	v_sub_f32_e32 v12, v10, v6
	v_sub_f32_e32 v10, v3, v10
	s_delay_alu instid0(VALU_DEP_4) | instskip(SKIP_1) | instid1(VALU_DEP_1)
	v_subrev_co_ci_u32_e64 v9, s6, 0, v9, s6
	s_mov_b32 s6, 0x3e9b6dac
	v_sub_nc_u32_e32 v11, 0, v9
	v_cvt_f32_i32_e32 v9, v9
	s_delay_alu instid0(VALU_DEP_2) | instskip(NEXT) | instid1(VALU_DEP_1)
	v_ldexp_f32 v6, v6, v11
	v_dual_add_f32 v12, 1.0, v12 :: v_dual_add_f32 v23, 1.0, v6
	s_delay_alu instid0(VALU_DEP_1) | instskip(NEXT) | instid1(VALU_DEP_1)
	v_add_f32_e32 v10, v10, v12
	v_ldexp_f32 v10, v10, v11
	s_delay_alu instid0(VALU_DEP_3) | instskip(NEXT) | instid1(VALU_DEP_1)
	v_dual_add_f32 v11, -1.0, v6 :: v_dual_add_f32 v12, -1.0, v23
	v_add_f32_e32 v24, 1.0, v11
	s_delay_alu instid0(VALU_DEP_2) | instskip(NEXT) | instid1(VALU_DEP_2)
	v_sub_f32_e32 v12, v6, v12
	v_sub_f32_e32 v6, v6, v24
	s_delay_alu instid0(VALU_DEP_1) | instskip(NEXT) | instid1(VALU_DEP_1)
	v_add_f32_e32 v6, v10, v6
	v_add_f32_e32 v25, v11, v6
	s_delay_alu instid0(VALU_DEP_1) | instskip(NEXT) | instid1(VALU_DEP_1)
	v_dual_sub_f32 v11, v11, v25 :: v_dual_add_f32 v12, v10, v12
	v_add_f32_e32 v6, v6, v11
	s_delay_alu instid0(VALU_DEP_2) | instskip(NEXT) | instid1(VALU_DEP_1)
	v_add_f32_e32 v24, v23, v12
	v_rcp_f32_e32 v10, v24
	v_sub_f32_e32 v23, v23, v24
	s_delay_alu instid0(VALU_DEP_1) | instskip(SKIP_2) | instid1(VALU_DEP_1)
	v_add_f32_e32 v12, v12, v23
	s_waitcnt_depctr 0xfff
	v_mul_f32_e32 v26, v25, v10
	v_mul_f32_e32 v27, v24, v26
	s_delay_alu instid0(VALU_DEP_1) | instskip(NEXT) | instid1(VALU_DEP_1)
	v_fma_f32 v23, v26, v24, -v27
	v_fmac_f32_e32 v23, v26, v12
	s_delay_alu instid0(VALU_DEP_1) | instskip(NEXT) | instid1(VALU_DEP_1)
	v_add_f32_e32 v28, v27, v23
	v_sub_f32_e32 v29, v25, v28
	v_sub_f32_e32 v11, v28, v27
	s_delay_alu instid0(VALU_DEP_2) | instskip(NEXT) | instid1(VALU_DEP_2)
	v_sub_f32_e32 v25, v25, v29
	v_sub_f32_e32 v11, v11, v23
	s_delay_alu instid0(VALU_DEP_2) | instskip(NEXT) | instid1(VALU_DEP_1)
	v_sub_f32_e32 v25, v25, v28
	v_add_f32_e32 v6, v6, v25
	s_delay_alu instid0(VALU_DEP_1) | instskip(NEXT) | instid1(VALU_DEP_1)
	v_add_f32_e32 v6, v11, v6
	v_add_f32_e32 v11, v29, v6
	s_delay_alu instid0(VALU_DEP_1) | instskip(NEXT) | instid1(VALU_DEP_1)
	v_mul_f32_e32 v23, v10, v11
	v_mul_f32_e32 v25, v24, v23
	s_delay_alu instid0(VALU_DEP_1) | instskip(NEXT) | instid1(VALU_DEP_1)
	v_fma_f32 v24, v23, v24, -v25
	v_fmac_f32_e32 v24, v23, v12
	s_delay_alu instid0(VALU_DEP_1) | instskip(NEXT) | instid1(VALU_DEP_1)
	v_add_f32_e32 v12, v25, v24
	v_dual_sub_f32 v28, v29, v11 :: v_dual_sub_f32 v27, v11, v12
	v_sub_f32_e32 v25, v12, v25
	s_delay_alu instid0(VALU_DEP_2) | instskip(NEXT) | instid1(VALU_DEP_1)
	v_sub_f32_e32 v11, v11, v27
	v_sub_f32_e32 v11, v11, v12
	s_delay_alu instid0(VALU_DEP_4) | instskip(NEXT) | instid1(VALU_DEP_4)
	v_add_f32_e32 v6, v6, v28
	v_sub_f32_e32 v12, v25, v24
	s_delay_alu instid0(VALU_DEP_2) | instskip(NEXT) | instid1(VALU_DEP_1)
	v_add_f32_e32 v6, v6, v11
	v_dual_add_f32 v11, v26, v23 :: v_dual_add_f32 v6, v12, v6
	s_delay_alu instid0(VALU_DEP_1) | instskip(NEXT) | instid1(VALU_DEP_2)
	v_sub_f32_e32 v12, v11, v26
	v_add_f32_e32 v6, v27, v6
	s_delay_alu instid0(VALU_DEP_2) | instskip(NEXT) | instid1(VALU_DEP_2)
	v_sub_f32_e32 v12, v23, v12
	v_mul_f32_e32 v6, v10, v6
	s_delay_alu instid0(VALU_DEP_1) | instskip(NEXT) | instid1(VALU_DEP_1)
	v_add_f32_e32 v6, v12, v6
	v_add_f32_e32 v10, v11, v6
	s_delay_alu instid0(VALU_DEP_1) | instskip(NEXT) | instid1(VALU_DEP_1)
	v_mul_f32_e32 v12, v10, v10
	v_fmaak_f32 v23, s6, v12, 0x3ecc95a3
	v_mul_f32_e32 v24, v10, v12
	v_cmp_eq_f32_e64 s6, 0x7f800000, v3
	s_delay_alu instid0(VALU_DEP_3) | instskip(SKIP_2) | instid1(VALU_DEP_4)
	v_fmaak_f32 v12, v12, v23, 0x3f2aaada
	v_ldexp_f32 v23, v10, 1
	v_sub_f32_e32 v10, v10, v11
	s_or_b32 s6, s6, s9
	s_delay_alu instid0(VALU_DEP_3) | instskip(SKIP_1) | instid1(VALU_DEP_2)
	v_mul_f32_e32 v12, v24, v12
	v_mul_f32_e32 v24, 0x3f317218, v9
	v_dual_sub_f32 v6, v6, v10 :: v_dual_add_f32 v11, v23, v12
	s_delay_alu instid0(VALU_DEP_1) | instskip(NEXT) | instid1(VALU_DEP_2)
	v_ldexp_f32 v6, v6, 1
	v_sub_f32_e32 v10, v11, v23
	s_delay_alu instid0(VALU_DEP_4) | instskip(NEXT) | instid1(VALU_DEP_1)
	v_fma_f32 v23, 0x3f317218, v9, -v24
	v_dual_sub_f32 v10, v12, v10 :: v_dual_fmamk_f32 v9, v9, 0xb102e308, v23
	s_delay_alu instid0(VALU_DEP_1) | instskip(NEXT) | instid1(VALU_DEP_2)
	v_add_f32_e32 v6, v6, v10
	v_add_f32_e32 v10, v24, v9
	s_delay_alu instid0(VALU_DEP_2) | instskip(NEXT) | instid1(VALU_DEP_2)
	v_add_f32_e32 v12, v11, v6
	v_sub_f32_e32 v24, v10, v24
	s_delay_alu instid0(VALU_DEP_2) | instskip(SKIP_1) | instid1(VALU_DEP_3)
	v_add_f32_e32 v23, v10, v12
	v_sub_f32_e32 v11, v12, v11
	v_sub_f32_e32 v9, v9, v24
	s_delay_alu instid0(VALU_DEP_2) | instskip(NEXT) | instid1(VALU_DEP_1)
	v_dual_sub_f32 v25, v23, v10 :: v_dual_sub_f32 v6, v6, v11
	v_sub_f32_e32 v26, v23, v25
	s_delay_alu instid0(VALU_DEP_2) | instskip(NEXT) | instid1(VALU_DEP_2)
	v_dual_sub_f32 v11, v12, v25 :: v_dual_add_f32 v12, v9, v6
	v_sub_f32_e32 v10, v10, v26
	s_delay_alu instid0(VALU_DEP_1) | instskip(NEXT) | instid1(VALU_DEP_1)
	v_dual_add_f32 v10, v11, v10 :: v_dual_sub_f32 v11, v12, v9
	v_add_f32_e32 v10, v12, v10
	s_delay_alu instid0(VALU_DEP_2) | instskip(SKIP_1) | instid1(VALU_DEP_2)
	v_sub_f32_e32 v12, v12, v11
	v_sub_f32_e32 v6, v6, v11
	v_dual_add_f32 v24, v23, v10 :: v_dual_sub_f32 v9, v9, v12
	s_delay_alu instid0(VALU_DEP_1) | instskip(NEXT) | instid1(VALU_DEP_1)
	v_dual_sub_f32 v11, v24, v23 :: v_dual_add_f32 v6, v6, v9
	v_sub_f32_e32 v9, v10, v11
	s_delay_alu instid0(VALU_DEP_1) | instskip(NEXT) | instid1(VALU_DEP_1)
	v_add_f32_e32 v6, v6, v9
	v_add_f32_e32 v6, v24, v6
	s_delay_alu instid0(VALU_DEP_1) | instskip(NEXT) | instid1(VALU_DEP_1)
	v_cndmask_b32_e64 v3, v6, v3, s6
	v_add_f32_e32 v3, v4, v3
.LBB145_55:
	s_or_b32 exec_lo, exec_lo, s7
	ds_load_b32 v4, v5 offset:8
	v_max_f32_e32 v6, v3, v3
	v_cmp_u_f32_e64 s6, v3, v3
	ds_store_b32 v5, v3 offset:4
	s_waitcnt lgkmcnt(1)
	v_max_f32_e32 v9, v4, v4
	s_delay_alu instid0(VALU_DEP_1) | instskip(SKIP_1) | instid1(VALU_DEP_2)
	v_min_f32_e32 v10, v6, v9
	v_max_f32_e32 v6, v6, v9
	v_cndmask_b32_e64 v9, v10, v3, s6
	s_delay_alu instid0(VALU_DEP_2) | instskip(SKIP_1) | instid1(VALU_DEP_1)
	v_cndmask_b32_e64 v10, v6, v3, s6
	v_cmp_u_f32_e64 s6, v4, v4
	v_cndmask_b32_e64 v6, v9, v4, s6
	s_delay_alu instid0(VALU_DEP_3) | instskip(NEXT) | instid1(VALU_DEP_2)
	v_cndmask_b32_e64 v4, v10, v4, s6
	v_cmp_class_f32_e64 s7, v6, 0x1f8
	s_delay_alu instid0(VALU_DEP_2) | instskip(NEXT) | instid1(VALU_DEP_1)
	v_cmp_neq_f32_e64 s6, v6, v4
	s_or_b32 s6, s6, s7
	s_delay_alu instid0(SALU_CYCLE_1)
	s_and_saveexec_b32 s7, s6
	s_cbranch_execz .LBB145_57
; %bb.56:
	v_sub_f32_e32 v3, v6, v4
	s_delay_alu instid0(VALU_DEP_1) | instskip(SKIP_1) | instid1(VALU_DEP_2)
	v_mul_f32_e32 v6, 0x3fb8aa3b, v3
	v_cmp_ngt_f32_e64 s6, 0xc2ce8ed0, v3
	v_fma_f32 v9, 0x3fb8aa3b, v3, -v6
	v_rndne_f32_e32 v10, v6
	s_delay_alu instid0(VALU_DEP_1) | instskip(NEXT) | instid1(VALU_DEP_1)
	v_dual_fmamk_f32 v9, v3, 0x32a5705f, v9 :: v_dual_sub_f32 v6, v6, v10
	v_add_f32_e32 v6, v6, v9
	v_cvt_i32_f32_e32 v9, v10
	s_delay_alu instid0(VALU_DEP_2) | instskip(SKIP_2) | instid1(VALU_DEP_1)
	v_exp_f32_e32 v6, v6
	s_waitcnt_depctr 0xfff
	v_ldexp_f32 v6, v6, v9
	v_cndmask_b32_e64 v6, 0, v6, s6
	v_cmp_nlt_f32_e64 s6, 0x42b17218, v3
	s_delay_alu instid0(VALU_DEP_1) | instskip(NEXT) | instid1(VALU_DEP_1)
	v_cndmask_b32_e64 v3, 0x7f800000, v6, s6
	v_add_f32_e32 v6, 1.0, v3
	v_cmp_gt_f32_e64 s9, 0x33800000, |v3|
	s_delay_alu instid0(VALU_DEP_2) | instskip(NEXT) | instid1(VALU_DEP_1)
	v_cvt_f64_f32_e32 v[9:10], v6
	v_frexp_exp_i32_f64_e32 v9, v[9:10]
	v_frexp_mant_f32_e32 v10, v6
	s_delay_alu instid0(VALU_DEP_1) | instskip(SKIP_1) | instid1(VALU_DEP_1)
	v_cmp_gt_f32_e64 s6, 0x3f2aaaab, v10
	v_add_f32_e32 v10, -1.0, v6
	v_sub_f32_e32 v12, v10, v6
	v_sub_f32_e32 v10, v3, v10
	s_delay_alu instid0(VALU_DEP_4) | instskip(SKIP_1) | instid1(VALU_DEP_1)
	v_subrev_co_ci_u32_e64 v9, s6, 0, v9, s6
	s_mov_b32 s6, 0x3e9b6dac
	v_sub_nc_u32_e32 v11, 0, v9
	v_cvt_f32_i32_e32 v9, v9
	s_delay_alu instid0(VALU_DEP_2) | instskip(NEXT) | instid1(VALU_DEP_1)
	v_ldexp_f32 v6, v6, v11
	v_dual_add_f32 v12, 1.0, v12 :: v_dual_add_f32 v23, 1.0, v6
	s_delay_alu instid0(VALU_DEP_1) | instskip(NEXT) | instid1(VALU_DEP_1)
	v_add_f32_e32 v10, v10, v12
	v_ldexp_f32 v10, v10, v11
	s_delay_alu instid0(VALU_DEP_3) | instskip(NEXT) | instid1(VALU_DEP_1)
	v_dual_add_f32 v11, -1.0, v6 :: v_dual_add_f32 v12, -1.0, v23
	v_add_f32_e32 v24, 1.0, v11
	s_delay_alu instid0(VALU_DEP_2) | instskip(NEXT) | instid1(VALU_DEP_2)
	v_sub_f32_e32 v12, v6, v12
	v_sub_f32_e32 v6, v6, v24
	s_delay_alu instid0(VALU_DEP_1) | instskip(NEXT) | instid1(VALU_DEP_1)
	v_add_f32_e32 v6, v10, v6
	v_add_f32_e32 v25, v11, v6
	s_delay_alu instid0(VALU_DEP_1) | instskip(NEXT) | instid1(VALU_DEP_1)
	v_dual_sub_f32 v11, v11, v25 :: v_dual_add_f32 v12, v10, v12
	v_add_f32_e32 v6, v6, v11
	s_delay_alu instid0(VALU_DEP_2) | instskip(NEXT) | instid1(VALU_DEP_1)
	v_add_f32_e32 v24, v23, v12
	v_rcp_f32_e32 v10, v24
	v_sub_f32_e32 v23, v23, v24
	s_delay_alu instid0(VALU_DEP_1) | instskip(SKIP_2) | instid1(VALU_DEP_1)
	v_add_f32_e32 v12, v12, v23
	s_waitcnt_depctr 0xfff
	v_mul_f32_e32 v26, v25, v10
	v_mul_f32_e32 v27, v24, v26
	s_delay_alu instid0(VALU_DEP_1) | instskip(NEXT) | instid1(VALU_DEP_1)
	v_fma_f32 v23, v26, v24, -v27
	v_fmac_f32_e32 v23, v26, v12
	s_delay_alu instid0(VALU_DEP_1) | instskip(NEXT) | instid1(VALU_DEP_1)
	v_add_f32_e32 v28, v27, v23
	v_sub_f32_e32 v29, v25, v28
	v_sub_f32_e32 v11, v28, v27
	s_delay_alu instid0(VALU_DEP_2) | instskip(NEXT) | instid1(VALU_DEP_2)
	v_sub_f32_e32 v25, v25, v29
	v_sub_f32_e32 v11, v11, v23
	s_delay_alu instid0(VALU_DEP_2) | instskip(NEXT) | instid1(VALU_DEP_1)
	v_sub_f32_e32 v25, v25, v28
	v_add_f32_e32 v6, v6, v25
	s_delay_alu instid0(VALU_DEP_1) | instskip(NEXT) | instid1(VALU_DEP_1)
	v_add_f32_e32 v6, v11, v6
	v_add_f32_e32 v11, v29, v6
	s_delay_alu instid0(VALU_DEP_1) | instskip(NEXT) | instid1(VALU_DEP_1)
	v_mul_f32_e32 v23, v10, v11
	v_mul_f32_e32 v25, v24, v23
	s_delay_alu instid0(VALU_DEP_1) | instskip(NEXT) | instid1(VALU_DEP_1)
	v_fma_f32 v24, v23, v24, -v25
	v_fmac_f32_e32 v24, v23, v12
	s_delay_alu instid0(VALU_DEP_1) | instskip(NEXT) | instid1(VALU_DEP_1)
	v_add_f32_e32 v12, v25, v24
	v_dual_sub_f32 v28, v29, v11 :: v_dual_sub_f32 v27, v11, v12
	v_sub_f32_e32 v25, v12, v25
	s_delay_alu instid0(VALU_DEP_2) | instskip(NEXT) | instid1(VALU_DEP_1)
	v_sub_f32_e32 v11, v11, v27
	v_sub_f32_e32 v11, v11, v12
	s_delay_alu instid0(VALU_DEP_4) | instskip(NEXT) | instid1(VALU_DEP_4)
	v_add_f32_e32 v6, v6, v28
	v_sub_f32_e32 v12, v25, v24
	s_delay_alu instid0(VALU_DEP_2) | instskip(NEXT) | instid1(VALU_DEP_1)
	v_add_f32_e32 v6, v6, v11
	v_dual_add_f32 v11, v26, v23 :: v_dual_add_f32 v6, v12, v6
	s_delay_alu instid0(VALU_DEP_1) | instskip(NEXT) | instid1(VALU_DEP_2)
	v_sub_f32_e32 v12, v11, v26
	v_add_f32_e32 v6, v27, v6
	s_delay_alu instid0(VALU_DEP_2) | instskip(NEXT) | instid1(VALU_DEP_2)
	v_sub_f32_e32 v12, v23, v12
	v_mul_f32_e32 v6, v10, v6
	s_delay_alu instid0(VALU_DEP_1) | instskip(NEXT) | instid1(VALU_DEP_1)
	v_add_f32_e32 v6, v12, v6
	v_add_f32_e32 v10, v11, v6
	s_delay_alu instid0(VALU_DEP_1) | instskip(NEXT) | instid1(VALU_DEP_1)
	v_mul_f32_e32 v12, v10, v10
	v_fmaak_f32 v23, s6, v12, 0x3ecc95a3
	v_mul_f32_e32 v24, v10, v12
	v_cmp_eq_f32_e64 s6, 0x7f800000, v3
	s_delay_alu instid0(VALU_DEP_3) | instskip(SKIP_2) | instid1(VALU_DEP_4)
	v_fmaak_f32 v12, v12, v23, 0x3f2aaada
	v_ldexp_f32 v23, v10, 1
	v_sub_f32_e32 v10, v10, v11
	s_or_b32 s6, s6, s9
	s_delay_alu instid0(VALU_DEP_3) | instskip(SKIP_1) | instid1(VALU_DEP_2)
	v_mul_f32_e32 v12, v24, v12
	v_mul_f32_e32 v24, 0x3f317218, v9
	v_dual_sub_f32 v6, v6, v10 :: v_dual_add_f32 v11, v23, v12
	s_delay_alu instid0(VALU_DEP_1) | instskip(NEXT) | instid1(VALU_DEP_2)
	v_ldexp_f32 v6, v6, 1
	v_sub_f32_e32 v10, v11, v23
	s_delay_alu instid0(VALU_DEP_4) | instskip(NEXT) | instid1(VALU_DEP_1)
	v_fma_f32 v23, 0x3f317218, v9, -v24
	v_dual_sub_f32 v10, v12, v10 :: v_dual_fmamk_f32 v9, v9, 0xb102e308, v23
	s_delay_alu instid0(VALU_DEP_1) | instskip(NEXT) | instid1(VALU_DEP_2)
	v_add_f32_e32 v6, v6, v10
	v_add_f32_e32 v10, v24, v9
	s_delay_alu instid0(VALU_DEP_2) | instskip(NEXT) | instid1(VALU_DEP_2)
	v_add_f32_e32 v12, v11, v6
	v_sub_f32_e32 v24, v10, v24
	s_delay_alu instid0(VALU_DEP_2) | instskip(SKIP_1) | instid1(VALU_DEP_3)
	v_add_f32_e32 v23, v10, v12
	v_sub_f32_e32 v11, v12, v11
	v_sub_f32_e32 v9, v9, v24
	s_delay_alu instid0(VALU_DEP_2) | instskip(NEXT) | instid1(VALU_DEP_1)
	v_dual_sub_f32 v25, v23, v10 :: v_dual_sub_f32 v6, v6, v11
	v_sub_f32_e32 v26, v23, v25
	s_delay_alu instid0(VALU_DEP_2) | instskip(NEXT) | instid1(VALU_DEP_2)
	v_dual_sub_f32 v11, v12, v25 :: v_dual_add_f32 v12, v9, v6
	v_sub_f32_e32 v10, v10, v26
	s_delay_alu instid0(VALU_DEP_1) | instskip(NEXT) | instid1(VALU_DEP_1)
	v_dual_add_f32 v10, v11, v10 :: v_dual_sub_f32 v11, v12, v9
	v_add_f32_e32 v10, v12, v10
	s_delay_alu instid0(VALU_DEP_2) | instskip(SKIP_1) | instid1(VALU_DEP_2)
	v_sub_f32_e32 v12, v12, v11
	v_sub_f32_e32 v6, v6, v11
	v_dual_add_f32 v24, v23, v10 :: v_dual_sub_f32 v9, v9, v12
	s_delay_alu instid0(VALU_DEP_1) | instskip(NEXT) | instid1(VALU_DEP_1)
	v_dual_sub_f32 v11, v24, v23 :: v_dual_add_f32 v6, v6, v9
	v_sub_f32_e32 v9, v10, v11
	s_delay_alu instid0(VALU_DEP_1) | instskip(NEXT) | instid1(VALU_DEP_1)
	v_add_f32_e32 v6, v6, v9
	v_add_f32_e32 v6, v24, v6
	s_delay_alu instid0(VALU_DEP_1) | instskip(NEXT) | instid1(VALU_DEP_1)
	v_cndmask_b32_e64 v3, v6, v3, s6
	v_add_f32_e32 v3, v4, v3
.LBB145_57:
	s_or_b32 exec_lo, exec_lo, s7
	ds_load_b32 v4, v5 offset:12
	v_max_f32_e32 v6, v3, v3
	v_cmp_u_f32_e64 s6, v3, v3
	ds_store_b32 v5, v3 offset:8
	s_waitcnt lgkmcnt(1)
	v_max_f32_e32 v9, v4, v4
	s_delay_alu instid0(VALU_DEP_1) | instskip(SKIP_1) | instid1(VALU_DEP_2)
	v_min_f32_e32 v10, v6, v9
	v_max_f32_e32 v6, v6, v9
	v_cndmask_b32_e64 v9, v10, v3, s6
	s_delay_alu instid0(VALU_DEP_2) | instskip(SKIP_1) | instid1(VALU_DEP_1)
	v_cndmask_b32_e64 v10, v6, v3, s6
	v_cmp_u_f32_e64 s6, v4, v4
	v_cndmask_b32_e64 v6, v9, v4, s6
	s_delay_alu instid0(VALU_DEP_3) | instskip(NEXT) | instid1(VALU_DEP_2)
	v_cndmask_b32_e64 v4, v10, v4, s6
	v_cmp_class_f32_e64 s7, v6, 0x1f8
	s_delay_alu instid0(VALU_DEP_2) | instskip(NEXT) | instid1(VALU_DEP_1)
	v_cmp_neq_f32_e64 s6, v6, v4
	s_or_b32 s6, s6, s7
	s_delay_alu instid0(SALU_CYCLE_1)
	s_and_saveexec_b32 s7, s6
	s_cbranch_execz .LBB145_59
; %bb.58:
	v_sub_f32_e32 v3, v6, v4
	s_delay_alu instid0(VALU_DEP_1) | instskip(SKIP_1) | instid1(VALU_DEP_2)
	v_mul_f32_e32 v6, 0x3fb8aa3b, v3
	v_cmp_ngt_f32_e64 s6, 0xc2ce8ed0, v3
	v_fma_f32 v9, 0x3fb8aa3b, v3, -v6
	v_rndne_f32_e32 v10, v6
	s_delay_alu instid0(VALU_DEP_1) | instskip(NEXT) | instid1(VALU_DEP_1)
	v_dual_fmamk_f32 v9, v3, 0x32a5705f, v9 :: v_dual_sub_f32 v6, v6, v10
	v_add_f32_e32 v6, v6, v9
	v_cvt_i32_f32_e32 v9, v10
	s_delay_alu instid0(VALU_DEP_2) | instskip(SKIP_2) | instid1(VALU_DEP_1)
	v_exp_f32_e32 v6, v6
	s_waitcnt_depctr 0xfff
	v_ldexp_f32 v6, v6, v9
	v_cndmask_b32_e64 v6, 0, v6, s6
	v_cmp_nlt_f32_e64 s6, 0x42b17218, v3
	s_delay_alu instid0(VALU_DEP_1) | instskip(NEXT) | instid1(VALU_DEP_1)
	v_cndmask_b32_e64 v3, 0x7f800000, v6, s6
	v_add_f32_e32 v6, 1.0, v3
	v_cmp_gt_f32_e64 s9, 0x33800000, |v3|
	s_delay_alu instid0(VALU_DEP_2) | instskip(NEXT) | instid1(VALU_DEP_1)
	v_cvt_f64_f32_e32 v[9:10], v6
	v_frexp_exp_i32_f64_e32 v9, v[9:10]
	v_frexp_mant_f32_e32 v10, v6
	s_delay_alu instid0(VALU_DEP_1) | instskip(SKIP_1) | instid1(VALU_DEP_1)
	v_cmp_gt_f32_e64 s6, 0x3f2aaaab, v10
	v_add_f32_e32 v10, -1.0, v6
	v_sub_f32_e32 v12, v10, v6
	v_sub_f32_e32 v10, v3, v10
	s_delay_alu instid0(VALU_DEP_4) | instskip(SKIP_1) | instid1(VALU_DEP_1)
	v_subrev_co_ci_u32_e64 v9, s6, 0, v9, s6
	s_mov_b32 s6, 0x3e9b6dac
	v_sub_nc_u32_e32 v11, 0, v9
	v_cvt_f32_i32_e32 v9, v9
	s_delay_alu instid0(VALU_DEP_2) | instskip(NEXT) | instid1(VALU_DEP_1)
	v_ldexp_f32 v6, v6, v11
	v_dual_add_f32 v12, 1.0, v12 :: v_dual_add_f32 v23, 1.0, v6
	s_delay_alu instid0(VALU_DEP_1) | instskip(NEXT) | instid1(VALU_DEP_1)
	v_add_f32_e32 v10, v10, v12
	v_ldexp_f32 v10, v10, v11
	s_delay_alu instid0(VALU_DEP_3) | instskip(NEXT) | instid1(VALU_DEP_1)
	v_dual_add_f32 v11, -1.0, v6 :: v_dual_add_f32 v12, -1.0, v23
	v_add_f32_e32 v24, 1.0, v11
	s_delay_alu instid0(VALU_DEP_2) | instskip(NEXT) | instid1(VALU_DEP_2)
	v_sub_f32_e32 v12, v6, v12
	v_sub_f32_e32 v6, v6, v24
	s_delay_alu instid0(VALU_DEP_1) | instskip(NEXT) | instid1(VALU_DEP_1)
	v_add_f32_e32 v6, v10, v6
	v_add_f32_e32 v25, v11, v6
	s_delay_alu instid0(VALU_DEP_1) | instskip(NEXT) | instid1(VALU_DEP_1)
	v_dual_sub_f32 v11, v11, v25 :: v_dual_add_f32 v12, v10, v12
	v_add_f32_e32 v6, v6, v11
	s_delay_alu instid0(VALU_DEP_2) | instskip(NEXT) | instid1(VALU_DEP_1)
	v_add_f32_e32 v24, v23, v12
	v_rcp_f32_e32 v10, v24
	v_sub_f32_e32 v23, v23, v24
	s_delay_alu instid0(VALU_DEP_1) | instskip(SKIP_2) | instid1(VALU_DEP_1)
	v_add_f32_e32 v12, v12, v23
	s_waitcnt_depctr 0xfff
	v_mul_f32_e32 v26, v25, v10
	v_mul_f32_e32 v27, v24, v26
	s_delay_alu instid0(VALU_DEP_1) | instskip(NEXT) | instid1(VALU_DEP_1)
	v_fma_f32 v23, v26, v24, -v27
	v_fmac_f32_e32 v23, v26, v12
	s_delay_alu instid0(VALU_DEP_1) | instskip(NEXT) | instid1(VALU_DEP_1)
	v_add_f32_e32 v28, v27, v23
	v_sub_f32_e32 v29, v25, v28
	v_sub_f32_e32 v11, v28, v27
	s_delay_alu instid0(VALU_DEP_2) | instskip(NEXT) | instid1(VALU_DEP_2)
	v_sub_f32_e32 v25, v25, v29
	v_sub_f32_e32 v11, v11, v23
	s_delay_alu instid0(VALU_DEP_2) | instskip(NEXT) | instid1(VALU_DEP_1)
	v_sub_f32_e32 v25, v25, v28
	v_add_f32_e32 v6, v6, v25
	s_delay_alu instid0(VALU_DEP_1) | instskip(NEXT) | instid1(VALU_DEP_1)
	v_add_f32_e32 v6, v11, v6
	v_add_f32_e32 v11, v29, v6
	s_delay_alu instid0(VALU_DEP_1) | instskip(NEXT) | instid1(VALU_DEP_1)
	v_mul_f32_e32 v23, v10, v11
	v_mul_f32_e32 v25, v24, v23
	s_delay_alu instid0(VALU_DEP_1) | instskip(NEXT) | instid1(VALU_DEP_1)
	v_fma_f32 v24, v23, v24, -v25
	v_fmac_f32_e32 v24, v23, v12
	s_delay_alu instid0(VALU_DEP_1) | instskip(NEXT) | instid1(VALU_DEP_1)
	v_add_f32_e32 v12, v25, v24
	v_dual_sub_f32 v28, v29, v11 :: v_dual_sub_f32 v27, v11, v12
	v_sub_f32_e32 v25, v12, v25
	s_delay_alu instid0(VALU_DEP_2) | instskip(NEXT) | instid1(VALU_DEP_1)
	v_sub_f32_e32 v11, v11, v27
	v_sub_f32_e32 v11, v11, v12
	s_delay_alu instid0(VALU_DEP_4) | instskip(NEXT) | instid1(VALU_DEP_4)
	v_add_f32_e32 v6, v6, v28
	v_sub_f32_e32 v12, v25, v24
	s_delay_alu instid0(VALU_DEP_2) | instskip(NEXT) | instid1(VALU_DEP_1)
	v_add_f32_e32 v6, v6, v11
	v_dual_add_f32 v11, v26, v23 :: v_dual_add_f32 v6, v12, v6
	s_delay_alu instid0(VALU_DEP_1) | instskip(NEXT) | instid1(VALU_DEP_2)
	v_sub_f32_e32 v12, v11, v26
	v_add_f32_e32 v6, v27, v6
	s_delay_alu instid0(VALU_DEP_2) | instskip(NEXT) | instid1(VALU_DEP_2)
	v_sub_f32_e32 v12, v23, v12
	v_mul_f32_e32 v6, v10, v6
	s_delay_alu instid0(VALU_DEP_1) | instskip(NEXT) | instid1(VALU_DEP_1)
	v_add_f32_e32 v6, v12, v6
	v_add_f32_e32 v10, v11, v6
	s_delay_alu instid0(VALU_DEP_1) | instskip(NEXT) | instid1(VALU_DEP_1)
	v_mul_f32_e32 v12, v10, v10
	v_fmaak_f32 v23, s6, v12, 0x3ecc95a3
	v_mul_f32_e32 v24, v10, v12
	v_cmp_eq_f32_e64 s6, 0x7f800000, v3
	s_delay_alu instid0(VALU_DEP_3) | instskip(SKIP_2) | instid1(VALU_DEP_4)
	v_fmaak_f32 v12, v12, v23, 0x3f2aaada
	v_ldexp_f32 v23, v10, 1
	v_sub_f32_e32 v10, v10, v11
	s_or_b32 s6, s6, s9
	s_delay_alu instid0(VALU_DEP_3) | instskip(SKIP_1) | instid1(VALU_DEP_2)
	v_mul_f32_e32 v12, v24, v12
	v_mul_f32_e32 v24, 0x3f317218, v9
	v_dual_sub_f32 v6, v6, v10 :: v_dual_add_f32 v11, v23, v12
	s_delay_alu instid0(VALU_DEP_1) | instskip(NEXT) | instid1(VALU_DEP_2)
	v_ldexp_f32 v6, v6, 1
	v_sub_f32_e32 v10, v11, v23
	s_delay_alu instid0(VALU_DEP_4) | instskip(NEXT) | instid1(VALU_DEP_1)
	v_fma_f32 v23, 0x3f317218, v9, -v24
	v_dual_sub_f32 v10, v12, v10 :: v_dual_fmamk_f32 v9, v9, 0xb102e308, v23
	s_delay_alu instid0(VALU_DEP_1) | instskip(NEXT) | instid1(VALU_DEP_2)
	v_add_f32_e32 v6, v6, v10
	v_add_f32_e32 v10, v24, v9
	s_delay_alu instid0(VALU_DEP_2) | instskip(NEXT) | instid1(VALU_DEP_2)
	v_add_f32_e32 v12, v11, v6
	v_sub_f32_e32 v24, v10, v24
	s_delay_alu instid0(VALU_DEP_2) | instskip(SKIP_1) | instid1(VALU_DEP_3)
	v_add_f32_e32 v23, v10, v12
	v_sub_f32_e32 v11, v12, v11
	v_sub_f32_e32 v9, v9, v24
	s_delay_alu instid0(VALU_DEP_2) | instskip(NEXT) | instid1(VALU_DEP_1)
	v_dual_sub_f32 v25, v23, v10 :: v_dual_sub_f32 v6, v6, v11
	v_sub_f32_e32 v26, v23, v25
	s_delay_alu instid0(VALU_DEP_2) | instskip(NEXT) | instid1(VALU_DEP_2)
	v_dual_sub_f32 v11, v12, v25 :: v_dual_add_f32 v12, v9, v6
	v_sub_f32_e32 v10, v10, v26
	s_delay_alu instid0(VALU_DEP_1) | instskip(NEXT) | instid1(VALU_DEP_1)
	v_dual_add_f32 v10, v11, v10 :: v_dual_sub_f32 v11, v12, v9
	v_add_f32_e32 v10, v12, v10
	s_delay_alu instid0(VALU_DEP_2) | instskip(SKIP_1) | instid1(VALU_DEP_2)
	v_sub_f32_e32 v12, v12, v11
	v_sub_f32_e32 v6, v6, v11
	v_dual_add_f32 v24, v23, v10 :: v_dual_sub_f32 v9, v9, v12
	s_delay_alu instid0(VALU_DEP_1) | instskip(NEXT) | instid1(VALU_DEP_1)
	v_dual_sub_f32 v11, v24, v23 :: v_dual_add_f32 v6, v6, v9
	v_sub_f32_e32 v9, v10, v11
	s_delay_alu instid0(VALU_DEP_1) | instskip(NEXT) | instid1(VALU_DEP_1)
	v_add_f32_e32 v6, v6, v9
	v_add_f32_e32 v6, v24, v6
	s_delay_alu instid0(VALU_DEP_1) | instskip(NEXT) | instid1(VALU_DEP_1)
	v_cndmask_b32_e64 v3, v6, v3, s6
	v_add_f32_e32 v3, v4, v3
.LBB145_59:
	s_or_b32 exec_lo, exec_lo, s7
	ds_load_b32 v4, v5 offset:16
	v_max_f32_e32 v6, v3, v3
	v_cmp_u_f32_e64 s6, v3, v3
	ds_store_b32 v5, v3 offset:12
	s_waitcnt lgkmcnt(1)
	v_max_f32_e32 v9, v4, v4
	s_delay_alu instid0(VALU_DEP_1) | instskip(SKIP_1) | instid1(VALU_DEP_2)
	v_min_f32_e32 v10, v6, v9
	v_max_f32_e32 v6, v6, v9
	v_cndmask_b32_e64 v9, v10, v3, s6
	s_delay_alu instid0(VALU_DEP_2) | instskip(SKIP_1) | instid1(VALU_DEP_1)
	v_cndmask_b32_e64 v10, v6, v3, s6
	v_cmp_u_f32_e64 s6, v4, v4
	v_cndmask_b32_e64 v6, v9, v4, s6
	s_delay_alu instid0(VALU_DEP_3) | instskip(NEXT) | instid1(VALU_DEP_2)
	v_cndmask_b32_e64 v4, v10, v4, s6
	v_cmp_class_f32_e64 s7, v6, 0x1f8
	s_delay_alu instid0(VALU_DEP_2) | instskip(NEXT) | instid1(VALU_DEP_1)
	v_cmp_neq_f32_e64 s6, v6, v4
	s_or_b32 s6, s6, s7
	s_delay_alu instid0(SALU_CYCLE_1)
	s_and_saveexec_b32 s7, s6
	s_cbranch_execz .LBB145_61
; %bb.60:
	v_sub_f32_e32 v3, v6, v4
	s_delay_alu instid0(VALU_DEP_1) | instskip(SKIP_1) | instid1(VALU_DEP_2)
	v_mul_f32_e32 v6, 0x3fb8aa3b, v3
	v_cmp_ngt_f32_e64 s6, 0xc2ce8ed0, v3
	v_fma_f32 v9, 0x3fb8aa3b, v3, -v6
	v_rndne_f32_e32 v10, v6
	s_delay_alu instid0(VALU_DEP_1) | instskip(NEXT) | instid1(VALU_DEP_1)
	v_dual_fmamk_f32 v9, v3, 0x32a5705f, v9 :: v_dual_sub_f32 v6, v6, v10
	v_add_f32_e32 v6, v6, v9
	v_cvt_i32_f32_e32 v9, v10
	s_delay_alu instid0(VALU_DEP_2) | instskip(SKIP_2) | instid1(VALU_DEP_1)
	v_exp_f32_e32 v6, v6
	s_waitcnt_depctr 0xfff
	v_ldexp_f32 v6, v6, v9
	v_cndmask_b32_e64 v6, 0, v6, s6
	v_cmp_nlt_f32_e64 s6, 0x42b17218, v3
	s_delay_alu instid0(VALU_DEP_1) | instskip(NEXT) | instid1(VALU_DEP_1)
	v_cndmask_b32_e64 v3, 0x7f800000, v6, s6
	v_add_f32_e32 v6, 1.0, v3
	v_cmp_gt_f32_e64 s9, 0x33800000, |v3|
	s_delay_alu instid0(VALU_DEP_2) | instskip(NEXT) | instid1(VALU_DEP_1)
	v_cvt_f64_f32_e32 v[9:10], v6
	v_frexp_exp_i32_f64_e32 v9, v[9:10]
	v_frexp_mant_f32_e32 v10, v6
	s_delay_alu instid0(VALU_DEP_1) | instskip(SKIP_1) | instid1(VALU_DEP_1)
	v_cmp_gt_f32_e64 s6, 0x3f2aaaab, v10
	v_add_f32_e32 v10, -1.0, v6
	v_sub_f32_e32 v12, v10, v6
	v_sub_f32_e32 v10, v3, v10
	s_delay_alu instid0(VALU_DEP_4) | instskip(SKIP_1) | instid1(VALU_DEP_1)
	v_subrev_co_ci_u32_e64 v9, s6, 0, v9, s6
	s_mov_b32 s6, 0x3e9b6dac
	v_sub_nc_u32_e32 v11, 0, v9
	v_cvt_f32_i32_e32 v9, v9
	s_delay_alu instid0(VALU_DEP_2) | instskip(NEXT) | instid1(VALU_DEP_1)
	v_ldexp_f32 v6, v6, v11
	v_dual_add_f32 v12, 1.0, v12 :: v_dual_add_f32 v23, 1.0, v6
	s_delay_alu instid0(VALU_DEP_1) | instskip(NEXT) | instid1(VALU_DEP_1)
	v_add_f32_e32 v10, v10, v12
	v_ldexp_f32 v10, v10, v11
	s_delay_alu instid0(VALU_DEP_3) | instskip(NEXT) | instid1(VALU_DEP_1)
	v_dual_add_f32 v11, -1.0, v6 :: v_dual_add_f32 v12, -1.0, v23
	v_add_f32_e32 v24, 1.0, v11
	s_delay_alu instid0(VALU_DEP_2) | instskip(NEXT) | instid1(VALU_DEP_2)
	v_sub_f32_e32 v12, v6, v12
	v_sub_f32_e32 v6, v6, v24
	s_delay_alu instid0(VALU_DEP_1) | instskip(NEXT) | instid1(VALU_DEP_1)
	v_add_f32_e32 v6, v10, v6
	v_add_f32_e32 v25, v11, v6
	s_delay_alu instid0(VALU_DEP_1) | instskip(NEXT) | instid1(VALU_DEP_1)
	v_dual_sub_f32 v11, v11, v25 :: v_dual_add_f32 v12, v10, v12
	v_add_f32_e32 v6, v6, v11
	s_delay_alu instid0(VALU_DEP_2) | instskip(NEXT) | instid1(VALU_DEP_1)
	v_add_f32_e32 v24, v23, v12
	v_rcp_f32_e32 v10, v24
	v_sub_f32_e32 v23, v23, v24
	s_delay_alu instid0(VALU_DEP_1) | instskip(SKIP_2) | instid1(VALU_DEP_1)
	v_add_f32_e32 v12, v12, v23
	s_waitcnt_depctr 0xfff
	v_mul_f32_e32 v26, v25, v10
	v_mul_f32_e32 v27, v24, v26
	s_delay_alu instid0(VALU_DEP_1) | instskip(NEXT) | instid1(VALU_DEP_1)
	v_fma_f32 v23, v26, v24, -v27
	v_fmac_f32_e32 v23, v26, v12
	s_delay_alu instid0(VALU_DEP_1) | instskip(NEXT) | instid1(VALU_DEP_1)
	v_add_f32_e32 v28, v27, v23
	v_sub_f32_e32 v29, v25, v28
	v_sub_f32_e32 v11, v28, v27
	s_delay_alu instid0(VALU_DEP_2) | instskip(NEXT) | instid1(VALU_DEP_2)
	v_sub_f32_e32 v25, v25, v29
	v_sub_f32_e32 v11, v11, v23
	s_delay_alu instid0(VALU_DEP_2) | instskip(NEXT) | instid1(VALU_DEP_1)
	v_sub_f32_e32 v25, v25, v28
	v_add_f32_e32 v6, v6, v25
	s_delay_alu instid0(VALU_DEP_1) | instskip(NEXT) | instid1(VALU_DEP_1)
	v_add_f32_e32 v6, v11, v6
	v_add_f32_e32 v11, v29, v6
	s_delay_alu instid0(VALU_DEP_1) | instskip(NEXT) | instid1(VALU_DEP_1)
	v_mul_f32_e32 v23, v10, v11
	v_mul_f32_e32 v25, v24, v23
	s_delay_alu instid0(VALU_DEP_1) | instskip(NEXT) | instid1(VALU_DEP_1)
	v_fma_f32 v24, v23, v24, -v25
	v_fmac_f32_e32 v24, v23, v12
	s_delay_alu instid0(VALU_DEP_1) | instskip(NEXT) | instid1(VALU_DEP_1)
	v_add_f32_e32 v12, v25, v24
	v_dual_sub_f32 v28, v29, v11 :: v_dual_sub_f32 v27, v11, v12
	v_sub_f32_e32 v25, v12, v25
	s_delay_alu instid0(VALU_DEP_2) | instskip(NEXT) | instid1(VALU_DEP_1)
	v_sub_f32_e32 v11, v11, v27
	v_sub_f32_e32 v11, v11, v12
	s_delay_alu instid0(VALU_DEP_4) | instskip(NEXT) | instid1(VALU_DEP_4)
	v_add_f32_e32 v6, v6, v28
	v_sub_f32_e32 v12, v25, v24
	s_delay_alu instid0(VALU_DEP_2) | instskip(NEXT) | instid1(VALU_DEP_1)
	v_add_f32_e32 v6, v6, v11
	v_dual_add_f32 v11, v26, v23 :: v_dual_add_f32 v6, v12, v6
	s_delay_alu instid0(VALU_DEP_1) | instskip(NEXT) | instid1(VALU_DEP_2)
	v_sub_f32_e32 v12, v11, v26
	v_add_f32_e32 v6, v27, v6
	s_delay_alu instid0(VALU_DEP_2) | instskip(NEXT) | instid1(VALU_DEP_2)
	v_sub_f32_e32 v12, v23, v12
	v_mul_f32_e32 v6, v10, v6
	s_delay_alu instid0(VALU_DEP_1) | instskip(NEXT) | instid1(VALU_DEP_1)
	v_add_f32_e32 v6, v12, v6
	v_add_f32_e32 v10, v11, v6
	s_delay_alu instid0(VALU_DEP_1) | instskip(NEXT) | instid1(VALU_DEP_1)
	v_mul_f32_e32 v12, v10, v10
	v_fmaak_f32 v23, s6, v12, 0x3ecc95a3
	v_mul_f32_e32 v24, v10, v12
	v_cmp_eq_f32_e64 s6, 0x7f800000, v3
	s_delay_alu instid0(VALU_DEP_3) | instskip(SKIP_2) | instid1(VALU_DEP_4)
	v_fmaak_f32 v12, v12, v23, 0x3f2aaada
	v_ldexp_f32 v23, v10, 1
	v_sub_f32_e32 v10, v10, v11
	s_or_b32 s6, s6, s9
	s_delay_alu instid0(VALU_DEP_3) | instskip(SKIP_1) | instid1(VALU_DEP_2)
	v_mul_f32_e32 v12, v24, v12
	v_mul_f32_e32 v24, 0x3f317218, v9
	v_dual_sub_f32 v6, v6, v10 :: v_dual_add_f32 v11, v23, v12
	s_delay_alu instid0(VALU_DEP_1) | instskip(NEXT) | instid1(VALU_DEP_2)
	v_ldexp_f32 v6, v6, 1
	v_sub_f32_e32 v10, v11, v23
	s_delay_alu instid0(VALU_DEP_4) | instskip(NEXT) | instid1(VALU_DEP_1)
	v_fma_f32 v23, 0x3f317218, v9, -v24
	v_dual_sub_f32 v10, v12, v10 :: v_dual_fmamk_f32 v9, v9, 0xb102e308, v23
	s_delay_alu instid0(VALU_DEP_1) | instskip(NEXT) | instid1(VALU_DEP_2)
	v_add_f32_e32 v6, v6, v10
	v_add_f32_e32 v10, v24, v9
	s_delay_alu instid0(VALU_DEP_2) | instskip(NEXT) | instid1(VALU_DEP_2)
	v_add_f32_e32 v12, v11, v6
	v_sub_f32_e32 v24, v10, v24
	s_delay_alu instid0(VALU_DEP_2) | instskip(SKIP_1) | instid1(VALU_DEP_3)
	v_add_f32_e32 v23, v10, v12
	v_sub_f32_e32 v11, v12, v11
	v_sub_f32_e32 v9, v9, v24
	s_delay_alu instid0(VALU_DEP_2) | instskip(NEXT) | instid1(VALU_DEP_1)
	v_dual_sub_f32 v25, v23, v10 :: v_dual_sub_f32 v6, v6, v11
	v_sub_f32_e32 v26, v23, v25
	s_delay_alu instid0(VALU_DEP_2) | instskip(NEXT) | instid1(VALU_DEP_2)
	v_dual_sub_f32 v11, v12, v25 :: v_dual_add_f32 v12, v9, v6
	v_sub_f32_e32 v10, v10, v26
	s_delay_alu instid0(VALU_DEP_1) | instskip(NEXT) | instid1(VALU_DEP_1)
	v_dual_add_f32 v10, v11, v10 :: v_dual_sub_f32 v11, v12, v9
	v_add_f32_e32 v10, v12, v10
	s_delay_alu instid0(VALU_DEP_2) | instskip(SKIP_1) | instid1(VALU_DEP_2)
	v_sub_f32_e32 v12, v12, v11
	v_sub_f32_e32 v6, v6, v11
	v_dual_add_f32 v24, v23, v10 :: v_dual_sub_f32 v9, v9, v12
	s_delay_alu instid0(VALU_DEP_1) | instskip(NEXT) | instid1(VALU_DEP_1)
	v_dual_sub_f32 v11, v24, v23 :: v_dual_add_f32 v6, v6, v9
	v_sub_f32_e32 v9, v10, v11
	s_delay_alu instid0(VALU_DEP_1) | instskip(NEXT) | instid1(VALU_DEP_1)
	v_add_f32_e32 v6, v6, v9
	v_add_f32_e32 v6, v24, v6
	s_delay_alu instid0(VALU_DEP_1) | instskip(NEXT) | instid1(VALU_DEP_1)
	v_cndmask_b32_e64 v3, v6, v3, s6
	v_add_f32_e32 v3, v4, v3
.LBB145_61:
	s_or_b32 exec_lo, exec_lo, s7
	ds_load_b32 v4, v5 offset:20
	v_max_f32_e32 v6, v3, v3
	v_cmp_u_f32_e64 s6, v3, v3
	ds_store_b32 v5, v3 offset:16
	s_waitcnt lgkmcnt(1)
	v_max_f32_e32 v9, v4, v4
	s_delay_alu instid0(VALU_DEP_1) | instskip(SKIP_1) | instid1(VALU_DEP_2)
	v_min_f32_e32 v10, v6, v9
	v_max_f32_e32 v6, v6, v9
	v_cndmask_b32_e64 v9, v10, v3, s6
	s_delay_alu instid0(VALU_DEP_2) | instskip(SKIP_1) | instid1(VALU_DEP_1)
	v_cndmask_b32_e64 v10, v6, v3, s6
	v_cmp_u_f32_e64 s6, v4, v4
	v_cndmask_b32_e64 v6, v9, v4, s6
	s_delay_alu instid0(VALU_DEP_3) | instskip(NEXT) | instid1(VALU_DEP_2)
	v_cndmask_b32_e64 v4, v10, v4, s6
	v_cmp_class_f32_e64 s7, v6, 0x1f8
	s_delay_alu instid0(VALU_DEP_2) | instskip(NEXT) | instid1(VALU_DEP_1)
	v_cmp_neq_f32_e64 s6, v6, v4
	s_or_b32 s6, s6, s7
	s_delay_alu instid0(SALU_CYCLE_1)
	s_and_saveexec_b32 s7, s6
	s_cbranch_execz .LBB145_63
; %bb.62:
	v_sub_f32_e32 v3, v6, v4
	s_delay_alu instid0(VALU_DEP_1) | instskip(SKIP_1) | instid1(VALU_DEP_2)
	v_mul_f32_e32 v6, 0x3fb8aa3b, v3
	v_cmp_ngt_f32_e64 s6, 0xc2ce8ed0, v3
	v_fma_f32 v9, 0x3fb8aa3b, v3, -v6
	v_rndne_f32_e32 v10, v6
	s_delay_alu instid0(VALU_DEP_1) | instskip(NEXT) | instid1(VALU_DEP_1)
	v_dual_fmamk_f32 v9, v3, 0x32a5705f, v9 :: v_dual_sub_f32 v6, v6, v10
	v_add_f32_e32 v6, v6, v9
	v_cvt_i32_f32_e32 v9, v10
	s_delay_alu instid0(VALU_DEP_2) | instskip(SKIP_2) | instid1(VALU_DEP_1)
	v_exp_f32_e32 v6, v6
	s_waitcnt_depctr 0xfff
	v_ldexp_f32 v6, v6, v9
	v_cndmask_b32_e64 v6, 0, v6, s6
	v_cmp_nlt_f32_e64 s6, 0x42b17218, v3
	s_delay_alu instid0(VALU_DEP_1) | instskip(NEXT) | instid1(VALU_DEP_1)
	v_cndmask_b32_e64 v3, 0x7f800000, v6, s6
	v_add_f32_e32 v6, 1.0, v3
	v_cmp_gt_f32_e64 s9, 0x33800000, |v3|
	s_delay_alu instid0(VALU_DEP_2) | instskip(NEXT) | instid1(VALU_DEP_1)
	v_cvt_f64_f32_e32 v[9:10], v6
	v_frexp_exp_i32_f64_e32 v9, v[9:10]
	v_frexp_mant_f32_e32 v10, v6
	s_delay_alu instid0(VALU_DEP_1) | instskip(SKIP_1) | instid1(VALU_DEP_1)
	v_cmp_gt_f32_e64 s6, 0x3f2aaaab, v10
	v_add_f32_e32 v10, -1.0, v6
	v_sub_f32_e32 v12, v10, v6
	v_sub_f32_e32 v10, v3, v10
	s_delay_alu instid0(VALU_DEP_4) | instskip(SKIP_1) | instid1(VALU_DEP_1)
	v_subrev_co_ci_u32_e64 v9, s6, 0, v9, s6
	s_mov_b32 s6, 0x3e9b6dac
	v_sub_nc_u32_e32 v11, 0, v9
	v_cvt_f32_i32_e32 v9, v9
	s_delay_alu instid0(VALU_DEP_2) | instskip(NEXT) | instid1(VALU_DEP_1)
	v_ldexp_f32 v6, v6, v11
	v_dual_add_f32 v12, 1.0, v12 :: v_dual_add_f32 v23, 1.0, v6
	s_delay_alu instid0(VALU_DEP_1) | instskip(NEXT) | instid1(VALU_DEP_1)
	v_add_f32_e32 v10, v10, v12
	v_ldexp_f32 v10, v10, v11
	s_delay_alu instid0(VALU_DEP_3) | instskip(NEXT) | instid1(VALU_DEP_1)
	v_dual_add_f32 v11, -1.0, v6 :: v_dual_add_f32 v12, -1.0, v23
	v_add_f32_e32 v24, 1.0, v11
	s_delay_alu instid0(VALU_DEP_2) | instskip(NEXT) | instid1(VALU_DEP_2)
	v_sub_f32_e32 v12, v6, v12
	v_sub_f32_e32 v6, v6, v24
	s_delay_alu instid0(VALU_DEP_1) | instskip(NEXT) | instid1(VALU_DEP_1)
	v_add_f32_e32 v6, v10, v6
	v_add_f32_e32 v25, v11, v6
	s_delay_alu instid0(VALU_DEP_1) | instskip(NEXT) | instid1(VALU_DEP_1)
	v_dual_sub_f32 v11, v11, v25 :: v_dual_add_f32 v12, v10, v12
	v_add_f32_e32 v6, v6, v11
	s_delay_alu instid0(VALU_DEP_2) | instskip(NEXT) | instid1(VALU_DEP_1)
	v_add_f32_e32 v24, v23, v12
	v_rcp_f32_e32 v10, v24
	v_sub_f32_e32 v23, v23, v24
	s_delay_alu instid0(VALU_DEP_1) | instskip(SKIP_2) | instid1(VALU_DEP_1)
	v_add_f32_e32 v12, v12, v23
	s_waitcnt_depctr 0xfff
	v_mul_f32_e32 v26, v25, v10
	v_mul_f32_e32 v27, v24, v26
	s_delay_alu instid0(VALU_DEP_1) | instskip(NEXT) | instid1(VALU_DEP_1)
	v_fma_f32 v23, v26, v24, -v27
	v_fmac_f32_e32 v23, v26, v12
	s_delay_alu instid0(VALU_DEP_1) | instskip(NEXT) | instid1(VALU_DEP_1)
	v_add_f32_e32 v28, v27, v23
	v_sub_f32_e32 v29, v25, v28
	v_sub_f32_e32 v11, v28, v27
	s_delay_alu instid0(VALU_DEP_2) | instskip(NEXT) | instid1(VALU_DEP_2)
	v_sub_f32_e32 v25, v25, v29
	v_sub_f32_e32 v11, v11, v23
	s_delay_alu instid0(VALU_DEP_2) | instskip(NEXT) | instid1(VALU_DEP_1)
	v_sub_f32_e32 v25, v25, v28
	v_add_f32_e32 v6, v6, v25
	s_delay_alu instid0(VALU_DEP_1) | instskip(NEXT) | instid1(VALU_DEP_1)
	v_add_f32_e32 v6, v11, v6
	v_add_f32_e32 v11, v29, v6
	s_delay_alu instid0(VALU_DEP_1) | instskip(NEXT) | instid1(VALU_DEP_1)
	v_mul_f32_e32 v23, v10, v11
	v_mul_f32_e32 v25, v24, v23
	s_delay_alu instid0(VALU_DEP_1) | instskip(NEXT) | instid1(VALU_DEP_1)
	v_fma_f32 v24, v23, v24, -v25
	v_fmac_f32_e32 v24, v23, v12
	s_delay_alu instid0(VALU_DEP_1) | instskip(NEXT) | instid1(VALU_DEP_1)
	v_add_f32_e32 v12, v25, v24
	v_dual_sub_f32 v28, v29, v11 :: v_dual_sub_f32 v27, v11, v12
	v_sub_f32_e32 v25, v12, v25
	s_delay_alu instid0(VALU_DEP_2) | instskip(NEXT) | instid1(VALU_DEP_1)
	v_sub_f32_e32 v11, v11, v27
	v_sub_f32_e32 v11, v11, v12
	s_delay_alu instid0(VALU_DEP_4) | instskip(NEXT) | instid1(VALU_DEP_4)
	v_add_f32_e32 v6, v6, v28
	v_sub_f32_e32 v12, v25, v24
	s_delay_alu instid0(VALU_DEP_2) | instskip(NEXT) | instid1(VALU_DEP_1)
	v_add_f32_e32 v6, v6, v11
	v_dual_add_f32 v11, v26, v23 :: v_dual_add_f32 v6, v12, v6
	s_delay_alu instid0(VALU_DEP_1) | instskip(NEXT) | instid1(VALU_DEP_2)
	v_sub_f32_e32 v12, v11, v26
	v_add_f32_e32 v6, v27, v6
	s_delay_alu instid0(VALU_DEP_2) | instskip(NEXT) | instid1(VALU_DEP_2)
	v_sub_f32_e32 v12, v23, v12
	v_mul_f32_e32 v6, v10, v6
	s_delay_alu instid0(VALU_DEP_1) | instskip(NEXT) | instid1(VALU_DEP_1)
	v_add_f32_e32 v6, v12, v6
	v_add_f32_e32 v10, v11, v6
	s_delay_alu instid0(VALU_DEP_1) | instskip(NEXT) | instid1(VALU_DEP_1)
	v_mul_f32_e32 v12, v10, v10
	v_fmaak_f32 v23, s6, v12, 0x3ecc95a3
	v_mul_f32_e32 v24, v10, v12
	v_cmp_eq_f32_e64 s6, 0x7f800000, v3
	s_delay_alu instid0(VALU_DEP_3) | instskip(SKIP_2) | instid1(VALU_DEP_4)
	v_fmaak_f32 v12, v12, v23, 0x3f2aaada
	v_ldexp_f32 v23, v10, 1
	v_sub_f32_e32 v10, v10, v11
	s_or_b32 s6, s6, s9
	s_delay_alu instid0(VALU_DEP_3) | instskip(SKIP_1) | instid1(VALU_DEP_2)
	v_mul_f32_e32 v12, v24, v12
	v_mul_f32_e32 v24, 0x3f317218, v9
	v_dual_sub_f32 v6, v6, v10 :: v_dual_add_f32 v11, v23, v12
	s_delay_alu instid0(VALU_DEP_1) | instskip(NEXT) | instid1(VALU_DEP_2)
	v_ldexp_f32 v6, v6, 1
	v_sub_f32_e32 v10, v11, v23
	s_delay_alu instid0(VALU_DEP_4) | instskip(NEXT) | instid1(VALU_DEP_1)
	v_fma_f32 v23, 0x3f317218, v9, -v24
	v_dual_sub_f32 v10, v12, v10 :: v_dual_fmamk_f32 v9, v9, 0xb102e308, v23
	s_delay_alu instid0(VALU_DEP_1) | instskip(NEXT) | instid1(VALU_DEP_2)
	v_add_f32_e32 v6, v6, v10
	v_add_f32_e32 v10, v24, v9
	s_delay_alu instid0(VALU_DEP_2) | instskip(NEXT) | instid1(VALU_DEP_2)
	v_add_f32_e32 v12, v11, v6
	v_sub_f32_e32 v24, v10, v24
	s_delay_alu instid0(VALU_DEP_2) | instskip(SKIP_1) | instid1(VALU_DEP_3)
	v_add_f32_e32 v23, v10, v12
	v_sub_f32_e32 v11, v12, v11
	v_sub_f32_e32 v9, v9, v24
	s_delay_alu instid0(VALU_DEP_2) | instskip(NEXT) | instid1(VALU_DEP_1)
	v_dual_sub_f32 v25, v23, v10 :: v_dual_sub_f32 v6, v6, v11
	v_sub_f32_e32 v26, v23, v25
	s_delay_alu instid0(VALU_DEP_2) | instskip(NEXT) | instid1(VALU_DEP_2)
	v_dual_sub_f32 v11, v12, v25 :: v_dual_add_f32 v12, v9, v6
	v_sub_f32_e32 v10, v10, v26
	s_delay_alu instid0(VALU_DEP_1) | instskip(NEXT) | instid1(VALU_DEP_1)
	v_dual_add_f32 v10, v11, v10 :: v_dual_sub_f32 v11, v12, v9
	v_add_f32_e32 v10, v12, v10
	s_delay_alu instid0(VALU_DEP_2) | instskip(SKIP_1) | instid1(VALU_DEP_2)
	v_sub_f32_e32 v12, v12, v11
	v_sub_f32_e32 v6, v6, v11
	v_dual_add_f32 v24, v23, v10 :: v_dual_sub_f32 v9, v9, v12
	s_delay_alu instid0(VALU_DEP_1) | instskip(NEXT) | instid1(VALU_DEP_1)
	v_dual_sub_f32 v11, v24, v23 :: v_dual_add_f32 v6, v6, v9
	v_sub_f32_e32 v9, v10, v11
	s_delay_alu instid0(VALU_DEP_1) | instskip(NEXT) | instid1(VALU_DEP_1)
	v_add_f32_e32 v6, v6, v9
	v_add_f32_e32 v6, v24, v6
	s_delay_alu instid0(VALU_DEP_1) | instskip(NEXT) | instid1(VALU_DEP_1)
	v_cndmask_b32_e64 v3, v6, v3, s6
	v_add_f32_e32 v3, v4, v3
.LBB145_63:
	s_or_b32 exec_lo, exec_lo, s7
	ds_load_b32 v4, v5 offset:24
	v_max_f32_e32 v6, v3, v3
	v_cmp_u_f32_e64 s6, v3, v3
	ds_store_b32 v5, v3 offset:20
	s_waitcnt lgkmcnt(1)
	v_max_f32_e32 v9, v4, v4
	s_delay_alu instid0(VALU_DEP_1) | instskip(SKIP_1) | instid1(VALU_DEP_2)
	v_min_f32_e32 v10, v6, v9
	v_max_f32_e32 v6, v6, v9
	v_cndmask_b32_e64 v9, v10, v3, s6
	s_delay_alu instid0(VALU_DEP_2) | instskip(SKIP_1) | instid1(VALU_DEP_1)
	v_cndmask_b32_e64 v10, v6, v3, s6
	v_cmp_u_f32_e64 s6, v4, v4
	v_cndmask_b32_e64 v6, v9, v4, s6
	s_delay_alu instid0(VALU_DEP_3) | instskip(NEXT) | instid1(VALU_DEP_2)
	v_cndmask_b32_e64 v4, v10, v4, s6
	v_cmp_class_f32_e64 s7, v6, 0x1f8
	s_delay_alu instid0(VALU_DEP_2) | instskip(NEXT) | instid1(VALU_DEP_1)
	v_cmp_neq_f32_e64 s6, v6, v4
	s_or_b32 s6, s6, s7
	s_delay_alu instid0(SALU_CYCLE_1)
	s_and_saveexec_b32 s7, s6
	s_cbranch_execz .LBB145_65
; %bb.64:
	v_sub_f32_e32 v3, v6, v4
	s_delay_alu instid0(VALU_DEP_1) | instskip(SKIP_1) | instid1(VALU_DEP_2)
	v_mul_f32_e32 v6, 0x3fb8aa3b, v3
	v_cmp_ngt_f32_e64 s6, 0xc2ce8ed0, v3
	v_fma_f32 v9, 0x3fb8aa3b, v3, -v6
	v_rndne_f32_e32 v10, v6
	s_delay_alu instid0(VALU_DEP_1) | instskip(NEXT) | instid1(VALU_DEP_1)
	v_dual_fmamk_f32 v9, v3, 0x32a5705f, v9 :: v_dual_sub_f32 v6, v6, v10
	v_add_f32_e32 v6, v6, v9
	v_cvt_i32_f32_e32 v9, v10
	s_delay_alu instid0(VALU_DEP_2) | instskip(SKIP_2) | instid1(VALU_DEP_1)
	v_exp_f32_e32 v6, v6
	s_waitcnt_depctr 0xfff
	v_ldexp_f32 v6, v6, v9
	v_cndmask_b32_e64 v6, 0, v6, s6
	v_cmp_nlt_f32_e64 s6, 0x42b17218, v3
	s_delay_alu instid0(VALU_DEP_1) | instskip(NEXT) | instid1(VALU_DEP_1)
	v_cndmask_b32_e64 v3, 0x7f800000, v6, s6
	v_add_f32_e32 v6, 1.0, v3
	v_cmp_gt_f32_e64 s9, 0x33800000, |v3|
	s_delay_alu instid0(VALU_DEP_2) | instskip(NEXT) | instid1(VALU_DEP_1)
	v_cvt_f64_f32_e32 v[9:10], v6
	v_frexp_exp_i32_f64_e32 v9, v[9:10]
	v_frexp_mant_f32_e32 v10, v6
	s_delay_alu instid0(VALU_DEP_1) | instskip(SKIP_1) | instid1(VALU_DEP_1)
	v_cmp_gt_f32_e64 s6, 0x3f2aaaab, v10
	v_add_f32_e32 v10, -1.0, v6
	v_sub_f32_e32 v12, v10, v6
	v_sub_f32_e32 v10, v3, v10
	s_delay_alu instid0(VALU_DEP_4) | instskip(SKIP_1) | instid1(VALU_DEP_1)
	v_subrev_co_ci_u32_e64 v9, s6, 0, v9, s6
	s_mov_b32 s6, 0x3e9b6dac
	v_sub_nc_u32_e32 v11, 0, v9
	v_cvt_f32_i32_e32 v9, v9
	s_delay_alu instid0(VALU_DEP_2) | instskip(NEXT) | instid1(VALU_DEP_1)
	v_ldexp_f32 v6, v6, v11
	v_dual_add_f32 v12, 1.0, v12 :: v_dual_add_f32 v23, 1.0, v6
	s_delay_alu instid0(VALU_DEP_1) | instskip(NEXT) | instid1(VALU_DEP_1)
	v_add_f32_e32 v10, v10, v12
	v_ldexp_f32 v10, v10, v11
	s_delay_alu instid0(VALU_DEP_3) | instskip(NEXT) | instid1(VALU_DEP_1)
	v_dual_add_f32 v11, -1.0, v6 :: v_dual_add_f32 v12, -1.0, v23
	v_add_f32_e32 v24, 1.0, v11
	s_delay_alu instid0(VALU_DEP_2) | instskip(NEXT) | instid1(VALU_DEP_2)
	v_sub_f32_e32 v12, v6, v12
	v_sub_f32_e32 v6, v6, v24
	s_delay_alu instid0(VALU_DEP_1) | instskip(NEXT) | instid1(VALU_DEP_1)
	v_add_f32_e32 v6, v10, v6
	v_add_f32_e32 v25, v11, v6
	s_delay_alu instid0(VALU_DEP_1) | instskip(NEXT) | instid1(VALU_DEP_1)
	v_dual_sub_f32 v11, v11, v25 :: v_dual_add_f32 v12, v10, v12
	v_add_f32_e32 v6, v6, v11
	s_delay_alu instid0(VALU_DEP_2) | instskip(NEXT) | instid1(VALU_DEP_1)
	v_add_f32_e32 v24, v23, v12
	v_rcp_f32_e32 v10, v24
	v_sub_f32_e32 v23, v23, v24
	s_delay_alu instid0(VALU_DEP_1) | instskip(SKIP_2) | instid1(VALU_DEP_1)
	v_add_f32_e32 v12, v12, v23
	s_waitcnt_depctr 0xfff
	v_mul_f32_e32 v26, v25, v10
	v_mul_f32_e32 v27, v24, v26
	s_delay_alu instid0(VALU_DEP_1) | instskip(NEXT) | instid1(VALU_DEP_1)
	v_fma_f32 v23, v26, v24, -v27
	v_fmac_f32_e32 v23, v26, v12
	s_delay_alu instid0(VALU_DEP_1) | instskip(NEXT) | instid1(VALU_DEP_1)
	v_add_f32_e32 v28, v27, v23
	v_sub_f32_e32 v29, v25, v28
	v_sub_f32_e32 v11, v28, v27
	s_delay_alu instid0(VALU_DEP_2) | instskip(NEXT) | instid1(VALU_DEP_2)
	v_sub_f32_e32 v25, v25, v29
	v_sub_f32_e32 v11, v11, v23
	s_delay_alu instid0(VALU_DEP_2) | instskip(NEXT) | instid1(VALU_DEP_1)
	v_sub_f32_e32 v25, v25, v28
	v_add_f32_e32 v6, v6, v25
	s_delay_alu instid0(VALU_DEP_1) | instskip(NEXT) | instid1(VALU_DEP_1)
	v_add_f32_e32 v6, v11, v6
	v_add_f32_e32 v11, v29, v6
	s_delay_alu instid0(VALU_DEP_1) | instskip(NEXT) | instid1(VALU_DEP_1)
	v_mul_f32_e32 v23, v10, v11
	v_mul_f32_e32 v25, v24, v23
	s_delay_alu instid0(VALU_DEP_1) | instskip(NEXT) | instid1(VALU_DEP_1)
	v_fma_f32 v24, v23, v24, -v25
	v_fmac_f32_e32 v24, v23, v12
	s_delay_alu instid0(VALU_DEP_1) | instskip(NEXT) | instid1(VALU_DEP_1)
	v_add_f32_e32 v12, v25, v24
	v_dual_sub_f32 v28, v29, v11 :: v_dual_sub_f32 v27, v11, v12
	v_sub_f32_e32 v25, v12, v25
	s_delay_alu instid0(VALU_DEP_2) | instskip(NEXT) | instid1(VALU_DEP_1)
	v_sub_f32_e32 v11, v11, v27
	v_sub_f32_e32 v11, v11, v12
	s_delay_alu instid0(VALU_DEP_4) | instskip(NEXT) | instid1(VALU_DEP_4)
	v_add_f32_e32 v6, v6, v28
	v_sub_f32_e32 v12, v25, v24
	s_delay_alu instid0(VALU_DEP_2) | instskip(NEXT) | instid1(VALU_DEP_1)
	v_add_f32_e32 v6, v6, v11
	v_dual_add_f32 v11, v26, v23 :: v_dual_add_f32 v6, v12, v6
	s_delay_alu instid0(VALU_DEP_1) | instskip(NEXT) | instid1(VALU_DEP_2)
	v_sub_f32_e32 v12, v11, v26
	v_add_f32_e32 v6, v27, v6
	s_delay_alu instid0(VALU_DEP_2) | instskip(NEXT) | instid1(VALU_DEP_2)
	v_sub_f32_e32 v12, v23, v12
	v_mul_f32_e32 v6, v10, v6
	s_delay_alu instid0(VALU_DEP_1) | instskip(NEXT) | instid1(VALU_DEP_1)
	v_add_f32_e32 v6, v12, v6
	v_add_f32_e32 v10, v11, v6
	s_delay_alu instid0(VALU_DEP_1) | instskip(NEXT) | instid1(VALU_DEP_1)
	v_mul_f32_e32 v12, v10, v10
	v_fmaak_f32 v23, s6, v12, 0x3ecc95a3
	v_mul_f32_e32 v24, v10, v12
	v_cmp_eq_f32_e64 s6, 0x7f800000, v3
	s_delay_alu instid0(VALU_DEP_3) | instskip(SKIP_2) | instid1(VALU_DEP_4)
	v_fmaak_f32 v12, v12, v23, 0x3f2aaada
	v_ldexp_f32 v23, v10, 1
	v_sub_f32_e32 v10, v10, v11
	s_or_b32 s6, s6, s9
	s_delay_alu instid0(VALU_DEP_3) | instskip(SKIP_1) | instid1(VALU_DEP_2)
	v_mul_f32_e32 v12, v24, v12
	v_mul_f32_e32 v24, 0x3f317218, v9
	v_dual_sub_f32 v6, v6, v10 :: v_dual_add_f32 v11, v23, v12
	s_delay_alu instid0(VALU_DEP_1) | instskip(NEXT) | instid1(VALU_DEP_2)
	v_ldexp_f32 v6, v6, 1
	v_sub_f32_e32 v10, v11, v23
	s_delay_alu instid0(VALU_DEP_4) | instskip(NEXT) | instid1(VALU_DEP_1)
	v_fma_f32 v23, 0x3f317218, v9, -v24
	v_dual_sub_f32 v10, v12, v10 :: v_dual_fmamk_f32 v9, v9, 0xb102e308, v23
	s_delay_alu instid0(VALU_DEP_1) | instskip(NEXT) | instid1(VALU_DEP_2)
	v_add_f32_e32 v6, v6, v10
	v_add_f32_e32 v10, v24, v9
	s_delay_alu instid0(VALU_DEP_2) | instskip(NEXT) | instid1(VALU_DEP_2)
	v_add_f32_e32 v12, v11, v6
	v_sub_f32_e32 v24, v10, v24
	s_delay_alu instid0(VALU_DEP_2) | instskip(SKIP_1) | instid1(VALU_DEP_3)
	v_add_f32_e32 v23, v10, v12
	v_sub_f32_e32 v11, v12, v11
	v_sub_f32_e32 v9, v9, v24
	s_delay_alu instid0(VALU_DEP_2) | instskip(NEXT) | instid1(VALU_DEP_1)
	v_dual_sub_f32 v25, v23, v10 :: v_dual_sub_f32 v6, v6, v11
	v_sub_f32_e32 v26, v23, v25
	s_delay_alu instid0(VALU_DEP_2) | instskip(NEXT) | instid1(VALU_DEP_2)
	v_dual_sub_f32 v11, v12, v25 :: v_dual_add_f32 v12, v9, v6
	v_sub_f32_e32 v10, v10, v26
	s_delay_alu instid0(VALU_DEP_1) | instskip(NEXT) | instid1(VALU_DEP_1)
	v_dual_add_f32 v10, v11, v10 :: v_dual_sub_f32 v11, v12, v9
	v_add_f32_e32 v10, v12, v10
	s_delay_alu instid0(VALU_DEP_2) | instskip(SKIP_1) | instid1(VALU_DEP_2)
	v_sub_f32_e32 v12, v12, v11
	v_sub_f32_e32 v6, v6, v11
	v_dual_add_f32 v24, v23, v10 :: v_dual_sub_f32 v9, v9, v12
	s_delay_alu instid0(VALU_DEP_1) | instskip(NEXT) | instid1(VALU_DEP_1)
	v_dual_sub_f32 v11, v24, v23 :: v_dual_add_f32 v6, v6, v9
	v_sub_f32_e32 v9, v10, v11
	s_delay_alu instid0(VALU_DEP_1) | instskip(NEXT) | instid1(VALU_DEP_1)
	v_add_f32_e32 v6, v6, v9
	v_add_f32_e32 v6, v24, v6
	s_delay_alu instid0(VALU_DEP_1) | instskip(NEXT) | instid1(VALU_DEP_1)
	v_cndmask_b32_e64 v3, v6, v3, s6
	v_add_f32_e32 v3, v4, v3
.LBB145_65:
	s_or_b32 exec_lo, exec_lo, s7
	ds_load_b32 v4, v5 offset:28
	v_max_f32_e32 v6, v3, v3
	v_cmp_u_f32_e64 s6, v3, v3
	ds_store_b32 v5, v3 offset:24
	s_waitcnt lgkmcnt(1)
	v_max_f32_e32 v9, v4, v4
	s_delay_alu instid0(VALU_DEP_1) | instskip(SKIP_1) | instid1(VALU_DEP_2)
	v_min_f32_e32 v10, v6, v9
	v_max_f32_e32 v6, v6, v9
	v_cndmask_b32_e64 v9, v10, v3, s6
	s_delay_alu instid0(VALU_DEP_2) | instskip(SKIP_1) | instid1(VALU_DEP_1)
	v_cndmask_b32_e64 v10, v6, v3, s6
	v_cmp_u_f32_e64 s6, v4, v4
	v_cndmask_b32_e64 v6, v9, v4, s6
	s_delay_alu instid0(VALU_DEP_3) | instskip(NEXT) | instid1(VALU_DEP_2)
	v_cndmask_b32_e64 v4, v10, v4, s6
	v_cmp_class_f32_e64 s7, v6, 0x1f8
	s_delay_alu instid0(VALU_DEP_2) | instskip(NEXT) | instid1(VALU_DEP_1)
	v_cmp_neq_f32_e64 s6, v6, v4
	s_or_b32 s6, s6, s7
	s_delay_alu instid0(SALU_CYCLE_1)
	s_and_saveexec_b32 s7, s6
	s_cbranch_execz .LBB145_67
; %bb.66:
	v_sub_f32_e32 v3, v6, v4
	s_delay_alu instid0(VALU_DEP_1) | instskip(SKIP_1) | instid1(VALU_DEP_2)
	v_mul_f32_e32 v6, 0x3fb8aa3b, v3
	v_cmp_ngt_f32_e64 s6, 0xc2ce8ed0, v3
	v_fma_f32 v9, 0x3fb8aa3b, v3, -v6
	v_rndne_f32_e32 v10, v6
	s_delay_alu instid0(VALU_DEP_1) | instskip(NEXT) | instid1(VALU_DEP_1)
	v_dual_fmamk_f32 v9, v3, 0x32a5705f, v9 :: v_dual_sub_f32 v6, v6, v10
	v_add_f32_e32 v6, v6, v9
	v_cvt_i32_f32_e32 v9, v10
	s_delay_alu instid0(VALU_DEP_2) | instskip(SKIP_2) | instid1(VALU_DEP_1)
	v_exp_f32_e32 v6, v6
	s_waitcnt_depctr 0xfff
	v_ldexp_f32 v6, v6, v9
	v_cndmask_b32_e64 v6, 0, v6, s6
	v_cmp_nlt_f32_e64 s6, 0x42b17218, v3
	s_delay_alu instid0(VALU_DEP_1) | instskip(NEXT) | instid1(VALU_DEP_1)
	v_cndmask_b32_e64 v3, 0x7f800000, v6, s6
	v_add_f32_e32 v6, 1.0, v3
	v_cmp_gt_f32_e64 s9, 0x33800000, |v3|
	s_delay_alu instid0(VALU_DEP_2) | instskip(NEXT) | instid1(VALU_DEP_1)
	v_cvt_f64_f32_e32 v[9:10], v6
	v_frexp_exp_i32_f64_e32 v9, v[9:10]
	v_frexp_mant_f32_e32 v10, v6
	s_delay_alu instid0(VALU_DEP_1) | instskip(SKIP_1) | instid1(VALU_DEP_1)
	v_cmp_gt_f32_e64 s6, 0x3f2aaaab, v10
	v_add_f32_e32 v10, -1.0, v6
	v_sub_f32_e32 v12, v10, v6
	v_sub_f32_e32 v10, v3, v10
	s_delay_alu instid0(VALU_DEP_4) | instskip(SKIP_1) | instid1(VALU_DEP_1)
	v_subrev_co_ci_u32_e64 v9, s6, 0, v9, s6
	s_mov_b32 s6, 0x3e9b6dac
	v_sub_nc_u32_e32 v11, 0, v9
	v_cvt_f32_i32_e32 v9, v9
	s_delay_alu instid0(VALU_DEP_2) | instskip(NEXT) | instid1(VALU_DEP_1)
	v_ldexp_f32 v6, v6, v11
	v_dual_add_f32 v12, 1.0, v12 :: v_dual_add_f32 v23, 1.0, v6
	s_delay_alu instid0(VALU_DEP_1) | instskip(NEXT) | instid1(VALU_DEP_1)
	v_add_f32_e32 v10, v10, v12
	v_ldexp_f32 v10, v10, v11
	s_delay_alu instid0(VALU_DEP_3) | instskip(NEXT) | instid1(VALU_DEP_1)
	v_dual_add_f32 v11, -1.0, v6 :: v_dual_add_f32 v12, -1.0, v23
	v_add_f32_e32 v24, 1.0, v11
	s_delay_alu instid0(VALU_DEP_2) | instskip(NEXT) | instid1(VALU_DEP_2)
	v_sub_f32_e32 v12, v6, v12
	v_sub_f32_e32 v6, v6, v24
	s_delay_alu instid0(VALU_DEP_1) | instskip(NEXT) | instid1(VALU_DEP_1)
	v_add_f32_e32 v6, v10, v6
	v_add_f32_e32 v25, v11, v6
	s_delay_alu instid0(VALU_DEP_1) | instskip(NEXT) | instid1(VALU_DEP_1)
	v_dual_sub_f32 v11, v11, v25 :: v_dual_add_f32 v12, v10, v12
	v_add_f32_e32 v6, v6, v11
	s_delay_alu instid0(VALU_DEP_2) | instskip(NEXT) | instid1(VALU_DEP_1)
	v_add_f32_e32 v24, v23, v12
	v_rcp_f32_e32 v10, v24
	v_sub_f32_e32 v23, v23, v24
	s_delay_alu instid0(VALU_DEP_1) | instskip(SKIP_2) | instid1(VALU_DEP_1)
	v_add_f32_e32 v12, v12, v23
	s_waitcnt_depctr 0xfff
	v_mul_f32_e32 v26, v25, v10
	v_mul_f32_e32 v27, v24, v26
	s_delay_alu instid0(VALU_DEP_1) | instskip(NEXT) | instid1(VALU_DEP_1)
	v_fma_f32 v23, v26, v24, -v27
	v_fmac_f32_e32 v23, v26, v12
	s_delay_alu instid0(VALU_DEP_1) | instskip(NEXT) | instid1(VALU_DEP_1)
	v_add_f32_e32 v28, v27, v23
	v_sub_f32_e32 v29, v25, v28
	v_sub_f32_e32 v11, v28, v27
	s_delay_alu instid0(VALU_DEP_2) | instskip(NEXT) | instid1(VALU_DEP_2)
	v_sub_f32_e32 v25, v25, v29
	v_sub_f32_e32 v11, v11, v23
	s_delay_alu instid0(VALU_DEP_2) | instskip(NEXT) | instid1(VALU_DEP_1)
	v_sub_f32_e32 v25, v25, v28
	v_add_f32_e32 v6, v6, v25
	s_delay_alu instid0(VALU_DEP_1) | instskip(NEXT) | instid1(VALU_DEP_1)
	v_add_f32_e32 v6, v11, v6
	v_add_f32_e32 v11, v29, v6
	s_delay_alu instid0(VALU_DEP_1) | instskip(NEXT) | instid1(VALU_DEP_1)
	v_mul_f32_e32 v23, v10, v11
	v_mul_f32_e32 v25, v24, v23
	s_delay_alu instid0(VALU_DEP_1) | instskip(NEXT) | instid1(VALU_DEP_1)
	v_fma_f32 v24, v23, v24, -v25
	v_fmac_f32_e32 v24, v23, v12
	s_delay_alu instid0(VALU_DEP_1) | instskip(NEXT) | instid1(VALU_DEP_1)
	v_add_f32_e32 v12, v25, v24
	v_dual_sub_f32 v28, v29, v11 :: v_dual_sub_f32 v27, v11, v12
	v_sub_f32_e32 v25, v12, v25
	s_delay_alu instid0(VALU_DEP_2) | instskip(NEXT) | instid1(VALU_DEP_1)
	v_sub_f32_e32 v11, v11, v27
	v_sub_f32_e32 v11, v11, v12
	s_delay_alu instid0(VALU_DEP_4) | instskip(NEXT) | instid1(VALU_DEP_4)
	v_add_f32_e32 v6, v6, v28
	v_sub_f32_e32 v12, v25, v24
	s_delay_alu instid0(VALU_DEP_2) | instskip(NEXT) | instid1(VALU_DEP_1)
	v_add_f32_e32 v6, v6, v11
	v_dual_add_f32 v11, v26, v23 :: v_dual_add_f32 v6, v12, v6
	s_delay_alu instid0(VALU_DEP_1) | instskip(NEXT) | instid1(VALU_DEP_2)
	v_sub_f32_e32 v12, v11, v26
	v_add_f32_e32 v6, v27, v6
	s_delay_alu instid0(VALU_DEP_2) | instskip(NEXT) | instid1(VALU_DEP_2)
	v_sub_f32_e32 v12, v23, v12
	v_mul_f32_e32 v6, v10, v6
	s_delay_alu instid0(VALU_DEP_1) | instskip(NEXT) | instid1(VALU_DEP_1)
	v_add_f32_e32 v6, v12, v6
	v_add_f32_e32 v10, v11, v6
	s_delay_alu instid0(VALU_DEP_1) | instskip(NEXT) | instid1(VALU_DEP_1)
	v_mul_f32_e32 v12, v10, v10
	v_fmaak_f32 v23, s6, v12, 0x3ecc95a3
	v_mul_f32_e32 v24, v10, v12
	v_cmp_eq_f32_e64 s6, 0x7f800000, v3
	s_delay_alu instid0(VALU_DEP_3) | instskip(SKIP_2) | instid1(VALU_DEP_4)
	v_fmaak_f32 v12, v12, v23, 0x3f2aaada
	v_ldexp_f32 v23, v10, 1
	v_sub_f32_e32 v10, v10, v11
	s_or_b32 s6, s6, s9
	s_delay_alu instid0(VALU_DEP_3) | instskip(SKIP_1) | instid1(VALU_DEP_2)
	v_mul_f32_e32 v12, v24, v12
	v_mul_f32_e32 v24, 0x3f317218, v9
	v_dual_sub_f32 v6, v6, v10 :: v_dual_add_f32 v11, v23, v12
	s_delay_alu instid0(VALU_DEP_1) | instskip(NEXT) | instid1(VALU_DEP_2)
	v_ldexp_f32 v6, v6, 1
	v_sub_f32_e32 v10, v11, v23
	s_delay_alu instid0(VALU_DEP_4) | instskip(NEXT) | instid1(VALU_DEP_1)
	v_fma_f32 v23, 0x3f317218, v9, -v24
	v_dual_sub_f32 v10, v12, v10 :: v_dual_fmamk_f32 v9, v9, 0xb102e308, v23
	s_delay_alu instid0(VALU_DEP_1) | instskip(NEXT) | instid1(VALU_DEP_2)
	v_add_f32_e32 v6, v6, v10
	v_add_f32_e32 v10, v24, v9
	s_delay_alu instid0(VALU_DEP_2) | instskip(NEXT) | instid1(VALU_DEP_2)
	v_add_f32_e32 v12, v11, v6
	v_sub_f32_e32 v24, v10, v24
	s_delay_alu instid0(VALU_DEP_2) | instskip(SKIP_1) | instid1(VALU_DEP_3)
	v_add_f32_e32 v23, v10, v12
	v_sub_f32_e32 v11, v12, v11
	v_sub_f32_e32 v9, v9, v24
	s_delay_alu instid0(VALU_DEP_2) | instskip(NEXT) | instid1(VALU_DEP_1)
	v_dual_sub_f32 v25, v23, v10 :: v_dual_sub_f32 v6, v6, v11
	v_sub_f32_e32 v26, v23, v25
	s_delay_alu instid0(VALU_DEP_2) | instskip(NEXT) | instid1(VALU_DEP_2)
	v_dual_sub_f32 v11, v12, v25 :: v_dual_add_f32 v12, v9, v6
	v_sub_f32_e32 v10, v10, v26
	s_delay_alu instid0(VALU_DEP_1) | instskip(NEXT) | instid1(VALU_DEP_1)
	v_dual_add_f32 v10, v11, v10 :: v_dual_sub_f32 v11, v12, v9
	v_add_f32_e32 v10, v12, v10
	s_delay_alu instid0(VALU_DEP_2) | instskip(SKIP_1) | instid1(VALU_DEP_2)
	v_sub_f32_e32 v12, v12, v11
	v_sub_f32_e32 v6, v6, v11
	v_dual_add_f32 v24, v23, v10 :: v_dual_sub_f32 v9, v9, v12
	s_delay_alu instid0(VALU_DEP_1) | instskip(NEXT) | instid1(VALU_DEP_1)
	v_dual_sub_f32 v11, v24, v23 :: v_dual_add_f32 v6, v6, v9
	v_sub_f32_e32 v9, v10, v11
	s_delay_alu instid0(VALU_DEP_1) | instskip(NEXT) | instid1(VALU_DEP_1)
	v_add_f32_e32 v6, v6, v9
	v_add_f32_e32 v6, v24, v6
	s_delay_alu instid0(VALU_DEP_1) | instskip(NEXT) | instid1(VALU_DEP_1)
	v_cndmask_b32_e64 v3, v6, v3, s6
	v_add_f32_e32 v3, v4, v3
.LBB145_67:
	s_or_b32 exec_lo, exec_lo, s7
	ds_store_b32 v5, v3 offset:28
.LBB145_68:
	s_or_b32 exec_lo, exec_lo, s8
	v_cmp_eq_u32_e64 s7, 0, v0
	v_cmp_ne_u32_e64 s6, 0, v0
	s_waitcnt lgkmcnt(0)
	s_barrier
	buffer_gl0_inv
	s_and_saveexec_b32 s8, s6
	s_cbranch_execz .LBB145_70
; %bb.69:
	v_add_nc_u32_e32 v3, -1, v0
	s_delay_alu instid0(VALU_DEP_1) | instskip(NEXT) | instid1(VALU_DEP_1)
	v_lshrrev_b32_e32 v4, 5, v3
	v_add_lshl_u32 v3, v4, v3, 2
	ds_load_b32 v22, v3
.LBB145_70:
	s_or_b32 exec_lo, exec_lo, s8
	s_and_saveexec_b32 s9, vcc_lo
	s_cbranch_execz .LBB145_137
; %bb.71:
	v_mov_b32_e32 v6, 0
	v_mbcnt_lo_u32_b32 v23, -1, 0
	s_mov_b32 s11, 0
	ds_load_b32 v3, v6 offset:1048
	v_cmp_eq_u32_e64 s8, 0, v23
	s_delay_alu instid0(VALU_DEP_1)
	s_and_saveexec_b32 s12, s8
	s_cbranch_execz .LBB145_73
; %bb.72:
	s_add_i32 s10, s15, 32
	v_mov_b32_e32 v4, 1
	s_lshl_b64 s[10:11], s[10:11], 3
	s_delay_alu instid0(SALU_CYCLE_1)
	s_add_u32 s10, s22, s10
	s_addc_u32 s11, s23, s11
	s_waitcnt lgkmcnt(0)
	global_store_b64 v6, v[3:4], s[10:11]
.LBB145_73:
	s_or_b32 exec_lo, exec_lo, s12
	v_xad_u32 v4, v23, -1, s15
	s_mov_b32 s10, exec_lo
	s_delay_alu instid0(VALU_DEP_1) | instskip(NEXT) | instid1(VALU_DEP_1)
	v_add_nc_u32_e32 v5, 32, v4
	v_lshlrev_b64 v[5:6], 3, v[5:6]
	s_delay_alu instid0(VALU_DEP_1) | instskip(NEXT) | instid1(VALU_DEP_2)
	v_add_co_u32 v5, vcc_lo, s22, v5
	v_add_co_ci_u32_e32 v6, vcc_lo, s23, v6, vcc_lo
	global_load_b64 v[9:10], v[5:6], off glc
	s_waitcnt vmcnt(0)
	v_and_b32_e32 v11, 0xff, v10
	s_delay_alu instid0(VALU_DEP_1)
	v_cmpx_eq_u16_e32 0, v11
	s_cbranch_execz .LBB145_79
; %bb.74:
	s_mov_b32 s12, 1
	s_mov_b32 s11, 0
	.p2align	6
.LBB145_75:                             ; =>This Loop Header: Depth=1
                                        ;     Child Loop BB145_76 Depth 2
	s_max_u32 s13, s12, 1
.LBB145_76:                             ;   Parent Loop BB145_75 Depth=1
                                        ; =>  This Inner Loop Header: Depth=2
	s_delay_alu instid0(SALU_CYCLE_1)
	s_add_i32 s13, s13, -1
	s_sleep 1
	s_cmp_eq_u32 s13, 0
	s_cbranch_scc0 .LBB145_76
; %bb.77:                               ;   in Loop: Header=BB145_75 Depth=1
	global_load_b64 v[9:10], v[5:6], off glc
	s_cmp_lt_u32 s12, 32
	s_cselect_b32 s13, -1, 0
	s_delay_alu instid0(SALU_CYCLE_1) | instskip(SKIP_3) | instid1(VALU_DEP_1)
	s_cmp_lg_u32 s13, 0
	s_addc_u32 s12, s12, 0
	s_waitcnt vmcnt(0)
	v_and_b32_e32 v11, 0xff, v10
	v_cmp_ne_u16_e32 vcc_lo, 0, v11
	s_or_b32 s11, vcc_lo, s11
	s_delay_alu instid0(SALU_CYCLE_1)
	s_and_not1_b32 exec_lo, exec_lo, s11
	s_cbranch_execnz .LBB145_75
; %bb.78:
	s_or_b32 exec_lo, exec_lo, s11
.LBB145_79:
	s_delay_alu instid0(SALU_CYCLE_1)
	s_or_b32 exec_lo, exec_lo, s10
	v_cmp_ne_u32_e32 vcc_lo, 31, v23
	v_dual_mov_b32 v12, v9 :: v_dual_and_b32 v11, 0xff, v10
	v_lshlrev_b32_e64 v24, v23, -1
	s_mov_b32 s10, exec_lo
	v_add_co_ci_u32_e32 v5, vcc_lo, 0, v23, vcc_lo
	s_delay_alu instid0(VALU_DEP_3) | instskip(NEXT) | instid1(VALU_DEP_2)
	v_cmp_eq_u16_e32 vcc_lo, 2, v11
	v_lshlrev_b32_e32 v6, 2, v5
	v_and_or_b32 v5, vcc_lo, v24, 0x80000000
	ds_bpermute_b32 v11, v6, v9
	v_ctz_i32_b32_e32 v5, v5
	s_delay_alu instid0(VALU_DEP_1)
	v_cmpx_lt_u32_e64 v23, v5
	s_cbranch_execz .LBB145_83
; %bb.80:
	s_waitcnt lgkmcnt(0)
	v_dual_max_f32 v12, v9, v9 :: v_dual_max_f32 v25, v11, v11
	v_cmp_u_f32_e32 vcc_lo, v11, v11
	s_delay_alu instid0(VALU_DEP_2) | instskip(NEXT) | instid1(VALU_DEP_1)
	v_min_f32_e32 v26, v25, v12
	v_dual_max_f32 v12, v25, v12 :: v_dual_cndmask_b32 v25, v26, v11
	s_delay_alu instid0(VALU_DEP_1) | instskip(SKIP_1) | instid1(VALU_DEP_3)
	v_cndmask_b32_e32 v26, v12, v11, vcc_lo
	v_cmp_u_f32_e32 vcc_lo, v9, v9
	v_cndmask_b32_e32 v12, v25, v9, vcc_lo
	s_delay_alu instid0(VALU_DEP_3) | instskip(NEXT) | instid1(VALU_DEP_2)
	v_cndmask_b32_e32 v9, v26, v9, vcc_lo
	v_cmp_class_f32_e64 s11, v12, 0x1f8
	s_delay_alu instid0(VALU_DEP_2) | instskip(NEXT) | instid1(VALU_DEP_2)
	v_cmp_neq_f32_e32 vcc_lo, v12, v9
	s_or_b32 s12, vcc_lo, s11
	s_delay_alu instid0(SALU_CYCLE_1)
	s_and_saveexec_b32 s11, s12
	s_cbranch_execz .LBB145_82
; %bb.81:
	v_sub_f32_e32 v11, v12, v9
	s_mov_b32 s12, 0x3e9b6dac
	s_delay_alu instid0(VALU_DEP_1) | instskip(SKIP_1) | instid1(VALU_DEP_2)
	v_mul_f32_e32 v12, 0x3fb8aa3b, v11
	v_cmp_ngt_f32_e32 vcc_lo, 0xc2ce8ed0, v11
	v_fma_f32 v25, 0x3fb8aa3b, v11, -v12
	v_rndne_f32_e32 v26, v12
	s_delay_alu instid0(VALU_DEP_1) | instskip(NEXT) | instid1(VALU_DEP_1)
	v_dual_fmamk_f32 v25, v11, 0x32a5705f, v25 :: v_dual_sub_f32 v12, v12, v26
	v_add_f32_e32 v12, v12, v25
	v_cvt_i32_f32_e32 v25, v26
	s_delay_alu instid0(VALU_DEP_2) | instskip(SKIP_2) | instid1(VALU_DEP_1)
	v_exp_f32_e32 v12, v12
	s_waitcnt_depctr 0xfff
	v_ldexp_f32 v12, v12, v25
	v_cndmask_b32_e32 v12, 0, v12, vcc_lo
	v_cmp_nlt_f32_e32 vcc_lo, 0x42b17218, v11
	s_delay_alu instid0(VALU_DEP_2) | instskip(NEXT) | instid1(VALU_DEP_1)
	v_cndmask_b32_e32 v25, 0x7f800000, v12, vcc_lo
	v_add_f32_e32 v26, 1.0, v25
	s_delay_alu instid0(VALU_DEP_1) | instskip(NEXT) | instid1(VALU_DEP_1)
	v_cvt_f64_f32_e32 v[11:12], v26
	v_frexp_exp_i32_f64_e32 v11, v[11:12]
	v_frexp_mant_f32_e32 v12, v26
	s_delay_alu instid0(VALU_DEP_1) | instskip(SKIP_1) | instid1(VALU_DEP_1)
	v_cmp_gt_f32_e32 vcc_lo, 0x3f2aaaab, v12
	v_add_f32_e32 v12, -1.0, v26
	v_sub_f32_e32 v28, v12, v26
	v_sub_f32_e32 v12, v25, v12
	v_subrev_co_ci_u32_e32 v11, vcc_lo, 0, v11, vcc_lo
	v_cmp_eq_f32_e32 vcc_lo, 0x7f800000, v25
	s_delay_alu instid0(VALU_DEP_2) | instskip(SKIP_1) | instid1(VALU_DEP_2)
	v_sub_nc_u32_e32 v27, 0, v11
	v_cvt_f32_i32_e32 v11, v11
	v_ldexp_f32 v26, v26, v27
	s_delay_alu instid0(VALU_DEP_1) | instskip(NEXT) | instid1(VALU_DEP_1)
	v_dual_add_f32 v29, 1.0, v26 :: v_dual_add_f32 v28, 1.0, v28
	v_add_f32_e32 v12, v12, v28
	s_delay_alu instid0(VALU_DEP_2) | instskip(NEXT) | instid1(VALU_DEP_2)
	v_add_f32_e32 v28, -1.0, v29
	v_ldexp_f32 v12, v12, v27
	s_delay_alu instid0(VALU_DEP_2) | instskip(NEXT) | instid1(VALU_DEP_1)
	v_dual_add_f32 v27, -1.0, v26 :: v_dual_sub_f32 v28, v26, v28
	v_add_f32_e32 v30, 1.0, v27
	s_delay_alu instid0(VALU_DEP_2) | instskip(NEXT) | instid1(VALU_DEP_2)
	v_add_f32_e32 v28, v12, v28
	v_sub_f32_e32 v26, v26, v30
	s_delay_alu instid0(VALU_DEP_2) | instskip(NEXT) | instid1(VALU_DEP_2)
	v_add_f32_e32 v30, v29, v28
	v_add_f32_e32 v12, v12, v26
	s_delay_alu instid0(VALU_DEP_2) | instskip(SKIP_1) | instid1(VALU_DEP_1)
	v_rcp_f32_e32 v26, v30
	v_sub_f32_e32 v29, v29, v30
	v_dual_add_f32 v31, v27, v12 :: v_dual_add_f32 v28, v28, v29
	s_delay_alu instid0(VALU_DEP_1) | instskip(SKIP_2) | instid1(VALU_DEP_1)
	v_sub_f32_e32 v27, v27, v31
	s_waitcnt_depctr 0xfff
	v_mul_f32_e32 v32, v31, v26
	v_dual_add_f32 v12, v12, v27 :: v_dual_mul_f32 v33, v30, v32
	s_delay_alu instid0(VALU_DEP_1) | instskip(NEXT) | instid1(VALU_DEP_1)
	v_fma_f32 v29, v32, v30, -v33
	v_fmac_f32_e32 v29, v32, v28
	s_delay_alu instid0(VALU_DEP_1) | instskip(NEXT) | instid1(VALU_DEP_1)
	v_add_f32_e32 v34, v33, v29
	v_sub_f32_e32 v35, v31, v34
	v_sub_f32_e32 v27, v34, v33
	s_delay_alu instid0(VALU_DEP_2) | instskip(NEXT) | instid1(VALU_DEP_2)
	v_sub_f32_e32 v31, v31, v35
	v_sub_f32_e32 v27, v27, v29
	s_delay_alu instid0(VALU_DEP_2) | instskip(NEXT) | instid1(VALU_DEP_1)
	v_sub_f32_e32 v31, v31, v34
	v_add_f32_e32 v12, v12, v31
	s_delay_alu instid0(VALU_DEP_1) | instskip(NEXT) | instid1(VALU_DEP_1)
	v_add_f32_e32 v12, v27, v12
	v_add_f32_e32 v27, v35, v12
	s_delay_alu instid0(VALU_DEP_1) | instskip(NEXT) | instid1(VALU_DEP_1)
	v_mul_f32_e32 v29, v26, v27
	v_dual_sub_f32 v34, v35, v27 :: v_dual_mul_f32 v31, v30, v29
	s_delay_alu instid0(VALU_DEP_1) | instskip(NEXT) | instid1(VALU_DEP_2)
	v_add_f32_e32 v12, v12, v34
	v_fma_f32 v30, v29, v30, -v31
	s_delay_alu instid0(VALU_DEP_1) | instskip(NEXT) | instid1(VALU_DEP_1)
	v_fmac_f32_e32 v30, v29, v28
	v_add_f32_e32 v28, v31, v30
	s_delay_alu instid0(VALU_DEP_1) | instskip(SKIP_1) | instid1(VALU_DEP_2)
	v_sub_f32_e32 v33, v27, v28
	v_sub_f32_e32 v31, v28, v31
	;; [unrolled: 1-line block ×3, first 2 shown]
	s_delay_alu instid0(VALU_DEP_1) | instskip(NEXT) | instid1(VALU_DEP_3)
	v_sub_f32_e32 v27, v27, v28
	v_sub_f32_e32 v28, v31, v30
	s_delay_alu instid0(VALU_DEP_2) | instskip(SKIP_1) | instid1(VALU_DEP_2)
	v_add_f32_e32 v12, v12, v27
	v_add_f32_e32 v27, v32, v29
	;; [unrolled: 1-line block ×3, first 2 shown]
	s_delay_alu instid0(VALU_DEP_2) | instskip(NEXT) | instid1(VALU_DEP_2)
	v_sub_f32_e32 v28, v27, v32
	v_add_f32_e32 v12, v33, v12
	s_delay_alu instid0(VALU_DEP_2) | instskip(NEXT) | instid1(VALU_DEP_2)
	v_sub_f32_e32 v28, v29, v28
	v_mul_f32_e32 v12, v26, v12
	s_delay_alu instid0(VALU_DEP_1) | instskip(NEXT) | instid1(VALU_DEP_1)
	v_add_f32_e32 v12, v28, v12
	v_add_f32_e32 v26, v27, v12
	s_delay_alu instid0(VALU_DEP_1) | instskip(NEXT) | instid1(VALU_DEP_1)
	v_mul_f32_e32 v28, v26, v26
	v_fmaak_f32 v29, s12, v28, 0x3ecc95a3
	v_mul_f32_e32 v30, v26, v28
	v_cmp_gt_f32_e64 s12, 0x33800000, |v25|
	s_delay_alu instid0(VALU_DEP_3) | instskip(SKIP_2) | instid1(VALU_DEP_4)
	v_fmaak_f32 v28, v28, v29, 0x3f2aaada
	v_ldexp_f32 v29, v26, 1
	v_sub_f32_e32 v26, v26, v27
	s_or_b32 vcc_lo, vcc_lo, s12
	s_delay_alu instid0(VALU_DEP_3) | instskip(SKIP_1) | instid1(VALU_DEP_2)
	v_mul_f32_e32 v28, v30, v28
	v_mul_f32_e32 v30, 0x3f317218, v11
	v_dual_sub_f32 v12, v12, v26 :: v_dual_add_f32 v27, v29, v28
	s_delay_alu instid0(VALU_DEP_1) | instskip(NEXT) | instid1(VALU_DEP_2)
	v_ldexp_f32 v12, v12, 1
	v_sub_f32_e32 v26, v27, v29
	s_delay_alu instid0(VALU_DEP_4) | instskip(NEXT) | instid1(VALU_DEP_1)
	v_fma_f32 v29, 0x3f317218, v11, -v30
	v_dual_sub_f32 v26, v28, v26 :: v_dual_fmamk_f32 v11, v11, 0xb102e308, v29
	s_delay_alu instid0(VALU_DEP_1) | instskip(NEXT) | instid1(VALU_DEP_2)
	v_add_f32_e32 v12, v12, v26
	v_add_f32_e32 v26, v30, v11
	s_delay_alu instid0(VALU_DEP_2) | instskip(NEXT) | instid1(VALU_DEP_2)
	v_add_f32_e32 v28, v27, v12
	v_sub_f32_e32 v30, v26, v30
	s_delay_alu instid0(VALU_DEP_2) | instskip(SKIP_1) | instid1(VALU_DEP_3)
	v_add_f32_e32 v29, v26, v28
	v_sub_f32_e32 v27, v28, v27
	v_sub_f32_e32 v11, v11, v30
	s_delay_alu instid0(VALU_DEP_2) | instskip(NEXT) | instid1(VALU_DEP_1)
	v_dual_sub_f32 v31, v29, v26 :: v_dual_sub_f32 v12, v12, v27
	v_sub_f32_e32 v32, v29, v31
	s_delay_alu instid0(VALU_DEP_2) | instskip(NEXT) | instid1(VALU_DEP_2)
	v_dual_sub_f32 v27, v28, v31 :: v_dual_add_f32 v28, v11, v12
	v_sub_f32_e32 v26, v26, v32
	s_delay_alu instid0(VALU_DEP_1) | instskip(NEXT) | instid1(VALU_DEP_1)
	v_dual_add_f32 v26, v27, v26 :: v_dual_sub_f32 v27, v28, v11
	v_add_f32_e32 v26, v28, v26
	s_delay_alu instid0(VALU_DEP_2) | instskip(SKIP_1) | instid1(VALU_DEP_2)
	v_sub_f32_e32 v28, v28, v27
	v_sub_f32_e32 v12, v12, v27
	v_dual_add_f32 v30, v29, v26 :: v_dual_sub_f32 v11, v11, v28
	s_delay_alu instid0(VALU_DEP_1) | instskip(NEXT) | instid1(VALU_DEP_2)
	v_sub_f32_e32 v27, v30, v29
	v_add_f32_e32 v11, v12, v11
	s_delay_alu instid0(VALU_DEP_2) | instskip(NEXT) | instid1(VALU_DEP_1)
	v_sub_f32_e32 v12, v26, v27
	v_add_f32_e32 v11, v11, v12
	s_delay_alu instid0(VALU_DEP_1) | instskip(NEXT) | instid1(VALU_DEP_1)
	v_add_f32_e32 v11, v30, v11
	v_cndmask_b32_e32 v11, v11, v25, vcc_lo
	s_delay_alu instid0(VALU_DEP_1)
	v_add_f32_e32 v11, v9, v11
.LBB145_82:
	s_or_b32 exec_lo, exec_lo, s11
	s_delay_alu instid0(VALU_DEP_1)
	v_mov_b32_e32 v9, v11
	v_mov_b32_e32 v12, v11
.LBB145_83:
	s_or_b32 exec_lo, exec_lo, s10
	v_cmp_gt_u32_e32 vcc_lo, 30, v23
	v_add_nc_u32_e32 v26, 2, v23
	s_mov_b32 s10, exec_lo
	s_waitcnt lgkmcnt(0)
	v_cndmask_b32_e64 v11, 0, 1, vcc_lo
	s_delay_alu instid0(VALU_DEP_1) | instskip(NEXT) | instid1(VALU_DEP_1)
	v_lshlrev_b32_e32 v11, 1, v11
	v_add_lshl_u32 v25, v11, v23, 2
	ds_bpermute_b32 v11, v25, v9
	v_cmpx_le_u32_e64 v26, v5
	s_cbranch_execz .LBB145_87
; %bb.84:
	v_max_f32_e32 v9, v12, v12
	s_waitcnt lgkmcnt(0)
	v_max_f32_e32 v27, v11, v11
	v_cmp_u_f32_e32 vcc_lo, v11, v11
	s_delay_alu instid0(VALU_DEP_2) | instskip(SKIP_1) | instid1(VALU_DEP_1)
	v_min_f32_e32 v28, v27, v9
	v_max_f32_e32 v9, v27, v9
	v_cndmask_b32_e32 v9, v9, v11, vcc_lo
	s_delay_alu instid0(VALU_DEP_3) | instskip(SKIP_1) | instid1(VALU_DEP_2)
	v_cndmask_b32_e32 v27, v28, v11, vcc_lo
	v_cmp_u_f32_e32 vcc_lo, v12, v12
	v_cndmask_b32_e32 v27, v27, v12, vcc_lo
	s_delay_alu instid0(VALU_DEP_4) | instskip(NEXT) | instid1(VALU_DEP_2)
	v_cndmask_b32_e32 v9, v9, v12, vcc_lo
	v_cmp_class_f32_e64 s11, v27, 0x1f8
	s_delay_alu instid0(VALU_DEP_2) | instskip(NEXT) | instid1(VALU_DEP_2)
	v_cmp_neq_f32_e32 vcc_lo, v27, v9
	s_or_b32 s12, vcc_lo, s11
	s_delay_alu instid0(SALU_CYCLE_1)
	s_and_saveexec_b32 s11, s12
	s_cbranch_execz .LBB145_86
; %bb.85:
	v_sub_f32_e32 v11, v27, v9
	s_mov_b32 s12, 0x3e9b6dac
	s_delay_alu instid0(VALU_DEP_1) | instskip(NEXT) | instid1(VALU_DEP_1)
	v_mul_f32_e32 v12, 0x3fb8aa3b, v11
	v_fma_f32 v27, 0x3fb8aa3b, v11, -v12
	v_rndne_f32_e32 v28, v12
	s_delay_alu instid0(VALU_DEP_1) | instskip(SKIP_1) | instid1(VALU_DEP_4)
	v_sub_f32_e32 v12, v12, v28
	v_cmp_ngt_f32_e32 vcc_lo, 0xc2ce8ed0, v11
	v_fmamk_f32 v27, v11, 0x32a5705f, v27
	s_delay_alu instid0(VALU_DEP_1) | instskip(SKIP_1) | instid1(VALU_DEP_2)
	v_add_f32_e32 v12, v12, v27
	v_cvt_i32_f32_e32 v27, v28
	v_exp_f32_e32 v12, v12
	s_waitcnt_depctr 0xfff
	v_ldexp_f32 v12, v12, v27
	s_delay_alu instid0(VALU_DEP_1) | instskip(SKIP_1) | instid1(VALU_DEP_2)
	v_cndmask_b32_e32 v12, 0, v12, vcc_lo
	v_cmp_nlt_f32_e32 vcc_lo, 0x42b17218, v11
	v_cndmask_b32_e32 v27, 0x7f800000, v12, vcc_lo
	s_delay_alu instid0(VALU_DEP_1) | instskip(NEXT) | instid1(VALU_DEP_1)
	v_add_f32_e32 v28, 1.0, v27
	v_cvt_f64_f32_e32 v[11:12], v28
	s_delay_alu instid0(VALU_DEP_1) | instskip(SKIP_1) | instid1(VALU_DEP_1)
	v_frexp_exp_i32_f64_e32 v11, v[11:12]
	v_frexp_mant_f32_e32 v12, v28
	v_cmp_gt_f32_e32 vcc_lo, 0x3f2aaaab, v12
	v_add_f32_e32 v12, -1.0, v28
	s_delay_alu instid0(VALU_DEP_1) | instskip(NEXT) | instid1(VALU_DEP_1)
	v_sub_f32_e32 v30, v12, v28
	v_add_f32_e32 v30, 1.0, v30
	v_sub_f32_e32 v12, v27, v12
	v_subrev_co_ci_u32_e32 v11, vcc_lo, 0, v11, vcc_lo
	v_cmp_eq_f32_e32 vcc_lo, 0x7f800000, v27
	s_delay_alu instid0(VALU_DEP_2) | instskip(SKIP_1) | instid1(VALU_DEP_2)
	v_sub_nc_u32_e32 v29, 0, v11
	v_cvt_f32_i32_e32 v11, v11
	v_ldexp_f32 v28, v28, v29
	s_delay_alu instid0(VALU_DEP_1) | instskip(NEXT) | instid1(VALU_DEP_1)
	v_dual_add_f32 v31, 1.0, v28 :: v_dual_add_f32 v12, v12, v30
	v_add_f32_e32 v30, -1.0, v31
	s_delay_alu instid0(VALU_DEP_2) | instskip(NEXT) | instid1(VALU_DEP_2)
	v_ldexp_f32 v12, v12, v29
	v_dual_add_f32 v29, -1.0, v28 :: v_dual_sub_f32 v30, v28, v30
	s_delay_alu instid0(VALU_DEP_1) | instskip(NEXT) | instid1(VALU_DEP_2)
	v_add_f32_e32 v32, 1.0, v29
	v_add_f32_e32 v30, v12, v30
	s_delay_alu instid0(VALU_DEP_2) | instskip(NEXT) | instid1(VALU_DEP_2)
	v_sub_f32_e32 v28, v28, v32
	v_add_f32_e32 v32, v31, v30
	s_delay_alu instid0(VALU_DEP_2) | instskip(NEXT) | instid1(VALU_DEP_2)
	v_add_f32_e32 v12, v12, v28
	v_rcp_f32_e32 v28, v32
	v_sub_f32_e32 v31, v31, v32
	s_delay_alu instid0(VALU_DEP_1) | instskip(NEXT) | instid1(VALU_DEP_1)
	v_dual_add_f32 v33, v29, v12 :: v_dual_add_f32 v30, v30, v31
	v_sub_f32_e32 v29, v29, v33
	s_waitcnt_depctr 0xfff
	v_mul_f32_e32 v34, v33, v28
	v_add_f32_e32 v12, v12, v29
	s_delay_alu instid0(VALU_DEP_2) | instskip(NEXT) | instid1(VALU_DEP_1)
	v_mul_f32_e32 v35, v32, v34
	v_fma_f32 v31, v34, v32, -v35
	s_delay_alu instid0(VALU_DEP_1) | instskip(NEXT) | instid1(VALU_DEP_1)
	v_fmac_f32_e32 v31, v34, v30
	v_add_f32_e32 v36, v35, v31
	s_delay_alu instid0(VALU_DEP_1) | instskip(SKIP_1) | instid1(VALU_DEP_2)
	v_sub_f32_e32 v37, v33, v36
	v_sub_f32_e32 v29, v36, v35
	v_sub_f32_e32 v33, v33, v37
	s_delay_alu instid0(VALU_DEP_2) | instskip(NEXT) | instid1(VALU_DEP_2)
	v_sub_f32_e32 v29, v29, v31
	v_sub_f32_e32 v33, v33, v36
	s_delay_alu instid0(VALU_DEP_1) | instskip(NEXT) | instid1(VALU_DEP_1)
	v_add_f32_e32 v12, v12, v33
	v_add_f32_e32 v12, v29, v12
	s_delay_alu instid0(VALU_DEP_1) | instskip(NEXT) | instid1(VALU_DEP_1)
	v_add_f32_e32 v29, v37, v12
	v_mul_f32_e32 v31, v28, v29
	s_delay_alu instid0(VALU_DEP_1) | instskip(NEXT) | instid1(VALU_DEP_1)
	v_dual_sub_f32 v36, v37, v29 :: v_dual_mul_f32 v33, v32, v31
	v_add_f32_e32 v12, v12, v36
	s_delay_alu instid0(VALU_DEP_2) | instskip(NEXT) | instid1(VALU_DEP_1)
	v_fma_f32 v32, v31, v32, -v33
	v_fmac_f32_e32 v32, v31, v30
	s_delay_alu instid0(VALU_DEP_1) | instskip(NEXT) | instid1(VALU_DEP_1)
	v_add_f32_e32 v30, v33, v32
	v_sub_f32_e32 v35, v29, v30
	v_sub_f32_e32 v33, v30, v33
	s_delay_alu instid0(VALU_DEP_2) | instskip(NEXT) | instid1(VALU_DEP_1)
	v_sub_f32_e32 v29, v29, v35
	v_sub_f32_e32 v29, v29, v30
	s_delay_alu instid0(VALU_DEP_1) | instskip(NEXT) | instid1(VALU_DEP_4)
	v_dual_add_f32 v12, v12, v29 :: v_dual_add_f32 v29, v34, v31
	v_sub_f32_e32 v30, v33, v32
	s_delay_alu instid0(VALU_DEP_1) | instskip(NEXT) | instid1(VALU_DEP_3)
	v_add_f32_e32 v12, v30, v12
	v_sub_f32_e32 v30, v29, v34
	s_delay_alu instid0(VALU_DEP_2) | instskip(NEXT) | instid1(VALU_DEP_2)
	v_add_f32_e32 v12, v35, v12
	v_sub_f32_e32 v30, v31, v30
	s_delay_alu instid0(VALU_DEP_2) | instskip(NEXT) | instid1(VALU_DEP_1)
	v_mul_f32_e32 v12, v28, v12
	v_add_f32_e32 v12, v30, v12
	s_delay_alu instid0(VALU_DEP_1) | instskip(NEXT) | instid1(VALU_DEP_1)
	v_add_f32_e32 v28, v29, v12
	v_mul_f32_e32 v30, v28, v28
	s_delay_alu instid0(VALU_DEP_1) | instskip(SKIP_2) | instid1(VALU_DEP_3)
	v_fmaak_f32 v31, s12, v30, 0x3ecc95a3
	v_mul_f32_e32 v32, v28, v30
	v_cmp_gt_f32_e64 s12, 0x33800000, |v27|
	v_fmaak_f32 v30, v30, v31, 0x3f2aaada
	v_ldexp_f32 v31, v28, 1
	v_sub_f32_e32 v28, v28, v29
	s_delay_alu instid0(VALU_DEP_4) | instskip(NEXT) | instid1(VALU_DEP_3)
	s_or_b32 vcc_lo, vcc_lo, s12
	v_mul_f32_e32 v30, v32, v30
	v_mul_f32_e32 v32, 0x3f317218, v11
	s_delay_alu instid0(VALU_DEP_2) | instskip(NEXT) | instid1(VALU_DEP_1)
	v_dual_sub_f32 v12, v12, v28 :: v_dual_add_f32 v29, v31, v30
	v_ldexp_f32 v12, v12, 1
	s_delay_alu instid0(VALU_DEP_2) | instskip(NEXT) | instid1(VALU_DEP_4)
	v_sub_f32_e32 v28, v29, v31
	v_fma_f32 v31, 0x3f317218, v11, -v32
	s_delay_alu instid0(VALU_DEP_1) | instskip(NEXT) | instid1(VALU_DEP_1)
	v_dual_sub_f32 v28, v30, v28 :: v_dual_fmamk_f32 v11, v11, 0xb102e308, v31
	v_add_f32_e32 v12, v12, v28
	s_delay_alu instid0(VALU_DEP_2) | instskip(NEXT) | instid1(VALU_DEP_2)
	v_add_f32_e32 v28, v32, v11
	v_add_f32_e32 v30, v29, v12
	s_delay_alu instid0(VALU_DEP_2) | instskip(NEXT) | instid1(VALU_DEP_2)
	v_sub_f32_e32 v32, v28, v32
	v_add_f32_e32 v31, v28, v30
	v_sub_f32_e32 v29, v30, v29
	s_delay_alu instid0(VALU_DEP_3) | instskip(NEXT) | instid1(VALU_DEP_2)
	v_sub_f32_e32 v11, v11, v32
	v_dual_sub_f32 v33, v31, v28 :: v_dual_sub_f32 v12, v12, v29
	s_delay_alu instid0(VALU_DEP_1) | instskip(NEXT) | instid1(VALU_DEP_2)
	v_sub_f32_e32 v34, v31, v33
	v_dual_sub_f32 v29, v30, v33 :: v_dual_add_f32 v30, v11, v12
	s_delay_alu instid0(VALU_DEP_2) | instskip(NEXT) | instid1(VALU_DEP_1)
	v_sub_f32_e32 v28, v28, v34
	v_dual_add_f32 v28, v29, v28 :: v_dual_sub_f32 v29, v30, v11
	s_delay_alu instid0(VALU_DEP_1) | instskip(NEXT) | instid1(VALU_DEP_2)
	v_add_f32_e32 v28, v30, v28
	v_sub_f32_e32 v30, v30, v29
	v_sub_f32_e32 v12, v12, v29
	s_delay_alu instid0(VALU_DEP_3) | instskip(NEXT) | instid1(VALU_DEP_3)
	v_add_f32_e32 v32, v31, v28
	v_sub_f32_e32 v11, v11, v30
	s_delay_alu instid0(VALU_DEP_2) | instskip(NEXT) | instid1(VALU_DEP_2)
	v_sub_f32_e32 v29, v32, v31
	v_add_f32_e32 v11, v12, v11
	s_delay_alu instid0(VALU_DEP_2) | instskip(NEXT) | instid1(VALU_DEP_1)
	v_sub_f32_e32 v12, v28, v29
	v_add_f32_e32 v11, v11, v12
	s_delay_alu instid0(VALU_DEP_1) | instskip(NEXT) | instid1(VALU_DEP_1)
	v_add_f32_e32 v11, v32, v11
	v_cndmask_b32_e32 v11, v11, v27, vcc_lo
	s_delay_alu instid0(VALU_DEP_1)
	v_add_f32_e32 v11, v9, v11
.LBB145_86:
	s_or_b32 exec_lo, exec_lo, s11
	s_delay_alu instid0(VALU_DEP_1)
	v_mov_b32_e32 v9, v11
	v_mov_b32_e32 v12, v11
.LBB145_87:
	s_or_b32 exec_lo, exec_lo, s10
	v_cmp_gt_u32_e32 vcc_lo, 28, v23
	v_add_nc_u32_e32 v28, 4, v23
	s_mov_b32 s10, exec_lo
	s_waitcnt lgkmcnt(0)
	v_cndmask_b32_e64 v11, 0, 1, vcc_lo
	s_delay_alu instid0(VALU_DEP_1) | instskip(NEXT) | instid1(VALU_DEP_1)
	v_lshlrev_b32_e32 v11, 2, v11
	v_add_lshl_u32 v27, v11, v23, 2
	ds_bpermute_b32 v11, v27, v9
	v_cmpx_le_u32_e64 v28, v5
	s_cbranch_execz .LBB145_91
; %bb.88:
	v_max_f32_e32 v9, v12, v12
	s_waitcnt lgkmcnt(0)
	v_max_f32_e32 v29, v11, v11
	v_cmp_u_f32_e32 vcc_lo, v11, v11
	s_delay_alu instid0(VALU_DEP_2) | instskip(SKIP_1) | instid1(VALU_DEP_2)
	v_min_f32_e32 v30, v29, v9
	v_max_f32_e32 v9, v29, v9
	v_cndmask_b32_e32 v29, v30, v11, vcc_lo
	s_delay_alu instid0(VALU_DEP_2) | instskip(SKIP_1) | instid1(VALU_DEP_3)
	v_cndmask_b32_e32 v9, v9, v11, vcc_lo
	v_cmp_u_f32_e32 vcc_lo, v12, v12
	v_cndmask_b32_e32 v29, v29, v12, vcc_lo
	s_delay_alu instid0(VALU_DEP_3) | instskip(NEXT) | instid1(VALU_DEP_2)
	v_cndmask_b32_e32 v9, v9, v12, vcc_lo
	v_cmp_class_f32_e64 s11, v29, 0x1f8
	s_delay_alu instid0(VALU_DEP_2) | instskip(NEXT) | instid1(VALU_DEP_2)
	v_cmp_neq_f32_e32 vcc_lo, v29, v9
	s_or_b32 s12, vcc_lo, s11
	s_delay_alu instid0(SALU_CYCLE_1)
	s_and_saveexec_b32 s11, s12
	s_cbranch_execz .LBB145_90
; %bb.89:
	v_sub_f32_e32 v11, v29, v9
	s_mov_b32 s12, 0x3e9b6dac
	s_delay_alu instid0(VALU_DEP_1) | instskip(NEXT) | instid1(VALU_DEP_1)
	v_mul_f32_e32 v12, 0x3fb8aa3b, v11
	v_fma_f32 v29, 0x3fb8aa3b, v11, -v12
	v_rndne_f32_e32 v30, v12
	s_delay_alu instid0(VALU_DEP_1) | instskip(SKIP_1) | instid1(VALU_DEP_4)
	v_sub_f32_e32 v12, v12, v30
	v_cmp_ngt_f32_e32 vcc_lo, 0xc2ce8ed0, v11
	v_fmamk_f32 v29, v11, 0x32a5705f, v29
	s_delay_alu instid0(VALU_DEP_1) | instskip(SKIP_1) | instid1(VALU_DEP_2)
	v_add_f32_e32 v12, v12, v29
	v_cvt_i32_f32_e32 v29, v30
	v_exp_f32_e32 v12, v12
	s_waitcnt_depctr 0xfff
	v_ldexp_f32 v12, v12, v29
	s_delay_alu instid0(VALU_DEP_1) | instskip(SKIP_1) | instid1(VALU_DEP_2)
	v_cndmask_b32_e32 v12, 0, v12, vcc_lo
	v_cmp_nlt_f32_e32 vcc_lo, 0x42b17218, v11
	v_cndmask_b32_e32 v29, 0x7f800000, v12, vcc_lo
	s_delay_alu instid0(VALU_DEP_1) | instskip(NEXT) | instid1(VALU_DEP_1)
	v_add_f32_e32 v30, 1.0, v29
	v_cvt_f64_f32_e32 v[11:12], v30
	s_delay_alu instid0(VALU_DEP_1) | instskip(SKIP_1) | instid1(VALU_DEP_1)
	v_frexp_exp_i32_f64_e32 v11, v[11:12]
	v_frexp_mant_f32_e32 v12, v30
	v_cmp_gt_f32_e32 vcc_lo, 0x3f2aaaab, v12
	v_add_f32_e32 v12, -1.0, v30
	s_delay_alu instid0(VALU_DEP_1) | instskip(SKIP_3) | instid1(VALU_DEP_2)
	v_sub_f32_e32 v32, v12, v30
	v_sub_f32_e32 v12, v29, v12
	v_subrev_co_ci_u32_e32 v11, vcc_lo, 0, v11, vcc_lo
	v_cmp_eq_f32_e32 vcc_lo, 0x7f800000, v29
	v_sub_nc_u32_e32 v31, 0, v11
	v_cvt_f32_i32_e32 v11, v11
	s_delay_alu instid0(VALU_DEP_2) | instskip(NEXT) | instid1(VALU_DEP_1)
	v_ldexp_f32 v30, v30, v31
	v_dual_add_f32 v33, 1.0, v30 :: v_dual_add_f32 v32, 1.0, v32
	s_delay_alu instid0(VALU_DEP_1) | instskip(NEXT) | instid1(VALU_DEP_2)
	v_add_f32_e32 v12, v12, v32
	v_add_f32_e32 v32, -1.0, v33
	s_delay_alu instid0(VALU_DEP_2) | instskip(NEXT) | instid1(VALU_DEP_2)
	v_ldexp_f32 v12, v12, v31
	v_dual_add_f32 v31, -1.0, v30 :: v_dual_sub_f32 v32, v30, v32
	s_delay_alu instid0(VALU_DEP_1) | instskip(NEXT) | instid1(VALU_DEP_2)
	v_add_f32_e32 v34, 1.0, v31
	v_add_f32_e32 v32, v12, v32
	s_delay_alu instid0(VALU_DEP_2) | instskip(NEXT) | instid1(VALU_DEP_2)
	v_sub_f32_e32 v30, v30, v34
	v_add_f32_e32 v34, v33, v32
	s_delay_alu instid0(VALU_DEP_2) | instskip(NEXT) | instid1(VALU_DEP_2)
	v_add_f32_e32 v12, v12, v30
	v_rcp_f32_e32 v30, v34
	v_sub_f32_e32 v33, v33, v34
	s_delay_alu instid0(VALU_DEP_1) | instskip(NEXT) | instid1(VALU_DEP_1)
	v_dual_add_f32 v35, v31, v12 :: v_dual_add_f32 v32, v32, v33
	v_sub_f32_e32 v31, v31, v35
	s_waitcnt_depctr 0xfff
	v_mul_f32_e32 v36, v35, v30
	s_delay_alu instid0(VALU_DEP_1) | instskip(NEXT) | instid1(VALU_DEP_1)
	v_dual_add_f32 v12, v12, v31 :: v_dual_mul_f32 v37, v34, v36
	v_fma_f32 v33, v36, v34, -v37
	s_delay_alu instid0(VALU_DEP_1) | instskip(NEXT) | instid1(VALU_DEP_1)
	v_fmac_f32_e32 v33, v36, v32
	v_add_f32_e32 v38, v37, v33
	s_delay_alu instid0(VALU_DEP_1) | instskip(SKIP_1) | instid1(VALU_DEP_2)
	v_sub_f32_e32 v39, v35, v38
	v_sub_f32_e32 v31, v38, v37
	v_sub_f32_e32 v35, v35, v39
	s_delay_alu instid0(VALU_DEP_2) | instskip(NEXT) | instid1(VALU_DEP_2)
	v_sub_f32_e32 v31, v31, v33
	v_sub_f32_e32 v35, v35, v38
	s_delay_alu instid0(VALU_DEP_1) | instskip(NEXT) | instid1(VALU_DEP_1)
	v_add_f32_e32 v12, v12, v35
	v_add_f32_e32 v12, v31, v12
	s_delay_alu instid0(VALU_DEP_1) | instskip(NEXT) | instid1(VALU_DEP_1)
	v_add_f32_e32 v31, v39, v12
	v_mul_f32_e32 v33, v30, v31
	s_delay_alu instid0(VALU_DEP_1) | instskip(NEXT) | instid1(VALU_DEP_1)
	v_dual_sub_f32 v38, v39, v31 :: v_dual_mul_f32 v35, v34, v33
	v_add_f32_e32 v12, v12, v38
	s_delay_alu instid0(VALU_DEP_2) | instskip(NEXT) | instid1(VALU_DEP_1)
	v_fma_f32 v34, v33, v34, -v35
	v_fmac_f32_e32 v34, v33, v32
	s_delay_alu instid0(VALU_DEP_1) | instskip(NEXT) | instid1(VALU_DEP_1)
	v_add_f32_e32 v32, v35, v34
	v_sub_f32_e32 v37, v31, v32
	v_sub_f32_e32 v35, v32, v35
	s_delay_alu instid0(VALU_DEP_2) | instskip(NEXT) | instid1(VALU_DEP_1)
	v_sub_f32_e32 v31, v31, v37
	v_sub_f32_e32 v31, v31, v32
	s_delay_alu instid0(VALU_DEP_3) | instskip(NEXT) | instid1(VALU_DEP_2)
	v_sub_f32_e32 v32, v35, v34
	v_add_f32_e32 v12, v12, v31
	v_add_f32_e32 v31, v36, v33
	s_delay_alu instid0(VALU_DEP_2) | instskip(NEXT) | instid1(VALU_DEP_2)
	v_add_f32_e32 v12, v32, v12
	v_sub_f32_e32 v32, v31, v36
	s_delay_alu instid0(VALU_DEP_2) | instskip(NEXT) | instid1(VALU_DEP_2)
	v_add_f32_e32 v12, v37, v12
	v_sub_f32_e32 v32, v33, v32
	s_delay_alu instid0(VALU_DEP_2) | instskip(NEXT) | instid1(VALU_DEP_1)
	v_mul_f32_e32 v12, v30, v12
	v_add_f32_e32 v12, v32, v12
	s_delay_alu instid0(VALU_DEP_1) | instskip(NEXT) | instid1(VALU_DEP_1)
	v_add_f32_e32 v30, v31, v12
	v_mul_f32_e32 v32, v30, v30
	s_delay_alu instid0(VALU_DEP_1) | instskip(SKIP_2) | instid1(VALU_DEP_3)
	v_fmaak_f32 v33, s12, v32, 0x3ecc95a3
	v_mul_f32_e32 v34, v30, v32
	v_cmp_gt_f32_e64 s12, 0x33800000, |v29|
	v_fmaak_f32 v32, v32, v33, 0x3f2aaada
	v_ldexp_f32 v33, v30, 1
	v_sub_f32_e32 v30, v30, v31
	s_delay_alu instid0(VALU_DEP_4) | instskip(NEXT) | instid1(VALU_DEP_3)
	s_or_b32 vcc_lo, vcc_lo, s12
	v_mul_f32_e32 v32, v34, v32
	v_mul_f32_e32 v34, 0x3f317218, v11
	s_delay_alu instid0(VALU_DEP_2) | instskip(NEXT) | instid1(VALU_DEP_1)
	v_dual_sub_f32 v12, v12, v30 :: v_dual_add_f32 v31, v33, v32
	v_ldexp_f32 v12, v12, 1
	s_delay_alu instid0(VALU_DEP_2) | instskip(NEXT) | instid1(VALU_DEP_4)
	v_sub_f32_e32 v30, v31, v33
	v_fma_f32 v33, 0x3f317218, v11, -v34
	s_delay_alu instid0(VALU_DEP_1) | instskip(NEXT) | instid1(VALU_DEP_1)
	v_dual_sub_f32 v30, v32, v30 :: v_dual_fmamk_f32 v11, v11, 0xb102e308, v33
	v_add_f32_e32 v12, v12, v30
	s_delay_alu instid0(VALU_DEP_2) | instskip(NEXT) | instid1(VALU_DEP_2)
	v_add_f32_e32 v30, v34, v11
	v_add_f32_e32 v32, v31, v12
	s_delay_alu instid0(VALU_DEP_2) | instskip(NEXT) | instid1(VALU_DEP_2)
	v_sub_f32_e32 v34, v30, v34
	v_add_f32_e32 v33, v30, v32
	v_sub_f32_e32 v31, v32, v31
	s_delay_alu instid0(VALU_DEP_3) | instskip(NEXT) | instid1(VALU_DEP_2)
	v_sub_f32_e32 v11, v11, v34
	v_dual_sub_f32 v35, v33, v30 :: v_dual_sub_f32 v12, v12, v31
	s_delay_alu instid0(VALU_DEP_1) | instskip(NEXT) | instid1(VALU_DEP_2)
	v_sub_f32_e32 v36, v33, v35
	v_dual_sub_f32 v31, v32, v35 :: v_dual_add_f32 v32, v11, v12
	s_delay_alu instid0(VALU_DEP_2) | instskip(NEXT) | instid1(VALU_DEP_1)
	v_sub_f32_e32 v30, v30, v36
	v_dual_add_f32 v30, v31, v30 :: v_dual_sub_f32 v31, v32, v11
	s_delay_alu instid0(VALU_DEP_1) | instskip(NEXT) | instid1(VALU_DEP_2)
	v_add_f32_e32 v30, v32, v30
	v_sub_f32_e32 v32, v32, v31
	v_sub_f32_e32 v12, v12, v31
	s_delay_alu instid0(VALU_DEP_2) | instskip(NEXT) | instid1(VALU_DEP_1)
	v_dual_add_f32 v34, v33, v30 :: v_dual_sub_f32 v11, v11, v32
	v_sub_f32_e32 v31, v34, v33
	s_delay_alu instid0(VALU_DEP_2) | instskip(NEXT) | instid1(VALU_DEP_2)
	v_add_f32_e32 v11, v12, v11
	v_sub_f32_e32 v12, v30, v31
	s_delay_alu instid0(VALU_DEP_1) | instskip(NEXT) | instid1(VALU_DEP_1)
	v_add_f32_e32 v11, v11, v12
	v_add_f32_e32 v11, v34, v11
	s_delay_alu instid0(VALU_DEP_1) | instskip(NEXT) | instid1(VALU_DEP_1)
	v_cndmask_b32_e32 v11, v11, v29, vcc_lo
	v_add_f32_e32 v11, v9, v11
.LBB145_90:
	s_or_b32 exec_lo, exec_lo, s11
	s_delay_alu instid0(VALU_DEP_1)
	v_mov_b32_e32 v9, v11
	v_mov_b32_e32 v12, v11
.LBB145_91:
	s_or_b32 exec_lo, exec_lo, s10
	v_cmp_gt_u32_e32 vcc_lo, 24, v23
	v_add_nc_u32_e32 v30, 8, v23
	s_mov_b32 s10, exec_lo
	s_waitcnt lgkmcnt(0)
	v_cndmask_b32_e64 v11, 0, 1, vcc_lo
	s_delay_alu instid0(VALU_DEP_1) | instskip(NEXT) | instid1(VALU_DEP_1)
	v_lshlrev_b32_e32 v11, 3, v11
	v_add_lshl_u32 v29, v11, v23, 2
	ds_bpermute_b32 v11, v29, v9
	v_cmpx_le_u32_e64 v30, v5
	s_cbranch_execz .LBB145_95
; %bb.92:
	v_max_f32_e32 v9, v12, v12
	s_waitcnt lgkmcnt(0)
	v_max_f32_e32 v31, v11, v11
	v_cmp_u_f32_e32 vcc_lo, v11, v11
	s_delay_alu instid0(VALU_DEP_2) | instskip(SKIP_1) | instid1(VALU_DEP_1)
	v_min_f32_e32 v32, v31, v9
	v_max_f32_e32 v9, v31, v9
	v_cndmask_b32_e32 v9, v9, v11, vcc_lo
	s_delay_alu instid0(VALU_DEP_3) | instskip(SKIP_1) | instid1(VALU_DEP_2)
	v_cndmask_b32_e32 v31, v32, v11, vcc_lo
	v_cmp_u_f32_e32 vcc_lo, v12, v12
	v_cndmask_b32_e32 v31, v31, v12, vcc_lo
	s_delay_alu instid0(VALU_DEP_4) | instskip(NEXT) | instid1(VALU_DEP_2)
	v_cndmask_b32_e32 v9, v9, v12, vcc_lo
	v_cmp_class_f32_e64 s11, v31, 0x1f8
	s_delay_alu instid0(VALU_DEP_2) | instskip(NEXT) | instid1(VALU_DEP_2)
	v_cmp_neq_f32_e32 vcc_lo, v31, v9
	s_or_b32 s12, vcc_lo, s11
	s_delay_alu instid0(SALU_CYCLE_1)
	s_and_saveexec_b32 s11, s12
	s_cbranch_execz .LBB145_94
; %bb.93:
	v_sub_f32_e32 v11, v31, v9
	s_mov_b32 s12, 0x3e9b6dac
	s_delay_alu instid0(VALU_DEP_1) | instskip(NEXT) | instid1(VALU_DEP_1)
	v_mul_f32_e32 v12, 0x3fb8aa3b, v11
	v_fma_f32 v31, 0x3fb8aa3b, v11, -v12
	v_rndne_f32_e32 v32, v12
	s_delay_alu instid0(VALU_DEP_1) | instskip(SKIP_1) | instid1(VALU_DEP_4)
	v_sub_f32_e32 v12, v12, v32
	v_cmp_ngt_f32_e32 vcc_lo, 0xc2ce8ed0, v11
	v_fmamk_f32 v31, v11, 0x32a5705f, v31
	s_delay_alu instid0(VALU_DEP_1) | instskip(SKIP_1) | instid1(VALU_DEP_2)
	v_add_f32_e32 v12, v12, v31
	v_cvt_i32_f32_e32 v31, v32
	v_exp_f32_e32 v12, v12
	s_waitcnt_depctr 0xfff
	v_ldexp_f32 v12, v12, v31
	s_delay_alu instid0(VALU_DEP_1) | instskip(SKIP_1) | instid1(VALU_DEP_2)
	v_cndmask_b32_e32 v12, 0, v12, vcc_lo
	v_cmp_nlt_f32_e32 vcc_lo, 0x42b17218, v11
	v_cndmask_b32_e32 v31, 0x7f800000, v12, vcc_lo
	s_delay_alu instid0(VALU_DEP_1) | instskip(NEXT) | instid1(VALU_DEP_1)
	v_add_f32_e32 v32, 1.0, v31
	v_cvt_f64_f32_e32 v[11:12], v32
	s_delay_alu instid0(VALU_DEP_1) | instskip(SKIP_1) | instid1(VALU_DEP_1)
	v_frexp_exp_i32_f64_e32 v11, v[11:12]
	v_frexp_mant_f32_e32 v12, v32
	v_cmp_gt_f32_e32 vcc_lo, 0x3f2aaaab, v12
	v_add_f32_e32 v12, -1.0, v32
	s_delay_alu instid0(VALU_DEP_1) | instskip(NEXT) | instid1(VALU_DEP_1)
	v_sub_f32_e32 v34, v12, v32
	v_add_f32_e32 v34, 1.0, v34
	v_sub_f32_e32 v12, v31, v12
	v_subrev_co_ci_u32_e32 v11, vcc_lo, 0, v11, vcc_lo
	v_cmp_eq_f32_e32 vcc_lo, 0x7f800000, v31
	s_delay_alu instid0(VALU_DEP_2) | instskip(SKIP_1) | instid1(VALU_DEP_2)
	v_sub_nc_u32_e32 v33, 0, v11
	v_cvt_f32_i32_e32 v11, v11
	v_ldexp_f32 v32, v32, v33
	s_delay_alu instid0(VALU_DEP_1) | instskip(NEXT) | instid1(VALU_DEP_1)
	v_dual_add_f32 v35, 1.0, v32 :: v_dual_add_f32 v12, v12, v34
	v_add_f32_e32 v34, -1.0, v35
	s_delay_alu instid0(VALU_DEP_2) | instskip(NEXT) | instid1(VALU_DEP_2)
	v_ldexp_f32 v12, v12, v33
	v_dual_add_f32 v33, -1.0, v32 :: v_dual_sub_f32 v34, v32, v34
	s_delay_alu instid0(VALU_DEP_1) | instskip(NEXT) | instid1(VALU_DEP_2)
	v_add_f32_e32 v36, 1.0, v33
	v_add_f32_e32 v34, v12, v34
	s_delay_alu instid0(VALU_DEP_2) | instskip(NEXT) | instid1(VALU_DEP_2)
	v_sub_f32_e32 v32, v32, v36
	v_add_f32_e32 v36, v35, v34
	s_delay_alu instid0(VALU_DEP_2) | instskip(NEXT) | instid1(VALU_DEP_2)
	v_add_f32_e32 v12, v12, v32
	v_rcp_f32_e32 v32, v36
	v_sub_f32_e32 v35, v35, v36
	s_delay_alu instid0(VALU_DEP_1) | instskip(NEXT) | instid1(VALU_DEP_1)
	v_dual_add_f32 v37, v33, v12 :: v_dual_add_f32 v34, v34, v35
	v_sub_f32_e32 v33, v33, v37
	s_waitcnt_depctr 0xfff
	v_mul_f32_e32 v38, v37, v32
	v_add_f32_e32 v12, v12, v33
	s_delay_alu instid0(VALU_DEP_2) | instskip(NEXT) | instid1(VALU_DEP_1)
	v_mul_f32_e32 v39, v36, v38
	v_fma_f32 v35, v38, v36, -v39
	s_delay_alu instid0(VALU_DEP_1) | instskip(NEXT) | instid1(VALU_DEP_1)
	v_fmac_f32_e32 v35, v38, v34
	v_add_f32_e32 v40, v39, v35
	s_delay_alu instid0(VALU_DEP_1) | instskip(SKIP_1) | instid1(VALU_DEP_2)
	v_sub_f32_e32 v41, v37, v40
	v_sub_f32_e32 v33, v40, v39
	;; [unrolled: 1-line block ×3, first 2 shown]
	s_delay_alu instid0(VALU_DEP_2) | instskip(NEXT) | instid1(VALU_DEP_2)
	v_sub_f32_e32 v33, v33, v35
	v_sub_f32_e32 v37, v37, v40
	s_delay_alu instid0(VALU_DEP_1) | instskip(NEXT) | instid1(VALU_DEP_1)
	v_add_f32_e32 v12, v12, v37
	v_add_f32_e32 v12, v33, v12
	s_delay_alu instid0(VALU_DEP_1) | instskip(NEXT) | instid1(VALU_DEP_1)
	v_add_f32_e32 v33, v41, v12
	v_mul_f32_e32 v35, v32, v33
	s_delay_alu instid0(VALU_DEP_1) | instskip(NEXT) | instid1(VALU_DEP_1)
	v_dual_sub_f32 v40, v41, v33 :: v_dual_mul_f32 v37, v36, v35
	v_add_f32_e32 v12, v12, v40
	s_delay_alu instid0(VALU_DEP_2) | instskip(NEXT) | instid1(VALU_DEP_1)
	v_fma_f32 v36, v35, v36, -v37
	v_fmac_f32_e32 v36, v35, v34
	s_delay_alu instid0(VALU_DEP_1) | instskip(NEXT) | instid1(VALU_DEP_1)
	v_add_f32_e32 v34, v37, v36
	v_sub_f32_e32 v39, v33, v34
	v_sub_f32_e32 v37, v34, v37
	s_delay_alu instid0(VALU_DEP_2) | instskip(NEXT) | instid1(VALU_DEP_1)
	v_sub_f32_e32 v33, v33, v39
	v_sub_f32_e32 v33, v33, v34
	s_delay_alu instid0(VALU_DEP_1) | instskip(NEXT) | instid1(VALU_DEP_4)
	v_dual_add_f32 v12, v12, v33 :: v_dual_add_f32 v33, v38, v35
	v_sub_f32_e32 v34, v37, v36
	s_delay_alu instid0(VALU_DEP_1) | instskip(NEXT) | instid1(VALU_DEP_3)
	v_add_f32_e32 v12, v34, v12
	v_sub_f32_e32 v34, v33, v38
	s_delay_alu instid0(VALU_DEP_2) | instskip(NEXT) | instid1(VALU_DEP_2)
	v_add_f32_e32 v12, v39, v12
	v_sub_f32_e32 v34, v35, v34
	s_delay_alu instid0(VALU_DEP_2) | instskip(NEXT) | instid1(VALU_DEP_1)
	v_mul_f32_e32 v12, v32, v12
	v_add_f32_e32 v12, v34, v12
	s_delay_alu instid0(VALU_DEP_1) | instskip(NEXT) | instid1(VALU_DEP_1)
	v_add_f32_e32 v32, v33, v12
	v_mul_f32_e32 v34, v32, v32
	s_delay_alu instid0(VALU_DEP_1) | instskip(SKIP_2) | instid1(VALU_DEP_3)
	v_fmaak_f32 v35, s12, v34, 0x3ecc95a3
	v_mul_f32_e32 v36, v32, v34
	v_cmp_gt_f32_e64 s12, 0x33800000, |v31|
	v_fmaak_f32 v34, v34, v35, 0x3f2aaada
	v_ldexp_f32 v35, v32, 1
	v_sub_f32_e32 v32, v32, v33
	s_delay_alu instid0(VALU_DEP_4) | instskip(NEXT) | instid1(VALU_DEP_3)
	s_or_b32 vcc_lo, vcc_lo, s12
	v_mul_f32_e32 v34, v36, v34
	v_mul_f32_e32 v36, 0x3f317218, v11
	s_delay_alu instid0(VALU_DEP_2) | instskip(NEXT) | instid1(VALU_DEP_1)
	v_dual_sub_f32 v12, v12, v32 :: v_dual_add_f32 v33, v35, v34
	v_ldexp_f32 v12, v12, 1
	s_delay_alu instid0(VALU_DEP_2) | instskip(NEXT) | instid1(VALU_DEP_4)
	v_sub_f32_e32 v32, v33, v35
	v_fma_f32 v35, 0x3f317218, v11, -v36
	s_delay_alu instid0(VALU_DEP_1) | instskip(NEXT) | instid1(VALU_DEP_1)
	v_dual_sub_f32 v32, v34, v32 :: v_dual_fmamk_f32 v11, v11, 0xb102e308, v35
	v_add_f32_e32 v12, v12, v32
	s_delay_alu instid0(VALU_DEP_2) | instskip(NEXT) | instid1(VALU_DEP_2)
	v_add_f32_e32 v32, v36, v11
	v_add_f32_e32 v34, v33, v12
	s_delay_alu instid0(VALU_DEP_2) | instskip(NEXT) | instid1(VALU_DEP_2)
	v_sub_f32_e32 v36, v32, v36
	v_add_f32_e32 v35, v32, v34
	v_sub_f32_e32 v33, v34, v33
	s_delay_alu instid0(VALU_DEP_3) | instskip(NEXT) | instid1(VALU_DEP_2)
	v_sub_f32_e32 v11, v11, v36
	v_dual_sub_f32 v37, v35, v32 :: v_dual_sub_f32 v12, v12, v33
	s_delay_alu instid0(VALU_DEP_1) | instskip(NEXT) | instid1(VALU_DEP_2)
	v_sub_f32_e32 v38, v35, v37
	v_dual_sub_f32 v33, v34, v37 :: v_dual_add_f32 v34, v11, v12
	s_delay_alu instid0(VALU_DEP_2) | instskip(NEXT) | instid1(VALU_DEP_1)
	v_sub_f32_e32 v32, v32, v38
	v_dual_add_f32 v32, v33, v32 :: v_dual_sub_f32 v33, v34, v11
	s_delay_alu instid0(VALU_DEP_1) | instskip(NEXT) | instid1(VALU_DEP_2)
	v_add_f32_e32 v32, v34, v32
	v_sub_f32_e32 v34, v34, v33
	v_sub_f32_e32 v12, v12, v33
	s_delay_alu instid0(VALU_DEP_3) | instskip(NEXT) | instid1(VALU_DEP_3)
	v_add_f32_e32 v36, v35, v32
	v_sub_f32_e32 v11, v11, v34
	s_delay_alu instid0(VALU_DEP_2) | instskip(NEXT) | instid1(VALU_DEP_2)
	v_sub_f32_e32 v33, v36, v35
	v_add_f32_e32 v11, v12, v11
	s_delay_alu instid0(VALU_DEP_2) | instskip(NEXT) | instid1(VALU_DEP_1)
	v_sub_f32_e32 v12, v32, v33
	v_add_f32_e32 v11, v11, v12
	s_delay_alu instid0(VALU_DEP_1) | instskip(NEXT) | instid1(VALU_DEP_1)
	v_add_f32_e32 v11, v36, v11
	v_cndmask_b32_e32 v11, v11, v31, vcc_lo
	s_delay_alu instid0(VALU_DEP_1)
	v_add_f32_e32 v11, v9, v11
.LBB145_94:
	s_or_b32 exec_lo, exec_lo, s11
	s_delay_alu instid0(VALU_DEP_1)
	v_mov_b32_e32 v9, v11
	v_mov_b32_e32 v12, v11
.LBB145_95:
	s_or_b32 exec_lo, exec_lo, s10
	v_cmp_gt_u32_e32 vcc_lo, 16, v23
	v_add_nc_u32_e32 v33, 16, v23
	s_mov_b32 s10, exec_lo
	s_waitcnt lgkmcnt(0)
	v_cndmask_b32_e64 v11, 0, 1, vcc_lo
	s_delay_alu instid0(VALU_DEP_1) | instskip(NEXT) | instid1(VALU_DEP_1)
	v_lshlrev_b32_e32 v11, 4, v11
	v_add_lshl_u32 v32, v11, v23, 2
	ds_bpermute_b32 v9, v32, v9
	v_cmpx_le_u32_e64 v33, v5
	s_cbranch_execz .LBB145_99
; %bb.96:
	v_max_f32_e32 v5, v12, v12
	s_waitcnt lgkmcnt(0)
	v_max_f32_e32 v11, v9, v9
	v_cmp_u_f32_e32 vcc_lo, v9, v9
	s_delay_alu instid0(VALU_DEP_2) | instskip(SKIP_1) | instid1(VALU_DEP_2)
	v_min_f32_e32 v31, v11, v5
	v_max_f32_e32 v5, v11, v5
	v_cndmask_b32_e32 v11, v31, v9, vcc_lo
	s_delay_alu instid0(VALU_DEP_2) | instskip(SKIP_1) | instid1(VALU_DEP_3)
	v_cndmask_b32_e32 v5, v5, v9, vcc_lo
	v_cmp_u_f32_e32 vcc_lo, v12, v12
	v_cndmask_b32_e32 v11, v11, v12, vcc_lo
	s_delay_alu instid0(VALU_DEP_3) | instskip(NEXT) | instid1(VALU_DEP_2)
	v_cndmask_b32_e32 v5, v5, v12, vcc_lo
	v_cmp_class_f32_e64 s11, v11, 0x1f8
	s_delay_alu instid0(VALU_DEP_2) | instskip(NEXT) | instid1(VALU_DEP_2)
	v_cmp_neq_f32_e32 vcc_lo, v11, v5
	s_or_b32 s12, vcc_lo, s11
	s_delay_alu instid0(SALU_CYCLE_1)
	s_and_saveexec_b32 s11, s12
	s_cbranch_execz .LBB145_98
; %bb.97:
	v_sub_f32_e32 v9, v11, v5
	s_mov_b32 s12, 0x3e9b6dac
	s_delay_alu instid0(VALU_DEP_1) | instskip(SKIP_1) | instid1(VALU_DEP_2)
	v_mul_f32_e32 v11, 0x3fb8aa3b, v9
	v_cmp_ngt_f32_e32 vcc_lo, 0xc2ce8ed0, v9
	v_fma_f32 v12, 0x3fb8aa3b, v9, -v11
	v_rndne_f32_e32 v31, v11
	s_delay_alu instid0(VALU_DEP_1) | instskip(NEXT) | instid1(VALU_DEP_1)
	v_dual_fmamk_f32 v12, v9, 0x32a5705f, v12 :: v_dual_sub_f32 v11, v11, v31
	v_add_f32_e32 v11, v11, v12
	v_cvt_i32_f32_e32 v12, v31
	s_delay_alu instid0(VALU_DEP_2) | instskip(SKIP_2) | instid1(VALU_DEP_1)
	v_exp_f32_e32 v11, v11
	s_waitcnt_depctr 0xfff
	v_ldexp_f32 v11, v11, v12
	v_cndmask_b32_e32 v11, 0, v11, vcc_lo
	v_cmp_nlt_f32_e32 vcc_lo, 0x42b17218, v9
	s_delay_alu instid0(VALU_DEP_2) | instskip(NEXT) | instid1(VALU_DEP_1)
	v_cndmask_b32_e32 v9, 0x7f800000, v11, vcc_lo
	v_add_f32_e32 v31, 1.0, v9
	s_delay_alu instid0(VALU_DEP_1) | instskip(NEXT) | instid1(VALU_DEP_1)
	v_cvt_f64_f32_e32 v[11:12], v31
	v_frexp_exp_i32_f64_e32 v11, v[11:12]
	v_frexp_mant_f32_e32 v12, v31
	s_delay_alu instid0(VALU_DEP_1) | instskip(SKIP_1) | instid1(VALU_DEP_1)
	v_cmp_gt_f32_e32 vcc_lo, 0x3f2aaaab, v12
	v_add_f32_e32 v12, -1.0, v31
	v_dual_sub_f32 v35, v12, v31 :: v_dual_sub_f32 v12, v9, v12
	s_delay_alu instid0(VALU_DEP_1) | instskip(NEXT) | instid1(VALU_DEP_1)
	v_add_f32_e32 v35, 1.0, v35
	v_add_f32_e32 v12, v12, v35
	v_subrev_co_ci_u32_e32 v11, vcc_lo, 0, v11, vcc_lo
	s_delay_alu instid0(VALU_DEP_1) | instskip(SKIP_1) | instid1(VALU_DEP_2)
	v_sub_nc_u32_e32 v34, 0, v11
	v_cvt_f32_i32_e32 v11, v11
	v_ldexp_f32 v31, v31, v34
	v_ldexp_f32 v12, v12, v34
	s_delay_alu instid0(VALU_DEP_2) | instskip(NEXT) | instid1(VALU_DEP_1)
	v_add_f32_e32 v36, 1.0, v31
	v_dual_add_f32 v34, -1.0, v31 :: v_dual_add_f32 v35, -1.0, v36
	s_delay_alu instid0(VALU_DEP_1) | instskip(NEXT) | instid1(VALU_DEP_2)
	v_add_f32_e32 v37, 1.0, v34
	v_sub_f32_e32 v35, v31, v35
	s_delay_alu instid0(VALU_DEP_2) | instskip(NEXT) | instid1(VALU_DEP_2)
	v_sub_f32_e32 v31, v31, v37
	v_add_f32_e32 v35, v12, v35
	s_delay_alu instid0(VALU_DEP_2) | instskip(NEXT) | instid1(VALU_DEP_1)
	v_add_f32_e32 v12, v12, v31
	v_dual_add_f32 v37, v36, v35 :: v_dual_add_f32 v38, v34, v12
	s_delay_alu instid0(VALU_DEP_1) | instskip(SKIP_2) | instid1(VALU_DEP_3)
	v_rcp_f32_e32 v31, v37
	v_sub_f32_e32 v36, v36, v37
	v_cmp_eq_f32_e32 vcc_lo, 0x7f800000, v9
	v_sub_f32_e32 v34, v34, v38
	s_delay_alu instid0(VALU_DEP_1) | instskip(SKIP_2) | instid1(VALU_DEP_1)
	v_dual_add_f32 v12, v12, v34 :: v_dual_add_f32 v35, v35, v36
	s_waitcnt_depctr 0xfff
	v_mul_f32_e32 v39, v38, v31
	v_mul_f32_e32 v40, v37, v39
	s_delay_alu instid0(VALU_DEP_1) | instskip(NEXT) | instid1(VALU_DEP_1)
	v_fma_f32 v36, v39, v37, -v40
	v_fmac_f32_e32 v36, v39, v35
	s_delay_alu instid0(VALU_DEP_1) | instskip(NEXT) | instid1(VALU_DEP_1)
	v_add_f32_e32 v41, v40, v36
	v_sub_f32_e32 v42, v38, v41
	v_sub_f32_e32 v34, v41, v40
	s_delay_alu instid0(VALU_DEP_2) | instskip(NEXT) | instid1(VALU_DEP_1)
	v_sub_f32_e32 v38, v38, v42
	v_sub_f32_e32 v38, v38, v41
	s_delay_alu instid0(VALU_DEP_1) | instskip(NEXT) | instid1(VALU_DEP_4)
	v_add_f32_e32 v12, v12, v38
	v_sub_f32_e32 v34, v34, v36
	s_delay_alu instid0(VALU_DEP_1) | instskip(NEXT) | instid1(VALU_DEP_1)
	v_add_f32_e32 v12, v34, v12
	v_add_f32_e32 v34, v42, v12
	s_delay_alu instid0(VALU_DEP_1) | instskip(NEXT) | instid1(VALU_DEP_1)
	v_mul_f32_e32 v36, v31, v34
	v_dual_sub_f32 v41, v42, v34 :: v_dual_mul_f32 v38, v37, v36
	s_delay_alu instid0(VALU_DEP_1) | instskip(NEXT) | instid1(VALU_DEP_2)
	v_add_f32_e32 v12, v12, v41
	v_fma_f32 v37, v36, v37, -v38
	s_delay_alu instid0(VALU_DEP_1) | instskip(NEXT) | instid1(VALU_DEP_1)
	v_fmac_f32_e32 v37, v36, v35
	v_add_f32_e32 v35, v38, v37
	s_delay_alu instid0(VALU_DEP_1) | instskip(NEXT) | instid1(VALU_DEP_1)
	v_sub_f32_e32 v40, v34, v35
	v_sub_f32_e32 v34, v34, v40
	s_delay_alu instid0(VALU_DEP_1) | instskip(NEXT) | instid1(VALU_DEP_1)
	v_sub_f32_e32 v34, v34, v35
	v_add_f32_e32 v12, v12, v34
	v_add_f32_e32 v34, v39, v36
	v_sub_f32_e32 v38, v35, v38
	s_delay_alu instid0(VALU_DEP_1) | instskip(NEXT) | instid1(VALU_DEP_1)
	v_sub_f32_e32 v35, v38, v37
	v_dual_add_f32 v12, v35, v12 :: v_dual_sub_f32 v35, v34, v39
	s_delay_alu instid0(VALU_DEP_1) | instskip(NEXT) | instid1(VALU_DEP_1)
	v_add_f32_e32 v12, v40, v12
	v_dual_sub_f32 v35, v36, v35 :: v_dual_mul_f32 v12, v31, v12
	s_delay_alu instid0(VALU_DEP_1) | instskip(NEXT) | instid1(VALU_DEP_1)
	v_add_f32_e32 v12, v35, v12
	v_add_f32_e32 v31, v34, v12
	s_delay_alu instid0(VALU_DEP_1) | instskip(NEXT) | instid1(VALU_DEP_1)
	v_mul_f32_e32 v35, v31, v31
	v_fmaak_f32 v36, s12, v35, 0x3ecc95a3
	v_mul_f32_e32 v37, v31, v35
	v_cmp_gt_f32_e64 s12, 0x33800000, |v9|
	s_delay_alu instid0(VALU_DEP_3) | instskip(SKIP_1) | instid1(VALU_DEP_3)
	v_fmaak_f32 v35, v35, v36, 0x3f2aaada
	v_ldexp_f32 v36, v31, 1
	s_or_b32 vcc_lo, vcc_lo, s12
	s_delay_alu instid0(VALU_DEP_2) | instskip(SKIP_1) | instid1(VALU_DEP_2)
	v_mul_f32_e32 v35, v37, v35
	v_mul_f32_e32 v37, 0x3f317218, v11
	v_dual_sub_f32 v31, v31, v34 :: v_dual_add_f32 v34, v36, v35
	s_delay_alu instid0(VALU_DEP_1) | instskip(NEXT) | instid1(VALU_DEP_3)
	v_dual_sub_f32 v12, v12, v31 :: v_dual_sub_f32 v31, v34, v36
	v_fma_f32 v36, 0x3f317218, v11, -v37
	s_delay_alu instid0(VALU_DEP_2) | instskip(NEXT) | instid1(VALU_DEP_3)
	v_ldexp_f32 v12, v12, 1
	v_sub_f32_e32 v31, v35, v31
	s_delay_alu instid0(VALU_DEP_1) | instskip(NEXT) | instid1(VALU_DEP_1)
	v_dual_fmamk_f32 v11, v11, 0xb102e308, v36 :: v_dual_add_f32 v12, v12, v31
	v_add_f32_e32 v31, v37, v11
	s_delay_alu instid0(VALU_DEP_1) | instskip(NEXT) | instid1(VALU_DEP_1)
	v_sub_f32_e32 v37, v31, v37
	v_sub_f32_e32 v11, v11, v37
	s_delay_alu instid0(VALU_DEP_4) | instskip(NEXT) | instid1(VALU_DEP_1)
	v_add_f32_e32 v35, v34, v12
	v_add_f32_e32 v36, v31, v35
	s_delay_alu instid0(VALU_DEP_1) | instskip(SKIP_1) | instid1(VALU_DEP_2)
	v_sub_f32_e32 v38, v36, v31
	v_sub_f32_e32 v34, v35, v34
	;; [unrolled: 1-line block ×3, first 2 shown]
	s_delay_alu instid0(VALU_DEP_2) | instskip(SKIP_1) | instid1(VALU_DEP_3)
	v_sub_f32_e32 v12, v12, v34
	v_sub_f32_e32 v34, v35, v38
	;; [unrolled: 1-line block ×3, first 2 shown]
	s_delay_alu instid0(VALU_DEP_3) | instskip(NEXT) | instid1(VALU_DEP_2)
	v_add_f32_e32 v35, v11, v12
	v_add_f32_e32 v31, v34, v31
	s_delay_alu instid0(VALU_DEP_2) | instskip(NEXT) | instid1(VALU_DEP_2)
	v_sub_f32_e32 v34, v35, v11
	v_add_f32_e32 v31, v35, v31
	s_delay_alu instid0(VALU_DEP_2) | instskip(SKIP_1) | instid1(VALU_DEP_3)
	v_sub_f32_e32 v35, v35, v34
	v_sub_f32_e32 v12, v12, v34
	v_add_f32_e32 v37, v36, v31
	s_delay_alu instid0(VALU_DEP_1) | instskip(NEXT) | instid1(VALU_DEP_1)
	v_dual_sub_f32 v11, v11, v35 :: v_dual_sub_f32 v34, v37, v36
	v_dual_add_f32 v11, v12, v11 :: v_dual_sub_f32 v12, v31, v34
	s_delay_alu instid0(VALU_DEP_1) | instskip(NEXT) | instid1(VALU_DEP_1)
	v_add_f32_e32 v11, v11, v12
	v_add_f32_e32 v11, v37, v11
	s_delay_alu instid0(VALU_DEP_1) | instskip(NEXT) | instid1(VALU_DEP_1)
	v_cndmask_b32_e32 v9, v11, v9, vcc_lo
	v_add_f32_e32 v9, v5, v9
.LBB145_98:
	s_or_b32 exec_lo, exec_lo, s11
	s_delay_alu instid0(VALU_DEP_1)
	v_mov_b32_e32 v12, v9
.LBB145_99:
	s_or_b32 exec_lo, exec_lo, s10
	v_mov_b32_e32 v5, 0
	s_mov_b32 s10, 0x3e9b6dac
	s_branch .LBB145_101
.LBB145_100:                            ;   in Loop: Header=BB145_101 Depth=1
	s_or_b32 exec_lo, exec_lo, s11
	v_subrev_nc_u32_e32 v4, 32, v4
.LBB145_101:                            ; =>This Loop Header: Depth=1
                                        ;     Child Loop BB145_104 Depth 2
                                        ;       Child Loop BB145_105 Depth 3
	s_waitcnt lgkmcnt(0)
	v_and_b32_e32 v9, 0xff, v10
	v_mov_b32_e32 v31, v12
	s_delay_alu instid0(VALU_DEP_2) | instskip(SKIP_2) | instid1(VALU_DEP_1)
	v_cmp_ne_u16_e32 vcc_lo, 2, v9
	v_cndmask_b32_e64 v9, 0, 1, vcc_lo
	;;#ASMSTART
	;;#ASMEND
	v_cmp_ne_u32_e32 vcc_lo, 0, v9
	s_cmp_lg_u32 vcc_lo, exec_lo
	s_cbranch_scc1 .LBB145_130
; %bb.102:                              ;   in Loop: Header=BB145_101 Depth=1
	v_lshlrev_b64 v[9:10], 3, v[4:5]
	s_mov_b32 s11, exec_lo
	s_delay_alu instid0(VALU_DEP_1) | instskip(NEXT) | instid1(VALU_DEP_2)
	v_add_co_u32 v11, vcc_lo, s22, v9
	v_add_co_ci_u32_e32 v12, vcc_lo, s23, v10, vcc_lo
	global_load_b64 v[9:10], v[11:12], off glc
	s_waitcnt vmcnt(0)
	v_and_b32_e32 v34, 0xff, v10
	s_delay_alu instid0(VALU_DEP_1)
	v_cmpx_eq_u16_e32 0, v34
	s_cbranch_execz .LBB145_108
; %bb.103:                              ;   in Loop: Header=BB145_101 Depth=1
	s_mov_b32 s13, 1
	s_mov_b32 s12, 0
	.p2align	6
.LBB145_104:                            ;   Parent Loop BB145_101 Depth=1
                                        ; =>  This Loop Header: Depth=2
                                        ;       Child Loop BB145_105 Depth 3
	s_max_u32 s14, s13, 1
.LBB145_105:                            ;   Parent Loop BB145_101 Depth=1
                                        ;     Parent Loop BB145_104 Depth=2
                                        ; =>    This Inner Loop Header: Depth=3
	s_delay_alu instid0(SALU_CYCLE_1)
	s_add_i32 s14, s14, -1
	s_sleep 1
	s_cmp_eq_u32 s14, 0
	s_cbranch_scc0 .LBB145_105
; %bb.106:                              ;   in Loop: Header=BB145_104 Depth=2
	global_load_b64 v[9:10], v[11:12], off glc
	s_cmp_lt_u32 s13, 32
	s_cselect_b32 s14, -1, 0
	s_delay_alu instid0(SALU_CYCLE_1) | instskip(SKIP_3) | instid1(VALU_DEP_1)
	s_cmp_lg_u32 s14, 0
	s_addc_u32 s13, s13, 0
	s_waitcnt vmcnt(0)
	v_and_b32_e32 v34, 0xff, v10
	v_cmp_ne_u16_e32 vcc_lo, 0, v34
	s_or_b32 s12, vcc_lo, s12
	s_delay_alu instid0(SALU_CYCLE_1)
	s_and_not1_b32 exec_lo, exec_lo, s12
	s_cbranch_execnz .LBB145_104
; %bb.107:                              ;   in Loop: Header=BB145_101 Depth=1
	s_or_b32 exec_lo, exec_lo, s12
.LBB145_108:                            ;   in Loop: Header=BB145_101 Depth=1
	s_delay_alu instid0(SALU_CYCLE_1)
	s_or_b32 exec_lo, exec_lo, s11
	v_dual_mov_b32 v12, v9 :: v_dual_and_b32 v11, 0xff, v10
	ds_bpermute_b32 v34, v6, v9
	s_mov_b32 s11, exec_lo
	v_cmp_eq_u16_e32 vcc_lo, 2, v11
	v_and_or_b32 v11, vcc_lo, v24, 0x80000000
	s_delay_alu instid0(VALU_DEP_1) | instskip(NEXT) | instid1(VALU_DEP_1)
	v_ctz_i32_b32_e32 v11, v11
	v_cmpx_lt_u32_e64 v23, v11
	s_cbranch_execz .LBB145_112
; %bb.109:                              ;   in Loop: Header=BB145_101 Depth=1
	s_waitcnt lgkmcnt(0)
	v_dual_max_f32 v12, v9, v9 :: v_dual_max_f32 v35, v34, v34
	v_cmp_u_f32_e32 vcc_lo, v34, v34
	s_delay_alu instid0(VALU_DEP_2) | instskip(NEXT) | instid1(VALU_DEP_1)
	v_min_f32_e32 v36, v35, v12
	v_dual_max_f32 v12, v35, v12 :: v_dual_cndmask_b32 v35, v36, v34
	s_delay_alu instid0(VALU_DEP_1) | instskip(SKIP_1) | instid1(VALU_DEP_3)
	v_cndmask_b32_e32 v36, v12, v34, vcc_lo
	v_cmp_u_f32_e32 vcc_lo, v9, v9
	v_cndmask_b32_e32 v12, v35, v9, vcc_lo
	s_delay_alu instid0(VALU_DEP_3) | instskip(NEXT) | instid1(VALU_DEP_2)
	v_cndmask_b32_e32 v9, v36, v9, vcc_lo
	v_cmp_class_f32_e64 s12, v12, 0x1f8
	s_delay_alu instid0(VALU_DEP_2) | instskip(NEXT) | instid1(VALU_DEP_2)
	v_cmp_neq_f32_e32 vcc_lo, v12, v9
	s_or_b32 s13, vcc_lo, s12
	s_delay_alu instid0(SALU_CYCLE_1)
	s_and_saveexec_b32 s12, s13
	s_cbranch_execz .LBB145_111
; %bb.110:                              ;   in Loop: Header=BB145_101 Depth=1
	v_sub_f32_e32 v12, v12, v9
	s_delay_alu instid0(VALU_DEP_1) | instskip(SKIP_1) | instid1(VALU_DEP_2)
	v_mul_f32_e32 v34, 0x3fb8aa3b, v12
	v_cmp_ngt_f32_e32 vcc_lo, 0xc2ce8ed0, v12
	v_fma_f32 v35, 0x3fb8aa3b, v12, -v34
	v_rndne_f32_e32 v36, v34
	s_delay_alu instid0(VALU_DEP_2) | instskip(NEXT) | instid1(VALU_DEP_2)
	v_fmac_f32_e32 v35, 0x32a5705f, v12
	v_sub_f32_e32 v34, v34, v36
	s_delay_alu instid0(VALU_DEP_1) | instskip(SKIP_1) | instid1(VALU_DEP_2)
	v_add_f32_e32 v34, v34, v35
	v_cvt_i32_f32_e32 v35, v36
	v_exp_f32_e32 v34, v34
	s_waitcnt_depctr 0xfff
	v_ldexp_f32 v34, v34, v35
	s_delay_alu instid0(VALU_DEP_1) | instskip(SKIP_1) | instid1(VALU_DEP_2)
	v_cndmask_b32_e32 v34, 0, v34, vcc_lo
	v_cmp_nlt_f32_e32 vcc_lo, 0x42b17218, v12
	v_cndmask_b32_e32 v12, 0x7f800000, v34, vcc_lo
	s_delay_alu instid0(VALU_DEP_1) | instskip(NEXT) | instid1(VALU_DEP_1)
	v_add_f32_e32 v36, 1.0, v12
	v_cvt_f64_f32_e32 v[34:35], v36
	s_delay_alu instid0(VALU_DEP_1) | instskip(SKIP_1) | instid1(VALU_DEP_1)
	v_frexp_exp_i32_f64_e32 v34, v[34:35]
	v_frexp_mant_f32_e32 v35, v36
	v_cmp_gt_f32_e32 vcc_lo, 0x3f2aaaab, v35
	v_add_f32_e32 v35, -1.0, v36
	s_delay_alu instid0(VALU_DEP_1) | instskip(NEXT) | instid1(VALU_DEP_1)
	v_dual_sub_f32 v38, v35, v36 :: v_dual_sub_f32 v35, v12, v35
	v_add_f32_e32 v38, 1.0, v38
	s_delay_alu instid0(VALU_DEP_1) | instskip(SKIP_1) | instid1(VALU_DEP_1)
	v_add_f32_e32 v35, v35, v38
	v_subrev_co_ci_u32_e32 v34, vcc_lo, 0, v34, vcc_lo
	v_sub_nc_u32_e32 v37, 0, v34
	v_cvt_f32_i32_e32 v34, v34
	s_delay_alu instid0(VALU_DEP_2) | instskip(SKIP_1) | instid1(VALU_DEP_2)
	v_ldexp_f32 v36, v36, v37
	v_ldexp_f32 v35, v35, v37
	v_add_f32_e32 v39, 1.0, v36
	v_add_f32_e32 v37, -1.0, v36
	v_cmp_eq_f32_e32 vcc_lo, 0x7f800000, v12
	v_cmp_gt_f32_e64 s13, 0x33800000, |v12|
	s_delay_alu instid0(VALU_DEP_4) | instskip(NEXT) | instid1(VALU_DEP_4)
	v_add_f32_e32 v38, -1.0, v39
	v_add_f32_e32 v40, 1.0, v37
	s_delay_alu instid0(VALU_DEP_3) | instskip(NEXT) | instid1(VALU_DEP_2)
	s_or_b32 vcc_lo, vcc_lo, s13
	v_sub_f32_e32 v38, v36, v38
	s_delay_alu instid0(VALU_DEP_2) | instskip(NEXT) | instid1(VALU_DEP_2)
	v_sub_f32_e32 v36, v36, v40
	v_add_f32_e32 v38, v35, v38
	s_delay_alu instid0(VALU_DEP_2) | instskip(NEXT) | instid1(VALU_DEP_1)
	v_add_f32_e32 v35, v35, v36
	v_add_f32_e32 v41, v37, v35
	s_delay_alu instid0(VALU_DEP_1) | instskip(NEXT) | instid1(VALU_DEP_1)
	v_dual_sub_f32 v37, v37, v41 :: v_dual_add_f32 v40, v39, v38
	v_add_f32_e32 v35, v35, v37
	s_delay_alu instid0(VALU_DEP_2) | instskip(SKIP_1) | instid1(VALU_DEP_1)
	v_rcp_f32_e32 v36, v40
	v_sub_f32_e32 v39, v39, v40
	v_add_f32_e32 v38, v38, v39
	s_waitcnt_depctr 0xfff
	v_mul_f32_e32 v42, v41, v36
	s_delay_alu instid0(VALU_DEP_1) | instskip(NEXT) | instid1(VALU_DEP_1)
	v_mul_f32_e32 v43, v40, v42
	v_fma_f32 v39, v42, v40, -v43
	s_delay_alu instid0(VALU_DEP_1) | instskip(NEXT) | instid1(VALU_DEP_1)
	v_fmac_f32_e32 v39, v42, v38
	v_add_f32_e32 v44, v43, v39
	s_delay_alu instid0(VALU_DEP_1) | instskip(SKIP_1) | instid1(VALU_DEP_2)
	v_sub_f32_e32 v45, v41, v44
	v_sub_f32_e32 v37, v44, v43
	;; [unrolled: 1-line block ×3, first 2 shown]
	s_delay_alu instid0(VALU_DEP_1) | instskip(NEXT) | instid1(VALU_DEP_3)
	v_sub_f32_e32 v41, v41, v44
	v_sub_f32_e32 v37, v37, v39
	s_delay_alu instid0(VALU_DEP_2) | instskip(NEXT) | instid1(VALU_DEP_1)
	v_add_f32_e32 v35, v35, v41
	v_add_f32_e32 v35, v37, v35
	s_delay_alu instid0(VALU_DEP_1) | instskip(NEXT) | instid1(VALU_DEP_1)
	v_add_f32_e32 v37, v45, v35
	v_mul_f32_e32 v39, v36, v37
	s_delay_alu instid0(VALU_DEP_1) | instskip(NEXT) | instid1(VALU_DEP_1)
	v_dual_sub_f32 v44, v45, v37 :: v_dual_mul_f32 v41, v40, v39
	v_add_f32_e32 v35, v35, v44
	s_delay_alu instid0(VALU_DEP_2) | instskip(NEXT) | instid1(VALU_DEP_1)
	v_fma_f32 v40, v39, v40, -v41
	v_fmac_f32_e32 v40, v39, v38
	s_delay_alu instid0(VALU_DEP_1) | instskip(NEXT) | instid1(VALU_DEP_1)
	v_add_f32_e32 v38, v41, v40
	v_sub_f32_e32 v43, v37, v38
	s_delay_alu instid0(VALU_DEP_1) | instskip(NEXT) | instid1(VALU_DEP_1)
	v_sub_f32_e32 v37, v37, v43
	v_sub_f32_e32 v37, v37, v38
	s_delay_alu instid0(VALU_DEP_1) | instskip(SKIP_2) | instid1(VALU_DEP_1)
	v_add_f32_e32 v35, v35, v37
	v_add_f32_e32 v37, v42, v39
	v_sub_f32_e32 v41, v38, v41
	v_sub_f32_e32 v38, v41, v40
	s_delay_alu instid0(VALU_DEP_1) | instskip(NEXT) | instid1(VALU_DEP_1)
	v_dual_add_f32 v35, v38, v35 :: v_dual_sub_f32 v38, v37, v42
	v_add_f32_e32 v35, v43, v35
	s_delay_alu instid0(VALU_DEP_1) | instskip(NEXT) | instid1(VALU_DEP_1)
	v_dual_sub_f32 v38, v39, v38 :: v_dual_mul_f32 v35, v36, v35
	v_add_f32_e32 v35, v38, v35
	s_delay_alu instid0(VALU_DEP_1) | instskip(NEXT) | instid1(VALU_DEP_1)
	v_add_f32_e32 v36, v37, v35
	v_mul_f32_e32 v38, v36, v36
	s_delay_alu instid0(VALU_DEP_1) | instskip(SKIP_1) | instid1(VALU_DEP_2)
	v_fmaak_f32 v39, s10, v38, 0x3ecc95a3
	v_mul_f32_e32 v40, v36, v38
	v_fmaak_f32 v38, v38, v39, 0x3f2aaada
	v_ldexp_f32 v39, v36, 1
	s_delay_alu instid0(VALU_DEP_2) | instskip(SKIP_1) | instid1(VALU_DEP_2)
	v_mul_f32_e32 v38, v40, v38
	v_mul_f32_e32 v40, 0x3f317218, v34
	v_dual_sub_f32 v36, v36, v37 :: v_dual_add_f32 v37, v39, v38
	s_delay_alu instid0(VALU_DEP_1) | instskip(NEXT) | instid1(VALU_DEP_3)
	v_dual_sub_f32 v35, v35, v36 :: v_dual_sub_f32 v36, v37, v39
	v_fma_f32 v39, 0x3f317218, v34, -v40
	s_delay_alu instid0(VALU_DEP_2) | instskip(NEXT) | instid1(VALU_DEP_2)
	v_ldexp_f32 v35, v35, 1
	v_dual_sub_f32 v36, v38, v36 :: v_dual_fmac_f32 v39, 0xb102e308, v34
	s_delay_alu instid0(VALU_DEP_1) | instskip(NEXT) | instid1(VALU_DEP_1)
	v_dual_add_f32 v34, v35, v36 :: v_dual_add_f32 v35, v40, v39
	v_add_f32_e32 v36, v37, v34
	s_delay_alu instid0(VALU_DEP_1) | instskip(NEXT) | instid1(VALU_DEP_1)
	v_add_f32_e32 v38, v35, v36
	v_sub_f32_e32 v41, v38, v35
	s_delay_alu instid0(VALU_DEP_1) | instskip(SKIP_1) | instid1(VALU_DEP_1)
	v_sub_f32_e32 v42, v38, v41
	v_sub_f32_e32 v37, v36, v37
	;; [unrolled: 1-line block ×4, first 2 shown]
	s_delay_alu instid0(VALU_DEP_1) | instskip(NEXT) | instid1(VALU_DEP_1)
	v_dual_sub_f32 v36, v36, v41 :: v_dual_sub_f32 v39, v39, v40
	v_add_f32_e32 v37, v39, v34
	v_sub_f32_e32 v35, v35, v42
	s_delay_alu instid0(VALU_DEP_1) | instskip(NEXT) | instid1(VALU_DEP_3)
	v_add_f32_e32 v35, v36, v35
	v_sub_f32_e32 v36, v37, v39
	s_delay_alu instid0(VALU_DEP_1) | instskip(NEXT) | instid1(VALU_DEP_1)
	v_dual_sub_f32 v34, v34, v36 :: v_dual_add_f32 v35, v37, v35
	v_dual_sub_f32 v37, v37, v36 :: v_dual_add_f32 v40, v38, v35
	s_delay_alu instid0(VALU_DEP_1) | instskip(NEXT) | instid1(VALU_DEP_1)
	v_dual_sub_f32 v36, v40, v38 :: v_dual_sub_f32 v37, v39, v37
	v_dual_sub_f32 v35, v35, v36 :: v_dual_add_f32 v34, v34, v37
	s_delay_alu instid0(VALU_DEP_1) | instskip(NEXT) | instid1(VALU_DEP_1)
	v_add_f32_e32 v34, v34, v35
	v_add_f32_e32 v34, v40, v34
	s_delay_alu instid0(VALU_DEP_1) | instskip(NEXT) | instid1(VALU_DEP_1)
	v_cndmask_b32_e32 v12, v34, v12, vcc_lo
	v_add_f32_e32 v34, v9, v12
.LBB145_111:                            ;   in Loop: Header=BB145_101 Depth=1
	s_or_b32 exec_lo, exec_lo, s12
	s_delay_alu instid0(VALU_DEP_1)
	v_mov_b32_e32 v9, v34
	v_mov_b32_e32 v12, v34
.LBB145_112:                            ;   in Loop: Header=BB145_101 Depth=1
	s_or_b32 exec_lo, exec_lo, s11
	s_waitcnt lgkmcnt(0)
	ds_bpermute_b32 v34, v25, v9
	s_mov_b32 s11, exec_lo
	v_cmpx_le_u32_e64 v26, v11
	s_cbranch_execz .LBB145_116
; %bb.113:                              ;   in Loop: Header=BB145_101 Depth=1
	v_max_f32_e32 v9, v12, v12
	s_waitcnt lgkmcnt(0)
	v_max_f32_e32 v35, v34, v34
	v_cmp_u_f32_e32 vcc_lo, v34, v34
	s_delay_alu instid0(VALU_DEP_2) | instskip(SKIP_1) | instid1(VALU_DEP_1)
	v_min_f32_e32 v36, v35, v9
	v_max_f32_e32 v9, v35, v9
	v_cndmask_b32_e32 v9, v9, v34, vcc_lo
	s_delay_alu instid0(VALU_DEP_3) | instskip(SKIP_1) | instid1(VALU_DEP_2)
	v_cndmask_b32_e32 v35, v36, v34, vcc_lo
	v_cmp_u_f32_e32 vcc_lo, v12, v12
	v_cndmask_b32_e32 v35, v35, v12, vcc_lo
	s_delay_alu instid0(VALU_DEP_4) | instskip(NEXT) | instid1(VALU_DEP_2)
	v_cndmask_b32_e32 v9, v9, v12, vcc_lo
	v_cmp_class_f32_e64 s12, v35, 0x1f8
	s_delay_alu instid0(VALU_DEP_2) | instskip(NEXT) | instid1(VALU_DEP_2)
	v_cmp_neq_f32_e32 vcc_lo, v35, v9
	s_or_b32 s13, vcc_lo, s12
	s_delay_alu instid0(SALU_CYCLE_1)
	s_and_saveexec_b32 s12, s13
	s_cbranch_execz .LBB145_115
; %bb.114:                              ;   in Loop: Header=BB145_101 Depth=1
	v_sub_f32_e32 v12, v35, v9
	s_delay_alu instid0(VALU_DEP_1) | instskip(SKIP_1) | instid1(VALU_DEP_2)
	v_mul_f32_e32 v34, 0x3fb8aa3b, v12
	v_cmp_ngt_f32_e32 vcc_lo, 0xc2ce8ed0, v12
	v_fma_f32 v35, 0x3fb8aa3b, v12, -v34
	v_rndne_f32_e32 v36, v34
	s_delay_alu instid0(VALU_DEP_2) | instskip(NEXT) | instid1(VALU_DEP_2)
	v_fmac_f32_e32 v35, 0x32a5705f, v12
	v_sub_f32_e32 v34, v34, v36
	s_delay_alu instid0(VALU_DEP_1) | instskip(SKIP_1) | instid1(VALU_DEP_2)
	v_add_f32_e32 v34, v34, v35
	v_cvt_i32_f32_e32 v35, v36
	v_exp_f32_e32 v34, v34
	s_waitcnt_depctr 0xfff
	v_ldexp_f32 v34, v34, v35
	s_delay_alu instid0(VALU_DEP_1) | instskip(SKIP_1) | instid1(VALU_DEP_2)
	v_cndmask_b32_e32 v34, 0, v34, vcc_lo
	v_cmp_nlt_f32_e32 vcc_lo, 0x42b17218, v12
	v_cndmask_b32_e32 v12, 0x7f800000, v34, vcc_lo
	s_delay_alu instid0(VALU_DEP_1) | instskip(NEXT) | instid1(VALU_DEP_1)
	v_add_f32_e32 v36, 1.0, v12
	v_cvt_f64_f32_e32 v[34:35], v36
	s_delay_alu instid0(VALU_DEP_1) | instskip(SKIP_1) | instid1(VALU_DEP_1)
	v_frexp_exp_i32_f64_e32 v34, v[34:35]
	v_frexp_mant_f32_e32 v35, v36
	v_cmp_gt_f32_e32 vcc_lo, 0x3f2aaaab, v35
	v_add_f32_e32 v35, -1.0, v36
	s_delay_alu instid0(VALU_DEP_1) | instskip(NEXT) | instid1(VALU_DEP_1)
	v_dual_sub_f32 v38, v35, v36 :: v_dual_sub_f32 v35, v12, v35
	v_add_f32_e32 v38, 1.0, v38
	s_delay_alu instid0(VALU_DEP_1) | instskip(SKIP_1) | instid1(VALU_DEP_1)
	v_add_f32_e32 v35, v35, v38
	v_subrev_co_ci_u32_e32 v34, vcc_lo, 0, v34, vcc_lo
	v_sub_nc_u32_e32 v37, 0, v34
	v_cvt_f32_i32_e32 v34, v34
	s_delay_alu instid0(VALU_DEP_2) | instskip(SKIP_1) | instid1(VALU_DEP_2)
	v_ldexp_f32 v36, v36, v37
	v_ldexp_f32 v35, v35, v37
	v_add_f32_e32 v39, 1.0, v36
	v_add_f32_e32 v37, -1.0, v36
	v_cmp_eq_f32_e32 vcc_lo, 0x7f800000, v12
	v_cmp_gt_f32_e64 s13, 0x33800000, |v12|
	s_delay_alu instid0(VALU_DEP_4) | instskip(NEXT) | instid1(VALU_DEP_4)
	v_add_f32_e32 v38, -1.0, v39
	v_add_f32_e32 v40, 1.0, v37
	s_delay_alu instid0(VALU_DEP_3) | instskip(NEXT) | instid1(VALU_DEP_2)
	s_or_b32 vcc_lo, vcc_lo, s13
	v_sub_f32_e32 v38, v36, v38
	s_delay_alu instid0(VALU_DEP_2) | instskip(NEXT) | instid1(VALU_DEP_2)
	v_sub_f32_e32 v36, v36, v40
	v_add_f32_e32 v38, v35, v38
	s_delay_alu instid0(VALU_DEP_2) | instskip(NEXT) | instid1(VALU_DEP_1)
	v_add_f32_e32 v35, v35, v36
	v_add_f32_e32 v41, v37, v35
	s_delay_alu instid0(VALU_DEP_1) | instskip(NEXT) | instid1(VALU_DEP_1)
	v_dual_sub_f32 v37, v37, v41 :: v_dual_add_f32 v40, v39, v38
	v_add_f32_e32 v35, v35, v37
	s_delay_alu instid0(VALU_DEP_2) | instskip(SKIP_1) | instid1(VALU_DEP_1)
	v_rcp_f32_e32 v36, v40
	v_sub_f32_e32 v39, v39, v40
	v_add_f32_e32 v38, v38, v39
	s_waitcnt_depctr 0xfff
	v_mul_f32_e32 v42, v41, v36
	s_delay_alu instid0(VALU_DEP_1) | instskip(NEXT) | instid1(VALU_DEP_1)
	v_mul_f32_e32 v43, v40, v42
	v_fma_f32 v39, v42, v40, -v43
	s_delay_alu instid0(VALU_DEP_1) | instskip(NEXT) | instid1(VALU_DEP_1)
	v_fmac_f32_e32 v39, v42, v38
	v_add_f32_e32 v44, v43, v39
	s_delay_alu instid0(VALU_DEP_1) | instskip(SKIP_1) | instid1(VALU_DEP_2)
	v_sub_f32_e32 v45, v41, v44
	v_sub_f32_e32 v37, v44, v43
	;; [unrolled: 1-line block ×3, first 2 shown]
	s_delay_alu instid0(VALU_DEP_1) | instskip(NEXT) | instid1(VALU_DEP_3)
	v_sub_f32_e32 v41, v41, v44
	v_sub_f32_e32 v37, v37, v39
	s_delay_alu instid0(VALU_DEP_2) | instskip(NEXT) | instid1(VALU_DEP_1)
	v_add_f32_e32 v35, v35, v41
	v_add_f32_e32 v35, v37, v35
	s_delay_alu instid0(VALU_DEP_1) | instskip(NEXT) | instid1(VALU_DEP_1)
	v_add_f32_e32 v37, v45, v35
	v_mul_f32_e32 v39, v36, v37
	s_delay_alu instid0(VALU_DEP_1) | instskip(NEXT) | instid1(VALU_DEP_1)
	v_dual_sub_f32 v44, v45, v37 :: v_dual_mul_f32 v41, v40, v39
	v_add_f32_e32 v35, v35, v44
	s_delay_alu instid0(VALU_DEP_2) | instskip(NEXT) | instid1(VALU_DEP_1)
	v_fma_f32 v40, v39, v40, -v41
	v_fmac_f32_e32 v40, v39, v38
	s_delay_alu instid0(VALU_DEP_1) | instskip(NEXT) | instid1(VALU_DEP_1)
	v_add_f32_e32 v38, v41, v40
	v_sub_f32_e32 v43, v37, v38
	s_delay_alu instid0(VALU_DEP_1) | instskip(NEXT) | instid1(VALU_DEP_1)
	v_sub_f32_e32 v37, v37, v43
	v_sub_f32_e32 v37, v37, v38
	s_delay_alu instid0(VALU_DEP_1) | instskip(SKIP_2) | instid1(VALU_DEP_1)
	v_add_f32_e32 v35, v35, v37
	v_add_f32_e32 v37, v42, v39
	v_sub_f32_e32 v41, v38, v41
	v_sub_f32_e32 v38, v41, v40
	s_delay_alu instid0(VALU_DEP_1) | instskip(NEXT) | instid1(VALU_DEP_1)
	v_dual_add_f32 v35, v38, v35 :: v_dual_sub_f32 v38, v37, v42
	v_add_f32_e32 v35, v43, v35
	s_delay_alu instid0(VALU_DEP_1) | instskip(NEXT) | instid1(VALU_DEP_1)
	v_dual_sub_f32 v38, v39, v38 :: v_dual_mul_f32 v35, v36, v35
	v_add_f32_e32 v35, v38, v35
	s_delay_alu instid0(VALU_DEP_1) | instskip(NEXT) | instid1(VALU_DEP_1)
	v_add_f32_e32 v36, v37, v35
	v_mul_f32_e32 v38, v36, v36
	s_delay_alu instid0(VALU_DEP_1) | instskip(SKIP_1) | instid1(VALU_DEP_2)
	v_fmaak_f32 v39, s10, v38, 0x3ecc95a3
	v_mul_f32_e32 v40, v36, v38
	v_fmaak_f32 v38, v38, v39, 0x3f2aaada
	v_ldexp_f32 v39, v36, 1
	s_delay_alu instid0(VALU_DEP_2) | instskip(SKIP_1) | instid1(VALU_DEP_2)
	v_mul_f32_e32 v38, v40, v38
	v_mul_f32_e32 v40, 0x3f317218, v34
	v_dual_sub_f32 v36, v36, v37 :: v_dual_add_f32 v37, v39, v38
	s_delay_alu instid0(VALU_DEP_1) | instskip(NEXT) | instid1(VALU_DEP_3)
	v_dual_sub_f32 v35, v35, v36 :: v_dual_sub_f32 v36, v37, v39
	v_fma_f32 v39, 0x3f317218, v34, -v40
	s_delay_alu instid0(VALU_DEP_2) | instskip(NEXT) | instid1(VALU_DEP_2)
	v_ldexp_f32 v35, v35, 1
	v_dual_sub_f32 v36, v38, v36 :: v_dual_fmac_f32 v39, 0xb102e308, v34
	s_delay_alu instid0(VALU_DEP_1) | instskip(NEXT) | instid1(VALU_DEP_1)
	v_dual_add_f32 v34, v35, v36 :: v_dual_add_f32 v35, v40, v39
	v_add_f32_e32 v36, v37, v34
	s_delay_alu instid0(VALU_DEP_1) | instskip(NEXT) | instid1(VALU_DEP_1)
	v_add_f32_e32 v38, v35, v36
	v_sub_f32_e32 v41, v38, v35
	s_delay_alu instid0(VALU_DEP_1) | instskip(SKIP_1) | instid1(VALU_DEP_1)
	v_sub_f32_e32 v42, v38, v41
	v_sub_f32_e32 v37, v36, v37
	;; [unrolled: 1-line block ×4, first 2 shown]
	s_delay_alu instid0(VALU_DEP_1) | instskip(NEXT) | instid1(VALU_DEP_1)
	v_dual_sub_f32 v36, v36, v41 :: v_dual_sub_f32 v39, v39, v40
	v_add_f32_e32 v37, v39, v34
	v_sub_f32_e32 v35, v35, v42
	s_delay_alu instid0(VALU_DEP_1) | instskip(NEXT) | instid1(VALU_DEP_3)
	v_add_f32_e32 v35, v36, v35
	v_sub_f32_e32 v36, v37, v39
	s_delay_alu instid0(VALU_DEP_1) | instskip(NEXT) | instid1(VALU_DEP_1)
	v_dual_sub_f32 v34, v34, v36 :: v_dual_add_f32 v35, v37, v35
	v_dual_sub_f32 v37, v37, v36 :: v_dual_add_f32 v40, v38, v35
	s_delay_alu instid0(VALU_DEP_1) | instskip(NEXT) | instid1(VALU_DEP_1)
	v_dual_sub_f32 v36, v40, v38 :: v_dual_sub_f32 v37, v39, v37
	v_dual_sub_f32 v35, v35, v36 :: v_dual_add_f32 v34, v34, v37
	s_delay_alu instid0(VALU_DEP_1) | instskip(NEXT) | instid1(VALU_DEP_1)
	v_add_f32_e32 v34, v34, v35
	v_add_f32_e32 v34, v40, v34
	s_delay_alu instid0(VALU_DEP_1) | instskip(NEXT) | instid1(VALU_DEP_1)
	v_cndmask_b32_e32 v12, v34, v12, vcc_lo
	v_add_f32_e32 v34, v9, v12
.LBB145_115:                            ;   in Loop: Header=BB145_101 Depth=1
	s_or_b32 exec_lo, exec_lo, s12
	s_delay_alu instid0(VALU_DEP_1)
	v_mov_b32_e32 v9, v34
	v_mov_b32_e32 v12, v34
.LBB145_116:                            ;   in Loop: Header=BB145_101 Depth=1
	s_or_b32 exec_lo, exec_lo, s11
	s_waitcnt lgkmcnt(0)
	ds_bpermute_b32 v34, v27, v9
	s_mov_b32 s11, exec_lo
	v_cmpx_le_u32_e64 v28, v11
	s_cbranch_execz .LBB145_120
; %bb.117:                              ;   in Loop: Header=BB145_101 Depth=1
	v_max_f32_e32 v9, v12, v12
	s_waitcnt lgkmcnt(0)
	v_max_f32_e32 v35, v34, v34
	v_cmp_u_f32_e32 vcc_lo, v34, v34
	s_delay_alu instid0(VALU_DEP_2) | instskip(SKIP_1) | instid1(VALU_DEP_1)
	v_min_f32_e32 v36, v35, v9
	v_max_f32_e32 v9, v35, v9
	v_cndmask_b32_e32 v9, v9, v34, vcc_lo
	s_delay_alu instid0(VALU_DEP_3) | instskip(SKIP_1) | instid1(VALU_DEP_2)
	v_cndmask_b32_e32 v35, v36, v34, vcc_lo
	v_cmp_u_f32_e32 vcc_lo, v12, v12
	v_cndmask_b32_e32 v35, v35, v12, vcc_lo
	s_delay_alu instid0(VALU_DEP_4) | instskip(NEXT) | instid1(VALU_DEP_2)
	v_cndmask_b32_e32 v9, v9, v12, vcc_lo
	v_cmp_class_f32_e64 s12, v35, 0x1f8
	s_delay_alu instid0(VALU_DEP_2) | instskip(NEXT) | instid1(VALU_DEP_2)
	v_cmp_neq_f32_e32 vcc_lo, v35, v9
	s_or_b32 s13, vcc_lo, s12
	s_delay_alu instid0(SALU_CYCLE_1)
	s_and_saveexec_b32 s12, s13
	s_cbranch_execz .LBB145_119
; %bb.118:                              ;   in Loop: Header=BB145_101 Depth=1
	v_sub_f32_e32 v12, v35, v9
	s_delay_alu instid0(VALU_DEP_1) | instskip(SKIP_1) | instid1(VALU_DEP_2)
	v_mul_f32_e32 v34, 0x3fb8aa3b, v12
	v_cmp_ngt_f32_e32 vcc_lo, 0xc2ce8ed0, v12
	v_fma_f32 v35, 0x3fb8aa3b, v12, -v34
	v_rndne_f32_e32 v36, v34
	s_delay_alu instid0(VALU_DEP_2) | instskip(NEXT) | instid1(VALU_DEP_2)
	v_fmac_f32_e32 v35, 0x32a5705f, v12
	v_sub_f32_e32 v34, v34, v36
	s_delay_alu instid0(VALU_DEP_1) | instskip(SKIP_1) | instid1(VALU_DEP_2)
	v_add_f32_e32 v34, v34, v35
	v_cvt_i32_f32_e32 v35, v36
	v_exp_f32_e32 v34, v34
	s_waitcnt_depctr 0xfff
	v_ldexp_f32 v34, v34, v35
	s_delay_alu instid0(VALU_DEP_1) | instskip(SKIP_1) | instid1(VALU_DEP_2)
	v_cndmask_b32_e32 v34, 0, v34, vcc_lo
	v_cmp_nlt_f32_e32 vcc_lo, 0x42b17218, v12
	v_cndmask_b32_e32 v12, 0x7f800000, v34, vcc_lo
	s_delay_alu instid0(VALU_DEP_1) | instskip(NEXT) | instid1(VALU_DEP_1)
	v_add_f32_e32 v36, 1.0, v12
	v_cvt_f64_f32_e32 v[34:35], v36
	s_delay_alu instid0(VALU_DEP_1) | instskip(SKIP_1) | instid1(VALU_DEP_1)
	v_frexp_exp_i32_f64_e32 v34, v[34:35]
	v_frexp_mant_f32_e32 v35, v36
	v_cmp_gt_f32_e32 vcc_lo, 0x3f2aaaab, v35
	v_add_f32_e32 v35, -1.0, v36
	s_delay_alu instid0(VALU_DEP_1) | instskip(NEXT) | instid1(VALU_DEP_1)
	v_dual_sub_f32 v38, v35, v36 :: v_dual_sub_f32 v35, v12, v35
	v_add_f32_e32 v38, 1.0, v38
	s_delay_alu instid0(VALU_DEP_1) | instskip(SKIP_1) | instid1(VALU_DEP_1)
	v_add_f32_e32 v35, v35, v38
	v_subrev_co_ci_u32_e32 v34, vcc_lo, 0, v34, vcc_lo
	v_sub_nc_u32_e32 v37, 0, v34
	v_cvt_f32_i32_e32 v34, v34
	s_delay_alu instid0(VALU_DEP_2) | instskip(SKIP_1) | instid1(VALU_DEP_2)
	v_ldexp_f32 v36, v36, v37
	v_ldexp_f32 v35, v35, v37
	v_add_f32_e32 v39, 1.0, v36
	v_add_f32_e32 v37, -1.0, v36
	v_cmp_eq_f32_e32 vcc_lo, 0x7f800000, v12
	v_cmp_gt_f32_e64 s13, 0x33800000, |v12|
	s_delay_alu instid0(VALU_DEP_4) | instskip(NEXT) | instid1(VALU_DEP_4)
	v_add_f32_e32 v38, -1.0, v39
	v_add_f32_e32 v40, 1.0, v37
	s_delay_alu instid0(VALU_DEP_3) | instskip(NEXT) | instid1(VALU_DEP_2)
	s_or_b32 vcc_lo, vcc_lo, s13
	v_sub_f32_e32 v38, v36, v38
	s_delay_alu instid0(VALU_DEP_2) | instskip(NEXT) | instid1(VALU_DEP_2)
	v_sub_f32_e32 v36, v36, v40
	v_add_f32_e32 v38, v35, v38
	s_delay_alu instid0(VALU_DEP_2) | instskip(NEXT) | instid1(VALU_DEP_1)
	v_add_f32_e32 v35, v35, v36
	v_add_f32_e32 v41, v37, v35
	s_delay_alu instid0(VALU_DEP_1) | instskip(NEXT) | instid1(VALU_DEP_1)
	v_dual_sub_f32 v37, v37, v41 :: v_dual_add_f32 v40, v39, v38
	v_add_f32_e32 v35, v35, v37
	s_delay_alu instid0(VALU_DEP_2) | instskip(SKIP_1) | instid1(VALU_DEP_1)
	v_rcp_f32_e32 v36, v40
	v_sub_f32_e32 v39, v39, v40
	v_add_f32_e32 v38, v38, v39
	s_waitcnt_depctr 0xfff
	v_mul_f32_e32 v42, v41, v36
	s_delay_alu instid0(VALU_DEP_1) | instskip(NEXT) | instid1(VALU_DEP_1)
	v_mul_f32_e32 v43, v40, v42
	v_fma_f32 v39, v42, v40, -v43
	s_delay_alu instid0(VALU_DEP_1) | instskip(NEXT) | instid1(VALU_DEP_1)
	v_fmac_f32_e32 v39, v42, v38
	v_add_f32_e32 v44, v43, v39
	s_delay_alu instid0(VALU_DEP_1) | instskip(SKIP_1) | instid1(VALU_DEP_2)
	v_sub_f32_e32 v45, v41, v44
	v_sub_f32_e32 v37, v44, v43
	v_sub_f32_e32 v41, v41, v45
	s_delay_alu instid0(VALU_DEP_1) | instskip(NEXT) | instid1(VALU_DEP_3)
	v_sub_f32_e32 v41, v41, v44
	v_sub_f32_e32 v37, v37, v39
	s_delay_alu instid0(VALU_DEP_2) | instskip(NEXT) | instid1(VALU_DEP_1)
	v_add_f32_e32 v35, v35, v41
	v_add_f32_e32 v35, v37, v35
	s_delay_alu instid0(VALU_DEP_1) | instskip(NEXT) | instid1(VALU_DEP_1)
	v_add_f32_e32 v37, v45, v35
	v_mul_f32_e32 v39, v36, v37
	s_delay_alu instid0(VALU_DEP_1) | instskip(NEXT) | instid1(VALU_DEP_1)
	v_dual_sub_f32 v44, v45, v37 :: v_dual_mul_f32 v41, v40, v39
	v_add_f32_e32 v35, v35, v44
	s_delay_alu instid0(VALU_DEP_2) | instskip(NEXT) | instid1(VALU_DEP_1)
	v_fma_f32 v40, v39, v40, -v41
	v_fmac_f32_e32 v40, v39, v38
	s_delay_alu instid0(VALU_DEP_1) | instskip(NEXT) | instid1(VALU_DEP_1)
	v_add_f32_e32 v38, v41, v40
	v_sub_f32_e32 v43, v37, v38
	s_delay_alu instid0(VALU_DEP_1) | instskip(NEXT) | instid1(VALU_DEP_1)
	v_sub_f32_e32 v37, v37, v43
	v_sub_f32_e32 v37, v37, v38
	s_delay_alu instid0(VALU_DEP_1) | instskip(SKIP_2) | instid1(VALU_DEP_1)
	v_add_f32_e32 v35, v35, v37
	v_add_f32_e32 v37, v42, v39
	v_sub_f32_e32 v41, v38, v41
	v_sub_f32_e32 v38, v41, v40
	s_delay_alu instid0(VALU_DEP_1) | instskip(NEXT) | instid1(VALU_DEP_1)
	v_dual_add_f32 v35, v38, v35 :: v_dual_sub_f32 v38, v37, v42
	v_add_f32_e32 v35, v43, v35
	s_delay_alu instid0(VALU_DEP_1) | instskip(NEXT) | instid1(VALU_DEP_1)
	v_dual_sub_f32 v38, v39, v38 :: v_dual_mul_f32 v35, v36, v35
	v_add_f32_e32 v35, v38, v35
	s_delay_alu instid0(VALU_DEP_1) | instskip(NEXT) | instid1(VALU_DEP_1)
	v_add_f32_e32 v36, v37, v35
	v_mul_f32_e32 v38, v36, v36
	s_delay_alu instid0(VALU_DEP_1) | instskip(SKIP_1) | instid1(VALU_DEP_2)
	v_fmaak_f32 v39, s10, v38, 0x3ecc95a3
	v_mul_f32_e32 v40, v36, v38
	v_fmaak_f32 v38, v38, v39, 0x3f2aaada
	v_ldexp_f32 v39, v36, 1
	s_delay_alu instid0(VALU_DEP_2) | instskip(SKIP_1) | instid1(VALU_DEP_2)
	v_mul_f32_e32 v38, v40, v38
	v_mul_f32_e32 v40, 0x3f317218, v34
	v_dual_sub_f32 v36, v36, v37 :: v_dual_add_f32 v37, v39, v38
	s_delay_alu instid0(VALU_DEP_1) | instskip(NEXT) | instid1(VALU_DEP_3)
	v_dual_sub_f32 v35, v35, v36 :: v_dual_sub_f32 v36, v37, v39
	v_fma_f32 v39, 0x3f317218, v34, -v40
	s_delay_alu instid0(VALU_DEP_2) | instskip(NEXT) | instid1(VALU_DEP_2)
	v_ldexp_f32 v35, v35, 1
	v_dual_sub_f32 v36, v38, v36 :: v_dual_fmac_f32 v39, 0xb102e308, v34
	s_delay_alu instid0(VALU_DEP_1) | instskip(NEXT) | instid1(VALU_DEP_1)
	v_dual_add_f32 v34, v35, v36 :: v_dual_add_f32 v35, v40, v39
	v_add_f32_e32 v36, v37, v34
	s_delay_alu instid0(VALU_DEP_1) | instskip(NEXT) | instid1(VALU_DEP_1)
	v_add_f32_e32 v38, v35, v36
	v_sub_f32_e32 v41, v38, v35
	s_delay_alu instid0(VALU_DEP_1) | instskip(SKIP_1) | instid1(VALU_DEP_1)
	v_sub_f32_e32 v42, v38, v41
	v_sub_f32_e32 v37, v36, v37
	;; [unrolled: 1-line block ×4, first 2 shown]
	s_delay_alu instid0(VALU_DEP_1) | instskip(NEXT) | instid1(VALU_DEP_1)
	v_dual_sub_f32 v36, v36, v41 :: v_dual_sub_f32 v39, v39, v40
	v_add_f32_e32 v37, v39, v34
	v_sub_f32_e32 v35, v35, v42
	s_delay_alu instid0(VALU_DEP_1) | instskip(NEXT) | instid1(VALU_DEP_3)
	v_add_f32_e32 v35, v36, v35
	v_sub_f32_e32 v36, v37, v39
	s_delay_alu instid0(VALU_DEP_1) | instskip(NEXT) | instid1(VALU_DEP_1)
	v_dual_sub_f32 v34, v34, v36 :: v_dual_add_f32 v35, v37, v35
	v_dual_sub_f32 v37, v37, v36 :: v_dual_add_f32 v40, v38, v35
	s_delay_alu instid0(VALU_DEP_1) | instskip(NEXT) | instid1(VALU_DEP_1)
	v_dual_sub_f32 v36, v40, v38 :: v_dual_sub_f32 v37, v39, v37
	v_dual_sub_f32 v35, v35, v36 :: v_dual_add_f32 v34, v34, v37
	s_delay_alu instid0(VALU_DEP_1) | instskip(NEXT) | instid1(VALU_DEP_1)
	v_add_f32_e32 v34, v34, v35
	v_add_f32_e32 v34, v40, v34
	s_delay_alu instid0(VALU_DEP_1) | instskip(NEXT) | instid1(VALU_DEP_1)
	v_cndmask_b32_e32 v12, v34, v12, vcc_lo
	v_add_f32_e32 v34, v9, v12
.LBB145_119:                            ;   in Loop: Header=BB145_101 Depth=1
	s_or_b32 exec_lo, exec_lo, s12
	s_delay_alu instid0(VALU_DEP_1)
	v_mov_b32_e32 v9, v34
	v_mov_b32_e32 v12, v34
.LBB145_120:                            ;   in Loop: Header=BB145_101 Depth=1
	s_or_b32 exec_lo, exec_lo, s11
	s_waitcnt lgkmcnt(0)
	ds_bpermute_b32 v34, v29, v9
	s_mov_b32 s11, exec_lo
	v_cmpx_le_u32_e64 v30, v11
	s_cbranch_execz .LBB145_124
; %bb.121:                              ;   in Loop: Header=BB145_101 Depth=1
	v_max_f32_e32 v9, v12, v12
	s_waitcnt lgkmcnt(0)
	v_max_f32_e32 v35, v34, v34
	v_cmp_u_f32_e32 vcc_lo, v34, v34
	s_delay_alu instid0(VALU_DEP_2) | instskip(SKIP_1) | instid1(VALU_DEP_1)
	v_min_f32_e32 v36, v35, v9
	v_max_f32_e32 v9, v35, v9
	v_cndmask_b32_e32 v9, v9, v34, vcc_lo
	s_delay_alu instid0(VALU_DEP_3) | instskip(SKIP_1) | instid1(VALU_DEP_2)
	v_cndmask_b32_e32 v35, v36, v34, vcc_lo
	v_cmp_u_f32_e32 vcc_lo, v12, v12
	v_cndmask_b32_e32 v35, v35, v12, vcc_lo
	s_delay_alu instid0(VALU_DEP_4) | instskip(NEXT) | instid1(VALU_DEP_2)
	v_cndmask_b32_e32 v9, v9, v12, vcc_lo
	v_cmp_class_f32_e64 s12, v35, 0x1f8
	s_delay_alu instid0(VALU_DEP_2) | instskip(NEXT) | instid1(VALU_DEP_2)
	v_cmp_neq_f32_e32 vcc_lo, v35, v9
	s_or_b32 s13, vcc_lo, s12
	s_delay_alu instid0(SALU_CYCLE_1)
	s_and_saveexec_b32 s12, s13
	s_cbranch_execz .LBB145_123
; %bb.122:                              ;   in Loop: Header=BB145_101 Depth=1
	v_sub_f32_e32 v12, v35, v9
	s_delay_alu instid0(VALU_DEP_1) | instskip(SKIP_1) | instid1(VALU_DEP_2)
	v_mul_f32_e32 v34, 0x3fb8aa3b, v12
	v_cmp_ngt_f32_e32 vcc_lo, 0xc2ce8ed0, v12
	v_fma_f32 v35, 0x3fb8aa3b, v12, -v34
	v_rndne_f32_e32 v36, v34
	s_delay_alu instid0(VALU_DEP_2) | instskip(NEXT) | instid1(VALU_DEP_2)
	v_fmac_f32_e32 v35, 0x32a5705f, v12
	v_sub_f32_e32 v34, v34, v36
	s_delay_alu instid0(VALU_DEP_1) | instskip(SKIP_1) | instid1(VALU_DEP_2)
	v_add_f32_e32 v34, v34, v35
	v_cvt_i32_f32_e32 v35, v36
	v_exp_f32_e32 v34, v34
	s_waitcnt_depctr 0xfff
	v_ldexp_f32 v34, v34, v35
	s_delay_alu instid0(VALU_DEP_1) | instskip(SKIP_1) | instid1(VALU_DEP_2)
	v_cndmask_b32_e32 v34, 0, v34, vcc_lo
	v_cmp_nlt_f32_e32 vcc_lo, 0x42b17218, v12
	v_cndmask_b32_e32 v12, 0x7f800000, v34, vcc_lo
	s_delay_alu instid0(VALU_DEP_1) | instskip(NEXT) | instid1(VALU_DEP_1)
	v_add_f32_e32 v36, 1.0, v12
	v_cvt_f64_f32_e32 v[34:35], v36
	s_delay_alu instid0(VALU_DEP_1) | instskip(SKIP_1) | instid1(VALU_DEP_1)
	v_frexp_exp_i32_f64_e32 v34, v[34:35]
	v_frexp_mant_f32_e32 v35, v36
	v_cmp_gt_f32_e32 vcc_lo, 0x3f2aaaab, v35
	v_add_f32_e32 v35, -1.0, v36
	s_delay_alu instid0(VALU_DEP_1) | instskip(NEXT) | instid1(VALU_DEP_1)
	v_dual_sub_f32 v38, v35, v36 :: v_dual_sub_f32 v35, v12, v35
	v_add_f32_e32 v38, 1.0, v38
	s_delay_alu instid0(VALU_DEP_1) | instskip(SKIP_1) | instid1(VALU_DEP_1)
	v_add_f32_e32 v35, v35, v38
	v_subrev_co_ci_u32_e32 v34, vcc_lo, 0, v34, vcc_lo
	v_sub_nc_u32_e32 v37, 0, v34
	v_cvt_f32_i32_e32 v34, v34
	s_delay_alu instid0(VALU_DEP_2) | instskip(SKIP_1) | instid1(VALU_DEP_2)
	v_ldexp_f32 v36, v36, v37
	v_ldexp_f32 v35, v35, v37
	v_add_f32_e32 v39, 1.0, v36
	v_add_f32_e32 v37, -1.0, v36
	v_cmp_eq_f32_e32 vcc_lo, 0x7f800000, v12
	v_cmp_gt_f32_e64 s13, 0x33800000, |v12|
	s_delay_alu instid0(VALU_DEP_4) | instskip(NEXT) | instid1(VALU_DEP_4)
	v_add_f32_e32 v38, -1.0, v39
	v_add_f32_e32 v40, 1.0, v37
	s_delay_alu instid0(VALU_DEP_3) | instskip(NEXT) | instid1(VALU_DEP_2)
	s_or_b32 vcc_lo, vcc_lo, s13
	v_sub_f32_e32 v38, v36, v38
	s_delay_alu instid0(VALU_DEP_2) | instskip(NEXT) | instid1(VALU_DEP_2)
	v_sub_f32_e32 v36, v36, v40
	v_add_f32_e32 v38, v35, v38
	s_delay_alu instid0(VALU_DEP_2) | instskip(NEXT) | instid1(VALU_DEP_1)
	v_add_f32_e32 v35, v35, v36
	v_add_f32_e32 v41, v37, v35
	s_delay_alu instid0(VALU_DEP_1) | instskip(NEXT) | instid1(VALU_DEP_1)
	v_dual_sub_f32 v37, v37, v41 :: v_dual_add_f32 v40, v39, v38
	v_add_f32_e32 v35, v35, v37
	s_delay_alu instid0(VALU_DEP_2) | instskip(SKIP_1) | instid1(VALU_DEP_1)
	v_rcp_f32_e32 v36, v40
	v_sub_f32_e32 v39, v39, v40
	v_add_f32_e32 v38, v38, v39
	s_waitcnt_depctr 0xfff
	v_mul_f32_e32 v42, v41, v36
	s_delay_alu instid0(VALU_DEP_1) | instskip(NEXT) | instid1(VALU_DEP_1)
	v_mul_f32_e32 v43, v40, v42
	v_fma_f32 v39, v42, v40, -v43
	s_delay_alu instid0(VALU_DEP_1) | instskip(NEXT) | instid1(VALU_DEP_1)
	v_fmac_f32_e32 v39, v42, v38
	v_add_f32_e32 v44, v43, v39
	s_delay_alu instid0(VALU_DEP_1) | instskip(SKIP_1) | instid1(VALU_DEP_2)
	v_sub_f32_e32 v45, v41, v44
	v_sub_f32_e32 v37, v44, v43
	;; [unrolled: 1-line block ×3, first 2 shown]
	s_delay_alu instid0(VALU_DEP_1) | instskip(NEXT) | instid1(VALU_DEP_3)
	v_sub_f32_e32 v41, v41, v44
	v_sub_f32_e32 v37, v37, v39
	s_delay_alu instid0(VALU_DEP_2) | instskip(NEXT) | instid1(VALU_DEP_1)
	v_add_f32_e32 v35, v35, v41
	v_add_f32_e32 v35, v37, v35
	s_delay_alu instid0(VALU_DEP_1) | instskip(NEXT) | instid1(VALU_DEP_1)
	v_add_f32_e32 v37, v45, v35
	v_mul_f32_e32 v39, v36, v37
	s_delay_alu instid0(VALU_DEP_1) | instskip(NEXT) | instid1(VALU_DEP_1)
	v_dual_sub_f32 v44, v45, v37 :: v_dual_mul_f32 v41, v40, v39
	v_add_f32_e32 v35, v35, v44
	s_delay_alu instid0(VALU_DEP_2) | instskip(NEXT) | instid1(VALU_DEP_1)
	v_fma_f32 v40, v39, v40, -v41
	v_fmac_f32_e32 v40, v39, v38
	s_delay_alu instid0(VALU_DEP_1) | instskip(NEXT) | instid1(VALU_DEP_1)
	v_add_f32_e32 v38, v41, v40
	v_sub_f32_e32 v43, v37, v38
	s_delay_alu instid0(VALU_DEP_1) | instskip(NEXT) | instid1(VALU_DEP_1)
	v_sub_f32_e32 v37, v37, v43
	v_sub_f32_e32 v37, v37, v38
	s_delay_alu instid0(VALU_DEP_1) | instskip(SKIP_2) | instid1(VALU_DEP_1)
	v_add_f32_e32 v35, v35, v37
	v_add_f32_e32 v37, v42, v39
	v_sub_f32_e32 v41, v38, v41
	v_sub_f32_e32 v38, v41, v40
	s_delay_alu instid0(VALU_DEP_1) | instskip(NEXT) | instid1(VALU_DEP_1)
	v_dual_add_f32 v35, v38, v35 :: v_dual_sub_f32 v38, v37, v42
	v_add_f32_e32 v35, v43, v35
	s_delay_alu instid0(VALU_DEP_1) | instskip(NEXT) | instid1(VALU_DEP_1)
	v_dual_sub_f32 v38, v39, v38 :: v_dual_mul_f32 v35, v36, v35
	v_add_f32_e32 v35, v38, v35
	s_delay_alu instid0(VALU_DEP_1) | instskip(NEXT) | instid1(VALU_DEP_1)
	v_add_f32_e32 v36, v37, v35
	v_mul_f32_e32 v38, v36, v36
	s_delay_alu instid0(VALU_DEP_1) | instskip(SKIP_1) | instid1(VALU_DEP_2)
	v_fmaak_f32 v39, s10, v38, 0x3ecc95a3
	v_mul_f32_e32 v40, v36, v38
	v_fmaak_f32 v38, v38, v39, 0x3f2aaada
	v_ldexp_f32 v39, v36, 1
	s_delay_alu instid0(VALU_DEP_2) | instskip(SKIP_1) | instid1(VALU_DEP_2)
	v_mul_f32_e32 v38, v40, v38
	v_mul_f32_e32 v40, 0x3f317218, v34
	v_dual_sub_f32 v36, v36, v37 :: v_dual_add_f32 v37, v39, v38
	s_delay_alu instid0(VALU_DEP_1) | instskip(NEXT) | instid1(VALU_DEP_3)
	v_dual_sub_f32 v35, v35, v36 :: v_dual_sub_f32 v36, v37, v39
	v_fma_f32 v39, 0x3f317218, v34, -v40
	s_delay_alu instid0(VALU_DEP_2) | instskip(NEXT) | instid1(VALU_DEP_2)
	v_ldexp_f32 v35, v35, 1
	v_dual_sub_f32 v36, v38, v36 :: v_dual_fmac_f32 v39, 0xb102e308, v34
	s_delay_alu instid0(VALU_DEP_1) | instskip(NEXT) | instid1(VALU_DEP_1)
	v_dual_add_f32 v34, v35, v36 :: v_dual_add_f32 v35, v40, v39
	v_add_f32_e32 v36, v37, v34
	s_delay_alu instid0(VALU_DEP_1) | instskip(NEXT) | instid1(VALU_DEP_1)
	v_add_f32_e32 v38, v35, v36
	v_sub_f32_e32 v41, v38, v35
	s_delay_alu instid0(VALU_DEP_1) | instskip(SKIP_1) | instid1(VALU_DEP_1)
	v_sub_f32_e32 v42, v38, v41
	v_sub_f32_e32 v37, v36, v37
	;; [unrolled: 1-line block ×4, first 2 shown]
	s_delay_alu instid0(VALU_DEP_1) | instskip(NEXT) | instid1(VALU_DEP_1)
	v_dual_sub_f32 v36, v36, v41 :: v_dual_sub_f32 v39, v39, v40
	v_add_f32_e32 v37, v39, v34
	v_sub_f32_e32 v35, v35, v42
	s_delay_alu instid0(VALU_DEP_1) | instskip(NEXT) | instid1(VALU_DEP_3)
	v_add_f32_e32 v35, v36, v35
	v_sub_f32_e32 v36, v37, v39
	s_delay_alu instid0(VALU_DEP_1) | instskip(NEXT) | instid1(VALU_DEP_1)
	v_dual_sub_f32 v34, v34, v36 :: v_dual_add_f32 v35, v37, v35
	v_dual_sub_f32 v37, v37, v36 :: v_dual_add_f32 v40, v38, v35
	s_delay_alu instid0(VALU_DEP_1) | instskip(NEXT) | instid1(VALU_DEP_1)
	v_dual_sub_f32 v36, v40, v38 :: v_dual_sub_f32 v37, v39, v37
	v_dual_sub_f32 v35, v35, v36 :: v_dual_add_f32 v34, v34, v37
	s_delay_alu instid0(VALU_DEP_1) | instskip(NEXT) | instid1(VALU_DEP_1)
	v_add_f32_e32 v34, v34, v35
	v_add_f32_e32 v34, v40, v34
	s_delay_alu instid0(VALU_DEP_1) | instskip(NEXT) | instid1(VALU_DEP_1)
	v_cndmask_b32_e32 v12, v34, v12, vcc_lo
	v_add_f32_e32 v34, v9, v12
.LBB145_123:                            ;   in Loop: Header=BB145_101 Depth=1
	s_or_b32 exec_lo, exec_lo, s12
	s_delay_alu instid0(VALU_DEP_1)
	v_mov_b32_e32 v9, v34
	v_mov_b32_e32 v12, v34
.LBB145_124:                            ;   in Loop: Header=BB145_101 Depth=1
	s_or_b32 exec_lo, exec_lo, s11
	s_waitcnt lgkmcnt(0)
	ds_bpermute_b32 v34, v32, v9
	s_mov_b32 s11, exec_lo
	v_cmpx_le_u32_e64 v33, v11
	s_cbranch_execz .LBB145_128
; %bb.125:                              ;   in Loop: Header=BB145_101 Depth=1
	v_max_f32_e32 v9, v12, v12
	s_waitcnt lgkmcnt(0)
	v_max_f32_e32 v11, v34, v34
	v_cmp_u_f32_e32 vcc_lo, v34, v34
	s_delay_alu instid0(VALU_DEP_2) | instskip(SKIP_1) | instid1(VALU_DEP_2)
	v_min_f32_e32 v35, v11, v9
	v_max_f32_e32 v9, v11, v9
	v_cndmask_b32_e32 v11, v35, v34, vcc_lo
	s_delay_alu instid0(VALU_DEP_2) | instskip(SKIP_1) | instid1(VALU_DEP_3)
	v_cndmask_b32_e32 v9, v9, v34, vcc_lo
	v_cmp_u_f32_e32 vcc_lo, v12, v12
	v_cndmask_b32_e32 v11, v11, v12, vcc_lo
	s_delay_alu instid0(VALU_DEP_3) | instskip(NEXT) | instid1(VALU_DEP_2)
	v_cndmask_b32_e32 v9, v9, v12, vcc_lo
	v_cmp_class_f32_e64 s12, v11, 0x1f8
	s_delay_alu instid0(VALU_DEP_2) | instskip(NEXT) | instid1(VALU_DEP_2)
	v_cmp_neq_f32_e32 vcc_lo, v11, v9
	s_or_b32 s13, vcc_lo, s12
	s_delay_alu instid0(SALU_CYCLE_1)
	s_and_saveexec_b32 s12, s13
	s_cbranch_execz .LBB145_127
; %bb.126:                              ;   in Loop: Header=BB145_101 Depth=1
	v_sub_f32_e32 v11, v11, v9
	s_delay_alu instid0(VALU_DEP_1) | instskip(NEXT) | instid1(VALU_DEP_1)
	v_mul_f32_e32 v12, 0x3fb8aa3b, v11
	v_fma_f32 v34, 0x3fb8aa3b, v11, -v12
	v_rndne_f32_e32 v35, v12
	s_delay_alu instid0(VALU_DEP_1) | instskip(NEXT) | instid1(VALU_DEP_3)
	v_sub_f32_e32 v12, v12, v35
	v_fmac_f32_e32 v34, 0x32a5705f, v11
	v_cmp_ngt_f32_e32 vcc_lo, 0xc2ce8ed0, v11
	s_delay_alu instid0(VALU_DEP_2) | instskip(SKIP_1) | instid1(VALU_DEP_2)
	v_add_f32_e32 v12, v12, v34
	v_cvt_i32_f32_e32 v34, v35
	v_exp_f32_e32 v12, v12
	s_waitcnt_depctr 0xfff
	v_ldexp_f32 v12, v12, v34
	s_delay_alu instid0(VALU_DEP_1) | instskip(SKIP_1) | instid1(VALU_DEP_2)
	v_cndmask_b32_e32 v12, 0, v12, vcc_lo
	v_cmp_nlt_f32_e32 vcc_lo, 0x42b17218, v11
	v_cndmask_b32_e32 v34, 0x7f800000, v12, vcc_lo
	s_delay_alu instid0(VALU_DEP_1) | instskip(NEXT) | instid1(VALU_DEP_1)
	v_add_f32_e32 v35, 1.0, v34
	v_cvt_f64_f32_e32 v[11:12], v35
	s_delay_alu instid0(VALU_DEP_1) | instskip(SKIP_1) | instid1(VALU_DEP_1)
	v_frexp_exp_i32_f64_e32 v11, v[11:12]
	v_frexp_mant_f32_e32 v12, v35
	v_cmp_gt_f32_e32 vcc_lo, 0x3f2aaaab, v12
	v_add_f32_e32 v12, -1.0, v35
	s_delay_alu instid0(VALU_DEP_1) | instskip(SKIP_1) | instid1(VALU_DEP_2)
	v_sub_f32_e32 v37, v12, v35
	v_cmp_gt_f32_e64 s13, 0x33800000, |v34|
	v_add_f32_e32 v37, 1.0, v37
	v_subrev_co_ci_u32_e32 v11, vcc_lo, 0, v11, vcc_lo
	v_cmp_eq_f32_e32 vcc_lo, 0x7f800000, v34
	s_delay_alu instid0(VALU_DEP_2) | instskip(SKIP_2) | instid1(VALU_DEP_2)
	v_sub_nc_u32_e32 v36, 0, v11
	v_cvt_f32_i32_e32 v11, v11
	s_or_b32 vcc_lo, vcc_lo, s13
	v_ldexp_f32 v35, v35, v36
	v_sub_f32_e32 v12, v34, v12
	s_delay_alu instid0(VALU_DEP_1) | instskip(NEXT) | instid1(VALU_DEP_1)
	v_add_f32_e32 v12, v12, v37
	v_ldexp_f32 v12, v12, v36
	s_delay_alu instid0(VALU_DEP_4) | instskip(NEXT) | instid1(VALU_DEP_1)
	v_add_f32_e32 v38, 1.0, v35
	v_add_f32_e32 v37, -1.0, v38
	s_delay_alu instid0(VALU_DEP_1) | instskip(NEXT) | instid1(VALU_DEP_1)
	v_sub_f32_e32 v37, v35, v37
	v_dual_add_f32 v37, v12, v37 :: v_dual_add_f32 v36, -1.0, v35
	s_delay_alu instid0(VALU_DEP_1) | instskip(NEXT) | instid1(VALU_DEP_1)
	v_add_f32_e32 v39, 1.0, v36
	v_sub_f32_e32 v35, v35, v39
	s_delay_alu instid0(VALU_DEP_1) | instskip(NEXT) | instid1(VALU_DEP_1)
	v_dual_add_f32 v39, v38, v37 :: v_dual_add_f32 v12, v12, v35
	v_rcp_f32_e32 v35, v39
	v_sub_f32_e32 v38, v38, v39
	s_delay_alu instid0(VALU_DEP_1) | instskip(SKIP_3) | instid1(VALU_DEP_2)
	v_dual_add_f32 v37, v37, v38 :: v_dual_add_f32 v40, v36, v12
	s_waitcnt_depctr 0xfff
	v_mul_f32_e32 v41, v40, v35
	v_sub_f32_e32 v36, v36, v40
	v_mul_f32_e32 v42, v39, v41
	s_delay_alu instid0(VALU_DEP_1) | instskip(NEXT) | instid1(VALU_DEP_1)
	v_fma_f32 v38, v41, v39, -v42
	v_fmac_f32_e32 v38, v41, v37
	s_delay_alu instid0(VALU_DEP_1) | instskip(NEXT) | instid1(VALU_DEP_1)
	v_dual_add_f32 v43, v42, v38 :: v_dual_add_f32 v12, v12, v36
	v_sub_f32_e32 v44, v40, v43
	v_sub_f32_e32 v36, v43, v42
	s_delay_alu instid0(VALU_DEP_2) | instskip(NEXT) | instid1(VALU_DEP_2)
	v_sub_f32_e32 v40, v40, v44
	v_sub_f32_e32 v36, v36, v38
	s_delay_alu instid0(VALU_DEP_2) | instskip(NEXT) | instid1(VALU_DEP_1)
	v_sub_f32_e32 v40, v40, v43
	v_add_f32_e32 v12, v12, v40
	s_delay_alu instid0(VALU_DEP_1) | instskip(NEXT) | instid1(VALU_DEP_1)
	v_add_f32_e32 v12, v36, v12
	v_add_f32_e32 v36, v44, v12
	s_delay_alu instid0(VALU_DEP_1) | instskip(NEXT) | instid1(VALU_DEP_1)
	v_mul_f32_e32 v38, v35, v36
	v_dual_sub_f32 v43, v44, v36 :: v_dual_mul_f32 v40, v39, v38
	s_delay_alu instid0(VALU_DEP_1) | instskip(NEXT) | instid1(VALU_DEP_2)
	v_add_f32_e32 v12, v12, v43
	v_fma_f32 v39, v38, v39, -v40
	s_delay_alu instid0(VALU_DEP_1) | instskip(NEXT) | instid1(VALU_DEP_1)
	v_fmac_f32_e32 v39, v38, v37
	v_add_f32_e32 v37, v40, v39
	s_delay_alu instid0(VALU_DEP_1) | instskip(SKIP_1) | instid1(VALU_DEP_2)
	v_sub_f32_e32 v42, v36, v37
	v_sub_f32_e32 v40, v37, v40
	;; [unrolled: 1-line block ×3, first 2 shown]
	s_delay_alu instid0(VALU_DEP_1) | instskip(NEXT) | instid1(VALU_DEP_3)
	v_sub_f32_e32 v36, v36, v37
	v_sub_f32_e32 v37, v40, v39
	s_delay_alu instid0(VALU_DEP_2) | instskip(SKIP_1) | instid1(VALU_DEP_1)
	v_add_f32_e32 v12, v12, v36
	v_add_f32_e32 v36, v41, v38
	v_dual_add_f32 v12, v37, v12 :: v_dual_sub_f32 v37, v36, v41
	s_delay_alu instid0(VALU_DEP_1) | instskip(NEXT) | instid1(VALU_DEP_1)
	v_add_f32_e32 v12, v42, v12
	v_dual_sub_f32 v37, v38, v37 :: v_dual_mul_f32 v12, v35, v12
	s_delay_alu instid0(VALU_DEP_1) | instskip(NEXT) | instid1(VALU_DEP_1)
	v_add_f32_e32 v12, v37, v12
	v_add_f32_e32 v35, v36, v12
	s_delay_alu instid0(VALU_DEP_1) | instskip(NEXT) | instid1(VALU_DEP_1)
	v_mul_f32_e32 v37, v35, v35
	v_fmaak_f32 v38, s10, v37, 0x3ecc95a3
	v_mul_f32_e32 v39, v35, v37
	s_delay_alu instid0(VALU_DEP_2) | instskip(SKIP_2) | instid1(VALU_DEP_3)
	v_fmaak_f32 v37, v37, v38, 0x3f2aaada
	v_ldexp_f32 v38, v35, 1
	v_sub_f32_e32 v35, v35, v36
	v_mul_f32_e32 v37, v39, v37
	v_mul_f32_e32 v39, 0x3f317218, v11
	s_delay_alu instid0(VALU_DEP_3) | instskip(NEXT) | instid1(VALU_DEP_3)
	v_sub_f32_e32 v12, v12, v35
	v_add_f32_e32 v36, v38, v37
	s_delay_alu instid0(VALU_DEP_2) | instskip(NEXT) | instid1(VALU_DEP_2)
	v_ldexp_f32 v12, v12, 1
	v_sub_f32_e32 v35, v36, v38
	v_fma_f32 v38, 0x3f317218, v11, -v39
	s_delay_alu instid0(VALU_DEP_2) | instskip(NEXT) | instid1(VALU_DEP_2)
	v_sub_f32_e32 v35, v37, v35
	v_fmac_f32_e32 v38, 0xb102e308, v11
	s_delay_alu instid0(VALU_DEP_1) | instskip(NEXT) | instid1(VALU_DEP_1)
	v_dual_add_f32 v11, v12, v35 :: v_dual_add_f32 v12, v39, v38
	v_sub_f32_e32 v39, v12, v39
	s_delay_alu instid0(VALU_DEP_2) | instskip(NEXT) | instid1(VALU_DEP_2)
	v_add_f32_e32 v35, v36, v11
	v_sub_f32_e32 v38, v38, v39
	s_delay_alu instid0(VALU_DEP_2) | instskip(NEXT) | instid1(VALU_DEP_1)
	v_dual_add_f32 v37, v12, v35 :: v_dual_sub_f32 v36, v35, v36
	v_sub_f32_e32 v40, v37, v12
	s_delay_alu instid0(VALU_DEP_2) | instskip(NEXT) | instid1(VALU_DEP_2)
	v_sub_f32_e32 v11, v11, v36
	v_sub_f32_e32 v41, v37, v40
	s_delay_alu instid0(VALU_DEP_2) | instskip(NEXT) | instid1(VALU_DEP_2)
	v_dual_sub_f32 v35, v35, v40 :: v_dual_add_f32 v36, v38, v11
	v_sub_f32_e32 v12, v12, v41
	s_delay_alu instid0(VALU_DEP_1) | instskip(NEXT) | instid1(VALU_DEP_1)
	v_dual_add_f32 v12, v35, v12 :: v_dual_sub_f32 v35, v36, v38
	v_add_f32_e32 v12, v36, v12
	s_delay_alu instid0(VALU_DEP_2) | instskip(SKIP_1) | instid1(VALU_DEP_3)
	v_sub_f32_e32 v36, v36, v35
	v_sub_f32_e32 v11, v11, v35
	v_add_f32_e32 v39, v37, v12
	s_delay_alu instid0(VALU_DEP_1) | instskip(NEXT) | instid1(VALU_DEP_1)
	v_dual_sub_f32 v36, v38, v36 :: v_dual_sub_f32 v35, v39, v37
	v_dual_add_f32 v11, v11, v36 :: v_dual_sub_f32 v12, v12, v35
	s_delay_alu instid0(VALU_DEP_1) | instskip(NEXT) | instid1(VALU_DEP_1)
	v_add_f32_e32 v11, v11, v12
	v_add_f32_e32 v11, v39, v11
	s_delay_alu instid0(VALU_DEP_1) | instskip(NEXT) | instid1(VALU_DEP_1)
	v_cndmask_b32_e32 v11, v11, v34, vcc_lo
	v_add_f32_e32 v34, v9, v11
.LBB145_127:                            ;   in Loop: Header=BB145_101 Depth=1
	s_or_b32 exec_lo, exec_lo, s12
	s_delay_alu instid0(VALU_DEP_1)
	v_mov_b32_e32 v12, v34
.LBB145_128:                            ;   in Loop: Header=BB145_101 Depth=1
	s_or_b32 exec_lo, exec_lo, s11
	v_max_f32_e32 v9, v31, v31
	s_delay_alu instid0(VALU_DEP_2) | instskip(SKIP_2) | instid1(VALU_DEP_2)
	v_max_f32_e32 v11, v12, v12
	v_cmp_u_f32_e32 vcc_lo, v12, v12
	s_waitcnt lgkmcnt(0)
	v_min_f32_e32 v34, v11, v9
	v_max_f32_e32 v9, v11, v9
	s_delay_alu instid0(VALU_DEP_1) | instskip(NEXT) | instid1(VALU_DEP_3)
	v_cndmask_b32_e32 v9, v9, v12, vcc_lo
	v_cndmask_b32_e32 v11, v34, v12, vcc_lo
	v_cmp_u_f32_e32 vcc_lo, v31, v31
	s_delay_alu instid0(VALU_DEP_2) | instskip(NEXT) | instid1(VALU_DEP_4)
	v_cndmask_b32_e32 v11, v11, v31, vcc_lo
	v_cndmask_b32_e32 v9, v9, v31, vcc_lo
	s_delay_alu instid0(VALU_DEP_2) | instskip(NEXT) | instid1(VALU_DEP_2)
	v_cmp_class_f32_e64 s11, v11, 0x1f8
	v_cmp_neq_f32_e32 vcc_lo, v11, v9
	s_delay_alu instid0(VALU_DEP_2) | instskip(NEXT) | instid1(SALU_CYCLE_1)
	s_or_b32 s11, vcc_lo, s11
	s_and_saveexec_b32 s12, s11
	s_delay_alu instid0(SALU_CYCLE_1)
	s_xor_b32 s11, exec_lo, s12
	s_cbranch_execz .LBB145_100
; %bb.129:                              ;   in Loop: Header=BB145_101 Depth=1
	v_sub_f32_e32 v11, v11, v9
	s_delay_alu instid0(VALU_DEP_1) | instskip(NEXT) | instid1(VALU_DEP_1)
	v_mul_f32_e32 v12, 0x3fb8aa3b, v11
	v_fma_f32 v34, 0x3fb8aa3b, v11, -v12
	v_rndne_f32_e32 v35, v12
	s_delay_alu instid0(VALU_DEP_1) | instskip(NEXT) | instid1(VALU_DEP_3)
	v_sub_f32_e32 v12, v12, v35
	v_fmac_f32_e32 v34, 0x32a5705f, v11
	v_cmp_ngt_f32_e32 vcc_lo, 0xc2ce8ed0, v11
	s_delay_alu instid0(VALU_DEP_2) | instskip(SKIP_1) | instid1(VALU_DEP_2)
	v_add_f32_e32 v12, v12, v34
	v_cvt_i32_f32_e32 v34, v35
	v_exp_f32_e32 v12, v12
	s_waitcnt_depctr 0xfff
	v_ldexp_f32 v12, v12, v34
	s_delay_alu instid0(VALU_DEP_1) | instskip(SKIP_1) | instid1(VALU_DEP_2)
	v_cndmask_b32_e32 v12, 0, v12, vcc_lo
	v_cmp_nlt_f32_e32 vcc_lo, 0x42b17218, v11
	v_cndmask_b32_e32 v34, 0x7f800000, v12, vcc_lo
	s_delay_alu instid0(VALU_DEP_1) | instskip(NEXT) | instid1(VALU_DEP_1)
	v_add_f32_e32 v35, 1.0, v34
	v_cvt_f64_f32_e32 v[11:12], v35
	s_delay_alu instid0(VALU_DEP_1) | instskip(SKIP_1) | instid1(VALU_DEP_1)
	v_frexp_exp_i32_f64_e32 v11, v[11:12]
	v_frexp_mant_f32_e32 v12, v35
	v_cmp_gt_f32_e32 vcc_lo, 0x3f2aaaab, v12
	v_add_f32_e32 v12, -1.0, v35
	s_delay_alu instid0(VALU_DEP_1) | instskip(SKIP_1) | instid1(VALU_DEP_2)
	v_sub_f32_e32 v37, v12, v35
	v_cmp_gt_f32_e64 s12, 0x33800000, |v34|
	v_add_f32_e32 v37, 1.0, v37
	v_subrev_co_ci_u32_e32 v11, vcc_lo, 0, v11, vcc_lo
	v_cmp_eq_f32_e32 vcc_lo, 0x7f800000, v34
	s_delay_alu instid0(VALU_DEP_2) | instskip(SKIP_2) | instid1(VALU_DEP_2)
	v_sub_nc_u32_e32 v36, 0, v11
	v_cvt_f32_i32_e32 v11, v11
	s_or_b32 vcc_lo, vcc_lo, s12
	v_ldexp_f32 v35, v35, v36
	v_sub_f32_e32 v12, v34, v12
	s_delay_alu instid0(VALU_DEP_1) | instskip(NEXT) | instid1(VALU_DEP_1)
	v_add_f32_e32 v12, v12, v37
	v_ldexp_f32 v12, v12, v36
	s_delay_alu instid0(VALU_DEP_4) | instskip(NEXT) | instid1(VALU_DEP_1)
	v_add_f32_e32 v38, 1.0, v35
	v_add_f32_e32 v37, -1.0, v38
	s_delay_alu instid0(VALU_DEP_1) | instskip(NEXT) | instid1(VALU_DEP_1)
	v_sub_f32_e32 v37, v35, v37
	v_dual_add_f32 v37, v12, v37 :: v_dual_add_f32 v36, -1.0, v35
	s_delay_alu instid0(VALU_DEP_1) | instskip(NEXT) | instid1(VALU_DEP_1)
	v_add_f32_e32 v39, 1.0, v36
	v_sub_f32_e32 v35, v35, v39
	s_delay_alu instid0(VALU_DEP_1) | instskip(NEXT) | instid1(VALU_DEP_1)
	v_dual_add_f32 v39, v38, v37 :: v_dual_add_f32 v12, v12, v35
	v_rcp_f32_e32 v35, v39
	v_sub_f32_e32 v38, v38, v39
	s_delay_alu instid0(VALU_DEP_1) | instskip(SKIP_3) | instid1(VALU_DEP_2)
	v_dual_add_f32 v37, v37, v38 :: v_dual_add_f32 v40, v36, v12
	s_waitcnt_depctr 0xfff
	v_mul_f32_e32 v41, v40, v35
	v_sub_f32_e32 v36, v36, v40
	v_mul_f32_e32 v42, v39, v41
	s_delay_alu instid0(VALU_DEP_1) | instskip(NEXT) | instid1(VALU_DEP_1)
	v_fma_f32 v38, v41, v39, -v42
	v_fmac_f32_e32 v38, v41, v37
	s_delay_alu instid0(VALU_DEP_1) | instskip(NEXT) | instid1(VALU_DEP_1)
	v_dual_add_f32 v43, v42, v38 :: v_dual_add_f32 v12, v12, v36
	v_sub_f32_e32 v44, v40, v43
	v_sub_f32_e32 v36, v43, v42
	s_delay_alu instid0(VALU_DEP_2) | instskip(NEXT) | instid1(VALU_DEP_2)
	v_sub_f32_e32 v40, v40, v44
	v_sub_f32_e32 v36, v36, v38
	s_delay_alu instid0(VALU_DEP_2) | instskip(NEXT) | instid1(VALU_DEP_1)
	v_sub_f32_e32 v40, v40, v43
	v_add_f32_e32 v12, v12, v40
	s_delay_alu instid0(VALU_DEP_1) | instskip(NEXT) | instid1(VALU_DEP_1)
	v_add_f32_e32 v12, v36, v12
	v_add_f32_e32 v36, v44, v12
	s_delay_alu instid0(VALU_DEP_1) | instskip(NEXT) | instid1(VALU_DEP_1)
	v_mul_f32_e32 v38, v35, v36
	v_dual_sub_f32 v43, v44, v36 :: v_dual_mul_f32 v40, v39, v38
	s_delay_alu instid0(VALU_DEP_1) | instskip(NEXT) | instid1(VALU_DEP_2)
	v_add_f32_e32 v12, v12, v43
	v_fma_f32 v39, v38, v39, -v40
	s_delay_alu instid0(VALU_DEP_1) | instskip(NEXT) | instid1(VALU_DEP_1)
	v_fmac_f32_e32 v39, v38, v37
	v_add_f32_e32 v37, v40, v39
	s_delay_alu instid0(VALU_DEP_1) | instskip(SKIP_1) | instid1(VALU_DEP_2)
	v_sub_f32_e32 v42, v36, v37
	v_sub_f32_e32 v40, v37, v40
	;; [unrolled: 1-line block ×3, first 2 shown]
	s_delay_alu instid0(VALU_DEP_1) | instskip(NEXT) | instid1(VALU_DEP_3)
	v_sub_f32_e32 v36, v36, v37
	v_sub_f32_e32 v37, v40, v39
	s_delay_alu instid0(VALU_DEP_2) | instskip(SKIP_1) | instid1(VALU_DEP_1)
	v_add_f32_e32 v12, v12, v36
	v_add_f32_e32 v36, v41, v38
	v_dual_add_f32 v12, v37, v12 :: v_dual_sub_f32 v37, v36, v41
	s_delay_alu instid0(VALU_DEP_1) | instskip(NEXT) | instid1(VALU_DEP_1)
	v_add_f32_e32 v12, v42, v12
	v_dual_sub_f32 v37, v38, v37 :: v_dual_mul_f32 v12, v35, v12
	s_delay_alu instid0(VALU_DEP_1) | instskip(NEXT) | instid1(VALU_DEP_1)
	v_add_f32_e32 v12, v37, v12
	v_add_f32_e32 v35, v36, v12
	s_delay_alu instid0(VALU_DEP_1) | instskip(NEXT) | instid1(VALU_DEP_1)
	v_mul_f32_e32 v37, v35, v35
	v_fmaak_f32 v38, s10, v37, 0x3ecc95a3
	v_mul_f32_e32 v39, v35, v37
	s_delay_alu instid0(VALU_DEP_2) | instskip(SKIP_2) | instid1(VALU_DEP_3)
	v_fmaak_f32 v37, v37, v38, 0x3f2aaada
	v_ldexp_f32 v38, v35, 1
	v_sub_f32_e32 v35, v35, v36
	v_mul_f32_e32 v37, v39, v37
	v_mul_f32_e32 v39, 0x3f317218, v11
	s_delay_alu instid0(VALU_DEP_3) | instskip(NEXT) | instid1(VALU_DEP_3)
	v_sub_f32_e32 v12, v12, v35
	v_add_f32_e32 v36, v38, v37
	s_delay_alu instid0(VALU_DEP_2) | instskip(NEXT) | instid1(VALU_DEP_2)
	v_ldexp_f32 v12, v12, 1
	v_sub_f32_e32 v35, v36, v38
	v_fma_f32 v38, 0x3f317218, v11, -v39
	s_delay_alu instid0(VALU_DEP_2) | instskip(NEXT) | instid1(VALU_DEP_2)
	v_sub_f32_e32 v35, v37, v35
	v_fmac_f32_e32 v38, 0xb102e308, v11
	s_delay_alu instid0(VALU_DEP_1) | instskip(NEXT) | instid1(VALU_DEP_1)
	v_dual_add_f32 v11, v12, v35 :: v_dual_add_f32 v12, v39, v38
	v_sub_f32_e32 v39, v12, v39
	s_delay_alu instid0(VALU_DEP_2) | instskip(NEXT) | instid1(VALU_DEP_2)
	v_add_f32_e32 v35, v36, v11
	v_sub_f32_e32 v38, v38, v39
	s_delay_alu instid0(VALU_DEP_2) | instskip(NEXT) | instid1(VALU_DEP_1)
	v_dual_add_f32 v37, v12, v35 :: v_dual_sub_f32 v36, v35, v36
	v_sub_f32_e32 v40, v37, v12
	s_delay_alu instid0(VALU_DEP_2) | instskip(NEXT) | instid1(VALU_DEP_2)
	v_sub_f32_e32 v11, v11, v36
	v_sub_f32_e32 v41, v37, v40
	s_delay_alu instid0(VALU_DEP_2) | instskip(NEXT) | instid1(VALU_DEP_2)
	v_dual_sub_f32 v35, v35, v40 :: v_dual_add_f32 v36, v38, v11
	v_sub_f32_e32 v12, v12, v41
	s_delay_alu instid0(VALU_DEP_1) | instskip(NEXT) | instid1(VALU_DEP_1)
	v_dual_add_f32 v12, v35, v12 :: v_dual_sub_f32 v35, v36, v38
	v_add_f32_e32 v12, v36, v12
	s_delay_alu instid0(VALU_DEP_2) | instskip(SKIP_1) | instid1(VALU_DEP_3)
	v_sub_f32_e32 v36, v36, v35
	v_sub_f32_e32 v11, v11, v35
	v_add_f32_e32 v39, v37, v12
	s_delay_alu instid0(VALU_DEP_1) | instskip(NEXT) | instid1(VALU_DEP_1)
	v_dual_sub_f32 v36, v38, v36 :: v_dual_sub_f32 v35, v39, v37
	v_dual_add_f32 v11, v11, v36 :: v_dual_sub_f32 v12, v12, v35
	s_delay_alu instid0(VALU_DEP_1) | instskip(NEXT) | instid1(VALU_DEP_1)
	v_add_f32_e32 v11, v11, v12
	v_add_f32_e32 v11, v39, v11
	s_delay_alu instid0(VALU_DEP_1) | instskip(NEXT) | instid1(VALU_DEP_1)
	v_cndmask_b32_e32 v11, v11, v34, vcc_lo
	v_add_f32_e32 v12, v9, v11
	s_branch .LBB145_100
.LBB145_130:                            ;   in Loop: Header=BB145_101 Depth=1
                                        ; implicit-def: $vgpr12
                                        ; implicit-def: $vgpr10
	s_cbranch_execz .LBB145_101
; %bb.131:
	s_and_saveexec_b32 s10, s8
	s_cbranch_execz .LBB145_135
; %bb.132:
	v_max_f32_e32 v4, v3, v3
	v_max_f32_e32 v5, v31, v31
	v_cmp_u_f32_e32 vcc_lo, v31, v31
	s_delay_alu instid0(VALU_DEP_2) | instskip(NEXT) | instid1(VALU_DEP_1)
	v_min_f32_e32 v6, v5, v4
	v_dual_max_f32 v4, v5, v4 :: v_dual_cndmask_b32 v5, v6, v31
	s_delay_alu instid0(VALU_DEP_1) | instskip(SKIP_1) | instid1(VALU_DEP_3)
	v_cndmask_b32_e32 v4, v4, v31, vcc_lo
	v_cmp_u_f32_e32 vcc_lo, v3, v3
	v_cndmask_b32_e32 v5, v5, v3, vcc_lo
	s_delay_alu instid0(VALU_DEP_3) | instskip(NEXT) | instid1(VALU_DEP_2)
	v_dual_cndmask_b32 v4, v4, v3 :: v_dual_mov_b32 v3, v31
	v_cmp_class_f32_e64 s8, v5, 0x1f8
	s_delay_alu instid0(VALU_DEP_2) | instskip(NEXT) | instid1(VALU_DEP_2)
	v_cmp_neq_f32_e32 vcc_lo, v5, v4
	s_or_b32 s11, vcc_lo, s8
	s_delay_alu instid0(SALU_CYCLE_1)
	s_and_saveexec_b32 s8, s11
	s_cbranch_execz .LBB145_134
; %bb.133:
	v_sub_f32_e32 v3, v5, v4
	s_mov_b32 s11, 0x3e9b6dac
	s_delay_alu instid0(VALU_DEP_1) | instskip(SKIP_1) | instid1(VALU_DEP_2)
	v_mul_f32_e32 v5, 0x3fb8aa3b, v3
	v_cmp_ngt_f32_e32 vcc_lo, 0xc2ce8ed0, v3
	v_fma_f32 v6, 0x3fb8aa3b, v3, -v5
	v_rndne_f32_e32 v9, v5
	s_delay_alu instid0(VALU_DEP_1) | instskip(NEXT) | instid1(VALU_DEP_1)
	v_dual_fmamk_f32 v6, v3, 0x32a5705f, v6 :: v_dual_sub_f32 v5, v5, v9
	v_add_f32_e32 v5, v5, v6
	v_cvt_i32_f32_e32 v6, v9
	s_delay_alu instid0(VALU_DEP_2) | instskip(SKIP_2) | instid1(VALU_DEP_1)
	v_exp_f32_e32 v5, v5
	s_waitcnt_depctr 0xfff
	v_ldexp_f32 v5, v5, v6
	v_cndmask_b32_e32 v5, 0, v5, vcc_lo
	v_cmp_nlt_f32_e32 vcc_lo, 0x42b17218, v3
	s_delay_alu instid0(VALU_DEP_2) | instskip(NEXT) | instid1(VALU_DEP_1)
	v_cndmask_b32_e32 v3, 0x7f800000, v5, vcc_lo
	v_add_f32_e32 v9, 1.0, v3
	s_delay_alu instid0(VALU_DEP_1) | instskip(NEXT) | instid1(VALU_DEP_1)
	v_cvt_f64_f32_e32 v[5:6], v9
	v_frexp_exp_i32_f64_e32 v5, v[5:6]
	v_frexp_mant_f32_e32 v6, v9
	s_delay_alu instid0(VALU_DEP_1) | instskip(SKIP_1) | instid1(VALU_DEP_1)
	v_cmp_gt_f32_e32 vcc_lo, 0x3f2aaaab, v6
	v_add_f32_e32 v6, -1.0, v9
	v_dual_sub_f32 v11, v6, v9 :: v_dual_sub_f32 v6, v3, v6
	v_subrev_co_ci_u32_e32 v5, vcc_lo, 0, v5, vcc_lo
	s_delay_alu instid0(VALU_DEP_1) | instskip(SKIP_1) | instid1(VALU_DEP_2)
	v_sub_nc_u32_e32 v10, 0, v5
	v_cvt_f32_i32_e32 v5, v5
	v_ldexp_f32 v9, v9, v10
	s_delay_alu instid0(VALU_DEP_1) | instskip(NEXT) | instid1(VALU_DEP_1)
	v_dual_add_f32 v11, 1.0, v11 :: v_dual_add_f32 v12, 1.0, v9
	v_add_f32_e32 v6, v6, v11
	s_delay_alu instid0(VALU_DEP_1) | instskip(NEXT) | instid1(VALU_DEP_3)
	v_ldexp_f32 v6, v6, v10
	v_dual_add_f32 v10, -1.0, v9 :: v_dual_add_f32 v11, -1.0, v12
	s_delay_alu instid0(VALU_DEP_1) | instskip(NEXT) | instid1(VALU_DEP_2)
	v_add_f32_e32 v23, 1.0, v10
	v_sub_f32_e32 v11, v9, v11
	s_delay_alu instid0(VALU_DEP_2) | instskip(NEXT) | instid1(VALU_DEP_2)
	v_sub_f32_e32 v9, v9, v23
	v_add_f32_e32 v11, v6, v11
	s_delay_alu instid0(VALU_DEP_1) | instskip(NEXT) | instid1(VALU_DEP_1)
	v_dual_add_f32 v6, v6, v9 :: v_dual_add_f32 v23, v12, v11
	v_add_f32_e32 v24, v10, v6
	s_delay_alu instid0(VALU_DEP_2) | instskip(SKIP_2) | instid1(VALU_DEP_3)
	v_rcp_f32_e32 v9, v23
	v_sub_f32_e32 v12, v12, v23
	v_cmp_eq_f32_e32 vcc_lo, 0x7f800000, v3
	v_sub_f32_e32 v10, v10, v24
	s_delay_alu instid0(VALU_DEP_1) | instskip(SKIP_2) | instid1(VALU_DEP_1)
	v_dual_add_f32 v11, v11, v12 :: v_dual_add_f32 v6, v6, v10
	s_waitcnt_depctr 0xfff
	v_mul_f32_e32 v25, v24, v9
	v_mul_f32_e32 v26, v23, v25
	s_delay_alu instid0(VALU_DEP_1) | instskip(NEXT) | instid1(VALU_DEP_1)
	v_fma_f32 v12, v25, v23, -v26
	v_fmac_f32_e32 v12, v25, v11
	s_delay_alu instid0(VALU_DEP_1) | instskip(NEXT) | instid1(VALU_DEP_1)
	v_add_f32_e32 v27, v26, v12
	v_sub_f32_e32 v28, v24, v27
	v_sub_f32_e32 v10, v27, v26
	s_delay_alu instid0(VALU_DEP_2) | instskip(NEXT) | instid1(VALU_DEP_2)
	v_sub_f32_e32 v24, v24, v28
	v_sub_f32_e32 v10, v10, v12
	s_delay_alu instid0(VALU_DEP_2) | instskip(NEXT) | instid1(VALU_DEP_1)
	v_sub_f32_e32 v24, v24, v27
	v_add_f32_e32 v6, v6, v24
	s_delay_alu instid0(VALU_DEP_1) | instskip(NEXT) | instid1(VALU_DEP_1)
	v_add_f32_e32 v6, v10, v6
	v_add_f32_e32 v10, v28, v6
	s_delay_alu instid0(VALU_DEP_1) | instskip(NEXT) | instid1(VALU_DEP_1)
	v_mul_f32_e32 v12, v9, v10
	v_dual_sub_f32 v27, v28, v10 :: v_dual_mul_f32 v24, v23, v12
	s_delay_alu instid0(VALU_DEP_1) | instskip(NEXT) | instid1(VALU_DEP_1)
	v_fma_f32 v23, v12, v23, -v24
	v_fmac_f32_e32 v23, v12, v11
	s_delay_alu instid0(VALU_DEP_1) | instskip(NEXT) | instid1(VALU_DEP_4)
	v_add_f32_e32 v11, v24, v23
	v_add_f32_e32 v6, v6, v27
	s_delay_alu instid0(VALU_DEP_2) | instskip(SKIP_1) | instid1(VALU_DEP_2)
	v_sub_f32_e32 v26, v10, v11
	v_sub_f32_e32 v24, v11, v24
	;; [unrolled: 1-line block ×3, first 2 shown]
	s_delay_alu instid0(VALU_DEP_1) | instskip(NEXT) | instid1(VALU_DEP_1)
	v_sub_f32_e32 v10, v10, v11
	v_dual_sub_f32 v11, v24, v23 :: v_dual_add_f32 v6, v6, v10
	v_add_f32_e32 v10, v25, v12
	s_delay_alu instid0(VALU_DEP_1) | instskip(NEXT) | instid1(VALU_DEP_1)
	v_dual_add_f32 v6, v11, v6 :: v_dual_sub_f32 v11, v10, v25
	v_dual_add_f32 v6, v26, v6 :: v_dual_sub_f32 v11, v12, v11
	s_delay_alu instid0(VALU_DEP_1) | instskip(NEXT) | instid1(VALU_DEP_1)
	v_mul_f32_e32 v6, v9, v6
	v_add_f32_e32 v6, v11, v6
	s_delay_alu instid0(VALU_DEP_1) | instskip(NEXT) | instid1(VALU_DEP_1)
	v_add_f32_e32 v9, v10, v6
	v_mul_f32_e32 v11, v9, v9
	s_delay_alu instid0(VALU_DEP_1) | instskip(SKIP_2) | instid1(VALU_DEP_3)
	v_fmaak_f32 v12, s11, v11, 0x3ecc95a3
	v_mul_f32_e32 v23, v9, v11
	v_cmp_gt_f32_e64 s11, 0x33800000, |v3|
	v_fmaak_f32 v11, v11, v12, 0x3f2aaada
	v_ldexp_f32 v12, v9, 1
	s_delay_alu instid0(VALU_DEP_3) | instskip(NEXT) | instid1(VALU_DEP_2)
	s_or_b32 vcc_lo, vcc_lo, s11
	v_mul_f32_e32 v11, v23, v11
	v_sub_f32_e32 v9, v9, v10
	s_delay_alu instid0(VALU_DEP_2) | instskip(NEXT) | instid1(VALU_DEP_2)
	v_dual_mul_f32 v23, 0x3f317218, v5 :: v_dual_add_f32 v10, v12, v11
	v_sub_f32_e32 v6, v6, v9
	s_delay_alu instid0(VALU_DEP_2) | instskip(NEXT) | instid1(VALU_DEP_3)
	v_sub_f32_e32 v9, v10, v12
	v_fma_f32 v12, 0x3f317218, v5, -v23
	s_delay_alu instid0(VALU_DEP_3) | instskip(NEXT) | instid1(VALU_DEP_3)
	v_ldexp_f32 v6, v6, 1
	v_sub_f32_e32 v9, v11, v9
	s_delay_alu instid0(VALU_DEP_1) | instskip(NEXT) | instid1(VALU_DEP_1)
	v_dual_fmamk_f32 v5, v5, 0xb102e308, v12 :: v_dual_add_f32 v6, v6, v9
	v_add_f32_e32 v9, v23, v5
	s_delay_alu instid0(VALU_DEP_2) | instskip(NEXT) | instid1(VALU_DEP_2)
	v_add_f32_e32 v11, v10, v6
	v_sub_f32_e32 v23, v9, v23
	s_delay_alu instid0(VALU_DEP_2) | instskip(NEXT) | instid1(VALU_DEP_1)
	v_add_f32_e32 v12, v9, v11
	v_dual_sub_f32 v5, v5, v23 :: v_dual_sub_f32 v24, v12, v9
	s_delay_alu instid0(VALU_DEP_1) | instskip(NEXT) | instid1(VALU_DEP_1)
	v_sub_f32_e32 v25, v12, v24
	v_dual_sub_f32 v9, v9, v25 :: v_dual_sub_f32 v10, v11, v10
	s_delay_alu instid0(VALU_DEP_1) | instskip(NEXT) | instid1(VALU_DEP_1)
	v_sub_f32_e32 v6, v6, v10
	v_dual_sub_f32 v10, v11, v24 :: v_dual_add_f32 v11, v5, v6
	s_delay_alu instid0(VALU_DEP_1) | instskip(NEXT) | instid1(VALU_DEP_2)
	v_add_f32_e32 v9, v10, v9
	v_sub_f32_e32 v10, v11, v5
	s_delay_alu instid0(VALU_DEP_2) | instskip(NEXT) | instid1(VALU_DEP_2)
	v_add_f32_e32 v9, v11, v9
	v_sub_f32_e32 v11, v11, v10
	s_delay_alu instid0(VALU_DEP_1) | instskip(NEXT) | instid1(VALU_DEP_3)
	v_sub_f32_e32 v5, v5, v11
	v_dual_add_f32 v23, v12, v9 :: v_dual_sub_f32 v6, v6, v10
	s_delay_alu instid0(VALU_DEP_1) | instskip(NEXT) | instid1(VALU_DEP_1)
	v_dual_sub_f32 v10, v23, v12 :: v_dual_add_f32 v5, v6, v5
	v_sub_f32_e32 v6, v9, v10
	s_delay_alu instid0(VALU_DEP_1) | instskip(NEXT) | instid1(VALU_DEP_1)
	v_add_f32_e32 v5, v5, v6
	v_add_f32_e32 v5, v23, v5
	s_delay_alu instid0(VALU_DEP_1) | instskip(NEXT) | instid1(VALU_DEP_1)
	v_cndmask_b32_e32 v3, v5, v3, vcc_lo
	v_add_f32_e32 v3, v4, v3
.LBB145_134:
	s_or_b32 exec_lo, exec_lo, s8
	s_add_i32 s12, s15, 32
	s_mov_b32 s13, 0
	v_dual_mov_b32 v5, 0 :: v_dual_mov_b32 v4, 2
	s_lshl_b64 s[12:13], s[12:13], 3
	s_delay_alu instid0(SALU_CYCLE_1)
	s_add_u32 s12, s22, s12
	s_addc_u32 s13, s23, s13
	global_store_b64 v5, v[3:4], s[12:13]
.LBB145_135:
	s_or_b32 exec_lo, exec_lo, s10
	s_delay_alu instid0(SALU_CYCLE_1)
	s_and_b32 exec_lo, exec_lo, s7
	s_cbranch_execz .LBB145_137
; %bb.136:
	v_mov_b32_e32 v3, 0
	ds_store_b32 v3, v31
.LBB145_137:
	s_or_b32 exec_lo, exec_lo, s9
	v_dual_mov_b32 v3, 0 :: v_dual_mov_b32 v4, v1
	s_waitcnt lgkmcnt(0)
	s_waitcnt_vscnt null, 0x0
	s_barrier
	buffer_gl0_inv
	ds_load_b32 v3, v3
	s_and_saveexec_b32 s7, s6
	s_cbranch_execz .LBB145_141
; %bb.138:
	v_max_f32_e32 v4, v22, v22
	v_cmp_u_f32_e32 vcc_lo, v22, v22
	s_delay_alu instid0(VALU_DEP_2) | instskip(NEXT) | instid1(VALU_DEP_1)
	v_min_f32_e32 v5, v4, v21
	v_dual_max_f32 v4, v4, v21 :: v_dual_cndmask_b32 v5, v5, v22
	s_delay_alu instid0(VALU_DEP_1) | instskip(NEXT) | instid1(VALU_DEP_2)
	v_cndmask_b32_e32 v4, v4, v22, vcc_lo
	v_cndmask_b32_e64 v5, v5, v1, s5
	s_delay_alu instid0(VALU_DEP_2) | instskip(NEXT) | instid1(VALU_DEP_2)
	v_cndmask_b32_e64 v4, v4, v1, s5
	v_cmp_class_f32_e64 s5, v5, 0x1f8
	s_delay_alu instid0(VALU_DEP_2) | instskip(NEXT) | instid1(VALU_DEP_2)
	v_cmp_neq_f32_e32 vcc_lo, v5, v4
	s_or_b32 s6, vcc_lo, s5
	s_delay_alu instid0(SALU_CYCLE_1)
	s_and_saveexec_b32 s5, s6
	s_cbranch_execz .LBB145_140
; %bb.139:
	v_sub_f32_e32 v5, v5, v4
	s_mov_b32 s6, 0x3e9b6dac
	s_delay_alu instid0(VALU_DEP_1) | instskip(NEXT) | instid1(VALU_DEP_1)
	v_mul_f32_e32 v6, 0x3fb8aa3b, v5
	v_fma_f32 v9, 0x3fb8aa3b, v5, -v6
	v_rndne_f32_e32 v10, v6
	s_delay_alu instid0(VALU_DEP_1) | instskip(SKIP_1) | instid1(VALU_DEP_4)
	v_sub_f32_e32 v6, v6, v10
	v_cmp_ngt_f32_e32 vcc_lo, 0xc2ce8ed0, v5
	v_fmamk_f32 v9, v5, 0x32a5705f, v9
	s_delay_alu instid0(VALU_DEP_1) | instskip(SKIP_1) | instid1(VALU_DEP_2)
	v_add_f32_e32 v6, v6, v9
	v_cvt_i32_f32_e32 v9, v10
	v_exp_f32_e32 v6, v6
	s_waitcnt_depctr 0xfff
	v_ldexp_f32 v6, v6, v9
	s_delay_alu instid0(VALU_DEP_1) | instskip(SKIP_1) | instid1(VALU_DEP_2)
	v_cndmask_b32_e32 v6, 0, v6, vcc_lo
	v_cmp_nlt_f32_e32 vcc_lo, 0x42b17218, v5
	v_cndmask_b32_e32 v9, 0x7f800000, v6, vcc_lo
	s_delay_alu instid0(VALU_DEP_1) | instskip(NEXT) | instid1(VALU_DEP_1)
	v_add_f32_e32 v10, 1.0, v9
	v_cvt_f64_f32_e32 v[5:6], v10
	s_delay_alu instid0(VALU_DEP_1) | instskip(SKIP_1) | instid1(VALU_DEP_1)
	v_frexp_exp_i32_f64_e32 v5, v[5:6]
	v_frexp_mant_f32_e32 v6, v10
	v_cmp_gt_f32_e32 vcc_lo, 0x3f2aaaab, v6
	v_add_f32_e32 v6, -1.0, v10
	s_delay_alu instid0(VALU_DEP_1) | instskip(NEXT) | instid1(VALU_DEP_1)
	v_sub_f32_e32 v12, v6, v10
	v_add_f32_e32 v12, 1.0, v12
	v_sub_f32_e32 v6, v9, v6
	v_subrev_co_ci_u32_e32 v5, vcc_lo, 0, v5, vcc_lo
	v_cmp_eq_f32_e32 vcc_lo, 0x7f800000, v9
	s_delay_alu instid0(VALU_DEP_2) | instskip(SKIP_1) | instid1(VALU_DEP_2)
	v_sub_nc_u32_e32 v11, 0, v5
	v_cvt_f32_i32_e32 v5, v5
	v_ldexp_f32 v10, v10, v11
	s_delay_alu instid0(VALU_DEP_1) | instskip(NEXT) | instid1(VALU_DEP_1)
	v_dual_add_f32 v21, 1.0, v10 :: v_dual_add_f32 v6, v6, v12
	v_add_f32_e32 v12, -1.0, v21
	s_delay_alu instid0(VALU_DEP_2) | instskip(NEXT) | instid1(VALU_DEP_2)
	v_ldexp_f32 v6, v6, v11
	v_dual_add_f32 v11, -1.0, v10 :: v_dual_sub_f32 v12, v10, v12
	s_delay_alu instid0(VALU_DEP_1) | instskip(NEXT) | instid1(VALU_DEP_2)
	v_add_f32_e32 v22, 1.0, v11
	v_add_f32_e32 v12, v6, v12
	s_delay_alu instid0(VALU_DEP_2) | instskip(NEXT) | instid1(VALU_DEP_2)
	v_sub_f32_e32 v10, v10, v22
	v_add_f32_e32 v22, v21, v12
	s_delay_alu instid0(VALU_DEP_2) | instskip(NEXT) | instid1(VALU_DEP_2)
	v_add_f32_e32 v6, v6, v10
	v_rcp_f32_e32 v10, v22
	v_sub_f32_e32 v21, v21, v22
	s_delay_alu instid0(VALU_DEP_1) | instskip(NEXT) | instid1(VALU_DEP_1)
	v_dual_add_f32 v23, v11, v6 :: v_dual_add_f32 v12, v12, v21
	v_sub_f32_e32 v11, v11, v23
	s_waitcnt_depctr 0xfff
	v_mul_f32_e32 v24, v23, v10
	v_add_f32_e32 v6, v6, v11
	s_delay_alu instid0(VALU_DEP_2) | instskip(NEXT) | instid1(VALU_DEP_1)
	v_mul_f32_e32 v25, v22, v24
	v_fma_f32 v21, v24, v22, -v25
	s_delay_alu instid0(VALU_DEP_1) | instskip(NEXT) | instid1(VALU_DEP_1)
	v_fmac_f32_e32 v21, v24, v12
	v_add_f32_e32 v26, v25, v21
	s_delay_alu instid0(VALU_DEP_1) | instskip(SKIP_1) | instid1(VALU_DEP_2)
	v_sub_f32_e32 v27, v23, v26
	v_sub_f32_e32 v11, v26, v25
	;; [unrolled: 1-line block ×3, first 2 shown]
	s_delay_alu instid0(VALU_DEP_2) | instskip(NEXT) | instid1(VALU_DEP_2)
	v_sub_f32_e32 v11, v11, v21
	v_sub_f32_e32 v23, v23, v26
	s_delay_alu instid0(VALU_DEP_1) | instskip(NEXT) | instid1(VALU_DEP_1)
	v_add_f32_e32 v6, v6, v23
	v_add_f32_e32 v6, v11, v6
	s_delay_alu instid0(VALU_DEP_1) | instskip(NEXT) | instid1(VALU_DEP_1)
	v_add_f32_e32 v11, v27, v6
	v_mul_f32_e32 v21, v10, v11
	s_delay_alu instid0(VALU_DEP_1) | instskip(NEXT) | instid1(VALU_DEP_1)
	v_dual_sub_f32 v26, v27, v11 :: v_dual_mul_f32 v23, v22, v21
	v_add_f32_e32 v6, v6, v26
	s_delay_alu instid0(VALU_DEP_2) | instskip(NEXT) | instid1(VALU_DEP_1)
	v_fma_f32 v22, v21, v22, -v23
	v_fmac_f32_e32 v22, v21, v12
	s_delay_alu instid0(VALU_DEP_1) | instskip(NEXT) | instid1(VALU_DEP_1)
	v_add_f32_e32 v12, v23, v22
	v_sub_f32_e32 v25, v11, v12
	v_sub_f32_e32 v23, v12, v23
	s_delay_alu instid0(VALU_DEP_2) | instskip(NEXT) | instid1(VALU_DEP_1)
	v_sub_f32_e32 v11, v11, v25
	v_sub_f32_e32 v11, v11, v12
	s_delay_alu instid0(VALU_DEP_1) | instskip(NEXT) | instid1(VALU_DEP_4)
	v_dual_add_f32 v6, v6, v11 :: v_dual_add_f32 v11, v24, v21
	v_sub_f32_e32 v12, v23, v22
	s_delay_alu instid0(VALU_DEP_1) | instskip(NEXT) | instid1(VALU_DEP_3)
	v_add_f32_e32 v6, v12, v6
	v_sub_f32_e32 v12, v11, v24
	s_delay_alu instid0(VALU_DEP_2) | instskip(NEXT) | instid1(VALU_DEP_2)
	v_add_f32_e32 v6, v25, v6
	v_sub_f32_e32 v12, v21, v12
	s_delay_alu instid0(VALU_DEP_2) | instskip(NEXT) | instid1(VALU_DEP_1)
	v_mul_f32_e32 v6, v10, v6
	v_add_f32_e32 v6, v12, v6
	s_delay_alu instid0(VALU_DEP_1) | instskip(NEXT) | instid1(VALU_DEP_1)
	v_add_f32_e32 v10, v11, v6
	v_mul_f32_e32 v12, v10, v10
	s_delay_alu instid0(VALU_DEP_1) | instskip(SKIP_2) | instid1(VALU_DEP_3)
	v_fmaak_f32 v21, s6, v12, 0x3ecc95a3
	v_mul_f32_e32 v22, v10, v12
	v_cmp_gt_f32_e64 s6, 0x33800000, |v9|
	v_fmaak_f32 v12, v12, v21, 0x3f2aaada
	v_ldexp_f32 v21, v10, 1
	v_sub_f32_e32 v10, v10, v11
	s_delay_alu instid0(VALU_DEP_4) | instskip(NEXT) | instid1(VALU_DEP_3)
	s_or_b32 vcc_lo, vcc_lo, s6
	v_mul_f32_e32 v12, v22, v12
	v_mul_f32_e32 v22, 0x3f317218, v5
	s_delay_alu instid0(VALU_DEP_2) | instskip(NEXT) | instid1(VALU_DEP_1)
	v_dual_sub_f32 v6, v6, v10 :: v_dual_add_f32 v11, v21, v12
	v_ldexp_f32 v6, v6, 1
	s_delay_alu instid0(VALU_DEP_2) | instskip(NEXT) | instid1(VALU_DEP_4)
	v_sub_f32_e32 v10, v11, v21
	v_fma_f32 v21, 0x3f317218, v5, -v22
	s_delay_alu instid0(VALU_DEP_1) | instskip(NEXT) | instid1(VALU_DEP_1)
	v_dual_sub_f32 v10, v12, v10 :: v_dual_fmamk_f32 v5, v5, 0xb102e308, v21
	v_add_f32_e32 v6, v6, v10
	s_delay_alu instid0(VALU_DEP_2) | instskip(NEXT) | instid1(VALU_DEP_2)
	v_add_f32_e32 v10, v22, v5
	v_add_f32_e32 v12, v11, v6
	s_delay_alu instid0(VALU_DEP_2) | instskip(NEXT) | instid1(VALU_DEP_2)
	v_sub_f32_e32 v22, v10, v22
	v_add_f32_e32 v21, v10, v12
	v_sub_f32_e32 v11, v12, v11
	s_delay_alu instid0(VALU_DEP_3) | instskip(NEXT) | instid1(VALU_DEP_2)
	v_sub_f32_e32 v5, v5, v22
	v_dual_sub_f32 v23, v21, v10 :: v_dual_sub_f32 v6, v6, v11
	s_delay_alu instid0(VALU_DEP_1) | instskip(NEXT) | instid1(VALU_DEP_2)
	v_sub_f32_e32 v24, v21, v23
	v_dual_sub_f32 v11, v12, v23 :: v_dual_add_f32 v12, v5, v6
	s_delay_alu instid0(VALU_DEP_2) | instskip(NEXT) | instid1(VALU_DEP_1)
	v_sub_f32_e32 v10, v10, v24
	v_dual_add_f32 v10, v11, v10 :: v_dual_sub_f32 v11, v12, v5
	s_delay_alu instid0(VALU_DEP_1) | instskip(NEXT) | instid1(VALU_DEP_2)
	v_add_f32_e32 v10, v12, v10
	v_sub_f32_e32 v12, v12, v11
	v_sub_f32_e32 v6, v6, v11
	s_delay_alu instid0(VALU_DEP_3) | instskip(NEXT) | instid1(VALU_DEP_3)
	v_add_f32_e32 v22, v21, v10
	v_sub_f32_e32 v5, v5, v12
	s_delay_alu instid0(VALU_DEP_2) | instskip(NEXT) | instid1(VALU_DEP_2)
	v_sub_f32_e32 v11, v22, v21
	v_add_f32_e32 v5, v6, v5
	s_delay_alu instid0(VALU_DEP_2) | instskip(NEXT) | instid1(VALU_DEP_1)
	v_sub_f32_e32 v6, v10, v11
	v_add_f32_e32 v5, v5, v6
	s_delay_alu instid0(VALU_DEP_1) | instskip(NEXT) | instid1(VALU_DEP_1)
	v_add_f32_e32 v5, v22, v5
	v_cndmask_b32_e32 v5, v5, v9, vcc_lo
	s_delay_alu instid0(VALU_DEP_1)
	v_add_f32_e32 v22, v4, v5
.LBB145_140:
	s_or_b32 exec_lo, exec_lo, s5
	s_delay_alu instid0(VALU_DEP_1)
	v_mov_b32_e32 v4, v22
.LBB145_141:
	s_or_b32 exec_lo, exec_lo, s7
	s_waitcnt lgkmcnt(0)
	s_delay_alu instid0(VALU_DEP_1) | instskip(SKIP_1) | instid1(VALU_DEP_2)
	v_dual_max_f32 v5, v4, v4 :: v_dual_max_f32 v6, v3, v3
	v_cmp_u_f32_e32 vcc_lo, v3, v3
	v_min_f32_e32 v9, v6, v5
	s_delay_alu instid0(VALU_DEP_1) | instskip(NEXT) | instid1(VALU_DEP_1)
	v_dual_max_f32 v5, v6, v5 :: v_dual_cndmask_b32 v6, v9, v3
	v_cndmask_b32_e32 v9, v5, v3, vcc_lo
	v_cmp_u_f32_e32 vcc_lo, v4, v4
	s_delay_alu instid0(VALU_DEP_3) | instskip(NEXT) | instid1(VALU_DEP_3)
	v_cndmask_b32_e32 v5, v6, v4, vcc_lo
	v_cndmask_b32_e32 v4, v9, v4, vcc_lo
	s_delay_alu instid0(VALU_DEP_2) | instskip(NEXT) | instid1(VALU_DEP_2)
	v_cmp_class_f32_e64 s5, v5, 0x1f8
	v_cmp_neq_f32_e32 vcc_lo, v5, v4
	s_delay_alu instid0(VALU_DEP_2) | instskip(NEXT) | instid1(SALU_CYCLE_1)
	s_or_b32 s6, vcc_lo, s5
	s_and_saveexec_b32 s5, s6
	s_cbranch_execz .LBB145_143
; %bb.142:
	v_sub_f32_e32 v3, v5, v4
	s_mov_b32 s6, 0x3e9b6dac
	s_delay_alu instid0(VALU_DEP_1) | instskip(SKIP_1) | instid1(VALU_DEP_2)
	v_mul_f32_e32 v5, 0x3fb8aa3b, v3
	v_cmp_ngt_f32_e32 vcc_lo, 0xc2ce8ed0, v3
	v_fma_f32 v6, 0x3fb8aa3b, v3, -v5
	v_rndne_f32_e32 v9, v5
	s_delay_alu instid0(VALU_DEP_1) | instskip(NEXT) | instid1(VALU_DEP_1)
	v_dual_fmamk_f32 v6, v3, 0x32a5705f, v6 :: v_dual_sub_f32 v5, v5, v9
	v_add_f32_e32 v5, v5, v6
	v_cvt_i32_f32_e32 v6, v9
	s_delay_alu instid0(VALU_DEP_2) | instskip(SKIP_2) | instid1(VALU_DEP_1)
	v_exp_f32_e32 v5, v5
	s_waitcnt_depctr 0xfff
	v_ldexp_f32 v5, v5, v6
	v_cndmask_b32_e32 v5, 0, v5, vcc_lo
	v_cmp_nlt_f32_e32 vcc_lo, 0x42b17218, v3
	s_delay_alu instid0(VALU_DEP_2) | instskip(NEXT) | instid1(VALU_DEP_1)
	v_cndmask_b32_e32 v3, 0x7f800000, v5, vcc_lo
	v_add_f32_e32 v9, 1.0, v3
	s_delay_alu instid0(VALU_DEP_1) | instskip(NEXT) | instid1(VALU_DEP_1)
	v_cvt_f64_f32_e32 v[5:6], v9
	v_frexp_exp_i32_f64_e32 v5, v[5:6]
	v_frexp_mant_f32_e32 v6, v9
	s_delay_alu instid0(VALU_DEP_1) | instskip(SKIP_1) | instid1(VALU_DEP_1)
	v_cmp_gt_f32_e32 vcc_lo, 0x3f2aaaab, v6
	v_add_f32_e32 v6, -1.0, v9
	v_dual_sub_f32 v11, v6, v9 :: v_dual_sub_f32 v6, v3, v6
	v_subrev_co_ci_u32_e32 v5, vcc_lo, 0, v5, vcc_lo
	s_delay_alu instid0(VALU_DEP_1) | instskip(SKIP_1) | instid1(VALU_DEP_2)
	v_sub_nc_u32_e32 v10, 0, v5
	v_cvt_f32_i32_e32 v5, v5
	v_ldexp_f32 v9, v9, v10
	s_delay_alu instid0(VALU_DEP_1) | instskip(NEXT) | instid1(VALU_DEP_1)
	v_dual_add_f32 v11, 1.0, v11 :: v_dual_add_f32 v12, 1.0, v9
	v_add_f32_e32 v6, v6, v11
	s_delay_alu instid0(VALU_DEP_1) | instskip(NEXT) | instid1(VALU_DEP_3)
	v_ldexp_f32 v6, v6, v10
	v_dual_add_f32 v10, -1.0, v9 :: v_dual_add_f32 v11, -1.0, v12
	s_delay_alu instid0(VALU_DEP_1) | instskip(NEXT) | instid1(VALU_DEP_2)
	v_add_f32_e32 v21, 1.0, v10
	v_sub_f32_e32 v11, v9, v11
	s_delay_alu instid0(VALU_DEP_2) | instskip(NEXT) | instid1(VALU_DEP_2)
	v_sub_f32_e32 v9, v9, v21
	v_add_f32_e32 v11, v6, v11
	s_delay_alu instid0(VALU_DEP_2) | instskip(NEXT) | instid1(VALU_DEP_1)
	v_add_f32_e32 v6, v6, v9
	v_dual_add_f32 v22, v10, v6 :: v_dual_add_f32 v21, v12, v11
	v_cmp_eq_f32_e32 vcc_lo, 0x7f800000, v3
	s_delay_alu instid0(VALU_DEP_2) | instskip(NEXT) | instid1(VALU_DEP_3)
	v_sub_f32_e32 v10, v10, v22
	v_rcp_f32_e32 v9, v21
	v_sub_f32_e32 v12, v12, v21
	s_delay_alu instid0(VALU_DEP_1) | instskip(SKIP_2) | instid1(VALU_DEP_1)
	v_dual_add_f32 v6, v6, v10 :: v_dual_add_f32 v11, v11, v12
	s_waitcnt_depctr 0xfff
	v_mul_f32_e32 v23, v22, v9
	v_mul_f32_e32 v24, v21, v23
	s_delay_alu instid0(VALU_DEP_1) | instskip(NEXT) | instid1(VALU_DEP_1)
	v_fma_f32 v12, v23, v21, -v24
	v_fmac_f32_e32 v12, v23, v11
	s_delay_alu instid0(VALU_DEP_1) | instskip(NEXT) | instid1(VALU_DEP_1)
	v_add_f32_e32 v25, v24, v12
	v_sub_f32_e32 v26, v22, v25
	s_delay_alu instid0(VALU_DEP_1) | instskip(NEXT) | instid1(VALU_DEP_1)
	v_sub_f32_e32 v22, v22, v26
	v_sub_f32_e32 v22, v22, v25
	s_delay_alu instid0(VALU_DEP_1) | instskip(SKIP_1) | instid1(VALU_DEP_1)
	v_add_f32_e32 v6, v6, v22
	v_sub_f32_e32 v10, v25, v24
	v_sub_f32_e32 v10, v10, v12
	s_delay_alu instid0(VALU_DEP_1) | instskip(NEXT) | instid1(VALU_DEP_1)
	v_add_f32_e32 v6, v10, v6
	v_add_f32_e32 v10, v26, v6
	s_delay_alu instid0(VALU_DEP_1) | instskip(NEXT) | instid1(VALU_DEP_1)
	v_mul_f32_e32 v12, v9, v10
	v_dual_sub_f32 v25, v26, v10 :: v_dual_mul_f32 v22, v21, v12
	s_delay_alu instid0(VALU_DEP_1) | instskip(NEXT) | instid1(VALU_DEP_2)
	v_add_f32_e32 v6, v6, v25
	v_fma_f32 v21, v12, v21, -v22
	s_delay_alu instid0(VALU_DEP_1) | instskip(NEXT) | instid1(VALU_DEP_1)
	v_fmac_f32_e32 v21, v12, v11
	v_add_f32_e32 v11, v22, v21
	s_delay_alu instid0(VALU_DEP_1) | instskip(NEXT) | instid1(VALU_DEP_1)
	v_sub_f32_e32 v24, v10, v11
	v_sub_f32_e32 v10, v10, v24
	s_delay_alu instid0(VALU_DEP_1) | instskip(NEXT) | instid1(VALU_DEP_1)
	v_sub_f32_e32 v10, v10, v11
	v_add_f32_e32 v6, v6, v10
	v_add_f32_e32 v10, v23, v12
	v_sub_f32_e32 v22, v11, v22
	s_delay_alu instid0(VALU_DEP_1) | instskip(NEXT) | instid1(VALU_DEP_1)
	v_sub_f32_e32 v11, v22, v21
	v_dual_add_f32 v6, v11, v6 :: v_dual_sub_f32 v11, v10, v23
	s_delay_alu instid0(VALU_DEP_1) | instskip(NEXT) | instid1(VALU_DEP_1)
	v_add_f32_e32 v6, v24, v6
	v_dual_sub_f32 v11, v12, v11 :: v_dual_mul_f32 v6, v9, v6
	s_delay_alu instid0(VALU_DEP_1) | instskip(NEXT) | instid1(VALU_DEP_1)
	v_add_f32_e32 v6, v11, v6
	v_add_f32_e32 v9, v10, v6
	s_delay_alu instid0(VALU_DEP_1) | instskip(NEXT) | instid1(VALU_DEP_1)
	v_mul_f32_e32 v11, v9, v9
	v_fmaak_f32 v12, s6, v11, 0x3ecc95a3
	v_mul_f32_e32 v21, v9, v11
	v_cmp_gt_f32_e64 s6, 0x33800000, |v3|
	s_delay_alu instid0(VALU_DEP_3) | instskip(SKIP_2) | instid1(VALU_DEP_4)
	v_fmaak_f32 v11, v11, v12, 0x3f2aaada
	v_ldexp_f32 v12, v9, 1
	v_sub_f32_e32 v9, v9, v10
	s_or_b32 vcc_lo, vcc_lo, s6
	s_delay_alu instid0(VALU_DEP_3) | instskip(SKIP_1) | instid1(VALU_DEP_3)
	v_mul_f32_e32 v11, v21, v11
	v_mul_f32_e32 v21, 0x3f317218, v5
	v_sub_f32_e32 v6, v6, v9
	s_delay_alu instid0(VALU_DEP_3) | instskip(NEXT) | instid1(VALU_DEP_2)
	v_add_f32_e32 v10, v12, v11
	v_ldexp_f32 v6, v6, 1
	s_delay_alu instid0(VALU_DEP_2) | instskip(SKIP_1) | instid1(VALU_DEP_2)
	v_sub_f32_e32 v9, v10, v12
	v_fma_f32 v12, 0x3f317218, v5, -v21
	v_sub_f32_e32 v9, v11, v9
	s_delay_alu instid0(VALU_DEP_1) | instskip(NEXT) | instid1(VALU_DEP_1)
	v_dual_fmamk_f32 v5, v5, 0xb102e308, v12 :: v_dual_add_f32 v6, v6, v9
	v_add_f32_e32 v9, v21, v5
	s_delay_alu instid0(VALU_DEP_2) | instskip(NEXT) | instid1(VALU_DEP_1)
	v_add_f32_e32 v11, v10, v6
	v_add_f32_e32 v12, v9, v11
	s_delay_alu instid0(VALU_DEP_1) | instskip(SKIP_1) | instid1(VALU_DEP_2)
	v_sub_f32_e32 v22, v12, v9
	v_dual_sub_f32 v21, v9, v21 :: v_dual_sub_f32 v10, v11, v10
	v_sub_f32_e32 v23, v12, v22
	s_delay_alu instid0(VALU_DEP_1) | instskip(NEXT) | instid1(VALU_DEP_3)
	v_sub_f32_e32 v9, v9, v23
	v_dual_sub_f32 v5, v5, v21 :: v_dual_sub_f32 v6, v6, v10
	v_sub_f32_e32 v10, v11, v22
	s_delay_alu instid0(VALU_DEP_2) | instskip(NEXT) | instid1(VALU_DEP_2)
	v_add_f32_e32 v11, v5, v6
	v_add_f32_e32 v9, v10, v9
	s_delay_alu instid0(VALU_DEP_2) | instskip(NEXT) | instid1(VALU_DEP_2)
	v_sub_f32_e32 v10, v11, v5
	v_add_f32_e32 v9, v11, v9
	s_delay_alu instid0(VALU_DEP_1) | instskip(NEXT) | instid1(VALU_DEP_3)
	v_add_f32_e32 v21, v12, v9
	v_sub_f32_e32 v11, v11, v10
	s_delay_alu instid0(VALU_DEP_1) | instskip(NEXT) | instid1(VALU_DEP_1)
	v_dual_sub_f32 v5, v5, v11 :: v_dual_sub_f32 v6, v6, v10
	v_dual_sub_f32 v10, v21, v12 :: v_dual_add_f32 v5, v6, v5
	s_delay_alu instid0(VALU_DEP_1) | instskip(NEXT) | instid1(VALU_DEP_1)
	v_sub_f32_e32 v6, v9, v10
	v_add_f32_e32 v5, v5, v6
	s_delay_alu instid0(VALU_DEP_1) | instskip(NEXT) | instid1(VALU_DEP_1)
	v_add_f32_e32 v5, v21, v5
	v_cndmask_b32_e32 v3, v5, v3, vcc_lo
	s_delay_alu instid0(VALU_DEP_1)
	v_add_f32_e32 v3, v4, v3
.LBB145_143:
	s_or_b32 exec_lo, exec_lo, s5
	s_delay_alu instid0(VALU_DEP_1) | instskip(SKIP_1) | instid1(VALU_DEP_2)
	v_max_f32_e32 v4, v3, v3
	v_cmp_u_f32_e32 vcc_lo, v3, v3
	v_min_f32_e32 v5, v4, v18
	s_delay_alu instid0(VALU_DEP_1) | instskip(NEXT) | instid1(VALU_DEP_1)
	v_dual_max_f32 v4, v4, v18 :: v_dual_cndmask_b32 v5, v5, v3
	v_cndmask_b32_e32 v4, v4, v3, vcc_lo
	s_delay_alu instid0(VALU_DEP_2) | instskip(NEXT) | instid1(VALU_DEP_2)
	v_cndmask_b32_e64 v6, v5, v2, s2
	v_cndmask_b32_e64 v5, v4, v2, s2
	v_mov_b32_e32 v4, v3
	s_delay_alu instid0(VALU_DEP_3) | instskip(NEXT) | instid1(VALU_DEP_3)
	v_cmp_class_f32_e64 s2, v6, 0x1f8
	v_cmp_neq_f32_e32 vcc_lo, v6, v5
	s_delay_alu instid0(VALU_DEP_2) | instskip(NEXT) | instid1(SALU_CYCLE_1)
	s_or_b32 s5, vcc_lo, s2
	s_and_saveexec_b32 s2, s5
	s_cbranch_execz .LBB145_145
; %bb.144:
	v_sub_f32_e32 v4, v6, v5
	s_mov_b32 s5, 0x3e9b6dac
	s_delay_alu instid0(VALU_DEP_1) | instskip(SKIP_1) | instid1(VALU_DEP_2)
	v_mul_f32_e32 v6, 0x3fb8aa3b, v4
	v_cmp_ngt_f32_e32 vcc_lo, 0xc2ce8ed0, v4
	v_fma_f32 v9, 0x3fb8aa3b, v4, -v6
	v_rndne_f32_e32 v10, v6
	s_delay_alu instid0(VALU_DEP_1) | instskip(NEXT) | instid1(VALU_DEP_1)
	v_dual_fmamk_f32 v9, v4, 0x32a5705f, v9 :: v_dual_sub_f32 v6, v6, v10
	v_add_f32_e32 v6, v6, v9
	v_cvt_i32_f32_e32 v9, v10
	s_delay_alu instid0(VALU_DEP_2) | instskip(SKIP_2) | instid1(VALU_DEP_1)
	v_exp_f32_e32 v6, v6
	s_waitcnt_depctr 0xfff
	v_ldexp_f32 v6, v6, v9
	v_cndmask_b32_e32 v6, 0, v6, vcc_lo
	v_cmp_nlt_f32_e32 vcc_lo, 0x42b17218, v4
	s_delay_alu instid0(VALU_DEP_2) | instskip(NEXT) | instid1(VALU_DEP_1)
	v_cndmask_b32_e32 v4, 0x7f800000, v6, vcc_lo
	v_add_f32_e32 v6, 1.0, v4
	s_delay_alu instid0(VALU_DEP_1) | instskip(NEXT) | instid1(VALU_DEP_1)
	v_cvt_f64_f32_e32 v[9:10], v6
	v_frexp_exp_i32_f64_e32 v9, v[9:10]
	v_frexp_mant_f32_e32 v10, v6
	s_delay_alu instid0(VALU_DEP_1) | instskip(SKIP_1) | instid1(VALU_DEP_1)
	v_cmp_gt_f32_e32 vcc_lo, 0x3f2aaaab, v10
	v_add_f32_e32 v10, -1.0, v6
	v_sub_f32_e32 v12, v10, v6
	v_sub_f32_e32 v10, v4, v10
	v_subrev_co_ci_u32_e32 v9, vcc_lo, 0, v9, vcc_lo
	s_delay_alu instid0(VALU_DEP_1) | instskip(SKIP_1) | instid1(VALU_DEP_2)
	v_sub_nc_u32_e32 v11, 0, v9
	v_cvt_f32_i32_e32 v9, v9
	v_ldexp_f32 v6, v6, v11
	s_delay_alu instid0(VALU_DEP_1) | instskip(NEXT) | instid1(VALU_DEP_1)
	v_dual_add_f32 v12, 1.0, v12 :: v_dual_add_f32 v21, 1.0, v6
	v_add_f32_e32 v10, v10, v12
	s_delay_alu instid0(VALU_DEP_2) | instskip(NEXT) | instid1(VALU_DEP_2)
	v_add_f32_e32 v12, -1.0, v21
	v_ldexp_f32 v10, v10, v11
	s_delay_alu instid0(VALU_DEP_2) | instskip(NEXT) | instid1(VALU_DEP_1)
	v_dual_add_f32 v11, -1.0, v6 :: v_dual_sub_f32 v12, v6, v12
	v_add_f32_e32 v22, 1.0, v11
	s_delay_alu instid0(VALU_DEP_2) | instskip(NEXT) | instid1(VALU_DEP_2)
	v_add_f32_e32 v12, v10, v12
	v_sub_f32_e32 v6, v6, v22
	s_delay_alu instid0(VALU_DEP_2) | instskip(NEXT) | instid1(VALU_DEP_2)
	v_add_f32_e32 v22, v21, v12
	v_add_f32_e32 v6, v10, v6
	s_delay_alu instid0(VALU_DEP_2) | instskip(SKIP_1) | instid1(VALU_DEP_1)
	v_rcp_f32_e32 v10, v22
	v_sub_f32_e32 v21, v21, v22
	v_dual_add_f32 v23, v11, v6 :: v_dual_add_f32 v12, v12, v21
	s_delay_alu instid0(VALU_DEP_1) | instskip(SKIP_4) | instid1(VALU_DEP_2)
	v_sub_f32_e32 v11, v11, v23
	v_cmp_eq_f32_e32 vcc_lo, 0x7f800000, v4
	s_waitcnt_depctr 0xfff
	v_mul_f32_e32 v24, v23, v10
	v_add_f32_e32 v6, v6, v11
	v_mul_f32_e32 v25, v22, v24
	s_delay_alu instid0(VALU_DEP_1) | instskip(NEXT) | instid1(VALU_DEP_1)
	v_fma_f32 v21, v24, v22, -v25
	v_fmac_f32_e32 v21, v24, v12
	s_delay_alu instid0(VALU_DEP_1) | instskip(NEXT) | instid1(VALU_DEP_1)
	v_add_f32_e32 v26, v25, v21
	v_sub_f32_e32 v27, v23, v26
	v_sub_f32_e32 v11, v26, v25
	s_delay_alu instid0(VALU_DEP_2) | instskip(NEXT) | instid1(VALU_DEP_2)
	v_sub_f32_e32 v23, v23, v27
	v_sub_f32_e32 v11, v11, v21
	s_delay_alu instid0(VALU_DEP_2) | instskip(NEXT) | instid1(VALU_DEP_1)
	v_sub_f32_e32 v23, v23, v26
	v_add_f32_e32 v6, v6, v23
	s_delay_alu instid0(VALU_DEP_1) | instskip(NEXT) | instid1(VALU_DEP_1)
	v_add_f32_e32 v6, v11, v6
	v_add_f32_e32 v11, v27, v6
	s_delay_alu instid0(VALU_DEP_1) | instskip(NEXT) | instid1(VALU_DEP_1)
	v_mul_f32_e32 v21, v10, v11
	v_dual_sub_f32 v26, v27, v11 :: v_dual_mul_f32 v23, v22, v21
	s_delay_alu instid0(VALU_DEP_1) | instskip(NEXT) | instid1(VALU_DEP_2)
	v_add_f32_e32 v6, v6, v26
	v_fma_f32 v22, v21, v22, -v23
	s_delay_alu instid0(VALU_DEP_1) | instskip(NEXT) | instid1(VALU_DEP_1)
	v_fmac_f32_e32 v22, v21, v12
	v_add_f32_e32 v12, v23, v22
	s_delay_alu instid0(VALU_DEP_1) | instskip(SKIP_1) | instid1(VALU_DEP_2)
	v_sub_f32_e32 v25, v11, v12
	v_sub_f32_e32 v23, v12, v23
	;; [unrolled: 1-line block ×3, first 2 shown]
	s_delay_alu instid0(VALU_DEP_1) | instskip(NEXT) | instid1(VALU_DEP_3)
	v_sub_f32_e32 v11, v11, v12
	v_sub_f32_e32 v12, v23, v22
	s_delay_alu instid0(VALU_DEP_2) | instskip(NEXT) | instid1(VALU_DEP_1)
	v_dual_add_f32 v6, v6, v11 :: v_dual_add_f32 v11, v24, v21
	v_add_f32_e32 v6, v12, v6
	s_delay_alu instid0(VALU_DEP_2) | instskip(NEXT) | instid1(VALU_DEP_2)
	v_sub_f32_e32 v12, v11, v24
	v_add_f32_e32 v6, v25, v6
	s_delay_alu instid0(VALU_DEP_2) | instskip(NEXT) | instid1(VALU_DEP_2)
	v_sub_f32_e32 v12, v21, v12
	v_mul_f32_e32 v6, v10, v6
	s_delay_alu instid0(VALU_DEP_1) | instskip(NEXT) | instid1(VALU_DEP_1)
	v_add_f32_e32 v6, v12, v6
	v_add_f32_e32 v10, v11, v6
	s_delay_alu instid0(VALU_DEP_1) | instskip(NEXT) | instid1(VALU_DEP_1)
	v_mul_f32_e32 v12, v10, v10
	v_fmaak_f32 v21, s5, v12, 0x3ecc95a3
	v_mul_f32_e32 v22, v10, v12
	v_cmp_gt_f32_e64 s5, 0x33800000, |v4|
	s_delay_alu instid0(VALU_DEP_3) | instskip(SKIP_2) | instid1(VALU_DEP_4)
	v_fmaak_f32 v12, v12, v21, 0x3f2aaada
	v_ldexp_f32 v21, v10, 1
	v_sub_f32_e32 v10, v10, v11
	s_or_b32 vcc_lo, vcc_lo, s5
	s_delay_alu instid0(VALU_DEP_3) | instskip(SKIP_1) | instid1(VALU_DEP_2)
	v_mul_f32_e32 v12, v22, v12
	v_mul_f32_e32 v22, 0x3f317218, v9
	v_dual_sub_f32 v6, v6, v10 :: v_dual_add_f32 v11, v21, v12
	s_delay_alu instid0(VALU_DEP_1) | instskip(NEXT) | instid1(VALU_DEP_2)
	v_ldexp_f32 v6, v6, 1
	v_sub_f32_e32 v10, v11, v21
	s_delay_alu instid0(VALU_DEP_4) | instskip(NEXT) | instid1(VALU_DEP_1)
	v_fma_f32 v21, 0x3f317218, v9, -v22
	v_dual_sub_f32 v10, v12, v10 :: v_dual_fmamk_f32 v9, v9, 0xb102e308, v21
	s_delay_alu instid0(VALU_DEP_1) | instskip(NEXT) | instid1(VALU_DEP_2)
	v_add_f32_e32 v6, v6, v10
	v_add_f32_e32 v10, v22, v9
	s_delay_alu instid0(VALU_DEP_2) | instskip(NEXT) | instid1(VALU_DEP_2)
	v_add_f32_e32 v12, v11, v6
	v_sub_f32_e32 v22, v10, v22
	s_delay_alu instid0(VALU_DEP_2) | instskip(SKIP_1) | instid1(VALU_DEP_3)
	v_add_f32_e32 v21, v10, v12
	v_sub_f32_e32 v11, v12, v11
	v_sub_f32_e32 v9, v9, v22
	s_delay_alu instid0(VALU_DEP_2) | instskip(NEXT) | instid1(VALU_DEP_1)
	v_dual_sub_f32 v23, v21, v10 :: v_dual_sub_f32 v6, v6, v11
	v_sub_f32_e32 v24, v21, v23
	s_delay_alu instid0(VALU_DEP_2) | instskip(NEXT) | instid1(VALU_DEP_2)
	v_dual_sub_f32 v11, v12, v23 :: v_dual_add_f32 v12, v9, v6
	v_sub_f32_e32 v10, v10, v24
	s_delay_alu instid0(VALU_DEP_1) | instskip(NEXT) | instid1(VALU_DEP_1)
	v_dual_add_f32 v10, v11, v10 :: v_dual_sub_f32 v11, v12, v9
	v_add_f32_e32 v10, v12, v10
	s_delay_alu instid0(VALU_DEP_2) | instskip(SKIP_1) | instid1(VALU_DEP_3)
	v_sub_f32_e32 v12, v12, v11
	v_sub_f32_e32 v6, v6, v11
	v_add_f32_e32 v22, v21, v10
	s_delay_alu instid0(VALU_DEP_3) | instskip(NEXT) | instid1(VALU_DEP_2)
	v_sub_f32_e32 v9, v9, v12
	v_sub_f32_e32 v11, v22, v21
	s_delay_alu instid0(VALU_DEP_2) | instskip(NEXT) | instid1(VALU_DEP_2)
	v_add_f32_e32 v6, v6, v9
	v_sub_f32_e32 v9, v10, v11
	s_delay_alu instid0(VALU_DEP_1) | instskip(NEXT) | instid1(VALU_DEP_1)
	v_add_f32_e32 v6, v6, v9
	v_add_f32_e32 v6, v22, v6
	s_delay_alu instid0(VALU_DEP_1) | instskip(NEXT) | instid1(VALU_DEP_1)
	v_cndmask_b32_e32 v4, v6, v4, vcc_lo
	v_add_f32_e32 v4, v5, v4
.LBB145_145:
	s_or_b32 exec_lo, exec_lo, s2
	s_delay_alu instid0(VALU_DEP_1) | instskip(SKIP_1) | instid1(VALU_DEP_2)
	v_max_f32_e32 v5, v4, v4
	v_cmp_u_f32_e32 vcc_lo, v4, v4
	v_min_f32_e32 v6, v5, v19
	s_delay_alu instid0(VALU_DEP_1) | instskip(NEXT) | instid1(VALU_DEP_1)
	v_dual_max_f32 v5, v5, v19 :: v_dual_cndmask_b32 v6, v6, v4
	v_cndmask_b32_e32 v5, v5, v4, vcc_lo
	s_delay_alu instid0(VALU_DEP_2) | instskip(NEXT) | instid1(VALU_DEP_2)
	v_cndmask_b32_e64 v9, v6, v7, s3
	v_cndmask_b32_e64 v6, v5, v7, s3
	v_mov_b32_e32 v5, v4
	s_delay_alu instid0(VALU_DEP_3) | instskip(NEXT) | instid1(VALU_DEP_3)
	v_cmp_class_f32_e64 s2, v9, 0x1f8
	v_cmp_neq_f32_e32 vcc_lo, v9, v6
	s_delay_alu instid0(VALU_DEP_2) | instskip(NEXT) | instid1(SALU_CYCLE_1)
	s_or_b32 s3, vcc_lo, s2
	s_and_saveexec_b32 s2, s3
	s_cbranch_execz .LBB145_147
; %bb.146:
	v_sub_f32_e32 v5, v9, v6
	s_mov_b32 s3, 0x3e9b6dac
	s_delay_alu instid0(VALU_DEP_1) | instskip(SKIP_1) | instid1(VALU_DEP_2)
	v_mul_f32_e32 v9, 0x3fb8aa3b, v5
	v_cmp_ngt_f32_e32 vcc_lo, 0xc2ce8ed0, v5
	v_fma_f32 v10, 0x3fb8aa3b, v5, -v9
	v_rndne_f32_e32 v11, v9
	s_delay_alu instid0(VALU_DEP_2) | instskip(NEXT) | instid1(VALU_DEP_2)
	v_fmamk_f32 v10, v5, 0x32a5705f, v10
	v_sub_f32_e32 v9, v9, v11
	s_delay_alu instid0(VALU_DEP_1) | instskip(SKIP_1) | instid1(VALU_DEP_2)
	v_add_f32_e32 v9, v9, v10
	v_cvt_i32_f32_e32 v10, v11
	v_exp_f32_e32 v9, v9
	s_waitcnt_depctr 0xfff
	v_ldexp_f32 v9, v9, v10
	s_delay_alu instid0(VALU_DEP_1) | instskip(SKIP_1) | instid1(VALU_DEP_2)
	v_cndmask_b32_e32 v9, 0, v9, vcc_lo
	v_cmp_nlt_f32_e32 vcc_lo, 0x42b17218, v5
	v_cndmask_b32_e32 v5, 0x7f800000, v9, vcc_lo
	s_delay_alu instid0(VALU_DEP_1) | instskip(NEXT) | instid1(VALU_DEP_1)
	v_add_f32_e32 v11, 1.0, v5
	v_cvt_f64_f32_e32 v[9:10], v11
	s_delay_alu instid0(VALU_DEP_1) | instskip(SKIP_1) | instid1(VALU_DEP_1)
	v_frexp_exp_i32_f64_e32 v9, v[9:10]
	v_frexp_mant_f32_e32 v10, v11
	v_cmp_gt_f32_e32 vcc_lo, 0x3f2aaaab, v10
	v_add_f32_e32 v10, -1.0, v11
	s_delay_alu instid0(VALU_DEP_1) | instskip(NEXT) | instid1(VALU_DEP_1)
	v_dual_sub_f32 v19, v10, v11 :: v_dual_sub_f32 v10, v5, v10
	v_add_f32_e32 v19, 1.0, v19
	s_delay_alu instid0(VALU_DEP_1) | instskip(SKIP_1) | instid1(VALU_DEP_1)
	v_add_f32_e32 v10, v10, v19
	v_subrev_co_ci_u32_e32 v9, vcc_lo, 0, v9, vcc_lo
	v_sub_nc_u32_e32 v12, 0, v9
	v_cvt_f32_i32_e32 v9, v9
	s_delay_alu instid0(VALU_DEP_2) | instskip(SKIP_1) | instid1(VALU_DEP_2)
	v_ldexp_f32 v11, v11, v12
	v_ldexp_f32 v10, v10, v12
	v_add_f32_e32 v21, 1.0, v11
	v_add_f32_e32 v12, -1.0, v11
	v_cmp_eq_f32_e32 vcc_lo, 0x7f800000, v5
	s_delay_alu instid0(VALU_DEP_2) | instskip(NEXT) | instid1(VALU_DEP_1)
	v_dual_add_f32 v19, -1.0, v21 :: v_dual_add_f32 v22, 1.0, v12
	v_sub_f32_e32 v19, v11, v19
	s_delay_alu instid0(VALU_DEP_2) | instskip(NEXT) | instid1(VALU_DEP_2)
	v_sub_f32_e32 v11, v11, v22
	v_add_f32_e32 v19, v10, v19
	s_delay_alu instid0(VALU_DEP_2) | instskip(NEXT) | instid1(VALU_DEP_2)
	v_add_f32_e32 v10, v10, v11
	v_add_f32_e32 v22, v21, v19
	s_delay_alu instid0(VALU_DEP_1) | instskip(SKIP_1) | instid1(VALU_DEP_1)
	v_rcp_f32_e32 v11, v22
	v_sub_f32_e32 v21, v21, v22
	v_add_f32_e32 v19, v19, v21
	v_add_f32_e32 v23, v12, v10
	s_waitcnt_depctr 0xfff
	v_mul_f32_e32 v24, v23, v11
	s_delay_alu instid0(VALU_DEP_1) | instskip(NEXT) | instid1(VALU_DEP_1)
	v_dual_sub_f32 v12, v12, v23 :: v_dual_mul_f32 v25, v22, v24
	v_add_f32_e32 v10, v10, v12
	s_delay_alu instid0(VALU_DEP_2) | instskip(NEXT) | instid1(VALU_DEP_1)
	v_fma_f32 v21, v24, v22, -v25
	v_fmac_f32_e32 v21, v24, v19
	s_delay_alu instid0(VALU_DEP_1) | instskip(NEXT) | instid1(VALU_DEP_1)
	v_add_f32_e32 v26, v25, v21
	v_dual_sub_f32 v27, v23, v26 :: v_dual_sub_f32 v12, v26, v25
	s_delay_alu instid0(VALU_DEP_1) | instskip(NEXT) | instid1(VALU_DEP_1)
	v_dual_sub_f32 v23, v23, v27 :: v_dual_sub_f32 v12, v12, v21
	v_sub_f32_e32 v23, v23, v26
	s_delay_alu instid0(VALU_DEP_1) | instskip(NEXT) | instid1(VALU_DEP_1)
	v_add_f32_e32 v10, v10, v23
	v_add_f32_e32 v10, v12, v10
	s_delay_alu instid0(VALU_DEP_1) | instskip(NEXT) | instid1(VALU_DEP_1)
	v_add_f32_e32 v12, v27, v10
	v_mul_f32_e32 v21, v11, v12
	s_delay_alu instid0(VALU_DEP_1) | instskip(NEXT) | instid1(VALU_DEP_1)
	v_dual_sub_f32 v26, v27, v12 :: v_dual_mul_f32 v23, v22, v21
	v_add_f32_e32 v10, v10, v26
	s_delay_alu instid0(VALU_DEP_2) | instskip(NEXT) | instid1(VALU_DEP_1)
	v_fma_f32 v22, v21, v22, -v23
	v_fmac_f32_e32 v22, v21, v19
	s_delay_alu instid0(VALU_DEP_1) | instskip(NEXT) | instid1(VALU_DEP_1)
	v_add_f32_e32 v19, v23, v22
	v_sub_f32_e32 v25, v12, v19
	s_delay_alu instid0(VALU_DEP_1) | instskip(NEXT) | instid1(VALU_DEP_1)
	v_dual_sub_f32 v23, v19, v23 :: v_dual_sub_f32 v12, v12, v25
	v_dual_sub_f32 v12, v12, v19 :: v_dual_sub_f32 v19, v23, v22
	s_delay_alu instid0(VALU_DEP_1) | instskip(NEXT) | instid1(VALU_DEP_1)
	v_add_f32_e32 v10, v10, v12
	v_add_f32_e32 v10, v19, v10
	s_delay_alu instid0(VALU_DEP_1) | instskip(SKIP_1) | instid1(VALU_DEP_1)
	v_add_f32_e32 v10, v25, v10
	v_add_f32_e32 v12, v24, v21
	v_dual_mul_f32 v10, v11, v10 :: v_dual_sub_f32 v19, v12, v24
	s_delay_alu instid0(VALU_DEP_1) | instskip(NEXT) | instid1(VALU_DEP_1)
	v_sub_f32_e32 v19, v21, v19
	v_add_f32_e32 v10, v19, v10
	s_delay_alu instid0(VALU_DEP_1) | instskip(NEXT) | instid1(VALU_DEP_1)
	v_add_f32_e32 v11, v12, v10
	v_mul_f32_e32 v19, v11, v11
	s_delay_alu instid0(VALU_DEP_1) | instskip(SKIP_2) | instid1(VALU_DEP_3)
	v_fmaak_f32 v21, s3, v19, 0x3ecc95a3
	v_mul_f32_e32 v22, v11, v19
	v_cmp_gt_f32_e64 s3, 0x33800000, |v5|
	v_fmaak_f32 v19, v19, v21, 0x3f2aaada
	v_ldexp_f32 v21, v11, 1
	v_sub_f32_e32 v11, v11, v12
	s_delay_alu instid0(VALU_DEP_4) | instskip(NEXT) | instid1(VALU_DEP_3)
	s_or_b32 vcc_lo, vcc_lo, s3
	v_dual_mul_f32 v19, v22, v19 :: v_dual_mul_f32 v22, 0x3f317218, v9
	s_delay_alu instid0(VALU_DEP_2) | instskip(NEXT) | instid1(VALU_DEP_2)
	v_sub_f32_e32 v10, v10, v11
	v_add_f32_e32 v12, v21, v19
	s_delay_alu instid0(VALU_DEP_2) | instskip(NEXT) | instid1(VALU_DEP_2)
	v_ldexp_f32 v10, v10, 1
	v_sub_f32_e32 v11, v12, v21
	v_fma_f32 v21, 0x3f317218, v9, -v22
	s_delay_alu instid0(VALU_DEP_2) | instskip(NEXT) | instid1(VALU_DEP_1)
	v_sub_f32_e32 v11, v19, v11
	v_add_f32_e32 v10, v10, v11
	s_delay_alu instid0(VALU_DEP_1) | instskip(NEXT) | instid1(VALU_DEP_1)
	v_add_f32_e32 v19, v12, v10
	v_dual_fmamk_f32 v9, v9, 0xb102e308, v21 :: v_dual_sub_f32 v12, v19, v12
	s_delay_alu instid0(VALU_DEP_1) | instskip(NEXT) | instid1(VALU_DEP_1)
	v_add_f32_e32 v11, v22, v9
	v_dual_sub_f32 v10, v10, v12 :: v_dual_add_f32 v21, v11, v19
	s_delay_alu instid0(VALU_DEP_1) | instskip(NEXT) | instid1(VALU_DEP_1)
	v_sub_f32_e32 v23, v21, v11
	v_sub_f32_e32 v24, v21, v23
	;; [unrolled: 1-line block ×4, first 2 shown]
	s_delay_alu instid0(VALU_DEP_3) | instskip(NEXT) | instid1(VALU_DEP_2)
	v_sub_f32_e32 v11, v11, v24
	v_sub_f32_e32 v9, v9, v22
	s_delay_alu instid0(VALU_DEP_2) | instskip(NEXT) | instid1(VALU_DEP_2)
	v_add_f32_e32 v11, v12, v11
	v_add_f32_e32 v19, v9, v10
	s_delay_alu instid0(VALU_DEP_1) | instskip(NEXT) | instid1(VALU_DEP_3)
	v_sub_f32_e32 v12, v19, v9
	v_add_f32_e32 v11, v19, v11
	s_delay_alu instid0(VALU_DEP_1) | instskip(SKIP_1) | instid1(VALU_DEP_2)
	v_dual_sub_f32 v19, v19, v12 :: v_dual_add_f32 v22, v21, v11
	v_sub_f32_e32 v10, v10, v12
	v_dual_sub_f32 v12, v22, v21 :: v_dual_sub_f32 v9, v9, v19
	s_delay_alu instid0(VALU_DEP_1) | instskip(NEXT) | instid1(VALU_DEP_1)
	v_dual_add_f32 v9, v10, v9 :: v_dual_sub_f32 v10, v11, v12
	v_add_f32_e32 v9, v9, v10
	s_delay_alu instid0(VALU_DEP_1) | instskip(NEXT) | instid1(VALU_DEP_1)
	v_add_f32_e32 v9, v22, v9
	v_cndmask_b32_e32 v5, v9, v5, vcc_lo
	s_delay_alu instid0(VALU_DEP_1)
	v_add_f32_e32 v5, v6, v5
.LBB145_147:
	s_or_b32 exec_lo, exec_lo, s2
	s_delay_alu instid0(VALU_DEP_1) | instskip(SKIP_1) | instid1(VALU_DEP_2)
	v_max_f32_e32 v6, v5, v5
	v_cmp_u_f32_e32 vcc_lo, v5, v5
	v_min_f32_e32 v9, v6, v20
	s_delay_alu instid0(VALU_DEP_1) | instskip(NEXT) | instid1(VALU_DEP_1)
	v_dual_max_f32 v6, v6, v20 :: v_dual_cndmask_b32 v9, v9, v5
	v_cndmask_b32_e32 v6, v6, v5, vcc_lo
	s_delay_alu instid0(VALU_DEP_2) | instskip(NEXT) | instid1(VALU_DEP_2)
	v_cndmask_b32_e64 v10, v9, v8, s4
	v_cndmask_b32_e64 v9, v6, v8, s4
	v_mov_b32_e32 v6, v5
	s_delay_alu instid0(VALU_DEP_3) | instskip(NEXT) | instid1(VALU_DEP_3)
	v_cmp_class_f32_e64 s2, v10, 0x1f8
	v_cmp_neq_f32_e32 vcc_lo, v10, v9
	s_delay_alu instid0(VALU_DEP_2) | instskip(NEXT) | instid1(SALU_CYCLE_1)
	s_or_b32 s3, vcc_lo, s2
	s_and_saveexec_b32 s2, s3
	s_cbranch_execz .LBB145_149
; %bb.148:
	v_sub_f32_e32 v6, v10, v9
	s_mov_b32 s3, 0x3e9b6dac
	s_delay_alu instid0(VALU_DEP_1) | instskip(SKIP_1) | instid1(VALU_DEP_2)
	v_mul_f32_e32 v10, 0x3fb8aa3b, v6
	v_cmp_ngt_f32_e32 vcc_lo, 0xc2ce8ed0, v6
	v_fma_f32 v11, 0x3fb8aa3b, v6, -v10
	v_rndne_f32_e32 v12, v10
	s_delay_alu instid0(VALU_DEP_2) | instskip(NEXT) | instid1(VALU_DEP_2)
	v_fmamk_f32 v11, v6, 0x32a5705f, v11
	v_sub_f32_e32 v10, v10, v12
	s_delay_alu instid0(VALU_DEP_1) | instskip(SKIP_1) | instid1(VALU_DEP_2)
	v_add_f32_e32 v10, v10, v11
	v_cvt_i32_f32_e32 v11, v12
	v_exp_f32_e32 v10, v10
	s_waitcnt_depctr 0xfff
	v_ldexp_f32 v10, v10, v11
	s_delay_alu instid0(VALU_DEP_1) | instskip(SKIP_1) | instid1(VALU_DEP_2)
	v_cndmask_b32_e32 v10, 0, v10, vcc_lo
	v_cmp_nlt_f32_e32 vcc_lo, 0x42b17218, v6
	v_cndmask_b32_e32 v6, 0x7f800000, v10, vcc_lo
	s_delay_alu instid0(VALU_DEP_1) | instskip(NEXT) | instid1(VALU_DEP_1)
	v_add_f32_e32 v12, 1.0, v6
	v_cvt_f64_f32_e32 v[10:11], v12
	s_delay_alu instid0(VALU_DEP_1) | instskip(SKIP_1) | instid1(VALU_DEP_1)
	v_frexp_exp_i32_f64_e32 v10, v[10:11]
	v_frexp_mant_f32_e32 v11, v12
	v_cmp_gt_f32_e32 vcc_lo, 0x3f2aaaab, v11
	v_add_f32_e32 v11, -1.0, v12
	s_delay_alu instid0(VALU_DEP_1) | instskip(NEXT) | instid1(VALU_DEP_1)
	v_dual_sub_f32 v20, v11, v12 :: v_dual_sub_f32 v11, v6, v11
	v_add_f32_e32 v20, 1.0, v20
	s_delay_alu instid0(VALU_DEP_1) | instskip(SKIP_2) | instid1(VALU_DEP_2)
	v_add_f32_e32 v11, v11, v20
	v_subrev_co_ci_u32_e32 v10, vcc_lo, 0, v10, vcc_lo
	v_cmp_eq_f32_e32 vcc_lo, 0x7f800000, v6
	v_sub_nc_u32_e32 v19, 0, v10
	v_cvt_f32_i32_e32 v10, v10
	s_delay_alu instid0(VALU_DEP_2) | instskip(SKIP_1) | instid1(VALU_DEP_2)
	v_ldexp_f32 v12, v12, v19
	v_ldexp_f32 v11, v11, v19
	v_add_f32_e32 v21, 1.0, v12
	s_delay_alu instid0(VALU_DEP_1) | instskip(NEXT) | instid1(VALU_DEP_1)
	v_dual_add_f32 v19, -1.0, v12 :: v_dual_add_f32 v20, -1.0, v21
	v_add_f32_e32 v22, 1.0, v19
	s_delay_alu instid0(VALU_DEP_2) | instskip(NEXT) | instid1(VALU_DEP_2)
	v_sub_f32_e32 v20, v12, v20
	v_sub_f32_e32 v12, v12, v22
	s_delay_alu instid0(VALU_DEP_2) | instskip(NEXT) | instid1(VALU_DEP_2)
	v_add_f32_e32 v20, v11, v20
	v_add_f32_e32 v11, v11, v12
	s_delay_alu instid0(VALU_DEP_1) | instskip(NEXT) | instid1(VALU_DEP_1)
	v_add_f32_e32 v23, v19, v11
	v_dual_sub_f32 v19, v19, v23 :: v_dual_add_f32 v22, v21, v20
	s_delay_alu instid0(VALU_DEP_1) | instskip(NEXT) | instid1(VALU_DEP_2)
	v_add_f32_e32 v11, v11, v19
	v_rcp_f32_e32 v12, v22
	v_sub_f32_e32 v21, v21, v22
	s_delay_alu instid0(VALU_DEP_1) | instskip(SKIP_2) | instid1(VALU_DEP_1)
	v_add_f32_e32 v20, v20, v21
	s_waitcnt_depctr 0xfff
	v_mul_f32_e32 v24, v23, v12
	v_mul_f32_e32 v25, v22, v24
	s_delay_alu instid0(VALU_DEP_1) | instskip(NEXT) | instid1(VALU_DEP_1)
	v_fma_f32 v21, v24, v22, -v25
	v_fmac_f32_e32 v21, v24, v20
	s_delay_alu instid0(VALU_DEP_1) | instskip(NEXT) | instid1(VALU_DEP_1)
	v_add_f32_e32 v26, v25, v21
	v_sub_f32_e32 v27, v23, v26
	s_delay_alu instid0(VALU_DEP_1) | instskip(NEXT) | instid1(VALU_DEP_1)
	v_sub_f32_e32 v23, v23, v27
	v_sub_f32_e32 v23, v23, v26
	s_delay_alu instid0(VALU_DEP_1) | instskip(SKIP_1) | instid1(VALU_DEP_1)
	v_add_f32_e32 v11, v11, v23
	v_sub_f32_e32 v19, v26, v25
	v_sub_f32_e32 v19, v19, v21
	s_delay_alu instid0(VALU_DEP_1) | instskip(NEXT) | instid1(VALU_DEP_1)
	v_add_f32_e32 v11, v19, v11
	v_add_f32_e32 v19, v27, v11
	s_delay_alu instid0(VALU_DEP_1) | instskip(NEXT) | instid1(VALU_DEP_1)
	v_mul_f32_e32 v21, v12, v19
	v_dual_sub_f32 v26, v27, v19 :: v_dual_mul_f32 v23, v22, v21
	s_delay_alu instid0(VALU_DEP_1) | instskip(NEXT) | instid1(VALU_DEP_2)
	v_add_f32_e32 v11, v11, v26
	v_fma_f32 v22, v21, v22, -v23
	s_delay_alu instid0(VALU_DEP_1) | instskip(NEXT) | instid1(VALU_DEP_1)
	v_fmac_f32_e32 v22, v21, v20
	v_add_f32_e32 v20, v23, v22
	s_delay_alu instid0(VALU_DEP_1) | instskip(NEXT) | instid1(VALU_DEP_1)
	v_sub_f32_e32 v25, v19, v20
	v_sub_f32_e32 v19, v19, v25
	s_delay_alu instid0(VALU_DEP_1) | instskip(NEXT) | instid1(VALU_DEP_1)
	v_sub_f32_e32 v19, v19, v20
	v_add_f32_e32 v11, v11, v19
	v_add_f32_e32 v19, v24, v21
	v_sub_f32_e32 v23, v20, v23
	s_delay_alu instid0(VALU_DEP_1) | instskip(NEXT) | instid1(VALU_DEP_1)
	v_sub_f32_e32 v20, v23, v22
	v_dual_add_f32 v11, v20, v11 :: v_dual_sub_f32 v20, v19, v24
	s_delay_alu instid0(VALU_DEP_1) | instskip(NEXT) | instid1(VALU_DEP_1)
	v_add_f32_e32 v11, v25, v11
	v_dual_sub_f32 v20, v21, v20 :: v_dual_mul_f32 v11, v12, v11
	s_delay_alu instid0(VALU_DEP_1) | instskip(NEXT) | instid1(VALU_DEP_1)
	v_add_f32_e32 v11, v20, v11
	v_add_f32_e32 v12, v19, v11
	s_delay_alu instid0(VALU_DEP_1) | instskip(NEXT) | instid1(VALU_DEP_1)
	v_mul_f32_e32 v20, v12, v12
	v_fmaak_f32 v21, s3, v20, 0x3ecc95a3
	v_mul_f32_e32 v22, v12, v20
	v_cmp_gt_f32_e64 s3, 0x33800000, |v6|
	s_delay_alu instid0(VALU_DEP_3) | instskip(SKIP_1) | instid1(VALU_DEP_3)
	v_fmaak_f32 v20, v20, v21, 0x3f2aaada
	v_ldexp_f32 v21, v12, 1
	s_or_b32 vcc_lo, vcc_lo, s3
	s_delay_alu instid0(VALU_DEP_2) | instskip(SKIP_1) | instid1(VALU_DEP_2)
	v_mul_f32_e32 v20, v22, v20
	v_sub_f32_e32 v12, v12, v19
	v_dual_mul_f32 v22, 0x3f317218, v10 :: v_dual_add_f32 v19, v21, v20
	s_delay_alu instid0(VALU_DEP_2) | instskip(NEXT) | instid1(VALU_DEP_2)
	v_sub_f32_e32 v11, v11, v12
	v_sub_f32_e32 v12, v19, v21
	s_delay_alu instid0(VALU_DEP_3) | instskip(NEXT) | instid1(VALU_DEP_3)
	v_fma_f32 v21, 0x3f317218, v10, -v22
	v_ldexp_f32 v11, v11, 1
	s_delay_alu instid0(VALU_DEP_3) | instskip(NEXT) | instid1(VALU_DEP_1)
	v_sub_f32_e32 v12, v20, v12
	v_dual_fmamk_f32 v10, v10, 0xb102e308, v21 :: v_dual_add_f32 v11, v11, v12
	s_delay_alu instid0(VALU_DEP_1) | instskip(NEXT) | instid1(VALU_DEP_2)
	v_add_f32_e32 v12, v22, v10
	v_add_f32_e32 v20, v19, v11
	s_delay_alu instid0(VALU_DEP_2) | instskip(NEXT) | instid1(VALU_DEP_1)
	v_sub_f32_e32 v22, v12, v22
	v_dual_sub_f32 v10, v10, v22 :: v_dual_add_f32 v21, v12, v20
	s_delay_alu instid0(VALU_DEP_1) | instskip(SKIP_1) | instid1(VALU_DEP_2)
	v_sub_f32_e32 v23, v21, v12
	v_sub_f32_e32 v19, v20, v19
	;; [unrolled: 1-line block ×3, first 2 shown]
	s_delay_alu instid0(VALU_DEP_2) | instskip(SKIP_1) | instid1(VALU_DEP_3)
	v_sub_f32_e32 v11, v11, v19
	v_sub_f32_e32 v19, v20, v23
	;; [unrolled: 1-line block ×3, first 2 shown]
	s_delay_alu instid0(VALU_DEP_3) | instskip(NEXT) | instid1(VALU_DEP_1)
	v_add_f32_e32 v20, v10, v11
	v_dual_add_f32 v12, v19, v12 :: v_dual_sub_f32 v19, v20, v10
	s_delay_alu instid0(VALU_DEP_1) | instskip(NEXT) | instid1(VALU_DEP_1)
	v_dual_add_f32 v12, v20, v12 :: v_dual_sub_f32 v11, v11, v19
	v_add_f32_e32 v22, v21, v12
	s_delay_alu instid0(VALU_DEP_1) | instskip(NEXT) | instid1(VALU_DEP_1)
	v_dual_sub_f32 v20, v20, v19 :: v_dual_sub_f32 v19, v22, v21
	v_sub_f32_e32 v10, v10, v20
	s_delay_alu instid0(VALU_DEP_1) | instskip(NEXT) | instid1(VALU_DEP_1)
	v_dual_add_f32 v10, v11, v10 :: v_dual_sub_f32 v11, v12, v19
	v_add_f32_e32 v10, v10, v11
	s_delay_alu instid0(VALU_DEP_1) | instskip(NEXT) | instid1(VALU_DEP_1)
	v_add_f32_e32 v10, v22, v10
	v_cndmask_b32_e32 v6, v10, v6, vcc_lo
	s_delay_alu instid0(VALU_DEP_1)
	v_add_f32_e32 v6, v9, v6
.LBB145_149:
	s_or_b32 exec_lo, exec_lo, s2
	s_load_b256 s[8:15], s[0:1], 0x38
	s_branch .LBB145_228
.LBB145_150:
                                        ; implicit-def: $vgpr3_vgpr4_vgpr5_vgpr6
	s_load_b256 s[8:15], s[0:1], 0x38
	s_cbranch_execz .LBB145_228
; %bb.151:
	v_cmp_eq_u32_e64 s4, 0, v0
	s_waitcnt lgkmcnt(0)
	s_cmp_lg_u64 s[12:13], 0
	v_mov_b32_e32 v6, v4
	v_cmp_ne_u32_e32 vcc_lo, 0, v0
	v_dual_mov_b32 v5, v3 :: v_dual_mov_b32 v4, v2
	v_mov_b32_e32 v3, v1
	s_cselect_b32 s0, -1, 0
	s_delay_alu instid0(SALU_CYCLE_1) | instskip(NEXT) | instid1(SALU_CYCLE_1)
	s_and_b32 s0, s4, s0
	s_and_saveexec_b32 s1, s0
	s_cbranch_execz .LBB145_155
; %bb.152:
	v_dual_mov_b32 v3, 0 :: v_dual_max_f32 v4, v1, v1
	global_load_b32 v3, v3, s[8:9]
	s_waitcnt vmcnt(0)
	v_max_f32_e32 v5, v3, v3
	v_cmp_u_f32_e64 s0, v3, v3
	s_delay_alu instid0(VALU_DEP_2) | instskip(SKIP_1) | instid1(VALU_DEP_2)
	v_min_f32_e32 v6, v5, v4
	v_max_f32_e32 v4, v5, v4
	v_cndmask_b32_e64 v5, v6, v3, s0
	s_delay_alu instid0(VALU_DEP_2) | instskip(SKIP_1) | instid1(VALU_DEP_1)
	v_cndmask_b32_e64 v6, v4, v3, s0
	v_cmp_u_f32_e64 s0, v1, v1
	v_cndmask_b32_e64 v4, v5, v1, s0
	s_delay_alu instid0(VALU_DEP_3) | instskip(NEXT) | instid1(VALU_DEP_2)
	v_cndmask_b32_e64 v1, v6, v1, s0
	v_cmp_class_f32_e64 s2, v4, 0x1f8
	s_delay_alu instid0(VALU_DEP_2) | instskip(NEXT) | instid1(VALU_DEP_1)
	v_cmp_neq_f32_e64 s0, v4, v1
	s_or_b32 s0, s0, s2
	s_delay_alu instid0(SALU_CYCLE_1)
	s_and_saveexec_b32 s2, s0
	s_cbranch_execz .LBB145_154
; %bb.153:
	v_sub_f32_e32 v3, v4, v1
	s_delay_alu instid0(VALU_DEP_1) | instskip(SKIP_1) | instid1(VALU_DEP_2)
	v_mul_f32_e32 v4, 0x3fb8aa3b, v3
	v_cmp_ngt_f32_e64 s0, 0xc2ce8ed0, v3
	v_fma_f32 v5, 0x3fb8aa3b, v3, -v4
	v_rndne_f32_e32 v6, v4
	s_delay_alu instid0(VALU_DEP_1) | instskip(NEXT) | instid1(VALU_DEP_1)
	v_dual_fmamk_f32 v5, v3, 0x32a5705f, v5 :: v_dual_sub_f32 v4, v4, v6
	v_add_f32_e32 v4, v4, v5
	v_cvt_i32_f32_e32 v5, v6
	s_delay_alu instid0(VALU_DEP_2) | instskip(SKIP_2) | instid1(VALU_DEP_1)
	v_exp_f32_e32 v4, v4
	s_waitcnt_depctr 0xfff
	v_ldexp_f32 v4, v4, v5
	v_cndmask_b32_e64 v4, 0, v4, s0
	v_cmp_nlt_f32_e64 s0, 0x42b17218, v3
	s_delay_alu instid0(VALU_DEP_1) | instskip(NEXT) | instid1(VALU_DEP_1)
	v_cndmask_b32_e64 v5, 0x7f800000, v4, s0
	v_add_f32_e32 v6, 1.0, v5
	v_cmp_gt_f32_e64 s3, 0x33800000, |v5|
	s_delay_alu instid0(VALU_DEP_2) | instskip(NEXT) | instid1(VALU_DEP_1)
	v_cvt_f64_f32_e32 v[3:4], v6
	v_frexp_exp_i32_f64_e32 v3, v[3:4]
	v_frexp_mant_f32_e32 v4, v6
	s_delay_alu instid0(VALU_DEP_1) | instskip(SKIP_1) | instid1(VALU_DEP_1)
	v_cmp_gt_f32_e64 s0, 0x3f2aaaab, v4
	v_add_f32_e32 v4, -1.0, v6
	v_sub_f32_e32 v10, v4, v6
	v_sub_f32_e32 v4, v5, v4
	s_delay_alu instid0(VALU_DEP_2) | instskip(NEXT) | instid1(VALU_DEP_1)
	v_add_f32_e32 v10, 1.0, v10
	v_add_f32_e32 v4, v4, v10
	v_subrev_co_ci_u32_e64 v3, s0, 0, v3, s0
	s_mov_b32 s0, 0x3e9b6dac
	s_delay_alu instid0(VALU_DEP_1) | instskip(SKIP_1) | instid1(VALU_DEP_2)
	v_sub_nc_u32_e32 v9, 0, v3
	v_cvt_f32_i32_e32 v3, v3
	v_ldexp_f32 v6, v6, v9
	v_ldexp_f32 v4, v4, v9
	s_delay_alu instid0(VALU_DEP_2) | instskip(NEXT) | instid1(VALU_DEP_1)
	v_add_f32_e32 v11, 1.0, v6
	v_dual_add_f32 v9, -1.0, v6 :: v_dual_add_f32 v10, -1.0, v11
	s_delay_alu instid0(VALU_DEP_1) | instskip(NEXT) | instid1(VALU_DEP_2)
	v_add_f32_e32 v12, 1.0, v9
	v_sub_f32_e32 v10, v6, v10
	s_delay_alu instid0(VALU_DEP_2) | instskip(NEXT) | instid1(VALU_DEP_2)
	v_sub_f32_e32 v6, v6, v12
	v_add_f32_e32 v10, v4, v10
	s_delay_alu instid0(VALU_DEP_2) | instskip(NEXT) | instid1(VALU_DEP_1)
	v_add_f32_e32 v4, v4, v6
	v_dual_add_f32 v12, v11, v10 :: v_dual_add_f32 v19, v9, v4
	s_delay_alu instid0(VALU_DEP_1) | instskip(SKIP_1) | instid1(VALU_DEP_2)
	v_rcp_f32_e32 v6, v12
	v_sub_f32_e32 v11, v11, v12
	v_sub_f32_e32 v9, v9, v19
	s_delay_alu instid0(VALU_DEP_2) | instskip(NEXT) | instid1(VALU_DEP_2)
	v_add_f32_e32 v10, v10, v11
	v_add_f32_e32 v4, v4, v9
	s_waitcnt_depctr 0xfff
	v_mul_f32_e32 v20, v19, v6
	s_delay_alu instid0(VALU_DEP_1) | instskip(NEXT) | instid1(VALU_DEP_1)
	v_mul_f32_e32 v21, v12, v20
	v_fma_f32 v11, v20, v12, -v21
	s_delay_alu instid0(VALU_DEP_1) | instskip(NEXT) | instid1(VALU_DEP_1)
	v_fmac_f32_e32 v11, v20, v10
	v_add_f32_e32 v22, v21, v11
	s_delay_alu instid0(VALU_DEP_1) | instskip(SKIP_1) | instid1(VALU_DEP_2)
	v_sub_f32_e32 v23, v19, v22
	v_sub_f32_e32 v9, v22, v21
	;; [unrolled: 1-line block ×3, first 2 shown]
	s_delay_alu instid0(VALU_DEP_2) | instskip(NEXT) | instid1(VALU_DEP_2)
	v_sub_f32_e32 v9, v9, v11
	v_sub_f32_e32 v19, v19, v22
	s_delay_alu instid0(VALU_DEP_1) | instskip(NEXT) | instid1(VALU_DEP_1)
	v_add_f32_e32 v4, v4, v19
	v_add_f32_e32 v4, v9, v4
	s_delay_alu instid0(VALU_DEP_1) | instskip(NEXT) | instid1(VALU_DEP_1)
	v_add_f32_e32 v9, v23, v4
	v_mul_f32_e32 v11, v6, v9
	s_delay_alu instid0(VALU_DEP_1) | instskip(NEXT) | instid1(VALU_DEP_1)
	v_dual_sub_f32 v22, v23, v9 :: v_dual_mul_f32 v19, v12, v11
	v_fma_f32 v12, v11, v12, -v19
	s_delay_alu instid0(VALU_DEP_1) | instskip(NEXT) | instid1(VALU_DEP_1)
	v_fmac_f32_e32 v12, v11, v10
	v_add_f32_e32 v10, v19, v12
	s_delay_alu instid0(VALU_DEP_1) | instskip(SKIP_1) | instid1(VALU_DEP_2)
	v_sub_f32_e32 v21, v9, v10
	v_dual_sub_f32 v19, v10, v19 :: v_dual_add_f32 v4, v4, v22
	v_sub_f32_e32 v9, v9, v21
	s_delay_alu instid0(VALU_DEP_1) | instskip(NEXT) | instid1(VALU_DEP_1)
	v_sub_f32_e32 v9, v9, v10
	v_add_f32_e32 v4, v4, v9
	s_delay_alu instid0(VALU_DEP_4) | instskip(NEXT) | instid1(VALU_DEP_1)
	v_dual_add_f32 v9, v20, v11 :: v_dual_sub_f32 v10, v19, v12
	v_add_f32_e32 v4, v10, v4
	s_delay_alu instid0(VALU_DEP_2) | instskip(NEXT) | instid1(VALU_DEP_2)
	v_sub_f32_e32 v10, v9, v20
	v_add_f32_e32 v4, v21, v4
	s_delay_alu instid0(VALU_DEP_2) | instskip(NEXT) | instid1(VALU_DEP_2)
	v_sub_f32_e32 v10, v11, v10
	v_mul_f32_e32 v4, v6, v4
	s_delay_alu instid0(VALU_DEP_1) | instskip(NEXT) | instid1(VALU_DEP_1)
	v_add_f32_e32 v4, v10, v4
	v_add_f32_e32 v6, v9, v4
	s_delay_alu instid0(VALU_DEP_1) | instskip(NEXT) | instid1(VALU_DEP_1)
	v_mul_f32_e32 v10, v6, v6
	v_fmaak_f32 v11, s0, v10, 0x3ecc95a3
	v_mul_f32_e32 v12, v6, v10
	v_cmp_eq_f32_e64 s0, 0x7f800000, v5
	s_delay_alu instid0(VALU_DEP_3) | instskip(SKIP_2) | instid1(VALU_DEP_4)
	v_fmaak_f32 v10, v10, v11, 0x3f2aaada
	v_ldexp_f32 v11, v6, 1
	v_sub_f32_e32 v6, v6, v9
	s_or_b32 s0, s0, s3
	s_delay_alu instid0(VALU_DEP_3) | instskip(SKIP_1) | instid1(VALU_DEP_3)
	v_mul_f32_e32 v10, v12, v10
	v_mul_f32_e32 v12, 0x3f317218, v3
	v_sub_f32_e32 v4, v4, v6
	s_delay_alu instid0(VALU_DEP_3) | instskip(NEXT) | instid1(VALU_DEP_2)
	v_add_f32_e32 v9, v11, v10
	v_ldexp_f32 v4, v4, 1
	s_delay_alu instid0(VALU_DEP_2) | instskip(SKIP_1) | instid1(VALU_DEP_1)
	v_sub_f32_e32 v6, v9, v11
	v_fma_f32 v11, 0x3f317218, v3, -v12
	v_dual_sub_f32 v6, v10, v6 :: v_dual_fmamk_f32 v3, v3, 0xb102e308, v11
	s_delay_alu instid0(VALU_DEP_1) | instskip(NEXT) | instid1(VALU_DEP_2)
	v_add_f32_e32 v4, v4, v6
	v_add_f32_e32 v6, v12, v3
	s_delay_alu instid0(VALU_DEP_2) | instskip(NEXT) | instid1(VALU_DEP_2)
	v_add_f32_e32 v10, v9, v4
	v_sub_f32_e32 v12, v6, v12
	s_delay_alu instid0(VALU_DEP_2) | instskip(SKIP_1) | instid1(VALU_DEP_3)
	v_add_f32_e32 v11, v6, v10
	v_sub_f32_e32 v9, v10, v9
	v_sub_f32_e32 v3, v3, v12
	s_delay_alu instid0(VALU_DEP_2) | instskip(NEXT) | instid1(VALU_DEP_1)
	v_dual_sub_f32 v19, v11, v6 :: v_dual_sub_f32 v4, v4, v9
	v_sub_f32_e32 v20, v11, v19
	s_delay_alu instid0(VALU_DEP_2) | instskip(NEXT) | instid1(VALU_DEP_2)
	v_dual_sub_f32 v9, v10, v19 :: v_dual_add_f32 v10, v3, v4
	v_sub_f32_e32 v6, v6, v20
	s_delay_alu instid0(VALU_DEP_1) | instskip(NEXT) | instid1(VALU_DEP_1)
	v_dual_add_f32 v6, v9, v6 :: v_dual_sub_f32 v9, v10, v3
	v_add_f32_e32 v6, v10, v6
	s_delay_alu instid0(VALU_DEP_2) | instskip(SKIP_1) | instid1(VALU_DEP_3)
	v_sub_f32_e32 v10, v10, v9
	v_sub_f32_e32 v4, v4, v9
	v_add_f32_e32 v12, v11, v6
	s_delay_alu instid0(VALU_DEP_3) | instskip(NEXT) | instid1(VALU_DEP_2)
	v_sub_f32_e32 v3, v3, v10
	v_sub_f32_e32 v9, v12, v11
	s_delay_alu instid0(VALU_DEP_1) | instskip(NEXT) | instid1(VALU_DEP_1)
	v_dual_add_f32 v3, v4, v3 :: v_dual_sub_f32 v4, v6, v9
	v_add_f32_e32 v3, v3, v4
	s_delay_alu instid0(VALU_DEP_1) | instskip(NEXT) | instid1(VALU_DEP_1)
	v_add_f32_e32 v3, v12, v3
	v_cndmask_b32_e64 v3, v3, v5, s0
	s_delay_alu instid0(VALU_DEP_1)
	v_add_f32_e32 v3, v1, v3
.LBB145_154:
	s_or_b32 exec_lo, exec_lo, s2
	s_delay_alu instid0(VALU_DEP_1)
	v_mov_b32_e32 v1, v3
.LBB145_155:
	s_or_b32 exec_lo, exec_lo, s1
	s_delay_alu instid0(VALU_DEP_1) | instskip(SKIP_2) | instid1(VALU_DEP_3)
	v_max_f32_e32 v19, v1, v1
	v_cmp_u_f32_e64 s3, v1, v1
	v_cmp_u_f32_e64 s0, v2, v2
	v_min_f32_e32 v11, v19, v18
	v_max_f32_e32 v12, v19, v18
	s_delay_alu instid0(VALU_DEP_2) | instskip(NEXT) | instid1(VALU_DEP_2)
	v_cndmask_b32_e64 v4, v11, v1, s3
	v_cndmask_b32_e64 v5, v12, v1, s3
	s_delay_alu instid0(VALU_DEP_2) | instskip(SKIP_1) | instid1(VALU_DEP_3)
	v_cndmask_b32_e64 v6, v4, v2, s0
	v_mov_b32_e32 v4, v1
	v_cndmask_b32_e64 v5, v5, v2, s0
	s_delay_alu instid0(VALU_DEP_3) | instskip(NEXT) | instid1(VALU_DEP_2)
	v_cmp_class_f32_e64 s2, v6, 0x1f8
	v_cmp_neq_f32_e64 s1, v6, v5
	s_delay_alu instid0(VALU_DEP_1) | instskip(NEXT) | instid1(SALU_CYCLE_1)
	s_or_b32 s1, s1, s2
	s_and_saveexec_b32 s2, s1
	s_cbranch_execz .LBB145_157
; %bb.156:
	v_sub_f32_e32 v4, v6, v5
	s_delay_alu instid0(VALU_DEP_1) | instskip(SKIP_1) | instid1(VALU_DEP_2)
	v_mul_f32_e32 v6, 0x3fb8aa3b, v4
	v_cmp_ngt_f32_e64 s1, 0xc2ce8ed0, v4
	v_fma_f32 v9, 0x3fb8aa3b, v4, -v6
	v_rndne_f32_e32 v10, v6
	s_delay_alu instid0(VALU_DEP_1) | instskip(NEXT) | instid1(VALU_DEP_1)
	v_dual_fmamk_f32 v9, v4, 0x32a5705f, v9 :: v_dual_sub_f32 v6, v6, v10
	v_add_f32_e32 v6, v6, v9
	v_cvt_i32_f32_e32 v9, v10
	s_delay_alu instid0(VALU_DEP_2) | instskip(SKIP_2) | instid1(VALU_DEP_1)
	v_exp_f32_e32 v6, v6
	s_waitcnt_depctr 0xfff
	v_ldexp_f32 v6, v6, v9
	v_cndmask_b32_e64 v6, 0, v6, s1
	v_cmp_nlt_f32_e64 s1, 0x42b17218, v4
	s_delay_alu instid0(VALU_DEP_1) | instskip(NEXT) | instid1(VALU_DEP_1)
	v_cndmask_b32_e64 v4, 0x7f800000, v6, s1
	v_add_f32_e32 v6, 1.0, v4
	v_cmp_gt_f32_e64 s5, 0x33800000, |v4|
	s_delay_alu instid0(VALU_DEP_2) | instskip(NEXT) | instid1(VALU_DEP_1)
	v_cvt_f64_f32_e32 v[9:10], v6
	v_frexp_exp_i32_f64_e32 v9, v[9:10]
	v_frexp_mant_f32_e32 v10, v6
	s_delay_alu instid0(VALU_DEP_1) | instskip(SKIP_1) | instid1(VALU_DEP_1)
	v_cmp_gt_f32_e64 s1, 0x3f2aaaab, v10
	v_add_f32_e32 v10, -1.0, v6
	v_sub_f32_e32 v21, v10, v6
	s_delay_alu instid0(VALU_DEP_1) | instskip(NEXT) | instid1(VALU_DEP_4)
	v_add_f32_e32 v21, 1.0, v21
	v_subrev_co_ci_u32_e64 v9, s1, 0, v9, s1
	s_mov_b32 s1, 0x3e9b6dac
	s_delay_alu instid0(VALU_DEP_1) | instskip(SKIP_1) | instid1(VALU_DEP_2)
	v_sub_nc_u32_e32 v20, 0, v9
	v_cvt_f32_i32_e32 v9, v9
	v_ldexp_f32 v6, v6, v20
	s_delay_alu instid0(VALU_DEP_1) | instskip(SKIP_1) | instid1(VALU_DEP_1)
	v_add_f32_e32 v22, 1.0, v6
	v_sub_f32_e32 v10, v4, v10
	v_dual_add_f32 v10, v10, v21 :: v_dual_add_f32 v21, -1.0, v22
	s_delay_alu instid0(VALU_DEP_1) | instskip(NEXT) | instid1(VALU_DEP_2)
	v_ldexp_f32 v10, v10, v20
	v_dual_add_f32 v20, -1.0, v6 :: v_dual_sub_f32 v21, v6, v21
	s_delay_alu instid0(VALU_DEP_1) | instskip(NEXT) | instid1(VALU_DEP_2)
	v_add_f32_e32 v23, 1.0, v20
	v_add_f32_e32 v21, v10, v21
	s_delay_alu instid0(VALU_DEP_2) | instskip(NEXT) | instid1(VALU_DEP_2)
	v_sub_f32_e32 v6, v6, v23
	v_add_f32_e32 v23, v22, v21
	s_delay_alu instid0(VALU_DEP_2) | instskip(NEXT) | instid1(VALU_DEP_2)
	v_add_f32_e32 v6, v10, v6
	v_rcp_f32_e32 v10, v23
	s_delay_alu instid0(VALU_DEP_1) | instskip(NEXT) | instid1(VALU_DEP_1)
	v_add_f32_e32 v24, v20, v6
	v_sub_f32_e32 v20, v20, v24
	s_waitcnt_depctr 0xfff
	v_dual_mul_f32 v25, v24, v10 :: v_dual_sub_f32 v22, v22, v23
	v_add_f32_e32 v6, v6, v20
	s_delay_alu instid0(VALU_DEP_2) | instskip(NEXT) | instid1(VALU_DEP_1)
	v_dual_mul_f32 v26, v23, v25 :: v_dual_add_f32 v21, v21, v22
	v_fma_f32 v22, v25, v23, -v26
	s_delay_alu instid0(VALU_DEP_1) | instskip(NEXT) | instid1(VALU_DEP_1)
	v_fmac_f32_e32 v22, v25, v21
	v_add_f32_e32 v27, v26, v22
	s_delay_alu instid0(VALU_DEP_1) | instskip(SKIP_1) | instid1(VALU_DEP_2)
	v_sub_f32_e32 v28, v24, v27
	v_sub_f32_e32 v20, v27, v26
	;; [unrolled: 1-line block ×3, first 2 shown]
	s_delay_alu instid0(VALU_DEP_2) | instskip(NEXT) | instid1(VALU_DEP_2)
	v_sub_f32_e32 v20, v20, v22
	v_sub_f32_e32 v24, v24, v27
	s_delay_alu instid0(VALU_DEP_1) | instskip(NEXT) | instid1(VALU_DEP_1)
	v_add_f32_e32 v6, v6, v24
	v_add_f32_e32 v6, v20, v6
	s_delay_alu instid0(VALU_DEP_1) | instskip(NEXT) | instid1(VALU_DEP_1)
	v_add_f32_e32 v20, v28, v6
	v_mul_f32_e32 v22, v10, v20
	s_delay_alu instid0(VALU_DEP_1) | instskip(NEXT) | instid1(VALU_DEP_1)
	v_dual_sub_f32 v27, v28, v20 :: v_dual_mul_f32 v24, v23, v22
	v_add_f32_e32 v6, v6, v27
	s_delay_alu instid0(VALU_DEP_2) | instskip(NEXT) | instid1(VALU_DEP_1)
	v_fma_f32 v23, v22, v23, -v24
	v_fmac_f32_e32 v23, v22, v21
	s_delay_alu instid0(VALU_DEP_1) | instskip(NEXT) | instid1(VALU_DEP_1)
	v_add_f32_e32 v21, v24, v23
	v_sub_f32_e32 v26, v20, v21
	v_sub_f32_e32 v24, v21, v24
	s_delay_alu instid0(VALU_DEP_2) | instskip(NEXT) | instid1(VALU_DEP_1)
	v_sub_f32_e32 v20, v20, v26
	v_sub_f32_e32 v20, v20, v21
	s_delay_alu instid0(VALU_DEP_1) | instskip(SKIP_1) | instid1(VALU_DEP_1)
	v_dual_sub_f32 v21, v24, v23 :: v_dual_add_f32 v6, v6, v20
	v_add_f32_e32 v20, v25, v22
	v_dual_add_f32 v6, v21, v6 :: v_dual_sub_f32 v21, v20, v25
	s_delay_alu instid0(VALU_DEP_1) | instskip(NEXT) | instid1(VALU_DEP_2)
	v_add_f32_e32 v6, v26, v6
	v_sub_f32_e32 v21, v22, v21
	s_delay_alu instid0(VALU_DEP_2) | instskip(NEXT) | instid1(VALU_DEP_1)
	v_mul_f32_e32 v6, v10, v6
	v_add_f32_e32 v6, v21, v6
	s_delay_alu instid0(VALU_DEP_1) | instskip(NEXT) | instid1(VALU_DEP_1)
	v_add_f32_e32 v10, v20, v6
	v_mul_f32_e32 v21, v10, v10
	s_delay_alu instid0(VALU_DEP_1) | instskip(SKIP_2) | instid1(VALU_DEP_3)
	v_fmaak_f32 v22, s1, v21, 0x3ecc95a3
	v_mul_f32_e32 v23, v10, v21
	v_cmp_eq_f32_e64 s1, 0x7f800000, v4
	v_fmaak_f32 v21, v21, v22, 0x3f2aaada
	v_ldexp_f32 v22, v10, 1
	v_sub_f32_e32 v10, v10, v20
	s_delay_alu instid0(VALU_DEP_4) | instskip(NEXT) | instid1(VALU_DEP_3)
	s_or_b32 s1, s1, s5
	v_mul_f32_e32 v21, v23, v21
	s_delay_alu instid0(VALU_DEP_2) | instskip(NEXT) | instid1(VALU_DEP_2)
	v_dual_mul_f32 v23, 0x3f317218, v9 :: v_dual_sub_f32 v6, v6, v10
	v_add_f32_e32 v20, v22, v21
	s_delay_alu instid0(VALU_DEP_2) | instskip(NEXT) | instid1(VALU_DEP_2)
	v_ldexp_f32 v6, v6, 1
	v_sub_f32_e32 v10, v20, v22
	s_delay_alu instid0(VALU_DEP_4) | instskip(NEXT) | instid1(VALU_DEP_2)
	v_fma_f32 v22, 0x3f317218, v9, -v23
	v_sub_f32_e32 v10, v21, v10
	s_delay_alu instid0(VALU_DEP_1) | instskip(NEXT) | instid1(VALU_DEP_1)
	v_dual_fmamk_f32 v9, v9, 0xb102e308, v22 :: v_dual_add_f32 v6, v6, v10
	v_dual_add_f32 v10, v23, v9 :: v_dual_add_f32 v21, v20, v6
	s_delay_alu instid0(VALU_DEP_1) | instskip(NEXT) | instid1(VALU_DEP_2)
	v_sub_f32_e32 v23, v10, v23
	v_add_f32_e32 v22, v10, v21
	v_sub_f32_e32 v20, v21, v20
	s_delay_alu instid0(VALU_DEP_2) | instskip(NEXT) | instid1(VALU_DEP_2)
	v_dual_sub_f32 v9, v9, v23 :: v_dual_sub_f32 v24, v22, v10
	v_sub_f32_e32 v6, v6, v20
	s_delay_alu instid0(VALU_DEP_2) | instskip(SKIP_1) | instid1(VALU_DEP_2)
	v_sub_f32_e32 v25, v22, v24
	v_sub_f32_e32 v20, v21, v24
	v_dual_add_f32 v21, v9, v6 :: v_dual_sub_f32 v10, v10, v25
	s_delay_alu instid0(VALU_DEP_1) | instskip(NEXT) | instid1(VALU_DEP_2)
	v_add_f32_e32 v10, v20, v10
	v_sub_f32_e32 v20, v21, v9
	s_delay_alu instid0(VALU_DEP_2) | instskip(NEXT) | instid1(VALU_DEP_2)
	v_add_f32_e32 v10, v21, v10
	v_sub_f32_e32 v21, v21, v20
	v_sub_f32_e32 v6, v6, v20
	s_delay_alu instid0(VALU_DEP_3) | instskip(NEXT) | instid1(VALU_DEP_1)
	v_add_f32_e32 v23, v22, v10
	v_dual_sub_f32 v9, v9, v21 :: v_dual_sub_f32 v20, v23, v22
	s_delay_alu instid0(VALU_DEP_1) | instskip(NEXT) | instid1(VALU_DEP_2)
	v_add_f32_e32 v6, v6, v9
	v_sub_f32_e32 v9, v10, v20
	s_delay_alu instid0(VALU_DEP_1) | instskip(NEXT) | instid1(VALU_DEP_1)
	v_add_f32_e32 v6, v6, v9
	v_add_f32_e32 v6, v23, v6
	s_delay_alu instid0(VALU_DEP_1) | instskip(NEXT) | instid1(VALU_DEP_1)
	v_cndmask_b32_e64 v4, v6, v4, s1
	v_add_f32_e32 v4, v5, v4
.LBB145_157:
	s_or_b32 exec_lo, exec_lo, s2
	v_max_f32_e32 v9, v7, v7
	s_delay_alu instid0(VALU_DEP_2) | instskip(SKIP_1) | instid1(VALU_DEP_2)
	v_max_f32_e32 v5, v4, v4
	v_cmp_u_f32_e64 s1, v4, v4
	v_min_f32_e32 v6, v5, v9
	v_max_f32_e32 v5, v5, v9
	s_delay_alu instid0(VALU_DEP_2) | instskip(NEXT) | instid1(VALU_DEP_2)
	v_cndmask_b32_e64 v6, v6, v4, s1
	v_cndmask_b32_e64 v5, v5, v4, s1
	v_cmp_u_f32_e64 s1, v7, v7
	s_delay_alu instid0(VALU_DEP_1) | instskip(NEXT) | instid1(VALU_DEP_3)
	v_cndmask_b32_e64 v6, v6, v7, s1
	v_cndmask_b32_e64 v5, v5, v7, s1
	s_delay_alu instid0(VALU_DEP_2) | instskip(NEXT) | instid1(VALU_DEP_2)
	v_cmp_class_f32_e64 s5, v6, 0x1f8
	v_cmp_neq_f32_e64 s2, v6, v5
	s_delay_alu instid0(VALU_DEP_1) | instskip(NEXT) | instid1(SALU_CYCLE_1)
	s_or_b32 s2, s2, s5
	s_and_saveexec_b32 s5, s2
	s_cbranch_execz .LBB145_159
; %bb.158:
	v_sub_f32_e32 v4, v6, v5
	s_delay_alu instid0(VALU_DEP_1) | instskip(SKIP_1) | instid1(VALU_DEP_2)
	v_mul_f32_e32 v6, 0x3fb8aa3b, v4
	v_cmp_ngt_f32_e64 s2, 0xc2ce8ed0, v4
	v_fma_f32 v10, 0x3fb8aa3b, v4, -v6
	v_rndne_f32_e32 v20, v6
	s_delay_alu instid0(VALU_DEP_2) | instskip(NEXT) | instid1(VALU_DEP_2)
	v_fmamk_f32 v10, v4, 0x32a5705f, v10
	v_sub_f32_e32 v6, v6, v20
	s_delay_alu instid0(VALU_DEP_1) | instskip(SKIP_1) | instid1(VALU_DEP_2)
	v_add_f32_e32 v6, v6, v10
	v_cvt_i32_f32_e32 v10, v20
	v_exp_f32_e32 v6, v6
	s_waitcnt_depctr 0xfff
	v_ldexp_f32 v6, v6, v10
	s_delay_alu instid0(VALU_DEP_1) | instskip(SKIP_1) | instid1(VALU_DEP_1)
	v_cndmask_b32_e64 v6, 0, v6, s2
	v_cmp_nlt_f32_e64 s2, 0x42b17218, v4
	v_cndmask_b32_e64 v4, 0x7f800000, v6, s2
	s_delay_alu instid0(VALU_DEP_1) | instskip(SKIP_1) | instid1(VALU_DEP_2)
	v_add_f32_e32 v6, 1.0, v4
	v_cmp_gt_f32_e64 s6, 0x33800000, |v4|
	v_cvt_f64_f32_e32 v[20:21], v6
	s_delay_alu instid0(VALU_DEP_1) | instskip(SKIP_1) | instid1(VALU_DEP_1)
	v_frexp_exp_i32_f64_e32 v10, v[20:21]
	v_frexp_mant_f32_e32 v20, v6
	v_cmp_gt_f32_e64 s2, 0x3f2aaaab, v20
	v_add_f32_e32 v20, -1.0, v6
	s_delay_alu instid0(VALU_DEP_1) | instskip(SKIP_1) | instid1(VALU_DEP_2)
	v_sub_f32_e32 v22, v20, v6
	v_sub_f32_e32 v20, v4, v20
	v_add_f32_e32 v22, 1.0, v22
	s_delay_alu instid0(VALU_DEP_1) | instskip(SKIP_2) | instid1(VALU_DEP_1)
	v_add_f32_e32 v20, v20, v22
	v_subrev_co_ci_u32_e64 v10, s2, 0, v10, s2
	s_mov_b32 s2, 0x3e9b6dac
	v_sub_nc_u32_e32 v21, 0, v10
	v_cvt_f32_i32_e32 v10, v10
	s_delay_alu instid0(VALU_DEP_2) | instskip(SKIP_1) | instid1(VALU_DEP_2)
	v_ldexp_f32 v6, v6, v21
	v_ldexp_f32 v20, v20, v21
	v_add_f32_e32 v23, 1.0, v6
	s_delay_alu instid0(VALU_DEP_1) | instskip(NEXT) | instid1(VALU_DEP_1)
	v_dual_add_f32 v21, -1.0, v6 :: v_dual_add_f32 v22, -1.0, v23
	v_add_f32_e32 v24, 1.0, v21
	s_delay_alu instid0(VALU_DEP_2) | instskip(NEXT) | instid1(VALU_DEP_2)
	v_sub_f32_e32 v22, v6, v22
	v_sub_f32_e32 v6, v6, v24
	s_delay_alu instid0(VALU_DEP_2) | instskip(NEXT) | instid1(VALU_DEP_2)
	v_add_f32_e32 v22, v20, v22
	v_add_f32_e32 v6, v20, v6
	s_delay_alu instid0(VALU_DEP_2) | instskip(NEXT) | instid1(VALU_DEP_2)
	v_add_f32_e32 v24, v23, v22
	v_add_f32_e32 v25, v21, v6
	s_delay_alu instid0(VALU_DEP_2) | instskip(SKIP_1) | instid1(VALU_DEP_1)
	v_rcp_f32_e32 v20, v24
	v_sub_f32_e32 v23, v23, v24
	v_dual_sub_f32 v21, v21, v25 :: v_dual_add_f32 v22, v22, v23
	s_delay_alu instid0(VALU_DEP_1) | instskip(SKIP_2) | instid1(VALU_DEP_1)
	v_add_f32_e32 v6, v6, v21
	s_waitcnt_depctr 0xfff
	v_mul_f32_e32 v26, v25, v20
	v_mul_f32_e32 v27, v24, v26
	s_delay_alu instid0(VALU_DEP_1) | instskip(NEXT) | instid1(VALU_DEP_1)
	v_fma_f32 v23, v26, v24, -v27
	v_fmac_f32_e32 v23, v26, v22
	s_delay_alu instid0(VALU_DEP_1) | instskip(NEXT) | instid1(VALU_DEP_1)
	v_add_f32_e32 v28, v27, v23
	v_sub_f32_e32 v29, v25, v28
	v_sub_f32_e32 v21, v28, v27
	s_delay_alu instid0(VALU_DEP_2) | instskip(NEXT) | instid1(VALU_DEP_2)
	v_sub_f32_e32 v25, v25, v29
	v_sub_f32_e32 v21, v21, v23
	s_delay_alu instid0(VALU_DEP_2) | instskip(NEXT) | instid1(VALU_DEP_1)
	v_sub_f32_e32 v25, v25, v28
	v_add_f32_e32 v6, v6, v25
	s_delay_alu instid0(VALU_DEP_1) | instskip(NEXT) | instid1(VALU_DEP_1)
	v_add_f32_e32 v6, v21, v6
	v_add_f32_e32 v21, v29, v6
	s_delay_alu instid0(VALU_DEP_1) | instskip(NEXT) | instid1(VALU_DEP_1)
	v_mul_f32_e32 v23, v20, v21
	v_dual_sub_f32 v28, v29, v21 :: v_dual_mul_f32 v25, v24, v23
	s_delay_alu instid0(VALU_DEP_1) | instskip(NEXT) | instid1(VALU_DEP_2)
	v_add_f32_e32 v6, v6, v28
	v_fma_f32 v24, v23, v24, -v25
	s_delay_alu instid0(VALU_DEP_1) | instskip(NEXT) | instid1(VALU_DEP_1)
	v_fmac_f32_e32 v24, v23, v22
	v_add_f32_e32 v22, v25, v24
	s_delay_alu instid0(VALU_DEP_1) | instskip(SKIP_1) | instid1(VALU_DEP_2)
	v_sub_f32_e32 v27, v21, v22
	v_sub_f32_e32 v25, v22, v25
	;; [unrolled: 1-line block ×3, first 2 shown]
	s_delay_alu instid0(VALU_DEP_1) | instskip(NEXT) | instid1(VALU_DEP_3)
	v_sub_f32_e32 v21, v21, v22
	v_sub_f32_e32 v22, v25, v24
	s_delay_alu instid0(VALU_DEP_2) | instskip(SKIP_1) | instid1(VALU_DEP_2)
	v_add_f32_e32 v6, v6, v21
	v_add_f32_e32 v21, v26, v23
	;; [unrolled: 1-line block ×3, first 2 shown]
	s_delay_alu instid0(VALU_DEP_2) | instskip(NEXT) | instid1(VALU_DEP_2)
	v_sub_f32_e32 v22, v21, v26
	v_add_f32_e32 v6, v27, v6
	s_delay_alu instid0(VALU_DEP_2) | instskip(NEXT) | instid1(VALU_DEP_2)
	v_sub_f32_e32 v22, v23, v22
	v_mul_f32_e32 v6, v20, v6
	s_delay_alu instid0(VALU_DEP_1) | instskip(NEXT) | instid1(VALU_DEP_1)
	v_add_f32_e32 v6, v22, v6
	v_add_f32_e32 v20, v21, v6
	s_delay_alu instid0(VALU_DEP_1) | instskip(NEXT) | instid1(VALU_DEP_1)
	v_mul_f32_e32 v22, v20, v20
	v_fmaak_f32 v23, s2, v22, 0x3ecc95a3
	v_mul_f32_e32 v24, v20, v22
	v_cmp_eq_f32_e64 s2, 0x7f800000, v4
	s_delay_alu instid0(VALU_DEP_3) | instskip(SKIP_2) | instid1(VALU_DEP_4)
	v_fmaak_f32 v22, v22, v23, 0x3f2aaada
	v_ldexp_f32 v23, v20, 1
	v_sub_f32_e32 v20, v20, v21
	s_or_b32 s2, s2, s6
	s_delay_alu instid0(VALU_DEP_3) | instskip(SKIP_1) | instid1(VALU_DEP_2)
	v_mul_f32_e32 v22, v24, v22
	v_mul_f32_e32 v24, 0x3f317218, v10
	v_dual_sub_f32 v6, v6, v20 :: v_dual_add_f32 v21, v23, v22
	s_delay_alu instid0(VALU_DEP_1) | instskip(NEXT) | instid1(VALU_DEP_2)
	v_ldexp_f32 v6, v6, 1
	v_sub_f32_e32 v20, v21, v23
	s_delay_alu instid0(VALU_DEP_4) | instskip(NEXT) | instid1(VALU_DEP_2)
	v_fma_f32 v23, 0x3f317218, v10, -v24
	v_sub_f32_e32 v20, v22, v20
	s_delay_alu instid0(VALU_DEP_2) | instskip(NEXT) | instid1(VALU_DEP_2)
	v_fmamk_f32 v10, v10, 0xb102e308, v23
	v_add_f32_e32 v6, v6, v20
	s_delay_alu instid0(VALU_DEP_2) | instskip(NEXT) | instid1(VALU_DEP_2)
	v_add_f32_e32 v20, v24, v10
	v_add_f32_e32 v22, v21, v6
	s_delay_alu instid0(VALU_DEP_2) | instskip(NEXT) | instid1(VALU_DEP_2)
	v_sub_f32_e32 v24, v20, v24
	v_add_f32_e32 v23, v20, v22
	v_sub_f32_e32 v21, v22, v21
	s_delay_alu instid0(VALU_DEP_3) | instskip(NEXT) | instid1(VALU_DEP_2)
	v_sub_f32_e32 v10, v10, v24
	v_dual_sub_f32 v25, v23, v20 :: v_dual_sub_f32 v6, v6, v21
	s_delay_alu instid0(VALU_DEP_1) | instskip(SKIP_1) | instid1(VALU_DEP_3)
	v_sub_f32_e32 v26, v23, v25
	v_sub_f32_e32 v21, v22, v25
	v_add_f32_e32 v22, v10, v6
	s_delay_alu instid0(VALU_DEP_3) | instskip(NEXT) | instid1(VALU_DEP_1)
	v_sub_f32_e32 v20, v20, v26
	v_dual_add_f32 v20, v21, v20 :: v_dual_sub_f32 v21, v22, v10
	s_delay_alu instid0(VALU_DEP_1) | instskip(NEXT) | instid1(VALU_DEP_2)
	v_add_f32_e32 v20, v22, v20
	v_sub_f32_e32 v22, v22, v21
	v_sub_f32_e32 v6, v6, v21
	s_delay_alu instid0(VALU_DEP_3) | instskip(NEXT) | instid1(VALU_DEP_1)
	v_add_f32_e32 v24, v23, v20
	v_dual_sub_f32 v10, v10, v22 :: v_dual_sub_f32 v21, v24, v23
	s_delay_alu instid0(VALU_DEP_1) | instskip(NEXT) | instid1(VALU_DEP_2)
	v_add_f32_e32 v6, v6, v10
	v_sub_f32_e32 v10, v20, v21
	s_delay_alu instid0(VALU_DEP_1) | instskip(NEXT) | instid1(VALU_DEP_1)
	v_add_f32_e32 v6, v6, v10
	v_add_f32_e32 v6, v24, v6
	s_delay_alu instid0(VALU_DEP_1) | instskip(NEXT) | instid1(VALU_DEP_1)
	v_cndmask_b32_e64 v4, v6, v4, s2
	v_add_f32_e32 v4, v5, v4
.LBB145_159:
	s_or_b32 exec_lo, exec_lo, s5
	v_max_f32_e32 v10, v8, v8
	s_delay_alu instid0(VALU_DEP_2) | instskip(SKIP_1) | instid1(VALU_DEP_2)
	v_max_f32_e32 v5, v4, v4
	v_cmp_u_f32_e64 s2, v4, v4
	v_min_f32_e32 v6, v5, v10
	v_max_f32_e32 v5, v5, v10
	s_delay_alu instid0(VALU_DEP_2) | instskip(NEXT) | instid1(VALU_DEP_2)
	v_cndmask_b32_e64 v6, v6, v4, s2
	v_cndmask_b32_e64 v5, v5, v4, s2
	v_cmp_u_f32_e64 s2, v8, v8
	s_delay_alu instid0(VALU_DEP_1) | instskip(NEXT) | instid1(VALU_DEP_3)
	v_cndmask_b32_e64 v6, v6, v8, s2
	v_cndmask_b32_e64 v5, v5, v8, s2
	s_delay_alu instid0(VALU_DEP_2) | instskip(NEXT) | instid1(VALU_DEP_2)
	v_cmp_class_f32_e64 s6, v6, 0x1f8
	v_cmp_neq_f32_e64 s5, v6, v5
	s_delay_alu instid0(VALU_DEP_1) | instskip(NEXT) | instid1(SALU_CYCLE_1)
	s_or_b32 s5, s5, s6
	s_and_saveexec_b32 s6, s5
	s_cbranch_execz .LBB145_161
; %bb.160:
	v_sub_f32_e32 v4, v6, v5
	s_delay_alu instid0(VALU_DEP_1) | instskip(SKIP_1) | instid1(VALU_DEP_2)
	v_mul_f32_e32 v6, 0x3fb8aa3b, v4
	v_cmp_ngt_f32_e64 s5, 0xc2ce8ed0, v4
	v_fma_f32 v20, 0x3fb8aa3b, v4, -v6
	v_rndne_f32_e32 v21, v6
	s_delay_alu instid0(VALU_DEP_2) | instskip(NEXT) | instid1(VALU_DEP_2)
	v_fmamk_f32 v20, v4, 0x32a5705f, v20
	v_sub_f32_e32 v6, v6, v21
	s_delay_alu instid0(VALU_DEP_1) | instskip(SKIP_1) | instid1(VALU_DEP_2)
	v_add_f32_e32 v6, v6, v20
	v_cvt_i32_f32_e32 v20, v21
	v_exp_f32_e32 v6, v6
	s_waitcnt_depctr 0xfff
	v_ldexp_f32 v6, v6, v20
	s_delay_alu instid0(VALU_DEP_1) | instskip(SKIP_1) | instid1(VALU_DEP_1)
	v_cndmask_b32_e64 v6, 0, v6, s5
	v_cmp_nlt_f32_e64 s5, 0x42b17218, v4
	v_cndmask_b32_e64 v4, 0x7f800000, v6, s5
	s_delay_alu instid0(VALU_DEP_1) | instskip(SKIP_1) | instid1(VALU_DEP_2)
	v_add_f32_e32 v6, 1.0, v4
	v_cmp_gt_f32_e64 s7, 0x33800000, |v4|
	v_cvt_f64_f32_e32 v[20:21], v6
	s_delay_alu instid0(VALU_DEP_1) | instskip(SKIP_1) | instid1(VALU_DEP_1)
	v_frexp_exp_i32_f64_e32 v20, v[20:21]
	v_frexp_mant_f32_e32 v21, v6
	v_cmp_gt_f32_e64 s5, 0x3f2aaaab, v21
	v_add_f32_e32 v21, -1.0, v6
	s_delay_alu instid0(VALU_DEP_1) | instskip(SKIP_1) | instid1(VALU_DEP_2)
	v_sub_f32_e32 v23, v21, v6
	v_sub_f32_e32 v21, v4, v21
	v_add_f32_e32 v23, 1.0, v23
	s_delay_alu instid0(VALU_DEP_1) | instskip(SKIP_2) | instid1(VALU_DEP_1)
	v_add_f32_e32 v21, v21, v23
	v_subrev_co_ci_u32_e64 v20, s5, 0, v20, s5
	s_mov_b32 s5, 0x3e9b6dac
	v_sub_nc_u32_e32 v22, 0, v20
	v_cvt_f32_i32_e32 v20, v20
	s_delay_alu instid0(VALU_DEP_2) | instskip(SKIP_1) | instid1(VALU_DEP_2)
	v_ldexp_f32 v6, v6, v22
	v_ldexp_f32 v21, v21, v22
	v_add_f32_e32 v24, 1.0, v6
	s_delay_alu instid0(VALU_DEP_1) | instskip(NEXT) | instid1(VALU_DEP_1)
	v_dual_add_f32 v22, -1.0, v6 :: v_dual_add_f32 v23, -1.0, v24
	v_add_f32_e32 v25, 1.0, v22
	s_delay_alu instid0(VALU_DEP_2) | instskip(NEXT) | instid1(VALU_DEP_1)
	v_sub_f32_e32 v23, v6, v23
	v_dual_sub_f32 v6, v6, v25 :: v_dual_add_f32 v23, v21, v23
	s_delay_alu instid0(VALU_DEP_1) | instskip(NEXT) | instid1(VALU_DEP_1)
	v_dual_add_f32 v6, v21, v6 :: v_dual_add_f32 v25, v24, v23
	v_rcp_f32_e32 v21, v25
	v_sub_f32_e32 v24, v24, v25
	s_delay_alu instid0(VALU_DEP_1) | instskip(NEXT) | instid1(VALU_DEP_1)
	v_dual_add_f32 v26, v22, v6 :: v_dual_add_f32 v23, v23, v24
	v_sub_f32_e32 v22, v22, v26
	s_waitcnt_depctr 0xfff
	v_mul_f32_e32 v27, v26, v21
	v_add_f32_e32 v6, v6, v22
	s_delay_alu instid0(VALU_DEP_2) | instskip(NEXT) | instid1(VALU_DEP_1)
	v_mul_f32_e32 v28, v25, v27
	v_fma_f32 v24, v27, v25, -v28
	s_delay_alu instid0(VALU_DEP_1) | instskip(NEXT) | instid1(VALU_DEP_1)
	v_fmac_f32_e32 v24, v27, v23
	v_add_f32_e32 v29, v28, v24
	s_delay_alu instid0(VALU_DEP_1) | instskip(SKIP_1) | instid1(VALU_DEP_2)
	v_sub_f32_e32 v30, v26, v29
	v_sub_f32_e32 v22, v29, v28
	;; [unrolled: 1-line block ×3, first 2 shown]
	s_delay_alu instid0(VALU_DEP_2) | instskip(NEXT) | instid1(VALU_DEP_2)
	v_sub_f32_e32 v22, v22, v24
	v_sub_f32_e32 v26, v26, v29
	s_delay_alu instid0(VALU_DEP_1) | instskip(NEXT) | instid1(VALU_DEP_1)
	v_add_f32_e32 v6, v6, v26
	v_add_f32_e32 v6, v22, v6
	s_delay_alu instid0(VALU_DEP_1) | instskip(NEXT) | instid1(VALU_DEP_1)
	v_add_f32_e32 v22, v30, v6
	v_mul_f32_e32 v24, v21, v22
	s_delay_alu instid0(VALU_DEP_1) | instskip(NEXT) | instid1(VALU_DEP_1)
	v_mul_f32_e32 v26, v25, v24
	v_fma_f32 v25, v24, v25, -v26
	s_delay_alu instid0(VALU_DEP_1) | instskip(SKIP_1) | instid1(VALU_DEP_2)
	v_fmac_f32_e32 v25, v24, v23
	v_sub_f32_e32 v29, v30, v22
	v_add_f32_e32 v23, v26, v25
	s_delay_alu instid0(VALU_DEP_2) | instskip(NEXT) | instid1(VALU_DEP_2)
	v_add_f32_e32 v6, v6, v29
	v_sub_f32_e32 v28, v22, v23
	v_sub_f32_e32 v26, v23, v26
	s_delay_alu instid0(VALU_DEP_2) | instskip(NEXT) | instid1(VALU_DEP_1)
	v_sub_f32_e32 v22, v22, v28
	v_sub_f32_e32 v22, v22, v23
	s_delay_alu instid0(VALU_DEP_3) | instskip(NEXT) | instid1(VALU_DEP_2)
	v_sub_f32_e32 v23, v26, v25
	v_add_f32_e32 v6, v6, v22
	v_add_f32_e32 v22, v27, v24
	s_delay_alu instid0(VALU_DEP_1) | instskip(NEXT) | instid1(VALU_DEP_1)
	v_dual_add_f32 v6, v23, v6 :: v_dual_sub_f32 v23, v22, v27
	v_add_f32_e32 v6, v28, v6
	s_delay_alu instid0(VALU_DEP_1) | instskip(NEXT) | instid1(VALU_DEP_1)
	v_dual_sub_f32 v23, v24, v23 :: v_dual_mul_f32 v6, v21, v6
	v_add_f32_e32 v6, v23, v6
	s_delay_alu instid0(VALU_DEP_1) | instskip(NEXT) | instid1(VALU_DEP_1)
	v_add_f32_e32 v21, v22, v6
	v_mul_f32_e32 v23, v21, v21
	s_delay_alu instid0(VALU_DEP_1) | instskip(SKIP_2) | instid1(VALU_DEP_3)
	v_fmaak_f32 v24, s5, v23, 0x3ecc95a3
	v_mul_f32_e32 v25, v21, v23
	v_cmp_eq_f32_e64 s5, 0x7f800000, v4
	v_fmaak_f32 v23, v23, v24, 0x3f2aaada
	v_ldexp_f32 v24, v21, 1
	v_sub_f32_e32 v21, v21, v22
	s_delay_alu instid0(VALU_DEP_4) | instskip(NEXT) | instid1(VALU_DEP_3)
	s_or_b32 s5, s5, s7
	v_mul_f32_e32 v23, v25, v23
	s_delay_alu instid0(VALU_DEP_2) | instskip(NEXT) | instid1(VALU_DEP_2)
	v_dual_mul_f32 v25, 0x3f317218, v20 :: v_dual_sub_f32 v6, v6, v21
	v_add_f32_e32 v22, v24, v23
	s_delay_alu instid0(VALU_DEP_2) | instskip(NEXT) | instid1(VALU_DEP_2)
	v_ldexp_f32 v6, v6, 1
	v_sub_f32_e32 v21, v22, v24
	s_delay_alu instid0(VALU_DEP_4) | instskip(NEXT) | instid1(VALU_DEP_1)
	v_fma_f32 v24, 0x3f317218, v20, -v25
	v_dual_sub_f32 v21, v23, v21 :: v_dual_fmamk_f32 v20, v20, 0xb102e308, v24
	s_delay_alu instid0(VALU_DEP_1) | instskip(NEXT) | instid1(VALU_DEP_1)
	v_dual_add_f32 v6, v6, v21 :: v_dual_add_f32 v21, v25, v20
	v_add_f32_e32 v23, v22, v6
	s_delay_alu instid0(VALU_DEP_2) | instskip(NEXT) | instid1(VALU_DEP_2)
	v_sub_f32_e32 v25, v21, v25
	v_add_f32_e32 v24, v21, v23
	v_sub_f32_e32 v22, v23, v22
	s_delay_alu instid0(VALU_DEP_3) | instskip(NEXT) | instid1(VALU_DEP_3)
	v_sub_f32_e32 v20, v20, v25
	v_sub_f32_e32 v26, v24, v21
	s_delay_alu instid0(VALU_DEP_3) | instskip(NEXT) | instid1(VALU_DEP_2)
	v_sub_f32_e32 v6, v6, v22
	v_sub_f32_e32 v27, v24, v26
	;; [unrolled: 1-line block ×3, first 2 shown]
	s_delay_alu instid0(VALU_DEP_3) | instskip(NEXT) | instid1(VALU_DEP_3)
	v_add_f32_e32 v23, v20, v6
	v_sub_f32_e32 v21, v21, v27
	s_delay_alu instid0(VALU_DEP_1) | instskip(NEXT) | instid1(VALU_DEP_1)
	v_dual_add_f32 v21, v22, v21 :: v_dual_sub_f32 v22, v23, v20
	v_add_f32_e32 v21, v23, v21
	s_delay_alu instid0(VALU_DEP_2) | instskip(NEXT) | instid1(VALU_DEP_2)
	v_sub_f32_e32 v23, v23, v22
	v_dual_sub_f32 v6, v6, v22 :: v_dual_add_f32 v25, v24, v21
	s_delay_alu instid0(VALU_DEP_2) | instskip(NEXT) | instid1(VALU_DEP_2)
	v_sub_f32_e32 v20, v20, v23
	v_sub_f32_e32 v22, v25, v24
	s_delay_alu instid0(VALU_DEP_2) | instskip(NEXT) | instid1(VALU_DEP_2)
	v_add_f32_e32 v6, v6, v20
	v_sub_f32_e32 v20, v21, v22
	s_delay_alu instid0(VALU_DEP_1) | instskip(NEXT) | instid1(VALU_DEP_1)
	v_add_f32_e32 v6, v6, v20
	v_add_f32_e32 v6, v25, v6
	s_delay_alu instid0(VALU_DEP_1) | instskip(NEXT) | instid1(VALU_DEP_1)
	v_cndmask_b32_e64 v4, v6, v4, s5
	v_add_f32_e32 v4, v5, v4
.LBB145_161:
	s_or_b32 exec_lo, exec_lo, s6
	v_lshrrev_b32_e32 v5, 5, v0
	s_mov_b32 s7, exec_lo
	s_delay_alu instid0(VALU_DEP_1)
	v_add_lshl_u32 v5, v5, v0, 2
	ds_store_b32 v5, v4
	s_waitcnt lgkmcnt(0)
	s_barrier
	buffer_gl0_inv
	v_cmpx_gt_u32_e32 32, v0
	s_cbranch_execz .LBB145_213
; %bb.162:
	v_and_b32_e32 v5, 0xfc, v0
	s_delay_alu instid0(VALU_DEP_1)
	v_lshl_or_b32 v20, v0, 5, v5
	ds_load_2addr_b32 v[5:6], v20 offset1:1
	s_waitcnt lgkmcnt(0)
	v_dual_max_f32 v22, v6, v6 :: v_dual_max_f32 v21, v5, v5
	v_cmp_u_f32_e64 s5, v5, v5
	v_cmp_u_f32_e64 s6, v6, v6
	s_delay_alu instid0(VALU_DEP_3) | instskip(SKIP_1) | instid1(VALU_DEP_2)
	v_min_f32_e32 v23, v21, v22
	v_max_f32_e32 v22, v21, v22
	v_cndmask_b32_e64 v23, v23, v5, s5
	s_delay_alu instid0(VALU_DEP_2) | instskip(NEXT) | instid1(VALU_DEP_2)
	v_cndmask_b32_e64 v24, v22, v5, s5
	v_cndmask_b32_e64 v22, v23, v6, s6
	s_delay_alu instid0(VALU_DEP_2) | instskip(SKIP_1) | instid1(VALU_DEP_3)
	v_cndmask_b32_e64 v6, v24, v6, s6
	v_mov_b32_e32 v23, v5
	v_cmp_class_f32_e64 s8, v22, 0x1f8
	s_delay_alu instid0(VALU_DEP_3) | instskip(NEXT) | instid1(VALU_DEP_1)
	v_cmp_neq_f32_e64 s6, v22, v6
	s_or_b32 s6, s6, s8
	s_delay_alu instid0(SALU_CYCLE_1)
	s_and_saveexec_b32 s8, s6
	s_cbranch_execz .LBB145_164
; %bb.163:
	v_sub_f32_e32 v22, v22, v6
	s_delay_alu instid0(VALU_DEP_1) | instskip(NEXT) | instid1(VALU_DEP_1)
	v_mul_f32_e32 v23, 0x3fb8aa3b, v22
	v_fma_f32 v24, 0x3fb8aa3b, v22, -v23
	v_rndne_f32_e32 v25, v23
	s_delay_alu instid0(VALU_DEP_1) | instskip(SKIP_1) | instid1(VALU_DEP_2)
	v_dual_sub_f32 v23, v23, v25 :: v_dual_fmamk_f32 v24, v22, 0x32a5705f, v24
	v_cmp_ngt_f32_e64 s6, 0xc2ce8ed0, v22
	v_add_f32_e32 v23, v23, v24
	v_cvt_i32_f32_e32 v24, v25
	s_delay_alu instid0(VALU_DEP_2) | instskip(SKIP_2) | instid1(VALU_DEP_1)
	v_exp_f32_e32 v23, v23
	s_waitcnt_depctr 0xfff
	v_ldexp_f32 v23, v23, v24
	v_cndmask_b32_e64 v23, 0, v23, s6
	v_cmp_nlt_f32_e64 s6, 0x42b17218, v22
	s_delay_alu instid0(VALU_DEP_1) | instskip(NEXT) | instid1(VALU_DEP_1)
	v_cndmask_b32_e64 v24, 0x7f800000, v23, s6
	v_add_f32_e32 v25, 1.0, v24
	v_cmp_gt_f32_e64 s9, 0x33800000, |v24|
	s_delay_alu instid0(VALU_DEP_2) | instskip(NEXT) | instid1(VALU_DEP_1)
	v_cvt_f64_f32_e32 v[22:23], v25
	v_frexp_exp_i32_f64_e32 v22, v[22:23]
	v_frexp_mant_f32_e32 v23, v25
	s_delay_alu instid0(VALU_DEP_1) | instskip(SKIP_1) | instid1(VALU_DEP_1)
	v_cmp_gt_f32_e64 s6, 0x3f2aaaab, v23
	v_add_f32_e32 v23, -1.0, v25
	v_sub_f32_e32 v27, v23, v25
	v_sub_f32_e32 v23, v24, v23
	s_delay_alu instid0(VALU_DEP_4) | instskip(SKIP_1) | instid1(VALU_DEP_1)
	v_subrev_co_ci_u32_e64 v22, s6, 0, v22, s6
	s_mov_b32 s6, 0x3e9b6dac
	v_sub_nc_u32_e32 v26, 0, v22
	v_cvt_f32_i32_e32 v22, v22
	s_delay_alu instid0(VALU_DEP_2) | instskip(NEXT) | instid1(VALU_DEP_1)
	v_ldexp_f32 v25, v25, v26
	v_dual_add_f32 v28, 1.0, v25 :: v_dual_add_f32 v27, 1.0, v27
	s_delay_alu instid0(VALU_DEP_1) | instskip(NEXT) | instid1(VALU_DEP_2)
	v_add_f32_e32 v23, v23, v27
	v_add_f32_e32 v27, -1.0, v28
	s_delay_alu instid0(VALU_DEP_2) | instskip(NEXT) | instid1(VALU_DEP_2)
	v_ldexp_f32 v23, v23, v26
	v_dual_add_f32 v26, -1.0, v25 :: v_dual_sub_f32 v27, v25, v27
	s_delay_alu instid0(VALU_DEP_1) | instskip(NEXT) | instid1(VALU_DEP_2)
	v_add_f32_e32 v29, 1.0, v26
	v_add_f32_e32 v27, v23, v27
	s_delay_alu instid0(VALU_DEP_2) | instskip(NEXT) | instid1(VALU_DEP_2)
	v_sub_f32_e32 v25, v25, v29
	v_add_f32_e32 v29, v28, v27
	s_delay_alu instid0(VALU_DEP_2) | instskip(NEXT) | instid1(VALU_DEP_2)
	v_add_f32_e32 v23, v23, v25
	v_rcp_f32_e32 v25, v29
	v_sub_f32_e32 v28, v28, v29
	s_delay_alu instid0(VALU_DEP_1) | instskip(NEXT) | instid1(VALU_DEP_1)
	v_dual_add_f32 v30, v26, v23 :: v_dual_add_f32 v27, v27, v28
	v_sub_f32_e32 v26, v26, v30
	s_waitcnt_depctr 0xfff
	v_mul_f32_e32 v31, v30, v25
	s_delay_alu instid0(VALU_DEP_1) | instskip(NEXT) | instid1(VALU_DEP_1)
	v_dual_add_f32 v23, v23, v26 :: v_dual_mul_f32 v32, v29, v31
	v_fma_f32 v28, v31, v29, -v32
	s_delay_alu instid0(VALU_DEP_1) | instskip(NEXT) | instid1(VALU_DEP_1)
	v_fmac_f32_e32 v28, v31, v27
	v_add_f32_e32 v33, v32, v28
	s_delay_alu instid0(VALU_DEP_1) | instskip(SKIP_1) | instid1(VALU_DEP_2)
	v_sub_f32_e32 v34, v30, v33
	v_sub_f32_e32 v26, v33, v32
	;; [unrolled: 1-line block ×3, first 2 shown]
	s_delay_alu instid0(VALU_DEP_2) | instskip(NEXT) | instid1(VALU_DEP_2)
	v_sub_f32_e32 v26, v26, v28
	v_sub_f32_e32 v30, v30, v33
	s_delay_alu instid0(VALU_DEP_1) | instskip(NEXT) | instid1(VALU_DEP_1)
	v_add_f32_e32 v23, v23, v30
	v_add_f32_e32 v23, v26, v23
	s_delay_alu instid0(VALU_DEP_1) | instskip(NEXT) | instid1(VALU_DEP_1)
	v_add_f32_e32 v26, v34, v23
	v_mul_f32_e32 v28, v25, v26
	s_delay_alu instid0(VALU_DEP_1) | instskip(NEXT) | instid1(VALU_DEP_1)
	v_dual_sub_f32 v33, v34, v26 :: v_dual_mul_f32 v30, v29, v28
	v_add_f32_e32 v23, v23, v33
	s_delay_alu instid0(VALU_DEP_2) | instskip(NEXT) | instid1(VALU_DEP_1)
	v_fma_f32 v29, v28, v29, -v30
	v_fmac_f32_e32 v29, v28, v27
	s_delay_alu instid0(VALU_DEP_1) | instskip(NEXT) | instid1(VALU_DEP_1)
	v_add_f32_e32 v27, v30, v29
	v_sub_f32_e32 v32, v26, v27
	v_sub_f32_e32 v30, v27, v30
	s_delay_alu instid0(VALU_DEP_2) | instskip(NEXT) | instid1(VALU_DEP_1)
	v_sub_f32_e32 v26, v26, v32
	v_sub_f32_e32 v26, v26, v27
	s_delay_alu instid0(VALU_DEP_3) | instskip(NEXT) | instid1(VALU_DEP_2)
	v_sub_f32_e32 v27, v30, v29
	v_add_f32_e32 v23, v23, v26
	v_add_f32_e32 v26, v31, v28
	s_delay_alu instid0(VALU_DEP_2) | instskip(NEXT) | instid1(VALU_DEP_2)
	v_add_f32_e32 v23, v27, v23
	v_sub_f32_e32 v27, v26, v31
	s_delay_alu instid0(VALU_DEP_2) | instskip(NEXT) | instid1(VALU_DEP_2)
	v_add_f32_e32 v23, v32, v23
	v_sub_f32_e32 v27, v28, v27
	s_delay_alu instid0(VALU_DEP_2) | instskip(NEXT) | instid1(VALU_DEP_1)
	v_mul_f32_e32 v23, v25, v23
	v_add_f32_e32 v23, v27, v23
	s_delay_alu instid0(VALU_DEP_1) | instskip(NEXT) | instid1(VALU_DEP_1)
	v_add_f32_e32 v25, v26, v23
	v_mul_f32_e32 v27, v25, v25
	s_delay_alu instid0(VALU_DEP_1) | instskip(SKIP_2) | instid1(VALU_DEP_3)
	v_fmaak_f32 v28, s6, v27, 0x3ecc95a3
	v_mul_f32_e32 v29, v25, v27
	v_cmp_eq_f32_e64 s6, 0x7f800000, v24
	v_fmaak_f32 v27, v27, v28, 0x3f2aaada
	v_ldexp_f32 v28, v25, 1
	v_sub_f32_e32 v25, v25, v26
	s_delay_alu instid0(VALU_DEP_4) | instskip(NEXT) | instid1(VALU_DEP_3)
	s_or_b32 s6, s6, s9
	v_mul_f32_e32 v27, v29, v27
	v_mul_f32_e32 v29, 0x3f317218, v22
	s_delay_alu instid0(VALU_DEP_2) | instskip(NEXT) | instid1(VALU_DEP_1)
	v_dual_sub_f32 v23, v23, v25 :: v_dual_add_f32 v26, v28, v27
	v_ldexp_f32 v23, v23, 1
	s_delay_alu instid0(VALU_DEP_2) | instskip(NEXT) | instid1(VALU_DEP_4)
	v_sub_f32_e32 v25, v26, v28
	v_fma_f32 v28, 0x3f317218, v22, -v29
	s_delay_alu instid0(VALU_DEP_1) | instskip(NEXT) | instid1(VALU_DEP_1)
	v_dual_sub_f32 v25, v27, v25 :: v_dual_fmamk_f32 v22, v22, 0xb102e308, v28
	v_add_f32_e32 v23, v23, v25
	s_delay_alu instid0(VALU_DEP_2) | instskip(NEXT) | instid1(VALU_DEP_2)
	v_add_f32_e32 v25, v29, v22
	v_add_f32_e32 v27, v26, v23
	s_delay_alu instid0(VALU_DEP_2) | instskip(NEXT) | instid1(VALU_DEP_2)
	v_sub_f32_e32 v29, v25, v29
	v_add_f32_e32 v28, v25, v27
	v_sub_f32_e32 v26, v27, v26
	s_delay_alu instid0(VALU_DEP_3) | instskip(NEXT) | instid1(VALU_DEP_2)
	v_sub_f32_e32 v22, v22, v29
	v_dual_sub_f32 v30, v28, v25 :: v_dual_sub_f32 v23, v23, v26
	s_delay_alu instid0(VALU_DEP_1) | instskip(NEXT) | instid1(VALU_DEP_2)
	v_sub_f32_e32 v31, v28, v30
	v_dual_sub_f32 v26, v27, v30 :: v_dual_add_f32 v27, v22, v23
	s_delay_alu instid0(VALU_DEP_2) | instskip(NEXT) | instid1(VALU_DEP_1)
	v_sub_f32_e32 v25, v25, v31
	v_dual_add_f32 v25, v26, v25 :: v_dual_sub_f32 v26, v27, v22
	s_delay_alu instid0(VALU_DEP_1) | instskip(NEXT) | instid1(VALU_DEP_2)
	v_add_f32_e32 v25, v27, v25
	v_sub_f32_e32 v27, v27, v26
	v_sub_f32_e32 v23, v23, v26
	s_delay_alu instid0(VALU_DEP_2) | instskip(NEXT) | instid1(VALU_DEP_1)
	v_dual_add_f32 v29, v28, v25 :: v_dual_sub_f32 v22, v22, v27
	v_sub_f32_e32 v26, v29, v28
	s_delay_alu instid0(VALU_DEP_2) | instskip(NEXT) | instid1(VALU_DEP_2)
	v_add_f32_e32 v22, v23, v22
	v_sub_f32_e32 v23, v25, v26
	s_delay_alu instid0(VALU_DEP_1) | instskip(NEXT) | instid1(VALU_DEP_1)
	v_add_f32_e32 v22, v22, v23
	v_add_f32_e32 v22, v29, v22
	s_delay_alu instid0(VALU_DEP_1) | instskip(NEXT) | instid1(VALU_DEP_1)
	v_cndmask_b32_e64 v22, v22, v24, s6
	v_add_f32_e32 v23, v6, v22
.LBB145_164:
	s_or_b32 exec_lo, exec_lo, s8
	ds_load_b32 v6, v20 offset:8
	v_max_f32_e32 v22, v23, v23
	v_cmp_u_f32_e64 s6, v23, v23
	s_waitcnt lgkmcnt(0)
	v_max_f32_e32 v24, v6, v6
	s_delay_alu instid0(VALU_DEP_1) | instskip(SKIP_1) | instid1(VALU_DEP_2)
	v_min_f32_e32 v25, v22, v24
	v_max_f32_e32 v22, v22, v24
	v_cndmask_b32_e64 v24, v25, v23, s6
	s_delay_alu instid0(VALU_DEP_2) | instskip(SKIP_1) | instid1(VALU_DEP_1)
	v_cndmask_b32_e64 v25, v22, v23, s6
	v_cmp_u_f32_e64 s6, v6, v6
	v_cndmask_b32_e64 v22, v24, v6, s6
	s_delay_alu instid0(VALU_DEP_3) | instskip(NEXT) | instid1(VALU_DEP_2)
	v_cndmask_b32_e64 v6, v25, v6, s6
	v_cmp_class_f32_e64 s8, v22, 0x1f8
	s_delay_alu instid0(VALU_DEP_2) | instskip(NEXT) | instid1(VALU_DEP_1)
	v_cmp_neq_f32_e64 s6, v22, v6
	s_or_b32 s6, s6, s8
	s_delay_alu instid0(SALU_CYCLE_1)
	s_and_saveexec_b32 s8, s6
	s_cbranch_execz .LBB145_166
; %bb.165:
	v_sub_f32_e32 v22, v22, v6
	s_delay_alu instid0(VALU_DEP_1) | instskip(NEXT) | instid1(VALU_DEP_1)
	v_mul_f32_e32 v23, 0x3fb8aa3b, v22
	v_fma_f32 v24, 0x3fb8aa3b, v22, -v23
	v_rndne_f32_e32 v25, v23
	s_delay_alu instid0(VALU_DEP_1) | instskip(SKIP_1) | instid1(VALU_DEP_2)
	v_dual_sub_f32 v23, v23, v25 :: v_dual_fmamk_f32 v24, v22, 0x32a5705f, v24
	v_cmp_ngt_f32_e64 s6, 0xc2ce8ed0, v22
	v_add_f32_e32 v23, v23, v24
	v_cvt_i32_f32_e32 v24, v25
	s_delay_alu instid0(VALU_DEP_2) | instskip(SKIP_2) | instid1(VALU_DEP_1)
	v_exp_f32_e32 v23, v23
	s_waitcnt_depctr 0xfff
	v_ldexp_f32 v23, v23, v24
	v_cndmask_b32_e64 v23, 0, v23, s6
	v_cmp_nlt_f32_e64 s6, 0x42b17218, v22
	s_delay_alu instid0(VALU_DEP_1) | instskip(NEXT) | instid1(VALU_DEP_1)
	v_cndmask_b32_e64 v24, 0x7f800000, v23, s6
	v_add_f32_e32 v25, 1.0, v24
	v_cmp_gt_f32_e64 s9, 0x33800000, |v24|
	s_delay_alu instid0(VALU_DEP_2) | instskip(NEXT) | instid1(VALU_DEP_1)
	v_cvt_f64_f32_e32 v[22:23], v25
	v_frexp_exp_i32_f64_e32 v22, v[22:23]
	v_frexp_mant_f32_e32 v23, v25
	s_delay_alu instid0(VALU_DEP_1) | instskip(SKIP_1) | instid1(VALU_DEP_1)
	v_cmp_gt_f32_e64 s6, 0x3f2aaaab, v23
	v_add_f32_e32 v23, -1.0, v25
	v_sub_f32_e32 v27, v23, v25
	v_sub_f32_e32 v23, v24, v23
	s_delay_alu instid0(VALU_DEP_4) | instskip(SKIP_1) | instid1(VALU_DEP_1)
	v_subrev_co_ci_u32_e64 v22, s6, 0, v22, s6
	s_mov_b32 s6, 0x3e9b6dac
	v_sub_nc_u32_e32 v26, 0, v22
	v_cvt_f32_i32_e32 v22, v22
	s_delay_alu instid0(VALU_DEP_2) | instskip(NEXT) | instid1(VALU_DEP_1)
	v_ldexp_f32 v25, v25, v26
	v_dual_add_f32 v28, 1.0, v25 :: v_dual_add_f32 v27, 1.0, v27
	s_delay_alu instid0(VALU_DEP_1) | instskip(NEXT) | instid1(VALU_DEP_2)
	v_add_f32_e32 v23, v23, v27
	v_add_f32_e32 v27, -1.0, v28
	s_delay_alu instid0(VALU_DEP_2) | instskip(NEXT) | instid1(VALU_DEP_2)
	v_ldexp_f32 v23, v23, v26
	v_dual_add_f32 v26, -1.0, v25 :: v_dual_sub_f32 v27, v25, v27
	s_delay_alu instid0(VALU_DEP_1) | instskip(NEXT) | instid1(VALU_DEP_2)
	v_add_f32_e32 v29, 1.0, v26
	v_add_f32_e32 v27, v23, v27
	s_delay_alu instid0(VALU_DEP_2) | instskip(NEXT) | instid1(VALU_DEP_2)
	v_sub_f32_e32 v25, v25, v29
	v_add_f32_e32 v29, v28, v27
	s_delay_alu instid0(VALU_DEP_2) | instskip(NEXT) | instid1(VALU_DEP_2)
	v_add_f32_e32 v23, v23, v25
	v_rcp_f32_e32 v25, v29
	v_sub_f32_e32 v28, v28, v29
	s_delay_alu instid0(VALU_DEP_1) | instskip(NEXT) | instid1(VALU_DEP_1)
	v_dual_add_f32 v30, v26, v23 :: v_dual_add_f32 v27, v27, v28
	v_sub_f32_e32 v26, v26, v30
	s_waitcnt_depctr 0xfff
	v_mul_f32_e32 v31, v30, v25
	s_delay_alu instid0(VALU_DEP_1) | instskip(NEXT) | instid1(VALU_DEP_1)
	v_dual_add_f32 v23, v23, v26 :: v_dual_mul_f32 v32, v29, v31
	v_fma_f32 v28, v31, v29, -v32
	s_delay_alu instid0(VALU_DEP_1) | instskip(NEXT) | instid1(VALU_DEP_1)
	v_fmac_f32_e32 v28, v31, v27
	v_add_f32_e32 v33, v32, v28
	s_delay_alu instid0(VALU_DEP_1) | instskip(SKIP_1) | instid1(VALU_DEP_2)
	v_sub_f32_e32 v34, v30, v33
	v_sub_f32_e32 v26, v33, v32
	;; [unrolled: 1-line block ×3, first 2 shown]
	s_delay_alu instid0(VALU_DEP_2) | instskip(NEXT) | instid1(VALU_DEP_2)
	v_sub_f32_e32 v26, v26, v28
	v_sub_f32_e32 v30, v30, v33
	s_delay_alu instid0(VALU_DEP_1) | instskip(NEXT) | instid1(VALU_DEP_1)
	v_add_f32_e32 v23, v23, v30
	v_add_f32_e32 v23, v26, v23
	s_delay_alu instid0(VALU_DEP_1) | instskip(NEXT) | instid1(VALU_DEP_1)
	v_add_f32_e32 v26, v34, v23
	v_mul_f32_e32 v28, v25, v26
	s_delay_alu instid0(VALU_DEP_1) | instskip(NEXT) | instid1(VALU_DEP_1)
	v_dual_sub_f32 v33, v34, v26 :: v_dual_mul_f32 v30, v29, v28
	v_add_f32_e32 v23, v23, v33
	s_delay_alu instid0(VALU_DEP_2) | instskip(NEXT) | instid1(VALU_DEP_1)
	v_fma_f32 v29, v28, v29, -v30
	v_fmac_f32_e32 v29, v28, v27
	s_delay_alu instid0(VALU_DEP_1) | instskip(NEXT) | instid1(VALU_DEP_1)
	v_add_f32_e32 v27, v30, v29
	v_sub_f32_e32 v32, v26, v27
	v_sub_f32_e32 v30, v27, v30
	s_delay_alu instid0(VALU_DEP_2) | instskip(NEXT) | instid1(VALU_DEP_1)
	v_sub_f32_e32 v26, v26, v32
	v_sub_f32_e32 v26, v26, v27
	s_delay_alu instid0(VALU_DEP_3) | instskip(NEXT) | instid1(VALU_DEP_2)
	v_sub_f32_e32 v27, v30, v29
	v_add_f32_e32 v23, v23, v26
	v_add_f32_e32 v26, v31, v28
	s_delay_alu instid0(VALU_DEP_2) | instskip(NEXT) | instid1(VALU_DEP_2)
	v_add_f32_e32 v23, v27, v23
	v_sub_f32_e32 v27, v26, v31
	s_delay_alu instid0(VALU_DEP_2) | instskip(NEXT) | instid1(VALU_DEP_2)
	v_add_f32_e32 v23, v32, v23
	v_sub_f32_e32 v27, v28, v27
	s_delay_alu instid0(VALU_DEP_2) | instskip(NEXT) | instid1(VALU_DEP_1)
	v_mul_f32_e32 v23, v25, v23
	v_add_f32_e32 v23, v27, v23
	s_delay_alu instid0(VALU_DEP_1) | instskip(NEXT) | instid1(VALU_DEP_1)
	v_add_f32_e32 v25, v26, v23
	v_mul_f32_e32 v27, v25, v25
	s_delay_alu instid0(VALU_DEP_1) | instskip(SKIP_2) | instid1(VALU_DEP_3)
	v_fmaak_f32 v28, s6, v27, 0x3ecc95a3
	v_mul_f32_e32 v29, v25, v27
	v_cmp_eq_f32_e64 s6, 0x7f800000, v24
	v_fmaak_f32 v27, v27, v28, 0x3f2aaada
	v_ldexp_f32 v28, v25, 1
	v_sub_f32_e32 v25, v25, v26
	s_delay_alu instid0(VALU_DEP_4) | instskip(NEXT) | instid1(VALU_DEP_3)
	s_or_b32 s6, s6, s9
	v_mul_f32_e32 v27, v29, v27
	v_mul_f32_e32 v29, 0x3f317218, v22
	s_delay_alu instid0(VALU_DEP_2) | instskip(NEXT) | instid1(VALU_DEP_1)
	v_dual_sub_f32 v23, v23, v25 :: v_dual_add_f32 v26, v28, v27
	v_ldexp_f32 v23, v23, 1
	s_delay_alu instid0(VALU_DEP_2) | instskip(NEXT) | instid1(VALU_DEP_4)
	v_sub_f32_e32 v25, v26, v28
	v_fma_f32 v28, 0x3f317218, v22, -v29
	s_delay_alu instid0(VALU_DEP_1) | instskip(NEXT) | instid1(VALU_DEP_1)
	v_dual_sub_f32 v25, v27, v25 :: v_dual_fmamk_f32 v22, v22, 0xb102e308, v28
	v_add_f32_e32 v23, v23, v25
	s_delay_alu instid0(VALU_DEP_2) | instskip(NEXT) | instid1(VALU_DEP_2)
	v_add_f32_e32 v25, v29, v22
	v_add_f32_e32 v27, v26, v23
	s_delay_alu instid0(VALU_DEP_2) | instskip(NEXT) | instid1(VALU_DEP_2)
	v_sub_f32_e32 v29, v25, v29
	v_add_f32_e32 v28, v25, v27
	v_sub_f32_e32 v26, v27, v26
	s_delay_alu instid0(VALU_DEP_3) | instskip(NEXT) | instid1(VALU_DEP_2)
	v_sub_f32_e32 v22, v22, v29
	v_dual_sub_f32 v30, v28, v25 :: v_dual_sub_f32 v23, v23, v26
	s_delay_alu instid0(VALU_DEP_1) | instskip(NEXT) | instid1(VALU_DEP_2)
	v_sub_f32_e32 v31, v28, v30
	v_dual_sub_f32 v26, v27, v30 :: v_dual_add_f32 v27, v22, v23
	s_delay_alu instid0(VALU_DEP_2) | instskip(NEXT) | instid1(VALU_DEP_1)
	v_sub_f32_e32 v25, v25, v31
	v_dual_add_f32 v25, v26, v25 :: v_dual_sub_f32 v26, v27, v22
	s_delay_alu instid0(VALU_DEP_1) | instskip(NEXT) | instid1(VALU_DEP_2)
	v_add_f32_e32 v25, v27, v25
	v_sub_f32_e32 v27, v27, v26
	v_sub_f32_e32 v23, v23, v26
	s_delay_alu instid0(VALU_DEP_2) | instskip(NEXT) | instid1(VALU_DEP_1)
	v_dual_add_f32 v29, v28, v25 :: v_dual_sub_f32 v22, v22, v27
	v_sub_f32_e32 v26, v29, v28
	s_delay_alu instid0(VALU_DEP_2) | instskip(NEXT) | instid1(VALU_DEP_2)
	v_add_f32_e32 v22, v23, v22
	v_sub_f32_e32 v23, v25, v26
	s_delay_alu instid0(VALU_DEP_1) | instskip(NEXT) | instid1(VALU_DEP_1)
	v_add_f32_e32 v22, v22, v23
	v_add_f32_e32 v22, v29, v22
	s_delay_alu instid0(VALU_DEP_1) | instskip(NEXT) | instid1(VALU_DEP_1)
	v_cndmask_b32_e64 v22, v22, v24, s6
	v_add_f32_e32 v23, v6, v22
.LBB145_166:
	s_or_b32 exec_lo, exec_lo, s8
	ds_load_b32 v6, v20 offset:12
	v_max_f32_e32 v22, v23, v23
	v_cmp_u_f32_e64 s6, v23, v23
	s_waitcnt lgkmcnt(0)
	v_max_f32_e32 v24, v6, v6
	s_delay_alu instid0(VALU_DEP_1) | instskip(SKIP_1) | instid1(VALU_DEP_2)
	v_min_f32_e32 v25, v22, v24
	v_max_f32_e32 v22, v22, v24
	v_cndmask_b32_e64 v24, v25, v23, s6
	s_delay_alu instid0(VALU_DEP_2) | instskip(SKIP_1) | instid1(VALU_DEP_1)
	v_cndmask_b32_e64 v25, v22, v23, s6
	v_cmp_u_f32_e64 s6, v6, v6
	v_cndmask_b32_e64 v22, v24, v6, s6
	s_delay_alu instid0(VALU_DEP_3) | instskip(NEXT) | instid1(VALU_DEP_2)
	v_cndmask_b32_e64 v6, v25, v6, s6
	v_cmp_class_f32_e64 s8, v22, 0x1f8
	s_delay_alu instid0(VALU_DEP_2) | instskip(NEXT) | instid1(VALU_DEP_1)
	v_cmp_neq_f32_e64 s6, v22, v6
	s_or_b32 s6, s6, s8
	s_delay_alu instid0(SALU_CYCLE_1)
	s_and_saveexec_b32 s8, s6
	s_cbranch_execz .LBB145_168
; %bb.167:
	v_sub_f32_e32 v22, v22, v6
	s_delay_alu instid0(VALU_DEP_1) | instskip(NEXT) | instid1(VALU_DEP_1)
	v_mul_f32_e32 v23, 0x3fb8aa3b, v22
	v_fma_f32 v24, 0x3fb8aa3b, v22, -v23
	v_rndne_f32_e32 v25, v23
	s_delay_alu instid0(VALU_DEP_1) | instskip(SKIP_1) | instid1(VALU_DEP_2)
	v_dual_sub_f32 v23, v23, v25 :: v_dual_fmamk_f32 v24, v22, 0x32a5705f, v24
	v_cmp_ngt_f32_e64 s6, 0xc2ce8ed0, v22
	v_add_f32_e32 v23, v23, v24
	v_cvt_i32_f32_e32 v24, v25
	s_delay_alu instid0(VALU_DEP_2) | instskip(SKIP_2) | instid1(VALU_DEP_1)
	v_exp_f32_e32 v23, v23
	s_waitcnt_depctr 0xfff
	v_ldexp_f32 v23, v23, v24
	v_cndmask_b32_e64 v23, 0, v23, s6
	v_cmp_nlt_f32_e64 s6, 0x42b17218, v22
	s_delay_alu instid0(VALU_DEP_1) | instskip(NEXT) | instid1(VALU_DEP_1)
	v_cndmask_b32_e64 v24, 0x7f800000, v23, s6
	v_add_f32_e32 v25, 1.0, v24
	v_cmp_gt_f32_e64 s9, 0x33800000, |v24|
	s_delay_alu instid0(VALU_DEP_2) | instskip(NEXT) | instid1(VALU_DEP_1)
	v_cvt_f64_f32_e32 v[22:23], v25
	v_frexp_exp_i32_f64_e32 v22, v[22:23]
	v_frexp_mant_f32_e32 v23, v25
	s_delay_alu instid0(VALU_DEP_1) | instskip(SKIP_1) | instid1(VALU_DEP_1)
	v_cmp_gt_f32_e64 s6, 0x3f2aaaab, v23
	v_add_f32_e32 v23, -1.0, v25
	v_sub_f32_e32 v27, v23, v25
	v_sub_f32_e32 v23, v24, v23
	s_delay_alu instid0(VALU_DEP_4) | instskip(SKIP_1) | instid1(VALU_DEP_1)
	v_subrev_co_ci_u32_e64 v22, s6, 0, v22, s6
	s_mov_b32 s6, 0x3e9b6dac
	v_sub_nc_u32_e32 v26, 0, v22
	v_cvt_f32_i32_e32 v22, v22
	s_delay_alu instid0(VALU_DEP_2) | instskip(NEXT) | instid1(VALU_DEP_1)
	v_ldexp_f32 v25, v25, v26
	v_dual_add_f32 v28, 1.0, v25 :: v_dual_add_f32 v27, 1.0, v27
	s_delay_alu instid0(VALU_DEP_1) | instskip(NEXT) | instid1(VALU_DEP_2)
	v_add_f32_e32 v23, v23, v27
	v_add_f32_e32 v27, -1.0, v28
	s_delay_alu instid0(VALU_DEP_2) | instskip(NEXT) | instid1(VALU_DEP_2)
	v_ldexp_f32 v23, v23, v26
	v_dual_add_f32 v26, -1.0, v25 :: v_dual_sub_f32 v27, v25, v27
	s_delay_alu instid0(VALU_DEP_1) | instskip(NEXT) | instid1(VALU_DEP_2)
	v_add_f32_e32 v29, 1.0, v26
	v_add_f32_e32 v27, v23, v27
	s_delay_alu instid0(VALU_DEP_2) | instskip(NEXT) | instid1(VALU_DEP_2)
	v_sub_f32_e32 v25, v25, v29
	v_add_f32_e32 v29, v28, v27
	s_delay_alu instid0(VALU_DEP_2) | instskip(NEXT) | instid1(VALU_DEP_2)
	v_add_f32_e32 v23, v23, v25
	v_rcp_f32_e32 v25, v29
	v_sub_f32_e32 v28, v28, v29
	s_delay_alu instid0(VALU_DEP_1) | instskip(NEXT) | instid1(VALU_DEP_1)
	v_dual_add_f32 v30, v26, v23 :: v_dual_add_f32 v27, v27, v28
	v_sub_f32_e32 v26, v26, v30
	s_waitcnt_depctr 0xfff
	v_mul_f32_e32 v31, v30, v25
	s_delay_alu instid0(VALU_DEP_1) | instskip(NEXT) | instid1(VALU_DEP_1)
	v_dual_add_f32 v23, v23, v26 :: v_dual_mul_f32 v32, v29, v31
	v_fma_f32 v28, v31, v29, -v32
	s_delay_alu instid0(VALU_DEP_1) | instskip(NEXT) | instid1(VALU_DEP_1)
	v_fmac_f32_e32 v28, v31, v27
	v_add_f32_e32 v33, v32, v28
	s_delay_alu instid0(VALU_DEP_1) | instskip(SKIP_1) | instid1(VALU_DEP_2)
	v_sub_f32_e32 v34, v30, v33
	v_sub_f32_e32 v26, v33, v32
	;; [unrolled: 1-line block ×3, first 2 shown]
	s_delay_alu instid0(VALU_DEP_2) | instskip(NEXT) | instid1(VALU_DEP_2)
	v_sub_f32_e32 v26, v26, v28
	v_sub_f32_e32 v30, v30, v33
	s_delay_alu instid0(VALU_DEP_1) | instskip(NEXT) | instid1(VALU_DEP_1)
	v_add_f32_e32 v23, v23, v30
	v_add_f32_e32 v23, v26, v23
	s_delay_alu instid0(VALU_DEP_1) | instskip(NEXT) | instid1(VALU_DEP_1)
	v_add_f32_e32 v26, v34, v23
	v_mul_f32_e32 v28, v25, v26
	s_delay_alu instid0(VALU_DEP_1) | instskip(NEXT) | instid1(VALU_DEP_1)
	v_dual_sub_f32 v33, v34, v26 :: v_dual_mul_f32 v30, v29, v28
	v_add_f32_e32 v23, v23, v33
	s_delay_alu instid0(VALU_DEP_2) | instskip(NEXT) | instid1(VALU_DEP_1)
	v_fma_f32 v29, v28, v29, -v30
	v_fmac_f32_e32 v29, v28, v27
	s_delay_alu instid0(VALU_DEP_1) | instskip(NEXT) | instid1(VALU_DEP_1)
	v_add_f32_e32 v27, v30, v29
	v_sub_f32_e32 v32, v26, v27
	v_sub_f32_e32 v30, v27, v30
	s_delay_alu instid0(VALU_DEP_2) | instskip(NEXT) | instid1(VALU_DEP_1)
	v_sub_f32_e32 v26, v26, v32
	v_sub_f32_e32 v26, v26, v27
	s_delay_alu instid0(VALU_DEP_3) | instskip(NEXT) | instid1(VALU_DEP_2)
	v_sub_f32_e32 v27, v30, v29
	v_add_f32_e32 v23, v23, v26
	v_add_f32_e32 v26, v31, v28
	s_delay_alu instid0(VALU_DEP_2) | instskip(NEXT) | instid1(VALU_DEP_2)
	v_add_f32_e32 v23, v27, v23
	v_sub_f32_e32 v27, v26, v31
	s_delay_alu instid0(VALU_DEP_2) | instskip(NEXT) | instid1(VALU_DEP_2)
	v_add_f32_e32 v23, v32, v23
	v_sub_f32_e32 v27, v28, v27
	s_delay_alu instid0(VALU_DEP_2) | instskip(NEXT) | instid1(VALU_DEP_1)
	v_mul_f32_e32 v23, v25, v23
	v_add_f32_e32 v23, v27, v23
	s_delay_alu instid0(VALU_DEP_1) | instskip(NEXT) | instid1(VALU_DEP_1)
	v_add_f32_e32 v25, v26, v23
	v_mul_f32_e32 v27, v25, v25
	s_delay_alu instid0(VALU_DEP_1) | instskip(SKIP_2) | instid1(VALU_DEP_3)
	v_fmaak_f32 v28, s6, v27, 0x3ecc95a3
	v_mul_f32_e32 v29, v25, v27
	v_cmp_eq_f32_e64 s6, 0x7f800000, v24
	v_fmaak_f32 v27, v27, v28, 0x3f2aaada
	v_ldexp_f32 v28, v25, 1
	v_sub_f32_e32 v25, v25, v26
	s_delay_alu instid0(VALU_DEP_4) | instskip(NEXT) | instid1(VALU_DEP_3)
	s_or_b32 s6, s6, s9
	v_mul_f32_e32 v27, v29, v27
	v_mul_f32_e32 v29, 0x3f317218, v22
	s_delay_alu instid0(VALU_DEP_2) | instskip(NEXT) | instid1(VALU_DEP_1)
	v_dual_sub_f32 v23, v23, v25 :: v_dual_add_f32 v26, v28, v27
	v_ldexp_f32 v23, v23, 1
	s_delay_alu instid0(VALU_DEP_2) | instskip(NEXT) | instid1(VALU_DEP_4)
	v_sub_f32_e32 v25, v26, v28
	v_fma_f32 v28, 0x3f317218, v22, -v29
	s_delay_alu instid0(VALU_DEP_1) | instskip(NEXT) | instid1(VALU_DEP_1)
	v_dual_sub_f32 v25, v27, v25 :: v_dual_fmamk_f32 v22, v22, 0xb102e308, v28
	v_add_f32_e32 v23, v23, v25
	s_delay_alu instid0(VALU_DEP_2) | instskip(NEXT) | instid1(VALU_DEP_2)
	v_add_f32_e32 v25, v29, v22
	v_add_f32_e32 v27, v26, v23
	s_delay_alu instid0(VALU_DEP_2) | instskip(NEXT) | instid1(VALU_DEP_2)
	v_sub_f32_e32 v29, v25, v29
	v_add_f32_e32 v28, v25, v27
	v_sub_f32_e32 v26, v27, v26
	s_delay_alu instid0(VALU_DEP_3) | instskip(NEXT) | instid1(VALU_DEP_2)
	v_sub_f32_e32 v22, v22, v29
	v_dual_sub_f32 v30, v28, v25 :: v_dual_sub_f32 v23, v23, v26
	s_delay_alu instid0(VALU_DEP_1) | instskip(NEXT) | instid1(VALU_DEP_2)
	v_sub_f32_e32 v31, v28, v30
	v_dual_sub_f32 v26, v27, v30 :: v_dual_add_f32 v27, v22, v23
	s_delay_alu instid0(VALU_DEP_2) | instskip(NEXT) | instid1(VALU_DEP_1)
	v_sub_f32_e32 v25, v25, v31
	v_dual_add_f32 v25, v26, v25 :: v_dual_sub_f32 v26, v27, v22
	s_delay_alu instid0(VALU_DEP_1) | instskip(NEXT) | instid1(VALU_DEP_2)
	v_add_f32_e32 v25, v27, v25
	v_sub_f32_e32 v27, v27, v26
	v_sub_f32_e32 v23, v23, v26
	s_delay_alu instid0(VALU_DEP_2) | instskip(NEXT) | instid1(VALU_DEP_1)
	v_dual_add_f32 v29, v28, v25 :: v_dual_sub_f32 v22, v22, v27
	v_sub_f32_e32 v26, v29, v28
	s_delay_alu instid0(VALU_DEP_2) | instskip(NEXT) | instid1(VALU_DEP_2)
	v_add_f32_e32 v22, v23, v22
	v_sub_f32_e32 v23, v25, v26
	s_delay_alu instid0(VALU_DEP_1) | instskip(NEXT) | instid1(VALU_DEP_1)
	v_add_f32_e32 v22, v22, v23
	v_add_f32_e32 v22, v29, v22
	s_delay_alu instid0(VALU_DEP_1) | instskip(NEXT) | instid1(VALU_DEP_1)
	v_cndmask_b32_e64 v22, v22, v24, s6
	v_add_f32_e32 v23, v6, v22
.LBB145_168:
	s_or_b32 exec_lo, exec_lo, s8
	ds_load_b32 v6, v20 offset:16
	v_max_f32_e32 v22, v23, v23
	v_cmp_u_f32_e64 s6, v23, v23
	s_waitcnt lgkmcnt(0)
	v_max_f32_e32 v24, v6, v6
	s_delay_alu instid0(VALU_DEP_1) | instskip(SKIP_1) | instid1(VALU_DEP_2)
	v_min_f32_e32 v25, v22, v24
	v_max_f32_e32 v22, v22, v24
	v_cndmask_b32_e64 v24, v25, v23, s6
	s_delay_alu instid0(VALU_DEP_2) | instskip(SKIP_1) | instid1(VALU_DEP_1)
	v_cndmask_b32_e64 v25, v22, v23, s6
	v_cmp_u_f32_e64 s6, v6, v6
	v_cndmask_b32_e64 v22, v24, v6, s6
	s_delay_alu instid0(VALU_DEP_3) | instskip(NEXT) | instid1(VALU_DEP_2)
	v_cndmask_b32_e64 v6, v25, v6, s6
	v_cmp_class_f32_e64 s8, v22, 0x1f8
	s_delay_alu instid0(VALU_DEP_2) | instskip(NEXT) | instid1(VALU_DEP_1)
	v_cmp_neq_f32_e64 s6, v22, v6
	s_or_b32 s6, s6, s8
	s_delay_alu instid0(SALU_CYCLE_1)
	s_and_saveexec_b32 s8, s6
	s_cbranch_execz .LBB145_170
; %bb.169:
	v_sub_f32_e32 v22, v22, v6
	s_delay_alu instid0(VALU_DEP_1) | instskip(NEXT) | instid1(VALU_DEP_1)
	v_mul_f32_e32 v23, 0x3fb8aa3b, v22
	v_fma_f32 v24, 0x3fb8aa3b, v22, -v23
	v_rndne_f32_e32 v25, v23
	s_delay_alu instid0(VALU_DEP_1) | instskip(SKIP_1) | instid1(VALU_DEP_2)
	v_dual_sub_f32 v23, v23, v25 :: v_dual_fmamk_f32 v24, v22, 0x32a5705f, v24
	v_cmp_ngt_f32_e64 s6, 0xc2ce8ed0, v22
	v_add_f32_e32 v23, v23, v24
	v_cvt_i32_f32_e32 v24, v25
	s_delay_alu instid0(VALU_DEP_2) | instskip(SKIP_2) | instid1(VALU_DEP_1)
	v_exp_f32_e32 v23, v23
	s_waitcnt_depctr 0xfff
	v_ldexp_f32 v23, v23, v24
	v_cndmask_b32_e64 v23, 0, v23, s6
	v_cmp_nlt_f32_e64 s6, 0x42b17218, v22
	s_delay_alu instid0(VALU_DEP_1) | instskip(NEXT) | instid1(VALU_DEP_1)
	v_cndmask_b32_e64 v24, 0x7f800000, v23, s6
	v_add_f32_e32 v25, 1.0, v24
	v_cmp_gt_f32_e64 s9, 0x33800000, |v24|
	s_delay_alu instid0(VALU_DEP_2) | instskip(NEXT) | instid1(VALU_DEP_1)
	v_cvt_f64_f32_e32 v[22:23], v25
	v_frexp_exp_i32_f64_e32 v22, v[22:23]
	v_frexp_mant_f32_e32 v23, v25
	s_delay_alu instid0(VALU_DEP_1) | instskip(SKIP_1) | instid1(VALU_DEP_1)
	v_cmp_gt_f32_e64 s6, 0x3f2aaaab, v23
	v_add_f32_e32 v23, -1.0, v25
	v_sub_f32_e32 v27, v23, v25
	v_sub_f32_e32 v23, v24, v23
	s_delay_alu instid0(VALU_DEP_4) | instskip(SKIP_1) | instid1(VALU_DEP_1)
	v_subrev_co_ci_u32_e64 v22, s6, 0, v22, s6
	s_mov_b32 s6, 0x3e9b6dac
	v_sub_nc_u32_e32 v26, 0, v22
	v_cvt_f32_i32_e32 v22, v22
	s_delay_alu instid0(VALU_DEP_2) | instskip(NEXT) | instid1(VALU_DEP_1)
	v_ldexp_f32 v25, v25, v26
	v_dual_add_f32 v28, 1.0, v25 :: v_dual_add_f32 v27, 1.0, v27
	s_delay_alu instid0(VALU_DEP_1) | instskip(NEXT) | instid1(VALU_DEP_2)
	v_add_f32_e32 v23, v23, v27
	v_add_f32_e32 v27, -1.0, v28
	s_delay_alu instid0(VALU_DEP_2) | instskip(NEXT) | instid1(VALU_DEP_2)
	v_ldexp_f32 v23, v23, v26
	v_dual_add_f32 v26, -1.0, v25 :: v_dual_sub_f32 v27, v25, v27
	s_delay_alu instid0(VALU_DEP_1) | instskip(NEXT) | instid1(VALU_DEP_2)
	v_add_f32_e32 v29, 1.0, v26
	v_add_f32_e32 v27, v23, v27
	s_delay_alu instid0(VALU_DEP_2) | instskip(NEXT) | instid1(VALU_DEP_2)
	v_sub_f32_e32 v25, v25, v29
	v_add_f32_e32 v29, v28, v27
	s_delay_alu instid0(VALU_DEP_2) | instskip(NEXT) | instid1(VALU_DEP_2)
	v_add_f32_e32 v23, v23, v25
	v_rcp_f32_e32 v25, v29
	v_sub_f32_e32 v28, v28, v29
	s_delay_alu instid0(VALU_DEP_1) | instskip(NEXT) | instid1(VALU_DEP_1)
	v_dual_add_f32 v30, v26, v23 :: v_dual_add_f32 v27, v27, v28
	v_sub_f32_e32 v26, v26, v30
	s_waitcnt_depctr 0xfff
	v_mul_f32_e32 v31, v30, v25
	s_delay_alu instid0(VALU_DEP_1) | instskip(NEXT) | instid1(VALU_DEP_1)
	v_dual_add_f32 v23, v23, v26 :: v_dual_mul_f32 v32, v29, v31
	v_fma_f32 v28, v31, v29, -v32
	s_delay_alu instid0(VALU_DEP_1) | instskip(NEXT) | instid1(VALU_DEP_1)
	v_fmac_f32_e32 v28, v31, v27
	v_add_f32_e32 v33, v32, v28
	s_delay_alu instid0(VALU_DEP_1) | instskip(SKIP_1) | instid1(VALU_DEP_2)
	v_sub_f32_e32 v34, v30, v33
	v_sub_f32_e32 v26, v33, v32
	;; [unrolled: 1-line block ×3, first 2 shown]
	s_delay_alu instid0(VALU_DEP_2) | instskip(NEXT) | instid1(VALU_DEP_2)
	v_sub_f32_e32 v26, v26, v28
	v_sub_f32_e32 v30, v30, v33
	s_delay_alu instid0(VALU_DEP_1) | instskip(NEXT) | instid1(VALU_DEP_1)
	v_add_f32_e32 v23, v23, v30
	v_add_f32_e32 v23, v26, v23
	s_delay_alu instid0(VALU_DEP_1) | instskip(NEXT) | instid1(VALU_DEP_1)
	v_add_f32_e32 v26, v34, v23
	v_mul_f32_e32 v28, v25, v26
	s_delay_alu instid0(VALU_DEP_1) | instskip(NEXT) | instid1(VALU_DEP_1)
	v_dual_sub_f32 v33, v34, v26 :: v_dual_mul_f32 v30, v29, v28
	v_add_f32_e32 v23, v23, v33
	s_delay_alu instid0(VALU_DEP_2) | instskip(NEXT) | instid1(VALU_DEP_1)
	v_fma_f32 v29, v28, v29, -v30
	v_fmac_f32_e32 v29, v28, v27
	s_delay_alu instid0(VALU_DEP_1) | instskip(NEXT) | instid1(VALU_DEP_1)
	v_add_f32_e32 v27, v30, v29
	v_sub_f32_e32 v32, v26, v27
	v_sub_f32_e32 v30, v27, v30
	s_delay_alu instid0(VALU_DEP_2) | instskip(NEXT) | instid1(VALU_DEP_1)
	v_sub_f32_e32 v26, v26, v32
	v_sub_f32_e32 v26, v26, v27
	s_delay_alu instid0(VALU_DEP_3) | instskip(NEXT) | instid1(VALU_DEP_2)
	v_sub_f32_e32 v27, v30, v29
	v_add_f32_e32 v23, v23, v26
	v_add_f32_e32 v26, v31, v28
	s_delay_alu instid0(VALU_DEP_2) | instskip(NEXT) | instid1(VALU_DEP_2)
	v_add_f32_e32 v23, v27, v23
	v_sub_f32_e32 v27, v26, v31
	s_delay_alu instid0(VALU_DEP_2) | instskip(NEXT) | instid1(VALU_DEP_2)
	v_add_f32_e32 v23, v32, v23
	v_sub_f32_e32 v27, v28, v27
	s_delay_alu instid0(VALU_DEP_2) | instskip(NEXT) | instid1(VALU_DEP_1)
	v_mul_f32_e32 v23, v25, v23
	v_add_f32_e32 v23, v27, v23
	s_delay_alu instid0(VALU_DEP_1) | instskip(NEXT) | instid1(VALU_DEP_1)
	v_add_f32_e32 v25, v26, v23
	v_mul_f32_e32 v27, v25, v25
	s_delay_alu instid0(VALU_DEP_1) | instskip(SKIP_2) | instid1(VALU_DEP_3)
	v_fmaak_f32 v28, s6, v27, 0x3ecc95a3
	v_mul_f32_e32 v29, v25, v27
	v_cmp_eq_f32_e64 s6, 0x7f800000, v24
	v_fmaak_f32 v27, v27, v28, 0x3f2aaada
	v_ldexp_f32 v28, v25, 1
	v_sub_f32_e32 v25, v25, v26
	s_delay_alu instid0(VALU_DEP_4) | instskip(NEXT) | instid1(VALU_DEP_3)
	s_or_b32 s6, s6, s9
	v_mul_f32_e32 v27, v29, v27
	v_mul_f32_e32 v29, 0x3f317218, v22
	s_delay_alu instid0(VALU_DEP_2) | instskip(NEXT) | instid1(VALU_DEP_1)
	v_dual_sub_f32 v23, v23, v25 :: v_dual_add_f32 v26, v28, v27
	v_ldexp_f32 v23, v23, 1
	s_delay_alu instid0(VALU_DEP_2) | instskip(NEXT) | instid1(VALU_DEP_4)
	v_sub_f32_e32 v25, v26, v28
	v_fma_f32 v28, 0x3f317218, v22, -v29
	s_delay_alu instid0(VALU_DEP_1) | instskip(NEXT) | instid1(VALU_DEP_1)
	v_dual_sub_f32 v25, v27, v25 :: v_dual_fmamk_f32 v22, v22, 0xb102e308, v28
	v_add_f32_e32 v23, v23, v25
	s_delay_alu instid0(VALU_DEP_2) | instskip(NEXT) | instid1(VALU_DEP_2)
	v_add_f32_e32 v25, v29, v22
	v_add_f32_e32 v27, v26, v23
	s_delay_alu instid0(VALU_DEP_2) | instskip(NEXT) | instid1(VALU_DEP_2)
	v_sub_f32_e32 v29, v25, v29
	v_add_f32_e32 v28, v25, v27
	v_sub_f32_e32 v26, v27, v26
	s_delay_alu instid0(VALU_DEP_3) | instskip(NEXT) | instid1(VALU_DEP_2)
	v_sub_f32_e32 v22, v22, v29
	v_dual_sub_f32 v30, v28, v25 :: v_dual_sub_f32 v23, v23, v26
	s_delay_alu instid0(VALU_DEP_1) | instskip(NEXT) | instid1(VALU_DEP_2)
	v_sub_f32_e32 v31, v28, v30
	v_dual_sub_f32 v26, v27, v30 :: v_dual_add_f32 v27, v22, v23
	s_delay_alu instid0(VALU_DEP_2) | instskip(NEXT) | instid1(VALU_DEP_1)
	v_sub_f32_e32 v25, v25, v31
	v_dual_add_f32 v25, v26, v25 :: v_dual_sub_f32 v26, v27, v22
	s_delay_alu instid0(VALU_DEP_1) | instskip(NEXT) | instid1(VALU_DEP_2)
	v_add_f32_e32 v25, v27, v25
	v_sub_f32_e32 v27, v27, v26
	v_sub_f32_e32 v23, v23, v26
	s_delay_alu instid0(VALU_DEP_2) | instskip(NEXT) | instid1(VALU_DEP_1)
	v_dual_add_f32 v29, v28, v25 :: v_dual_sub_f32 v22, v22, v27
	v_sub_f32_e32 v26, v29, v28
	s_delay_alu instid0(VALU_DEP_2) | instskip(NEXT) | instid1(VALU_DEP_2)
	v_add_f32_e32 v22, v23, v22
	v_sub_f32_e32 v23, v25, v26
	s_delay_alu instid0(VALU_DEP_1) | instskip(NEXT) | instid1(VALU_DEP_1)
	v_add_f32_e32 v22, v22, v23
	v_add_f32_e32 v22, v29, v22
	s_delay_alu instid0(VALU_DEP_1) | instskip(NEXT) | instid1(VALU_DEP_1)
	v_cndmask_b32_e64 v22, v22, v24, s6
	v_add_f32_e32 v23, v6, v22
.LBB145_170:
	s_or_b32 exec_lo, exec_lo, s8
	ds_load_b32 v6, v20 offset:20
	v_max_f32_e32 v22, v23, v23
	v_cmp_u_f32_e64 s6, v23, v23
	s_waitcnt lgkmcnt(0)
	v_max_f32_e32 v24, v6, v6
	s_delay_alu instid0(VALU_DEP_1) | instskip(SKIP_1) | instid1(VALU_DEP_2)
	v_min_f32_e32 v25, v22, v24
	v_max_f32_e32 v22, v22, v24
	v_cndmask_b32_e64 v24, v25, v23, s6
	s_delay_alu instid0(VALU_DEP_2) | instskip(SKIP_1) | instid1(VALU_DEP_1)
	v_cndmask_b32_e64 v25, v22, v23, s6
	v_cmp_u_f32_e64 s6, v6, v6
	v_cndmask_b32_e64 v22, v24, v6, s6
	s_delay_alu instid0(VALU_DEP_3) | instskip(NEXT) | instid1(VALU_DEP_2)
	v_cndmask_b32_e64 v6, v25, v6, s6
	v_cmp_class_f32_e64 s8, v22, 0x1f8
	s_delay_alu instid0(VALU_DEP_2) | instskip(NEXT) | instid1(VALU_DEP_1)
	v_cmp_neq_f32_e64 s6, v22, v6
	s_or_b32 s6, s6, s8
	s_delay_alu instid0(SALU_CYCLE_1)
	s_and_saveexec_b32 s8, s6
	s_cbranch_execz .LBB145_172
; %bb.171:
	v_sub_f32_e32 v22, v22, v6
	s_delay_alu instid0(VALU_DEP_1) | instskip(NEXT) | instid1(VALU_DEP_1)
	v_mul_f32_e32 v23, 0x3fb8aa3b, v22
	v_fma_f32 v24, 0x3fb8aa3b, v22, -v23
	v_rndne_f32_e32 v25, v23
	s_delay_alu instid0(VALU_DEP_1) | instskip(SKIP_1) | instid1(VALU_DEP_2)
	v_dual_sub_f32 v23, v23, v25 :: v_dual_fmamk_f32 v24, v22, 0x32a5705f, v24
	v_cmp_ngt_f32_e64 s6, 0xc2ce8ed0, v22
	v_add_f32_e32 v23, v23, v24
	v_cvt_i32_f32_e32 v24, v25
	s_delay_alu instid0(VALU_DEP_2) | instskip(SKIP_2) | instid1(VALU_DEP_1)
	v_exp_f32_e32 v23, v23
	s_waitcnt_depctr 0xfff
	v_ldexp_f32 v23, v23, v24
	v_cndmask_b32_e64 v23, 0, v23, s6
	v_cmp_nlt_f32_e64 s6, 0x42b17218, v22
	s_delay_alu instid0(VALU_DEP_1) | instskip(NEXT) | instid1(VALU_DEP_1)
	v_cndmask_b32_e64 v24, 0x7f800000, v23, s6
	v_add_f32_e32 v25, 1.0, v24
	v_cmp_gt_f32_e64 s9, 0x33800000, |v24|
	s_delay_alu instid0(VALU_DEP_2) | instskip(NEXT) | instid1(VALU_DEP_1)
	v_cvt_f64_f32_e32 v[22:23], v25
	v_frexp_exp_i32_f64_e32 v22, v[22:23]
	v_frexp_mant_f32_e32 v23, v25
	s_delay_alu instid0(VALU_DEP_1) | instskip(SKIP_1) | instid1(VALU_DEP_1)
	v_cmp_gt_f32_e64 s6, 0x3f2aaaab, v23
	v_add_f32_e32 v23, -1.0, v25
	v_sub_f32_e32 v27, v23, v25
	v_sub_f32_e32 v23, v24, v23
	s_delay_alu instid0(VALU_DEP_4) | instskip(SKIP_1) | instid1(VALU_DEP_1)
	v_subrev_co_ci_u32_e64 v22, s6, 0, v22, s6
	s_mov_b32 s6, 0x3e9b6dac
	v_sub_nc_u32_e32 v26, 0, v22
	v_cvt_f32_i32_e32 v22, v22
	s_delay_alu instid0(VALU_DEP_2) | instskip(NEXT) | instid1(VALU_DEP_1)
	v_ldexp_f32 v25, v25, v26
	v_dual_add_f32 v28, 1.0, v25 :: v_dual_add_f32 v27, 1.0, v27
	s_delay_alu instid0(VALU_DEP_1) | instskip(NEXT) | instid1(VALU_DEP_2)
	v_add_f32_e32 v23, v23, v27
	v_add_f32_e32 v27, -1.0, v28
	s_delay_alu instid0(VALU_DEP_2) | instskip(NEXT) | instid1(VALU_DEP_2)
	v_ldexp_f32 v23, v23, v26
	v_dual_add_f32 v26, -1.0, v25 :: v_dual_sub_f32 v27, v25, v27
	s_delay_alu instid0(VALU_DEP_1) | instskip(NEXT) | instid1(VALU_DEP_2)
	v_add_f32_e32 v29, 1.0, v26
	v_add_f32_e32 v27, v23, v27
	s_delay_alu instid0(VALU_DEP_2) | instskip(NEXT) | instid1(VALU_DEP_2)
	v_sub_f32_e32 v25, v25, v29
	v_add_f32_e32 v29, v28, v27
	s_delay_alu instid0(VALU_DEP_2) | instskip(NEXT) | instid1(VALU_DEP_2)
	v_add_f32_e32 v23, v23, v25
	v_rcp_f32_e32 v25, v29
	v_sub_f32_e32 v28, v28, v29
	s_delay_alu instid0(VALU_DEP_1) | instskip(NEXT) | instid1(VALU_DEP_1)
	v_dual_add_f32 v30, v26, v23 :: v_dual_add_f32 v27, v27, v28
	v_sub_f32_e32 v26, v26, v30
	s_waitcnt_depctr 0xfff
	v_mul_f32_e32 v31, v30, v25
	s_delay_alu instid0(VALU_DEP_1) | instskip(NEXT) | instid1(VALU_DEP_1)
	v_dual_add_f32 v23, v23, v26 :: v_dual_mul_f32 v32, v29, v31
	v_fma_f32 v28, v31, v29, -v32
	s_delay_alu instid0(VALU_DEP_1) | instskip(NEXT) | instid1(VALU_DEP_1)
	v_fmac_f32_e32 v28, v31, v27
	v_add_f32_e32 v33, v32, v28
	s_delay_alu instid0(VALU_DEP_1) | instskip(SKIP_1) | instid1(VALU_DEP_2)
	v_sub_f32_e32 v34, v30, v33
	v_sub_f32_e32 v26, v33, v32
	;; [unrolled: 1-line block ×3, first 2 shown]
	s_delay_alu instid0(VALU_DEP_2) | instskip(NEXT) | instid1(VALU_DEP_2)
	v_sub_f32_e32 v26, v26, v28
	v_sub_f32_e32 v30, v30, v33
	s_delay_alu instid0(VALU_DEP_1) | instskip(NEXT) | instid1(VALU_DEP_1)
	v_add_f32_e32 v23, v23, v30
	v_add_f32_e32 v23, v26, v23
	s_delay_alu instid0(VALU_DEP_1) | instskip(NEXT) | instid1(VALU_DEP_1)
	v_add_f32_e32 v26, v34, v23
	v_mul_f32_e32 v28, v25, v26
	s_delay_alu instid0(VALU_DEP_1) | instskip(NEXT) | instid1(VALU_DEP_1)
	v_dual_sub_f32 v33, v34, v26 :: v_dual_mul_f32 v30, v29, v28
	v_add_f32_e32 v23, v23, v33
	s_delay_alu instid0(VALU_DEP_2) | instskip(NEXT) | instid1(VALU_DEP_1)
	v_fma_f32 v29, v28, v29, -v30
	v_fmac_f32_e32 v29, v28, v27
	s_delay_alu instid0(VALU_DEP_1) | instskip(NEXT) | instid1(VALU_DEP_1)
	v_add_f32_e32 v27, v30, v29
	v_sub_f32_e32 v32, v26, v27
	v_sub_f32_e32 v30, v27, v30
	s_delay_alu instid0(VALU_DEP_2) | instskip(NEXT) | instid1(VALU_DEP_1)
	v_sub_f32_e32 v26, v26, v32
	v_sub_f32_e32 v26, v26, v27
	s_delay_alu instid0(VALU_DEP_3) | instskip(NEXT) | instid1(VALU_DEP_2)
	v_sub_f32_e32 v27, v30, v29
	v_add_f32_e32 v23, v23, v26
	v_add_f32_e32 v26, v31, v28
	s_delay_alu instid0(VALU_DEP_2) | instskip(NEXT) | instid1(VALU_DEP_2)
	v_add_f32_e32 v23, v27, v23
	v_sub_f32_e32 v27, v26, v31
	s_delay_alu instid0(VALU_DEP_2) | instskip(NEXT) | instid1(VALU_DEP_2)
	v_add_f32_e32 v23, v32, v23
	v_sub_f32_e32 v27, v28, v27
	s_delay_alu instid0(VALU_DEP_2) | instskip(NEXT) | instid1(VALU_DEP_1)
	v_mul_f32_e32 v23, v25, v23
	v_add_f32_e32 v23, v27, v23
	s_delay_alu instid0(VALU_DEP_1) | instskip(NEXT) | instid1(VALU_DEP_1)
	v_add_f32_e32 v25, v26, v23
	v_mul_f32_e32 v27, v25, v25
	s_delay_alu instid0(VALU_DEP_1) | instskip(SKIP_2) | instid1(VALU_DEP_3)
	v_fmaak_f32 v28, s6, v27, 0x3ecc95a3
	v_mul_f32_e32 v29, v25, v27
	v_cmp_eq_f32_e64 s6, 0x7f800000, v24
	v_fmaak_f32 v27, v27, v28, 0x3f2aaada
	v_ldexp_f32 v28, v25, 1
	v_sub_f32_e32 v25, v25, v26
	s_delay_alu instid0(VALU_DEP_4) | instskip(NEXT) | instid1(VALU_DEP_3)
	s_or_b32 s6, s6, s9
	v_mul_f32_e32 v27, v29, v27
	v_mul_f32_e32 v29, 0x3f317218, v22
	s_delay_alu instid0(VALU_DEP_2) | instskip(NEXT) | instid1(VALU_DEP_1)
	v_dual_sub_f32 v23, v23, v25 :: v_dual_add_f32 v26, v28, v27
	v_ldexp_f32 v23, v23, 1
	s_delay_alu instid0(VALU_DEP_2) | instskip(NEXT) | instid1(VALU_DEP_4)
	v_sub_f32_e32 v25, v26, v28
	v_fma_f32 v28, 0x3f317218, v22, -v29
	s_delay_alu instid0(VALU_DEP_1) | instskip(NEXT) | instid1(VALU_DEP_1)
	v_dual_sub_f32 v25, v27, v25 :: v_dual_fmamk_f32 v22, v22, 0xb102e308, v28
	v_add_f32_e32 v23, v23, v25
	s_delay_alu instid0(VALU_DEP_2) | instskip(NEXT) | instid1(VALU_DEP_2)
	v_add_f32_e32 v25, v29, v22
	v_add_f32_e32 v27, v26, v23
	s_delay_alu instid0(VALU_DEP_2) | instskip(NEXT) | instid1(VALU_DEP_2)
	v_sub_f32_e32 v29, v25, v29
	v_add_f32_e32 v28, v25, v27
	v_sub_f32_e32 v26, v27, v26
	s_delay_alu instid0(VALU_DEP_3) | instskip(NEXT) | instid1(VALU_DEP_2)
	v_sub_f32_e32 v22, v22, v29
	v_dual_sub_f32 v30, v28, v25 :: v_dual_sub_f32 v23, v23, v26
	s_delay_alu instid0(VALU_DEP_1) | instskip(NEXT) | instid1(VALU_DEP_2)
	v_sub_f32_e32 v31, v28, v30
	v_dual_sub_f32 v26, v27, v30 :: v_dual_add_f32 v27, v22, v23
	s_delay_alu instid0(VALU_DEP_2) | instskip(NEXT) | instid1(VALU_DEP_1)
	v_sub_f32_e32 v25, v25, v31
	v_dual_add_f32 v25, v26, v25 :: v_dual_sub_f32 v26, v27, v22
	s_delay_alu instid0(VALU_DEP_1) | instskip(NEXT) | instid1(VALU_DEP_2)
	v_add_f32_e32 v25, v27, v25
	v_sub_f32_e32 v27, v27, v26
	v_sub_f32_e32 v23, v23, v26
	s_delay_alu instid0(VALU_DEP_2) | instskip(NEXT) | instid1(VALU_DEP_1)
	v_dual_add_f32 v29, v28, v25 :: v_dual_sub_f32 v22, v22, v27
	v_sub_f32_e32 v26, v29, v28
	s_delay_alu instid0(VALU_DEP_2) | instskip(NEXT) | instid1(VALU_DEP_2)
	v_add_f32_e32 v22, v23, v22
	v_sub_f32_e32 v23, v25, v26
	s_delay_alu instid0(VALU_DEP_1) | instskip(NEXT) | instid1(VALU_DEP_1)
	v_add_f32_e32 v22, v22, v23
	v_add_f32_e32 v22, v29, v22
	s_delay_alu instid0(VALU_DEP_1) | instskip(NEXT) | instid1(VALU_DEP_1)
	v_cndmask_b32_e64 v22, v22, v24, s6
	v_add_f32_e32 v23, v6, v22
.LBB145_172:
	s_or_b32 exec_lo, exec_lo, s8
	ds_load_b32 v6, v20 offset:24
	v_max_f32_e32 v22, v23, v23
	v_cmp_u_f32_e64 s6, v23, v23
	s_waitcnt lgkmcnt(0)
	v_max_f32_e32 v24, v6, v6
	s_delay_alu instid0(VALU_DEP_1) | instskip(SKIP_1) | instid1(VALU_DEP_2)
	v_min_f32_e32 v25, v22, v24
	v_max_f32_e32 v22, v22, v24
	v_cndmask_b32_e64 v24, v25, v23, s6
	s_delay_alu instid0(VALU_DEP_2) | instskip(SKIP_1) | instid1(VALU_DEP_1)
	v_cndmask_b32_e64 v25, v22, v23, s6
	v_cmp_u_f32_e64 s6, v6, v6
	v_cndmask_b32_e64 v22, v24, v6, s6
	s_delay_alu instid0(VALU_DEP_3) | instskip(NEXT) | instid1(VALU_DEP_2)
	v_cndmask_b32_e64 v6, v25, v6, s6
	v_cmp_class_f32_e64 s8, v22, 0x1f8
	s_delay_alu instid0(VALU_DEP_2) | instskip(NEXT) | instid1(VALU_DEP_1)
	v_cmp_neq_f32_e64 s6, v22, v6
	s_or_b32 s6, s6, s8
	s_delay_alu instid0(SALU_CYCLE_1)
	s_and_saveexec_b32 s8, s6
	s_cbranch_execz .LBB145_174
; %bb.173:
	v_sub_f32_e32 v22, v22, v6
	s_delay_alu instid0(VALU_DEP_1) | instskip(NEXT) | instid1(VALU_DEP_1)
	v_mul_f32_e32 v23, 0x3fb8aa3b, v22
	v_fma_f32 v24, 0x3fb8aa3b, v22, -v23
	v_rndne_f32_e32 v25, v23
	s_delay_alu instid0(VALU_DEP_1) | instskip(SKIP_1) | instid1(VALU_DEP_2)
	v_dual_sub_f32 v23, v23, v25 :: v_dual_fmamk_f32 v24, v22, 0x32a5705f, v24
	v_cmp_ngt_f32_e64 s6, 0xc2ce8ed0, v22
	v_add_f32_e32 v23, v23, v24
	v_cvt_i32_f32_e32 v24, v25
	s_delay_alu instid0(VALU_DEP_2) | instskip(SKIP_2) | instid1(VALU_DEP_1)
	v_exp_f32_e32 v23, v23
	s_waitcnt_depctr 0xfff
	v_ldexp_f32 v23, v23, v24
	v_cndmask_b32_e64 v23, 0, v23, s6
	v_cmp_nlt_f32_e64 s6, 0x42b17218, v22
	s_delay_alu instid0(VALU_DEP_1) | instskip(NEXT) | instid1(VALU_DEP_1)
	v_cndmask_b32_e64 v24, 0x7f800000, v23, s6
	v_add_f32_e32 v25, 1.0, v24
	v_cmp_gt_f32_e64 s9, 0x33800000, |v24|
	s_delay_alu instid0(VALU_DEP_2) | instskip(NEXT) | instid1(VALU_DEP_1)
	v_cvt_f64_f32_e32 v[22:23], v25
	v_frexp_exp_i32_f64_e32 v22, v[22:23]
	v_frexp_mant_f32_e32 v23, v25
	s_delay_alu instid0(VALU_DEP_1) | instskip(SKIP_1) | instid1(VALU_DEP_1)
	v_cmp_gt_f32_e64 s6, 0x3f2aaaab, v23
	v_add_f32_e32 v23, -1.0, v25
	v_sub_f32_e32 v27, v23, v25
	v_sub_f32_e32 v23, v24, v23
	s_delay_alu instid0(VALU_DEP_4) | instskip(SKIP_1) | instid1(VALU_DEP_1)
	v_subrev_co_ci_u32_e64 v22, s6, 0, v22, s6
	s_mov_b32 s6, 0x3e9b6dac
	v_sub_nc_u32_e32 v26, 0, v22
	v_cvt_f32_i32_e32 v22, v22
	s_delay_alu instid0(VALU_DEP_2) | instskip(NEXT) | instid1(VALU_DEP_1)
	v_ldexp_f32 v25, v25, v26
	v_dual_add_f32 v28, 1.0, v25 :: v_dual_add_f32 v27, 1.0, v27
	s_delay_alu instid0(VALU_DEP_1) | instskip(NEXT) | instid1(VALU_DEP_2)
	v_add_f32_e32 v23, v23, v27
	v_add_f32_e32 v27, -1.0, v28
	s_delay_alu instid0(VALU_DEP_2) | instskip(NEXT) | instid1(VALU_DEP_2)
	v_ldexp_f32 v23, v23, v26
	v_dual_add_f32 v26, -1.0, v25 :: v_dual_sub_f32 v27, v25, v27
	s_delay_alu instid0(VALU_DEP_1) | instskip(NEXT) | instid1(VALU_DEP_2)
	v_add_f32_e32 v29, 1.0, v26
	v_add_f32_e32 v27, v23, v27
	s_delay_alu instid0(VALU_DEP_2) | instskip(NEXT) | instid1(VALU_DEP_2)
	v_sub_f32_e32 v25, v25, v29
	v_add_f32_e32 v29, v28, v27
	s_delay_alu instid0(VALU_DEP_2) | instskip(NEXT) | instid1(VALU_DEP_2)
	v_add_f32_e32 v23, v23, v25
	v_rcp_f32_e32 v25, v29
	v_sub_f32_e32 v28, v28, v29
	s_delay_alu instid0(VALU_DEP_1) | instskip(NEXT) | instid1(VALU_DEP_1)
	v_dual_add_f32 v30, v26, v23 :: v_dual_add_f32 v27, v27, v28
	v_sub_f32_e32 v26, v26, v30
	s_waitcnt_depctr 0xfff
	v_mul_f32_e32 v31, v30, v25
	s_delay_alu instid0(VALU_DEP_1) | instskip(NEXT) | instid1(VALU_DEP_1)
	v_dual_add_f32 v23, v23, v26 :: v_dual_mul_f32 v32, v29, v31
	v_fma_f32 v28, v31, v29, -v32
	s_delay_alu instid0(VALU_DEP_1) | instskip(NEXT) | instid1(VALU_DEP_1)
	v_fmac_f32_e32 v28, v31, v27
	v_add_f32_e32 v33, v32, v28
	s_delay_alu instid0(VALU_DEP_1) | instskip(SKIP_1) | instid1(VALU_DEP_2)
	v_sub_f32_e32 v34, v30, v33
	v_sub_f32_e32 v26, v33, v32
	;; [unrolled: 1-line block ×3, first 2 shown]
	s_delay_alu instid0(VALU_DEP_2) | instskip(NEXT) | instid1(VALU_DEP_2)
	v_sub_f32_e32 v26, v26, v28
	v_sub_f32_e32 v30, v30, v33
	s_delay_alu instid0(VALU_DEP_1) | instskip(NEXT) | instid1(VALU_DEP_1)
	v_add_f32_e32 v23, v23, v30
	v_add_f32_e32 v23, v26, v23
	s_delay_alu instid0(VALU_DEP_1) | instskip(NEXT) | instid1(VALU_DEP_1)
	v_add_f32_e32 v26, v34, v23
	v_mul_f32_e32 v28, v25, v26
	s_delay_alu instid0(VALU_DEP_1) | instskip(NEXT) | instid1(VALU_DEP_1)
	v_dual_sub_f32 v33, v34, v26 :: v_dual_mul_f32 v30, v29, v28
	v_add_f32_e32 v23, v23, v33
	s_delay_alu instid0(VALU_DEP_2) | instskip(NEXT) | instid1(VALU_DEP_1)
	v_fma_f32 v29, v28, v29, -v30
	v_fmac_f32_e32 v29, v28, v27
	s_delay_alu instid0(VALU_DEP_1) | instskip(NEXT) | instid1(VALU_DEP_1)
	v_add_f32_e32 v27, v30, v29
	v_sub_f32_e32 v32, v26, v27
	v_sub_f32_e32 v30, v27, v30
	s_delay_alu instid0(VALU_DEP_2) | instskip(NEXT) | instid1(VALU_DEP_1)
	v_sub_f32_e32 v26, v26, v32
	v_sub_f32_e32 v26, v26, v27
	s_delay_alu instid0(VALU_DEP_3) | instskip(NEXT) | instid1(VALU_DEP_2)
	v_sub_f32_e32 v27, v30, v29
	v_add_f32_e32 v23, v23, v26
	v_add_f32_e32 v26, v31, v28
	s_delay_alu instid0(VALU_DEP_2) | instskip(NEXT) | instid1(VALU_DEP_2)
	v_add_f32_e32 v23, v27, v23
	v_sub_f32_e32 v27, v26, v31
	s_delay_alu instid0(VALU_DEP_2) | instskip(NEXT) | instid1(VALU_DEP_2)
	v_add_f32_e32 v23, v32, v23
	v_sub_f32_e32 v27, v28, v27
	s_delay_alu instid0(VALU_DEP_2) | instskip(NEXT) | instid1(VALU_DEP_1)
	v_mul_f32_e32 v23, v25, v23
	v_add_f32_e32 v23, v27, v23
	s_delay_alu instid0(VALU_DEP_1) | instskip(NEXT) | instid1(VALU_DEP_1)
	v_add_f32_e32 v25, v26, v23
	v_mul_f32_e32 v27, v25, v25
	s_delay_alu instid0(VALU_DEP_1) | instskip(SKIP_2) | instid1(VALU_DEP_3)
	v_fmaak_f32 v28, s6, v27, 0x3ecc95a3
	v_mul_f32_e32 v29, v25, v27
	v_cmp_eq_f32_e64 s6, 0x7f800000, v24
	v_fmaak_f32 v27, v27, v28, 0x3f2aaada
	v_ldexp_f32 v28, v25, 1
	v_sub_f32_e32 v25, v25, v26
	s_delay_alu instid0(VALU_DEP_4) | instskip(NEXT) | instid1(VALU_DEP_3)
	s_or_b32 s6, s6, s9
	v_mul_f32_e32 v27, v29, v27
	v_mul_f32_e32 v29, 0x3f317218, v22
	s_delay_alu instid0(VALU_DEP_2) | instskip(NEXT) | instid1(VALU_DEP_1)
	v_dual_sub_f32 v23, v23, v25 :: v_dual_add_f32 v26, v28, v27
	v_ldexp_f32 v23, v23, 1
	s_delay_alu instid0(VALU_DEP_2) | instskip(NEXT) | instid1(VALU_DEP_4)
	v_sub_f32_e32 v25, v26, v28
	v_fma_f32 v28, 0x3f317218, v22, -v29
	s_delay_alu instid0(VALU_DEP_1) | instskip(NEXT) | instid1(VALU_DEP_1)
	v_dual_sub_f32 v25, v27, v25 :: v_dual_fmamk_f32 v22, v22, 0xb102e308, v28
	v_add_f32_e32 v23, v23, v25
	s_delay_alu instid0(VALU_DEP_2) | instskip(NEXT) | instid1(VALU_DEP_2)
	v_add_f32_e32 v25, v29, v22
	v_add_f32_e32 v27, v26, v23
	s_delay_alu instid0(VALU_DEP_2) | instskip(NEXT) | instid1(VALU_DEP_2)
	v_sub_f32_e32 v29, v25, v29
	v_add_f32_e32 v28, v25, v27
	v_sub_f32_e32 v26, v27, v26
	s_delay_alu instid0(VALU_DEP_3) | instskip(NEXT) | instid1(VALU_DEP_2)
	v_sub_f32_e32 v22, v22, v29
	v_dual_sub_f32 v30, v28, v25 :: v_dual_sub_f32 v23, v23, v26
	s_delay_alu instid0(VALU_DEP_1) | instskip(NEXT) | instid1(VALU_DEP_2)
	v_sub_f32_e32 v31, v28, v30
	v_dual_sub_f32 v26, v27, v30 :: v_dual_add_f32 v27, v22, v23
	s_delay_alu instid0(VALU_DEP_2) | instskip(NEXT) | instid1(VALU_DEP_1)
	v_sub_f32_e32 v25, v25, v31
	v_dual_add_f32 v25, v26, v25 :: v_dual_sub_f32 v26, v27, v22
	s_delay_alu instid0(VALU_DEP_1) | instskip(NEXT) | instid1(VALU_DEP_2)
	v_add_f32_e32 v25, v27, v25
	v_sub_f32_e32 v27, v27, v26
	v_sub_f32_e32 v23, v23, v26
	s_delay_alu instid0(VALU_DEP_2) | instskip(NEXT) | instid1(VALU_DEP_1)
	v_dual_add_f32 v29, v28, v25 :: v_dual_sub_f32 v22, v22, v27
	v_sub_f32_e32 v26, v29, v28
	s_delay_alu instid0(VALU_DEP_2) | instskip(NEXT) | instid1(VALU_DEP_2)
	v_add_f32_e32 v22, v23, v22
	v_sub_f32_e32 v23, v25, v26
	s_delay_alu instid0(VALU_DEP_1) | instskip(NEXT) | instid1(VALU_DEP_1)
	v_add_f32_e32 v22, v22, v23
	v_add_f32_e32 v22, v29, v22
	s_delay_alu instid0(VALU_DEP_1) | instskip(NEXT) | instid1(VALU_DEP_1)
	v_cndmask_b32_e64 v22, v22, v24, s6
	v_add_f32_e32 v23, v6, v22
.LBB145_174:
	s_or_b32 exec_lo, exec_lo, s8
	ds_load_b32 v6, v20 offset:28
	v_max_f32_e32 v22, v23, v23
	v_cmp_u_f32_e64 s6, v23, v23
	s_waitcnt lgkmcnt(0)
	v_max_f32_e32 v24, v6, v6
	s_delay_alu instid0(VALU_DEP_1) | instskip(SKIP_1) | instid1(VALU_DEP_2)
	v_min_f32_e32 v25, v22, v24
	v_max_f32_e32 v22, v22, v24
	v_cndmask_b32_e64 v24, v25, v23, s6
	s_delay_alu instid0(VALU_DEP_2) | instskip(SKIP_1) | instid1(VALU_DEP_1)
	v_cndmask_b32_e64 v25, v22, v23, s6
	v_cmp_u_f32_e64 s6, v6, v6
	v_cndmask_b32_e64 v22, v24, v6, s6
	s_delay_alu instid0(VALU_DEP_3) | instskip(NEXT) | instid1(VALU_DEP_2)
	v_cndmask_b32_e64 v6, v25, v6, s6
	v_cmp_class_f32_e64 s8, v22, 0x1f8
	s_delay_alu instid0(VALU_DEP_2) | instskip(NEXT) | instid1(VALU_DEP_1)
	v_cmp_neq_f32_e64 s6, v22, v6
	s_or_b32 s6, s6, s8
	s_delay_alu instid0(SALU_CYCLE_1)
	s_and_saveexec_b32 s8, s6
	s_cbranch_execz .LBB145_176
; %bb.175:
	v_sub_f32_e32 v22, v22, v6
	s_delay_alu instid0(VALU_DEP_1) | instskip(NEXT) | instid1(VALU_DEP_1)
	v_mul_f32_e32 v23, 0x3fb8aa3b, v22
	v_fma_f32 v24, 0x3fb8aa3b, v22, -v23
	v_rndne_f32_e32 v25, v23
	s_delay_alu instid0(VALU_DEP_1) | instskip(SKIP_1) | instid1(VALU_DEP_2)
	v_dual_sub_f32 v23, v23, v25 :: v_dual_fmamk_f32 v24, v22, 0x32a5705f, v24
	v_cmp_ngt_f32_e64 s6, 0xc2ce8ed0, v22
	v_add_f32_e32 v23, v23, v24
	v_cvt_i32_f32_e32 v24, v25
	s_delay_alu instid0(VALU_DEP_2) | instskip(SKIP_2) | instid1(VALU_DEP_1)
	v_exp_f32_e32 v23, v23
	s_waitcnt_depctr 0xfff
	v_ldexp_f32 v23, v23, v24
	v_cndmask_b32_e64 v23, 0, v23, s6
	v_cmp_nlt_f32_e64 s6, 0x42b17218, v22
	s_delay_alu instid0(VALU_DEP_1) | instskip(NEXT) | instid1(VALU_DEP_1)
	v_cndmask_b32_e64 v24, 0x7f800000, v23, s6
	v_add_f32_e32 v25, 1.0, v24
	v_cmp_gt_f32_e64 s9, 0x33800000, |v24|
	s_delay_alu instid0(VALU_DEP_2) | instskip(NEXT) | instid1(VALU_DEP_1)
	v_cvt_f64_f32_e32 v[22:23], v25
	v_frexp_exp_i32_f64_e32 v22, v[22:23]
	v_frexp_mant_f32_e32 v23, v25
	s_delay_alu instid0(VALU_DEP_1) | instskip(SKIP_1) | instid1(VALU_DEP_1)
	v_cmp_gt_f32_e64 s6, 0x3f2aaaab, v23
	v_add_f32_e32 v23, -1.0, v25
	v_sub_f32_e32 v27, v23, v25
	v_sub_f32_e32 v23, v24, v23
	s_delay_alu instid0(VALU_DEP_4) | instskip(SKIP_1) | instid1(VALU_DEP_1)
	v_subrev_co_ci_u32_e64 v22, s6, 0, v22, s6
	s_mov_b32 s6, 0x3e9b6dac
	v_sub_nc_u32_e32 v26, 0, v22
	v_cvt_f32_i32_e32 v22, v22
	s_delay_alu instid0(VALU_DEP_2) | instskip(NEXT) | instid1(VALU_DEP_1)
	v_ldexp_f32 v25, v25, v26
	v_dual_add_f32 v28, 1.0, v25 :: v_dual_add_f32 v27, 1.0, v27
	s_delay_alu instid0(VALU_DEP_1) | instskip(NEXT) | instid1(VALU_DEP_2)
	v_add_f32_e32 v23, v23, v27
	v_add_f32_e32 v27, -1.0, v28
	s_delay_alu instid0(VALU_DEP_2) | instskip(NEXT) | instid1(VALU_DEP_2)
	v_ldexp_f32 v23, v23, v26
	v_dual_add_f32 v26, -1.0, v25 :: v_dual_sub_f32 v27, v25, v27
	s_delay_alu instid0(VALU_DEP_1) | instskip(NEXT) | instid1(VALU_DEP_2)
	v_add_f32_e32 v29, 1.0, v26
	v_add_f32_e32 v27, v23, v27
	s_delay_alu instid0(VALU_DEP_2) | instskip(NEXT) | instid1(VALU_DEP_2)
	v_sub_f32_e32 v25, v25, v29
	v_add_f32_e32 v29, v28, v27
	s_delay_alu instid0(VALU_DEP_2) | instskip(NEXT) | instid1(VALU_DEP_2)
	v_add_f32_e32 v23, v23, v25
	v_rcp_f32_e32 v25, v29
	v_sub_f32_e32 v28, v28, v29
	s_delay_alu instid0(VALU_DEP_1) | instskip(NEXT) | instid1(VALU_DEP_1)
	v_dual_add_f32 v30, v26, v23 :: v_dual_add_f32 v27, v27, v28
	v_sub_f32_e32 v26, v26, v30
	s_waitcnt_depctr 0xfff
	v_mul_f32_e32 v31, v30, v25
	s_delay_alu instid0(VALU_DEP_1) | instskip(NEXT) | instid1(VALU_DEP_1)
	v_dual_add_f32 v23, v23, v26 :: v_dual_mul_f32 v32, v29, v31
	v_fma_f32 v28, v31, v29, -v32
	s_delay_alu instid0(VALU_DEP_1) | instskip(NEXT) | instid1(VALU_DEP_1)
	v_fmac_f32_e32 v28, v31, v27
	v_add_f32_e32 v33, v32, v28
	s_delay_alu instid0(VALU_DEP_1) | instskip(SKIP_1) | instid1(VALU_DEP_2)
	v_sub_f32_e32 v34, v30, v33
	v_sub_f32_e32 v26, v33, v32
	;; [unrolled: 1-line block ×3, first 2 shown]
	s_delay_alu instid0(VALU_DEP_2) | instskip(NEXT) | instid1(VALU_DEP_2)
	v_sub_f32_e32 v26, v26, v28
	v_sub_f32_e32 v30, v30, v33
	s_delay_alu instid0(VALU_DEP_1) | instskip(NEXT) | instid1(VALU_DEP_1)
	v_add_f32_e32 v23, v23, v30
	v_add_f32_e32 v23, v26, v23
	s_delay_alu instid0(VALU_DEP_1) | instskip(NEXT) | instid1(VALU_DEP_1)
	v_add_f32_e32 v26, v34, v23
	v_mul_f32_e32 v28, v25, v26
	s_delay_alu instid0(VALU_DEP_1) | instskip(NEXT) | instid1(VALU_DEP_1)
	v_dual_sub_f32 v33, v34, v26 :: v_dual_mul_f32 v30, v29, v28
	v_add_f32_e32 v23, v23, v33
	s_delay_alu instid0(VALU_DEP_2) | instskip(NEXT) | instid1(VALU_DEP_1)
	v_fma_f32 v29, v28, v29, -v30
	v_fmac_f32_e32 v29, v28, v27
	s_delay_alu instid0(VALU_DEP_1) | instskip(NEXT) | instid1(VALU_DEP_1)
	v_add_f32_e32 v27, v30, v29
	v_sub_f32_e32 v32, v26, v27
	v_sub_f32_e32 v30, v27, v30
	s_delay_alu instid0(VALU_DEP_2) | instskip(NEXT) | instid1(VALU_DEP_1)
	v_sub_f32_e32 v26, v26, v32
	v_sub_f32_e32 v26, v26, v27
	s_delay_alu instid0(VALU_DEP_3) | instskip(NEXT) | instid1(VALU_DEP_2)
	v_sub_f32_e32 v27, v30, v29
	v_add_f32_e32 v23, v23, v26
	v_add_f32_e32 v26, v31, v28
	s_delay_alu instid0(VALU_DEP_2) | instskip(NEXT) | instid1(VALU_DEP_2)
	v_add_f32_e32 v23, v27, v23
	v_sub_f32_e32 v27, v26, v31
	s_delay_alu instid0(VALU_DEP_2) | instskip(NEXT) | instid1(VALU_DEP_2)
	v_add_f32_e32 v23, v32, v23
	v_sub_f32_e32 v27, v28, v27
	s_delay_alu instid0(VALU_DEP_2) | instskip(NEXT) | instid1(VALU_DEP_1)
	v_mul_f32_e32 v23, v25, v23
	v_add_f32_e32 v23, v27, v23
	s_delay_alu instid0(VALU_DEP_1) | instskip(NEXT) | instid1(VALU_DEP_1)
	v_add_f32_e32 v25, v26, v23
	v_mul_f32_e32 v27, v25, v25
	s_delay_alu instid0(VALU_DEP_1) | instskip(SKIP_2) | instid1(VALU_DEP_3)
	v_fmaak_f32 v28, s6, v27, 0x3ecc95a3
	v_mul_f32_e32 v29, v25, v27
	v_cmp_eq_f32_e64 s6, 0x7f800000, v24
	v_fmaak_f32 v27, v27, v28, 0x3f2aaada
	v_ldexp_f32 v28, v25, 1
	v_sub_f32_e32 v25, v25, v26
	s_delay_alu instid0(VALU_DEP_4) | instskip(NEXT) | instid1(VALU_DEP_3)
	s_or_b32 s6, s6, s9
	v_mul_f32_e32 v27, v29, v27
	v_mul_f32_e32 v29, 0x3f317218, v22
	s_delay_alu instid0(VALU_DEP_2) | instskip(NEXT) | instid1(VALU_DEP_1)
	v_dual_sub_f32 v23, v23, v25 :: v_dual_add_f32 v26, v28, v27
	v_ldexp_f32 v23, v23, 1
	s_delay_alu instid0(VALU_DEP_2) | instskip(NEXT) | instid1(VALU_DEP_4)
	v_sub_f32_e32 v25, v26, v28
	v_fma_f32 v28, 0x3f317218, v22, -v29
	s_delay_alu instid0(VALU_DEP_1) | instskip(NEXT) | instid1(VALU_DEP_1)
	v_dual_sub_f32 v25, v27, v25 :: v_dual_fmamk_f32 v22, v22, 0xb102e308, v28
	v_add_f32_e32 v23, v23, v25
	s_delay_alu instid0(VALU_DEP_2) | instskip(NEXT) | instid1(VALU_DEP_2)
	v_add_f32_e32 v25, v29, v22
	v_add_f32_e32 v27, v26, v23
	s_delay_alu instid0(VALU_DEP_2) | instskip(NEXT) | instid1(VALU_DEP_2)
	v_sub_f32_e32 v29, v25, v29
	v_add_f32_e32 v28, v25, v27
	v_sub_f32_e32 v26, v27, v26
	s_delay_alu instid0(VALU_DEP_3) | instskip(NEXT) | instid1(VALU_DEP_2)
	v_sub_f32_e32 v22, v22, v29
	v_dual_sub_f32 v30, v28, v25 :: v_dual_sub_f32 v23, v23, v26
	s_delay_alu instid0(VALU_DEP_1) | instskip(NEXT) | instid1(VALU_DEP_2)
	v_sub_f32_e32 v31, v28, v30
	v_dual_sub_f32 v26, v27, v30 :: v_dual_add_f32 v27, v22, v23
	s_delay_alu instid0(VALU_DEP_2) | instskip(NEXT) | instid1(VALU_DEP_1)
	v_sub_f32_e32 v25, v25, v31
	v_dual_add_f32 v25, v26, v25 :: v_dual_sub_f32 v26, v27, v22
	s_delay_alu instid0(VALU_DEP_1) | instskip(NEXT) | instid1(VALU_DEP_2)
	v_add_f32_e32 v25, v27, v25
	v_sub_f32_e32 v27, v27, v26
	v_sub_f32_e32 v23, v23, v26
	s_delay_alu instid0(VALU_DEP_2) | instskip(NEXT) | instid1(VALU_DEP_1)
	v_dual_add_f32 v29, v28, v25 :: v_dual_sub_f32 v22, v22, v27
	v_sub_f32_e32 v26, v29, v28
	s_delay_alu instid0(VALU_DEP_2) | instskip(NEXT) | instid1(VALU_DEP_2)
	v_add_f32_e32 v22, v23, v22
	v_sub_f32_e32 v23, v25, v26
	s_delay_alu instid0(VALU_DEP_1) | instskip(NEXT) | instid1(VALU_DEP_1)
	v_add_f32_e32 v22, v22, v23
	v_add_f32_e32 v22, v29, v22
	s_delay_alu instid0(VALU_DEP_1) | instskip(NEXT) | instid1(VALU_DEP_1)
	v_cndmask_b32_e64 v22, v22, v24, s6
	v_add_f32_e32 v23, v6, v22
.LBB145_176:
	s_or_b32 exec_lo, exec_lo, s8
	v_mbcnt_lo_u32_b32 v6, -1, 0
	s_delay_alu instid0(VALU_DEP_2) | instskip(SKIP_1) | instid1(VALU_DEP_2)
	v_mov_b32_dpp v24, v23 row_shr:1 row_mask:0xf bank_mask:0xf
	s_mov_b32 s8, exec_lo
	v_and_b32_e32 v22, 15, v6
	s_delay_alu instid0(VALU_DEP_1)
	v_cmpx_ne_u32_e32 0, v22
	s_xor_b32 s8, exec_lo, s8
	s_cbranch_execz .LBB145_180
; %bb.177:
	v_dual_max_f32 v25, v23, v23 :: v_dual_max_f32 v26, v24, v24
	v_cmp_u_f32_e64 s6, v24, v24
	s_delay_alu instid0(VALU_DEP_2) | instskip(SKIP_1) | instid1(VALU_DEP_2)
	v_min_f32_e32 v27, v26, v25
	v_max_f32_e32 v25, v26, v25
	v_cndmask_b32_e64 v26, v27, v24, s6
	s_delay_alu instid0(VALU_DEP_2) | instskip(SKIP_1) | instid1(VALU_DEP_1)
	v_cndmask_b32_e64 v27, v25, v24, s6
	v_cmp_u_f32_e64 s6, v23, v23
	v_cndmask_b32_e64 v25, v26, v23, s6
	s_delay_alu instid0(VALU_DEP_3) | instskip(NEXT) | instid1(VALU_DEP_2)
	v_cndmask_b32_e64 v23, v27, v23, s6
	v_cmp_class_f32_e64 s9, v25, 0x1f8
	s_delay_alu instid0(VALU_DEP_2) | instskip(NEXT) | instid1(VALU_DEP_1)
	v_cmp_neq_f32_e64 s6, v25, v23
	s_or_b32 s6, s6, s9
	s_delay_alu instid0(SALU_CYCLE_1)
	s_and_saveexec_b32 s9, s6
	s_cbranch_execz .LBB145_179
; %bb.178:
	v_sub_f32_e32 v24, v25, v23
	s_delay_alu instid0(VALU_DEP_1) | instskip(SKIP_1) | instid1(VALU_DEP_2)
	v_mul_f32_e32 v25, 0x3fb8aa3b, v24
	v_cmp_ngt_f32_e64 s6, 0xc2ce8ed0, v24
	v_fma_f32 v26, 0x3fb8aa3b, v24, -v25
	v_rndne_f32_e32 v27, v25
	s_delay_alu instid0(VALU_DEP_1) | instskip(NEXT) | instid1(VALU_DEP_1)
	v_dual_fmamk_f32 v26, v24, 0x32a5705f, v26 :: v_dual_sub_f32 v25, v25, v27
	v_add_f32_e32 v25, v25, v26
	v_cvt_i32_f32_e32 v26, v27
	s_delay_alu instid0(VALU_DEP_2) | instskip(SKIP_2) | instid1(VALU_DEP_1)
	v_exp_f32_e32 v25, v25
	s_waitcnt_depctr 0xfff
	v_ldexp_f32 v25, v25, v26
	v_cndmask_b32_e64 v25, 0, v25, s6
	v_cmp_nlt_f32_e64 s6, 0x42b17218, v24
	s_delay_alu instid0(VALU_DEP_1) | instskip(NEXT) | instid1(VALU_DEP_1)
	v_cndmask_b32_e64 v26, 0x7f800000, v25, s6
	v_add_f32_e32 v27, 1.0, v26
	v_cmp_gt_f32_e64 s12, 0x33800000, |v26|
	s_delay_alu instid0(VALU_DEP_2) | instskip(NEXT) | instid1(VALU_DEP_1)
	v_cvt_f64_f32_e32 v[24:25], v27
	v_frexp_exp_i32_f64_e32 v24, v[24:25]
	v_frexp_mant_f32_e32 v25, v27
	s_delay_alu instid0(VALU_DEP_1) | instskip(SKIP_1) | instid1(VALU_DEP_1)
	v_cmp_gt_f32_e64 s6, 0x3f2aaaab, v25
	v_add_f32_e32 v25, -1.0, v27
	v_sub_f32_e32 v29, v25, v27
	v_sub_f32_e32 v25, v26, v25
	s_delay_alu instid0(VALU_DEP_4) | instskip(SKIP_1) | instid1(VALU_DEP_1)
	v_subrev_co_ci_u32_e64 v24, s6, 0, v24, s6
	s_mov_b32 s6, 0x3e9b6dac
	v_sub_nc_u32_e32 v28, 0, v24
	v_cvt_f32_i32_e32 v24, v24
	s_delay_alu instid0(VALU_DEP_2) | instskip(NEXT) | instid1(VALU_DEP_1)
	v_ldexp_f32 v27, v27, v28
	v_dual_add_f32 v30, 1.0, v27 :: v_dual_add_f32 v29, 1.0, v29
	s_delay_alu instid0(VALU_DEP_1) | instskip(NEXT) | instid1(VALU_DEP_2)
	v_add_f32_e32 v25, v25, v29
	v_add_f32_e32 v29, -1.0, v30
	s_delay_alu instid0(VALU_DEP_2) | instskip(NEXT) | instid1(VALU_DEP_2)
	v_ldexp_f32 v25, v25, v28
	v_dual_add_f32 v28, -1.0, v27 :: v_dual_sub_f32 v29, v27, v29
	s_delay_alu instid0(VALU_DEP_1) | instskip(NEXT) | instid1(VALU_DEP_2)
	v_add_f32_e32 v31, 1.0, v28
	v_add_f32_e32 v29, v25, v29
	s_delay_alu instid0(VALU_DEP_2) | instskip(NEXT) | instid1(VALU_DEP_2)
	v_sub_f32_e32 v27, v27, v31
	v_add_f32_e32 v31, v30, v29
	s_delay_alu instid0(VALU_DEP_2) | instskip(NEXT) | instid1(VALU_DEP_2)
	v_add_f32_e32 v25, v25, v27
	v_rcp_f32_e32 v27, v31
	v_sub_f32_e32 v30, v30, v31
	s_delay_alu instid0(VALU_DEP_1) | instskip(NEXT) | instid1(VALU_DEP_1)
	v_dual_add_f32 v32, v28, v25 :: v_dual_add_f32 v29, v29, v30
	v_sub_f32_e32 v28, v28, v32
	s_waitcnt_depctr 0xfff
	v_mul_f32_e32 v33, v32, v27
	s_delay_alu instid0(VALU_DEP_1) | instskip(NEXT) | instid1(VALU_DEP_1)
	v_dual_add_f32 v25, v25, v28 :: v_dual_mul_f32 v34, v31, v33
	v_fma_f32 v30, v33, v31, -v34
	s_delay_alu instid0(VALU_DEP_1) | instskip(NEXT) | instid1(VALU_DEP_1)
	v_fmac_f32_e32 v30, v33, v29
	v_add_f32_e32 v35, v34, v30
	s_delay_alu instid0(VALU_DEP_1) | instskip(SKIP_1) | instid1(VALU_DEP_2)
	v_sub_f32_e32 v36, v32, v35
	v_sub_f32_e32 v28, v35, v34
	v_sub_f32_e32 v32, v32, v36
	s_delay_alu instid0(VALU_DEP_2) | instskip(NEXT) | instid1(VALU_DEP_2)
	v_sub_f32_e32 v28, v28, v30
	v_sub_f32_e32 v32, v32, v35
	s_delay_alu instid0(VALU_DEP_1) | instskip(NEXT) | instid1(VALU_DEP_1)
	v_add_f32_e32 v25, v25, v32
	v_add_f32_e32 v25, v28, v25
	s_delay_alu instid0(VALU_DEP_1) | instskip(NEXT) | instid1(VALU_DEP_1)
	v_add_f32_e32 v28, v36, v25
	v_mul_f32_e32 v30, v27, v28
	s_delay_alu instid0(VALU_DEP_1) | instskip(NEXT) | instid1(VALU_DEP_1)
	v_dual_sub_f32 v35, v36, v28 :: v_dual_mul_f32 v32, v31, v30
	v_add_f32_e32 v25, v25, v35
	s_delay_alu instid0(VALU_DEP_2) | instskip(NEXT) | instid1(VALU_DEP_1)
	v_fma_f32 v31, v30, v31, -v32
	v_fmac_f32_e32 v31, v30, v29
	s_delay_alu instid0(VALU_DEP_1) | instskip(NEXT) | instid1(VALU_DEP_1)
	v_add_f32_e32 v29, v32, v31
	v_sub_f32_e32 v34, v28, v29
	v_sub_f32_e32 v32, v29, v32
	s_delay_alu instid0(VALU_DEP_2) | instskip(NEXT) | instid1(VALU_DEP_1)
	v_sub_f32_e32 v28, v28, v34
	v_sub_f32_e32 v28, v28, v29
	s_delay_alu instid0(VALU_DEP_3) | instskip(NEXT) | instid1(VALU_DEP_2)
	v_sub_f32_e32 v29, v32, v31
	v_add_f32_e32 v25, v25, v28
	v_add_f32_e32 v28, v33, v30
	s_delay_alu instid0(VALU_DEP_2) | instskip(NEXT) | instid1(VALU_DEP_2)
	v_add_f32_e32 v25, v29, v25
	v_sub_f32_e32 v29, v28, v33
	s_delay_alu instid0(VALU_DEP_2) | instskip(NEXT) | instid1(VALU_DEP_2)
	v_add_f32_e32 v25, v34, v25
	v_sub_f32_e32 v29, v30, v29
	s_delay_alu instid0(VALU_DEP_2) | instskip(NEXT) | instid1(VALU_DEP_1)
	v_mul_f32_e32 v25, v27, v25
	v_add_f32_e32 v25, v29, v25
	s_delay_alu instid0(VALU_DEP_1) | instskip(NEXT) | instid1(VALU_DEP_1)
	v_add_f32_e32 v27, v28, v25
	v_mul_f32_e32 v29, v27, v27
	s_delay_alu instid0(VALU_DEP_1) | instskip(SKIP_2) | instid1(VALU_DEP_3)
	v_fmaak_f32 v30, s6, v29, 0x3ecc95a3
	v_mul_f32_e32 v31, v27, v29
	v_cmp_eq_f32_e64 s6, 0x7f800000, v26
	v_fmaak_f32 v29, v29, v30, 0x3f2aaada
	v_ldexp_f32 v30, v27, 1
	v_sub_f32_e32 v27, v27, v28
	s_delay_alu instid0(VALU_DEP_4) | instskip(NEXT) | instid1(VALU_DEP_3)
	s_or_b32 s6, s6, s12
	v_mul_f32_e32 v29, v31, v29
	v_mul_f32_e32 v31, 0x3f317218, v24
	s_delay_alu instid0(VALU_DEP_2) | instskip(NEXT) | instid1(VALU_DEP_1)
	v_dual_sub_f32 v25, v25, v27 :: v_dual_add_f32 v28, v30, v29
	v_ldexp_f32 v25, v25, 1
	s_delay_alu instid0(VALU_DEP_2) | instskip(NEXT) | instid1(VALU_DEP_4)
	v_sub_f32_e32 v27, v28, v30
	v_fma_f32 v30, 0x3f317218, v24, -v31
	s_delay_alu instid0(VALU_DEP_1) | instskip(NEXT) | instid1(VALU_DEP_1)
	v_dual_sub_f32 v27, v29, v27 :: v_dual_fmamk_f32 v24, v24, 0xb102e308, v30
	v_add_f32_e32 v25, v25, v27
	s_delay_alu instid0(VALU_DEP_2) | instskip(NEXT) | instid1(VALU_DEP_2)
	v_add_f32_e32 v27, v31, v24
	v_add_f32_e32 v29, v28, v25
	s_delay_alu instid0(VALU_DEP_2) | instskip(NEXT) | instid1(VALU_DEP_2)
	v_sub_f32_e32 v31, v27, v31
	v_add_f32_e32 v30, v27, v29
	v_sub_f32_e32 v28, v29, v28
	s_delay_alu instid0(VALU_DEP_3) | instskip(NEXT) | instid1(VALU_DEP_2)
	v_sub_f32_e32 v24, v24, v31
	v_dual_sub_f32 v32, v30, v27 :: v_dual_sub_f32 v25, v25, v28
	s_delay_alu instid0(VALU_DEP_1) | instskip(NEXT) | instid1(VALU_DEP_2)
	v_sub_f32_e32 v33, v30, v32
	v_dual_sub_f32 v28, v29, v32 :: v_dual_add_f32 v29, v24, v25
	s_delay_alu instid0(VALU_DEP_2) | instskip(NEXT) | instid1(VALU_DEP_1)
	v_sub_f32_e32 v27, v27, v33
	v_dual_add_f32 v27, v28, v27 :: v_dual_sub_f32 v28, v29, v24
	s_delay_alu instid0(VALU_DEP_1) | instskip(NEXT) | instid1(VALU_DEP_2)
	v_add_f32_e32 v27, v29, v27
	v_sub_f32_e32 v29, v29, v28
	v_sub_f32_e32 v25, v25, v28
	s_delay_alu instid0(VALU_DEP_2) | instskip(NEXT) | instid1(VALU_DEP_1)
	v_dual_add_f32 v31, v30, v27 :: v_dual_sub_f32 v24, v24, v29
	v_sub_f32_e32 v28, v31, v30
	s_delay_alu instid0(VALU_DEP_2) | instskip(NEXT) | instid1(VALU_DEP_2)
	v_add_f32_e32 v24, v25, v24
	v_sub_f32_e32 v25, v27, v28
	s_delay_alu instid0(VALU_DEP_1) | instskip(NEXT) | instid1(VALU_DEP_1)
	v_add_f32_e32 v24, v24, v25
	v_add_f32_e32 v24, v31, v24
	s_delay_alu instid0(VALU_DEP_1) | instskip(NEXT) | instid1(VALU_DEP_1)
	v_cndmask_b32_e64 v24, v24, v26, s6
	v_add_f32_e32 v24, v23, v24
.LBB145_179:
	s_or_b32 exec_lo, exec_lo, s9
	s_delay_alu instid0(VALU_DEP_1)
	v_mov_b32_e32 v23, v24
.LBB145_180:
	s_or_b32 exec_lo, exec_lo, s8
	s_delay_alu instid0(VALU_DEP_1)
	v_mov_b32_dpp v24, v23 row_shr:2 row_mask:0xf bank_mask:0xf
	s_mov_b32 s8, exec_lo
	v_cmpx_lt_u32_e32 1, v22
	s_cbranch_execz .LBB145_184
; %bb.181:
	s_delay_alu instid0(VALU_DEP_2) | instskip(SKIP_1) | instid1(VALU_DEP_2)
	v_dual_max_f32 v25, v23, v23 :: v_dual_max_f32 v26, v24, v24
	v_cmp_u_f32_e64 s6, v24, v24
	v_min_f32_e32 v27, v26, v25
	v_max_f32_e32 v25, v26, v25
	s_delay_alu instid0(VALU_DEP_2) | instskip(NEXT) | instid1(VALU_DEP_2)
	v_cndmask_b32_e64 v26, v27, v24, s6
	v_cndmask_b32_e64 v27, v25, v24, s6
	v_cmp_u_f32_e64 s6, v23, v23
	s_delay_alu instid0(VALU_DEP_1) | instskip(NEXT) | instid1(VALU_DEP_3)
	v_cndmask_b32_e64 v25, v26, v23, s6
	v_cndmask_b32_e64 v23, v27, v23, s6
	s_delay_alu instid0(VALU_DEP_2) | instskip(NEXT) | instid1(VALU_DEP_2)
	v_cmp_class_f32_e64 s9, v25, 0x1f8
	v_cmp_neq_f32_e64 s6, v25, v23
	s_delay_alu instid0(VALU_DEP_1) | instskip(NEXT) | instid1(SALU_CYCLE_1)
	s_or_b32 s6, s6, s9
	s_and_saveexec_b32 s9, s6
	s_cbranch_execz .LBB145_183
; %bb.182:
	v_sub_f32_e32 v24, v25, v23
	s_delay_alu instid0(VALU_DEP_1) | instskip(SKIP_1) | instid1(VALU_DEP_2)
	v_mul_f32_e32 v25, 0x3fb8aa3b, v24
	v_cmp_ngt_f32_e64 s6, 0xc2ce8ed0, v24
	v_fma_f32 v26, 0x3fb8aa3b, v24, -v25
	v_rndne_f32_e32 v27, v25
	s_delay_alu instid0(VALU_DEP_1) | instskip(NEXT) | instid1(VALU_DEP_1)
	v_dual_fmamk_f32 v26, v24, 0x32a5705f, v26 :: v_dual_sub_f32 v25, v25, v27
	v_add_f32_e32 v25, v25, v26
	v_cvt_i32_f32_e32 v26, v27
	s_delay_alu instid0(VALU_DEP_2) | instskip(SKIP_2) | instid1(VALU_DEP_1)
	v_exp_f32_e32 v25, v25
	s_waitcnt_depctr 0xfff
	v_ldexp_f32 v25, v25, v26
	v_cndmask_b32_e64 v25, 0, v25, s6
	v_cmp_nlt_f32_e64 s6, 0x42b17218, v24
	s_delay_alu instid0(VALU_DEP_1) | instskip(NEXT) | instid1(VALU_DEP_1)
	v_cndmask_b32_e64 v26, 0x7f800000, v25, s6
	v_add_f32_e32 v27, 1.0, v26
	v_cmp_gt_f32_e64 s12, 0x33800000, |v26|
	s_delay_alu instid0(VALU_DEP_2) | instskip(NEXT) | instid1(VALU_DEP_1)
	v_cvt_f64_f32_e32 v[24:25], v27
	v_frexp_exp_i32_f64_e32 v24, v[24:25]
	v_frexp_mant_f32_e32 v25, v27
	s_delay_alu instid0(VALU_DEP_1) | instskip(SKIP_1) | instid1(VALU_DEP_1)
	v_cmp_gt_f32_e64 s6, 0x3f2aaaab, v25
	v_add_f32_e32 v25, -1.0, v27
	v_sub_f32_e32 v29, v25, v27
	v_sub_f32_e32 v25, v26, v25
	s_delay_alu instid0(VALU_DEP_4) | instskip(SKIP_1) | instid1(VALU_DEP_1)
	v_subrev_co_ci_u32_e64 v24, s6, 0, v24, s6
	s_mov_b32 s6, 0x3e9b6dac
	v_sub_nc_u32_e32 v28, 0, v24
	v_cvt_f32_i32_e32 v24, v24
	s_delay_alu instid0(VALU_DEP_2) | instskip(NEXT) | instid1(VALU_DEP_1)
	v_ldexp_f32 v27, v27, v28
	v_dual_add_f32 v30, 1.0, v27 :: v_dual_add_f32 v29, 1.0, v29
	s_delay_alu instid0(VALU_DEP_1) | instskip(NEXT) | instid1(VALU_DEP_2)
	v_add_f32_e32 v25, v25, v29
	v_add_f32_e32 v29, -1.0, v30
	s_delay_alu instid0(VALU_DEP_2) | instskip(NEXT) | instid1(VALU_DEP_2)
	v_ldexp_f32 v25, v25, v28
	v_dual_add_f32 v28, -1.0, v27 :: v_dual_sub_f32 v29, v27, v29
	s_delay_alu instid0(VALU_DEP_1) | instskip(NEXT) | instid1(VALU_DEP_2)
	v_add_f32_e32 v31, 1.0, v28
	v_add_f32_e32 v29, v25, v29
	s_delay_alu instid0(VALU_DEP_2) | instskip(NEXT) | instid1(VALU_DEP_2)
	v_sub_f32_e32 v27, v27, v31
	v_add_f32_e32 v31, v30, v29
	s_delay_alu instid0(VALU_DEP_2) | instskip(NEXT) | instid1(VALU_DEP_2)
	v_add_f32_e32 v25, v25, v27
	v_rcp_f32_e32 v27, v31
	v_sub_f32_e32 v30, v30, v31
	s_delay_alu instid0(VALU_DEP_1) | instskip(NEXT) | instid1(VALU_DEP_1)
	v_dual_add_f32 v32, v28, v25 :: v_dual_add_f32 v29, v29, v30
	v_sub_f32_e32 v28, v28, v32
	s_waitcnt_depctr 0xfff
	v_mul_f32_e32 v33, v32, v27
	s_delay_alu instid0(VALU_DEP_1) | instskip(NEXT) | instid1(VALU_DEP_1)
	v_dual_add_f32 v25, v25, v28 :: v_dual_mul_f32 v34, v31, v33
	v_fma_f32 v30, v33, v31, -v34
	s_delay_alu instid0(VALU_DEP_1) | instskip(NEXT) | instid1(VALU_DEP_1)
	v_fmac_f32_e32 v30, v33, v29
	v_add_f32_e32 v35, v34, v30
	s_delay_alu instid0(VALU_DEP_1) | instskip(SKIP_1) | instid1(VALU_DEP_2)
	v_sub_f32_e32 v36, v32, v35
	v_sub_f32_e32 v28, v35, v34
	;; [unrolled: 1-line block ×3, first 2 shown]
	s_delay_alu instid0(VALU_DEP_2) | instskip(NEXT) | instid1(VALU_DEP_2)
	v_sub_f32_e32 v28, v28, v30
	v_sub_f32_e32 v32, v32, v35
	s_delay_alu instid0(VALU_DEP_1) | instskip(NEXT) | instid1(VALU_DEP_1)
	v_add_f32_e32 v25, v25, v32
	v_add_f32_e32 v25, v28, v25
	s_delay_alu instid0(VALU_DEP_1) | instskip(NEXT) | instid1(VALU_DEP_1)
	v_add_f32_e32 v28, v36, v25
	v_mul_f32_e32 v30, v27, v28
	s_delay_alu instid0(VALU_DEP_1) | instskip(NEXT) | instid1(VALU_DEP_1)
	v_dual_sub_f32 v35, v36, v28 :: v_dual_mul_f32 v32, v31, v30
	v_add_f32_e32 v25, v25, v35
	s_delay_alu instid0(VALU_DEP_2) | instskip(NEXT) | instid1(VALU_DEP_1)
	v_fma_f32 v31, v30, v31, -v32
	v_fmac_f32_e32 v31, v30, v29
	s_delay_alu instid0(VALU_DEP_1) | instskip(NEXT) | instid1(VALU_DEP_1)
	v_add_f32_e32 v29, v32, v31
	v_sub_f32_e32 v34, v28, v29
	v_sub_f32_e32 v32, v29, v32
	s_delay_alu instid0(VALU_DEP_2) | instskip(NEXT) | instid1(VALU_DEP_1)
	v_sub_f32_e32 v28, v28, v34
	v_sub_f32_e32 v28, v28, v29
	s_delay_alu instid0(VALU_DEP_3) | instskip(NEXT) | instid1(VALU_DEP_2)
	v_sub_f32_e32 v29, v32, v31
	v_add_f32_e32 v25, v25, v28
	v_add_f32_e32 v28, v33, v30
	s_delay_alu instid0(VALU_DEP_2) | instskip(NEXT) | instid1(VALU_DEP_2)
	v_add_f32_e32 v25, v29, v25
	v_sub_f32_e32 v29, v28, v33
	s_delay_alu instid0(VALU_DEP_2) | instskip(NEXT) | instid1(VALU_DEP_2)
	v_add_f32_e32 v25, v34, v25
	v_sub_f32_e32 v29, v30, v29
	s_delay_alu instid0(VALU_DEP_2) | instskip(NEXT) | instid1(VALU_DEP_1)
	v_mul_f32_e32 v25, v27, v25
	v_add_f32_e32 v25, v29, v25
	s_delay_alu instid0(VALU_DEP_1) | instskip(NEXT) | instid1(VALU_DEP_1)
	v_add_f32_e32 v27, v28, v25
	v_mul_f32_e32 v29, v27, v27
	s_delay_alu instid0(VALU_DEP_1) | instskip(SKIP_2) | instid1(VALU_DEP_3)
	v_fmaak_f32 v30, s6, v29, 0x3ecc95a3
	v_mul_f32_e32 v31, v27, v29
	v_cmp_eq_f32_e64 s6, 0x7f800000, v26
	v_fmaak_f32 v29, v29, v30, 0x3f2aaada
	v_ldexp_f32 v30, v27, 1
	v_sub_f32_e32 v27, v27, v28
	s_delay_alu instid0(VALU_DEP_4) | instskip(NEXT) | instid1(VALU_DEP_3)
	s_or_b32 s6, s6, s12
	v_mul_f32_e32 v29, v31, v29
	v_mul_f32_e32 v31, 0x3f317218, v24
	s_delay_alu instid0(VALU_DEP_2) | instskip(NEXT) | instid1(VALU_DEP_1)
	v_dual_sub_f32 v25, v25, v27 :: v_dual_add_f32 v28, v30, v29
	v_ldexp_f32 v25, v25, 1
	s_delay_alu instid0(VALU_DEP_2) | instskip(NEXT) | instid1(VALU_DEP_4)
	v_sub_f32_e32 v27, v28, v30
	v_fma_f32 v30, 0x3f317218, v24, -v31
	s_delay_alu instid0(VALU_DEP_1) | instskip(NEXT) | instid1(VALU_DEP_1)
	v_dual_sub_f32 v27, v29, v27 :: v_dual_fmamk_f32 v24, v24, 0xb102e308, v30
	v_add_f32_e32 v25, v25, v27
	s_delay_alu instid0(VALU_DEP_2) | instskip(NEXT) | instid1(VALU_DEP_2)
	v_add_f32_e32 v27, v31, v24
	v_add_f32_e32 v29, v28, v25
	s_delay_alu instid0(VALU_DEP_2) | instskip(NEXT) | instid1(VALU_DEP_2)
	v_sub_f32_e32 v31, v27, v31
	v_add_f32_e32 v30, v27, v29
	v_sub_f32_e32 v28, v29, v28
	s_delay_alu instid0(VALU_DEP_3) | instskip(NEXT) | instid1(VALU_DEP_2)
	v_sub_f32_e32 v24, v24, v31
	v_dual_sub_f32 v32, v30, v27 :: v_dual_sub_f32 v25, v25, v28
	s_delay_alu instid0(VALU_DEP_1) | instskip(NEXT) | instid1(VALU_DEP_2)
	v_sub_f32_e32 v33, v30, v32
	v_dual_sub_f32 v28, v29, v32 :: v_dual_add_f32 v29, v24, v25
	s_delay_alu instid0(VALU_DEP_2) | instskip(NEXT) | instid1(VALU_DEP_1)
	v_sub_f32_e32 v27, v27, v33
	v_dual_add_f32 v27, v28, v27 :: v_dual_sub_f32 v28, v29, v24
	s_delay_alu instid0(VALU_DEP_1) | instskip(NEXT) | instid1(VALU_DEP_2)
	v_add_f32_e32 v27, v29, v27
	v_sub_f32_e32 v29, v29, v28
	v_sub_f32_e32 v25, v25, v28
	s_delay_alu instid0(VALU_DEP_2) | instskip(NEXT) | instid1(VALU_DEP_1)
	v_dual_add_f32 v31, v30, v27 :: v_dual_sub_f32 v24, v24, v29
	v_sub_f32_e32 v28, v31, v30
	s_delay_alu instid0(VALU_DEP_2) | instskip(NEXT) | instid1(VALU_DEP_2)
	v_add_f32_e32 v24, v25, v24
	v_sub_f32_e32 v25, v27, v28
	s_delay_alu instid0(VALU_DEP_1) | instskip(NEXT) | instid1(VALU_DEP_1)
	v_add_f32_e32 v24, v24, v25
	v_add_f32_e32 v24, v31, v24
	s_delay_alu instid0(VALU_DEP_1) | instskip(NEXT) | instid1(VALU_DEP_1)
	v_cndmask_b32_e64 v24, v24, v26, s6
	v_add_f32_e32 v24, v23, v24
.LBB145_183:
	s_or_b32 exec_lo, exec_lo, s9
	s_delay_alu instid0(VALU_DEP_1)
	v_mov_b32_e32 v23, v24
.LBB145_184:
	s_or_b32 exec_lo, exec_lo, s8
	s_delay_alu instid0(VALU_DEP_1)
	v_mov_b32_dpp v24, v23 row_shr:4 row_mask:0xf bank_mask:0xf
	s_mov_b32 s8, exec_lo
	v_cmpx_lt_u32_e32 3, v22
	s_cbranch_execz .LBB145_188
; %bb.185:
	s_delay_alu instid0(VALU_DEP_2) | instskip(SKIP_1) | instid1(VALU_DEP_2)
	v_dual_max_f32 v25, v23, v23 :: v_dual_max_f32 v26, v24, v24
	v_cmp_u_f32_e64 s6, v24, v24
	v_min_f32_e32 v27, v26, v25
	v_max_f32_e32 v25, v26, v25
	s_delay_alu instid0(VALU_DEP_2) | instskip(NEXT) | instid1(VALU_DEP_2)
	v_cndmask_b32_e64 v26, v27, v24, s6
	v_cndmask_b32_e64 v27, v25, v24, s6
	v_cmp_u_f32_e64 s6, v23, v23
	s_delay_alu instid0(VALU_DEP_1) | instskip(NEXT) | instid1(VALU_DEP_3)
	v_cndmask_b32_e64 v25, v26, v23, s6
	v_cndmask_b32_e64 v23, v27, v23, s6
	s_delay_alu instid0(VALU_DEP_2) | instskip(NEXT) | instid1(VALU_DEP_2)
	v_cmp_class_f32_e64 s9, v25, 0x1f8
	v_cmp_neq_f32_e64 s6, v25, v23
	s_delay_alu instid0(VALU_DEP_1) | instskip(NEXT) | instid1(SALU_CYCLE_1)
	s_or_b32 s6, s6, s9
	s_and_saveexec_b32 s9, s6
	s_cbranch_execz .LBB145_187
; %bb.186:
	v_sub_f32_e32 v24, v25, v23
	s_delay_alu instid0(VALU_DEP_1) | instskip(SKIP_1) | instid1(VALU_DEP_2)
	v_mul_f32_e32 v25, 0x3fb8aa3b, v24
	v_cmp_ngt_f32_e64 s6, 0xc2ce8ed0, v24
	v_fma_f32 v26, 0x3fb8aa3b, v24, -v25
	v_rndne_f32_e32 v27, v25
	s_delay_alu instid0(VALU_DEP_1) | instskip(NEXT) | instid1(VALU_DEP_1)
	v_dual_fmamk_f32 v26, v24, 0x32a5705f, v26 :: v_dual_sub_f32 v25, v25, v27
	v_add_f32_e32 v25, v25, v26
	v_cvt_i32_f32_e32 v26, v27
	s_delay_alu instid0(VALU_DEP_2) | instskip(SKIP_2) | instid1(VALU_DEP_1)
	v_exp_f32_e32 v25, v25
	s_waitcnt_depctr 0xfff
	v_ldexp_f32 v25, v25, v26
	v_cndmask_b32_e64 v25, 0, v25, s6
	v_cmp_nlt_f32_e64 s6, 0x42b17218, v24
	s_delay_alu instid0(VALU_DEP_1) | instskip(NEXT) | instid1(VALU_DEP_1)
	v_cndmask_b32_e64 v26, 0x7f800000, v25, s6
	v_add_f32_e32 v27, 1.0, v26
	v_cmp_gt_f32_e64 s12, 0x33800000, |v26|
	s_delay_alu instid0(VALU_DEP_2) | instskip(NEXT) | instid1(VALU_DEP_1)
	v_cvt_f64_f32_e32 v[24:25], v27
	v_frexp_exp_i32_f64_e32 v24, v[24:25]
	v_frexp_mant_f32_e32 v25, v27
	s_delay_alu instid0(VALU_DEP_1) | instskip(SKIP_1) | instid1(VALU_DEP_1)
	v_cmp_gt_f32_e64 s6, 0x3f2aaaab, v25
	v_add_f32_e32 v25, -1.0, v27
	v_sub_f32_e32 v29, v25, v27
	v_sub_f32_e32 v25, v26, v25
	s_delay_alu instid0(VALU_DEP_4) | instskip(SKIP_1) | instid1(VALU_DEP_1)
	v_subrev_co_ci_u32_e64 v24, s6, 0, v24, s6
	s_mov_b32 s6, 0x3e9b6dac
	v_sub_nc_u32_e32 v28, 0, v24
	v_cvt_f32_i32_e32 v24, v24
	s_delay_alu instid0(VALU_DEP_2) | instskip(NEXT) | instid1(VALU_DEP_1)
	v_ldexp_f32 v27, v27, v28
	v_dual_add_f32 v30, 1.0, v27 :: v_dual_add_f32 v29, 1.0, v29
	s_delay_alu instid0(VALU_DEP_1) | instskip(NEXT) | instid1(VALU_DEP_2)
	v_add_f32_e32 v25, v25, v29
	v_add_f32_e32 v29, -1.0, v30
	s_delay_alu instid0(VALU_DEP_2) | instskip(NEXT) | instid1(VALU_DEP_2)
	v_ldexp_f32 v25, v25, v28
	v_dual_add_f32 v28, -1.0, v27 :: v_dual_sub_f32 v29, v27, v29
	s_delay_alu instid0(VALU_DEP_1) | instskip(NEXT) | instid1(VALU_DEP_2)
	v_add_f32_e32 v31, 1.0, v28
	v_add_f32_e32 v29, v25, v29
	s_delay_alu instid0(VALU_DEP_2) | instskip(NEXT) | instid1(VALU_DEP_2)
	v_sub_f32_e32 v27, v27, v31
	v_add_f32_e32 v31, v30, v29
	s_delay_alu instid0(VALU_DEP_2) | instskip(NEXT) | instid1(VALU_DEP_2)
	v_add_f32_e32 v25, v25, v27
	v_rcp_f32_e32 v27, v31
	v_sub_f32_e32 v30, v30, v31
	s_delay_alu instid0(VALU_DEP_1) | instskip(NEXT) | instid1(VALU_DEP_1)
	v_dual_add_f32 v32, v28, v25 :: v_dual_add_f32 v29, v29, v30
	v_sub_f32_e32 v28, v28, v32
	s_waitcnt_depctr 0xfff
	v_mul_f32_e32 v33, v32, v27
	s_delay_alu instid0(VALU_DEP_1) | instskip(NEXT) | instid1(VALU_DEP_1)
	v_dual_add_f32 v25, v25, v28 :: v_dual_mul_f32 v34, v31, v33
	v_fma_f32 v30, v33, v31, -v34
	s_delay_alu instid0(VALU_DEP_1) | instskip(NEXT) | instid1(VALU_DEP_1)
	v_fmac_f32_e32 v30, v33, v29
	v_add_f32_e32 v35, v34, v30
	s_delay_alu instid0(VALU_DEP_1) | instskip(SKIP_1) | instid1(VALU_DEP_2)
	v_sub_f32_e32 v36, v32, v35
	v_sub_f32_e32 v28, v35, v34
	;; [unrolled: 1-line block ×3, first 2 shown]
	s_delay_alu instid0(VALU_DEP_2) | instskip(NEXT) | instid1(VALU_DEP_2)
	v_sub_f32_e32 v28, v28, v30
	v_sub_f32_e32 v32, v32, v35
	s_delay_alu instid0(VALU_DEP_1) | instskip(NEXT) | instid1(VALU_DEP_1)
	v_add_f32_e32 v25, v25, v32
	v_add_f32_e32 v25, v28, v25
	s_delay_alu instid0(VALU_DEP_1) | instskip(NEXT) | instid1(VALU_DEP_1)
	v_add_f32_e32 v28, v36, v25
	v_mul_f32_e32 v30, v27, v28
	s_delay_alu instid0(VALU_DEP_1) | instskip(NEXT) | instid1(VALU_DEP_1)
	v_dual_sub_f32 v35, v36, v28 :: v_dual_mul_f32 v32, v31, v30
	v_add_f32_e32 v25, v25, v35
	s_delay_alu instid0(VALU_DEP_2) | instskip(NEXT) | instid1(VALU_DEP_1)
	v_fma_f32 v31, v30, v31, -v32
	v_fmac_f32_e32 v31, v30, v29
	s_delay_alu instid0(VALU_DEP_1) | instskip(NEXT) | instid1(VALU_DEP_1)
	v_add_f32_e32 v29, v32, v31
	v_sub_f32_e32 v34, v28, v29
	v_sub_f32_e32 v32, v29, v32
	s_delay_alu instid0(VALU_DEP_2) | instskip(NEXT) | instid1(VALU_DEP_1)
	v_sub_f32_e32 v28, v28, v34
	v_sub_f32_e32 v28, v28, v29
	s_delay_alu instid0(VALU_DEP_3) | instskip(NEXT) | instid1(VALU_DEP_2)
	v_sub_f32_e32 v29, v32, v31
	v_add_f32_e32 v25, v25, v28
	v_add_f32_e32 v28, v33, v30
	s_delay_alu instid0(VALU_DEP_2) | instskip(NEXT) | instid1(VALU_DEP_2)
	v_add_f32_e32 v25, v29, v25
	v_sub_f32_e32 v29, v28, v33
	s_delay_alu instid0(VALU_DEP_2) | instskip(NEXT) | instid1(VALU_DEP_2)
	v_add_f32_e32 v25, v34, v25
	v_sub_f32_e32 v29, v30, v29
	s_delay_alu instid0(VALU_DEP_2) | instskip(NEXT) | instid1(VALU_DEP_1)
	v_mul_f32_e32 v25, v27, v25
	v_add_f32_e32 v25, v29, v25
	s_delay_alu instid0(VALU_DEP_1) | instskip(NEXT) | instid1(VALU_DEP_1)
	v_add_f32_e32 v27, v28, v25
	v_mul_f32_e32 v29, v27, v27
	s_delay_alu instid0(VALU_DEP_1) | instskip(SKIP_2) | instid1(VALU_DEP_3)
	v_fmaak_f32 v30, s6, v29, 0x3ecc95a3
	v_mul_f32_e32 v31, v27, v29
	v_cmp_eq_f32_e64 s6, 0x7f800000, v26
	v_fmaak_f32 v29, v29, v30, 0x3f2aaada
	v_ldexp_f32 v30, v27, 1
	v_sub_f32_e32 v27, v27, v28
	s_delay_alu instid0(VALU_DEP_4) | instskip(NEXT) | instid1(VALU_DEP_3)
	s_or_b32 s6, s6, s12
	v_mul_f32_e32 v29, v31, v29
	v_mul_f32_e32 v31, 0x3f317218, v24
	s_delay_alu instid0(VALU_DEP_2) | instskip(NEXT) | instid1(VALU_DEP_1)
	v_dual_sub_f32 v25, v25, v27 :: v_dual_add_f32 v28, v30, v29
	v_ldexp_f32 v25, v25, 1
	s_delay_alu instid0(VALU_DEP_2) | instskip(NEXT) | instid1(VALU_DEP_4)
	v_sub_f32_e32 v27, v28, v30
	v_fma_f32 v30, 0x3f317218, v24, -v31
	s_delay_alu instid0(VALU_DEP_1) | instskip(NEXT) | instid1(VALU_DEP_1)
	v_dual_sub_f32 v27, v29, v27 :: v_dual_fmamk_f32 v24, v24, 0xb102e308, v30
	v_add_f32_e32 v25, v25, v27
	s_delay_alu instid0(VALU_DEP_2) | instskip(NEXT) | instid1(VALU_DEP_2)
	v_add_f32_e32 v27, v31, v24
	v_add_f32_e32 v29, v28, v25
	s_delay_alu instid0(VALU_DEP_2) | instskip(NEXT) | instid1(VALU_DEP_2)
	v_sub_f32_e32 v31, v27, v31
	v_add_f32_e32 v30, v27, v29
	v_sub_f32_e32 v28, v29, v28
	s_delay_alu instid0(VALU_DEP_3) | instskip(NEXT) | instid1(VALU_DEP_2)
	v_sub_f32_e32 v24, v24, v31
	v_dual_sub_f32 v32, v30, v27 :: v_dual_sub_f32 v25, v25, v28
	s_delay_alu instid0(VALU_DEP_1) | instskip(NEXT) | instid1(VALU_DEP_2)
	v_sub_f32_e32 v33, v30, v32
	v_dual_sub_f32 v28, v29, v32 :: v_dual_add_f32 v29, v24, v25
	s_delay_alu instid0(VALU_DEP_2) | instskip(NEXT) | instid1(VALU_DEP_1)
	v_sub_f32_e32 v27, v27, v33
	v_dual_add_f32 v27, v28, v27 :: v_dual_sub_f32 v28, v29, v24
	s_delay_alu instid0(VALU_DEP_1) | instskip(NEXT) | instid1(VALU_DEP_2)
	v_add_f32_e32 v27, v29, v27
	v_sub_f32_e32 v29, v29, v28
	v_sub_f32_e32 v25, v25, v28
	s_delay_alu instid0(VALU_DEP_2) | instskip(NEXT) | instid1(VALU_DEP_1)
	v_dual_add_f32 v31, v30, v27 :: v_dual_sub_f32 v24, v24, v29
	v_sub_f32_e32 v28, v31, v30
	s_delay_alu instid0(VALU_DEP_2) | instskip(NEXT) | instid1(VALU_DEP_2)
	v_add_f32_e32 v24, v25, v24
	v_sub_f32_e32 v25, v27, v28
	s_delay_alu instid0(VALU_DEP_1) | instskip(NEXT) | instid1(VALU_DEP_1)
	v_add_f32_e32 v24, v24, v25
	v_add_f32_e32 v24, v31, v24
	s_delay_alu instid0(VALU_DEP_1) | instskip(NEXT) | instid1(VALU_DEP_1)
	v_cndmask_b32_e64 v24, v24, v26, s6
	v_add_f32_e32 v24, v23, v24
.LBB145_187:
	s_or_b32 exec_lo, exec_lo, s9
	s_delay_alu instid0(VALU_DEP_1)
	v_mov_b32_e32 v23, v24
.LBB145_188:
	s_or_b32 exec_lo, exec_lo, s8
	s_delay_alu instid0(VALU_DEP_1)
	v_mov_b32_dpp v24, v23 row_shr:8 row_mask:0xf bank_mask:0xf
	s_mov_b32 s8, exec_lo
	v_cmpx_lt_u32_e32 7, v22
	s_cbranch_execz .LBB145_192
; %bb.189:
	s_delay_alu instid0(VALU_DEP_2) | instskip(SKIP_1) | instid1(VALU_DEP_2)
	v_dual_max_f32 v22, v23, v23 :: v_dual_max_f32 v25, v24, v24
	v_cmp_u_f32_e64 s6, v24, v24
	v_min_f32_e32 v26, v25, v22
	v_max_f32_e32 v22, v25, v22
	s_delay_alu instid0(VALU_DEP_2) | instskip(NEXT) | instid1(VALU_DEP_2)
	v_cndmask_b32_e64 v25, v26, v24, s6
	v_cndmask_b32_e64 v22, v22, v24, s6
	v_cmp_u_f32_e64 s6, v23, v23
	s_delay_alu instid0(VALU_DEP_1) | instskip(NEXT) | instid1(VALU_DEP_3)
	v_cndmask_b32_e64 v25, v25, v23, s6
	v_cndmask_b32_e64 v22, v22, v23, s6
	s_delay_alu instid0(VALU_DEP_2) | instskip(NEXT) | instid1(VALU_DEP_2)
	v_cmp_class_f32_e64 s9, v25, 0x1f8
	v_cmp_neq_f32_e64 s6, v25, v22
	s_delay_alu instid0(VALU_DEP_1) | instskip(NEXT) | instid1(SALU_CYCLE_1)
	s_or_b32 s6, s6, s9
	s_and_saveexec_b32 s9, s6
	s_cbranch_execz .LBB145_191
; %bb.190:
	v_sub_f32_e32 v23, v25, v22
	s_delay_alu instid0(VALU_DEP_1) | instskip(NEXT) | instid1(VALU_DEP_1)
	v_mul_f32_e32 v24, 0x3fb8aa3b, v23
	v_fma_f32 v25, 0x3fb8aa3b, v23, -v24
	v_rndne_f32_e32 v26, v24
	s_delay_alu instid0(VALU_DEP_1) | instskip(NEXT) | instid1(VALU_DEP_1)
	v_dual_fmamk_f32 v25, v23, 0x32a5705f, v25 :: v_dual_sub_f32 v24, v24, v26
	v_add_f32_e32 v24, v24, v25
	v_cvt_i32_f32_e32 v25, v26
	v_cmp_ngt_f32_e64 s6, 0xc2ce8ed0, v23
	s_delay_alu instid0(VALU_DEP_3) | instskip(SKIP_2) | instid1(VALU_DEP_1)
	v_exp_f32_e32 v24, v24
	s_waitcnt_depctr 0xfff
	v_ldexp_f32 v24, v24, v25
	v_cndmask_b32_e64 v24, 0, v24, s6
	v_cmp_nlt_f32_e64 s6, 0x42b17218, v23
	s_delay_alu instid0(VALU_DEP_1) | instskip(NEXT) | instid1(VALU_DEP_1)
	v_cndmask_b32_e64 v25, 0x7f800000, v24, s6
	v_add_f32_e32 v26, 1.0, v25
	v_cmp_gt_f32_e64 s12, 0x33800000, |v25|
	s_delay_alu instid0(VALU_DEP_2) | instskip(NEXT) | instid1(VALU_DEP_1)
	v_cvt_f64_f32_e32 v[23:24], v26
	v_frexp_exp_i32_f64_e32 v23, v[23:24]
	v_frexp_mant_f32_e32 v24, v26
	s_delay_alu instid0(VALU_DEP_1) | instskip(SKIP_1) | instid1(VALU_DEP_1)
	v_cmp_gt_f32_e64 s6, 0x3f2aaaab, v24
	v_add_f32_e32 v24, -1.0, v26
	v_sub_f32_e32 v28, v24, v26
	s_delay_alu instid0(VALU_DEP_3) | instskip(SKIP_1) | instid1(VALU_DEP_1)
	v_subrev_co_ci_u32_e64 v23, s6, 0, v23, s6
	s_mov_b32 s6, 0x3e9b6dac
	v_sub_nc_u32_e32 v27, 0, v23
	v_cvt_f32_i32_e32 v23, v23
	s_delay_alu instid0(VALU_DEP_2) | instskip(NEXT) | instid1(VALU_DEP_1)
	v_ldexp_f32 v26, v26, v27
	v_dual_sub_f32 v24, v25, v24 :: v_dual_add_f32 v29, 1.0, v26
	v_add_f32_e32 v28, 1.0, v28
	s_delay_alu instid0(VALU_DEP_1) | instskip(NEXT) | instid1(VALU_DEP_3)
	v_add_f32_e32 v24, v24, v28
	v_add_f32_e32 v28, -1.0, v29
	s_delay_alu instid0(VALU_DEP_2) | instskip(NEXT) | instid1(VALU_DEP_2)
	v_ldexp_f32 v24, v24, v27
	v_dual_add_f32 v27, -1.0, v26 :: v_dual_sub_f32 v28, v26, v28
	s_delay_alu instid0(VALU_DEP_1) | instskip(NEXT) | instid1(VALU_DEP_2)
	v_add_f32_e32 v30, 1.0, v27
	v_add_f32_e32 v28, v24, v28
	s_delay_alu instid0(VALU_DEP_2) | instskip(NEXT) | instid1(VALU_DEP_2)
	v_sub_f32_e32 v26, v26, v30
	v_add_f32_e32 v30, v29, v28
	s_delay_alu instid0(VALU_DEP_2) | instskip(NEXT) | instid1(VALU_DEP_2)
	v_add_f32_e32 v24, v24, v26
	v_rcp_f32_e32 v26, v30
	v_sub_f32_e32 v29, v29, v30
	s_delay_alu instid0(VALU_DEP_1) | instskip(NEXT) | instid1(VALU_DEP_1)
	v_dual_add_f32 v31, v27, v24 :: v_dual_add_f32 v28, v28, v29
	v_sub_f32_e32 v27, v27, v31
	s_waitcnt_depctr 0xfff
	v_mul_f32_e32 v32, v31, v26
	s_delay_alu instid0(VALU_DEP_1) | instskip(NEXT) | instid1(VALU_DEP_1)
	v_dual_add_f32 v24, v24, v27 :: v_dual_mul_f32 v33, v30, v32
	v_fma_f32 v29, v32, v30, -v33
	s_delay_alu instid0(VALU_DEP_1) | instskip(NEXT) | instid1(VALU_DEP_1)
	v_fmac_f32_e32 v29, v32, v28
	v_add_f32_e32 v34, v33, v29
	s_delay_alu instid0(VALU_DEP_1) | instskip(SKIP_1) | instid1(VALU_DEP_2)
	v_sub_f32_e32 v35, v31, v34
	v_sub_f32_e32 v27, v34, v33
	;; [unrolled: 1-line block ×3, first 2 shown]
	s_delay_alu instid0(VALU_DEP_2) | instskip(NEXT) | instid1(VALU_DEP_2)
	v_sub_f32_e32 v27, v27, v29
	v_sub_f32_e32 v31, v31, v34
	s_delay_alu instid0(VALU_DEP_1) | instskip(NEXT) | instid1(VALU_DEP_1)
	v_add_f32_e32 v24, v24, v31
	v_add_f32_e32 v24, v27, v24
	s_delay_alu instid0(VALU_DEP_1) | instskip(NEXT) | instid1(VALU_DEP_1)
	v_add_f32_e32 v27, v35, v24
	v_mul_f32_e32 v29, v26, v27
	s_delay_alu instid0(VALU_DEP_1) | instskip(NEXT) | instid1(VALU_DEP_1)
	v_dual_sub_f32 v34, v35, v27 :: v_dual_mul_f32 v31, v30, v29
	v_add_f32_e32 v24, v24, v34
	s_delay_alu instid0(VALU_DEP_2) | instskip(NEXT) | instid1(VALU_DEP_1)
	v_fma_f32 v30, v29, v30, -v31
	v_fmac_f32_e32 v30, v29, v28
	s_delay_alu instid0(VALU_DEP_1) | instskip(NEXT) | instid1(VALU_DEP_1)
	v_add_f32_e32 v28, v31, v30
	v_sub_f32_e32 v33, v27, v28
	v_sub_f32_e32 v31, v28, v31
	s_delay_alu instid0(VALU_DEP_2) | instskip(NEXT) | instid1(VALU_DEP_1)
	v_sub_f32_e32 v27, v27, v33
	v_sub_f32_e32 v27, v27, v28
	s_delay_alu instid0(VALU_DEP_3) | instskip(NEXT) | instid1(VALU_DEP_2)
	v_sub_f32_e32 v28, v31, v30
	v_add_f32_e32 v24, v24, v27
	v_add_f32_e32 v27, v32, v29
	s_delay_alu instid0(VALU_DEP_2) | instskip(NEXT) | instid1(VALU_DEP_2)
	v_add_f32_e32 v24, v28, v24
	v_sub_f32_e32 v28, v27, v32
	s_delay_alu instid0(VALU_DEP_2) | instskip(NEXT) | instid1(VALU_DEP_2)
	v_add_f32_e32 v24, v33, v24
	v_sub_f32_e32 v28, v29, v28
	s_delay_alu instid0(VALU_DEP_2) | instskip(NEXT) | instid1(VALU_DEP_1)
	v_mul_f32_e32 v24, v26, v24
	v_add_f32_e32 v24, v28, v24
	s_delay_alu instid0(VALU_DEP_1) | instskip(NEXT) | instid1(VALU_DEP_1)
	v_add_f32_e32 v26, v27, v24
	v_mul_f32_e32 v28, v26, v26
	s_delay_alu instid0(VALU_DEP_1) | instskip(SKIP_2) | instid1(VALU_DEP_3)
	v_fmaak_f32 v29, s6, v28, 0x3ecc95a3
	v_mul_f32_e32 v30, v26, v28
	v_cmp_eq_f32_e64 s6, 0x7f800000, v25
	v_fmaak_f32 v28, v28, v29, 0x3f2aaada
	v_ldexp_f32 v29, v26, 1
	v_sub_f32_e32 v26, v26, v27
	s_delay_alu instid0(VALU_DEP_4) | instskip(NEXT) | instid1(VALU_DEP_3)
	s_or_b32 s6, s6, s12
	v_mul_f32_e32 v28, v30, v28
	v_mul_f32_e32 v30, 0x3f317218, v23
	s_delay_alu instid0(VALU_DEP_2) | instskip(NEXT) | instid1(VALU_DEP_1)
	v_dual_sub_f32 v24, v24, v26 :: v_dual_add_f32 v27, v29, v28
	v_ldexp_f32 v24, v24, 1
	s_delay_alu instid0(VALU_DEP_2) | instskip(NEXT) | instid1(VALU_DEP_4)
	v_sub_f32_e32 v26, v27, v29
	v_fma_f32 v29, 0x3f317218, v23, -v30
	s_delay_alu instid0(VALU_DEP_1) | instskip(NEXT) | instid1(VALU_DEP_1)
	v_dual_sub_f32 v26, v28, v26 :: v_dual_fmamk_f32 v23, v23, 0xb102e308, v29
	v_add_f32_e32 v24, v24, v26
	s_delay_alu instid0(VALU_DEP_2) | instskip(NEXT) | instid1(VALU_DEP_2)
	v_add_f32_e32 v26, v30, v23
	v_add_f32_e32 v28, v27, v24
	s_delay_alu instid0(VALU_DEP_2) | instskip(NEXT) | instid1(VALU_DEP_2)
	v_sub_f32_e32 v30, v26, v30
	v_add_f32_e32 v29, v26, v28
	v_sub_f32_e32 v27, v28, v27
	s_delay_alu instid0(VALU_DEP_3) | instskip(NEXT) | instid1(VALU_DEP_2)
	v_sub_f32_e32 v23, v23, v30
	v_dual_sub_f32 v31, v29, v26 :: v_dual_sub_f32 v24, v24, v27
	s_delay_alu instid0(VALU_DEP_1) | instskip(NEXT) | instid1(VALU_DEP_2)
	v_sub_f32_e32 v32, v29, v31
	v_dual_sub_f32 v27, v28, v31 :: v_dual_add_f32 v28, v23, v24
	s_delay_alu instid0(VALU_DEP_2) | instskip(NEXT) | instid1(VALU_DEP_1)
	v_sub_f32_e32 v26, v26, v32
	v_dual_add_f32 v26, v27, v26 :: v_dual_sub_f32 v27, v28, v23
	s_delay_alu instid0(VALU_DEP_1) | instskip(NEXT) | instid1(VALU_DEP_2)
	v_add_f32_e32 v26, v28, v26
	v_sub_f32_e32 v28, v28, v27
	v_sub_f32_e32 v24, v24, v27
	s_delay_alu instid0(VALU_DEP_2) | instskip(NEXT) | instid1(VALU_DEP_1)
	v_dual_add_f32 v30, v29, v26 :: v_dual_sub_f32 v23, v23, v28
	v_sub_f32_e32 v27, v30, v29
	s_delay_alu instid0(VALU_DEP_2) | instskip(NEXT) | instid1(VALU_DEP_2)
	v_add_f32_e32 v23, v24, v23
	v_sub_f32_e32 v24, v26, v27
	s_delay_alu instid0(VALU_DEP_1) | instskip(NEXT) | instid1(VALU_DEP_1)
	v_add_f32_e32 v23, v23, v24
	v_add_f32_e32 v23, v30, v23
	s_delay_alu instid0(VALU_DEP_1) | instskip(NEXT) | instid1(VALU_DEP_1)
	v_cndmask_b32_e64 v23, v23, v25, s6
	v_add_f32_e32 v24, v22, v23
.LBB145_191:
	s_or_b32 exec_lo, exec_lo, s9
	s_delay_alu instid0(VALU_DEP_1)
	v_mov_b32_e32 v23, v24
.LBB145_192:
	s_or_b32 exec_lo, exec_lo, s8
	ds_swizzle_b32 v24, v23 offset:swizzle(BROADCAST,32,15)
	v_and_b32_e32 v22, 16, v6
	s_mov_b32 s8, exec_lo
	s_delay_alu instid0(VALU_DEP_1)
	v_cmpx_ne_u32_e32 0, v22
	s_cbranch_execz .LBB145_196
; %bb.193:
	s_waitcnt lgkmcnt(0)
	v_dual_max_f32 v22, v23, v23 :: v_dual_max_f32 v25, v24, v24
	v_cmp_u_f32_e64 s6, v24, v24
	s_delay_alu instid0(VALU_DEP_2) | instskip(SKIP_1) | instid1(VALU_DEP_2)
	v_min_f32_e32 v26, v25, v22
	v_max_f32_e32 v22, v25, v22
	v_cndmask_b32_e64 v25, v26, v24, s6
	s_delay_alu instid0(VALU_DEP_2) | instskip(SKIP_1) | instid1(VALU_DEP_1)
	v_cndmask_b32_e64 v22, v22, v24, s6
	v_cmp_u_f32_e64 s6, v23, v23
	v_cndmask_b32_e64 v25, v25, v23, s6
	s_delay_alu instid0(VALU_DEP_3) | instskip(NEXT) | instid1(VALU_DEP_2)
	v_cndmask_b32_e64 v22, v22, v23, s6
	v_cmp_class_f32_e64 s9, v25, 0x1f8
	s_delay_alu instid0(VALU_DEP_2) | instskip(NEXT) | instid1(VALU_DEP_1)
	v_cmp_neq_f32_e64 s6, v25, v22
	s_or_b32 s6, s6, s9
	s_delay_alu instid0(SALU_CYCLE_1)
	s_and_saveexec_b32 s9, s6
	s_cbranch_execz .LBB145_195
; %bb.194:
	v_sub_f32_e32 v23, v25, v22
	s_delay_alu instid0(VALU_DEP_1) | instskip(NEXT) | instid1(VALU_DEP_1)
	v_mul_f32_e32 v24, 0x3fb8aa3b, v23
	v_fma_f32 v25, 0x3fb8aa3b, v23, -v24
	v_rndne_f32_e32 v26, v24
	s_delay_alu instid0(VALU_DEP_1) | instskip(NEXT) | instid1(VALU_DEP_1)
	v_dual_fmamk_f32 v25, v23, 0x32a5705f, v25 :: v_dual_sub_f32 v24, v24, v26
	v_add_f32_e32 v24, v24, v25
	v_cvt_i32_f32_e32 v25, v26
	v_cmp_ngt_f32_e64 s6, 0xc2ce8ed0, v23
	s_delay_alu instid0(VALU_DEP_3) | instskip(SKIP_2) | instid1(VALU_DEP_1)
	v_exp_f32_e32 v24, v24
	s_waitcnt_depctr 0xfff
	v_ldexp_f32 v24, v24, v25
	v_cndmask_b32_e64 v24, 0, v24, s6
	v_cmp_nlt_f32_e64 s6, 0x42b17218, v23
	s_delay_alu instid0(VALU_DEP_1) | instskip(NEXT) | instid1(VALU_DEP_1)
	v_cndmask_b32_e64 v25, 0x7f800000, v24, s6
	v_add_f32_e32 v26, 1.0, v25
	v_cmp_gt_f32_e64 s12, 0x33800000, |v25|
	s_delay_alu instid0(VALU_DEP_2) | instskip(NEXT) | instid1(VALU_DEP_1)
	v_cvt_f64_f32_e32 v[23:24], v26
	v_frexp_exp_i32_f64_e32 v23, v[23:24]
	v_frexp_mant_f32_e32 v24, v26
	s_delay_alu instid0(VALU_DEP_1) | instskip(SKIP_1) | instid1(VALU_DEP_1)
	v_cmp_gt_f32_e64 s6, 0x3f2aaaab, v24
	v_add_f32_e32 v24, -1.0, v26
	v_sub_f32_e32 v28, v24, v26
	s_delay_alu instid0(VALU_DEP_3) | instskip(SKIP_1) | instid1(VALU_DEP_1)
	v_subrev_co_ci_u32_e64 v23, s6, 0, v23, s6
	s_mov_b32 s6, 0x3e9b6dac
	v_sub_nc_u32_e32 v27, 0, v23
	v_cvt_f32_i32_e32 v23, v23
	s_delay_alu instid0(VALU_DEP_2) | instskip(NEXT) | instid1(VALU_DEP_1)
	v_ldexp_f32 v26, v26, v27
	v_dual_sub_f32 v24, v25, v24 :: v_dual_add_f32 v29, 1.0, v26
	v_add_f32_e32 v28, 1.0, v28
	s_delay_alu instid0(VALU_DEP_1) | instskip(NEXT) | instid1(VALU_DEP_3)
	v_add_f32_e32 v24, v24, v28
	v_add_f32_e32 v28, -1.0, v29
	s_delay_alu instid0(VALU_DEP_2) | instskip(NEXT) | instid1(VALU_DEP_2)
	v_ldexp_f32 v24, v24, v27
	v_dual_add_f32 v27, -1.0, v26 :: v_dual_sub_f32 v28, v26, v28
	s_delay_alu instid0(VALU_DEP_1) | instskip(NEXT) | instid1(VALU_DEP_2)
	v_add_f32_e32 v30, 1.0, v27
	v_add_f32_e32 v28, v24, v28
	s_delay_alu instid0(VALU_DEP_2) | instskip(NEXT) | instid1(VALU_DEP_2)
	v_sub_f32_e32 v26, v26, v30
	v_add_f32_e32 v30, v29, v28
	s_delay_alu instid0(VALU_DEP_2) | instskip(NEXT) | instid1(VALU_DEP_2)
	v_add_f32_e32 v24, v24, v26
	v_rcp_f32_e32 v26, v30
	v_sub_f32_e32 v29, v29, v30
	s_delay_alu instid0(VALU_DEP_1) | instskip(NEXT) | instid1(VALU_DEP_1)
	v_dual_add_f32 v31, v27, v24 :: v_dual_add_f32 v28, v28, v29
	v_sub_f32_e32 v27, v27, v31
	s_waitcnt_depctr 0xfff
	v_mul_f32_e32 v32, v31, v26
	s_delay_alu instid0(VALU_DEP_1) | instskip(NEXT) | instid1(VALU_DEP_1)
	v_dual_add_f32 v24, v24, v27 :: v_dual_mul_f32 v33, v30, v32
	v_fma_f32 v29, v32, v30, -v33
	s_delay_alu instid0(VALU_DEP_1) | instskip(NEXT) | instid1(VALU_DEP_1)
	v_fmac_f32_e32 v29, v32, v28
	v_add_f32_e32 v34, v33, v29
	s_delay_alu instid0(VALU_DEP_1) | instskip(SKIP_1) | instid1(VALU_DEP_2)
	v_sub_f32_e32 v35, v31, v34
	v_sub_f32_e32 v27, v34, v33
	;; [unrolled: 1-line block ×3, first 2 shown]
	s_delay_alu instid0(VALU_DEP_2) | instskip(NEXT) | instid1(VALU_DEP_2)
	v_sub_f32_e32 v27, v27, v29
	v_sub_f32_e32 v31, v31, v34
	s_delay_alu instid0(VALU_DEP_1) | instskip(NEXT) | instid1(VALU_DEP_1)
	v_add_f32_e32 v24, v24, v31
	v_add_f32_e32 v24, v27, v24
	s_delay_alu instid0(VALU_DEP_1) | instskip(NEXT) | instid1(VALU_DEP_1)
	v_add_f32_e32 v27, v35, v24
	v_mul_f32_e32 v29, v26, v27
	s_delay_alu instid0(VALU_DEP_1) | instskip(NEXT) | instid1(VALU_DEP_1)
	v_dual_sub_f32 v34, v35, v27 :: v_dual_mul_f32 v31, v30, v29
	v_add_f32_e32 v24, v24, v34
	s_delay_alu instid0(VALU_DEP_2) | instskip(NEXT) | instid1(VALU_DEP_1)
	v_fma_f32 v30, v29, v30, -v31
	v_fmac_f32_e32 v30, v29, v28
	s_delay_alu instid0(VALU_DEP_1) | instskip(NEXT) | instid1(VALU_DEP_1)
	v_add_f32_e32 v28, v31, v30
	v_sub_f32_e32 v33, v27, v28
	v_sub_f32_e32 v31, v28, v31
	s_delay_alu instid0(VALU_DEP_2) | instskip(NEXT) | instid1(VALU_DEP_1)
	v_sub_f32_e32 v27, v27, v33
	v_sub_f32_e32 v27, v27, v28
	s_delay_alu instid0(VALU_DEP_3) | instskip(NEXT) | instid1(VALU_DEP_2)
	v_sub_f32_e32 v28, v31, v30
	v_add_f32_e32 v24, v24, v27
	v_add_f32_e32 v27, v32, v29
	s_delay_alu instid0(VALU_DEP_2) | instskip(NEXT) | instid1(VALU_DEP_2)
	v_add_f32_e32 v24, v28, v24
	v_sub_f32_e32 v28, v27, v32
	s_delay_alu instid0(VALU_DEP_2) | instskip(NEXT) | instid1(VALU_DEP_2)
	v_add_f32_e32 v24, v33, v24
	v_sub_f32_e32 v28, v29, v28
	s_delay_alu instid0(VALU_DEP_2) | instskip(NEXT) | instid1(VALU_DEP_1)
	v_mul_f32_e32 v24, v26, v24
	v_add_f32_e32 v24, v28, v24
	s_delay_alu instid0(VALU_DEP_1) | instskip(NEXT) | instid1(VALU_DEP_1)
	v_add_f32_e32 v26, v27, v24
	v_mul_f32_e32 v28, v26, v26
	s_delay_alu instid0(VALU_DEP_1) | instskip(SKIP_2) | instid1(VALU_DEP_3)
	v_fmaak_f32 v29, s6, v28, 0x3ecc95a3
	v_mul_f32_e32 v30, v26, v28
	v_cmp_eq_f32_e64 s6, 0x7f800000, v25
	v_fmaak_f32 v28, v28, v29, 0x3f2aaada
	v_ldexp_f32 v29, v26, 1
	v_sub_f32_e32 v26, v26, v27
	s_delay_alu instid0(VALU_DEP_4) | instskip(NEXT) | instid1(VALU_DEP_3)
	s_or_b32 s6, s6, s12
	v_mul_f32_e32 v28, v30, v28
	v_mul_f32_e32 v30, 0x3f317218, v23
	s_delay_alu instid0(VALU_DEP_2) | instskip(NEXT) | instid1(VALU_DEP_1)
	v_dual_sub_f32 v24, v24, v26 :: v_dual_add_f32 v27, v29, v28
	v_ldexp_f32 v24, v24, 1
	s_delay_alu instid0(VALU_DEP_2) | instskip(NEXT) | instid1(VALU_DEP_4)
	v_sub_f32_e32 v26, v27, v29
	v_fma_f32 v29, 0x3f317218, v23, -v30
	s_delay_alu instid0(VALU_DEP_1) | instskip(NEXT) | instid1(VALU_DEP_1)
	v_dual_sub_f32 v26, v28, v26 :: v_dual_fmamk_f32 v23, v23, 0xb102e308, v29
	v_add_f32_e32 v24, v24, v26
	s_delay_alu instid0(VALU_DEP_2) | instskip(NEXT) | instid1(VALU_DEP_2)
	v_add_f32_e32 v26, v30, v23
	v_add_f32_e32 v28, v27, v24
	s_delay_alu instid0(VALU_DEP_2) | instskip(NEXT) | instid1(VALU_DEP_2)
	v_sub_f32_e32 v30, v26, v30
	v_add_f32_e32 v29, v26, v28
	v_sub_f32_e32 v27, v28, v27
	s_delay_alu instid0(VALU_DEP_3) | instskip(NEXT) | instid1(VALU_DEP_2)
	v_sub_f32_e32 v23, v23, v30
	v_dual_sub_f32 v31, v29, v26 :: v_dual_sub_f32 v24, v24, v27
	s_delay_alu instid0(VALU_DEP_1) | instskip(NEXT) | instid1(VALU_DEP_2)
	v_sub_f32_e32 v32, v29, v31
	v_dual_sub_f32 v27, v28, v31 :: v_dual_add_f32 v28, v23, v24
	s_delay_alu instid0(VALU_DEP_2) | instskip(NEXT) | instid1(VALU_DEP_1)
	v_sub_f32_e32 v26, v26, v32
	v_dual_add_f32 v26, v27, v26 :: v_dual_sub_f32 v27, v28, v23
	s_delay_alu instid0(VALU_DEP_1) | instskip(NEXT) | instid1(VALU_DEP_2)
	v_add_f32_e32 v26, v28, v26
	v_sub_f32_e32 v28, v28, v27
	v_sub_f32_e32 v24, v24, v27
	s_delay_alu instid0(VALU_DEP_2) | instskip(NEXT) | instid1(VALU_DEP_1)
	v_dual_add_f32 v30, v29, v26 :: v_dual_sub_f32 v23, v23, v28
	v_sub_f32_e32 v27, v30, v29
	s_delay_alu instid0(VALU_DEP_2) | instskip(NEXT) | instid1(VALU_DEP_2)
	v_add_f32_e32 v23, v24, v23
	v_sub_f32_e32 v24, v26, v27
	s_delay_alu instid0(VALU_DEP_1) | instskip(NEXT) | instid1(VALU_DEP_1)
	v_add_f32_e32 v23, v23, v24
	v_add_f32_e32 v23, v30, v23
	s_delay_alu instid0(VALU_DEP_1) | instskip(NEXT) | instid1(VALU_DEP_1)
	v_cndmask_b32_e64 v23, v23, v25, s6
	v_add_f32_e32 v24, v22, v23
.LBB145_195:
	s_or_b32 exec_lo, exec_lo, s9
	s_delay_alu instid0(VALU_DEP_1)
	v_mov_b32_e32 v23, v24
.LBB145_196:
	s_or_b32 exec_lo, exec_lo, s8
	v_add_nc_u32_e32 v22, -1, v6
	s_delay_alu instid0(VALU_DEP_1) | instskip(NEXT) | instid1(VALU_DEP_1)
	v_cmp_gt_i32_e64 s6, 0, v22
	v_cndmask_b32_e64 v6, v22, v6, s6
	s_delay_alu instid0(VALU_DEP_1) | instskip(SKIP_4) | instid1(VALU_DEP_2)
	v_lshlrev_b32_e32 v6, 2, v6
	ds_bpermute_b32 v6, v6, v23
	s_waitcnt lgkmcnt(0)
	v_max_f32_e32 v22, v6, v6
	v_cmp_u_f32_e64 s6, v6, v6
	v_min_f32_e32 v23, v22, v21
	v_max_f32_e32 v21, v22, v21
	s_delay_alu instid0(VALU_DEP_2) | instskip(NEXT) | instid1(VALU_DEP_2)
	v_cndmask_b32_e64 v22, v23, v6, s6
	v_cndmask_b32_e64 v23, v21, v6, s6
	s_delay_alu instid0(VALU_DEP_2) | instskip(NEXT) | instid1(VALU_DEP_2)
	v_cndmask_b32_e64 v21, v22, v5, s5
	v_cndmask_b32_e64 v5, v23, v5, s5
	s_delay_alu instid0(VALU_DEP_2) | instskip(NEXT) | instid1(VALU_DEP_2)
	v_cmp_class_f32_e64 s6, v21, 0x1f8
	v_cmp_neq_f32_e64 s5, v21, v5
	s_delay_alu instid0(VALU_DEP_1) | instskip(NEXT) | instid1(SALU_CYCLE_1)
	s_or_b32 s5, s5, s6
	s_and_saveexec_b32 s6, s5
	s_cbranch_execz .LBB145_198
; %bb.197:
	v_sub_f32_e32 v6, v21, v5
	s_delay_alu instid0(VALU_DEP_1) | instskip(SKIP_1) | instid1(VALU_DEP_2)
	v_mul_f32_e32 v21, 0x3fb8aa3b, v6
	v_cmp_ngt_f32_e64 s5, 0xc2ce8ed0, v6
	v_fma_f32 v22, 0x3fb8aa3b, v6, -v21
	v_rndne_f32_e32 v23, v21
	s_delay_alu instid0(VALU_DEP_1) | instskip(NEXT) | instid1(VALU_DEP_1)
	v_dual_fmamk_f32 v22, v6, 0x32a5705f, v22 :: v_dual_sub_f32 v21, v21, v23
	v_add_f32_e32 v21, v21, v22
	v_cvt_i32_f32_e32 v22, v23
	s_delay_alu instid0(VALU_DEP_2) | instskip(SKIP_2) | instid1(VALU_DEP_1)
	v_exp_f32_e32 v21, v21
	s_waitcnt_depctr 0xfff
	v_ldexp_f32 v21, v21, v22
	v_cndmask_b32_e64 v21, 0, v21, s5
	v_cmp_nlt_f32_e64 s5, 0x42b17218, v6
	s_delay_alu instid0(VALU_DEP_1) | instskip(NEXT) | instid1(VALU_DEP_1)
	v_cndmask_b32_e64 v6, 0x7f800000, v21, s5
	v_add_f32_e32 v23, 1.0, v6
	v_cmp_gt_f32_e64 s8, 0x33800000, |v6|
	s_delay_alu instid0(VALU_DEP_2) | instskip(NEXT) | instid1(VALU_DEP_1)
	v_cvt_f64_f32_e32 v[21:22], v23
	v_frexp_exp_i32_f64_e32 v21, v[21:22]
	v_frexp_mant_f32_e32 v22, v23
	s_delay_alu instid0(VALU_DEP_1) | instskip(SKIP_1) | instid1(VALU_DEP_1)
	v_cmp_gt_f32_e64 s5, 0x3f2aaaab, v22
	v_add_f32_e32 v22, -1.0, v23
	v_sub_f32_e32 v25, v22, v23
	s_delay_alu instid0(VALU_DEP_1) | instskip(NEXT) | instid1(VALU_DEP_1)
	v_dual_sub_f32 v22, v6, v22 :: v_dual_add_f32 v25, 1.0, v25
	v_add_f32_e32 v22, v22, v25
	v_subrev_co_ci_u32_e64 v21, s5, 0, v21, s5
	s_mov_b32 s5, 0x3e9b6dac
	s_delay_alu instid0(VALU_DEP_1) | instskip(SKIP_1) | instid1(VALU_DEP_2)
	v_sub_nc_u32_e32 v24, 0, v21
	v_cvt_f32_i32_e32 v21, v21
	v_ldexp_f32 v23, v23, v24
	v_ldexp_f32 v22, v22, v24
	s_delay_alu instid0(VALU_DEP_2) | instskip(NEXT) | instid1(VALU_DEP_1)
	v_add_f32_e32 v26, 1.0, v23
	v_dual_add_f32 v24, -1.0, v23 :: v_dual_add_f32 v25, -1.0, v26
	s_delay_alu instid0(VALU_DEP_1) | instskip(NEXT) | instid1(VALU_DEP_2)
	v_add_f32_e32 v27, 1.0, v24
	v_sub_f32_e32 v25, v23, v25
	s_delay_alu instid0(VALU_DEP_2) | instskip(NEXT) | instid1(VALU_DEP_2)
	v_sub_f32_e32 v23, v23, v27
	v_add_f32_e32 v25, v22, v25
	s_delay_alu instid0(VALU_DEP_2) | instskip(NEXT) | instid1(VALU_DEP_1)
	v_add_f32_e32 v22, v22, v23
	v_dual_add_f32 v28, v24, v22 :: v_dual_add_f32 v27, v26, v25
	s_delay_alu instid0(VALU_DEP_1) | instskip(NEXT) | instid1(VALU_DEP_2)
	v_sub_f32_e32 v24, v24, v28
	v_rcp_f32_e32 v23, v27
	v_sub_f32_e32 v26, v26, v27
	s_delay_alu instid0(VALU_DEP_1) | instskip(SKIP_2) | instid1(VALU_DEP_1)
	v_dual_add_f32 v22, v22, v24 :: v_dual_add_f32 v25, v25, v26
	s_waitcnt_depctr 0xfff
	v_mul_f32_e32 v29, v28, v23
	v_mul_f32_e32 v30, v27, v29
	s_delay_alu instid0(VALU_DEP_1) | instskip(NEXT) | instid1(VALU_DEP_1)
	v_fma_f32 v26, v29, v27, -v30
	v_fmac_f32_e32 v26, v29, v25
	s_delay_alu instid0(VALU_DEP_1) | instskip(NEXT) | instid1(VALU_DEP_1)
	v_add_f32_e32 v31, v30, v26
	v_sub_f32_e32 v32, v28, v31
	s_delay_alu instid0(VALU_DEP_1) | instskip(SKIP_1) | instid1(VALU_DEP_2)
	v_sub_f32_e32 v28, v28, v32
	v_sub_f32_e32 v24, v31, v30
	;; [unrolled: 1-line block ×3, first 2 shown]
	s_delay_alu instid0(VALU_DEP_2) | instskip(NEXT) | instid1(VALU_DEP_2)
	v_sub_f32_e32 v24, v24, v26
	v_add_f32_e32 v22, v22, v28
	s_delay_alu instid0(VALU_DEP_1) | instskip(NEXT) | instid1(VALU_DEP_1)
	v_add_f32_e32 v22, v24, v22
	v_add_f32_e32 v24, v32, v22
	s_delay_alu instid0(VALU_DEP_1) | instskip(NEXT) | instid1(VALU_DEP_1)
	v_mul_f32_e32 v26, v23, v24
	v_dual_sub_f32 v31, v32, v24 :: v_dual_mul_f32 v28, v27, v26
	s_delay_alu instid0(VALU_DEP_1) | instskip(NEXT) | instid1(VALU_DEP_2)
	v_add_f32_e32 v22, v22, v31
	v_fma_f32 v27, v26, v27, -v28
	s_delay_alu instid0(VALU_DEP_1) | instskip(NEXT) | instid1(VALU_DEP_1)
	v_fmac_f32_e32 v27, v26, v25
	v_add_f32_e32 v25, v28, v27
	s_delay_alu instid0(VALU_DEP_1) | instskip(SKIP_1) | instid1(VALU_DEP_2)
	v_sub_f32_e32 v30, v24, v25
	v_sub_f32_e32 v28, v25, v28
	;; [unrolled: 1-line block ×3, first 2 shown]
	s_delay_alu instid0(VALU_DEP_1) | instskip(NEXT) | instid1(VALU_DEP_1)
	v_sub_f32_e32 v24, v24, v25
	v_dual_sub_f32 v25, v28, v27 :: v_dual_add_f32 v22, v22, v24
	v_add_f32_e32 v24, v29, v26
	s_delay_alu instid0(VALU_DEP_1) | instskip(NEXT) | instid1(VALU_DEP_1)
	v_dual_add_f32 v22, v25, v22 :: v_dual_sub_f32 v25, v24, v29
	v_add_f32_e32 v22, v30, v22
	s_delay_alu instid0(VALU_DEP_1) | instskip(NEXT) | instid1(VALU_DEP_1)
	v_dual_sub_f32 v25, v26, v25 :: v_dual_mul_f32 v22, v23, v22
	v_add_f32_e32 v22, v25, v22
	s_delay_alu instid0(VALU_DEP_1) | instskip(NEXT) | instid1(VALU_DEP_1)
	v_add_f32_e32 v23, v24, v22
	v_mul_f32_e32 v25, v23, v23
	s_delay_alu instid0(VALU_DEP_1) | instskip(SKIP_2) | instid1(VALU_DEP_3)
	v_fmaak_f32 v26, s5, v25, 0x3ecc95a3
	v_mul_f32_e32 v27, v23, v25
	v_cmp_eq_f32_e64 s5, 0x7f800000, v6
	v_fmaak_f32 v25, v25, v26, 0x3f2aaada
	v_ldexp_f32 v26, v23, 1
	v_sub_f32_e32 v23, v23, v24
	s_delay_alu instid0(VALU_DEP_4) | instskip(NEXT) | instid1(VALU_DEP_3)
	s_or_b32 s5, s5, s8
	v_mul_f32_e32 v25, v27, v25
	s_delay_alu instid0(VALU_DEP_2) | instskip(NEXT) | instid1(VALU_DEP_2)
	v_dual_mul_f32 v27, 0x3f317218, v21 :: v_dual_sub_f32 v22, v22, v23
	v_add_f32_e32 v24, v26, v25
	s_delay_alu instid0(VALU_DEP_2) | instskip(NEXT) | instid1(VALU_DEP_2)
	v_ldexp_f32 v22, v22, 1
	v_sub_f32_e32 v23, v24, v26
	s_delay_alu instid0(VALU_DEP_4) | instskip(NEXT) | instid1(VALU_DEP_2)
	v_fma_f32 v26, 0x3f317218, v21, -v27
	v_sub_f32_e32 v23, v25, v23
	s_delay_alu instid0(VALU_DEP_1) | instskip(NEXT) | instid1(VALU_DEP_1)
	v_dual_fmamk_f32 v21, v21, 0xb102e308, v26 :: v_dual_add_f32 v22, v22, v23
	v_add_f32_e32 v23, v27, v21
	s_delay_alu instid0(VALU_DEP_1) | instskip(NEXT) | instid1(VALU_DEP_1)
	v_sub_f32_e32 v27, v23, v27
	v_sub_f32_e32 v21, v21, v27
	s_delay_alu instid0(VALU_DEP_4) | instskip(NEXT) | instid1(VALU_DEP_1)
	v_add_f32_e32 v25, v24, v22
	v_sub_f32_e32 v24, v25, v24
	s_delay_alu instid0(VALU_DEP_1) | instskip(SKIP_1) | instid1(VALU_DEP_1)
	v_sub_f32_e32 v22, v22, v24
	v_add_f32_e32 v26, v23, v25
	v_sub_f32_e32 v28, v26, v23
	s_delay_alu instid0(VALU_DEP_1) | instskip(NEXT) | instid1(VALU_DEP_4)
	v_sub_f32_e32 v24, v25, v28
	v_add_f32_e32 v25, v21, v22
	v_sub_f32_e32 v29, v26, v28
	s_delay_alu instid0(VALU_DEP_1) | instskip(NEXT) | instid1(VALU_DEP_1)
	v_sub_f32_e32 v23, v23, v29
	v_dual_add_f32 v23, v24, v23 :: v_dual_sub_f32 v24, v25, v21
	s_delay_alu instid0(VALU_DEP_1) | instskip(SKIP_1) | instid1(VALU_DEP_2)
	v_dual_add_f32 v23, v25, v23 :: v_dual_sub_f32 v22, v22, v24
	v_sub_f32_e32 v25, v25, v24
	v_add_f32_e32 v27, v26, v23
	s_delay_alu instid0(VALU_DEP_1) | instskip(NEXT) | instid1(VALU_DEP_1)
	v_dual_sub_f32 v21, v21, v25 :: v_dual_sub_f32 v24, v27, v26
	v_dual_add_f32 v21, v22, v21 :: v_dual_sub_f32 v22, v23, v24
	s_delay_alu instid0(VALU_DEP_1) | instskip(NEXT) | instid1(VALU_DEP_1)
	v_add_f32_e32 v21, v21, v22
	v_add_f32_e32 v21, v27, v21
	s_delay_alu instid0(VALU_DEP_1) | instskip(NEXT) | instid1(VALU_DEP_1)
	v_cndmask_b32_e64 v6, v21, v6, s5
	v_add_f32_e32 v6, v5, v6
.LBB145_198:
	s_or_b32 exec_lo, exec_lo, s6
	s_delay_alu instid0(VALU_DEP_1)
	v_cndmask_b32_e64 v5, v6, v4, s4
	; wave barrier
	ds_store_b32 v20, v5
	; wave barrier
	ds_load_b32 v6, v20 offset:4
	v_max_f32_e32 v21, v5, v5
	v_cmp_u_f32_e64 s4, v5, v5
	s_waitcnt lgkmcnt(0)
	v_max_f32_e32 v22, v6, v6
	s_delay_alu instid0(VALU_DEP_1) | instskip(SKIP_1) | instid1(VALU_DEP_2)
	v_min_f32_e32 v23, v21, v22
	v_max_f32_e32 v21, v21, v22
	v_cndmask_b32_e64 v22, v23, v5, s4
	s_delay_alu instid0(VALU_DEP_2) | instskip(SKIP_1) | instid1(VALU_DEP_1)
	v_cndmask_b32_e64 v23, v21, v5, s4
	v_cmp_u_f32_e64 s4, v6, v6
	v_cndmask_b32_e64 v21, v22, v6, s4
	s_delay_alu instid0(VALU_DEP_3) | instskip(NEXT) | instid1(VALU_DEP_2)
	v_cndmask_b32_e64 v6, v23, v6, s4
	v_cmp_class_f32_e64 s5, v21, 0x1f8
	s_delay_alu instid0(VALU_DEP_2) | instskip(NEXT) | instid1(VALU_DEP_1)
	v_cmp_neq_f32_e64 s4, v21, v6
	s_or_b32 s4, s4, s5
	s_delay_alu instid0(SALU_CYCLE_1)
	s_and_saveexec_b32 s5, s4
	s_cbranch_execz .LBB145_200
; %bb.199:
	v_sub_f32_e32 v5, v21, v6
	s_delay_alu instid0(VALU_DEP_1) | instskip(SKIP_1) | instid1(VALU_DEP_2)
	v_mul_f32_e32 v21, 0x3fb8aa3b, v5
	v_cmp_ngt_f32_e64 s4, 0xc2ce8ed0, v5
	v_fma_f32 v22, 0x3fb8aa3b, v5, -v21
	v_rndne_f32_e32 v23, v21
	s_delay_alu instid0(VALU_DEP_2) | instskip(NEXT) | instid1(VALU_DEP_2)
	v_fmamk_f32 v22, v5, 0x32a5705f, v22
	v_sub_f32_e32 v21, v21, v23
	s_delay_alu instid0(VALU_DEP_1) | instskip(SKIP_1) | instid1(VALU_DEP_2)
	v_add_f32_e32 v21, v21, v22
	v_cvt_i32_f32_e32 v22, v23
	v_exp_f32_e32 v21, v21
	s_waitcnt_depctr 0xfff
	v_ldexp_f32 v21, v21, v22
	s_delay_alu instid0(VALU_DEP_1) | instskip(SKIP_1) | instid1(VALU_DEP_1)
	v_cndmask_b32_e64 v21, 0, v21, s4
	v_cmp_nlt_f32_e64 s4, 0x42b17218, v5
	v_cndmask_b32_e64 v5, 0x7f800000, v21, s4
	s_delay_alu instid0(VALU_DEP_1) | instskip(SKIP_1) | instid1(VALU_DEP_2)
	v_add_f32_e32 v23, 1.0, v5
	v_cmp_gt_f32_e64 s6, 0x33800000, |v5|
	v_cvt_f64_f32_e32 v[21:22], v23
	s_delay_alu instid0(VALU_DEP_1) | instskip(SKIP_1) | instid1(VALU_DEP_1)
	v_frexp_exp_i32_f64_e32 v21, v[21:22]
	v_frexp_mant_f32_e32 v22, v23
	v_cmp_gt_f32_e64 s4, 0x3f2aaaab, v22
	v_add_f32_e32 v22, -1.0, v23
	s_delay_alu instid0(VALU_DEP_1) | instskip(NEXT) | instid1(VALU_DEP_3)
	v_dual_sub_f32 v25, v22, v23 :: v_dual_sub_f32 v22, v5, v22
	v_subrev_co_ci_u32_e64 v21, s4, 0, v21, s4
	s_mov_b32 s4, 0x3e9b6dac
	s_delay_alu instid0(VALU_DEP_1) | instskip(SKIP_1) | instid1(VALU_DEP_2)
	v_sub_nc_u32_e32 v24, 0, v21
	v_cvt_f32_i32_e32 v21, v21
	v_ldexp_f32 v23, v23, v24
	s_delay_alu instid0(VALU_DEP_1) | instskip(NEXT) | instid1(VALU_DEP_1)
	v_dual_add_f32 v25, 1.0, v25 :: v_dual_add_f32 v26, 1.0, v23
	v_add_f32_e32 v22, v22, v25
	s_delay_alu instid0(VALU_DEP_1) | instskip(NEXT) | instid1(VALU_DEP_3)
	v_ldexp_f32 v22, v22, v24
	v_dual_add_f32 v24, -1.0, v23 :: v_dual_add_f32 v25, -1.0, v26
	s_delay_alu instid0(VALU_DEP_1) | instskip(NEXT) | instid1(VALU_DEP_2)
	v_add_f32_e32 v27, 1.0, v24
	v_sub_f32_e32 v25, v23, v25
	s_delay_alu instid0(VALU_DEP_2) | instskip(NEXT) | instid1(VALU_DEP_2)
	v_sub_f32_e32 v23, v23, v27
	v_add_f32_e32 v25, v22, v25
	s_delay_alu instid0(VALU_DEP_2) | instskip(NEXT) | instid1(VALU_DEP_1)
	v_add_f32_e32 v22, v22, v23
	v_dual_add_f32 v28, v24, v22 :: v_dual_add_f32 v27, v26, v25
	s_delay_alu instid0(VALU_DEP_1) | instskip(NEXT) | instid1(VALU_DEP_2)
	v_sub_f32_e32 v24, v24, v28
	v_rcp_f32_e32 v23, v27
	v_sub_f32_e32 v26, v26, v27
	s_delay_alu instid0(VALU_DEP_1) | instskip(SKIP_2) | instid1(VALU_DEP_1)
	v_dual_add_f32 v22, v22, v24 :: v_dual_add_f32 v25, v25, v26
	s_waitcnt_depctr 0xfff
	v_mul_f32_e32 v29, v28, v23
	v_mul_f32_e32 v30, v27, v29
	s_delay_alu instid0(VALU_DEP_1) | instskip(NEXT) | instid1(VALU_DEP_1)
	v_fma_f32 v26, v29, v27, -v30
	v_fmac_f32_e32 v26, v29, v25
	s_delay_alu instid0(VALU_DEP_1) | instskip(NEXT) | instid1(VALU_DEP_1)
	v_add_f32_e32 v31, v30, v26
	v_sub_f32_e32 v32, v28, v31
	v_sub_f32_e32 v24, v31, v30
	s_delay_alu instid0(VALU_DEP_2) | instskip(NEXT) | instid1(VALU_DEP_2)
	v_sub_f32_e32 v28, v28, v32
	v_sub_f32_e32 v24, v24, v26
	s_delay_alu instid0(VALU_DEP_2) | instskip(NEXT) | instid1(VALU_DEP_1)
	v_sub_f32_e32 v28, v28, v31
	v_add_f32_e32 v22, v22, v28
	s_delay_alu instid0(VALU_DEP_1) | instskip(NEXT) | instid1(VALU_DEP_1)
	v_add_f32_e32 v22, v24, v22
	v_add_f32_e32 v24, v32, v22
	s_delay_alu instid0(VALU_DEP_1) | instskip(NEXT) | instid1(VALU_DEP_1)
	v_mul_f32_e32 v26, v23, v24
	v_dual_sub_f32 v31, v32, v24 :: v_dual_mul_f32 v28, v27, v26
	s_delay_alu instid0(VALU_DEP_1) | instskip(NEXT) | instid1(VALU_DEP_2)
	v_add_f32_e32 v22, v22, v31
	v_fma_f32 v27, v26, v27, -v28
	s_delay_alu instid0(VALU_DEP_1) | instskip(NEXT) | instid1(VALU_DEP_1)
	v_fmac_f32_e32 v27, v26, v25
	v_add_f32_e32 v25, v28, v27
	s_delay_alu instid0(VALU_DEP_1) | instskip(NEXT) | instid1(VALU_DEP_1)
	v_sub_f32_e32 v30, v24, v25
	v_sub_f32_e32 v24, v24, v30
	s_delay_alu instid0(VALU_DEP_1) | instskip(NEXT) | instid1(VALU_DEP_1)
	v_sub_f32_e32 v24, v24, v25
	v_add_f32_e32 v22, v22, v24
	v_add_f32_e32 v24, v29, v26
	v_sub_f32_e32 v28, v25, v28
	s_delay_alu instid0(VALU_DEP_1) | instskip(NEXT) | instid1(VALU_DEP_1)
	v_sub_f32_e32 v25, v28, v27
	v_dual_add_f32 v22, v25, v22 :: v_dual_sub_f32 v25, v24, v29
	s_delay_alu instid0(VALU_DEP_1) | instskip(NEXT) | instid1(VALU_DEP_1)
	v_add_f32_e32 v22, v30, v22
	v_dual_sub_f32 v25, v26, v25 :: v_dual_mul_f32 v22, v23, v22
	s_delay_alu instid0(VALU_DEP_1) | instskip(NEXT) | instid1(VALU_DEP_1)
	v_add_f32_e32 v22, v25, v22
	v_add_f32_e32 v23, v24, v22
	s_delay_alu instid0(VALU_DEP_1) | instskip(NEXT) | instid1(VALU_DEP_1)
	v_mul_f32_e32 v25, v23, v23
	v_fmaak_f32 v26, s4, v25, 0x3ecc95a3
	v_mul_f32_e32 v27, v23, v25
	v_cmp_eq_f32_e64 s4, 0x7f800000, v5
	s_delay_alu instid0(VALU_DEP_3) | instskip(SKIP_2) | instid1(VALU_DEP_4)
	v_fmaak_f32 v25, v25, v26, 0x3f2aaada
	v_ldexp_f32 v26, v23, 1
	v_sub_f32_e32 v23, v23, v24
	s_or_b32 s4, s4, s6
	s_delay_alu instid0(VALU_DEP_3) | instskip(NEXT) | instid1(VALU_DEP_2)
	v_mul_f32_e32 v25, v27, v25
	v_dual_mul_f32 v27, 0x3f317218, v21 :: v_dual_sub_f32 v22, v22, v23
	s_delay_alu instid0(VALU_DEP_2) | instskip(NEXT) | instid1(VALU_DEP_2)
	v_add_f32_e32 v24, v26, v25
	v_ldexp_f32 v22, v22, 1
	s_delay_alu instid0(VALU_DEP_2) | instskip(NEXT) | instid1(VALU_DEP_4)
	v_sub_f32_e32 v23, v24, v26
	v_fma_f32 v26, 0x3f317218, v21, -v27
	s_delay_alu instid0(VALU_DEP_2) | instskip(NEXT) | instid1(VALU_DEP_1)
	v_sub_f32_e32 v23, v25, v23
	v_dual_fmamk_f32 v21, v21, 0xb102e308, v26 :: v_dual_add_f32 v22, v22, v23
	s_delay_alu instid0(VALU_DEP_1) | instskip(NEXT) | instid1(VALU_DEP_1)
	v_add_f32_e32 v23, v27, v21
	v_sub_f32_e32 v27, v23, v27
	s_delay_alu instid0(VALU_DEP_1) | instskip(NEXT) | instid1(VALU_DEP_4)
	v_sub_f32_e32 v21, v21, v27
	v_add_f32_e32 v25, v24, v22
	s_delay_alu instid0(VALU_DEP_1) | instskip(NEXT) | instid1(VALU_DEP_1)
	v_sub_f32_e32 v24, v25, v24
	v_sub_f32_e32 v22, v22, v24
	v_add_f32_e32 v26, v23, v25
	s_delay_alu instid0(VALU_DEP_1) | instskip(NEXT) | instid1(VALU_DEP_1)
	v_sub_f32_e32 v28, v26, v23
	v_sub_f32_e32 v24, v25, v28
	s_delay_alu instid0(VALU_DEP_4) | instskip(SKIP_1) | instid1(VALU_DEP_1)
	v_add_f32_e32 v25, v21, v22
	v_sub_f32_e32 v29, v26, v28
	v_sub_f32_e32 v23, v23, v29
	s_delay_alu instid0(VALU_DEP_1) | instskip(NEXT) | instid1(VALU_DEP_1)
	v_dual_add_f32 v23, v24, v23 :: v_dual_sub_f32 v24, v25, v21
	v_dual_add_f32 v23, v25, v23 :: v_dual_sub_f32 v22, v22, v24
	v_sub_f32_e32 v25, v25, v24
	s_delay_alu instid0(VALU_DEP_2) | instskip(NEXT) | instid1(VALU_DEP_1)
	v_add_f32_e32 v27, v26, v23
	v_dual_sub_f32 v21, v21, v25 :: v_dual_sub_f32 v24, v27, v26
	s_delay_alu instid0(VALU_DEP_1) | instskip(NEXT) | instid1(VALU_DEP_1)
	v_dual_add_f32 v21, v22, v21 :: v_dual_sub_f32 v22, v23, v24
	v_add_f32_e32 v21, v21, v22
	s_delay_alu instid0(VALU_DEP_1) | instskip(NEXT) | instid1(VALU_DEP_1)
	v_add_f32_e32 v21, v27, v21
	v_cndmask_b32_e64 v5, v21, v5, s4
	s_delay_alu instid0(VALU_DEP_1)
	v_add_f32_e32 v5, v6, v5
.LBB145_200:
	s_or_b32 exec_lo, exec_lo, s5
	ds_load_b32 v6, v20 offset:8
	v_max_f32_e32 v21, v5, v5
	v_cmp_u_f32_e64 s4, v5, v5
	ds_store_b32 v20, v5 offset:4
	s_waitcnt lgkmcnt(1)
	v_max_f32_e32 v22, v6, v6
	s_delay_alu instid0(VALU_DEP_1) | instskip(SKIP_1) | instid1(VALU_DEP_2)
	v_min_f32_e32 v23, v21, v22
	v_max_f32_e32 v21, v21, v22
	v_cndmask_b32_e64 v22, v23, v5, s4
	s_delay_alu instid0(VALU_DEP_2) | instskip(SKIP_1) | instid1(VALU_DEP_1)
	v_cndmask_b32_e64 v23, v21, v5, s4
	v_cmp_u_f32_e64 s4, v6, v6
	v_cndmask_b32_e64 v21, v22, v6, s4
	s_delay_alu instid0(VALU_DEP_3) | instskip(NEXT) | instid1(VALU_DEP_2)
	v_cndmask_b32_e64 v6, v23, v6, s4
	v_cmp_class_f32_e64 s5, v21, 0x1f8
	s_delay_alu instid0(VALU_DEP_2) | instskip(NEXT) | instid1(VALU_DEP_1)
	v_cmp_neq_f32_e64 s4, v21, v6
	s_or_b32 s4, s4, s5
	s_delay_alu instid0(SALU_CYCLE_1)
	s_and_saveexec_b32 s5, s4
	s_cbranch_execz .LBB145_202
; %bb.201:
	v_sub_f32_e32 v5, v21, v6
	s_delay_alu instid0(VALU_DEP_1) | instskip(SKIP_1) | instid1(VALU_DEP_2)
	v_mul_f32_e32 v21, 0x3fb8aa3b, v5
	v_cmp_ngt_f32_e64 s4, 0xc2ce8ed0, v5
	v_fma_f32 v22, 0x3fb8aa3b, v5, -v21
	v_rndne_f32_e32 v23, v21
	s_delay_alu instid0(VALU_DEP_2) | instskip(NEXT) | instid1(VALU_DEP_2)
	v_fmamk_f32 v22, v5, 0x32a5705f, v22
	v_sub_f32_e32 v21, v21, v23
	s_delay_alu instid0(VALU_DEP_1) | instskip(SKIP_1) | instid1(VALU_DEP_2)
	v_add_f32_e32 v21, v21, v22
	v_cvt_i32_f32_e32 v22, v23
	v_exp_f32_e32 v21, v21
	s_waitcnt_depctr 0xfff
	v_ldexp_f32 v21, v21, v22
	s_delay_alu instid0(VALU_DEP_1) | instskip(SKIP_1) | instid1(VALU_DEP_1)
	v_cndmask_b32_e64 v21, 0, v21, s4
	v_cmp_nlt_f32_e64 s4, 0x42b17218, v5
	v_cndmask_b32_e64 v5, 0x7f800000, v21, s4
	s_delay_alu instid0(VALU_DEP_1) | instskip(SKIP_1) | instid1(VALU_DEP_2)
	v_add_f32_e32 v23, 1.0, v5
	v_cmp_gt_f32_e64 s6, 0x33800000, |v5|
	v_cvt_f64_f32_e32 v[21:22], v23
	s_delay_alu instid0(VALU_DEP_1) | instskip(SKIP_1) | instid1(VALU_DEP_1)
	v_frexp_exp_i32_f64_e32 v21, v[21:22]
	v_frexp_mant_f32_e32 v22, v23
	v_cmp_gt_f32_e64 s4, 0x3f2aaaab, v22
	v_add_f32_e32 v22, -1.0, v23
	s_delay_alu instid0(VALU_DEP_1) | instskip(NEXT) | instid1(VALU_DEP_3)
	v_dual_sub_f32 v25, v22, v23 :: v_dual_sub_f32 v22, v5, v22
	v_subrev_co_ci_u32_e64 v21, s4, 0, v21, s4
	s_mov_b32 s4, 0x3e9b6dac
	s_delay_alu instid0(VALU_DEP_1) | instskip(SKIP_1) | instid1(VALU_DEP_2)
	v_sub_nc_u32_e32 v24, 0, v21
	v_cvt_f32_i32_e32 v21, v21
	v_ldexp_f32 v23, v23, v24
	s_delay_alu instid0(VALU_DEP_1) | instskip(NEXT) | instid1(VALU_DEP_1)
	v_dual_add_f32 v25, 1.0, v25 :: v_dual_add_f32 v26, 1.0, v23
	v_add_f32_e32 v22, v22, v25
	s_delay_alu instid0(VALU_DEP_1) | instskip(NEXT) | instid1(VALU_DEP_3)
	v_ldexp_f32 v22, v22, v24
	v_dual_add_f32 v24, -1.0, v23 :: v_dual_add_f32 v25, -1.0, v26
	s_delay_alu instid0(VALU_DEP_1) | instskip(NEXT) | instid1(VALU_DEP_2)
	v_add_f32_e32 v27, 1.0, v24
	v_sub_f32_e32 v25, v23, v25
	s_delay_alu instid0(VALU_DEP_2) | instskip(NEXT) | instid1(VALU_DEP_2)
	v_sub_f32_e32 v23, v23, v27
	v_add_f32_e32 v25, v22, v25
	s_delay_alu instid0(VALU_DEP_2) | instskip(NEXT) | instid1(VALU_DEP_1)
	v_add_f32_e32 v22, v22, v23
	v_dual_add_f32 v28, v24, v22 :: v_dual_add_f32 v27, v26, v25
	s_delay_alu instid0(VALU_DEP_1) | instskip(NEXT) | instid1(VALU_DEP_2)
	v_sub_f32_e32 v24, v24, v28
	v_rcp_f32_e32 v23, v27
	v_sub_f32_e32 v26, v26, v27
	s_delay_alu instid0(VALU_DEP_1) | instskip(SKIP_2) | instid1(VALU_DEP_1)
	v_dual_add_f32 v22, v22, v24 :: v_dual_add_f32 v25, v25, v26
	s_waitcnt_depctr 0xfff
	v_mul_f32_e32 v29, v28, v23
	v_mul_f32_e32 v30, v27, v29
	s_delay_alu instid0(VALU_DEP_1) | instskip(NEXT) | instid1(VALU_DEP_1)
	v_fma_f32 v26, v29, v27, -v30
	v_fmac_f32_e32 v26, v29, v25
	s_delay_alu instid0(VALU_DEP_1) | instskip(NEXT) | instid1(VALU_DEP_1)
	v_add_f32_e32 v31, v30, v26
	v_sub_f32_e32 v32, v28, v31
	v_sub_f32_e32 v24, v31, v30
	s_delay_alu instid0(VALU_DEP_2) | instskip(NEXT) | instid1(VALU_DEP_2)
	v_sub_f32_e32 v28, v28, v32
	v_sub_f32_e32 v24, v24, v26
	s_delay_alu instid0(VALU_DEP_2) | instskip(NEXT) | instid1(VALU_DEP_1)
	v_sub_f32_e32 v28, v28, v31
	v_add_f32_e32 v22, v22, v28
	s_delay_alu instid0(VALU_DEP_1) | instskip(NEXT) | instid1(VALU_DEP_1)
	v_add_f32_e32 v22, v24, v22
	v_add_f32_e32 v24, v32, v22
	s_delay_alu instid0(VALU_DEP_1) | instskip(NEXT) | instid1(VALU_DEP_1)
	v_mul_f32_e32 v26, v23, v24
	v_dual_sub_f32 v31, v32, v24 :: v_dual_mul_f32 v28, v27, v26
	s_delay_alu instid0(VALU_DEP_1) | instskip(NEXT) | instid1(VALU_DEP_2)
	v_add_f32_e32 v22, v22, v31
	v_fma_f32 v27, v26, v27, -v28
	s_delay_alu instid0(VALU_DEP_1) | instskip(NEXT) | instid1(VALU_DEP_1)
	v_fmac_f32_e32 v27, v26, v25
	v_add_f32_e32 v25, v28, v27
	s_delay_alu instid0(VALU_DEP_1) | instskip(NEXT) | instid1(VALU_DEP_1)
	v_sub_f32_e32 v30, v24, v25
	v_sub_f32_e32 v24, v24, v30
	s_delay_alu instid0(VALU_DEP_1) | instskip(NEXT) | instid1(VALU_DEP_1)
	v_sub_f32_e32 v24, v24, v25
	v_add_f32_e32 v22, v22, v24
	v_add_f32_e32 v24, v29, v26
	v_sub_f32_e32 v28, v25, v28
	s_delay_alu instid0(VALU_DEP_1) | instskip(NEXT) | instid1(VALU_DEP_1)
	v_sub_f32_e32 v25, v28, v27
	v_dual_add_f32 v22, v25, v22 :: v_dual_sub_f32 v25, v24, v29
	s_delay_alu instid0(VALU_DEP_1) | instskip(NEXT) | instid1(VALU_DEP_1)
	v_add_f32_e32 v22, v30, v22
	v_dual_sub_f32 v25, v26, v25 :: v_dual_mul_f32 v22, v23, v22
	s_delay_alu instid0(VALU_DEP_1) | instskip(NEXT) | instid1(VALU_DEP_1)
	v_add_f32_e32 v22, v25, v22
	v_add_f32_e32 v23, v24, v22
	s_delay_alu instid0(VALU_DEP_1) | instskip(NEXT) | instid1(VALU_DEP_1)
	v_mul_f32_e32 v25, v23, v23
	v_fmaak_f32 v26, s4, v25, 0x3ecc95a3
	v_mul_f32_e32 v27, v23, v25
	v_cmp_eq_f32_e64 s4, 0x7f800000, v5
	s_delay_alu instid0(VALU_DEP_3) | instskip(SKIP_2) | instid1(VALU_DEP_4)
	v_fmaak_f32 v25, v25, v26, 0x3f2aaada
	v_ldexp_f32 v26, v23, 1
	v_sub_f32_e32 v23, v23, v24
	s_or_b32 s4, s4, s6
	s_delay_alu instid0(VALU_DEP_3) | instskip(NEXT) | instid1(VALU_DEP_2)
	v_mul_f32_e32 v25, v27, v25
	v_dual_mul_f32 v27, 0x3f317218, v21 :: v_dual_sub_f32 v22, v22, v23
	s_delay_alu instid0(VALU_DEP_2) | instskip(NEXT) | instid1(VALU_DEP_2)
	v_add_f32_e32 v24, v26, v25
	v_ldexp_f32 v22, v22, 1
	s_delay_alu instid0(VALU_DEP_2) | instskip(NEXT) | instid1(VALU_DEP_4)
	v_sub_f32_e32 v23, v24, v26
	v_fma_f32 v26, 0x3f317218, v21, -v27
	s_delay_alu instid0(VALU_DEP_2) | instskip(NEXT) | instid1(VALU_DEP_1)
	v_sub_f32_e32 v23, v25, v23
	v_dual_fmamk_f32 v21, v21, 0xb102e308, v26 :: v_dual_add_f32 v22, v22, v23
	s_delay_alu instid0(VALU_DEP_1) | instskip(NEXT) | instid1(VALU_DEP_1)
	v_add_f32_e32 v23, v27, v21
	v_sub_f32_e32 v27, v23, v27
	s_delay_alu instid0(VALU_DEP_1) | instskip(NEXT) | instid1(VALU_DEP_4)
	v_sub_f32_e32 v21, v21, v27
	v_add_f32_e32 v25, v24, v22
	s_delay_alu instid0(VALU_DEP_1) | instskip(NEXT) | instid1(VALU_DEP_1)
	v_sub_f32_e32 v24, v25, v24
	v_sub_f32_e32 v22, v22, v24
	v_add_f32_e32 v26, v23, v25
	s_delay_alu instid0(VALU_DEP_1) | instskip(NEXT) | instid1(VALU_DEP_1)
	v_sub_f32_e32 v28, v26, v23
	v_sub_f32_e32 v24, v25, v28
	s_delay_alu instid0(VALU_DEP_4) | instskip(SKIP_1) | instid1(VALU_DEP_1)
	v_add_f32_e32 v25, v21, v22
	v_sub_f32_e32 v29, v26, v28
	v_sub_f32_e32 v23, v23, v29
	s_delay_alu instid0(VALU_DEP_1) | instskip(NEXT) | instid1(VALU_DEP_1)
	v_dual_add_f32 v23, v24, v23 :: v_dual_sub_f32 v24, v25, v21
	v_dual_add_f32 v23, v25, v23 :: v_dual_sub_f32 v22, v22, v24
	v_sub_f32_e32 v25, v25, v24
	s_delay_alu instid0(VALU_DEP_2) | instskip(NEXT) | instid1(VALU_DEP_1)
	v_add_f32_e32 v27, v26, v23
	v_dual_sub_f32 v21, v21, v25 :: v_dual_sub_f32 v24, v27, v26
	s_delay_alu instid0(VALU_DEP_1) | instskip(NEXT) | instid1(VALU_DEP_1)
	v_dual_add_f32 v21, v22, v21 :: v_dual_sub_f32 v22, v23, v24
	v_add_f32_e32 v21, v21, v22
	s_delay_alu instid0(VALU_DEP_1) | instskip(NEXT) | instid1(VALU_DEP_1)
	v_add_f32_e32 v21, v27, v21
	v_cndmask_b32_e64 v5, v21, v5, s4
	s_delay_alu instid0(VALU_DEP_1)
	v_add_f32_e32 v5, v6, v5
.LBB145_202:
	s_or_b32 exec_lo, exec_lo, s5
	ds_load_b32 v6, v20 offset:12
	v_max_f32_e32 v21, v5, v5
	v_cmp_u_f32_e64 s4, v5, v5
	ds_store_b32 v20, v5 offset:8
	s_waitcnt lgkmcnt(1)
	v_max_f32_e32 v22, v6, v6
	s_delay_alu instid0(VALU_DEP_1) | instskip(SKIP_1) | instid1(VALU_DEP_2)
	v_min_f32_e32 v23, v21, v22
	v_max_f32_e32 v21, v21, v22
	v_cndmask_b32_e64 v22, v23, v5, s4
	s_delay_alu instid0(VALU_DEP_2) | instskip(SKIP_1) | instid1(VALU_DEP_1)
	v_cndmask_b32_e64 v23, v21, v5, s4
	v_cmp_u_f32_e64 s4, v6, v6
	v_cndmask_b32_e64 v21, v22, v6, s4
	s_delay_alu instid0(VALU_DEP_3) | instskip(NEXT) | instid1(VALU_DEP_2)
	v_cndmask_b32_e64 v6, v23, v6, s4
	v_cmp_class_f32_e64 s5, v21, 0x1f8
	s_delay_alu instid0(VALU_DEP_2) | instskip(NEXT) | instid1(VALU_DEP_1)
	v_cmp_neq_f32_e64 s4, v21, v6
	s_or_b32 s4, s4, s5
	s_delay_alu instid0(SALU_CYCLE_1)
	s_and_saveexec_b32 s5, s4
	s_cbranch_execz .LBB145_204
; %bb.203:
	v_sub_f32_e32 v5, v21, v6
	s_delay_alu instid0(VALU_DEP_1) | instskip(SKIP_1) | instid1(VALU_DEP_2)
	v_mul_f32_e32 v21, 0x3fb8aa3b, v5
	v_cmp_ngt_f32_e64 s4, 0xc2ce8ed0, v5
	v_fma_f32 v22, 0x3fb8aa3b, v5, -v21
	v_rndne_f32_e32 v23, v21
	s_delay_alu instid0(VALU_DEP_2) | instskip(NEXT) | instid1(VALU_DEP_2)
	v_fmamk_f32 v22, v5, 0x32a5705f, v22
	v_sub_f32_e32 v21, v21, v23
	s_delay_alu instid0(VALU_DEP_1) | instskip(SKIP_1) | instid1(VALU_DEP_2)
	v_add_f32_e32 v21, v21, v22
	v_cvt_i32_f32_e32 v22, v23
	v_exp_f32_e32 v21, v21
	s_waitcnt_depctr 0xfff
	v_ldexp_f32 v21, v21, v22
	s_delay_alu instid0(VALU_DEP_1) | instskip(SKIP_1) | instid1(VALU_DEP_1)
	v_cndmask_b32_e64 v21, 0, v21, s4
	v_cmp_nlt_f32_e64 s4, 0x42b17218, v5
	v_cndmask_b32_e64 v5, 0x7f800000, v21, s4
	s_delay_alu instid0(VALU_DEP_1) | instskip(SKIP_1) | instid1(VALU_DEP_2)
	v_add_f32_e32 v23, 1.0, v5
	v_cmp_gt_f32_e64 s6, 0x33800000, |v5|
	v_cvt_f64_f32_e32 v[21:22], v23
	s_delay_alu instid0(VALU_DEP_1) | instskip(SKIP_1) | instid1(VALU_DEP_1)
	v_frexp_exp_i32_f64_e32 v21, v[21:22]
	v_frexp_mant_f32_e32 v22, v23
	v_cmp_gt_f32_e64 s4, 0x3f2aaaab, v22
	v_add_f32_e32 v22, -1.0, v23
	s_delay_alu instid0(VALU_DEP_1) | instskip(NEXT) | instid1(VALU_DEP_3)
	v_dual_sub_f32 v25, v22, v23 :: v_dual_sub_f32 v22, v5, v22
	v_subrev_co_ci_u32_e64 v21, s4, 0, v21, s4
	s_mov_b32 s4, 0x3e9b6dac
	s_delay_alu instid0(VALU_DEP_1) | instskip(SKIP_1) | instid1(VALU_DEP_2)
	v_sub_nc_u32_e32 v24, 0, v21
	v_cvt_f32_i32_e32 v21, v21
	v_ldexp_f32 v23, v23, v24
	s_delay_alu instid0(VALU_DEP_1) | instskip(NEXT) | instid1(VALU_DEP_1)
	v_dual_add_f32 v25, 1.0, v25 :: v_dual_add_f32 v26, 1.0, v23
	v_add_f32_e32 v22, v22, v25
	s_delay_alu instid0(VALU_DEP_1) | instskip(NEXT) | instid1(VALU_DEP_3)
	v_ldexp_f32 v22, v22, v24
	v_dual_add_f32 v24, -1.0, v23 :: v_dual_add_f32 v25, -1.0, v26
	s_delay_alu instid0(VALU_DEP_1) | instskip(NEXT) | instid1(VALU_DEP_2)
	v_add_f32_e32 v27, 1.0, v24
	v_sub_f32_e32 v25, v23, v25
	s_delay_alu instid0(VALU_DEP_2) | instskip(NEXT) | instid1(VALU_DEP_2)
	v_sub_f32_e32 v23, v23, v27
	v_add_f32_e32 v25, v22, v25
	s_delay_alu instid0(VALU_DEP_2) | instskip(NEXT) | instid1(VALU_DEP_1)
	v_add_f32_e32 v22, v22, v23
	v_dual_add_f32 v28, v24, v22 :: v_dual_add_f32 v27, v26, v25
	s_delay_alu instid0(VALU_DEP_1) | instskip(NEXT) | instid1(VALU_DEP_2)
	v_sub_f32_e32 v24, v24, v28
	v_rcp_f32_e32 v23, v27
	v_sub_f32_e32 v26, v26, v27
	s_delay_alu instid0(VALU_DEP_1) | instskip(SKIP_2) | instid1(VALU_DEP_1)
	v_dual_add_f32 v22, v22, v24 :: v_dual_add_f32 v25, v25, v26
	s_waitcnt_depctr 0xfff
	v_mul_f32_e32 v29, v28, v23
	v_mul_f32_e32 v30, v27, v29
	s_delay_alu instid0(VALU_DEP_1) | instskip(NEXT) | instid1(VALU_DEP_1)
	v_fma_f32 v26, v29, v27, -v30
	v_fmac_f32_e32 v26, v29, v25
	s_delay_alu instid0(VALU_DEP_1) | instskip(NEXT) | instid1(VALU_DEP_1)
	v_add_f32_e32 v31, v30, v26
	v_sub_f32_e32 v32, v28, v31
	v_sub_f32_e32 v24, v31, v30
	s_delay_alu instid0(VALU_DEP_2) | instskip(NEXT) | instid1(VALU_DEP_2)
	v_sub_f32_e32 v28, v28, v32
	v_sub_f32_e32 v24, v24, v26
	s_delay_alu instid0(VALU_DEP_2) | instskip(NEXT) | instid1(VALU_DEP_1)
	v_sub_f32_e32 v28, v28, v31
	v_add_f32_e32 v22, v22, v28
	s_delay_alu instid0(VALU_DEP_1) | instskip(NEXT) | instid1(VALU_DEP_1)
	v_add_f32_e32 v22, v24, v22
	v_add_f32_e32 v24, v32, v22
	s_delay_alu instid0(VALU_DEP_1) | instskip(NEXT) | instid1(VALU_DEP_1)
	v_mul_f32_e32 v26, v23, v24
	v_dual_sub_f32 v31, v32, v24 :: v_dual_mul_f32 v28, v27, v26
	s_delay_alu instid0(VALU_DEP_1) | instskip(NEXT) | instid1(VALU_DEP_2)
	v_add_f32_e32 v22, v22, v31
	v_fma_f32 v27, v26, v27, -v28
	s_delay_alu instid0(VALU_DEP_1) | instskip(NEXT) | instid1(VALU_DEP_1)
	v_fmac_f32_e32 v27, v26, v25
	v_add_f32_e32 v25, v28, v27
	s_delay_alu instid0(VALU_DEP_1) | instskip(NEXT) | instid1(VALU_DEP_1)
	v_sub_f32_e32 v30, v24, v25
	v_sub_f32_e32 v24, v24, v30
	s_delay_alu instid0(VALU_DEP_1) | instskip(NEXT) | instid1(VALU_DEP_1)
	v_sub_f32_e32 v24, v24, v25
	v_add_f32_e32 v22, v22, v24
	v_add_f32_e32 v24, v29, v26
	v_sub_f32_e32 v28, v25, v28
	s_delay_alu instid0(VALU_DEP_1) | instskip(NEXT) | instid1(VALU_DEP_1)
	v_sub_f32_e32 v25, v28, v27
	v_dual_add_f32 v22, v25, v22 :: v_dual_sub_f32 v25, v24, v29
	s_delay_alu instid0(VALU_DEP_1) | instskip(NEXT) | instid1(VALU_DEP_1)
	v_add_f32_e32 v22, v30, v22
	v_dual_sub_f32 v25, v26, v25 :: v_dual_mul_f32 v22, v23, v22
	s_delay_alu instid0(VALU_DEP_1) | instskip(NEXT) | instid1(VALU_DEP_1)
	v_add_f32_e32 v22, v25, v22
	v_add_f32_e32 v23, v24, v22
	s_delay_alu instid0(VALU_DEP_1) | instskip(NEXT) | instid1(VALU_DEP_1)
	v_mul_f32_e32 v25, v23, v23
	v_fmaak_f32 v26, s4, v25, 0x3ecc95a3
	v_mul_f32_e32 v27, v23, v25
	v_cmp_eq_f32_e64 s4, 0x7f800000, v5
	s_delay_alu instid0(VALU_DEP_3) | instskip(SKIP_2) | instid1(VALU_DEP_4)
	v_fmaak_f32 v25, v25, v26, 0x3f2aaada
	v_ldexp_f32 v26, v23, 1
	v_sub_f32_e32 v23, v23, v24
	s_or_b32 s4, s4, s6
	s_delay_alu instid0(VALU_DEP_3) | instskip(NEXT) | instid1(VALU_DEP_2)
	v_mul_f32_e32 v25, v27, v25
	v_dual_mul_f32 v27, 0x3f317218, v21 :: v_dual_sub_f32 v22, v22, v23
	s_delay_alu instid0(VALU_DEP_2) | instskip(NEXT) | instid1(VALU_DEP_2)
	v_add_f32_e32 v24, v26, v25
	v_ldexp_f32 v22, v22, 1
	s_delay_alu instid0(VALU_DEP_2) | instskip(NEXT) | instid1(VALU_DEP_4)
	v_sub_f32_e32 v23, v24, v26
	v_fma_f32 v26, 0x3f317218, v21, -v27
	s_delay_alu instid0(VALU_DEP_2) | instskip(NEXT) | instid1(VALU_DEP_1)
	v_sub_f32_e32 v23, v25, v23
	v_dual_fmamk_f32 v21, v21, 0xb102e308, v26 :: v_dual_add_f32 v22, v22, v23
	s_delay_alu instid0(VALU_DEP_1) | instskip(NEXT) | instid1(VALU_DEP_1)
	v_add_f32_e32 v23, v27, v21
	v_sub_f32_e32 v27, v23, v27
	s_delay_alu instid0(VALU_DEP_1) | instskip(NEXT) | instid1(VALU_DEP_4)
	v_sub_f32_e32 v21, v21, v27
	v_add_f32_e32 v25, v24, v22
	s_delay_alu instid0(VALU_DEP_1) | instskip(NEXT) | instid1(VALU_DEP_1)
	v_sub_f32_e32 v24, v25, v24
	v_sub_f32_e32 v22, v22, v24
	v_add_f32_e32 v26, v23, v25
	s_delay_alu instid0(VALU_DEP_1) | instskip(NEXT) | instid1(VALU_DEP_1)
	v_sub_f32_e32 v28, v26, v23
	v_sub_f32_e32 v24, v25, v28
	s_delay_alu instid0(VALU_DEP_4) | instskip(SKIP_1) | instid1(VALU_DEP_1)
	v_add_f32_e32 v25, v21, v22
	v_sub_f32_e32 v29, v26, v28
	v_sub_f32_e32 v23, v23, v29
	s_delay_alu instid0(VALU_DEP_1) | instskip(NEXT) | instid1(VALU_DEP_1)
	v_dual_add_f32 v23, v24, v23 :: v_dual_sub_f32 v24, v25, v21
	v_dual_add_f32 v23, v25, v23 :: v_dual_sub_f32 v22, v22, v24
	v_sub_f32_e32 v25, v25, v24
	s_delay_alu instid0(VALU_DEP_2) | instskip(NEXT) | instid1(VALU_DEP_1)
	v_add_f32_e32 v27, v26, v23
	v_dual_sub_f32 v21, v21, v25 :: v_dual_sub_f32 v24, v27, v26
	s_delay_alu instid0(VALU_DEP_1) | instskip(NEXT) | instid1(VALU_DEP_1)
	v_dual_add_f32 v21, v22, v21 :: v_dual_sub_f32 v22, v23, v24
	v_add_f32_e32 v21, v21, v22
	s_delay_alu instid0(VALU_DEP_1) | instskip(NEXT) | instid1(VALU_DEP_1)
	v_add_f32_e32 v21, v27, v21
	v_cndmask_b32_e64 v5, v21, v5, s4
	s_delay_alu instid0(VALU_DEP_1)
	v_add_f32_e32 v5, v6, v5
.LBB145_204:
	s_or_b32 exec_lo, exec_lo, s5
	ds_load_b32 v6, v20 offset:16
	v_max_f32_e32 v21, v5, v5
	v_cmp_u_f32_e64 s4, v5, v5
	ds_store_b32 v20, v5 offset:12
	s_waitcnt lgkmcnt(1)
	v_max_f32_e32 v22, v6, v6
	s_delay_alu instid0(VALU_DEP_1) | instskip(SKIP_1) | instid1(VALU_DEP_2)
	v_min_f32_e32 v23, v21, v22
	v_max_f32_e32 v21, v21, v22
	v_cndmask_b32_e64 v22, v23, v5, s4
	s_delay_alu instid0(VALU_DEP_2) | instskip(SKIP_1) | instid1(VALU_DEP_1)
	v_cndmask_b32_e64 v23, v21, v5, s4
	v_cmp_u_f32_e64 s4, v6, v6
	v_cndmask_b32_e64 v21, v22, v6, s4
	s_delay_alu instid0(VALU_DEP_3) | instskip(NEXT) | instid1(VALU_DEP_2)
	v_cndmask_b32_e64 v6, v23, v6, s4
	v_cmp_class_f32_e64 s5, v21, 0x1f8
	s_delay_alu instid0(VALU_DEP_2) | instskip(NEXT) | instid1(VALU_DEP_1)
	v_cmp_neq_f32_e64 s4, v21, v6
	s_or_b32 s4, s4, s5
	s_delay_alu instid0(SALU_CYCLE_1)
	s_and_saveexec_b32 s5, s4
	s_cbranch_execz .LBB145_206
; %bb.205:
	v_sub_f32_e32 v5, v21, v6
	s_delay_alu instid0(VALU_DEP_1) | instskip(SKIP_1) | instid1(VALU_DEP_2)
	v_mul_f32_e32 v21, 0x3fb8aa3b, v5
	v_cmp_ngt_f32_e64 s4, 0xc2ce8ed0, v5
	v_fma_f32 v22, 0x3fb8aa3b, v5, -v21
	v_rndne_f32_e32 v23, v21
	s_delay_alu instid0(VALU_DEP_2) | instskip(NEXT) | instid1(VALU_DEP_2)
	v_fmamk_f32 v22, v5, 0x32a5705f, v22
	v_sub_f32_e32 v21, v21, v23
	s_delay_alu instid0(VALU_DEP_1) | instskip(SKIP_1) | instid1(VALU_DEP_2)
	v_add_f32_e32 v21, v21, v22
	v_cvt_i32_f32_e32 v22, v23
	v_exp_f32_e32 v21, v21
	s_waitcnt_depctr 0xfff
	v_ldexp_f32 v21, v21, v22
	s_delay_alu instid0(VALU_DEP_1) | instskip(SKIP_1) | instid1(VALU_DEP_1)
	v_cndmask_b32_e64 v21, 0, v21, s4
	v_cmp_nlt_f32_e64 s4, 0x42b17218, v5
	v_cndmask_b32_e64 v5, 0x7f800000, v21, s4
	s_delay_alu instid0(VALU_DEP_1) | instskip(SKIP_1) | instid1(VALU_DEP_2)
	v_add_f32_e32 v23, 1.0, v5
	v_cmp_gt_f32_e64 s6, 0x33800000, |v5|
	v_cvt_f64_f32_e32 v[21:22], v23
	s_delay_alu instid0(VALU_DEP_1) | instskip(SKIP_1) | instid1(VALU_DEP_1)
	v_frexp_exp_i32_f64_e32 v21, v[21:22]
	v_frexp_mant_f32_e32 v22, v23
	v_cmp_gt_f32_e64 s4, 0x3f2aaaab, v22
	v_add_f32_e32 v22, -1.0, v23
	s_delay_alu instid0(VALU_DEP_1) | instskip(NEXT) | instid1(VALU_DEP_3)
	v_dual_sub_f32 v25, v22, v23 :: v_dual_sub_f32 v22, v5, v22
	v_subrev_co_ci_u32_e64 v21, s4, 0, v21, s4
	s_mov_b32 s4, 0x3e9b6dac
	s_delay_alu instid0(VALU_DEP_1) | instskip(SKIP_1) | instid1(VALU_DEP_2)
	v_sub_nc_u32_e32 v24, 0, v21
	v_cvt_f32_i32_e32 v21, v21
	v_ldexp_f32 v23, v23, v24
	s_delay_alu instid0(VALU_DEP_1) | instskip(NEXT) | instid1(VALU_DEP_1)
	v_dual_add_f32 v25, 1.0, v25 :: v_dual_add_f32 v26, 1.0, v23
	v_add_f32_e32 v22, v22, v25
	s_delay_alu instid0(VALU_DEP_1) | instskip(NEXT) | instid1(VALU_DEP_3)
	v_ldexp_f32 v22, v22, v24
	v_dual_add_f32 v24, -1.0, v23 :: v_dual_add_f32 v25, -1.0, v26
	s_delay_alu instid0(VALU_DEP_1) | instskip(NEXT) | instid1(VALU_DEP_2)
	v_add_f32_e32 v27, 1.0, v24
	v_sub_f32_e32 v25, v23, v25
	s_delay_alu instid0(VALU_DEP_2) | instskip(NEXT) | instid1(VALU_DEP_2)
	v_sub_f32_e32 v23, v23, v27
	v_add_f32_e32 v25, v22, v25
	s_delay_alu instid0(VALU_DEP_2) | instskip(NEXT) | instid1(VALU_DEP_1)
	v_add_f32_e32 v22, v22, v23
	v_dual_add_f32 v28, v24, v22 :: v_dual_add_f32 v27, v26, v25
	s_delay_alu instid0(VALU_DEP_1) | instskip(NEXT) | instid1(VALU_DEP_2)
	v_sub_f32_e32 v24, v24, v28
	v_rcp_f32_e32 v23, v27
	v_sub_f32_e32 v26, v26, v27
	s_delay_alu instid0(VALU_DEP_1) | instskip(SKIP_2) | instid1(VALU_DEP_1)
	v_dual_add_f32 v22, v22, v24 :: v_dual_add_f32 v25, v25, v26
	s_waitcnt_depctr 0xfff
	v_mul_f32_e32 v29, v28, v23
	v_mul_f32_e32 v30, v27, v29
	s_delay_alu instid0(VALU_DEP_1) | instskip(NEXT) | instid1(VALU_DEP_1)
	v_fma_f32 v26, v29, v27, -v30
	v_fmac_f32_e32 v26, v29, v25
	s_delay_alu instid0(VALU_DEP_1) | instskip(NEXT) | instid1(VALU_DEP_1)
	v_add_f32_e32 v31, v30, v26
	v_sub_f32_e32 v32, v28, v31
	v_sub_f32_e32 v24, v31, v30
	s_delay_alu instid0(VALU_DEP_2) | instskip(NEXT) | instid1(VALU_DEP_2)
	v_sub_f32_e32 v28, v28, v32
	v_sub_f32_e32 v24, v24, v26
	s_delay_alu instid0(VALU_DEP_2) | instskip(NEXT) | instid1(VALU_DEP_1)
	v_sub_f32_e32 v28, v28, v31
	v_add_f32_e32 v22, v22, v28
	s_delay_alu instid0(VALU_DEP_1) | instskip(NEXT) | instid1(VALU_DEP_1)
	v_add_f32_e32 v22, v24, v22
	v_add_f32_e32 v24, v32, v22
	s_delay_alu instid0(VALU_DEP_1) | instskip(NEXT) | instid1(VALU_DEP_1)
	v_mul_f32_e32 v26, v23, v24
	v_dual_sub_f32 v31, v32, v24 :: v_dual_mul_f32 v28, v27, v26
	s_delay_alu instid0(VALU_DEP_1) | instskip(NEXT) | instid1(VALU_DEP_2)
	v_add_f32_e32 v22, v22, v31
	v_fma_f32 v27, v26, v27, -v28
	s_delay_alu instid0(VALU_DEP_1) | instskip(NEXT) | instid1(VALU_DEP_1)
	v_fmac_f32_e32 v27, v26, v25
	v_add_f32_e32 v25, v28, v27
	s_delay_alu instid0(VALU_DEP_1) | instskip(NEXT) | instid1(VALU_DEP_1)
	v_sub_f32_e32 v30, v24, v25
	v_sub_f32_e32 v24, v24, v30
	s_delay_alu instid0(VALU_DEP_1) | instskip(NEXT) | instid1(VALU_DEP_1)
	v_sub_f32_e32 v24, v24, v25
	v_add_f32_e32 v22, v22, v24
	v_add_f32_e32 v24, v29, v26
	v_sub_f32_e32 v28, v25, v28
	s_delay_alu instid0(VALU_DEP_1) | instskip(NEXT) | instid1(VALU_DEP_1)
	v_sub_f32_e32 v25, v28, v27
	v_dual_add_f32 v22, v25, v22 :: v_dual_sub_f32 v25, v24, v29
	s_delay_alu instid0(VALU_DEP_1) | instskip(NEXT) | instid1(VALU_DEP_1)
	v_add_f32_e32 v22, v30, v22
	v_dual_sub_f32 v25, v26, v25 :: v_dual_mul_f32 v22, v23, v22
	s_delay_alu instid0(VALU_DEP_1) | instskip(NEXT) | instid1(VALU_DEP_1)
	v_add_f32_e32 v22, v25, v22
	v_add_f32_e32 v23, v24, v22
	s_delay_alu instid0(VALU_DEP_1) | instskip(NEXT) | instid1(VALU_DEP_1)
	v_mul_f32_e32 v25, v23, v23
	v_fmaak_f32 v26, s4, v25, 0x3ecc95a3
	v_mul_f32_e32 v27, v23, v25
	v_cmp_eq_f32_e64 s4, 0x7f800000, v5
	s_delay_alu instid0(VALU_DEP_3) | instskip(SKIP_2) | instid1(VALU_DEP_4)
	v_fmaak_f32 v25, v25, v26, 0x3f2aaada
	v_ldexp_f32 v26, v23, 1
	v_sub_f32_e32 v23, v23, v24
	s_or_b32 s4, s4, s6
	s_delay_alu instid0(VALU_DEP_3) | instskip(NEXT) | instid1(VALU_DEP_2)
	v_mul_f32_e32 v25, v27, v25
	v_dual_mul_f32 v27, 0x3f317218, v21 :: v_dual_sub_f32 v22, v22, v23
	s_delay_alu instid0(VALU_DEP_2) | instskip(NEXT) | instid1(VALU_DEP_2)
	v_add_f32_e32 v24, v26, v25
	v_ldexp_f32 v22, v22, 1
	s_delay_alu instid0(VALU_DEP_2) | instskip(NEXT) | instid1(VALU_DEP_4)
	v_sub_f32_e32 v23, v24, v26
	v_fma_f32 v26, 0x3f317218, v21, -v27
	s_delay_alu instid0(VALU_DEP_2) | instskip(NEXT) | instid1(VALU_DEP_1)
	v_sub_f32_e32 v23, v25, v23
	v_dual_fmamk_f32 v21, v21, 0xb102e308, v26 :: v_dual_add_f32 v22, v22, v23
	s_delay_alu instid0(VALU_DEP_1) | instskip(NEXT) | instid1(VALU_DEP_1)
	v_add_f32_e32 v23, v27, v21
	v_sub_f32_e32 v27, v23, v27
	s_delay_alu instid0(VALU_DEP_1) | instskip(NEXT) | instid1(VALU_DEP_4)
	v_sub_f32_e32 v21, v21, v27
	v_add_f32_e32 v25, v24, v22
	s_delay_alu instid0(VALU_DEP_1) | instskip(NEXT) | instid1(VALU_DEP_1)
	v_sub_f32_e32 v24, v25, v24
	v_sub_f32_e32 v22, v22, v24
	v_add_f32_e32 v26, v23, v25
	s_delay_alu instid0(VALU_DEP_1) | instskip(NEXT) | instid1(VALU_DEP_1)
	v_sub_f32_e32 v28, v26, v23
	v_sub_f32_e32 v24, v25, v28
	s_delay_alu instid0(VALU_DEP_4) | instskip(SKIP_1) | instid1(VALU_DEP_1)
	v_add_f32_e32 v25, v21, v22
	v_sub_f32_e32 v29, v26, v28
	v_sub_f32_e32 v23, v23, v29
	s_delay_alu instid0(VALU_DEP_1) | instskip(NEXT) | instid1(VALU_DEP_1)
	v_dual_add_f32 v23, v24, v23 :: v_dual_sub_f32 v24, v25, v21
	v_dual_add_f32 v23, v25, v23 :: v_dual_sub_f32 v22, v22, v24
	v_sub_f32_e32 v25, v25, v24
	s_delay_alu instid0(VALU_DEP_2) | instskip(NEXT) | instid1(VALU_DEP_1)
	v_add_f32_e32 v27, v26, v23
	v_dual_sub_f32 v21, v21, v25 :: v_dual_sub_f32 v24, v27, v26
	s_delay_alu instid0(VALU_DEP_1) | instskip(NEXT) | instid1(VALU_DEP_1)
	v_dual_add_f32 v21, v22, v21 :: v_dual_sub_f32 v22, v23, v24
	v_add_f32_e32 v21, v21, v22
	s_delay_alu instid0(VALU_DEP_1) | instskip(NEXT) | instid1(VALU_DEP_1)
	v_add_f32_e32 v21, v27, v21
	v_cndmask_b32_e64 v5, v21, v5, s4
	s_delay_alu instid0(VALU_DEP_1)
	v_add_f32_e32 v5, v6, v5
.LBB145_206:
	s_or_b32 exec_lo, exec_lo, s5
	ds_load_b32 v6, v20 offset:20
	v_max_f32_e32 v21, v5, v5
	v_cmp_u_f32_e64 s4, v5, v5
	ds_store_b32 v20, v5 offset:16
	s_waitcnt lgkmcnt(1)
	v_max_f32_e32 v22, v6, v6
	s_delay_alu instid0(VALU_DEP_1) | instskip(SKIP_1) | instid1(VALU_DEP_2)
	v_min_f32_e32 v23, v21, v22
	v_max_f32_e32 v21, v21, v22
	v_cndmask_b32_e64 v22, v23, v5, s4
	s_delay_alu instid0(VALU_DEP_2) | instskip(SKIP_1) | instid1(VALU_DEP_1)
	v_cndmask_b32_e64 v23, v21, v5, s4
	v_cmp_u_f32_e64 s4, v6, v6
	v_cndmask_b32_e64 v21, v22, v6, s4
	s_delay_alu instid0(VALU_DEP_3) | instskip(NEXT) | instid1(VALU_DEP_2)
	v_cndmask_b32_e64 v6, v23, v6, s4
	v_cmp_class_f32_e64 s5, v21, 0x1f8
	s_delay_alu instid0(VALU_DEP_2) | instskip(NEXT) | instid1(VALU_DEP_1)
	v_cmp_neq_f32_e64 s4, v21, v6
	s_or_b32 s4, s4, s5
	s_delay_alu instid0(SALU_CYCLE_1)
	s_and_saveexec_b32 s5, s4
	s_cbranch_execz .LBB145_208
; %bb.207:
	v_sub_f32_e32 v5, v21, v6
	s_delay_alu instid0(VALU_DEP_1) | instskip(SKIP_1) | instid1(VALU_DEP_2)
	v_mul_f32_e32 v21, 0x3fb8aa3b, v5
	v_cmp_ngt_f32_e64 s4, 0xc2ce8ed0, v5
	v_fma_f32 v22, 0x3fb8aa3b, v5, -v21
	v_rndne_f32_e32 v23, v21
	s_delay_alu instid0(VALU_DEP_2) | instskip(NEXT) | instid1(VALU_DEP_2)
	v_fmamk_f32 v22, v5, 0x32a5705f, v22
	v_sub_f32_e32 v21, v21, v23
	s_delay_alu instid0(VALU_DEP_1) | instskip(SKIP_1) | instid1(VALU_DEP_2)
	v_add_f32_e32 v21, v21, v22
	v_cvt_i32_f32_e32 v22, v23
	v_exp_f32_e32 v21, v21
	s_waitcnt_depctr 0xfff
	v_ldexp_f32 v21, v21, v22
	s_delay_alu instid0(VALU_DEP_1) | instskip(SKIP_1) | instid1(VALU_DEP_1)
	v_cndmask_b32_e64 v21, 0, v21, s4
	v_cmp_nlt_f32_e64 s4, 0x42b17218, v5
	v_cndmask_b32_e64 v5, 0x7f800000, v21, s4
	s_delay_alu instid0(VALU_DEP_1) | instskip(SKIP_1) | instid1(VALU_DEP_2)
	v_add_f32_e32 v23, 1.0, v5
	v_cmp_gt_f32_e64 s6, 0x33800000, |v5|
	v_cvt_f64_f32_e32 v[21:22], v23
	s_delay_alu instid0(VALU_DEP_1) | instskip(SKIP_1) | instid1(VALU_DEP_1)
	v_frexp_exp_i32_f64_e32 v21, v[21:22]
	v_frexp_mant_f32_e32 v22, v23
	v_cmp_gt_f32_e64 s4, 0x3f2aaaab, v22
	v_add_f32_e32 v22, -1.0, v23
	s_delay_alu instid0(VALU_DEP_1) | instskip(NEXT) | instid1(VALU_DEP_3)
	v_dual_sub_f32 v25, v22, v23 :: v_dual_sub_f32 v22, v5, v22
	v_subrev_co_ci_u32_e64 v21, s4, 0, v21, s4
	s_mov_b32 s4, 0x3e9b6dac
	s_delay_alu instid0(VALU_DEP_1) | instskip(SKIP_1) | instid1(VALU_DEP_2)
	v_sub_nc_u32_e32 v24, 0, v21
	v_cvt_f32_i32_e32 v21, v21
	v_ldexp_f32 v23, v23, v24
	s_delay_alu instid0(VALU_DEP_1) | instskip(NEXT) | instid1(VALU_DEP_1)
	v_dual_add_f32 v25, 1.0, v25 :: v_dual_add_f32 v26, 1.0, v23
	v_add_f32_e32 v22, v22, v25
	s_delay_alu instid0(VALU_DEP_1) | instskip(NEXT) | instid1(VALU_DEP_3)
	v_ldexp_f32 v22, v22, v24
	v_dual_add_f32 v24, -1.0, v23 :: v_dual_add_f32 v25, -1.0, v26
	s_delay_alu instid0(VALU_DEP_1) | instskip(NEXT) | instid1(VALU_DEP_2)
	v_add_f32_e32 v27, 1.0, v24
	v_sub_f32_e32 v25, v23, v25
	s_delay_alu instid0(VALU_DEP_2) | instskip(NEXT) | instid1(VALU_DEP_2)
	v_sub_f32_e32 v23, v23, v27
	v_add_f32_e32 v25, v22, v25
	s_delay_alu instid0(VALU_DEP_2) | instskip(NEXT) | instid1(VALU_DEP_1)
	v_add_f32_e32 v22, v22, v23
	v_dual_add_f32 v28, v24, v22 :: v_dual_add_f32 v27, v26, v25
	s_delay_alu instid0(VALU_DEP_1) | instskip(NEXT) | instid1(VALU_DEP_2)
	v_sub_f32_e32 v24, v24, v28
	v_rcp_f32_e32 v23, v27
	v_sub_f32_e32 v26, v26, v27
	s_delay_alu instid0(VALU_DEP_1) | instskip(SKIP_2) | instid1(VALU_DEP_1)
	v_dual_add_f32 v22, v22, v24 :: v_dual_add_f32 v25, v25, v26
	s_waitcnt_depctr 0xfff
	v_mul_f32_e32 v29, v28, v23
	v_mul_f32_e32 v30, v27, v29
	s_delay_alu instid0(VALU_DEP_1) | instskip(NEXT) | instid1(VALU_DEP_1)
	v_fma_f32 v26, v29, v27, -v30
	v_fmac_f32_e32 v26, v29, v25
	s_delay_alu instid0(VALU_DEP_1) | instskip(NEXT) | instid1(VALU_DEP_1)
	v_add_f32_e32 v31, v30, v26
	v_sub_f32_e32 v32, v28, v31
	v_sub_f32_e32 v24, v31, v30
	s_delay_alu instid0(VALU_DEP_2) | instskip(NEXT) | instid1(VALU_DEP_2)
	v_sub_f32_e32 v28, v28, v32
	v_sub_f32_e32 v24, v24, v26
	s_delay_alu instid0(VALU_DEP_2) | instskip(NEXT) | instid1(VALU_DEP_1)
	v_sub_f32_e32 v28, v28, v31
	v_add_f32_e32 v22, v22, v28
	s_delay_alu instid0(VALU_DEP_1) | instskip(NEXT) | instid1(VALU_DEP_1)
	v_add_f32_e32 v22, v24, v22
	v_add_f32_e32 v24, v32, v22
	s_delay_alu instid0(VALU_DEP_1) | instskip(NEXT) | instid1(VALU_DEP_1)
	v_mul_f32_e32 v26, v23, v24
	v_dual_sub_f32 v31, v32, v24 :: v_dual_mul_f32 v28, v27, v26
	s_delay_alu instid0(VALU_DEP_1) | instskip(NEXT) | instid1(VALU_DEP_2)
	v_add_f32_e32 v22, v22, v31
	v_fma_f32 v27, v26, v27, -v28
	s_delay_alu instid0(VALU_DEP_1) | instskip(NEXT) | instid1(VALU_DEP_1)
	v_fmac_f32_e32 v27, v26, v25
	v_add_f32_e32 v25, v28, v27
	s_delay_alu instid0(VALU_DEP_1) | instskip(NEXT) | instid1(VALU_DEP_1)
	v_sub_f32_e32 v30, v24, v25
	v_sub_f32_e32 v24, v24, v30
	s_delay_alu instid0(VALU_DEP_1) | instskip(NEXT) | instid1(VALU_DEP_1)
	v_sub_f32_e32 v24, v24, v25
	v_add_f32_e32 v22, v22, v24
	v_add_f32_e32 v24, v29, v26
	v_sub_f32_e32 v28, v25, v28
	s_delay_alu instid0(VALU_DEP_1) | instskip(NEXT) | instid1(VALU_DEP_1)
	v_sub_f32_e32 v25, v28, v27
	v_dual_add_f32 v22, v25, v22 :: v_dual_sub_f32 v25, v24, v29
	s_delay_alu instid0(VALU_DEP_1) | instskip(NEXT) | instid1(VALU_DEP_1)
	v_add_f32_e32 v22, v30, v22
	v_dual_sub_f32 v25, v26, v25 :: v_dual_mul_f32 v22, v23, v22
	s_delay_alu instid0(VALU_DEP_1) | instskip(NEXT) | instid1(VALU_DEP_1)
	v_add_f32_e32 v22, v25, v22
	v_add_f32_e32 v23, v24, v22
	s_delay_alu instid0(VALU_DEP_1) | instskip(NEXT) | instid1(VALU_DEP_1)
	v_mul_f32_e32 v25, v23, v23
	v_fmaak_f32 v26, s4, v25, 0x3ecc95a3
	v_mul_f32_e32 v27, v23, v25
	v_cmp_eq_f32_e64 s4, 0x7f800000, v5
	s_delay_alu instid0(VALU_DEP_3) | instskip(SKIP_2) | instid1(VALU_DEP_4)
	v_fmaak_f32 v25, v25, v26, 0x3f2aaada
	v_ldexp_f32 v26, v23, 1
	v_sub_f32_e32 v23, v23, v24
	s_or_b32 s4, s4, s6
	s_delay_alu instid0(VALU_DEP_3) | instskip(NEXT) | instid1(VALU_DEP_2)
	v_mul_f32_e32 v25, v27, v25
	v_dual_mul_f32 v27, 0x3f317218, v21 :: v_dual_sub_f32 v22, v22, v23
	s_delay_alu instid0(VALU_DEP_2) | instskip(NEXT) | instid1(VALU_DEP_2)
	v_add_f32_e32 v24, v26, v25
	v_ldexp_f32 v22, v22, 1
	s_delay_alu instid0(VALU_DEP_2) | instskip(NEXT) | instid1(VALU_DEP_4)
	v_sub_f32_e32 v23, v24, v26
	v_fma_f32 v26, 0x3f317218, v21, -v27
	s_delay_alu instid0(VALU_DEP_2) | instskip(NEXT) | instid1(VALU_DEP_1)
	v_sub_f32_e32 v23, v25, v23
	v_dual_fmamk_f32 v21, v21, 0xb102e308, v26 :: v_dual_add_f32 v22, v22, v23
	s_delay_alu instid0(VALU_DEP_1) | instskip(NEXT) | instid1(VALU_DEP_1)
	v_add_f32_e32 v23, v27, v21
	v_sub_f32_e32 v27, v23, v27
	s_delay_alu instid0(VALU_DEP_1) | instskip(NEXT) | instid1(VALU_DEP_4)
	v_sub_f32_e32 v21, v21, v27
	v_add_f32_e32 v25, v24, v22
	s_delay_alu instid0(VALU_DEP_1) | instskip(NEXT) | instid1(VALU_DEP_1)
	v_sub_f32_e32 v24, v25, v24
	v_sub_f32_e32 v22, v22, v24
	v_add_f32_e32 v26, v23, v25
	s_delay_alu instid0(VALU_DEP_1) | instskip(NEXT) | instid1(VALU_DEP_1)
	v_sub_f32_e32 v28, v26, v23
	v_sub_f32_e32 v24, v25, v28
	s_delay_alu instid0(VALU_DEP_4) | instskip(SKIP_1) | instid1(VALU_DEP_1)
	v_add_f32_e32 v25, v21, v22
	v_sub_f32_e32 v29, v26, v28
	v_sub_f32_e32 v23, v23, v29
	s_delay_alu instid0(VALU_DEP_1) | instskip(NEXT) | instid1(VALU_DEP_1)
	v_dual_add_f32 v23, v24, v23 :: v_dual_sub_f32 v24, v25, v21
	v_dual_add_f32 v23, v25, v23 :: v_dual_sub_f32 v22, v22, v24
	v_sub_f32_e32 v25, v25, v24
	s_delay_alu instid0(VALU_DEP_2) | instskip(NEXT) | instid1(VALU_DEP_1)
	v_add_f32_e32 v27, v26, v23
	v_dual_sub_f32 v21, v21, v25 :: v_dual_sub_f32 v24, v27, v26
	s_delay_alu instid0(VALU_DEP_1) | instskip(NEXT) | instid1(VALU_DEP_1)
	v_dual_add_f32 v21, v22, v21 :: v_dual_sub_f32 v22, v23, v24
	v_add_f32_e32 v21, v21, v22
	s_delay_alu instid0(VALU_DEP_1) | instskip(NEXT) | instid1(VALU_DEP_1)
	v_add_f32_e32 v21, v27, v21
	v_cndmask_b32_e64 v5, v21, v5, s4
	s_delay_alu instid0(VALU_DEP_1)
	v_add_f32_e32 v5, v6, v5
.LBB145_208:
	s_or_b32 exec_lo, exec_lo, s5
	ds_load_b32 v6, v20 offset:24
	v_max_f32_e32 v21, v5, v5
	v_cmp_u_f32_e64 s4, v5, v5
	ds_store_b32 v20, v5 offset:20
	s_waitcnt lgkmcnt(1)
	v_max_f32_e32 v22, v6, v6
	s_delay_alu instid0(VALU_DEP_1) | instskip(SKIP_1) | instid1(VALU_DEP_2)
	v_min_f32_e32 v23, v21, v22
	v_max_f32_e32 v21, v21, v22
	v_cndmask_b32_e64 v22, v23, v5, s4
	s_delay_alu instid0(VALU_DEP_2) | instskip(SKIP_1) | instid1(VALU_DEP_1)
	v_cndmask_b32_e64 v23, v21, v5, s4
	v_cmp_u_f32_e64 s4, v6, v6
	v_cndmask_b32_e64 v21, v22, v6, s4
	s_delay_alu instid0(VALU_DEP_3) | instskip(NEXT) | instid1(VALU_DEP_2)
	v_cndmask_b32_e64 v6, v23, v6, s4
	v_cmp_class_f32_e64 s5, v21, 0x1f8
	s_delay_alu instid0(VALU_DEP_2) | instskip(NEXT) | instid1(VALU_DEP_1)
	v_cmp_neq_f32_e64 s4, v21, v6
	s_or_b32 s4, s4, s5
	s_delay_alu instid0(SALU_CYCLE_1)
	s_and_saveexec_b32 s5, s4
	s_cbranch_execz .LBB145_210
; %bb.209:
	v_sub_f32_e32 v5, v21, v6
	s_delay_alu instid0(VALU_DEP_1) | instskip(SKIP_1) | instid1(VALU_DEP_2)
	v_mul_f32_e32 v21, 0x3fb8aa3b, v5
	v_cmp_ngt_f32_e64 s4, 0xc2ce8ed0, v5
	v_fma_f32 v22, 0x3fb8aa3b, v5, -v21
	v_rndne_f32_e32 v23, v21
	s_delay_alu instid0(VALU_DEP_2) | instskip(NEXT) | instid1(VALU_DEP_2)
	v_fmamk_f32 v22, v5, 0x32a5705f, v22
	v_sub_f32_e32 v21, v21, v23
	s_delay_alu instid0(VALU_DEP_1) | instskip(SKIP_1) | instid1(VALU_DEP_2)
	v_add_f32_e32 v21, v21, v22
	v_cvt_i32_f32_e32 v22, v23
	v_exp_f32_e32 v21, v21
	s_waitcnt_depctr 0xfff
	v_ldexp_f32 v21, v21, v22
	s_delay_alu instid0(VALU_DEP_1) | instskip(SKIP_1) | instid1(VALU_DEP_1)
	v_cndmask_b32_e64 v21, 0, v21, s4
	v_cmp_nlt_f32_e64 s4, 0x42b17218, v5
	v_cndmask_b32_e64 v5, 0x7f800000, v21, s4
	s_delay_alu instid0(VALU_DEP_1) | instskip(SKIP_1) | instid1(VALU_DEP_2)
	v_add_f32_e32 v23, 1.0, v5
	v_cmp_gt_f32_e64 s6, 0x33800000, |v5|
	v_cvt_f64_f32_e32 v[21:22], v23
	s_delay_alu instid0(VALU_DEP_1) | instskip(SKIP_1) | instid1(VALU_DEP_1)
	v_frexp_exp_i32_f64_e32 v21, v[21:22]
	v_frexp_mant_f32_e32 v22, v23
	v_cmp_gt_f32_e64 s4, 0x3f2aaaab, v22
	v_add_f32_e32 v22, -1.0, v23
	s_delay_alu instid0(VALU_DEP_1) | instskip(NEXT) | instid1(VALU_DEP_3)
	v_dual_sub_f32 v25, v22, v23 :: v_dual_sub_f32 v22, v5, v22
	v_subrev_co_ci_u32_e64 v21, s4, 0, v21, s4
	s_mov_b32 s4, 0x3e9b6dac
	s_delay_alu instid0(VALU_DEP_1) | instskip(SKIP_1) | instid1(VALU_DEP_2)
	v_sub_nc_u32_e32 v24, 0, v21
	v_cvt_f32_i32_e32 v21, v21
	v_ldexp_f32 v23, v23, v24
	s_delay_alu instid0(VALU_DEP_1) | instskip(NEXT) | instid1(VALU_DEP_1)
	v_dual_add_f32 v25, 1.0, v25 :: v_dual_add_f32 v26, 1.0, v23
	v_add_f32_e32 v22, v22, v25
	s_delay_alu instid0(VALU_DEP_1) | instskip(NEXT) | instid1(VALU_DEP_3)
	v_ldexp_f32 v22, v22, v24
	v_dual_add_f32 v24, -1.0, v23 :: v_dual_add_f32 v25, -1.0, v26
	s_delay_alu instid0(VALU_DEP_1) | instskip(NEXT) | instid1(VALU_DEP_2)
	v_add_f32_e32 v27, 1.0, v24
	v_sub_f32_e32 v25, v23, v25
	s_delay_alu instid0(VALU_DEP_2) | instskip(NEXT) | instid1(VALU_DEP_2)
	v_sub_f32_e32 v23, v23, v27
	v_add_f32_e32 v25, v22, v25
	s_delay_alu instid0(VALU_DEP_2) | instskip(NEXT) | instid1(VALU_DEP_1)
	v_add_f32_e32 v22, v22, v23
	v_dual_add_f32 v28, v24, v22 :: v_dual_add_f32 v27, v26, v25
	s_delay_alu instid0(VALU_DEP_1) | instskip(NEXT) | instid1(VALU_DEP_2)
	v_sub_f32_e32 v24, v24, v28
	v_rcp_f32_e32 v23, v27
	v_sub_f32_e32 v26, v26, v27
	s_delay_alu instid0(VALU_DEP_1) | instskip(SKIP_2) | instid1(VALU_DEP_1)
	v_dual_add_f32 v22, v22, v24 :: v_dual_add_f32 v25, v25, v26
	s_waitcnt_depctr 0xfff
	v_mul_f32_e32 v29, v28, v23
	v_mul_f32_e32 v30, v27, v29
	s_delay_alu instid0(VALU_DEP_1) | instskip(NEXT) | instid1(VALU_DEP_1)
	v_fma_f32 v26, v29, v27, -v30
	v_fmac_f32_e32 v26, v29, v25
	s_delay_alu instid0(VALU_DEP_1) | instskip(NEXT) | instid1(VALU_DEP_1)
	v_add_f32_e32 v31, v30, v26
	v_sub_f32_e32 v32, v28, v31
	v_sub_f32_e32 v24, v31, v30
	s_delay_alu instid0(VALU_DEP_2) | instskip(NEXT) | instid1(VALU_DEP_2)
	v_sub_f32_e32 v28, v28, v32
	v_sub_f32_e32 v24, v24, v26
	s_delay_alu instid0(VALU_DEP_2) | instskip(NEXT) | instid1(VALU_DEP_1)
	v_sub_f32_e32 v28, v28, v31
	v_add_f32_e32 v22, v22, v28
	s_delay_alu instid0(VALU_DEP_1) | instskip(NEXT) | instid1(VALU_DEP_1)
	v_add_f32_e32 v22, v24, v22
	v_add_f32_e32 v24, v32, v22
	s_delay_alu instid0(VALU_DEP_1) | instskip(NEXT) | instid1(VALU_DEP_1)
	v_mul_f32_e32 v26, v23, v24
	v_dual_sub_f32 v31, v32, v24 :: v_dual_mul_f32 v28, v27, v26
	s_delay_alu instid0(VALU_DEP_1) | instskip(NEXT) | instid1(VALU_DEP_2)
	v_add_f32_e32 v22, v22, v31
	v_fma_f32 v27, v26, v27, -v28
	s_delay_alu instid0(VALU_DEP_1) | instskip(NEXT) | instid1(VALU_DEP_1)
	v_fmac_f32_e32 v27, v26, v25
	v_add_f32_e32 v25, v28, v27
	s_delay_alu instid0(VALU_DEP_1) | instskip(NEXT) | instid1(VALU_DEP_1)
	v_sub_f32_e32 v30, v24, v25
	v_sub_f32_e32 v24, v24, v30
	s_delay_alu instid0(VALU_DEP_1) | instskip(NEXT) | instid1(VALU_DEP_1)
	v_sub_f32_e32 v24, v24, v25
	v_add_f32_e32 v22, v22, v24
	v_add_f32_e32 v24, v29, v26
	v_sub_f32_e32 v28, v25, v28
	s_delay_alu instid0(VALU_DEP_1) | instskip(NEXT) | instid1(VALU_DEP_1)
	v_sub_f32_e32 v25, v28, v27
	v_dual_add_f32 v22, v25, v22 :: v_dual_sub_f32 v25, v24, v29
	s_delay_alu instid0(VALU_DEP_1) | instskip(NEXT) | instid1(VALU_DEP_1)
	v_add_f32_e32 v22, v30, v22
	v_dual_sub_f32 v25, v26, v25 :: v_dual_mul_f32 v22, v23, v22
	s_delay_alu instid0(VALU_DEP_1) | instskip(NEXT) | instid1(VALU_DEP_1)
	v_add_f32_e32 v22, v25, v22
	v_add_f32_e32 v23, v24, v22
	s_delay_alu instid0(VALU_DEP_1) | instskip(NEXT) | instid1(VALU_DEP_1)
	v_mul_f32_e32 v25, v23, v23
	v_fmaak_f32 v26, s4, v25, 0x3ecc95a3
	v_mul_f32_e32 v27, v23, v25
	v_cmp_eq_f32_e64 s4, 0x7f800000, v5
	s_delay_alu instid0(VALU_DEP_3) | instskip(SKIP_2) | instid1(VALU_DEP_4)
	v_fmaak_f32 v25, v25, v26, 0x3f2aaada
	v_ldexp_f32 v26, v23, 1
	v_sub_f32_e32 v23, v23, v24
	s_or_b32 s4, s4, s6
	s_delay_alu instid0(VALU_DEP_3) | instskip(NEXT) | instid1(VALU_DEP_2)
	v_mul_f32_e32 v25, v27, v25
	v_dual_mul_f32 v27, 0x3f317218, v21 :: v_dual_sub_f32 v22, v22, v23
	s_delay_alu instid0(VALU_DEP_2) | instskip(NEXT) | instid1(VALU_DEP_2)
	v_add_f32_e32 v24, v26, v25
	v_ldexp_f32 v22, v22, 1
	s_delay_alu instid0(VALU_DEP_2) | instskip(NEXT) | instid1(VALU_DEP_4)
	v_sub_f32_e32 v23, v24, v26
	v_fma_f32 v26, 0x3f317218, v21, -v27
	s_delay_alu instid0(VALU_DEP_2) | instskip(NEXT) | instid1(VALU_DEP_1)
	v_sub_f32_e32 v23, v25, v23
	v_dual_fmamk_f32 v21, v21, 0xb102e308, v26 :: v_dual_add_f32 v22, v22, v23
	s_delay_alu instid0(VALU_DEP_1) | instskip(NEXT) | instid1(VALU_DEP_1)
	v_add_f32_e32 v23, v27, v21
	v_sub_f32_e32 v27, v23, v27
	s_delay_alu instid0(VALU_DEP_1) | instskip(NEXT) | instid1(VALU_DEP_4)
	v_sub_f32_e32 v21, v21, v27
	v_add_f32_e32 v25, v24, v22
	s_delay_alu instid0(VALU_DEP_1) | instskip(NEXT) | instid1(VALU_DEP_1)
	v_sub_f32_e32 v24, v25, v24
	v_sub_f32_e32 v22, v22, v24
	v_add_f32_e32 v26, v23, v25
	s_delay_alu instid0(VALU_DEP_1) | instskip(NEXT) | instid1(VALU_DEP_1)
	v_sub_f32_e32 v28, v26, v23
	v_sub_f32_e32 v24, v25, v28
	s_delay_alu instid0(VALU_DEP_4) | instskip(SKIP_1) | instid1(VALU_DEP_1)
	v_add_f32_e32 v25, v21, v22
	v_sub_f32_e32 v29, v26, v28
	v_sub_f32_e32 v23, v23, v29
	s_delay_alu instid0(VALU_DEP_1) | instskip(NEXT) | instid1(VALU_DEP_1)
	v_dual_add_f32 v23, v24, v23 :: v_dual_sub_f32 v24, v25, v21
	v_dual_add_f32 v23, v25, v23 :: v_dual_sub_f32 v22, v22, v24
	v_sub_f32_e32 v25, v25, v24
	s_delay_alu instid0(VALU_DEP_2) | instskip(NEXT) | instid1(VALU_DEP_1)
	v_add_f32_e32 v27, v26, v23
	v_dual_sub_f32 v21, v21, v25 :: v_dual_sub_f32 v24, v27, v26
	s_delay_alu instid0(VALU_DEP_1) | instskip(NEXT) | instid1(VALU_DEP_1)
	v_dual_add_f32 v21, v22, v21 :: v_dual_sub_f32 v22, v23, v24
	v_add_f32_e32 v21, v21, v22
	s_delay_alu instid0(VALU_DEP_1) | instskip(NEXT) | instid1(VALU_DEP_1)
	v_add_f32_e32 v21, v27, v21
	v_cndmask_b32_e64 v5, v21, v5, s4
	s_delay_alu instid0(VALU_DEP_1)
	v_add_f32_e32 v5, v6, v5
.LBB145_210:
	s_or_b32 exec_lo, exec_lo, s5
	ds_load_b32 v6, v20 offset:28
	v_max_f32_e32 v21, v5, v5
	v_cmp_u_f32_e64 s4, v5, v5
	ds_store_b32 v20, v5 offset:24
	s_waitcnt lgkmcnt(1)
	v_max_f32_e32 v22, v6, v6
	s_delay_alu instid0(VALU_DEP_1) | instskip(SKIP_1) | instid1(VALU_DEP_2)
	v_min_f32_e32 v23, v21, v22
	v_max_f32_e32 v21, v21, v22
	v_cndmask_b32_e64 v22, v23, v5, s4
	s_delay_alu instid0(VALU_DEP_2) | instskip(SKIP_1) | instid1(VALU_DEP_1)
	v_cndmask_b32_e64 v23, v21, v5, s4
	v_cmp_u_f32_e64 s4, v6, v6
	v_cndmask_b32_e64 v21, v22, v6, s4
	s_delay_alu instid0(VALU_DEP_3) | instskip(NEXT) | instid1(VALU_DEP_2)
	v_cndmask_b32_e64 v6, v23, v6, s4
	v_cmp_class_f32_e64 s5, v21, 0x1f8
	s_delay_alu instid0(VALU_DEP_2) | instskip(NEXT) | instid1(VALU_DEP_1)
	v_cmp_neq_f32_e64 s4, v21, v6
	s_or_b32 s4, s4, s5
	s_delay_alu instid0(SALU_CYCLE_1)
	s_and_saveexec_b32 s5, s4
	s_cbranch_execz .LBB145_212
; %bb.211:
	v_sub_f32_e32 v5, v21, v6
	s_delay_alu instid0(VALU_DEP_1) | instskip(SKIP_1) | instid1(VALU_DEP_2)
	v_mul_f32_e32 v21, 0x3fb8aa3b, v5
	v_cmp_ngt_f32_e64 s4, 0xc2ce8ed0, v5
	v_fma_f32 v22, 0x3fb8aa3b, v5, -v21
	v_rndne_f32_e32 v23, v21
	s_delay_alu instid0(VALU_DEP_2) | instskip(NEXT) | instid1(VALU_DEP_2)
	v_fmamk_f32 v22, v5, 0x32a5705f, v22
	v_sub_f32_e32 v21, v21, v23
	s_delay_alu instid0(VALU_DEP_1) | instskip(SKIP_1) | instid1(VALU_DEP_2)
	v_add_f32_e32 v21, v21, v22
	v_cvt_i32_f32_e32 v22, v23
	v_exp_f32_e32 v21, v21
	s_waitcnt_depctr 0xfff
	v_ldexp_f32 v21, v21, v22
	s_delay_alu instid0(VALU_DEP_1) | instskip(SKIP_1) | instid1(VALU_DEP_1)
	v_cndmask_b32_e64 v21, 0, v21, s4
	v_cmp_nlt_f32_e64 s4, 0x42b17218, v5
	v_cndmask_b32_e64 v5, 0x7f800000, v21, s4
	s_delay_alu instid0(VALU_DEP_1) | instskip(SKIP_1) | instid1(VALU_DEP_2)
	v_add_f32_e32 v23, 1.0, v5
	v_cmp_gt_f32_e64 s6, 0x33800000, |v5|
	v_cvt_f64_f32_e32 v[21:22], v23
	s_delay_alu instid0(VALU_DEP_1) | instskip(SKIP_1) | instid1(VALU_DEP_1)
	v_frexp_exp_i32_f64_e32 v21, v[21:22]
	v_frexp_mant_f32_e32 v22, v23
	v_cmp_gt_f32_e64 s4, 0x3f2aaaab, v22
	v_add_f32_e32 v22, -1.0, v23
	s_delay_alu instid0(VALU_DEP_1) | instskip(NEXT) | instid1(VALU_DEP_3)
	v_dual_sub_f32 v25, v22, v23 :: v_dual_sub_f32 v22, v5, v22
	v_subrev_co_ci_u32_e64 v21, s4, 0, v21, s4
	s_mov_b32 s4, 0x3e9b6dac
	s_delay_alu instid0(VALU_DEP_1) | instskip(SKIP_1) | instid1(VALU_DEP_2)
	v_sub_nc_u32_e32 v24, 0, v21
	v_cvt_f32_i32_e32 v21, v21
	v_ldexp_f32 v23, v23, v24
	s_delay_alu instid0(VALU_DEP_1) | instskip(NEXT) | instid1(VALU_DEP_1)
	v_dual_add_f32 v25, 1.0, v25 :: v_dual_add_f32 v26, 1.0, v23
	v_add_f32_e32 v22, v22, v25
	s_delay_alu instid0(VALU_DEP_1) | instskip(NEXT) | instid1(VALU_DEP_3)
	v_ldexp_f32 v22, v22, v24
	v_dual_add_f32 v24, -1.0, v23 :: v_dual_add_f32 v25, -1.0, v26
	s_delay_alu instid0(VALU_DEP_1) | instskip(NEXT) | instid1(VALU_DEP_2)
	v_add_f32_e32 v27, 1.0, v24
	v_sub_f32_e32 v25, v23, v25
	s_delay_alu instid0(VALU_DEP_2) | instskip(NEXT) | instid1(VALU_DEP_2)
	v_sub_f32_e32 v23, v23, v27
	v_add_f32_e32 v25, v22, v25
	s_delay_alu instid0(VALU_DEP_2) | instskip(NEXT) | instid1(VALU_DEP_1)
	v_add_f32_e32 v22, v22, v23
	v_dual_add_f32 v28, v24, v22 :: v_dual_add_f32 v27, v26, v25
	s_delay_alu instid0(VALU_DEP_1) | instskip(NEXT) | instid1(VALU_DEP_2)
	v_sub_f32_e32 v24, v24, v28
	v_rcp_f32_e32 v23, v27
	v_sub_f32_e32 v26, v26, v27
	s_delay_alu instid0(VALU_DEP_1) | instskip(SKIP_2) | instid1(VALU_DEP_1)
	v_dual_add_f32 v22, v22, v24 :: v_dual_add_f32 v25, v25, v26
	s_waitcnt_depctr 0xfff
	v_mul_f32_e32 v29, v28, v23
	v_mul_f32_e32 v30, v27, v29
	s_delay_alu instid0(VALU_DEP_1) | instskip(NEXT) | instid1(VALU_DEP_1)
	v_fma_f32 v26, v29, v27, -v30
	v_fmac_f32_e32 v26, v29, v25
	s_delay_alu instid0(VALU_DEP_1) | instskip(NEXT) | instid1(VALU_DEP_1)
	v_add_f32_e32 v31, v30, v26
	v_sub_f32_e32 v32, v28, v31
	v_sub_f32_e32 v24, v31, v30
	s_delay_alu instid0(VALU_DEP_2) | instskip(NEXT) | instid1(VALU_DEP_2)
	v_sub_f32_e32 v28, v28, v32
	v_sub_f32_e32 v24, v24, v26
	s_delay_alu instid0(VALU_DEP_2) | instskip(NEXT) | instid1(VALU_DEP_1)
	v_sub_f32_e32 v28, v28, v31
	v_add_f32_e32 v22, v22, v28
	s_delay_alu instid0(VALU_DEP_1) | instskip(NEXT) | instid1(VALU_DEP_1)
	v_add_f32_e32 v22, v24, v22
	v_add_f32_e32 v24, v32, v22
	s_delay_alu instid0(VALU_DEP_1) | instskip(NEXT) | instid1(VALU_DEP_1)
	v_mul_f32_e32 v26, v23, v24
	v_dual_sub_f32 v31, v32, v24 :: v_dual_mul_f32 v28, v27, v26
	s_delay_alu instid0(VALU_DEP_1) | instskip(NEXT) | instid1(VALU_DEP_2)
	v_add_f32_e32 v22, v22, v31
	v_fma_f32 v27, v26, v27, -v28
	s_delay_alu instid0(VALU_DEP_1) | instskip(NEXT) | instid1(VALU_DEP_1)
	v_fmac_f32_e32 v27, v26, v25
	v_add_f32_e32 v25, v28, v27
	s_delay_alu instid0(VALU_DEP_1) | instskip(NEXT) | instid1(VALU_DEP_1)
	v_sub_f32_e32 v30, v24, v25
	v_sub_f32_e32 v24, v24, v30
	s_delay_alu instid0(VALU_DEP_1) | instskip(NEXT) | instid1(VALU_DEP_1)
	v_sub_f32_e32 v24, v24, v25
	v_add_f32_e32 v22, v22, v24
	v_add_f32_e32 v24, v29, v26
	v_sub_f32_e32 v28, v25, v28
	s_delay_alu instid0(VALU_DEP_1) | instskip(NEXT) | instid1(VALU_DEP_1)
	v_sub_f32_e32 v25, v28, v27
	v_dual_add_f32 v22, v25, v22 :: v_dual_sub_f32 v25, v24, v29
	s_delay_alu instid0(VALU_DEP_1) | instskip(NEXT) | instid1(VALU_DEP_1)
	v_add_f32_e32 v22, v30, v22
	v_dual_sub_f32 v25, v26, v25 :: v_dual_mul_f32 v22, v23, v22
	s_delay_alu instid0(VALU_DEP_1) | instskip(NEXT) | instid1(VALU_DEP_1)
	v_add_f32_e32 v22, v25, v22
	v_add_f32_e32 v23, v24, v22
	s_delay_alu instid0(VALU_DEP_1) | instskip(NEXT) | instid1(VALU_DEP_1)
	v_mul_f32_e32 v25, v23, v23
	v_fmaak_f32 v26, s4, v25, 0x3ecc95a3
	v_mul_f32_e32 v27, v23, v25
	v_cmp_eq_f32_e64 s4, 0x7f800000, v5
	s_delay_alu instid0(VALU_DEP_3) | instskip(SKIP_2) | instid1(VALU_DEP_4)
	v_fmaak_f32 v25, v25, v26, 0x3f2aaada
	v_ldexp_f32 v26, v23, 1
	v_sub_f32_e32 v23, v23, v24
	s_or_b32 s4, s4, s6
	s_delay_alu instid0(VALU_DEP_3) | instskip(NEXT) | instid1(VALU_DEP_2)
	v_mul_f32_e32 v25, v27, v25
	v_dual_mul_f32 v27, 0x3f317218, v21 :: v_dual_sub_f32 v22, v22, v23
	s_delay_alu instid0(VALU_DEP_2) | instskip(NEXT) | instid1(VALU_DEP_2)
	v_add_f32_e32 v24, v26, v25
	v_ldexp_f32 v22, v22, 1
	s_delay_alu instid0(VALU_DEP_2) | instskip(NEXT) | instid1(VALU_DEP_4)
	v_sub_f32_e32 v23, v24, v26
	v_fma_f32 v26, 0x3f317218, v21, -v27
	s_delay_alu instid0(VALU_DEP_2) | instskip(NEXT) | instid1(VALU_DEP_1)
	v_sub_f32_e32 v23, v25, v23
	v_dual_fmamk_f32 v21, v21, 0xb102e308, v26 :: v_dual_add_f32 v22, v22, v23
	s_delay_alu instid0(VALU_DEP_1) | instskip(NEXT) | instid1(VALU_DEP_1)
	v_add_f32_e32 v23, v27, v21
	v_sub_f32_e32 v27, v23, v27
	s_delay_alu instid0(VALU_DEP_1) | instskip(NEXT) | instid1(VALU_DEP_4)
	v_sub_f32_e32 v21, v21, v27
	v_add_f32_e32 v25, v24, v22
	s_delay_alu instid0(VALU_DEP_1) | instskip(NEXT) | instid1(VALU_DEP_1)
	v_sub_f32_e32 v24, v25, v24
	v_sub_f32_e32 v22, v22, v24
	v_add_f32_e32 v26, v23, v25
	s_delay_alu instid0(VALU_DEP_1) | instskip(NEXT) | instid1(VALU_DEP_1)
	v_sub_f32_e32 v28, v26, v23
	v_sub_f32_e32 v24, v25, v28
	s_delay_alu instid0(VALU_DEP_4) | instskip(SKIP_1) | instid1(VALU_DEP_1)
	v_add_f32_e32 v25, v21, v22
	v_sub_f32_e32 v29, v26, v28
	v_sub_f32_e32 v23, v23, v29
	s_delay_alu instid0(VALU_DEP_1) | instskip(NEXT) | instid1(VALU_DEP_1)
	v_dual_add_f32 v23, v24, v23 :: v_dual_sub_f32 v24, v25, v21
	v_dual_add_f32 v23, v25, v23 :: v_dual_sub_f32 v22, v22, v24
	v_sub_f32_e32 v25, v25, v24
	s_delay_alu instid0(VALU_DEP_2) | instskip(NEXT) | instid1(VALU_DEP_1)
	v_add_f32_e32 v27, v26, v23
	v_dual_sub_f32 v21, v21, v25 :: v_dual_sub_f32 v24, v27, v26
	s_delay_alu instid0(VALU_DEP_1) | instskip(NEXT) | instid1(VALU_DEP_1)
	v_dual_add_f32 v21, v22, v21 :: v_dual_sub_f32 v22, v23, v24
	v_add_f32_e32 v21, v21, v22
	s_delay_alu instid0(VALU_DEP_1) | instskip(NEXT) | instid1(VALU_DEP_1)
	v_add_f32_e32 v21, v27, v21
	v_cndmask_b32_e64 v5, v21, v5, s4
	s_delay_alu instid0(VALU_DEP_1)
	v_add_f32_e32 v5, v6, v5
.LBB145_212:
	s_or_b32 exec_lo, exec_lo, s5
	ds_store_b32 v20, v5 offset:28
.LBB145_213:
	s_or_b32 exec_lo, exec_lo, s7
	s_waitcnt lgkmcnt(0)
	s_barrier
	buffer_gl0_inv
	s_and_saveexec_b32 s4, vcc_lo
	s_cbranch_execz .LBB145_215
; %bb.214:
	v_add_nc_u32_e32 v4, -1, v0
	s_delay_alu instid0(VALU_DEP_1) | instskip(NEXT) | instid1(VALU_DEP_1)
	v_lshrrev_b32_e32 v5, 5, v4
	v_add_lshl_u32 v4, v5, v4, 2
	ds_load_b32 v4, v4
.LBB145_215:
	s_or_b32 exec_lo, exec_lo, s4
	s_and_saveexec_b32 s4, vcc_lo
	s_cbranch_execz .LBB145_219
; %bb.216:
	s_waitcnt lgkmcnt(0)
	v_max_f32_e32 v3, v4, v4
	v_cmp_u_f32_e32 vcc_lo, v4, v4
	s_delay_alu instid0(VALU_DEP_2) | instskip(SKIP_1) | instid1(VALU_DEP_2)
	v_min_f32_e32 v5, v3, v19
	v_max_f32_e32 v3, v3, v19
	v_cndmask_b32_e32 v5, v5, v4, vcc_lo
	s_delay_alu instid0(VALU_DEP_2) | instskip(NEXT) | instid1(VALU_DEP_2)
	v_cndmask_b32_e32 v6, v3, v4, vcc_lo
	v_cndmask_b32_e64 v3, v5, v1, s3
	s_delay_alu instid0(VALU_DEP_2) | instskip(NEXT) | instid1(VALU_DEP_2)
	v_cndmask_b32_e64 v1, v6, v1, s3
	v_cmp_class_f32_e64 s3, v3, 0x1f8
	s_delay_alu instid0(VALU_DEP_2) | instskip(NEXT) | instid1(VALU_DEP_2)
	v_cmp_neq_f32_e32 vcc_lo, v3, v1
	s_or_b32 s5, vcc_lo, s3
	s_delay_alu instid0(SALU_CYCLE_1)
	s_and_saveexec_b32 s3, s5
	s_cbranch_execz .LBB145_218
; %bb.217:
	v_sub_f32_e32 v3, v3, v1
	s_mov_b32 s5, 0x3e9b6dac
	s_delay_alu instid0(VALU_DEP_1) | instskip(NEXT) | instid1(VALU_DEP_1)
	v_mul_f32_e32 v4, 0x3fb8aa3b, v3
	v_fma_f32 v5, 0x3fb8aa3b, v3, -v4
	v_rndne_f32_e32 v6, v4
	s_delay_alu instid0(VALU_DEP_1) | instskip(SKIP_1) | instid1(VALU_DEP_4)
	v_sub_f32_e32 v4, v4, v6
	v_cmp_ngt_f32_e32 vcc_lo, 0xc2ce8ed0, v3
	v_fmamk_f32 v5, v3, 0x32a5705f, v5
	s_delay_alu instid0(VALU_DEP_1) | instskip(SKIP_1) | instid1(VALU_DEP_2)
	v_add_f32_e32 v4, v4, v5
	v_cvt_i32_f32_e32 v5, v6
	v_exp_f32_e32 v4, v4
	s_waitcnt_depctr 0xfff
	v_ldexp_f32 v4, v4, v5
	s_delay_alu instid0(VALU_DEP_1) | instskip(SKIP_1) | instid1(VALU_DEP_2)
	v_cndmask_b32_e32 v4, 0, v4, vcc_lo
	v_cmp_nlt_f32_e32 vcc_lo, 0x42b17218, v3
	v_cndmask_b32_e32 v5, 0x7f800000, v4, vcc_lo
	s_delay_alu instid0(VALU_DEP_1) | instskip(NEXT) | instid1(VALU_DEP_1)
	v_add_f32_e32 v6, 1.0, v5
	v_cvt_f64_f32_e32 v[3:4], v6
	s_delay_alu instid0(VALU_DEP_1) | instskip(SKIP_1) | instid1(VALU_DEP_1)
	v_frexp_exp_i32_f64_e32 v3, v[3:4]
	v_frexp_mant_f32_e32 v4, v6
	v_cmp_gt_f32_e32 vcc_lo, 0x3f2aaaab, v4
	v_add_f32_e32 v4, -1.0, v6
	s_delay_alu instid0(VALU_DEP_1) | instskip(SKIP_1) | instid1(VALU_DEP_2)
	v_sub_f32_e32 v12, v4, v6
	v_sub_f32_e32 v4, v5, v4
	v_add_f32_e32 v12, 1.0, v12
	s_delay_alu instid0(VALU_DEP_1) | instskip(SKIP_2) | instid1(VALU_DEP_2)
	v_add_f32_e32 v4, v4, v12
	v_subrev_co_ci_u32_e32 v3, vcc_lo, 0, v3, vcc_lo
	v_cmp_eq_f32_e32 vcc_lo, 0x7f800000, v5
	v_sub_nc_u32_e32 v11, 0, v3
	v_cvt_f32_i32_e32 v3, v3
	s_delay_alu instid0(VALU_DEP_2) | instskip(SKIP_1) | instid1(VALU_DEP_2)
	v_ldexp_f32 v6, v6, v11
	v_ldexp_f32 v4, v4, v11
	v_add_f32_e32 v19, 1.0, v6
	s_delay_alu instid0(VALU_DEP_1) | instskip(NEXT) | instid1(VALU_DEP_1)
	v_dual_add_f32 v11, -1.0, v6 :: v_dual_add_f32 v12, -1.0, v19
	v_add_f32_e32 v20, 1.0, v11
	s_delay_alu instid0(VALU_DEP_2) | instskip(NEXT) | instid1(VALU_DEP_2)
	v_sub_f32_e32 v12, v6, v12
	v_sub_f32_e32 v6, v6, v20
	s_delay_alu instid0(VALU_DEP_2) | instskip(NEXT) | instid1(VALU_DEP_2)
	v_add_f32_e32 v12, v4, v12
	v_add_f32_e32 v4, v4, v6
	s_delay_alu instid0(VALU_DEP_2) | instskip(NEXT) | instid1(VALU_DEP_2)
	v_add_f32_e32 v20, v19, v12
	v_add_f32_e32 v21, v11, v4
	s_delay_alu instid0(VALU_DEP_2) | instskip(SKIP_1) | instid1(VALU_DEP_1)
	v_rcp_f32_e32 v6, v20
	v_sub_f32_e32 v19, v19, v20
	v_dual_sub_f32 v11, v11, v21 :: v_dual_add_f32 v12, v12, v19
	s_waitcnt_depctr 0xfff
	v_mul_f32_e32 v22, v21, v6
	s_delay_alu instid0(VALU_DEP_1) | instskip(NEXT) | instid1(VALU_DEP_1)
	v_mul_f32_e32 v23, v20, v22
	v_fma_f32 v19, v22, v20, -v23
	s_delay_alu instid0(VALU_DEP_1) | instskip(NEXT) | instid1(VALU_DEP_1)
	v_fmac_f32_e32 v19, v22, v12
	v_add_f32_e32 v24, v23, v19
	s_delay_alu instid0(VALU_DEP_1) | instskip(NEXT) | instid1(VALU_DEP_1)
	v_sub_f32_e32 v25, v21, v24
	v_sub_f32_e32 v21, v21, v25
	s_delay_alu instid0(VALU_DEP_1) | instskip(SKIP_1) | instid1(VALU_DEP_1)
	v_dual_sub_f32 v21, v21, v24 :: v_dual_add_f32 v4, v4, v11
	v_sub_f32_e32 v11, v24, v23
	v_dual_add_f32 v4, v4, v21 :: v_dual_sub_f32 v11, v11, v19
	s_delay_alu instid0(VALU_DEP_1) | instskip(NEXT) | instid1(VALU_DEP_1)
	v_add_f32_e32 v4, v11, v4
	v_add_f32_e32 v11, v25, v4
	s_delay_alu instid0(VALU_DEP_1) | instskip(SKIP_1) | instid1(VALU_DEP_2)
	v_mul_f32_e32 v19, v6, v11
	v_sub_f32_e32 v24, v25, v11
	v_mul_f32_e32 v21, v20, v19
	s_delay_alu instid0(VALU_DEP_2) | instskip(NEXT) | instid1(VALU_DEP_2)
	v_add_f32_e32 v4, v4, v24
	v_fma_f32 v20, v19, v20, -v21
	s_delay_alu instid0(VALU_DEP_1) | instskip(NEXT) | instid1(VALU_DEP_1)
	v_fmac_f32_e32 v20, v19, v12
	v_add_f32_e32 v12, v21, v20
	s_delay_alu instid0(VALU_DEP_1) | instskip(SKIP_1) | instid1(VALU_DEP_2)
	v_sub_f32_e32 v23, v11, v12
	v_sub_f32_e32 v21, v12, v21
	;; [unrolled: 1-line block ×3, first 2 shown]
	s_delay_alu instid0(VALU_DEP_1) | instskip(NEXT) | instid1(VALU_DEP_3)
	v_sub_f32_e32 v11, v11, v12
	v_sub_f32_e32 v12, v21, v20
	s_delay_alu instid0(VALU_DEP_2) | instskip(NEXT) | instid1(VALU_DEP_1)
	v_add_f32_e32 v4, v4, v11
	v_dual_add_f32 v11, v22, v19 :: v_dual_add_f32 v4, v12, v4
	s_delay_alu instid0(VALU_DEP_1) | instskip(NEXT) | instid1(VALU_DEP_2)
	v_sub_f32_e32 v12, v11, v22
	v_add_f32_e32 v4, v23, v4
	s_delay_alu instid0(VALU_DEP_2) | instskip(NEXT) | instid1(VALU_DEP_2)
	v_sub_f32_e32 v12, v19, v12
	v_mul_f32_e32 v4, v6, v4
	s_delay_alu instid0(VALU_DEP_1) | instskip(NEXT) | instid1(VALU_DEP_1)
	v_add_f32_e32 v4, v12, v4
	v_add_f32_e32 v6, v11, v4
	s_delay_alu instid0(VALU_DEP_1) | instskip(NEXT) | instid1(VALU_DEP_1)
	v_mul_f32_e32 v12, v6, v6
	v_fmaak_f32 v19, s5, v12, 0x3ecc95a3
	v_mul_f32_e32 v20, v6, v12
	v_cmp_gt_f32_e64 s5, 0x33800000, |v5|
	s_delay_alu instid0(VALU_DEP_3) | instskip(SKIP_2) | instid1(VALU_DEP_4)
	v_fmaak_f32 v12, v12, v19, 0x3f2aaada
	v_ldexp_f32 v19, v6, 1
	v_sub_f32_e32 v6, v6, v11
	s_or_b32 vcc_lo, vcc_lo, s5
	s_delay_alu instid0(VALU_DEP_3) | instskip(NEXT) | instid1(VALU_DEP_1)
	v_mul_f32_e32 v12, v20, v12
	v_dual_sub_f32 v4, v4, v6 :: v_dual_add_f32 v11, v19, v12
	s_delay_alu instid0(VALU_DEP_1) | instskip(NEXT) | instid1(VALU_DEP_2)
	v_ldexp_f32 v4, v4, 1
	v_sub_f32_e32 v6, v11, v19
	s_delay_alu instid0(VALU_DEP_1) | instskip(NEXT) | instid1(VALU_DEP_1)
	v_sub_f32_e32 v6, v12, v6
	v_add_f32_e32 v4, v4, v6
	s_delay_alu instid0(VALU_DEP_1) | instskip(SKIP_1) | instid1(VALU_DEP_2)
	v_add_f32_e32 v12, v11, v4
	v_mul_f32_e32 v20, 0x3f317218, v3
	v_sub_f32_e32 v11, v12, v11
	s_delay_alu instid0(VALU_DEP_2) | instskip(NEXT) | instid1(VALU_DEP_1)
	v_fma_f32 v19, 0x3f317218, v3, -v20
	v_dual_sub_f32 v4, v4, v11 :: v_dual_fmamk_f32 v3, v3, 0xb102e308, v19
	s_delay_alu instid0(VALU_DEP_1) | instskip(NEXT) | instid1(VALU_DEP_1)
	v_add_f32_e32 v6, v20, v3
	v_add_f32_e32 v19, v6, v12
	s_delay_alu instid0(VALU_DEP_1) | instskip(NEXT) | instid1(VALU_DEP_1)
	v_dual_sub_f32 v20, v6, v20 :: v_dual_sub_f32 v21, v19, v6
	v_sub_f32_e32 v3, v3, v20
	s_delay_alu instid0(VALU_DEP_2) | instskip(NEXT) | instid1(VALU_DEP_2)
	v_sub_f32_e32 v22, v19, v21
	v_dual_sub_f32 v11, v12, v21 :: v_dual_add_f32 v12, v3, v4
	s_delay_alu instid0(VALU_DEP_2) | instskip(NEXT) | instid1(VALU_DEP_1)
	v_sub_f32_e32 v6, v6, v22
	v_dual_add_f32 v6, v11, v6 :: v_dual_sub_f32 v11, v12, v3
	s_delay_alu instid0(VALU_DEP_1) | instskip(NEXT) | instid1(VALU_DEP_2)
	v_add_f32_e32 v6, v12, v6
	v_sub_f32_e32 v12, v12, v11
	v_sub_f32_e32 v4, v4, v11
	s_delay_alu instid0(VALU_DEP_3) | instskip(NEXT) | instid1(VALU_DEP_3)
	v_add_f32_e32 v20, v19, v6
	v_sub_f32_e32 v3, v3, v12
	s_delay_alu instid0(VALU_DEP_2) | instskip(NEXT) | instid1(VALU_DEP_2)
	v_sub_f32_e32 v11, v20, v19
	v_add_f32_e32 v3, v4, v3
	s_delay_alu instid0(VALU_DEP_2) | instskip(NEXT) | instid1(VALU_DEP_1)
	v_sub_f32_e32 v4, v6, v11
	v_add_f32_e32 v3, v3, v4
	s_delay_alu instid0(VALU_DEP_1) | instskip(NEXT) | instid1(VALU_DEP_1)
	v_add_f32_e32 v3, v20, v3
	v_cndmask_b32_e32 v3, v3, v5, vcc_lo
	s_delay_alu instid0(VALU_DEP_1)
	v_add_f32_e32 v4, v1, v3
.LBB145_218:
	s_or_b32 exec_lo, exec_lo, s3
	s_delay_alu instid0(VALU_DEP_1) | instskip(SKIP_2) | instid1(VALU_DEP_2)
	v_max_f32_e32 v3, v4, v4
	v_mov_b32_e32 v1, v4
	;;#ASMSTART
	;;#ASMEND
	v_max_f32_e32 v12, v3, v18
	v_min_f32_e32 v11, v3, v18
	v_mov_b32_e32 v3, v4
	v_mov_b32_e32 v4, v5
	;; [unrolled: 1-line block ×4, first 2 shown]
.LBB145_219:
	s_or_b32 exec_lo, exec_lo, s4
	v_cmp_u_f32_e32 vcc_lo, v1, v1
	s_waitcnt lgkmcnt(0)
	v_cndmask_b32_e32 v4, v11, v1, vcc_lo
	v_cndmask_b32_e32 v5, v12, v1, vcc_lo
	s_delay_alu instid0(VALU_DEP_2) | instskip(NEXT) | instid1(VALU_DEP_2)
	v_cndmask_b32_e64 v4, v4, v2, s0
	v_cndmask_b32_e64 v2, v5, v2, s0
	s_delay_alu instid0(VALU_DEP_2) | instskip(NEXT) | instid1(VALU_DEP_2)
	v_cmp_class_f32_e64 s0, v4, 0x1f8
	v_cmp_neq_f32_e32 vcc_lo, v4, v2
	s_delay_alu instid0(VALU_DEP_2) | instskip(NEXT) | instid1(SALU_CYCLE_1)
	s_or_b32 s3, vcc_lo, s0
	s_and_saveexec_b32 s0, s3
	s_cbranch_execz .LBB145_221
; %bb.220:
	v_sub_f32_e32 v1, v4, v2
	s_mov_b32 s3, 0x3e9b6dac
	s_delay_alu instid0(VALU_DEP_1) | instskip(SKIP_1) | instid1(VALU_DEP_2)
	v_mul_f32_e32 v4, 0x3fb8aa3b, v1
	v_cmp_ngt_f32_e32 vcc_lo, 0xc2ce8ed0, v1
	v_fma_f32 v5, 0x3fb8aa3b, v1, -v4
	v_rndne_f32_e32 v6, v4
	s_delay_alu instid0(VALU_DEP_1) | instskip(NEXT) | instid1(VALU_DEP_1)
	v_dual_fmamk_f32 v5, v1, 0x32a5705f, v5 :: v_dual_sub_f32 v4, v4, v6
	v_add_f32_e32 v4, v4, v5
	v_cvt_i32_f32_e32 v5, v6
	s_delay_alu instid0(VALU_DEP_2) | instskip(SKIP_2) | instid1(VALU_DEP_1)
	v_exp_f32_e32 v4, v4
	s_waitcnt_depctr 0xfff
	v_ldexp_f32 v4, v4, v5
	v_cndmask_b32_e32 v4, 0, v4, vcc_lo
	v_cmp_nlt_f32_e32 vcc_lo, 0x42b17218, v1
	s_delay_alu instid0(VALU_DEP_2) | instskip(NEXT) | instid1(VALU_DEP_1)
	v_cndmask_b32_e32 v1, 0x7f800000, v4, vcc_lo
	v_add_f32_e32 v6, 1.0, v1
	s_delay_alu instid0(VALU_DEP_1) | instskip(NEXT) | instid1(VALU_DEP_1)
	v_cvt_f64_f32_e32 v[4:5], v6
	v_frexp_exp_i32_f64_e32 v4, v[4:5]
	v_frexp_mant_f32_e32 v5, v6
	s_delay_alu instid0(VALU_DEP_1) | instskip(SKIP_1) | instid1(VALU_DEP_1)
	v_cmp_gt_f32_e32 vcc_lo, 0x3f2aaaab, v5
	v_add_f32_e32 v5, -1.0, v6
	v_sub_f32_e32 v12, v5, v6
	s_delay_alu instid0(VALU_DEP_1) | instskip(NEXT) | instid1(VALU_DEP_1)
	v_dual_sub_f32 v5, v1, v5 :: v_dual_add_f32 v12, 1.0, v12
	v_add_f32_e32 v5, v5, v12
	v_subrev_co_ci_u32_e32 v4, vcc_lo, 0, v4, vcc_lo
	v_cmp_eq_f32_e32 vcc_lo, 0x7f800000, v1
	s_delay_alu instid0(VALU_DEP_2) | instskip(SKIP_1) | instid1(VALU_DEP_2)
	v_sub_nc_u32_e32 v11, 0, v4
	v_cvt_f32_i32_e32 v4, v4
	v_ldexp_f32 v6, v6, v11
	v_ldexp_f32 v5, v5, v11
	s_delay_alu instid0(VALU_DEP_2) | instskip(SKIP_1) | instid1(VALU_DEP_1)
	v_add_f32_e32 v11, -1.0, v6
	v_add_f32_e32 v18, 1.0, v6
	v_add_f32_e32 v12, -1.0, v18
	s_delay_alu instid0(VALU_DEP_1) | instskip(NEXT) | instid1(VALU_DEP_1)
	v_dual_sub_f32 v12, v6, v12 :: v_dual_add_f32 v19, 1.0, v11
	v_add_f32_e32 v12, v5, v12
	s_delay_alu instid0(VALU_DEP_2) | instskip(NEXT) | instid1(VALU_DEP_1)
	v_sub_f32_e32 v6, v6, v19
	v_add_f32_e32 v5, v5, v6
	s_delay_alu instid0(VALU_DEP_1) | instskip(NEXT) | instid1(VALU_DEP_1)
	v_add_f32_e32 v20, v11, v5
	v_sub_f32_e32 v11, v11, v20
	v_add_f32_e32 v19, v18, v12
	s_delay_alu instid0(VALU_DEP_1) | instskip(SKIP_1) | instid1(VALU_DEP_3)
	v_rcp_f32_e32 v6, v19
	v_sub_f32_e32 v18, v18, v19
	v_add_f32_e32 v5, v5, v11
	s_waitcnt_depctr 0xfff
	v_mul_f32_e32 v21, v20, v6
	v_add_f32_e32 v12, v12, v18
	s_delay_alu instid0(VALU_DEP_2) | instskip(NEXT) | instid1(VALU_DEP_1)
	v_mul_f32_e32 v22, v19, v21
	v_fma_f32 v18, v21, v19, -v22
	s_delay_alu instid0(VALU_DEP_1) | instskip(NEXT) | instid1(VALU_DEP_1)
	v_fmac_f32_e32 v18, v21, v12
	v_add_f32_e32 v23, v22, v18
	s_delay_alu instid0(VALU_DEP_1) | instskip(NEXT) | instid1(VALU_DEP_1)
	v_sub_f32_e32 v24, v20, v23
	v_sub_f32_e32 v20, v20, v24
	s_delay_alu instid0(VALU_DEP_1) | instskip(NEXT) | instid1(VALU_DEP_1)
	v_sub_f32_e32 v20, v20, v23
	v_add_f32_e32 v5, v5, v20
	v_sub_f32_e32 v11, v23, v22
	s_delay_alu instid0(VALU_DEP_1) | instskip(NEXT) | instid1(VALU_DEP_1)
	v_sub_f32_e32 v11, v11, v18
	v_add_f32_e32 v5, v11, v5
	s_delay_alu instid0(VALU_DEP_1) | instskip(NEXT) | instid1(VALU_DEP_1)
	v_add_f32_e32 v11, v24, v5
	v_mul_f32_e32 v18, v6, v11
	s_delay_alu instid0(VALU_DEP_1) | instskip(NEXT) | instid1(VALU_DEP_1)
	v_dual_mul_f32 v20, v19, v18 :: v_dual_sub_f32 v23, v24, v11
	v_fma_f32 v19, v18, v19, -v20
	s_delay_alu instid0(VALU_DEP_1) | instskip(NEXT) | instid1(VALU_DEP_1)
	v_fmac_f32_e32 v19, v18, v12
	v_add_f32_e32 v12, v20, v19
	s_delay_alu instid0(VALU_DEP_1) | instskip(NEXT) | instid1(VALU_DEP_1)
	v_dual_add_f32 v5, v5, v23 :: v_dual_sub_f32 v22, v11, v12
	v_sub_f32_e32 v11, v11, v22
	s_delay_alu instid0(VALU_DEP_1) | instskip(NEXT) | instid1(VALU_DEP_1)
	v_sub_f32_e32 v11, v11, v12
	v_add_f32_e32 v5, v5, v11
	v_dual_add_f32 v11, v21, v18 :: v_dual_sub_f32 v20, v12, v20
	s_delay_alu instid0(VALU_DEP_1) | instskip(NEXT) | instid1(VALU_DEP_1)
	v_sub_f32_e32 v12, v20, v19
	v_add_f32_e32 v5, v12, v5
	s_delay_alu instid0(VALU_DEP_3) | instskip(NEXT) | instid1(VALU_DEP_1)
	v_sub_f32_e32 v12, v11, v21
	v_sub_f32_e32 v12, v18, v12
	s_delay_alu instid0(VALU_DEP_3) | instskip(NEXT) | instid1(VALU_DEP_1)
	v_add_f32_e32 v5, v22, v5
	v_mul_f32_e32 v5, v6, v5
	s_delay_alu instid0(VALU_DEP_1) | instskip(NEXT) | instid1(VALU_DEP_1)
	v_add_f32_e32 v5, v12, v5
	v_add_f32_e32 v6, v11, v5
	s_delay_alu instid0(VALU_DEP_1) | instskip(NEXT) | instid1(VALU_DEP_1)
	v_mul_f32_e32 v12, v6, v6
	v_fmaak_f32 v18, s3, v12, 0x3ecc95a3
	v_mul_f32_e32 v19, v6, v12
	v_cmp_gt_f32_e64 s3, 0x33800000, |v1|
	s_delay_alu instid0(VALU_DEP_3) | instskip(SKIP_2) | instid1(VALU_DEP_4)
	v_fmaak_f32 v12, v12, v18, 0x3f2aaada
	v_ldexp_f32 v18, v6, 1
	v_sub_f32_e32 v6, v6, v11
	s_or_b32 vcc_lo, vcc_lo, s3
	s_delay_alu instid0(VALU_DEP_3) | instskip(SKIP_1) | instid1(VALU_DEP_3)
	v_mul_f32_e32 v12, v19, v12
	v_mul_f32_e32 v19, 0x3f317218, v4
	v_sub_f32_e32 v5, v5, v6
	s_delay_alu instid0(VALU_DEP_3) | instskip(NEXT) | instid1(VALU_DEP_2)
	v_add_f32_e32 v11, v18, v12
	v_ldexp_f32 v5, v5, 1
	s_delay_alu instid0(VALU_DEP_2) | instskip(SKIP_1) | instid1(VALU_DEP_2)
	v_sub_f32_e32 v6, v11, v18
	v_fma_f32 v18, 0x3f317218, v4, -v19
	v_sub_f32_e32 v6, v12, v6
	s_delay_alu instid0(VALU_DEP_1) | instskip(NEXT) | instid1(VALU_DEP_1)
	v_dual_fmamk_f32 v4, v4, 0xb102e308, v18 :: v_dual_add_f32 v5, v5, v6
	v_add_f32_e32 v12, v11, v5
	s_delay_alu instid0(VALU_DEP_1) | instskip(NEXT) | instid1(VALU_DEP_1)
	v_dual_sub_f32 v11, v12, v11 :: v_dual_add_f32 v6, v19, v4
	v_sub_f32_e32 v5, v5, v11
	s_delay_alu instid0(VALU_DEP_2) | instskip(SKIP_1) | instid1(VALU_DEP_2)
	v_sub_f32_e32 v19, v6, v19
	v_add_f32_e32 v18, v6, v12
	v_sub_f32_e32 v4, v4, v19
	s_delay_alu instid0(VALU_DEP_2) | instskip(NEXT) | instid1(VALU_DEP_1)
	v_sub_f32_e32 v20, v18, v6
	v_sub_f32_e32 v21, v18, v20
	;; [unrolled: 1-line block ×3, first 2 shown]
	s_delay_alu instid0(VALU_DEP_4) | instskip(NEXT) | instid1(VALU_DEP_3)
	v_add_f32_e32 v12, v4, v5
	v_sub_f32_e32 v6, v6, v21
	s_delay_alu instid0(VALU_DEP_1) | instskip(NEXT) | instid1(VALU_DEP_1)
	v_dual_add_f32 v6, v11, v6 :: v_dual_sub_f32 v11, v12, v4
	v_add_f32_e32 v6, v12, v6
	s_delay_alu instid0(VALU_DEP_2) | instskip(SKIP_1) | instid1(VALU_DEP_3)
	v_sub_f32_e32 v12, v12, v11
	v_sub_f32_e32 v5, v5, v11
	v_add_f32_e32 v19, v18, v6
	s_delay_alu instid0(VALU_DEP_1) | instskip(NEXT) | instid1(VALU_DEP_1)
	v_dual_sub_f32 v11, v19, v18 :: v_dual_sub_f32 v4, v4, v12
	v_dual_add_f32 v4, v5, v4 :: v_dual_sub_f32 v5, v6, v11
	s_delay_alu instid0(VALU_DEP_1) | instskip(NEXT) | instid1(VALU_DEP_1)
	v_add_f32_e32 v4, v4, v5
	v_add_f32_e32 v4, v19, v4
	s_delay_alu instid0(VALU_DEP_1) | instskip(NEXT) | instid1(VALU_DEP_1)
	v_cndmask_b32_e32 v1, v4, v1, vcc_lo
	v_add_f32_e32 v1, v2, v1
.LBB145_221:
	s_or_b32 exec_lo, exec_lo, s0
	s_delay_alu instid0(VALU_DEP_1) | instskip(SKIP_1) | instid1(VALU_DEP_2)
	v_max_f32_e32 v2, v1, v1
	v_cmp_u_f32_e32 vcc_lo, v1, v1
	v_dual_mov_b32 v5, v1 :: v_dual_min_f32 v4, v2, v9
	v_max_f32_e32 v2, v2, v9
	s_delay_alu instid0(VALU_DEP_2) | instskip(NEXT) | instid1(VALU_DEP_2)
	v_cndmask_b32_e32 v4, v4, v1, vcc_lo
	v_cndmask_b32_e32 v2, v2, v1, vcc_lo
	s_delay_alu instid0(VALU_DEP_2) | instskip(NEXT) | instid1(VALU_DEP_2)
	v_cndmask_b32_e64 v4, v4, v7, s1
	v_cndmask_b32_e64 v2, v2, v7, s1
	s_delay_alu instid0(VALU_DEP_2) | instskip(NEXT) | instid1(VALU_DEP_2)
	v_cmp_class_f32_e64 s0, v4, 0x1f8
	v_cmp_neq_f32_e32 vcc_lo, v4, v2
	s_delay_alu instid0(VALU_DEP_2) | instskip(NEXT) | instid1(SALU_CYCLE_1)
	s_or_b32 s1, vcc_lo, s0
	s_and_saveexec_b32 s0, s1
	s_cbranch_execz .LBB145_223
; %bb.222:
	v_sub_f32_e32 v4, v4, v2
	s_mov_b32 s1, 0x3e9b6dac
	s_delay_alu instid0(VALU_DEP_1) | instskip(NEXT) | instid1(VALU_DEP_1)
	v_mul_f32_e32 v5, 0x3fb8aa3b, v4
	v_fma_f32 v6, 0x3fb8aa3b, v4, -v5
	v_rndne_f32_e32 v7, v5
	s_delay_alu instid0(VALU_DEP_1) | instskip(SKIP_1) | instid1(VALU_DEP_4)
	v_sub_f32_e32 v5, v5, v7
	v_cmp_ngt_f32_e32 vcc_lo, 0xc2ce8ed0, v4
	v_fmamk_f32 v6, v4, 0x32a5705f, v6
	s_delay_alu instid0(VALU_DEP_1) | instskip(SKIP_1) | instid1(VALU_DEP_2)
	v_add_f32_e32 v5, v5, v6
	v_cvt_i32_f32_e32 v6, v7
	v_exp_f32_e32 v5, v5
	s_waitcnt_depctr 0xfff
	v_ldexp_f32 v5, v5, v6
	s_delay_alu instid0(VALU_DEP_1) | instskip(SKIP_1) | instid1(VALU_DEP_2)
	v_cndmask_b32_e32 v5, 0, v5, vcc_lo
	v_cmp_nlt_f32_e32 vcc_lo, 0x42b17218, v4
	v_cndmask_b32_e32 v6, 0x7f800000, v5, vcc_lo
	s_delay_alu instid0(VALU_DEP_1) | instskip(NEXT) | instid1(VALU_DEP_1)
	v_add_f32_e32 v7, 1.0, v6
	v_cvt_f64_f32_e32 v[4:5], v7
	s_delay_alu instid0(VALU_DEP_1) | instskip(SKIP_1) | instid1(VALU_DEP_1)
	v_frexp_exp_i32_f64_e32 v4, v[4:5]
	v_frexp_mant_f32_e32 v5, v7
	v_cmp_gt_f32_e32 vcc_lo, 0x3f2aaaab, v5
	v_add_f32_e32 v5, -1.0, v7
	s_delay_alu instid0(VALU_DEP_1) | instskip(SKIP_1) | instid1(VALU_DEP_2)
	v_sub_f32_e32 v11, v5, v7
	v_sub_f32_e32 v5, v6, v5
	v_add_f32_e32 v11, 1.0, v11
	s_delay_alu instid0(VALU_DEP_1) | instskip(SKIP_2) | instid1(VALU_DEP_2)
	v_add_f32_e32 v5, v5, v11
	v_subrev_co_ci_u32_e32 v4, vcc_lo, 0, v4, vcc_lo
	v_cmp_eq_f32_e32 vcc_lo, 0x7f800000, v6
	v_sub_nc_u32_e32 v9, 0, v4
	v_cvt_f32_i32_e32 v4, v4
	s_delay_alu instid0(VALU_DEP_2) | instskip(SKIP_1) | instid1(VALU_DEP_2)
	v_ldexp_f32 v7, v7, v9
	v_ldexp_f32 v5, v5, v9
	v_add_f32_e32 v12, 1.0, v7
	v_add_f32_e32 v9, -1.0, v7
	s_delay_alu instid0(VALU_DEP_1) | instskip(NEXT) | instid1(VALU_DEP_1)
	v_dual_add_f32 v11, -1.0, v12 :: v_dual_add_f32 v18, 1.0, v9
	v_sub_f32_e32 v11, v7, v11
	s_delay_alu instid0(VALU_DEP_2) | instskip(NEXT) | instid1(VALU_DEP_2)
	v_sub_f32_e32 v7, v7, v18
	v_add_f32_e32 v11, v5, v11
	s_delay_alu instid0(VALU_DEP_2) | instskip(NEXT) | instid1(VALU_DEP_2)
	v_add_f32_e32 v5, v5, v7
	v_add_f32_e32 v18, v12, v11
	s_delay_alu instid0(VALU_DEP_1) | instskip(SKIP_1) | instid1(VALU_DEP_1)
	v_rcp_f32_e32 v7, v18
	v_sub_f32_e32 v12, v12, v18
	v_add_f32_e32 v11, v11, v12
	v_add_f32_e32 v19, v9, v5
	s_waitcnt_depctr 0xfff
	v_mul_f32_e32 v20, v19, v7
	v_sub_f32_e32 v9, v9, v19
	s_delay_alu instid0(VALU_DEP_2) | instskip(NEXT) | instid1(VALU_DEP_2)
	v_mul_f32_e32 v21, v18, v20
	v_add_f32_e32 v5, v5, v9
	s_delay_alu instid0(VALU_DEP_2) | instskip(NEXT) | instid1(VALU_DEP_1)
	v_fma_f32 v12, v20, v18, -v21
	v_fmac_f32_e32 v12, v20, v11
	s_delay_alu instid0(VALU_DEP_1) | instskip(NEXT) | instid1(VALU_DEP_1)
	v_add_f32_e32 v22, v21, v12
	v_sub_f32_e32 v23, v19, v22
	v_sub_f32_e32 v9, v22, v21
	s_delay_alu instid0(VALU_DEP_2) | instskip(NEXT) | instid1(VALU_DEP_2)
	v_sub_f32_e32 v19, v19, v23
	v_sub_f32_e32 v9, v9, v12
	s_delay_alu instid0(VALU_DEP_2) | instskip(NEXT) | instid1(VALU_DEP_1)
	v_sub_f32_e32 v19, v19, v22
	v_add_f32_e32 v5, v5, v19
	s_delay_alu instid0(VALU_DEP_1) | instskip(NEXT) | instid1(VALU_DEP_1)
	v_add_f32_e32 v5, v9, v5
	v_add_f32_e32 v9, v23, v5
	s_delay_alu instid0(VALU_DEP_1) | instskip(NEXT) | instid1(VALU_DEP_1)
	v_mul_f32_e32 v12, v7, v9
	v_dual_sub_f32 v22, v23, v9 :: v_dual_mul_f32 v19, v18, v12
	s_delay_alu instid0(VALU_DEP_1) | instskip(NEXT) | instid1(VALU_DEP_2)
	v_add_f32_e32 v5, v5, v22
	v_fma_f32 v18, v12, v18, -v19
	s_delay_alu instid0(VALU_DEP_1) | instskip(NEXT) | instid1(VALU_DEP_1)
	v_fmac_f32_e32 v18, v12, v11
	v_add_f32_e32 v11, v19, v18
	s_delay_alu instid0(VALU_DEP_1) | instskip(SKIP_1) | instid1(VALU_DEP_2)
	v_sub_f32_e32 v21, v9, v11
	v_sub_f32_e32 v19, v11, v19
	;; [unrolled: 1-line block ×3, first 2 shown]
	s_delay_alu instid0(VALU_DEP_1) | instskip(NEXT) | instid1(VALU_DEP_3)
	v_sub_f32_e32 v9, v9, v11
	v_sub_f32_e32 v11, v19, v18
	s_delay_alu instid0(VALU_DEP_2) | instskip(SKIP_1) | instid1(VALU_DEP_2)
	v_add_f32_e32 v5, v5, v9
	v_add_f32_e32 v9, v20, v12
	;; [unrolled: 1-line block ×3, first 2 shown]
	s_delay_alu instid0(VALU_DEP_2) | instskip(NEXT) | instid1(VALU_DEP_2)
	v_sub_f32_e32 v11, v9, v20
	v_add_f32_e32 v5, v21, v5
	s_delay_alu instid0(VALU_DEP_2) | instskip(NEXT) | instid1(VALU_DEP_2)
	v_sub_f32_e32 v11, v12, v11
	v_mul_f32_e32 v5, v7, v5
	s_delay_alu instid0(VALU_DEP_1) | instskip(NEXT) | instid1(VALU_DEP_1)
	v_add_f32_e32 v5, v11, v5
	v_add_f32_e32 v7, v9, v5
	s_delay_alu instid0(VALU_DEP_1) | instskip(NEXT) | instid1(VALU_DEP_1)
	v_mul_f32_e32 v11, v7, v7
	v_fmaak_f32 v12, s1, v11, 0x3ecc95a3
	v_mul_f32_e32 v18, v7, v11
	v_cmp_gt_f32_e64 s1, 0x33800000, |v6|
	s_delay_alu instid0(VALU_DEP_3) | instskip(SKIP_2) | instid1(VALU_DEP_4)
	v_fmaak_f32 v11, v11, v12, 0x3f2aaada
	v_ldexp_f32 v12, v7, 1
	v_sub_f32_e32 v7, v7, v9
	s_or_b32 vcc_lo, vcc_lo, s1
	s_delay_alu instid0(VALU_DEP_3) | instskip(NEXT) | instid1(VALU_DEP_2)
	v_dual_mul_f32 v11, v18, v11 :: v_dual_mul_f32 v18, 0x3f317218, v4
	v_sub_f32_e32 v5, v5, v7
	s_delay_alu instid0(VALU_DEP_2) | instskip(NEXT) | instid1(VALU_DEP_2)
	v_add_f32_e32 v9, v12, v11
	v_ldexp_f32 v5, v5, 1
	s_delay_alu instid0(VALU_DEP_2) | instskip(SKIP_1) | instid1(VALU_DEP_1)
	v_sub_f32_e32 v7, v9, v12
	v_fma_f32 v12, 0x3f317218, v4, -v18
	v_dual_sub_f32 v7, v11, v7 :: v_dual_fmamk_f32 v4, v4, 0xb102e308, v12
	s_delay_alu instid0(VALU_DEP_1) | instskip(NEXT) | instid1(VALU_DEP_2)
	v_add_f32_e32 v5, v5, v7
	v_add_f32_e32 v7, v18, v4
	s_delay_alu instid0(VALU_DEP_1) | instskip(NEXT) | instid1(VALU_DEP_1)
	v_dual_add_f32 v11, v9, v5 :: v_dual_sub_f32 v18, v7, v18
	v_add_f32_e32 v12, v7, v11
	s_delay_alu instid0(VALU_DEP_2) | instskip(NEXT) | instid1(VALU_DEP_2)
	v_dual_sub_f32 v9, v11, v9 :: v_dual_sub_f32 v4, v4, v18
	v_sub_f32_e32 v19, v12, v7
	s_delay_alu instid0(VALU_DEP_1) | instskip(SKIP_1) | instid1(VALU_DEP_2)
	v_dual_sub_f32 v5, v5, v9 :: v_dual_sub_f32 v20, v12, v19
	v_sub_f32_e32 v9, v11, v19
	v_add_f32_e32 v11, v4, v5
	s_delay_alu instid0(VALU_DEP_3) | instskip(NEXT) | instid1(VALU_DEP_1)
	v_sub_f32_e32 v7, v7, v20
	v_add_f32_e32 v7, v9, v7
	s_delay_alu instid0(VALU_DEP_3) | instskip(NEXT) | instid1(VALU_DEP_2)
	v_sub_f32_e32 v9, v11, v4
	v_add_f32_e32 v7, v11, v7
	s_delay_alu instid0(VALU_DEP_2) | instskip(NEXT) | instid1(VALU_DEP_2)
	v_sub_f32_e32 v11, v11, v9
	v_dual_sub_f32 v5, v5, v9 :: v_dual_add_f32 v18, v12, v7
	s_delay_alu instid0(VALU_DEP_1) | instskip(NEXT) | instid1(VALU_DEP_1)
	v_dual_sub_f32 v4, v4, v11 :: v_dual_sub_f32 v9, v18, v12
	v_dual_add_f32 v4, v5, v4 :: v_dual_sub_f32 v5, v7, v9
	s_delay_alu instid0(VALU_DEP_1) | instskip(NEXT) | instid1(VALU_DEP_1)
	v_add_f32_e32 v4, v4, v5
	v_add_f32_e32 v4, v18, v4
	s_delay_alu instid0(VALU_DEP_1) | instskip(NEXT) | instid1(VALU_DEP_1)
	v_cndmask_b32_e32 v4, v4, v6, vcc_lo
	v_add_f32_e32 v5, v2, v4
.LBB145_223:
	s_or_b32 exec_lo, exec_lo, s0
	s_delay_alu instid0(VALU_DEP_1) | instskip(SKIP_2) | instid1(VALU_DEP_3)
	v_max_f32_e32 v2, v5, v5
	v_cmp_u_f32_e32 vcc_lo, v5, v5
	v_mov_b32_e32 v6, v5
	v_min_f32_e32 v4, v2, v10
	v_max_f32_e32 v2, v2, v10
	s_delay_alu instid0(VALU_DEP_2) | instskip(NEXT) | instid1(VALU_DEP_2)
	v_cndmask_b32_e32 v4, v4, v5, vcc_lo
	v_cndmask_b32_e32 v2, v2, v5, vcc_lo
	s_delay_alu instid0(VALU_DEP_2) | instskip(NEXT) | instid1(VALU_DEP_2)
	v_cndmask_b32_e64 v4, v4, v8, s2
	v_cndmask_b32_e64 v2, v2, v8, s2
	s_delay_alu instid0(VALU_DEP_2) | instskip(NEXT) | instid1(VALU_DEP_2)
	v_cmp_class_f32_e64 s0, v4, 0x1f8
	v_cmp_neq_f32_e32 vcc_lo, v4, v2
	s_delay_alu instid0(VALU_DEP_2) | instskip(NEXT) | instid1(SALU_CYCLE_1)
	s_or_b32 s1, vcc_lo, s0
	s_and_saveexec_b32 s0, s1
	s_cbranch_execz .LBB145_225
; %bb.224:
	v_sub_f32_e32 v4, v4, v2
	s_mov_b32 s1, 0x3e9b6dac
	s_delay_alu instid0(VALU_DEP_1) | instskip(SKIP_1) | instid1(VALU_DEP_2)
	v_mul_f32_e32 v6, 0x3fb8aa3b, v4
	v_cmp_ngt_f32_e32 vcc_lo, 0xc2ce8ed0, v4
	v_fma_f32 v7, 0x3fb8aa3b, v4, -v6
	v_rndne_f32_e32 v8, v6
	s_delay_alu instid0(VALU_DEP_1) | instskip(NEXT) | instid1(VALU_DEP_1)
	v_dual_fmamk_f32 v7, v4, 0x32a5705f, v7 :: v_dual_sub_f32 v6, v6, v8
	v_add_f32_e32 v6, v6, v7
	v_cvt_i32_f32_e32 v7, v8
	s_delay_alu instid0(VALU_DEP_2) | instskip(SKIP_2) | instid1(VALU_DEP_1)
	v_exp_f32_e32 v6, v6
	s_waitcnt_depctr 0xfff
	v_ldexp_f32 v6, v6, v7
	v_cndmask_b32_e32 v6, 0, v6, vcc_lo
	v_cmp_nlt_f32_e32 vcc_lo, 0x42b17218, v4
	s_delay_alu instid0(VALU_DEP_2) | instskip(NEXT) | instid1(VALU_DEP_1)
	v_cndmask_b32_e32 v4, 0x7f800000, v6, vcc_lo
	v_add_f32_e32 v8, 1.0, v4
	s_delay_alu instid0(VALU_DEP_1) | instskip(NEXT) | instid1(VALU_DEP_1)
	v_cvt_f64_f32_e32 v[6:7], v8
	v_frexp_exp_i32_f64_e32 v6, v[6:7]
	v_frexp_mant_f32_e32 v7, v8
	s_delay_alu instid0(VALU_DEP_1) | instskip(SKIP_1) | instid1(VALU_DEP_1)
	v_cmp_gt_f32_e32 vcc_lo, 0x3f2aaaab, v7
	v_add_f32_e32 v7, -1.0, v8
	v_dual_sub_f32 v10, v7, v8 :: v_dual_sub_f32 v7, v4, v7
	s_delay_alu instid0(VALU_DEP_1) | instskip(NEXT) | instid1(VALU_DEP_1)
	v_add_f32_e32 v10, 1.0, v10
	v_add_f32_e32 v7, v7, v10
	v_subrev_co_ci_u32_e32 v6, vcc_lo, 0, v6, vcc_lo
	s_delay_alu instid0(VALU_DEP_1) | instskip(SKIP_1) | instid1(VALU_DEP_2)
	v_sub_nc_u32_e32 v9, 0, v6
	v_cvt_f32_i32_e32 v6, v6
	v_ldexp_f32 v8, v8, v9
	v_ldexp_f32 v7, v7, v9
	s_delay_alu instid0(VALU_DEP_2) | instskip(NEXT) | instid1(VALU_DEP_1)
	v_add_f32_e32 v11, 1.0, v8
	v_dual_add_f32 v9, -1.0, v8 :: v_dual_add_f32 v10, -1.0, v11
	s_delay_alu instid0(VALU_DEP_1) | instskip(NEXT) | instid1(VALU_DEP_2)
	v_add_f32_e32 v12, 1.0, v9
	v_sub_f32_e32 v10, v8, v10
	s_delay_alu instid0(VALU_DEP_2) | instskip(NEXT) | instid1(VALU_DEP_2)
	v_sub_f32_e32 v8, v8, v12
	v_add_f32_e32 v10, v7, v10
	s_delay_alu instid0(VALU_DEP_2) | instskip(SKIP_1) | instid1(VALU_DEP_3)
	v_add_f32_e32 v7, v7, v8
	v_cmp_eq_f32_e32 vcc_lo, 0x7f800000, v4
	v_add_f32_e32 v12, v11, v10
	s_delay_alu instid0(VALU_DEP_1) | instskip(NEXT) | instid1(VALU_DEP_3)
	v_rcp_f32_e32 v8, v12
	v_dual_add_f32 v18, v9, v7 :: v_dual_sub_f32 v11, v11, v12
	s_delay_alu instid0(VALU_DEP_1) | instskip(SKIP_2) | instid1(VALU_DEP_1)
	v_dual_sub_f32 v9, v9, v18 :: v_dual_add_f32 v10, v10, v11
	s_waitcnt_depctr 0xfff
	v_mul_f32_e32 v19, v18, v8
	v_dual_add_f32 v7, v7, v9 :: v_dual_mul_f32 v20, v12, v19
	s_delay_alu instid0(VALU_DEP_1) | instskip(NEXT) | instid1(VALU_DEP_1)
	v_fma_f32 v11, v19, v12, -v20
	v_fmac_f32_e32 v11, v19, v10
	s_delay_alu instid0(VALU_DEP_1) | instskip(NEXT) | instid1(VALU_DEP_1)
	v_add_f32_e32 v21, v20, v11
	v_sub_f32_e32 v22, v18, v21
	s_delay_alu instid0(VALU_DEP_1) | instskip(NEXT) | instid1(VALU_DEP_1)
	v_sub_f32_e32 v18, v18, v22
	v_sub_f32_e32 v18, v18, v21
	s_delay_alu instid0(VALU_DEP_1) | instskip(SKIP_1) | instid1(VALU_DEP_1)
	v_add_f32_e32 v7, v7, v18
	v_sub_f32_e32 v9, v21, v20
	v_sub_f32_e32 v9, v9, v11
	s_delay_alu instid0(VALU_DEP_1) | instskip(NEXT) | instid1(VALU_DEP_1)
	v_add_f32_e32 v7, v9, v7
	v_add_f32_e32 v9, v22, v7
	s_delay_alu instid0(VALU_DEP_1) | instskip(NEXT) | instid1(VALU_DEP_1)
	v_mul_f32_e32 v11, v8, v9
	v_mul_f32_e32 v18, v12, v11
	s_delay_alu instid0(VALU_DEP_1) | instskip(NEXT) | instid1(VALU_DEP_1)
	v_fma_f32 v12, v11, v12, -v18
	v_dual_fmac_f32 v12, v11, v10 :: v_dual_sub_f32 v21, v22, v9
	s_delay_alu instid0(VALU_DEP_1) | instskip(NEXT) | instid1(VALU_DEP_1)
	v_dual_add_f32 v7, v7, v21 :: v_dual_add_f32 v10, v18, v12
	v_sub_f32_e32 v20, v9, v10
	s_delay_alu instid0(VALU_DEP_1) | instskip(NEXT) | instid1(VALU_DEP_1)
	v_sub_f32_e32 v9, v9, v20
	v_sub_f32_e32 v9, v9, v10
	s_delay_alu instid0(VALU_DEP_1) | instskip(SKIP_1) | instid1(VALU_DEP_1)
	v_add_f32_e32 v7, v7, v9
	v_dual_add_f32 v9, v19, v11 :: v_dual_sub_f32 v18, v10, v18
	v_sub_f32_e32 v10, v18, v12
	s_delay_alu instid0(VALU_DEP_1) | instskip(NEXT) | instid1(VALU_DEP_3)
	v_add_f32_e32 v7, v10, v7
	v_sub_f32_e32 v10, v9, v19
	s_delay_alu instid0(VALU_DEP_1) | instskip(NEXT) | instid1(VALU_DEP_1)
	v_dual_sub_f32 v10, v11, v10 :: v_dual_add_f32 v7, v20, v7
	v_mul_f32_e32 v7, v8, v7
	s_delay_alu instid0(VALU_DEP_1) | instskip(NEXT) | instid1(VALU_DEP_1)
	v_add_f32_e32 v7, v10, v7
	v_add_f32_e32 v8, v9, v7
	s_delay_alu instid0(VALU_DEP_1) | instskip(NEXT) | instid1(VALU_DEP_1)
	v_mul_f32_e32 v10, v8, v8
	v_fmaak_f32 v11, s1, v10, 0x3ecc95a3
	v_mul_f32_e32 v12, v8, v10
	v_cmp_gt_f32_e64 s1, 0x33800000, |v4|
	s_delay_alu instid0(VALU_DEP_3) | instskip(SKIP_1) | instid1(VALU_DEP_3)
	v_fmaak_f32 v10, v10, v11, 0x3f2aaada
	v_ldexp_f32 v11, v8, 1
	s_or_b32 vcc_lo, vcc_lo, s1
	s_delay_alu instid0(VALU_DEP_2) | instskip(NEXT) | instid1(VALU_DEP_1)
	v_mul_f32_e32 v10, v12, v10
	v_dual_sub_f32 v8, v8, v9 :: v_dual_add_f32 v9, v11, v10
	s_delay_alu instid0(VALU_DEP_1) | instskip(NEXT) | instid1(VALU_DEP_1)
	v_dual_sub_f32 v7, v7, v8 :: v_dual_sub_f32 v8, v9, v11
	v_ldexp_f32 v7, v7, 1
	s_delay_alu instid0(VALU_DEP_2) | instskip(NEXT) | instid1(VALU_DEP_1)
	v_sub_f32_e32 v8, v10, v8
	v_add_f32_e32 v7, v7, v8
	s_delay_alu instid0(VALU_DEP_1) | instskip(NEXT) | instid1(VALU_DEP_1)
	v_add_f32_e32 v10, v9, v7
	v_dual_mul_f32 v12, 0x3f317218, v6 :: v_dual_sub_f32 v9, v10, v9
	s_delay_alu instid0(VALU_DEP_1) | instskip(NEXT) | instid1(VALU_DEP_1)
	v_fma_f32 v11, 0x3f317218, v6, -v12
	v_dual_sub_f32 v7, v7, v9 :: v_dual_fmamk_f32 v6, v6, 0xb102e308, v11
	s_delay_alu instid0(VALU_DEP_1) | instskip(NEXT) | instid1(VALU_DEP_1)
	v_add_f32_e32 v8, v12, v6
	v_add_f32_e32 v11, v8, v10
	v_sub_f32_e32 v12, v8, v12
	s_delay_alu instid0(VALU_DEP_1) | instskip(NEXT) | instid1(VALU_DEP_3)
	v_sub_f32_e32 v6, v6, v12
	v_sub_f32_e32 v18, v11, v8
	s_delay_alu instid0(VALU_DEP_1) | instskip(SKIP_1) | instid1(VALU_DEP_4)
	v_sub_f32_e32 v19, v11, v18
	v_sub_f32_e32 v9, v10, v18
	v_add_f32_e32 v10, v6, v7
	s_delay_alu instid0(VALU_DEP_3) | instskip(NEXT) | instid1(VALU_DEP_1)
	v_sub_f32_e32 v8, v8, v19
	v_dual_add_f32 v8, v9, v8 :: v_dual_sub_f32 v9, v10, v6
	s_delay_alu instid0(VALU_DEP_1) | instskip(NEXT) | instid1(VALU_DEP_2)
	v_add_f32_e32 v8, v10, v8
	v_sub_f32_e32 v10, v10, v9
	v_sub_f32_e32 v7, v7, v9
	s_delay_alu instid0(VALU_DEP_3) | instskip(NEXT) | instid1(VALU_DEP_1)
	v_add_f32_e32 v12, v11, v8
	v_dual_sub_f32 v9, v12, v11 :: v_dual_sub_f32 v6, v6, v10
	s_delay_alu instid0(VALU_DEP_1) | instskip(NEXT) | instid1(VALU_DEP_1)
	v_dual_add_f32 v6, v7, v6 :: v_dual_sub_f32 v7, v8, v9
	v_add_f32_e32 v6, v6, v7
	s_delay_alu instid0(VALU_DEP_1) | instskip(NEXT) | instid1(VALU_DEP_1)
	v_add_f32_e32 v6, v12, v6
	v_cndmask_b32_e32 v4, v6, v4, vcc_lo
	s_delay_alu instid0(VALU_DEP_1)
	v_add_f32_e32 v6, v2, v4
.LBB145_225:
	s_or_b32 exec_lo, exec_lo, s0
	v_mov_b32_e32 v4, v1
	s_mov_b32 s0, exec_lo
	v_cmpx_eq_u32_e32 0xff, v0
	s_cbranch_execz .LBB145_227
; %bb.226:
	v_dual_mov_b32 v7, 0 :: v_dual_mov_b32 v2, 2
	v_mov_b32_e32 v1, v6
	global_store_b64 v7, v[1:2], s[22:23] offset:256
.LBB145_227:
	s_or_b32 exec_lo, exec_lo, s0
.LBB145_228:
	s_add_u32 s0, s20, s18
	v_lshlrev_b32_e32 v2, 4, v0
	v_lshrrev_b32_e32 v1, 5, v0
	s_addc_u32 s1, s21, s19
	s_add_u32 s0, s0, s16
	s_addc_u32 s1, s1, s17
	s_and_b32 vcc_lo, exec_lo, s26
	s_mov_b32 s2, -1
	s_waitcnt lgkmcnt(0)
	s_waitcnt_vscnt null, 0x0
	s_barrier
	buffer_gl0_inv
	s_cbranch_vccz .LBB145_230
; %bb.229:
	v_lshl_add_u32 v7, v17, 2, v2
	v_lshrrev_b32_e32 v8, 5, v15
	v_lshrrev_b32_e32 v9, 5, v14
	v_add_lshl_u32 v10, v1, v0, 2
	s_mov_b32 s2, 0
	ds_store_2addr_b32 v7, v3, v4 offset1:1
	ds_store_2addr_b32 v7, v5, v6 offset0:2 offset1:3
	v_lshrrev_b32_e32 v7, 5, v13
	v_add_lshl_u32 v8, v8, v0, 2
	v_add_lshl_u32 v9, v9, v0, 2
	s_waitcnt lgkmcnt(0)
	s_barrier
	v_add_lshl_u32 v7, v7, v0, 2
	buffer_gl0_inv
	ds_load_b32 v10, v10
	ds_load_b32 v8, v8 offset:1024
	ds_load_b32 v9, v9 offset:2048
	;; [unrolled: 1-line block ×3, first 2 shown]
	s_waitcnt lgkmcnt(3)
	global_store_b32 v16, v10, s[0:1]
	s_waitcnt lgkmcnt(2)
	global_store_b32 v16, v8, s[0:1] offset:1024
	s_waitcnt lgkmcnt(1)
	global_store_b32 v16, v9, s[0:1] offset:2048
	;; [unrolled: 2-line block ×3, first 2 shown]
.LBB145_230:
	s_and_not1_b32 vcc_lo, exec_lo, s2
	s_cbranch_vccnz .LBB145_236
; %bb.231:
	v_lshl_add_u32 v2, v17, 2, v2
	v_lshrrev_b32_e32 v7, 5, v15
	v_lshrrev_b32_e32 v8, 5, v14
	v_add_lshl_u32 v1, v1, v0, 2
	ds_store_2addr_b32 v2, v3, v4 offset1:1
	ds_store_2addr_b32 v2, v5, v6 offset0:2 offset1:3
	v_lshrrev_b32_e32 v2, 5, v13
	v_add_lshl_u32 v3, v7, v0, 2
	v_add_lshl_u32 v6, v8, v0, 2
	s_waitcnt lgkmcnt(0)
	s_waitcnt_vscnt null, 0x0
	s_barrier
	v_add_lshl_u32 v2, v2, v0, 2
	buffer_gl0_inv
	ds_load_b32 v5, v1
	ds_load_b32 v4, v3 offset:1024
	ds_load_b32 v6, v6 offset:2048
	;; [unrolled: 1-line block ×3, first 2 shown]
	v_add_co_u32 v2, s0, s0, v16
	v_mov_b32_e32 v1, 0
	v_add_co_ci_u32_e64 v3, null, s1, 0, s0
	s_mov_b32 s0, exec_lo
	v_cmpx_gt_u32_e64 s24, v0
	s_cbranch_execnz .LBB145_240
; %bb.232:
	s_or_b32 exec_lo, exec_lo, s0
	s_delay_alu instid0(SALU_CYCLE_1)
	s_mov_b32 s0, exec_lo
	v_cmpx_gt_u32_e64 s24, v15
	s_cbranch_execnz .LBB145_241
.LBB145_233:
	s_or_b32 exec_lo, exec_lo, s0
	s_delay_alu instid0(SALU_CYCLE_1)
	s_mov_b32 s0, exec_lo
	v_cmpx_gt_u32_e64 s24, v14
	s_cbranch_execnz .LBB145_242
.LBB145_234:
	s_or_b32 exec_lo, exec_lo, s0
	s_delay_alu instid0(SALU_CYCLE_1)
	s_mov_b32 s0, exec_lo
	v_cmpx_gt_u32_e64 s24, v13
	s_cbranch_execnz .LBB145_243
.LBB145_235:
	s_or_b32 exec_lo, exec_lo, s0
	v_cmp_lt_u64_e64 s0, s[14:15], 2
	s_delay_alu instid0(VALU_DEP_1)
	s_and_b32 vcc_lo, exec_lo, s0
	s_cbranch_vccz .LBB145_244
.LBB145_236:
	s_nop 0
	s_sendmsg sendmsg(MSG_DEALLOC_VGPRS)
	s_endpgm
.LBB145_237:
	global_load_b32 v5, v16, s[8:9]
	v_dual_mov_b32 v1, s4 :: v_dual_mov_b32 v2, s5
	v_dual_mov_b32 v3, s6 :: v_dual_mov_b32 v4, s7
                                        ; kill: def $vgpr1 killed $vgpr5 killed $exec
	s_or_b32 exec_lo, exec_lo, s3
	s_delay_alu instid0(SALU_CYCLE_1)
	s_mov_b32 s2, exec_lo
	v_cmpx_gt_u32_e64 s24, v15
	s_cbranch_execz .LBB145_5
.LBB145_238:
	global_load_b32 v2, v16, s[8:9] offset:1024
	s_or_b32 exec_lo, exec_lo, s2
	s_delay_alu instid0(SALU_CYCLE_1)
	s_mov_b32 s2, exec_lo
	v_cmpx_gt_u32_e64 s24, v14
	s_cbranch_execz .LBB145_6
.LBB145_239:
	global_load_b32 v3, v16, s[8:9] offset:2048
	s_or_b32 exec_lo, exec_lo, s2
	s_delay_alu instid0(SALU_CYCLE_1)
	s_mov_b32 s2, exec_lo
	v_cmpx_gt_u32_e64 s24, v13
	s_cbranch_execnz .LBB145_7
	s_branch .LBB145_8
.LBB145_240:
	s_waitcnt lgkmcnt(3)
	global_store_b32 v[2:3], v5, off
	s_or_b32 exec_lo, exec_lo, s0
	s_delay_alu instid0(SALU_CYCLE_1)
	s_mov_b32 s0, exec_lo
	v_cmpx_gt_u32_e64 s24, v15
	s_cbranch_execz .LBB145_233
.LBB145_241:
	s_waitcnt lgkmcnt(2)
	global_store_b32 v[2:3], v4, off offset:1024
	s_or_b32 exec_lo, exec_lo, s0
	s_delay_alu instid0(SALU_CYCLE_1)
	s_mov_b32 s0, exec_lo
	v_cmpx_gt_u32_e64 s24, v14
	s_cbranch_execz .LBB145_234
.LBB145_242:
	s_waitcnt lgkmcnt(1)
	global_store_b32 v[2:3], v6, off offset:2048
	s_or_b32 exec_lo, exec_lo, s0
	s_delay_alu instid0(SALU_CYCLE_1)
	s_mov_b32 s0, exec_lo
	v_cmpx_gt_u32_e64 s24, v13
	s_cbranch_execz .LBB145_235
.LBB145_243:
	s_waitcnt lgkmcnt(0)
	global_store_b32 v[2:3], v7, off offset:3072
	s_or_b32 exec_lo, exec_lo, s0
	v_cmp_lt_u64_e64 s0, s[14:15], 2
	s_delay_alu instid0(VALU_DEP_1)
	s_and_b32 vcc_lo, exec_lo, s0
	s_cbranch_vccnz .LBB145_236
.LBB145_244:
	s_add_u32 s0, s24, -1
	s_addc_u32 s1, s25, -1
	s_delay_alu instid0(SALU_CYCLE_1)
	s_lshr_b64 s[2:3], s[0:1], 2
	s_mov_b32 s1, exec_lo
	v_cmpx_eq_u64_e64 s[2:3], v[0:1]
	s_cbranch_execz .LBB145_236
; %bb.245:
	s_and_b32 s0, s0, 3
	s_mov_b32 s1, 0
	s_delay_alu instid0(SALU_CYCLE_1) | instskip(NEXT) | instid1(VALU_DEP_1)
	v_cmp_lt_i64_e64 s2, s[0:1], 2
	s_and_b32 vcc_lo, exec_lo, s2
	s_mov_b32 s2, -1
	s_cbranch_vccnz .LBB145_251
; %bb.246:
	v_cmp_gt_i64_e64 s2, s[0:1], 2
	s_delay_alu instid0(VALU_DEP_1)
	s_and_b32 vcc_lo, exec_lo, s2
	s_mov_b32 s2, -1
	s_cbranch_vccz .LBB145_248
; %bb.247:
	v_mov_b32_e32 v0, 0
	s_mov_b32 s2, 0
	s_waitcnt lgkmcnt(0)
	global_store_b32 v0, v7, s[10:11]
.LBB145_248:
	s_and_not1_b32 vcc_lo, exec_lo, s2
	s_cbranch_vccnz .LBB145_250
; %bb.249:
	v_mov_b32_e32 v0, 0
	s_waitcnt lgkmcnt(1)
	global_store_b32 v0, v6, s[10:11]
.LBB145_250:
	s_mov_b32 s2, 0
.LBB145_251:
	s_delay_alu instid0(SALU_CYCLE_1)
	s_and_not1_b32 vcc_lo, exec_lo, s2
	s_cbranch_vccnz .LBB145_236
; %bb.252:
	s_cmp_eq_u64 s[0:1], 1
	s_mov_b32 s0, -1
	s_cbranch_scc1 .LBB145_254
; %bb.253:
	v_mov_b32_e32 v0, 0
	s_mov_b32 s0, 0
	s_waitcnt lgkmcnt(3)
	global_store_b32 v0, v5, s[10:11]
.LBB145_254:
	s_and_not1_b32 vcc_lo, exec_lo, s0
	s_cbranch_vccnz .LBB145_236
; %bb.255:
	v_mov_b32_e32 v0, 0
	s_waitcnt lgkmcnt(2)
	global_store_b32 v0, v4, s[10:11]
	s_nop 0
	s_sendmsg sendmsg(MSG_DEALLOC_VGPRS)
	s_endpgm
	.section	.rodata,"a",@progbits
	.p2align	6, 0x0
	.amdhsa_kernel _ZN7rocprim17ROCPRIM_400000_NS6detail17trampoline_kernelINS0_14default_configENS1_20scan_config_selectorIfEEZZNS1_9scan_implILNS1_25lookback_scan_determinismE0ELb0ELb0ES3_PKfPffZZZN2at6native31launch_logcumsumexp_cuda_kernelERKNSB_10TensorBaseESF_lENKUlvE_clEvENKUlvE0_clEvEUlffE_fEEDaPvRmT3_T4_T5_mT6_P12ihipStream_tbENKUlT_T0_E_clISt17integral_constantIbLb1EESV_IbLb0EEEEDaSR_SS_EUlSR_E_NS1_11comp_targetILNS1_3genE9ELNS1_11target_archE1100ELNS1_3gpuE3ELNS1_3repE0EEENS1_30default_config_static_selectorELNS0_4arch9wavefront6targetE0EEEvT1_
		.amdhsa_group_segment_fixed_size 4224
		.amdhsa_private_segment_fixed_size 0
		.amdhsa_kernarg_size 96
		.amdhsa_user_sgpr_count 15
		.amdhsa_user_sgpr_dispatch_ptr 0
		.amdhsa_user_sgpr_queue_ptr 0
		.amdhsa_user_sgpr_kernarg_segment_ptr 1
		.amdhsa_user_sgpr_dispatch_id 0
		.amdhsa_user_sgpr_private_segment_size 0
		.amdhsa_wavefront_size32 1
		.amdhsa_uses_dynamic_stack 0
		.amdhsa_enable_private_segment 0
		.amdhsa_system_sgpr_workgroup_id_x 1
		.amdhsa_system_sgpr_workgroup_id_y 0
		.amdhsa_system_sgpr_workgroup_id_z 0
		.amdhsa_system_sgpr_workgroup_info 0
		.amdhsa_system_vgpr_workitem_id 0
		.amdhsa_next_free_vgpr 46
		.amdhsa_next_free_sgpr 27
		.amdhsa_reserve_vcc 1
		.amdhsa_float_round_mode_32 0
		.amdhsa_float_round_mode_16_64 0
		.amdhsa_float_denorm_mode_32 3
		.amdhsa_float_denorm_mode_16_64 3
		.amdhsa_dx10_clamp 1
		.amdhsa_ieee_mode 1
		.amdhsa_fp16_overflow 0
		.amdhsa_workgroup_processor_mode 1
		.amdhsa_memory_ordered 1
		.amdhsa_forward_progress 0
		.amdhsa_shared_vgpr_count 0
		.amdhsa_exception_fp_ieee_invalid_op 0
		.amdhsa_exception_fp_denorm_src 0
		.amdhsa_exception_fp_ieee_div_zero 0
		.amdhsa_exception_fp_ieee_overflow 0
		.amdhsa_exception_fp_ieee_underflow 0
		.amdhsa_exception_fp_ieee_inexact 0
		.amdhsa_exception_int_div_zero 0
	.end_amdhsa_kernel
	.section	.text._ZN7rocprim17ROCPRIM_400000_NS6detail17trampoline_kernelINS0_14default_configENS1_20scan_config_selectorIfEEZZNS1_9scan_implILNS1_25lookback_scan_determinismE0ELb0ELb0ES3_PKfPffZZZN2at6native31launch_logcumsumexp_cuda_kernelERKNSB_10TensorBaseESF_lENKUlvE_clEvENKUlvE0_clEvEUlffE_fEEDaPvRmT3_T4_T5_mT6_P12ihipStream_tbENKUlT_T0_E_clISt17integral_constantIbLb1EESV_IbLb0EEEEDaSR_SS_EUlSR_E_NS1_11comp_targetILNS1_3genE9ELNS1_11target_archE1100ELNS1_3gpuE3ELNS1_3repE0EEENS1_30default_config_static_selectorELNS0_4arch9wavefront6targetE0EEEvT1_,"axG",@progbits,_ZN7rocprim17ROCPRIM_400000_NS6detail17trampoline_kernelINS0_14default_configENS1_20scan_config_selectorIfEEZZNS1_9scan_implILNS1_25lookback_scan_determinismE0ELb0ELb0ES3_PKfPffZZZN2at6native31launch_logcumsumexp_cuda_kernelERKNSB_10TensorBaseESF_lENKUlvE_clEvENKUlvE0_clEvEUlffE_fEEDaPvRmT3_T4_T5_mT6_P12ihipStream_tbENKUlT_T0_E_clISt17integral_constantIbLb1EESV_IbLb0EEEEDaSR_SS_EUlSR_E_NS1_11comp_targetILNS1_3genE9ELNS1_11target_archE1100ELNS1_3gpuE3ELNS1_3repE0EEENS1_30default_config_static_selectorELNS0_4arch9wavefront6targetE0EEEvT1_,comdat
.Lfunc_end145:
	.size	_ZN7rocprim17ROCPRIM_400000_NS6detail17trampoline_kernelINS0_14default_configENS1_20scan_config_selectorIfEEZZNS1_9scan_implILNS1_25lookback_scan_determinismE0ELb0ELb0ES3_PKfPffZZZN2at6native31launch_logcumsumexp_cuda_kernelERKNSB_10TensorBaseESF_lENKUlvE_clEvENKUlvE0_clEvEUlffE_fEEDaPvRmT3_T4_T5_mT6_P12ihipStream_tbENKUlT_T0_E_clISt17integral_constantIbLb1EESV_IbLb0EEEEDaSR_SS_EUlSR_E_NS1_11comp_targetILNS1_3genE9ELNS1_11target_archE1100ELNS1_3gpuE3ELNS1_3repE0EEENS1_30default_config_static_selectorELNS0_4arch9wavefront6targetE0EEEvT1_, .Lfunc_end145-_ZN7rocprim17ROCPRIM_400000_NS6detail17trampoline_kernelINS0_14default_configENS1_20scan_config_selectorIfEEZZNS1_9scan_implILNS1_25lookback_scan_determinismE0ELb0ELb0ES3_PKfPffZZZN2at6native31launch_logcumsumexp_cuda_kernelERKNSB_10TensorBaseESF_lENKUlvE_clEvENKUlvE0_clEvEUlffE_fEEDaPvRmT3_T4_T5_mT6_P12ihipStream_tbENKUlT_T0_E_clISt17integral_constantIbLb1EESV_IbLb0EEEEDaSR_SS_EUlSR_E_NS1_11comp_targetILNS1_3genE9ELNS1_11target_archE1100ELNS1_3gpuE3ELNS1_3repE0EEENS1_30default_config_static_selectorELNS0_4arch9wavefront6targetE0EEEvT1_
                                        ; -- End function
	.section	.AMDGPU.csdata,"",@progbits
; Kernel info:
; codeLenInByte = 66264
; NumSgprs: 29
; NumVgprs: 46
; ScratchSize: 0
; MemoryBound: 0
; FloatMode: 240
; IeeeMode: 1
; LDSByteSize: 4224 bytes/workgroup (compile time only)
; SGPRBlocks: 3
; VGPRBlocks: 5
; NumSGPRsForWavesPerEU: 29
; NumVGPRsForWavesPerEU: 46
; Occupancy: 16
; WaveLimiterHint : 1
; COMPUTE_PGM_RSRC2:SCRATCH_EN: 0
; COMPUTE_PGM_RSRC2:USER_SGPR: 15
; COMPUTE_PGM_RSRC2:TRAP_HANDLER: 0
; COMPUTE_PGM_RSRC2:TGID_X_EN: 1
; COMPUTE_PGM_RSRC2:TGID_Y_EN: 0
; COMPUTE_PGM_RSRC2:TGID_Z_EN: 0
; COMPUTE_PGM_RSRC2:TIDIG_COMP_CNT: 0
	.section	.text._ZN7rocprim17ROCPRIM_400000_NS6detail17trampoline_kernelINS0_14default_configENS1_20scan_config_selectorIfEEZZNS1_9scan_implILNS1_25lookback_scan_determinismE0ELb0ELb0ES3_PKfPffZZZN2at6native31launch_logcumsumexp_cuda_kernelERKNSB_10TensorBaseESF_lENKUlvE_clEvENKUlvE0_clEvEUlffE_fEEDaPvRmT3_T4_T5_mT6_P12ihipStream_tbENKUlT_T0_E_clISt17integral_constantIbLb1EESV_IbLb0EEEEDaSR_SS_EUlSR_E_NS1_11comp_targetILNS1_3genE8ELNS1_11target_archE1030ELNS1_3gpuE2ELNS1_3repE0EEENS1_30default_config_static_selectorELNS0_4arch9wavefront6targetE0EEEvT1_,"axG",@progbits,_ZN7rocprim17ROCPRIM_400000_NS6detail17trampoline_kernelINS0_14default_configENS1_20scan_config_selectorIfEEZZNS1_9scan_implILNS1_25lookback_scan_determinismE0ELb0ELb0ES3_PKfPffZZZN2at6native31launch_logcumsumexp_cuda_kernelERKNSB_10TensorBaseESF_lENKUlvE_clEvENKUlvE0_clEvEUlffE_fEEDaPvRmT3_T4_T5_mT6_P12ihipStream_tbENKUlT_T0_E_clISt17integral_constantIbLb1EESV_IbLb0EEEEDaSR_SS_EUlSR_E_NS1_11comp_targetILNS1_3genE8ELNS1_11target_archE1030ELNS1_3gpuE2ELNS1_3repE0EEENS1_30default_config_static_selectorELNS0_4arch9wavefront6targetE0EEEvT1_,comdat
	.globl	_ZN7rocprim17ROCPRIM_400000_NS6detail17trampoline_kernelINS0_14default_configENS1_20scan_config_selectorIfEEZZNS1_9scan_implILNS1_25lookback_scan_determinismE0ELb0ELb0ES3_PKfPffZZZN2at6native31launch_logcumsumexp_cuda_kernelERKNSB_10TensorBaseESF_lENKUlvE_clEvENKUlvE0_clEvEUlffE_fEEDaPvRmT3_T4_T5_mT6_P12ihipStream_tbENKUlT_T0_E_clISt17integral_constantIbLb1EESV_IbLb0EEEEDaSR_SS_EUlSR_E_NS1_11comp_targetILNS1_3genE8ELNS1_11target_archE1030ELNS1_3gpuE2ELNS1_3repE0EEENS1_30default_config_static_selectorELNS0_4arch9wavefront6targetE0EEEvT1_ ; -- Begin function _ZN7rocprim17ROCPRIM_400000_NS6detail17trampoline_kernelINS0_14default_configENS1_20scan_config_selectorIfEEZZNS1_9scan_implILNS1_25lookback_scan_determinismE0ELb0ELb0ES3_PKfPffZZZN2at6native31launch_logcumsumexp_cuda_kernelERKNSB_10TensorBaseESF_lENKUlvE_clEvENKUlvE0_clEvEUlffE_fEEDaPvRmT3_T4_T5_mT6_P12ihipStream_tbENKUlT_T0_E_clISt17integral_constantIbLb1EESV_IbLb0EEEEDaSR_SS_EUlSR_E_NS1_11comp_targetILNS1_3genE8ELNS1_11target_archE1030ELNS1_3gpuE2ELNS1_3repE0EEENS1_30default_config_static_selectorELNS0_4arch9wavefront6targetE0EEEvT1_
	.p2align	8
	.type	_ZN7rocprim17ROCPRIM_400000_NS6detail17trampoline_kernelINS0_14default_configENS1_20scan_config_selectorIfEEZZNS1_9scan_implILNS1_25lookback_scan_determinismE0ELb0ELb0ES3_PKfPffZZZN2at6native31launch_logcumsumexp_cuda_kernelERKNSB_10TensorBaseESF_lENKUlvE_clEvENKUlvE0_clEvEUlffE_fEEDaPvRmT3_T4_T5_mT6_P12ihipStream_tbENKUlT_T0_E_clISt17integral_constantIbLb1EESV_IbLb0EEEEDaSR_SS_EUlSR_E_NS1_11comp_targetILNS1_3genE8ELNS1_11target_archE1030ELNS1_3gpuE2ELNS1_3repE0EEENS1_30default_config_static_selectorELNS0_4arch9wavefront6targetE0EEEvT1_,@function
_ZN7rocprim17ROCPRIM_400000_NS6detail17trampoline_kernelINS0_14default_configENS1_20scan_config_selectorIfEEZZNS1_9scan_implILNS1_25lookback_scan_determinismE0ELb0ELb0ES3_PKfPffZZZN2at6native31launch_logcumsumexp_cuda_kernelERKNSB_10TensorBaseESF_lENKUlvE_clEvENKUlvE0_clEvEUlffE_fEEDaPvRmT3_T4_T5_mT6_P12ihipStream_tbENKUlT_T0_E_clISt17integral_constantIbLb1EESV_IbLb0EEEEDaSR_SS_EUlSR_E_NS1_11comp_targetILNS1_3genE8ELNS1_11target_archE1030ELNS1_3gpuE2ELNS1_3repE0EEENS1_30default_config_static_selectorELNS0_4arch9wavefront6targetE0EEEvT1_: ; @_ZN7rocprim17ROCPRIM_400000_NS6detail17trampoline_kernelINS0_14default_configENS1_20scan_config_selectorIfEEZZNS1_9scan_implILNS1_25lookback_scan_determinismE0ELb0ELb0ES3_PKfPffZZZN2at6native31launch_logcumsumexp_cuda_kernelERKNSB_10TensorBaseESF_lENKUlvE_clEvENKUlvE0_clEvEUlffE_fEEDaPvRmT3_T4_T5_mT6_P12ihipStream_tbENKUlT_T0_E_clISt17integral_constantIbLb1EESV_IbLb0EEEEDaSR_SS_EUlSR_E_NS1_11comp_targetILNS1_3genE8ELNS1_11target_archE1030ELNS1_3gpuE2ELNS1_3repE0EEENS1_30default_config_static_selectorELNS0_4arch9wavefront6targetE0EEEvT1_
; %bb.0:
	.section	.rodata,"a",@progbits
	.p2align	6, 0x0
	.amdhsa_kernel _ZN7rocprim17ROCPRIM_400000_NS6detail17trampoline_kernelINS0_14default_configENS1_20scan_config_selectorIfEEZZNS1_9scan_implILNS1_25lookback_scan_determinismE0ELb0ELb0ES3_PKfPffZZZN2at6native31launch_logcumsumexp_cuda_kernelERKNSB_10TensorBaseESF_lENKUlvE_clEvENKUlvE0_clEvEUlffE_fEEDaPvRmT3_T4_T5_mT6_P12ihipStream_tbENKUlT_T0_E_clISt17integral_constantIbLb1EESV_IbLb0EEEEDaSR_SS_EUlSR_E_NS1_11comp_targetILNS1_3genE8ELNS1_11target_archE1030ELNS1_3gpuE2ELNS1_3repE0EEENS1_30default_config_static_selectorELNS0_4arch9wavefront6targetE0EEEvT1_
		.amdhsa_group_segment_fixed_size 0
		.amdhsa_private_segment_fixed_size 0
		.amdhsa_kernarg_size 96
		.amdhsa_user_sgpr_count 15
		.amdhsa_user_sgpr_dispatch_ptr 0
		.amdhsa_user_sgpr_queue_ptr 0
		.amdhsa_user_sgpr_kernarg_segment_ptr 1
		.amdhsa_user_sgpr_dispatch_id 0
		.amdhsa_user_sgpr_private_segment_size 0
		.amdhsa_wavefront_size32 1
		.amdhsa_uses_dynamic_stack 0
		.amdhsa_enable_private_segment 0
		.amdhsa_system_sgpr_workgroup_id_x 1
		.amdhsa_system_sgpr_workgroup_id_y 0
		.amdhsa_system_sgpr_workgroup_id_z 0
		.amdhsa_system_sgpr_workgroup_info 0
		.amdhsa_system_vgpr_workitem_id 0
		.amdhsa_next_free_vgpr 1
		.amdhsa_next_free_sgpr 1
		.amdhsa_reserve_vcc 0
		.amdhsa_float_round_mode_32 0
		.amdhsa_float_round_mode_16_64 0
		.amdhsa_float_denorm_mode_32 3
		.amdhsa_float_denorm_mode_16_64 3
		.amdhsa_dx10_clamp 1
		.amdhsa_ieee_mode 1
		.amdhsa_fp16_overflow 0
		.amdhsa_workgroup_processor_mode 1
		.amdhsa_memory_ordered 1
		.amdhsa_forward_progress 0
		.amdhsa_shared_vgpr_count 0
		.amdhsa_exception_fp_ieee_invalid_op 0
		.amdhsa_exception_fp_denorm_src 0
		.amdhsa_exception_fp_ieee_div_zero 0
		.amdhsa_exception_fp_ieee_overflow 0
		.amdhsa_exception_fp_ieee_underflow 0
		.amdhsa_exception_fp_ieee_inexact 0
		.amdhsa_exception_int_div_zero 0
	.end_amdhsa_kernel
	.section	.text._ZN7rocprim17ROCPRIM_400000_NS6detail17trampoline_kernelINS0_14default_configENS1_20scan_config_selectorIfEEZZNS1_9scan_implILNS1_25lookback_scan_determinismE0ELb0ELb0ES3_PKfPffZZZN2at6native31launch_logcumsumexp_cuda_kernelERKNSB_10TensorBaseESF_lENKUlvE_clEvENKUlvE0_clEvEUlffE_fEEDaPvRmT3_T4_T5_mT6_P12ihipStream_tbENKUlT_T0_E_clISt17integral_constantIbLb1EESV_IbLb0EEEEDaSR_SS_EUlSR_E_NS1_11comp_targetILNS1_3genE8ELNS1_11target_archE1030ELNS1_3gpuE2ELNS1_3repE0EEENS1_30default_config_static_selectorELNS0_4arch9wavefront6targetE0EEEvT1_,"axG",@progbits,_ZN7rocprim17ROCPRIM_400000_NS6detail17trampoline_kernelINS0_14default_configENS1_20scan_config_selectorIfEEZZNS1_9scan_implILNS1_25lookback_scan_determinismE0ELb0ELb0ES3_PKfPffZZZN2at6native31launch_logcumsumexp_cuda_kernelERKNSB_10TensorBaseESF_lENKUlvE_clEvENKUlvE0_clEvEUlffE_fEEDaPvRmT3_T4_T5_mT6_P12ihipStream_tbENKUlT_T0_E_clISt17integral_constantIbLb1EESV_IbLb0EEEEDaSR_SS_EUlSR_E_NS1_11comp_targetILNS1_3genE8ELNS1_11target_archE1030ELNS1_3gpuE2ELNS1_3repE0EEENS1_30default_config_static_selectorELNS0_4arch9wavefront6targetE0EEEvT1_,comdat
.Lfunc_end146:
	.size	_ZN7rocprim17ROCPRIM_400000_NS6detail17trampoline_kernelINS0_14default_configENS1_20scan_config_selectorIfEEZZNS1_9scan_implILNS1_25lookback_scan_determinismE0ELb0ELb0ES3_PKfPffZZZN2at6native31launch_logcumsumexp_cuda_kernelERKNSB_10TensorBaseESF_lENKUlvE_clEvENKUlvE0_clEvEUlffE_fEEDaPvRmT3_T4_T5_mT6_P12ihipStream_tbENKUlT_T0_E_clISt17integral_constantIbLb1EESV_IbLb0EEEEDaSR_SS_EUlSR_E_NS1_11comp_targetILNS1_3genE8ELNS1_11target_archE1030ELNS1_3gpuE2ELNS1_3repE0EEENS1_30default_config_static_selectorELNS0_4arch9wavefront6targetE0EEEvT1_, .Lfunc_end146-_ZN7rocprim17ROCPRIM_400000_NS6detail17trampoline_kernelINS0_14default_configENS1_20scan_config_selectorIfEEZZNS1_9scan_implILNS1_25lookback_scan_determinismE0ELb0ELb0ES3_PKfPffZZZN2at6native31launch_logcumsumexp_cuda_kernelERKNSB_10TensorBaseESF_lENKUlvE_clEvENKUlvE0_clEvEUlffE_fEEDaPvRmT3_T4_T5_mT6_P12ihipStream_tbENKUlT_T0_E_clISt17integral_constantIbLb1EESV_IbLb0EEEEDaSR_SS_EUlSR_E_NS1_11comp_targetILNS1_3genE8ELNS1_11target_archE1030ELNS1_3gpuE2ELNS1_3repE0EEENS1_30default_config_static_selectorELNS0_4arch9wavefront6targetE0EEEvT1_
                                        ; -- End function
	.section	.AMDGPU.csdata,"",@progbits
; Kernel info:
; codeLenInByte = 0
; NumSgprs: 0
; NumVgprs: 0
; ScratchSize: 0
; MemoryBound: 0
; FloatMode: 240
; IeeeMode: 1
; LDSByteSize: 0 bytes/workgroup (compile time only)
; SGPRBlocks: 0
; VGPRBlocks: 0
; NumSGPRsForWavesPerEU: 1
; NumVGPRsForWavesPerEU: 1
; Occupancy: 16
; WaveLimiterHint : 0
; COMPUTE_PGM_RSRC2:SCRATCH_EN: 0
; COMPUTE_PGM_RSRC2:USER_SGPR: 15
; COMPUTE_PGM_RSRC2:TRAP_HANDLER: 0
; COMPUTE_PGM_RSRC2:TGID_X_EN: 1
; COMPUTE_PGM_RSRC2:TGID_Y_EN: 0
; COMPUTE_PGM_RSRC2:TGID_Z_EN: 0
; COMPUTE_PGM_RSRC2:TIDIG_COMP_CNT: 0
	.section	.text._ZN7rocprim17ROCPRIM_400000_NS6detail17trampoline_kernelINS0_14default_configENS1_20scan_config_selectorIfEEZZNS1_9scan_implILNS1_25lookback_scan_determinismE0ELb0ELb0ES3_PKfPffZZZN2at6native31launch_logcumsumexp_cuda_kernelERKNSB_10TensorBaseESF_lENKUlvE_clEvENKUlvE0_clEvEUlffE_fEEDaPvRmT3_T4_T5_mT6_P12ihipStream_tbENKUlT_T0_E_clISt17integral_constantIbLb1EESV_IbLb0EEEEDaSR_SS_EUlSR_E0_NS1_11comp_targetILNS1_3genE0ELNS1_11target_archE4294967295ELNS1_3gpuE0ELNS1_3repE0EEENS1_30default_config_static_selectorELNS0_4arch9wavefront6targetE0EEEvT1_,"axG",@progbits,_ZN7rocprim17ROCPRIM_400000_NS6detail17trampoline_kernelINS0_14default_configENS1_20scan_config_selectorIfEEZZNS1_9scan_implILNS1_25lookback_scan_determinismE0ELb0ELb0ES3_PKfPffZZZN2at6native31launch_logcumsumexp_cuda_kernelERKNSB_10TensorBaseESF_lENKUlvE_clEvENKUlvE0_clEvEUlffE_fEEDaPvRmT3_T4_T5_mT6_P12ihipStream_tbENKUlT_T0_E_clISt17integral_constantIbLb1EESV_IbLb0EEEEDaSR_SS_EUlSR_E0_NS1_11comp_targetILNS1_3genE0ELNS1_11target_archE4294967295ELNS1_3gpuE0ELNS1_3repE0EEENS1_30default_config_static_selectorELNS0_4arch9wavefront6targetE0EEEvT1_,comdat
	.globl	_ZN7rocprim17ROCPRIM_400000_NS6detail17trampoline_kernelINS0_14default_configENS1_20scan_config_selectorIfEEZZNS1_9scan_implILNS1_25lookback_scan_determinismE0ELb0ELb0ES3_PKfPffZZZN2at6native31launch_logcumsumexp_cuda_kernelERKNSB_10TensorBaseESF_lENKUlvE_clEvENKUlvE0_clEvEUlffE_fEEDaPvRmT3_T4_T5_mT6_P12ihipStream_tbENKUlT_T0_E_clISt17integral_constantIbLb1EESV_IbLb0EEEEDaSR_SS_EUlSR_E0_NS1_11comp_targetILNS1_3genE0ELNS1_11target_archE4294967295ELNS1_3gpuE0ELNS1_3repE0EEENS1_30default_config_static_selectorELNS0_4arch9wavefront6targetE0EEEvT1_ ; -- Begin function _ZN7rocprim17ROCPRIM_400000_NS6detail17trampoline_kernelINS0_14default_configENS1_20scan_config_selectorIfEEZZNS1_9scan_implILNS1_25lookback_scan_determinismE0ELb0ELb0ES3_PKfPffZZZN2at6native31launch_logcumsumexp_cuda_kernelERKNSB_10TensorBaseESF_lENKUlvE_clEvENKUlvE0_clEvEUlffE_fEEDaPvRmT3_T4_T5_mT6_P12ihipStream_tbENKUlT_T0_E_clISt17integral_constantIbLb1EESV_IbLb0EEEEDaSR_SS_EUlSR_E0_NS1_11comp_targetILNS1_3genE0ELNS1_11target_archE4294967295ELNS1_3gpuE0ELNS1_3repE0EEENS1_30default_config_static_selectorELNS0_4arch9wavefront6targetE0EEEvT1_
	.p2align	8
	.type	_ZN7rocprim17ROCPRIM_400000_NS6detail17trampoline_kernelINS0_14default_configENS1_20scan_config_selectorIfEEZZNS1_9scan_implILNS1_25lookback_scan_determinismE0ELb0ELb0ES3_PKfPffZZZN2at6native31launch_logcumsumexp_cuda_kernelERKNSB_10TensorBaseESF_lENKUlvE_clEvENKUlvE0_clEvEUlffE_fEEDaPvRmT3_T4_T5_mT6_P12ihipStream_tbENKUlT_T0_E_clISt17integral_constantIbLb1EESV_IbLb0EEEEDaSR_SS_EUlSR_E0_NS1_11comp_targetILNS1_3genE0ELNS1_11target_archE4294967295ELNS1_3gpuE0ELNS1_3repE0EEENS1_30default_config_static_selectorELNS0_4arch9wavefront6targetE0EEEvT1_,@function
_ZN7rocprim17ROCPRIM_400000_NS6detail17trampoline_kernelINS0_14default_configENS1_20scan_config_selectorIfEEZZNS1_9scan_implILNS1_25lookback_scan_determinismE0ELb0ELb0ES3_PKfPffZZZN2at6native31launch_logcumsumexp_cuda_kernelERKNSB_10TensorBaseESF_lENKUlvE_clEvENKUlvE0_clEvEUlffE_fEEDaPvRmT3_T4_T5_mT6_P12ihipStream_tbENKUlT_T0_E_clISt17integral_constantIbLb1EESV_IbLb0EEEEDaSR_SS_EUlSR_E0_NS1_11comp_targetILNS1_3genE0ELNS1_11target_archE4294967295ELNS1_3gpuE0ELNS1_3repE0EEENS1_30default_config_static_selectorELNS0_4arch9wavefront6targetE0EEEvT1_: ; @_ZN7rocprim17ROCPRIM_400000_NS6detail17trampoline_kernelINS0_14default_configENS1_20scan_config_selectorIfEEZZNS1_9scan_implILNS1_25lookback_scan_determinismE0ELb0ELb0ES3_PKfPffZZZN2at6native31launch_logcumsumexp_cuda_kernelERKNSB_10TensorBaseESF_lENKUlvE_clEvENKUlvE0_clEvEUlffE_fEEDaPvRmT3_T4_T5_mT6_P12ihipStream_tbENKUlT_T0_E_clISt17integral_constantIbLb1EESV_IbLb0EEEEDaSR_SS_EUlSR_E0_NS1_11comp_targetILNS1_3genE0ELNS1_11target_archE4294967295ELNS1_3gpuE0ELNS1_3repE0EEENS1_30default_config_static_selectorELNS0_4arch9wavefront6targetE0EEEvT1_
; %bb.0:
	.section	.rodata,"a",@progbits
	.p2align	6, 0x0
	.amdhsa_kernel _ZN7rocprim17ROCPRIM_400000_NS6detail17trampoline_kernelINS0_14default_configENS1_20scan_config_selectorIfEEZZNS1_9scan_implILNS1_25lookback_scan_determinismE0ELb0ELb0ES3_PKfPffZZZN2at6native31launch_logcumsumexp_cuda_kernelERKNSB_10TensorBaseESF_lENKUlvE_clEvENKUlvE0_clEvEUlffE_fEEDaPvRmT3_T4_T5_mT6_P12ihipStream_tbENKUlT_T0_E_clISt17integral_constantIbLb1EESV_IbLb0EEEEDaSR_SS_EUlSR_E0_NS1_11comp_targetILNS1_3genE0ELNS1_11target_archE4294967295ELNS1_3gpuE0ELNS1_3repE0EEENS1_30default_config_static_selectorELNS0_4arch9wavefront6targetE0EEEvT1_
		.amdhsa_group_segment_fixed_size 0
		.amdhsa_private_segment_fixed_size 0
		.amdhsa_kernarg_size 32
		.amdhsa_user_sgpr_count 15
		.amdhsa_user_sgpr_dispatch_ptr 0
		.amdhsa_user_sgpr_queue_ptr 0
		.amdhsa_user_sgpr_kernarg_segment_ptr 1
		.amdhsa_user_sgpr_dispatch_id 0
		.amdhsa_user_sgpr_private_segment_size 0
		.amdhsa_wavefront_size32 1
		.amdhsa_uses_dynamic_stack 0
		.amdhsa_enable_private_segment 0
		.amdhsa_system_sgpr_workgroup_id_x 1
		.amdhsa_system_sgpr_workgroup_id_y 0
		.amdhsa_system_sgpr_workgroup_id_z 0
		.amdhsa_system_sgpr_workgroup_info 0
		.amdhsa_system_vgpr_workitem_id 0
		.amdhsa_next_free_vgpr 1
		.amdhsa_next_free_sgpr 1
		.amdhsa_reserve_vcc 0
		.amdhsa_float_round_mode_32 0
		.amdhsa_float_round_mode_16_64 0
		.amdhsa_float_denorm_mode_32 3
		.amdhsa_float_denorm_mode_16_64 3
		.amdhsa_dx10_clamp 1
		.amdhsa_ieee_mode 1
		.amdhsa_fp16_overflow 0
		.amdhsa_workgroup_processor_mode 1
		.amdhsa_memory_ordered 1
		.amdhsa_forward_progress 0
		.amdhsa_shared_vgpr_count 0
		.amdhsa_exception_fp_ieee_invalid_op 0
		.amdhsa_exception_fp_denorm_src 0
		.amdhsa_exception_fp_ieee_div_zero 0
		.amdhsa_exception_fp_ieee_overflow 0
		.amdhsa_exception_fp_ieee_underflow 0
		.amdhsa_exception_fp_ieee_inexact 0
		.amdhsa_exception_int_div_zero 0
	.end_amdhsa_kernel
	.section	.text._ZN7rocprim17ROCPRIM_400000_NS6detail17trampoline_kernelINS0_14default_configENS1_20scan_config_selectorIfEEZZNS1_9scan_implILNS1_25lookback_scan_determinismE0ELb0ELb0ES3_PKfPffZZZN2at6native31launch_logcumsumexp_cuda_kernelERKNSB_10TensorBaseESF_lENKUlvE_clEvENKUlvE0_clEvEUlffE_fEEDaPvRmT3_T4_T5_mT6_P12ihipStream_tbENKUlT_T0_E_clISt17integral_constantIbLb1EESV_IbLb0EEEEDaSR_SS_EUlSR_E0_NS1_11comp_targetILNS1_3genE0ELNS1_11target_archE4294967295ELNS1_3gpuE0ELNS1_3repE0EEENS1_30default_config_static_selectorELNS0_4arch9wavefront6targetE0EEEvT1_,"axG",@progbits,_ZN7rocprim17ROCPRIM_400000_NS6detail17trampoline_kernelINS0_14default_configENS1_20scan_config_selectorIfEEZZNS1_9scan_implILNS1_25lookback_scan_determinismE0ELb0ELb0ES3_PKfPffZZZN2at6native31launch_logcumsumexp_cuda_kernelERKNSB_10TensorBaseESF_lENKUlvE_clEvENKUlvE0_clEvEUlffE_fEEDaPvRmT3_T4_T5_mT6_P12ihipStream_tbENKUlT_T0_E_clISt17integral_constantIbLb1EESV_IbLb0EEEEDaSR_SS_EUlSR_E0_NS1_11comp_targetILNS1_3genE0ELNS1_11target_archE4294967295ELNS1_3gpuE0ELNS1_3repE0EEENS1_30default_config_static_selectorELNS0_4arch9wavefront6targetE0EEEvT1_,comdat
.Lfunc_end147:
	.size	_ZN7rocprim17ROCPRIM_400000_NS6detail17trampoline_kernelINS0_14default_configENS1_20scan_config_selectorIfEEZZNS1_9scan_implILNS1_25lookback_scan_determinismE0ELb0ELb0ES3_PKfPffZZZN2at6native31launch_logcumsumexp_cuda_kernelERKNSB_10TensorBaseESF_lENKUlvE_clEvENKUlvE0_clEvEUlffE_fEEDaPvRmT3_T4_T5_mT6_P12ihipStream_tbENKUlT_T0_E_clISt17integral_constantIbLb1EESV_IbLb0EEEEDaSR_SS_EUlSR_E0_NS1_11comp_targetILNS1_3genE0ELNS1_11target_archE4294967295ELNS1_3gpuE0ELNS1_3repE0EEENS1_30default_config_static_selectorELNS0_4arch9wavefront6targetE0EEEvT1_, .Lfunc_end147-_ZN7rocprim17ROCPRIM_400000_NS6detail17trampoline_kernelINS0_14default_configENS1_20scan_config_selectorIfEEZZNS1_9scan_implILNS1_25lookback_scan_determinismE0ELb0ELb0ES3_PKfPffZZZN2at6native31launch_logcumsumexp_cuda_kernelERKNSB_10TensorBaseESF_lENKUlvE_clEvENKUlvE0_clEvEUlffE_fEEDaPvRmT3_T4_T5_mT6_P12ihipStream_tbENKUlT_T0_E_clISt17integral_constantIbLb1EESV_IbLb0EEEEDaSR_SS_EUlSR_E0_NS1_11comp_targetILNS1_3genE0ELNS1_11target_archE4294967295ELNS1_3gpuE0ELNS1_3repE0EEENS1_30default_config_static_selectorELNS0_4arch9wavefront6targetE0EEEvT1_
                                        ; -- End function
	.section	.AMDGPU.csdata,"",@progbits
; Kernel info:
; codeLenInByte = 0
; NumSgprs: 0
; NumVgprs: 0
; ScratchSize: 0
; MemoryBound: 0
; FloatMode: 240
; IeeeMode: 1
; LDSByteSize: 0 bytes/workgroup (compile time only)
; SGPRBlocks: 0
; VGPRBlocks: 0
; NumSGPRsForWavesPerEU: 1
; NumVGPRsForWavesPerEU: 1
; Occupancy: 16
; WaveLimiterHint : 0
; COMPUTE_PGM_RSRC2:SCRATCH_EN: 0
; COMPUTE_PGM_RSRC2:USER_SGPR: 15
; COMPUTE_PGM_RSRC2:TRAP_HANDLER: 0
; COMPUTE_PGM_RSRC2:TGID_X_EN: 1
; COMPUTE_PGM_RSRC2:TGID_Y_EN: 0
; COMPUTE_PGM_RSRC2:TGID_Z_EN: 0
; COMPUTE_PGM_RSRC2:TIDIG_COMP_CNT: 0
	.section	.text._ZN7rocprim17ROCPRIM_400000_NS6detail17trampoline_kernelINS0_14default_configENS1_20scan_config_selectorIfEEZZNS1_9scan_implILNS1_25lookback_scan_determinismE0ELb0ELb0ES3_PKfPffZZZN2at6native31launch_logcumsumexp_cuda_kernelERKNSB_10TensorBaseESF_lENKUlvE_clEvENKUlvE0_clEvEUlffE_fEEDaPvRmT3_T4_T5_mT6_P12ihipStream_tbENKUlT_T0_E_clISt17integral_constantIbLb1EESV_IbLb0EEEEDaSR_SS_EUlSR_E0_NS1_11comp_targetILNS1_3genE5ELNS1_11target_archE942ELNS1_3gpuE9ELNS1_3repE0EEENS1_30default_config_static_selectorELNS0_4arch9wavefront6targetE0EEEvT1_,"axG",@progbits,_ZN7rocprim17ROCPRIM_400000_NS6detail17trampoline_kernelINS0_14default_configENS1_20scan_config_selectorIfEEZZNS1_9scan_implILNS1_25lookback_scan_determinismE0ELb0ELb0ES3_PKfPffZZZN2at6native31launch_logcumsumexp_cuda_kernelERKNSB_10TensorBaseESF_lENKUlvE_clEvENKUlvE0_clEvEUlffE_fEEDaPvRmT3_T4_T5_mT6_P12ihipStream_tbENKUlT_T0_E_clISt17integral_constantIbLb1EESV_IbLb0EEEEDaSR_SS_EUlSR_E0_NS1_11comp_targetILNS1_3genE5ELNS1_11target_archE942ELNS1_3gpuE9ELNS1_3repE0EEENS1_30default_config_static_selectorELNS0_4arch9wavefront6targetE0EEEvT1_,comdat
	.globl	_ZN7rocprim17ROCPRIM_400000_NS6detail17trampoline_kernelINS0_14default_configENS1_20scan_config_selectorIfEEZZNS1_9scan_implILNS1_25lookback_scan_determinismE0ELb0ELb0ES3_PKfPffZZZN2at6native31launch_logcumsumexp_cuda_kernelERKNSB_10TensorBaseESF_lENKUlvE_clEvENKUlvE0_clEvEUlffE_fEEDaPvRmT3_T4_T5_mT6_P12ihipStream_tbENKUlT_T0_E_clISt17integral_constantIbLb1EESV_IbLb0EEEEDaSR_SS_EUlSR_E0_NS1_11comp_targetILNS1_3genE5ELNS1_11target_archE942ELNS1_3gpuE9ELNS1_3repE0EEENS1_30default_config_static_selectorELNS0_4arch9wavefront6targetE0EEEvT1_ ; -- Begin function _ZN7rocprim17ROCPRIM_400000_NS6detail17trampoline_kernelINS0_14default_configENS1_20scan_config_selectorIfEEZZNS1_9scan_implILNS1_25lookback_scan_determinismE0ELb0ELb0ES3_PKfPffZZZN2at6native31launch_logcumsumexp_cuda_kernelERKNSB_10TensorBaseESF_lENKUlvE_clEvENKUlvE0_clEvEUlffE_fEEDaPvRmT3_T4_T5_mT6_P12ihipStream_tbENKUlT_T0_E_clISt17integral_constantIbLb1EESV_IbLb0EEEEDaSR_SS_EUlSR_E0_NS1_11comp_targetILNS1_3genE5ELNS1_11target_archE942ELNS1_3gpuE9ELNS1_3repE0EEENS1_30default_config_static_selectorELNS0_4arch9wavefront6targetE0EEEvT1_
	.p2align	8
	.type	_ZN7rocprim17ROCPRIM_400000_NS6detail17trampoline_kernelINS0_14default_configENS1_20scan_config_selectorIfEEZZNS1_9scan_implILNS1_25lookback_scan_determinismE0ELb0ELb0ES3_PKfPffZZZN2at6native31launch_logcumsumexp_cuda_kernelERKNSB_10TensorBaseESF_lENKUlvE_clEvENKUlvE0_clEvEUlffE_fEEDaPvRmT3_T4_T5_mT6_P12ihipStream_tbENKUlT_T0_E_clISt17integral_constantIbLb1EESV_IbLb0EEEEDaSR_SS_EUlSR_E0_NS1_11comp_targetILNS1_3genE5ELNS1_11target_archE942ELNS1_3gpuE9ELNS1_3repE0EEENS1_30default_config_static_selectorELNS0_4arch9wavefront6targetE0EEEvT1_,@function
_ZN7rocprim17ROCPRIM_400000_NS6detail17trampoline_kernelINS0_14default_configENS1_20scan_config_selectorIfEEZZNS1_9scan_implILNS1_25lookback_scan_determinismE0ELb0ELb0ES3_PKfPffZZZN2at6native31launch_logcumsumexp_cuda_kernelERKNSB_10TensorBaseESF_lENKUlvE_clEvENKUlvE0_clEvEUlffE_fEEDaPvRmT3_T4_T5_mT6_P12ihipStream_tbENKUlT_T0_E_clISt17integral_constantIbLb1EESV_IbLb0EEEEDaSR_SS_EUlSR_E0_NS1_11comp_targetILNS1_3genE5ELNS1_11target_archE942ELNS1_3gpuE9ELNS1_3repE0EEENS1_30default_config_static_selectorELNS0_4arch9wavefront6targetE0EEEvT1_: ; @_ZN7rocprim17ROCPRIM_400000_NS6detail17trampoline_kernelINS0_14default_configENS1_20scan_config_selectorIfEEZZNS1_9scan_implILNS1_25lookback_scan_determinismE0ELb0ELb0ES3_PKfPffZZZN2at6native31launch_logcumsumexp_cuda_kernelERKNSB_10TensorBaseESF_lENKUlvE_clEvENKUlvE0_clEvEUlffE_fEEDaPvRmT3_T4_T5_mT6_P12ihipStream_tbENKUlT_T0_E_clISt17integral_constantIbLb1EESV_IbLb0EEEEDaSR_SS_EUlSR_E0_NS1_11comp_targetILNS1_3genE5ELNS1_11target_archE942ELNS1_3gpuE9ELNS1_3repE0EEENS1_30default_config_static_selectorELNS0_4arch9wavefront6targetE0EEEvT1_
; %bb.0:
	.section	.rodata,"a",@progbits
	.p2align	6, 0x0
	.amdhsa_kernel _ZN7rocprim17ROCPRIM_400000_NS6detail17trampoline_kernelINS0_14default_configENS1_20scan_config_selectorIfEEZZNS1_9scan_implILNS1_25lookback_scan_determinismE0ELb0ELb0ES3_PKfPffZZZN2at6native31launch_logcumsumexp_cuda_kernelERKNSB_10TensorBaseESF_lENKUlvE_clEvENKUlvE0_clEvEUlffE_fEEDaPvRmT3_T4_T5_mT6_P12ihipStream_tbENKUlT_T0_E_clISt17integral_constantIbLb1EESV_IbLb0EEEEDaSR_SS_EUlSR_E0_NS1_11comp_targetILNS1_3genE5ELNS1_11target_archE942ELNS1_3gpuE9ELNS1_3repE0EEENS1_30default_config_static_selectorELNS0_4arch9wavefront6targetE0EEEvT1_
		.amdhsa_group_segment_fixed_size 0
		.amdhsa_private_segment_fixed_size 0
		.amdhsa_kernarg_size 32
		.amdhsa_user_sgpr_count 15
		.amdhsa_user_sgpr_dispatch_ptr 0
		.amdhsa_user_sgpr_queue_ptr 0
		.amdhsa_user_sgpr_kernarg_segment_ptr 1
		.amdhsa_user_sgpr_dispatch_id 0
		.amdhsa_user_sgpr_private_segment_size 0
		.amdhsa_wavefront_size32 1
		.amdhsa_uses_dynamic_stack 0
		.amdhsa_enable_private_segment 0
		.amdhsa_system_sgpr_workgroup_id_x 1
		.amdhsa_system_sgpr_workgroup_id_y 0
		.amdhsa_system_sgpr_workgroup_id_z 0
		.amdhsa_system_sgpr_workgroup_info 0
		.amdhsa_system_vgpr_workitem_id 0
		.amdhsa_next_free_vgpr 1
		.amdhsa_next_free_sgpr 1
		.amdhsa_reserve_vcc 0
		.amdhsa_float_round_mode_32 0
		.amdhsa_float_round_mode_16_64 0
		.amdhsa_float_denorm_mode_32 3
		.amdhsa_float_denorm_mode_16_64 3
		.amdhsa_dx10_clamp 1
		.amdhsa_ieee_mode 1
		.amdhsa_fp16_overflow 0
		.amdhsa_workgroup_processor_mode 1
		.amdhsa_memory_ordered 1
		.amdhsa_forward_progress 0
		.amdhsa_shared_vgpr_count 0
		.amdhsa_exception_fp_ieee_invalid_op 0
		.amdhsa_exception_fp_denorm_src 0
		.amdhsa_exception_fp_ieee_div_zero 0
		.amdhsa_exception_fp_ieee_overflow 0
		.amdhsa_exception_fp_ieee_underflow 0
		.amdhsa_exception_fp_ieee_inexact 0
		.amdhsa_exception_int_div_zero 0
	.end_amdhsa_kernel
	.section	.text._ZN7rocprim17ROCPRIM_400000_NS6detail17trampoline_kernelINS0_14default_configENS1_20scan_config_selectorIfEEZZNS1_9scan_implILNS1_25lookback_scan_determinismE0ELb0ELb0ES3_PKfPffZZZN2at6native31launch_logcumsumexp_cuda_kernelERKNSB_10TensorBaseESF_lENKUlvE_clEvENKUlvE0_clEvEUlffE_fEEDaPvRmT3_T4_T5_mT6_P12ihipStream_tbENKUlT_T0_E_clISt17integral_constantIbLb1EESV_IbLb0EEEEDaSR_SS_EUlSR_E0_NS1_11comp_targetILNS1_3genE5ELNS1_11target_archE942ELNS1_3gpuE9ELNS1_3repE0EEENS1_30default_config_static_selectorELNS0_4arch9wavefront6targetE0EEEvT1_,"axG",@progbits,_ZN7rocprim17ROCPRIM_400000_NS6detail17trampoline_kernelINS0_14default_configENS1_20scan_config_selectorIfEEZZNS1_9scan_implILNS1_25lookback_scan_determinismE0ELb0ELb0ES3_PKfPffZZZN2at6native31launch_logcumsumexp_cuda_kernelERKNSB_10TensorBaseESF_lENKUlvE_clEvENKUlvE0_clEvEUlffE_fEEDaPvRmT3_T4_T5_mT6_P12ihipStream_tbENKUlT_T0_E_clISt17integral_constantIbLb1EESV_IbLb0EEEEDaSR_SS_EUlSR_E0_NS1_11comp_targetILNS1_3genE5ELNS1_11target_archE942ELNS1_3gpuE9ELNS1_3repE0EEENS1_30default_config_static_selectorELNS0_4arch9wavefront6targetE0EEEvT1_,comdat
.Lfunc_end148:
	.size	_ZN7rocprim17ROCPRIM_400000_NS6detail17trampoline_kernelINS0_14default_configENS1_20scan_config_selectorIfEEZZNS1_9scan_implILNS1_25lookback_scan_determinismE0ELb0ELb0ES3_PKfPffZZZN2at6native31launch_logcumsumexp_cuda_kernelERKNSB_10TensorBaseESF_lENKUlvE_clEvENKUlvE0_clEvEUlffE_fEEDaPvRmT3_T4_T5_mT6_P12ihipStream_tbENKUlT_T0_E_clISt17integral_constantIbLb1EESV_IbLb0EEEEDaSR_SS_EUlSR_E0_NS1_11comp_targetILNS1_3genE5ELNS1_11target_archE942ELNS1_3gpuE9ELNS1_3repE0EEENS1_30default_config_static_selectorELNS0_4arch9wavefront6targetE0EEEvT1_, .Lfunc_end148-_ZN7rocprim17ROCPRIM_400000_NS6detail17trampoline_kernelINS0_14default_configENS1_20scan_config_selectorIfEEZZNS1_9scan_implILNS1_25lookback_scan_determinismE0ELb0ELb0ES3_PKfPffZZZN2at6native31launch_logcumsumexp_cuda_kernelERKNSB_10TensorBaseESF_lENKUlvE_clEvENKUlvE0_clEvEUlffE_fEEDaPvRmT3_T4_T5_mT6_P12ihipStream_tbENKUlT_T0_E_clISt17integral_constantIbLb1EESV_IbLb0EEEEDaSR_SS_EUlSR_E0_NS1_11comp_targetILNS1_3genE5ELNS1_11target_archE942ELNS1_3gpuE9ELNS1_3repE0EEENS1_30default_config_static_selectorELNS0_4arch9wavefront6targetE0EEEvT1_
                                        ; -- End function
	.section	.AMDGPU.csdata,"",@progbits
; Kernel info:
; codeLenInByte = 0
; NumSgprs: 0
; NumVgprs: 0
; ScratchSize: 0
; MemoryBound: 0
; FloatMode: 240
; IeeeMode: 1
; LDSByteSize: 0 bytes/workgroup (compile time only)
; SGPRBlocks: 0
; VGPRBlocks: 0
; NumSGPRsForWavesPerEU: 1
; NumVGPRsForWavesPerEU: 1
; Occupancy: 16
; WaveLimiterHint : 0
; COMPUTE_PGM_RSRC2:SCRATCH_EN: 0
; COMPUTE_PGM_RSRC2:USER_SGPR: 15
; COMPUTE_PGM_RSRC2:TRAP_HANDLER: 0
; COMPUTE_PGM_RSRC2:TGID_X_EN: 1
; COMPUTE_PGM_RSRC2:TGID_Y_EN: 0
; COMPUTE_PGM_RSRC2:TGID_Z_EN: 0
; COMPUTE_PGM_RSRC2:TIDIG_COMP_CNT: 0
	.section	.text._ZN7rocprim17ROCPRIM_400000_NS6detail17trampoline_kernelINS0_14default_configENS1_20scan_config_selectorIfEEZZNS1_9scan_implILNS1_25lookback_scan_determinismE0ELb0ELb0ES3_PKfPffZZZN2at6native31launch_logcumsumexp_cuda_kernelERKNSB_10TensorBaseESF_lENKUlvE_clEvENKUlvE0_clEvEUlffE_fEEDaPvRmT3_T4_T5_mT6_P12ihipStream_tbENKUlT_T0_E_clISt17integral_constantIbLb1EESV_IbLb0EEEEDaSR_SS_EUlSR_E0_NS1_11comp_targetILNS1_3genE4ELNS1_11target_archE910ELNS1_3gpuE8ELNS1_3repE0EEENS1_30default_config_static_selectorELNS0_4arch9wavefront6targetE0EEEvT1_,"axG",@progbits,_ZN7rocprim17ROCPRIM_400000_NS6detail17trampoline_kernelINS0_14default_configENS1_20scan_config_selectorIfEEZZNS1_9scan_implILNS1_25lookback_scan_determinismE0ELb0ELb0ES3_PKfPffZZZN2at6native31launch_logcumsumexp_cuda_kernelERKNSB_10TensorBaseESF_lENKUlvE_clEvENKUlvE0_clEvEUlffE_fEEDaPvRmT3_T4_T5_mT6_P12ihipStream_tbENKUlT_T0_E_clISt17integral_constantIbLb1EESV_IbLb0EEEEDaSR_SS_EUlSR_E0_NS1_11comp_targetILNS1_3genE4ELNS1_11target_archE910ELNS1_3gpuE8ELNS1_3repE0EEENS1_30default_config_static_selectorELNS0_4arch9wavefront6targetE0EEEvT1_,comdat
	.globl	_ZN7rocprim17ROCPRIM_400000_NS6detail17trampoline_kernelINS0_14default_configENS1_20scan_config_selectorIfEEZZNS1_9scan_implILNS1_25lookback_scan_determinismE0ELb0ELb0ES3_PKfPffZZZN2at6native31launch_logcumsumexp_cuda_kernelERKNSB_10TensorBaseESF_lENKUlvE_clEvENKUlvE0_clEvEUlffE_fEEDaPvRmT3_T4_T5_mT6_P12ihipStream_tbENKUlT_T0_E_clISt17integral_constantIbLb1EESV_IbLb0EEEEDaSR_SS_EUlSR_E0_NS1_11comp_targetILNS1_3genE4ELNS1_11target_archE910ELNS1_3gpuE8ELNS1_3repE0EEENS1_30default_config_static_selectorELNS0_4arch9wavefront6targetE0EEEvT1_ ; -- Begin function _ZN7rocprim17ROCPRIM_400000_NS6detail17trampoline_kernelINS0_14default_configENS1_20scan_config_selectorIfEEZZNS1_9scan_implILNS1_25lookback_scan_determinismE0ELb0ELb0ES3_PKfPffZZZN2at6native31launch_logcumsumexp_cuda_kernelERKNSB_10TensorBaseESF_lENKUlvE_clEvENKUlvE0_clEvEUlffE_fEEDaPvRmT3_T4_T5_mT6_P12ihipStream_tbENKUlT_T0_E_clISt17integral_constantIbLb1EESV_IbLb0EEEEDaSR_SS_EUlSR_E0_NS1_11comp_targetILNS1_3genE4ELNS1_11target_archE910ELNS1_3gpuE8ELNS1_3repE0EEENS1_30default_config_static_selectorELNS0_4arch9wavefront6targetE0EEEvT1_
	.p2align	8
	.type	_ZN7rocprim17ROCPRIM_400000_NS6detail17trampoline_kernelINS0_14default_configENS1_20scan_config_selectorIfEEZZNS1_9scan_implILNS1_25lookback_scan_determinismE0ELb0ELb0ES3_PKfPffZZZN2at6native31launch_logcumsumexp_cuda_kernelERKNSB_10TensorBaseESF_lENKUlvE_clEvENKUlvE0_clEvEUlffE_fEEDaPvRmT3_T4_T5_mT6_P12ihipStream_tbENKUlT_T0_E_clISt17integral_constantIbLb1EESV_IbLb0EEEEDaSR_SS_EUlSR_E0_NS1_11comp_targetILNS1_3genE4ELNS1_11target_archE910ELNS1_3gpuE8ELNS1_3repE0EEENS1_30default_config_static_selectorELNS0_4arch9wavefront6targetE0EEEvT1_,@function
_ZN7rocprim17ROCPRIM_400000_NS6detail17trampoline_kernelINS0_14default_configENS1_20scan_config_selectorIfEEZZNS1_9scan_implILNS1_25lookback_scan_determinismE0ELb0ELb0ES3_PKfPffZZZN2at6native31launch_logcumsumexp_cuda_kernelERKNSB_10TensorBaseESF_lENKUlvE_clEvENKUlvE0_clEvEUlffE_fEEDaPvRmT3_T4_T5_mT6_P12ihipStream_tbENKUlT_T0_E_clISt17integral_constantIbLb1EESV_IbLb0EEEEDaSR_SS_EUlSR_E0_NS1_11comp_targetILNS1_3genE4ELNS1_11target_archE910ELNS1_3gpuE8ELNS1_3repE0EEENS1_30default_config_static_selectorELNS0_4arch9wavefront6targetE0EEEvT1_: ; @_ZN7rocprim17ROCPRIM_400000_NS6detail17trampoline_kernelINS0_14default_configENS1_20scan_config_selectorIfEEZZNS1_9scan_implILNS1_25lookback_scan_determinismE0ELb0ELb0ES3_PKfPffZZZN2at6native31launch_logcumsumexp_cuda_kernelERKNSB_10TensorBaseESF_lENKUlvE_clEvENKUlvE0_clEvEUlffE_fEEDaPvRmT3_T4_T5_mT6_P12ihipStream_tbENKUlT_T0_E_clISt17integral_constantIbLb1EESV_IbLb0EEEEDaSR_SS_EUlSR_E0_NS1_11comp_targetILNS1_3genE4ELNS1_11target_archE910ELNS1_3gpuE8ELNS1_3repE0EEENS1_30default_config_static_selectorELNS0_4arch9wavefront6targetE0EEEvT1_
; %bb.0:
	.section	.rodata,"a",@progbits
	.p2align	6, 0x0
	.amdhsa_kernel _ZN7rocprim17ROCPRIM_400000_NS6detail17trampoline_kernelINS0_14default_configENS1_20scan_config_selectorIfEEZZNS1_9scan_implILNS1_25lookback_scan_determinismE0ELb0ELb0ES3_PKfPffZZZN2at6native31launch_logcumsumexp_cuda_kernelERKNSB_10TensorBaseESF_lENKUlvE_clEvENKUlvE0_clEvEUlffE_fEEDaPvRmT3_T4_T5_mT6_P12ihipStream_tbENKUlT_T0_E_clISt17integral_constantIbLb1EESV_IbLb0EEEEDaSR_SS_EUlSR_E0_NS1_11comp_targetILNS1_3genE4ELNS1_11target_archE910ELNS1_3gpuE8ELNS1_3repE0EEENS1_30default_config_static_selectorELNS0_4arch9wavefront6targetE0EEEvT1_
		.amdhsa_group_segment_fixed_size 0
		.amdhsa_private_segment_fixed_size 0
		.amdhsa_kernarg_size 32
		.amdhsa_user_sgpr_count 15
		.amdhsa_user_sgpr_dispatch_ptr 0
		.amdhsa_user_sgpr_queue_ptr 0
		.amdhsa_user_sgpr_kernarg_segment_ptr 1
		.amdhsa_user_sgpr_dispatch_id 0
		.amdhsa_user_sgpr_private_segment_size 0
		.amdhsa_wavefront_size32 1
		.amdhsa_uses_dynamic_stack 0
		.amdhsa_enable_private_segment 0
		.amdhsa_system_sgpr_workgroup_id_x 1
		.amdhsa_system_sgpr_workgroup_id_y 0
		.amdhsa_system_sgpr_workgroup_id_z 0
		.amdhsa_system_sgpr_workgroup_info 0
		.amdhsa_system_vgpr_workitem_id 0
		.amdhsa_next_free_vgpr 1
		.amdhsa_next_free_sgpr 1
		.amdhsa_reserve_vcc 0
		.amdhsa_float_round_mode_32 0
		.amdhsa_float_round_mode_16_64 0
		.amdhsa_float_denorm_mode_32 3
		.amdhsa_float_denorm_mode_16_64 3
		.amdhsa_dx10_clamp 1
		.amdhsa_ieee_mode 1
		.amdhsa_fp16_overflow 0
		.amdhsa_workgroup_processor_mode 1
		.amdhsa_memory_ordered 1
		.amdhsa_forward_progress 0
		.amdhsa_shared_vgpr_count 0
		.amdhsa_exception_fp_ieee_invalid_op 0
		.amdhsa_exception_fp_denorm_src 0
		.amdhsa_exception_fp_ieee_div_zero 0
		.amdhsa_exception_fp_ieee_overflow 0
		.amdhsa_exception_fp_ieee_underflow 0
		.amdhsa_exception_fp_ieee_inexact 0
		.amdhsa_exception_int_div_zero 0
	.end_amdhsa_kernel
	.section	.text._ZN7rocprim17ROCPRIM_400000_NS6detail17trampoline_kernelINS0_14default_configENS1_20scan_config_selectorIfEEZZNS1_9scan_implILNS1_25lookback_scan_determinismE0ELb0ELb0ES3_PKfPffZZZN2at6native31launch_logcumsumexp_cuda_kernelERKNSB_10TensorBaseESF_lENKUlvE_clEvENKUlvE0_clEvEUlffE_fEEDaPvRmT3_T4_T5_mT6_P12ihipStream_tbENKUlT_T0_E_clISt17integral_constantIbLb1EESV_IbLb0EEEEDaSR_SS_EUlSR_E0_NS1_11comp_targetILNS1_3genE4ELNS1_11target_archE910ELNS1_3gpuE8ELNS1_3repE0EEENS1_30default_config_static_selectorELNS0_4arch9wavefront6targetE0EEEvT1_,"axG",@progbits,_ZN7rocprim17ROCPRIM_400000_NS6detail17trampoline_kernelINS0_14default_configENS1_20scan_config_selectorIfEEZZNS1_9scan_implILNS1_25lookback_scan_determinismE0ELb0ELb0ES3_PKfPffZZZN2at6native31launch_logcumsumexp_cuda_kernelERKNSB_10TensorBaseESF_lENKUlvE_clEvENKUlvE0_clEvEUlffE_fEEDaPvRmT3_T4_T5_mT6_P12ihipStream_tbENKUlT_T0_E_clISt17integral_constantIbLb1EESV_IbLb0EEEEDaSR_SS_EUlSR_E0_NS1_11comp_targetILNS1_3genE4ELNS1_11target_archE910ELNS1_3gpuE8ELNS1_3repE0EEENS1_30default_config_static_selectorELNS0_4arch9wavefront6targetE0EEEvT1_,comdat
.Lfunc_end149:
	.size	_ZN7rocprim17ROCPRIM_400000_NS6detail17trampoline_kernelINS0_14default_configENS1_20scan_config_selectorIfEEZZNS1_9scan_implILNS1_25lookback_scan_determinismE0ELb0ELb0ES3_PKfPffZZZN2at6native31launch_logcumsumexp_cuda_kernelERKNSB_10TensorBaseESF_lENKUlvE_clEvENKUlvE0_clEvEUlffE_fEEDaPvRmT3_T4_T5_mT6_P12ihipStream_tbENKUlT_T0_E_clISt17integral_constantIbLb1EESV_IbLb0EEEEDaSR_SS_EUlSR_E0_NS1_11comp_targetILNS1_3genE4ELNS1_11target_archE910ELNS1_3gpuE8ELNS1_3repE0EEENS1_30default_config_static_selectorELNS0_4arch9wavefront6targetE0EEEvT1_, .Lfunc_end149-_ZN7rocprim17ROCPRIM_400000_NS6detail17trampoline_kernelINS0_14default_configENS1_20scan_config_selectorIfEEZZNS1_9scan_implILNS1_25lookback_scan_determinismE0ELb0ELb0ES3_PKfPffZZZN2at6native31launch_logcumsumexp_cuda_kernelERKNSB_10TensorBaseESF_lENKUlvE_clEvENKUlvE0_clEvEUlffE_fEEDaPvRmT3_T4_T5_mT6_P12ihipStream_tbENKUlT_T0_E_clISt17integral_constantIbLb1EESV_IbLb0EEEEDaSR_SS_EUlSR_E0_NS1_11comp_targetILNS1_3genE4ELNS1_11target_archE910ELNS1_3gpuE8ELNS1_3repE0EEENS1_30default_config_static_selectorELNS0_4arch9wavefront6targetE0EEEvT1_
                                        ; -- End function
	.section	.AMDGPU.csdata,"",@progbits
; Kernel info:
; codeLenInByte = 0
; NumSgprs: 0
; NumVgprs: 0
; ScratchSize: 0
; MemoryBound: 0
; FloatMode: 240
; IeeeMode: 1
; LDSByteSize: 0 bytes/workgroup (compile time only)
; SGPRBlocks: 0
; VGPRBlocks: 0
; NumSGPRsForWavesPerEU: 1
; NumVGPRsForWavesPerEU: 1
; Occupancy: 16
; WaveLimiterHint : 0
; COMPUTE_PGM_RSRC2:SCRATCH_EN: 0
; COMPUTE_PGM_RSRC2:USER_SGPR: 15
; COMPUTE_PGM_RSRC2:TRAP_HANDLER: 0
; COMPUTE_PGM_RSRC2:TGID_X_EN: 1
; COMPUTE_PGM_RSRC2:TGID_Y_EN: 0
; COMPUTE_PGM_RSRC2:TGID_Z_EN: 0
; COMPUTE_PGM_RSRC2:TIDIG_COMP_CNT: 0
	.section	.text._ZN7rocprim17ROCPRIM_400000_NS6detail17trampoline_kernelINS0_14default_configENS1_20scan_config_selectorIfEEZZNS1_9scan_implILNS1_25lookback_scan_determinismE0ELb0ELb0ES3_PKfPffZZZN2at6native31launch_logcumsumexp_cuda_kernelERKNSB_10TensorBaseESF_lENKUlvE_clEvENKUlvE0_clEvEUlffE_fEEDaPvRmT3_T4_T5_mT6_P12ihipStream_tbENKUlT_T0_E_clISt17integral_constantIbLb1EESV_IbLb0EEEEDaSR_SS_EUlSR_E0_NS1_11comp_targetILNS1_3genE3ELNS1_11target_archE908ELNS1_3gpuE7ELNS1_3repE0EEENS1_30default_config_static_selectorELNS0_4arch9wavefront6targetE0EEEvT1_,"axG",@progbits,_ZN7rocprim17ROCPRIM_400000_NS6detail17trampoline_kernelINS0_14default_configENS1_20scan_config_selectorIfEEZZNS1_9scan_implILNS1_25lookback_scan_determinismE0ELb0ELb0ES3_PKfPffZZZN2at6native31launch_logcumsumexp_cuda_kernelERKNSB_10TensorBaseESF_lENKUlvE_clEvENKUlvE0_clEvEUlffE_fEEDaPvRmT3_T4_T5_mT6_P12ihipStream_tbENKUlT_T0_E_clISt17integral_constantIbLb1EESV_IbLb0EEEEDaSR_SS_EUlSR_E0_NS1_11comp_targetILNS1_3genE3ELNS1_11target_archE908ELNS1_3gpuE7ELNS1_3repE0EEENS1_30default_config_static_selectorELNS0_4arch9wavefront6targetE0EEEvT1_,comdat
	.globl	_ZN7rocprim17ROCPRIM_400000_NS6detail17trampoline_kernelINS0_14default_configENS1_20scan_config_selectorIfEEZZNS1_9scan_implILNS1_25lookback_scan_determinismE0ELb0ELb0ES3_PKfPffZZZN2at6native31launch_logcumsumexp_cuda_kernelERKNSB_10TensorBaseESF_lENKUlvE_clEvENKUlvE0_clEvEUlffE_fEEDaPvRmT3_T4_T5_mT6_P12ihipStream_tbENKUlT_T0_E_clISt17integral_constantIbLb1EESV_IbLb0EEEEDaSR_SS_EUlSR_E0_NS1_11comp_targetILNS1_3genE3ELNS1_11target_archE908ELNS1_3gpuE7ELNS1_3repE0EEENS1_30default_config_static_selectorELNS0_4arch9wavefront6targetE0EEEvT1_ ; -- Begin function _ZN7rocprim17ROCPRIM_400000_NS6detail17trampoline_kernelINS0_14default_configENS1_20scan_config_selectorIfEEZZNS1_9scan_implILNS1_25lookback_scan_determinismE0ELb0ELb0ES3_PKfPffZZZN2at6native31launch_logcumsumexp_cuda_kernelERKNSB_10TensorBaseESF_lENKUlvE_clEvENKUlvE0_clEvEUlffE_fEEDaPvRmT3_T4_T5_mT6_P12ihipStream_tbENKUlT_T0_E_clISt17integral_constantIbLb1EESV_IbLb0EEEEDaSR_SS_EUlSR_E0_NS1_11comp_targetILNS1_3genE3ELNS1_11target_archE908ELNS1_3gpuE7ELNS1_3repE0EEENS1_30default_config_static_selectorELNS0_4arch9wavefront6targetE0EEEvT1_
	.p2align	8
	.type	_ZN7rocprim17ROCPRIM_400000_NS6detail17trampoline_kernelINS0_14default_configENS1_20scan_config_selectorIfEEZZNS1_9scan_implILNS1_25lookback_scan_determinismE0ELb0ELb0ES3_PKfPffZZZN2at6native31launch_logcumsumexp_cuda_kernelERKNSB_10TensorBaseESF_lENKUlvE_clEvENKUlvE0_clEvEUlffE_fEEDaPvRmT3_T4_T5_mT6_P12ihipStream_tbENKUlT_T0_E_clISt17integral_constantIbLb1EESV_IbLb0EEEEDaSR_SS_EUlSR_E0_NS1_11comp_targetILNS1_3genE3ELNS1_11target_archE908ELNS1_3gpuE7ELNS1_3repE0EEENS1_30default_config_static_selectorELNS0_4arch9wavefront6targetE0EEEvT1_,@function
_ZN7rocprim17ROCPRIM_400000_NS6detail17trampoline_kernelINS0_14default_configENS1_20scan_config_selectorIfEEZZNS1_9scan_implILNS1_25lookback_scan_determinismE0ELb0ELb0ES3_PKfPffZZZN2at6native31launch_logcumsumexp_cuda_kernelERKNSB_10TensorBaseESF_lENKUlvE_clEvENKUlvE0_clEvEUlffE_fEEDaPvRmT3_T4_T5_mT6_P12ihipStream_tbENKUlT_T0_E_clISt17integral_constantIbLb1EESV_IbLb0EEEEDaSR_SS_EUlSR_E0_NS1_11comp_targetILNS1_3genE3ELNS1_11target_archE908ELNS1_3gpuE7ELNS1_3repE0EEENS1_30default_config_static_selectorELNS0_4arch9wavefront6targetE0EEEvT1_: ; @_ZN7rocprim17ROCPRIM_400000_NS6detail17trampoline_kernelINS0_14default_configENS1_20scan_config_selectorIfEEZZNS1_9scan_implILNS1_25lookback_scan_determinismE0ELb0ELb0ES3_PKfPffZZZN2at6native31launch_logcumsumexp_cuda_kernelERKNSB_10TensorBaseESF_lENKUlvE_clEvENKUlvE0_clEvEUlffE_fEEDaPvRmT3_T4_T5_mT6_P12ihipStream_tbENKUlT_T0_E_clISt17integral_constantIbLb1EESV_IbLb0EEEEDaSR_SS_EUlSR_E0_NS1_11comp_targetILNS1_3genE3ELNS1_11target_archE908ELNS1_3gpuE7ELNS1_3repE0EEENS1_30default_config_static_selectorELNS0_4arch9wavefront6targetE0EEEvT1_
; %bb.0:
	.section	.rodata,"a",@progbits
	.p2align	6, 0x0
	.amdhsa_kernel _ZN7rocprim17ROCPRIM_400000_NS6detail17trampoline_kernelINS0_14default_configENS1_20scan_config_selectorIfEEZZNS1_9scan_implILNS1_25lookback_scan_determinismE0ELb0ELb0ES3_PKfPffZZZN2at6native31launch_logcumsumexp_cuda_kernelERKNSB_10TensorBaseESF_lENKUlvE_clEvENKUlvE0_clEvEUlffE_fEEDaPvRmT3_T4_T5_mT6_P12ihipStream_tbENKUlT_T0_E_clISt17integral_constantIbLb1EESV_IbLb0EEEEDaSR_SS_EUlSR_E0_NS1_11comp_targetILNS1_3genE3ELNS1_11target_archE908ELNS1_3gpuE7ELNS1_3repE0EEENS1_30default_config_static_selectorELNS0_4arch9wavefront6targetE0EEEvT1_
		.amdhsa_group_segment_fixed_size 0
		.amdhsa_private_segment_fixed_size 0
		.amdhsa_kernarg_size 32
		.amdhsa_user_sgpr_count 15
		.amdhsa_user_sgpr_dispatch_ptr 0
		.amdhsa_user_sgpr_queue_ptr 0
		.amdhsa_user_sgpr_kernarg_segment_ptr 1
		.amdhsa_user_sgpr_dispatch_id 0
		.amdhsa_user_sgpr_private_segment_size 0
		.amdhsa_wavefront_size32 1
		.amdhsa_uses_dynamic_stack 0
		.amdhsa_enable_private_segment 0
		.amdhsa_system_sgpr_workgroup_id_x 1
		.amdhsa_system_sgpr_workgroup_id_y 0
		.amdhsa_system_sgpr_workgroup_id_z 0
		.amdhsa_system_sgpr_workgroup_info 0
		.amdhsa_system_vgpr_workitem_id 0
		.amdhsa_next_free_vgpr 1
		.amdhsa_next_free_sgpr 1
		.amdhsa_reserve_vcc 0
		.amdhsa_float_round_mode_32 0
		.amdhsa_float_round_mode_16_64 0
		.amdhsa_float_denorm_mode_32 3
		.amdhsa_float_denorm_mode_16_64 3
		.amdhsa_dx10_clamp 1
		.amdhsa_ieee_mode 1
		.amdhsa_fp16_overflow 0
		.amdhsa_workgroup_processor_mode 1
		.amdhsa_memory_ordered 1
		.amdhsa_forward_progress 0
		.amdhsa_shared_vgpr_count 0
		.amdhsa_exception_fp_ieee_invalid_op 0
		.amdhsa_exception_fp_denorm_src 0
		.amdhsa_exception_fp_ieee_div_zero 0
		.amdhsa_exception_fp_ieee_overflow 0
		.amdhsa_exception_fp_ieee_underflow 0
		.amdhsa_exception_fp_ieee_inexact 0
		.amdhsa_exception_int_div_zero 0
	.end_amdhsa_kernel
	.section	.text._ZN7rocprim17ROCPRIM_400000_NS6detail17trampoline_kernelINS0_14default_configENS1_20scan_config_selectorIfEEZZNS1_9scan_implILNS1_25lookback_scan_determinismE0ELb0ELb0ES3_PKfPffZZZN2at6native31launch_logcumsumexp_cuda_kernelERKNSB_10TensorBaseESF_lENKUlvE_clEvENKUlvE0_clEvEUlffE_fEEDaPvRmT3_T4_T5_mT6_P12ihipStream_tbENKUlT_T0_E_clISt17integral_constantIbLb1EESV_IbLb0EEEEDaSR_SS_EUlSR_E0_NS1_11comp_targetILNS1_3genE3ELNS1_11target_archE908ELNS1_3gpuE7ELNS1_3repE0EEENS1_30default_config_static_selectorELNS0_4arch9wavefront6targetE0EEEvT1_,"axG",@progbits,_ZN7rocprim17ROCPRIM_400000_NS6detail17trampoline_kernelINS0_14default_configENS1_20scan_config_selectorIfEEZZNS1_9scan_implILNS1_25lookback_scan_determinismE0ELb0ELb0ES3_PKfPffZZZN2at6native31launch_logcumsumexp_cuda_kernelERKNSB_10TensorBaseESF_lENKUlvE_clEvENKUlvE0_clEvEUlffE_fEEDaPvRmT3_T4_T5_mT6_P12ihipStream_tbENKUlT_T0_E_clISt17integral_constantIbLb1EESV_IbLb0EEEEDaSR_SS_EUlSR_E0_NS1_11comp_targetILNS1_3genE3ELNS1_11target_archE908ELNS1_3gpuE7ELNS1_3repE0EEENS1_30default_config_static_selectorELNS0_4arch9wavefront6targetE0EEEvT1_,comdat
.Lfunc_end150:
	.size	_ZN7rocprim17ROCPRIM_400000_NS6detail17trampoline_kernelINS0_14default_configENS1_20scan_config_selectorIfEEZZNS1_9scan_implILNS1_25lookback_scan_determinismE0ELb0ELb0ES3_PKfPffZZZN2at6native31launch_logcumsumexp_cuda_kernelERKNSB_10TensorBaseESF_lENKUlvE_clEvENKUlvE0_clEvEUlffE_fEEDaPvRmT3_T4_T5_mT6_P12ihipStream_tbENKUlT_T0_E_clISt17integral_constantIbLb1EESV_IbLb0EEEEDaSR_SS_EUlSR_E0_NS1_11comp_targetILNS1_3genE3ELNS1_11target_archE908ELNS1_3gpuE7ELNS1_3repE0EEENS1_30default_config_static_selectorELNS0_4arch9wavefront6targetE0EEEvT1_, .Lfunc_end150-_ZN7rocprim17ROCPRIM_400000_NS6detail17trampoline_kernelINS0_14default_configENS1_20scan_config_selectorIfEEZZNS1_9scan_implILNS1_25lookback_scan_determinismE0ELb0ELb0ES3_PKfPffZZZN2at6native31launch_logcumsumexp_cuda_kernelERKNSB_10TensorBaseESF_lENKUlvE_clEvENKUlvE0_clEvEUlffE_fEEDaPvRmT3_T4_T5_mT6_P12ihipStream_tbENKUlT_T0_E_clISt17integral_constantIbLb1EESV_IbLb0EEEEDaSR_SS_EUlSR_E0_NS1_11comp_targetILNS1_3genE3ELNS1_11target_archE908ELNS1_3gpuE7ELNS1_3repE0EEENS1_30default_config_static_selectorELNS0_4arch9wavefront6targetE0EEEvT1_
                                        ; -- End function
	.section	.AMDGPU.csdata,"",@progbits
; Kernel info:
; codeLenInByte = 0
; NumSgprs: 0
; NumVgprs: 0
; ScratchSize: 0
; MemoryBound: 0
; FloatMode: 240
; IeeeMode: 1
; LDSByteSize: 0 bytes/workgroup (compile time only)
; SGPRBlocks: 0
; VGPRBlocks: 0
; NumSGPRsForWavesPerEU: 1
; NumVGPRsForWavesPerEU: 1
; Occupancy: 16
; WaveLimiterHint : 0
; COMPUTE_PGM_RSRC2:SCRATCH_EN: 0
; COMPUTE_PGM_RSRC2:USER_SGPR: 15
; COMPUTE_PGM_RSRC2:TRAP_HANDLER: 0
; COMPUTE_PGM_RSRC2:TGID_X_EN: 1
; COMPUTE_PGM_RSRC2:TGID_Y_EN: 0
; COMPUTE_PGM_RSRC2:TGID_Z_EN: 0
; COMPUTE_PGM_RSRC2:TIDIG_COMP_CNT: 0
	.section	.text._ZN7rocprim17ROCPRIM_400000_NS6detail17trampoline_kernelINS0_14default_configENS1_20scan_config_selectorIfEEZZNS1_9scan_implILNS1_25lookback_scan_determinismE0ELb0ELb0ES3_PKfPffZZZN2at6native31launch_logcumsumexp_cuda_kernelERKNSB_10TensorBaseESF_lENKUlvE_clEvENKUlvE0_clEvEUlffE_fEEDaPvRmT3_T4_T5_mT6_P12ihipStream_tbENKUlT_T0_E_clISt17integral_constantIbLb1EESV_IbLb0EEEEDaSR_SS_EUlSR_E0_NS1_11comp_targetILNS1_3genE2ELNS1_11target_archE906ELNS1_3gpuE6ELNS1_3repE0EEENS1_30default_config_static_selectorELNS0_4arch9wavefront6targetE0EEEvT1_,"axG",@progbits,_ZN7rocprim17ROCPRIM_400000_NS6detail17trampoline_kernelINS0_14default_configENS1_20scan_config_selectorIfEEZZNS1_9scan_implILNS1_25lookback_scan_determinismE0ELb0ELb0ES3_PKfPffZZZN2at6native31launch_logcumsumexp_cuda_kernelERKNSB_10TensorBaseESF_lENKUlvE_clEvENKUlvE0_clEvEUlffE_fEEDaPvRmT3_T4_T5_mT6_P12ihipStream_tbENKUlT_T0_E_clISt17integral_constantIbLb1EESV_IbLb0EEEEDaSR_SS_EUlSR_E0_NS1_11comp_targetILNS1_3genE2ELNS1_11target_archE906ELNS1_3gpuE6ELNS1_3repE0EEENS1_30default_config_static_selectorELNS0_4arch9wavefront6targetE0EEEvT1_,comdat
	.globl	_ZN7rocprim17ROCPRIM_400000_NS6detail17trampoline_kernelINS0_14default_configENS1_20scan_config_selectorIfEEZZNS1_9scan_implILNS1_25lookback_scan_determinismE0ELb0ELb0ES3_PKfPffZZZN2at6native31launch_logcumsumexp_cuda_kernelERKNSB_10TensorBaseESF_lENKUlvE_clEvENKUlvE0_clEvEUlffE_fEEDaPvRmT3_T4_T5_mT6_P12ihipStream_tbENKUlT_T0_E_clISt17integral_constantIbLb1EESV_IbLb0EEEEDaSR_SS_EUlSR_E0_NS1_11comp_targetILNS1_3genE2ELNS1_11target_archE906ELNS1_3gpuE6ELNS1_3repE0EEENS1_30default_config_static_selectorELNS0_4arch9wavefront6targetE0EEEvT1_ ; -- Begin function _ZN7rocprim17ROCPRIM_400000_NS6detail17trampoline_kernelINS0_14default_configENS1_20scan_config_selectorIfEEZZNS1_9scan_implILNS1_25lookback_scan_determinismE0ELb0ELb0ES3_PKfPffZZZN2at6native31launch_logcumsumexp_cuda_kernelERKNSB_10TensorBaseESF_lENKUlvE_clEvENKUlvE0_clEvEUlffE_fEEDaPvRmT3_T4_T5_mT6_P12ihipStream_tbENKUlT_T0_E_clISt17integral_constantIbLb1EESV_IbLb0EEEEDaSR_SS_EUlSR_E0_NS1_11comp_targetILNS1_3genE2ELNS1_11target_archE906ELNS1_3gpuE6ELNS1_3repE0EEENS1_30default_config_static_selectorELNS0_4arch9wavefront6targetE0EEEvT1_
	.p2align	8
	.type	_ZN7rocprim17ROCPRIM_400000_NS6detail17trampoline_kernelINS0_14default_configENS1_20scan_config_selectorIfEEZZNS1_9scan_implILNS1_25lookback_scan_determinismE0ELb0ELb0ES3_PKfPffZZZN2at6native31launch_logcumsumexp_cuda_kernelERKNSB_10TensorBaseESF_lENKUlvE_clEvENKUlvE0_clEvEUlffE_fEEDaPvRmT3_T4_T5_mT6_P12ihipStream_tbENKUlT_T0_E_clISt17integral_constantIbLb1EESV_IbLb0EEEEDaSR_SS_EUlSR_E0_NS1_11comp_targetILNS1_3genE2ELNS1_11target_archE906ELNS1_3gpuE6ELNS1_3repE0EEENS1_30default_config_static_selectorELNS0_4arch9wavefront6targetE0EEEvT1_,@function
_ZN7rocprim17ROCPRIM_400000_NS6detail17trampoline_kernelINS0_14default_configENS1_20scan_config_selectorIfEEZZNS1_9scan_implILNS1_25lookback_scan_determinismE0ELb0ELb0ES3_PKfPffZZZN2at6native31launch_logcumsumexp_cuda_kernelERKNSB_10TensorBaseESF_lENKUlvE_clEvENKUlvE0_clEvEUlffE_fEEDaPvRmT3_T4_T5_mT6_P12ihipStream_tbENKUlT_T0_E_clISt17integral_constantIbLb1EESV_IbLb0EEEEDaSR_SS_EUlSR_E0_NS1_11comp_targetILNS1_3genE2ELNS1_11target_archE906ELNS1_3gpuE6ELNS1_3repE0EEENS1_30default_config_static_selectorELNS0_4arch9wavefront6targetE0EEEvT1_: ; @_ZN7rocprim17ROCPRIM_400000_NS6detail17trampoline_kernelINS0_14default_configENS1_20scan_config_selectorIfEEZZNS1_9scan_implILNS1_25lookback_scan_determinismE0ELb0ELb0ES3_PKfPffZZZN2at6native31launch_logcumsumexp_cuda_kernelERKNSB_10TensorBaseESF_lENKUlvE_clEvENKUlvE0_clEvEUlffE_fEEDaPvRmT3_T4_T5_mT6_P12ihipStream_tbENKUlT_T0_E_clISt17integral_constantIbLb1EESV_IbLb0EEEEDaSR_SS_EUlSR_E0_NS1_11comp_targetILNS1_3genE2ELNS1_11target_archE906ELNS1_3gpuE6ELNS1_3repE0EEENS1_30default_config_static_selectorELNS0_4arch9wavefront6targetE0EEEvT1_
; %bb.0:
	.section	.rodata,"a",@progbits
	.p2align	6, 0x0
	.amdhsa_kernel _ZN7rocprim17ROCPRIM_400000_NS6detail17trampoline_kernelINS0_14default_configENS1_20scan_config_selectorIfEEZZNS1_9scan_implILNS1_25lookback_scan_determinismE0ELb0ELb0ES3_PKfPffZZZN2at6native31launch_logcumsumexp_cuda_kernelERKNSB_10TensorBaseESF_lENKUlvE_clEvENKUlvE0_clEvEUlffE_fEEDaPvRmT3_T4_T5_mT6_P12ihipStream_tbENKUlT_T0_E_clISt17integral_constantIbLb1EESV_IbLb0EEEEDaSR_SS_EUlSR_E0_NS1_11comp_targetILNS1_3genE2ELNS1_11target_archE906ELNS1_3gpuE6ELNS1_3repE0EEENS1_30default_config_static_selectorELNS0_4arch9wavefront6targetE0EEEvT1_
		.amdhsa_group_segment_fixed_size 0
		.amdhsa_private_segment_fixed_size 0
		.amdhsa_kernarg_size 32
		.amdhsa_user_sgpr_count 15
		.amdhsa_user_sgpr_dispatch_ptr 0
		.amdhsa_user_sgpr_queue_ptr 0
		.amdhsa_user_sgpr_kernarg_segment_ptr 1
		.amdhsa_user_sgpr_dispatch_id 0
		.amdhsa_user_sgpr_private_segment_size 0
		.amdhsa_wavefront_size32 1
		.amdhsa_uses_dynamic_stack 0
		.amdhsa_enable_private_segment 0
		.amdhsa_system_sgpr_workgroup_id_x 1
		.amdhsa_system_sgpr_workgroup_id_y 0
		.amdhsa_system_sgpr_workgroup_id_z 0
		.amdhsa_system_sgpr_workgroup_info 0
		.amdhsa_system_vgpr_workitem_id 0
		.amdhsa_next_free_vgpr 1
		.amdhsa_next_free_sgpr 1
		.amdhsa_reserve_vcc 0
		.amdhsa_float_round_mode_32 0
		.amdhsa_float_round_mode_16_64 0
		.amdhsa_float_denorm_mode_32 3
		.amdhsa_float_denorm_mode_16_64 3
		.amdhsa_dx10_clamp 1
		.amdhsa_ieee_mode 1
		.amdhsa_fp16_overflow 0
		.amdhsa_workgroup_processor_mode 1
		.amdhsa_memory_ordered 1
		.amdhsa_forward_progress 0
		.amdhsa_shared_vgpr_count 0
		.amdhsa_exception_fp_ieee_invalid_op 0
		.amdhsa_exception_fp_denorm_src 0
		.amdhsa_exception_fp_ieee_div_zero 0
		.amdhsa_exception_fp_ieee_overflow 0
		.amdhsa_exception_fp_ieee_underflow 0
		.amdhsa_exception_fp_ieee_inexact 0
		.amdhsa_exception_int_div_zero 0
	.end_amdhsa_kernel
	.section	.text._ZN7rocprim17ROCPRIM_400000_NS6detail17trampoline_kernelINS0_14default_configENS1_20scan_config_selectorIfEEZZNS1_9scan_implILNS1_25lookback_scan_determinismE0ELb0ELb0ES3_PKfPffZZZN2at6native31launch_logcumsumexp_cuda_kernelERKNSB_10TensorBaseESF_lENKUlvE_clEvENKUlvE0_clEvEUlffE_fEEDaPvRmT3_T4_T5_mT6_P12ihipStream_tbENKUlT_T0_E_clISt17integral_constantIbLb1EESV_IbLb0EEEEDaSR_SS_EUlSR_E0_NS1_11comp_targetILNS1_3genE2ELNS1_11target_archE906ELNS1_3gpuE6ELNS1_3repE0EEENS1_30default_config_static_selectorELNS0_4arch9wavefront6targetE0EEEvT1_,"axG",@progbits,_ZN7rocprim17ROCPRIM_400000_NS6detail17trampoline_kernelINS0_14default_configENS1_20scan_config_selectorIfEEZZNS1_9scan_implILNS1_25lookback_scan_determinismE0ELb0ELb0ES3_PKfPffZZZN2at6native31launch_logcumsumexp_cuda_kernelERKNSB_10TensorBaseESF_lENKUlvE_clEvENKUlvE0_clEvEUlffE_fEEDaPvRmT3_T4_T5_mT6_P12ihipStream_tbENKUlT_T0_E_clISt17integral_constantIbLb1EESV_IbLb0EEEEDaSR_SS_EUlSR_E0_NS1_11comp_targetILNS1_3genE2ELNS1_11target_archE906ELNS1_3gpuE6ELNS1_3repE0EEENS1_30default_config_static_selectorELNS0_4arch9wavefront6targetE0EEEvT1_,comdat
.Lfunc_end151:
	.size	_ZN7rocprim17ROCPRIM_400000_NS6detail17trampoline_kernelINS0_14default_configENS1_20scan_config_selectorIfEEZZNS1_9scan_implILNS1_25lookback_scan_determinismE0ELb0ELb0ES3_PKfPffZZZN2at6native31launch_logcumsumexp_cuda_kernelERKNSB_10TensorBaseESF_lENKUlvE_clEvENKUlvE0_clEvEUlffE_fEEDaPvRmT3_T4_T5_mT6_P12ihipStream_tbENKUlT_T0_E_clISt17integral_constantIbLb1EESV_IbLb0EEEEDaSR_SS_EUlSR_E0_NS1_11comp_targetILNS1_3genE2ELNS1_11target_archE906ELNS1_3gpuE6ELNS1_3repE0EEENS1_30default_config_static_selectorELNS0_4arch9wavefront6targetE0EEEvT1_, .Lfunc_end151-_ZN7rocprim17ROCPRIM_400000_NS6detail17trampoline_kernelINS0_14default_configENS1_20scan_config_selectorIfEEZZNS1_9scan_implILNS1_25lookback_scan_determinismE0ELb0ELb0ES3_PKfPffZZZN2at6native31launch_logcumsumexp_cuda_kernelERKNSB_10TensorBaseESF_lENKUlvE_clEvENKUlvE0_clEvEUlffE_fEEDaPvRmT3_T4_T5_mT6_P12ihipStream_tbENKUlT_T0_E_clISt17integral_constantIbLb1EESV_IbLb0EEEEDaSR_SS_EUlSR_E0_NS1_11comp_targetILNS1_3genE2ELNS1_11target_archE906ELNS1_3gpuE6ELNS1_3repE0EEENS1_30default_config_static_selectorELNS0_4arch9wavefront6targetE0EEEvT1_
                                        ; -- End function
	.section	.AMDGPU.csdata,"",@progbits
; Kernel info:
; codeLenInByte = 0
; NumSgprs: 0
; NumVgprs: 0
; ScratchSize: 0
; MemoryBound: 0
; FloatMode: 240
; IeeeMode: 1
; LDSByteSize: 0 bytes/workgroup (compile time only)
; SGPRBlocks: 0
; VGPRBlocks: 0
; NumSGPRsForWavesPerEU: 1
; NumVGPRsForWavesPerEU: 1
; Occupancy: 16
; WaveLimiterHint : 0
; COMPUTE_PGM_RSRC2:SCRATCH_EN: 0
; COMPUTE_PGM_RSRC2:USER_SGPR: 15
; COMPUTE_PGM_RSRC2:TRAP_HANDLER: 0
; COMPUTE_PGM_RSRC2:TGID_X_EN: 1
; COMPUTE_PGM_RSRC2:TGID_Y_EN: 0
; COMPUTE_PGM_RSRC2:TGID_Z_EN: 0
; COMPUTE_PGM_RSRC2:TIDIG_COMP_CNT: 0
	.section	.text._ZN7rocprim17ROCPRIM_400000_NS6detail17trampoline_kernelINS0_14default_configENS1_20scan_config_selectorIfEEZZNS1_9scan_implILNS1_25lookback_scan_determinismE0ELb0ELb0ES3_PKfPffZZZN2at6native31launch_logcumsumexp_cuda_kernelERKNSB_10TensorBaseESF_lENKUlvE_clEvENKUlvE0_clEvEUlffE_fEEDaPvRmT3_T4_T5_mT6_P12ihipStream_tbENKUlT_T0_E_clISt17integral_constantIbLb1EESV_IbLb0EEEEDaSR_SS_EUlSR_E0_NS1_11comp_targetILNS1_3genE10ELNS1_11target_archE1201ELNS1_3gpuE5ELNS1_3repE0EEENS1_30default_config_static_selectorELNS0_4arch9wavefront6targetE0EEEvT1_,"axG",@progbits,_ZN7rocprim17ROCPRIM_400000_NS6detail17trampoline_kernelINS0_14default_configENS1_20scan_config_selectorIfEEZZNS1_9scan_implILNS1_25lookback_scan_determinismE0ELb0ELb0ES3_PKfPffZZZN2at6native31launch_logcumsumexp_cuda_kernelERKNSB_10TensorBaseESF_lENKUlvE_clEvENKUlvE0_clEvEUlffE_fEEDaPvRmT3_T4_T5_mT6_P12ihipStream_tbENKUlT_T0_E_clISt17integral_constantIbLb1EESV_IbLb0EEEEDaSR_SS_EUlSR_E0_NS1_11comp_targetILNS1_3genE10ELNS1_11target_archE1201ELNS1_3gpuE5ELNS1_3repE0EEENS1_30default_config_static_selectorELNS0_4arch9wavefront6targetE0EEEvT1_,comdat
	.globl	_ZN7rocprim17ROCPRIM_400000_NS6detail17trampoline_kernelINS0_14default_configENS1_20scan_config_selectorIfEEZZNS1_9scan_implILNS1_25lookback_scan_determinismE0ELb0ELb0ES3_PKfPffZZZN2at6native31launch_logcumsumexp_cuda_kernelERKNSB_10TensorBaseESF_lENKUlvE_clEvENKUlvE0_clEvEUlffE_fEEDaPvRmT3_T4_T5_mT6_P12ihipStream_tbENKUlT_T0_E_clISt17integral_constantIbLb1EESV_IbLb0EEEEDaSR_SS_EUlSR_E0_NS1_11comp_targetILNS1_3genE10ELNS1_11target_archE1201ELNS1_3gpuE5ELNS1_3repE0EEENS1_30default_config_static_selectorELNS0_4arch9wavefront6targetE0EEEvT1_ ; -- Begin function _ZN7rocprim17ROCPRIM_400000_NS6detail17trampoline_kernelINS0_14default_configENS1_20scan_config_selectorIfEEZZNS1_9scan_implILNS1_25lookback_scan_determinismE0ELb0ELb0ES3_PKfPffZZZN2at6native31launch_logcumsumexp_cuda_kernelERKNSB_10TensorBaseESF_lENKUlvE_clEvENKUlvE0_clEvEUlffE_fEEDaPvRmT3_T4_T5_mT6_P12ihipStream_tbENKUlT_T0_E_clISt17integral_constantIbLb1EESV_IbLb0EEEEDaSR_SS_EUlSR_E0_NS1_11comp_targetILNS1_3genE10ELNS1_11target_archE1201ELNS1_3gpuE5ELNS1_3repE0EEENS1_30default_config_static_selectorELNS0_4arch9wavefront6targetE0EEEvT1_
	.p2align	8
	.type	_ZN7rocprim17ROCPRIM_400000_NS6detail17trampoline_kernelINS0_14default_configENS1_20scan_config_selectorIfEEZZNS1_9scan_implILNS1_25lookback_scan_determinismE0ELb0ELb0ES3_PKfPffZZZN2at6native31launch_logcumsumexp_cuda_kernelERKNSB_10TensorBaseESF_lENKUlvE_clEvENKUlvE0_clEvEUlffE_fEEDaPvRmT3_T4_T5_mT6_P12ihipStream_tbENKUlT_T0_E_clISt17integral_constantIbLb1EESV_IbLb0EEEEDaSR_SS_EUlSR_E0_NS1_11comp_targetILNS1_3genE10ELNS1_11target_archE1201ELNS1_3gpuE5ELNS1_3repE0EEENS1_30default_config_static_selectorELNS0_4arch9wavefront6targetE0EEEvT1_,@function
_ZN7rocprim17ROCPRIM_400000_NS6detail17trampoline_kernelINS0_14default_configENS1_20scan_config_selectorIfEEZZNS1_9scan_implILNS1_25lookback_scan_determinismE0ELb0ELb0ES3_PKfPffZZZN2at6native31launch_logcumsumexp_cuda_kernelERKNSB_10TensorBaseESF_lENKUlvE_clEvENKUlvE0_clEvEUlffE_fEEDaPvRmT3_T4_T5_mT6_P12ihipStream_tbENKUlT_T0_E_clISt17integral_constantIbLb1EESV_IbLb0EEEEDaSR_SS_EUlSR_E0_NS1_11comp_targetILNS1_3genE10ELNS1_11target_archE1201ELNS1_3gpuE5ELNS1_3repE0EEENS1_30default_config_static_selectorELNS0_4arch9wavefront6targetE0EEEvT1_: ; @_ZN7rocprim17ROCPRIM_400000_NS6detail17trampoline_kernelINS0_14default_configENS1_20scan_config_selectorIfEEZZNS1_9scan_implILNS1_25lookback_scan_determinismE0ELb0ELb0ES3_PKfPffZZZN2at6native31launch_logcumsumexp_cuda_kernelERKNSB_10TensorBaseESF_lENKUlvE_clEvENKUlvE0_clEvEUlffE_fEEDaPvRmT3_T4_T5_mT6_P12ihipStream_tbENKUlT_T0_E_clISt17integral_constantIbLb1EESV_IbLb0EEEEDaSR_SS_EUlSR_E0_NS1_11comp_targetILNS1_3genE10ELNS1_11target_archE1201ELNS1_3gpuE5ELNS1_3repE0EEENS1_30default_config_static_selectorELNS0_4arch9wavefront6targetE0EEEvT1_
; %bb.0:
	.section	.rodata,"a",@progbits
	.p2align	6, 0x0
	.amdhsa_kernel _ZN7rocprim17ROCPRIM_400000_NS6detail17trampoline_kernelINS0_14default_configENS1_20scan_config_selectorIfEEZZNS1_9scan_implILNS1_25lookback_scan_determinismE0ELb0ELb0ES3_PKfPffZZZN2at6native31launch_logcumsumexp_cuda_kernelERKNSB_10TensorBaseESF_lENKUlvE_clEvENKUlvE0_clEvEUlffE_fEEDaPvRmT3_T4_T5_mT6_P12ihipStream_tbENKUlT_T0_E_clISt17integral_constantIbLb1EESV_IbLb0EEEEDaSR_SS_EUlSR_E0_NS1_11comp_targetILNS1_3genE10ELNS1_11target_archE1201ELNS1_3gpuE5ELNS1_3repE0EEENS1_30default_config_static_selectorELNS0_4arch9wavefront6targetE0EEEvT1_
		.amdhsa_group_segment_fixed_size 0
		.amdhsa_private_segment_fixed_size 0
		.amdhsa_kernarg_size 32
		.amdhsa_user_sgpr_count 15
		.amdhsa_user_sgpr_dispatch_ptr 0
		.amdhsa_user_sgpr_queue_ptr 0
		.amdhsa_user_sgpr_kernarg_segment_ptr 1
		.amdhsa_user_sgpr_dispatch_id 0
		.amdhsa_user_sgpr_private_segment_size 0
		.amdhsa_wavefront_size32 1
		.amdhsa_uses_dynamic_stack 0
		.amdhsa_enable_private_segment 0
		.amdhsa_system_sgpr_workgroup_id_x 1
		.amdhsa_system_sgpr_workgroup_id_y 0
		.amdhsa_system_sgpr_workgroup_id_z 0
		.amdhsa_system_sgpr_workgroup_info 0
		.amdhsa_system_vgpr_workitem_id 0
		.amdhsa_next_free_vgpr 1
		.amdhsa_next_free_sgpr 1
		.amdhsa_reserve_vcc 0
		.amdhsa_float_round_mode_32 0
		.amdhsa_float_round_mode_16_64 0
		.amdhsa_float_denorm_mode_32 3
		.amdhsa_float_denorm_mode_16_64 3
		.amdhsa_dx10_clamp 1
		.amdhsa_ieee_mode 1
		.amdhsa_fp16_overflow 0
		.amdhsa_workgroup_processor_mode 1
		.amdhsa_memory_ordered 1
		.amdhsa_forward_progress 0
		.amdhsa_shared_vgpr_count 0
		.amdhsa_exception_fp_ieee_invalid_op 0
		.amdhsa_exception_fp_denorm_src 0
		.amdhsa_exception_fp_ieee_div_zero 0
		.amdhsa_exception_fp_ieee_overflow 0
		.amdhsa_exception_fp_ieee_underflow 0
		.amdhsa_exception_fp_ieee_inexact 0
		.amdhsa_exception_int_div_zero 0
	.end_amdhsa_kernel
	.section	.text._ZN7rocprim17ROCPRIM_400000_NS6detail17trampoline_kernelINS0_14default_configENS1_20scan_config_selectorIfEEZZNS1_9scan_implILNS1_25lookback_scan_determinismE0ELb0ELb0ES3_PKfPffZZZN2at6native31launch_logcumsumexp_cuda_kernelERKNSB_10TensorBaseESF_lENKUlvE_clEvENKUlvE0_clEvEUlffE_fEEDaPvRmT3_T4_T5_mT6_P12ihipStream_tbENKUlT_T0_E_clISt17integral_constantIbLb1EESV_IbLb0EEEEDaSR_SS_EUlSR_E0_NS1_11comp_targetILNS1_3genE10ELNS1_11target_archE1201ELNS1_3gpuE5ELNS1_3repE0EEENS1_30default_config_static_selectorELNS0_4arch9wavefront6targetE0EEEvT1_,"axG",@progbits,_ZN7rocprim17ROCPRIM_400000_NS6detail17trampoline_kernelINS0_14default_configENS1_20scan_config_selectorIfEEZZNS1_9scan_implILNS1_25lookback_scan_determinismE0ELb0ELb0ES3_PKfPffZZZN2at6native31launch_logcumsumexp_cuda_kernelERKNSB_10TensorBaseESF_lENKUlvE_clEvENKUlvE0_clEvEUlffE_fEEDaPvRmT3_T4_T5_mT6_P12ihipStream_tbENKUlT_T0_E_clISt17integral_constantIbLb1EESV_IbLb0EEEEDaSR_SS_EUlSR_E0_NS1_11comp_targetILNS1_3genE10ELNS1_11target_archE1201ELNS1_3gpuE5ELNS1_3repE0EEENS1_30default_config_static_selectorELNS0_4arch9wavefront6targetE0EEEvT1_,comdat
.Lfunc_end152:
	.size	_ZN7rocprim17ROCPRIM_400000_NS6detail17trampoline_kernelINS0_14default_configENS1_20scan_config_selectorIfEEZZNS1_9scan_implILNS1_25lookback_scan_determinismE0ELb0ELb0ES3_PKfPffZZZN2at6native31launch_logcumsumexp_cuda_kernelERKNSB_10TensorBaseESF_lENKUlvE_clEvENKUlvE0_clEvEUlffE_fEEDaPvRmT3_T4_T5_mT6_P12ihipStream_tbENKUlT_T0_E_clISt17integral_constantIbLb1EESV_IbLb0EEEEDaSR_SS_EUlSR_E0_NS1_11comp_targetILNS1_3genE10ELNS1_11target_archE1201ELNS1_3gpuE5ELNS1_3repE0EEENS1_30default_config_static_selectorELNS0_4arch9wavefront6targetE0EEEvT1_, .Lfunc_end152-_ZN7rocprim17ROCPRIM_400000_NS6detail17trampoline_kernelINS0_14default_configENS1_20scan_config_selectorIfEEZZNS1_9scan_implILNS1_25lookback_scan_determinismE0ELb0ELb0ES3_PKfPffZZZN2at6native31launch_logcumsumexp_cuda_kernelERKNSB_10TensorBaseESF_lENKUlvE_clEvENKUlvE0_clEvEUlffE_fEEDaPvRmT3_T4_T5_mT6_P12ihipStream_tbENKUlT_T0_E_clISt17integral_constantIbLb1EESV_IbLb0EEEEDaSR_SS_EUlSR_E0_NS1_11comp_targetILNS1_3genE10ELNS1_11target_archE1201ELNS1_3gpuE5ELNS1_3repE0EEENS1_30default_config_static_selectorELNS0_4arch9wavefront6targetE0EEEvT1_
                                        ; -- End function
	.section	.AMDGPU.csdata,"",@progbits
; Kernel info:
; codeLenInByte = 0
; NumSgprs: 0
; NumVgprs: 0
; ScratchSize: 0
; MemoryBound: 0
; FloatMode: 240
; IeeeMode: 1
; LDSByteSize: 0 bytes/workgroup (compile time only)
; SGPRBlocks: 0
; VGPRBlocks: 0
; NumSGPRsForWavesPerEU: 1
; NumVGPRsForWavesPerEU: 1
; Occupancy: 16
; WaveLimiterHint : 0
; COMPUTE_PGM_RSRC2:SCRATCH_EN: 0
; COMPUTE_PGM_RSRC2:USER_SGPR: 15
; COMPUTE_PGM_RSRC2:TRAP_HANDLER: 0
; COMPUTE_PGM_RSRC2:TGID_X_EN: 1
; COMPUTE_PGM_RSRC2:TGID_Y_EN: 0
; COMPUTE_PGM_RSRC2:TGID_Z_EN: 0
; COMPUTE_PGM_RSRC2:TIDIG_COMP_CNT: 0
	.section	.text._ZN7rocprim17ROCPRIM_400000_NS6detail17trampoline_kernelINS0_14default_configENS1_20scan_config_selectorIfEEZZNS1_9scan_implILNS1_25lookback_scan_determinismE0ELb0ELb0ES3_PKfPffZZZN2at6native31launch_logcumsumexp_cuda_kernelERKNSB_10TensorBaseESF_lENKUlvE_clEvENKUlvE0_clEvEUlffE_fEEDaPvRmT3_T4_T5_mT6_P12ihipStream_tbENKUlT_T0_E_clISt17integral_constantIbLb1EESV_IbLb0EEEEDaSR_SS_EUlSR_E0_NS1_11comp_targetILNS1_3genE10ELNS1_11target_archE1200ELNS1_3gpuE4ELNS1_3repE0EEENS1_30default_config_static_selectorELNS0_4arch9wavefront6targetE0EEEvT1_,"axG",@progbits,_ZN7rocprim17ROCPRIM_400000_NS6detail17trampoline_kernelINS0_14default_configENS1_20scan_config_selectorIfEEZZNS1_9scan_implILNS1_25lookback_scan_determinismE0ELb0ELb0ES3_PKfPffZZZN2at6native31launch_logcumsumexp_cuda_kernelERKNSB_10TensorBaseESF_lENKUlvE_clEvENKUlvE0_clEvEUlffE_fEEDaPvRmT3_T4_T5_mT6_P12ihipStream_tbENKUlT_T0_E_clISt17integral_constantIbLb1EESV_IbLb0EEEEDaSR_SS_EUlSR_E0_NS1_11comp_targetILNS1_3genE10ELNS1_11target_archE1200ELNS1_3gpuE4ELNS1_3repE0EEENS1_30default_config_static_selectorELNS0_4arch9wavefront6targetE0EEEvT1_,comdat
	.globl	_ZN7rocprim17ROCPRIM_400000_NS6detail17trampoline_kernelINS0_14default_configENS1_20scan_config_selectorIfEEZZNS1_9scan_implILNS1_25lookback_scan_determinismE0ELb0ELb0ES3_PKfPffZZZN2at6native31launch_logcumsumexp_cuda_kernelERKNSB_10TensorBaseESF_lENKUlvE_clEvENKUlvE0_clEvEUlffE_fEEDaPvRmT3_T4_T5_mT6_P12ihipStream_tbENKUlT_T0_E_clISt17integral_constantIbLb1EESV_IbLb0EEEEDaSR_SS_EUlSR_E0_NS1_11comp_targetILNS1_3genE10ELNS1_11target_archE1200ELNS1_3gpuE4ELNS1_3repE0EEENS1_30default_config_static_selectorELNS0_4arch9wavefront6targetE0EEEvT1_ ; -- Begin function _ZN7rocprim17ROCPRIM_400000_NS6detail17trampoline_kernelINS0_14default_configENS1_20scan_config_selectorIfEEZZNS1_9scan_implILNS1_25lookback_scan_determinismE0ELb0ELb0ES3_PKfPffZZZN2at6native31launch_logcumsumexp_cuda_kernelERKNSB_10TensorBaseESF_lENKUlvE_clEvENKUlvE0_clEvEUlffE_fEEDaPvRmT3_T4_T5_mT6_P12ihipStream_tbENKUlT_T0_E_clISt17integral_constantIbLb1EESV_IbLb0EEEEDaSR_SS_EUlSR_E0_NS1_11comp_targetILNS1_3genE10ELNS1_11target_archE1200ELNS1_3gpuE4ELNS1_3repE0EEENS1_30default_config_static_selectorELNS0_4arch9wavefront6targetE0EEEvT1_
	.p2align	8
	.type	_ZN7rocprim17ROCPRIM_400000_NS6detail17trampoline_kernelINS0_14default_configENS1_20scan_config_selectorIfEEZZNS1_9scan_implILNS1_25lookback_scan_determinismE0ELb0ELb0ES3_PKfPffZZZN2at6native31launch_logcumsumexp_cuda_kernelERKNSB_10TensorBaseESF_lENKUlvE_clEvENKUlvE0_clEvEUlffE_fEEDaPvRmT3_T4_T5_mT6_P12ihipStream_tbENKUlT_T0_E_clISt17integral_constantIbLb1EESV_IbLb0EEEEDaSR_SS_EUlSR_E0_NS1_11comp_targetILNS1_3genE10ELNS1_11target_archE1200ELNS1_3gpuE4ELNS1_3repE0EEENS1_30default_config_static_selectorELNS0_4arch9wavefront6targetE0EEEvT1_,@function
_ZN7rocprim17ROCPRIM_400000_NS6detail17trampoline_kernelINS0_14default_configENS1_20scan_config_selectorIfEEZZNS1_9scan_implILNS1_25lookback_scan_determinismE0ELb0ELb0ES3_PKfPffZZZN2at6native31launch_logcumsumexp_cuda_kernelERKNSB_10TensorBaseESF_lENKUlvE_clEvENKUlvE0_clEvEUlffE_fEEDaPvRmT3_T4_T5_mT6_P12ihipStream_tbENKUlT_T0_E_clISt17integral_constantIbLb1EESV_IbLb0EEEEDaSR_SS_EUlSR_E0_NS1_11comp_targetILNS1_3genE10ELNS1_11target_archE1200ELNS1_3gpuE4ELNS1_3repE0EEENS1_30default_config_static_selectorELNS0_4arch9wavefront6targetE0EEEvT1_: ; @_ZN7rocprim17ROCPRIM_400000_NS6detail17trampoline_kernelINS0_14default_configENS1_20scan_config_selectorIfEEZZNS1_9scan_implILNS1_25lookback_scan_determinismE0ELb0ELb0ES3_PKfPffZZZN2at6native31launch_logcumsumexp_cuda_kernelERKNSB_10TensorBaseESF_lENKUlvE_clEvENKUlvE0_clEvEUlffE_fEEDaPvRmT3_T4_T5_mT6_P12ihipStream_tbENKUlT_T0_E_clISt17integral_constantIbLb1EESV_IbLb0EEEEDaSR_SS_EUlSR_E0_NS1_11comp_targetILNS1_3genE10ELNS1_11target_archE1200ELNS1_3gpuE4ELNS1_3repE0EEENS1_30default_config_static_selectorELNS0_4arch9wavefront6targetE0EEEvT1_
; %bb.0:
	.section	.rodata,"a",@progbits
	.p2align	6, 0x0
	.amdhsa_kernel _ZN7rocprim17ROCPRIM_400000_NS6detail17trampoline_kernelINS0_14default_configENS1_20scan_config_selectorIfEEZZNS1_9scan_implILNS1_25lookback_scan_determinismE0ELb0ELb0ES3_PKfPffZZZN2at6native31launch_logcumsumexp_cuda_kernelERKNSB_10TensorBaseESF_lENKUlvE_clEvENKUlvE0_clEvEUlffE_fEEDaPvRmT3_T4_T5_mT6_P12ihipStream_tbENKUlT_T0_E_clISt17integral_constantIbLb1EESV_IbLb0EEEEDaSR_SS_EUlSR_E0_NS1_11comp_targetILNS1_3genE10ELNS1_11target_archE1200ELNS1_3gpuE4ELNS1_3repE0EEENS1_30default_config_static_selectorELNS0_4arch9wavefront6targetE0EEEvT1_
		.amdhsa_group_segment_fixed_size 0
		.amdhsa_private_segment_fixed_size 0
		.amdhsa_kernarg_size 32
		.amdhsa_user_sgpr_count 15
		.amdhsa_user_sgpr_dispatch_ptr 0
		.amdhsa_user_sgpr_queue_ptr 0
		.amdhsa_user_sgpr_kernarg_segment_ptr 1
		.amdhsa_user_sgpr_dispatch_id 0
		.amdhsa_user_sgpr_private_segment_size 0
		.amdhsa_wavefront_size32 1
		.amdhsa_uses_dynamic_stack 0
		.amdhsa_enable_private_segment 0
		.amdhsa_system_sgpr_workgroup_id_x 1
		.amdhsa_system_sgpr_workgroup_id_y 0
		.amdhsa_system_sgpr_workgroup_id_z 0
		.amdhsa_system_sgpr_workgroup_info 0
		.amdhsa_system_vgpr_workitem_id 0
		.amdhsa_next_free_vgpr 1
		.amdhsa_next_free_sgpr 1
		.amdhsa_reserve_vcc 0
		.amdhsa_float_round_mode_32 0
		.amdhsa_float_round_mode_16_64 0
		.amdhsa_float_denorm_mode_32 3
		.amdhsa_float_denorm_mode_16_64 3
		.amdhsa_dx10_clamp 1
		.amdhsa_ieee_mode 1
		.amdhsa_fp16_overflow 0
		.amdhsa_workgroup_processor_mode 1
		.amdhsa_memory_ordered 1
		.amdhsa_forward_progress 0
		.amdhsa_shared_vgpr_count 0
		.amdhsa_exception_fp_ieee_invalid_op 0
		.amdhsa_exception_fp_denorm_src 0
		.amdhsa_exception_fp_ieee_div_zero 0
		.amdhsa_exception_fp_ieee_overflow 0
		.amdhsa_exception_fp_ieee_underflow 0
		.amdhsa_exception_fp_ieee_inexact 0
		.amdhsa_exception_int_div_zero 0
	.end_amdhsa_kernel
	.section	.text._ZN7rocprim17ROCPRIM_400000_NS6detail17trampoline_kernelINS0_14default_configENS1_20scan_config_selectorIfEEZZNS1_9scan_implILNS1_25lookback_scan_determinismE0ELb0ELb0ES3_PKfPffZZZN2at6native31launch_logcumsumexp_cuda_kernelERKNSB_10TensorBaseESF_lENKUlvE_clEvENKUlvE0_clEvEUlffE_fEEDaPvRmT3_T4_T5_mT6_P12ihipStream_tbENKUlT_T0_E_clISt17integral_constantIbLb1EESV_IbLb0EEEEDaSR_SS_EUlSR_E0_NS1_11comp_targetILNS1_3genE10ELNS1_11target_archE1200ELNS1_3gpuE4ELNS1_3repE0EEENS1_30default_config_static_selectorELNS0_4arch9wavefront6targetE0EEEvT1_,"axG",@progbits,_ZN7rocprim17ROCPRIM_400000_NS6detail17trampoline_kernelINS0_14default_configENS1_20scan_config_selectorIfEEZZNS1_9scan_implILNS1_25lookback_scan_determinismE0ELb0ELb0ES3_PKfPffZZZN2at6native31launch_logcumsumexp_cuda_kernelERKNSB_10TensorBaseESF_lENKUlvE_clEvENKUlvE0_clEvEUlffE_fEEDaPvRmT3_T4_T5_mT6_P12ihipStream_tbENKUlT_T0_E_clISt17integral_constantIbLb1EESV_IbLb0EEEEDaSR_SS_EUlSR_E0_NS1_11comp_targetILNS1_3genE10ELNS1_11target_archE1200ELNS1_3gpuE4ELNS1_3repE0EEENS1_30default_config_static_selectorELNS0_4arch9wavefront6targetE0EEEvT1_,comdat
.Lfunc_end153:
	.size	_ZN7rocprim17ROCPRIM_400000_NS6detail17trampoline_kernelINS0_14default_configENS1_20scan_config_selectorIfEEZZNS1_9scan_implILNS1_25lookback_scan_determinismE0ELb0ELb0ES3_PKfPffZZZN2at6native31launch_logcumsumexp_cuda_kernelERKNSB_10TensorBaseESF_lENKUlvE_clEvENKUlvE0_clEvEUlffE_fEEDaPvRmT3_T4_T5_mT6_P12ihipStream_tbENKUlT_T0_E_clISt17integral_constantIbLb1EESV_IbLb0EEEEDaSR_SS_EUlSR_E0_NS1_11comp_targetILNS1_3genE10ELNS1_11target_archE1200ELNS1_3gpuE4ELNS1_3repE0EEENS1_30default_config_static_selectorELNS0_4arch9wavefront6targetE0EEEvT1_, .Lfunc_end153-_ZN7rocprim17ROCPRIM_400000_NS6detail17trampoline_kernelINS0_14default_configENS1_20scan_config_selectorIfEEZZNS1_9scan_implILNS1_25lookback_scan_determinismE0ELb0ELb0ES3_PKfPffZZZN2at6native31launch_logcumsumexp_cuda_kernelERKNSB_10TensorBaseESF_lENKUlvE_clEvENKUlvE0_clEvEUlffE_fEEDaPvRmT3_T4_T5_mT6_P12ihipStream_tbENKUlT_T0_E_clISt17integral_constantIbLb1EESV_IbLb0EEEEDaSR_SS_EUlSR_E0_NS1_11comp_targetILNS1_3genE10ELNS1_11target_archE1200ELNS1_3gpuE4ELNS1_3repE0EEENS1_30default_config_static_selectorELNS0_4arch9wavefront6targetE0EEEvT1_
                                        ; -- End function
	.section	.AMDGPU.csdata,"",@progbits
; Kernel info:
; codeLenInByte = 0
; NumSgprs: 0
; NumVgprs: 0
; ScratchSize: 0
; MemoryBound: 0
; FloatMode: 240
; IeeeMode: 1
; LDSByteSize: 0 bytes/workgroup (compile time only)
; SGPRBlocks: 0
; VGPRBlocks: 0
; NumSGPRsForWavesPerEU: 1
; NumVGPRsForWavesPerEU: 1
; Occupancy: 16
; WaveLimiterHint : 0
; COMPUTE_PGM_RSRC2:SCRATCH_EN: 0
; COMPUTE_PGM_RSRC2:USER_SGPR: 15
; COMPUTE_PGM_RSRC2:TRAP_HANDLER: 0
; COMPUTE_PGM_RSRC2:TGID_X_EN: 1
; COMPUTE_PGM_RSRC2:TGID_Y_EN: 0
; COMPUTE_PGM_RSRC2:TGID_Z_EN: 0
; COMPUTE_PGM_RSRC2:TIDIG_COMP_CNT: 0
	.section	.text._ZN7rocprim17ROCPRIM_400000_NS6detail17trampoline_kernelINS0_14default_configENS1_20scan_config_selectorIfEEZZNS1_9scan_implILNS1_25lookback_scan_determinismE0ELb0ELb0ES3_PKfPffZZZN2at6native31launch_logcumsumexp_cuda_kernelERKNSB_10TensorBaseESF_lENKUlvE_clEvENKUlvE0_clEvEUlffE_fEEDaPvRmT3_T4_T5_mT6_P12ihipStream_tbENKUlT_T0_E_clISt17integral_constantIbLb1EESV_IbLb0EEEEDaSR_SS_EUlSR_E0_NS1_11comp_targetILNS1_3genE9ELNS1_11target_archE1100ELNS1_3gpuE3ELNS1_3repE0EEENS1_30default_config_static_selectorELNS0_4arch9wavefront6targetE0EEEvT1_,"axG",@progbits,_ZN7rocprim17ROCPRIM_400000_NS6detail17trampoline_kernelINS0_14default_configENS1_20scan_config_selectorIfEEZZNS1_9scan_implILNS1_25lookback_scan_determinismE0ELb0ELb0ES3_PKfPffZZZN2at6native31launch_logcumsumexp_cuda_kernelERKNSB_10TensorBaseESF_lENKUlvE_clEvENKUlvE0_clEvEUlffE_fEEDaPvRmT3_T4_T5_mT6_P12ihipStream_tbENKUlT_T0_E_clISt17integral_constantIbLb1EESV_IbLb0EEEEDaSR_SS_EUlSR_E0_NS1_11comp_targetILNS1_3genE9ELNS1_11target_archE1100ELNS1_3gpuE3ELNS1_3repE0EEENS1_30default_config_static_selectorELNS0_4arch9wavefront6targetE0EEEvT1_,comdat
	.globl	_ZN7rocprim17ROCPRIM_400000_NS6detail17trampoline_kernelINS0_14default_configENS1_20scan_config_selectorIfEEZZNS1_9scan_implILNS1_25lookback_scan_determinismE0ELb0ELb0ES3_PKfPffZZZN2at6native31launch_logcumsumexp_cuda_kernelERKNSB_10TensorBaseESF_lENKUlvE_clEvENKUlvE0_clEvEUlffE_fEEDaPvRmT3_T4_T5_mT6_P12ihipStream_tbENKUlT_T0_E_clISt17integral_constantIbLb1EESV_IbLb0EEEEDaSR_SS_EUlSR_E0_NS1_11comp_targetILNS1_3genE9ELNS1_11target_archE1100ELNS1_3gpuE3ELNS1_3repE0EEENS1_30default_config_static_selectorELNS0_4arch9wavefront6targetE0EEEvT1_ ; -- Begin function _ZN7rocprim17ROCPRIM_400000_NS6detail17trampoline_kernelINS0_14default_configENS1_20scan_config_selectorIfEEZZNS1_9scan_implILNS1_25lookback_scan_determinismE0ELb0ELb0ES3_PKfPffZZZN2at6native31launch_logcumsumexp_cuda_kernelERKNSB_10TensorBaseESF_lENKUlvE_clEvENKUlvE0_clEvEUlffE_fEEDaPvRmT3_T4_T5_mT6_P12ihipStream_tbENKUlT_T0_E_clISt17integral_constantIbLb1EESV_IbLb0EEEEDaSR_SS_EUlSR_E0_NS1_11comp_targetILNS1_3genE9ELNS1_11target_archE1100ELNS1_3gpuE3ELNS1_3repE0EEENS1_30default_config_static_selectorELNS0_4arch9wavefront6targetE0EEEvT1_
	.p2align	8
	.type	_ZN7rocprim17ROCPRIM_400000_NS6detail17trampoline_kernelINS0_14default_configENS1_20scan_config_selectorIfEEZZNS1_9scan_implILNS1_25lookback_scan_determinismE0ELb0ELb0ES3_PKfPffZZZN2at6native31launch_logcumsumexp_cuda_kernelERKNSB_10TensorBaseESF_lENKUlvE_clEvENKUlvE0_clEvEUlffE_fEEDaPvRmT3_T4_T5_mT6_P12ihipStream_tbENKUlT_T0_E_clISt17integral_constantIbLb1EESV_IbLb0EEEEDaSR_SS_EUlSR_E0_NS1_11comp_targetILNS1_3genE9ELNS1_11target_archE1100ELNS1_3gpuE3ELNS1_3repE0EEENS1_30default_config_static_selectorELNS0_4arch9wavefront6targetE0EEEvT1_,@function
_ZN7rocprim17ROCPRIM_400000_NS6detail17trampoline_kernelINS0_14default_configENS1_20scan_config_selectorIfEEZZNS1_9scan_implILNS1_25lookback_scan_determinismE0ELb0ELb0ES3_PKfPffZZZN2at6native31launch_logcumsumexp_cuda_kernelERKNSB_10TensorBaseESF_lENKUlvE_clEvENKUlvE0_clEvEUlffE_fEEDaPvRmT3_T4_T5_mT6_P12ihipStream_tbENKUlT_T0_E_clISt17integral_constantIbLb1EESV_IbLb0EEEEDaSR_SS_EUlSR_E0_NS1_11comp_targetILNS1_3genE9ELNS1_11target_archE1100ELNS1_3gpuE3ELNS1_3repE0EEENS1_30default_config_static_selectorELNS0_4arch9wavefront6targetE0EEEvT1_: ; @_ZN7rocprim17ROCPRIM_400000_NS6detail17trampoline_kernelINS0_14default_configENS1_20scan_config_selectorIfEEZZNS1_9scan_implILNS1_25lookback_scan_determinismE0ELb0ELb0ES3_PKfPffZZZN2at6native31launch_logcumsumexp_cuda_kernelERKNSB_10TensorBaseESF_lENKUlvE_clEvENKUlvE0_clEvEUlffE_fEEDaPvRmT3_T4_T5_mT6_P12ihipStream_tbENKUlT_T0_E_clISt17integral_constantIbLb1EESV_IbLb0EEEEDaSR_SS_EUlSR_E0_NS1_11comp_targetILNS1_3genE9ELNS1_11target_archE1100ELNS1_3gpuE3ELNS1_3repE0EEENS1_30default_config_static_selectorELNS0_4arch9wavefront6targetE0EEEvT1_
; %bb.0:
	s_load_b128 s[8:11], s[0:1], 0x0
	v_lshlrev_b32_e32 v7, 2, v0
	s_waitcnt lgkmcnt(0)
	s_load_b32 s4, s[8:9], 0x0
	v_cmp_gt_u32_e32 vcc_lo, s10, v0
	s_waitcnt lgkmcnt(0)
	s_mov_b32 s5, s4
	s_mov_b32 s6, s4
	;; [unrolled: 1-line block ×3, first 2 shown]
	s_delay_alu instid0(SALU_CYCLE_1)
	v_dual_mov_b32 v1, s4 :: v_dual_mov_b32 v4, s7
	v_dual_mov_b32 v5, s4 :: v_dual_mov_b32 v2, s5
	v_mov_b32_e32 v3, s6
	s_and_saveexec_b32 s2, vcc_lo
	s_cbranch_execz .LBB154_2
; %bb.1:
	global_load_b32 v5, v7, s[8:9]
	v_dual_mov_b32 v1, s4 :: v_dual_mov_b32 v2, s5
	v_dual_mov_b32 v3, s6 :: v_dual_mov_b32 v4, s7
                                        ; kill: def $vgpr1 killed $vgpr5 killed $exec
.LBB154_2:
	s_or_b32 exec_lo, exec_lo, s2
	v_or_b32_e32 v1, 0x100, v0
	s_delay_alu instid0(VALU_DEP_1) | instskip(NEXT) | instid1(VALU_DEP_1)
	v_cmp_gt_u32_e64 s2, s10, v1
	s_and_saveexec_b32 s3, s2
	s_cbranch_execz .LBB154_4
; %bb.3:
	global_load_b32 v2, v7, s[8:9] offset:1024
.LBB154_4:
	s_or_b32 exec_lo, exec_lo, s3
	v_or_b32_e32 v6, 0x200, v0
	s_delay_alu instid0(VALU_DEP_1) | instskip(NEXT) | instid1(VALU_DEP_1)
	v_cmp_gt_u32_e64 s3, s10, v6
	s_and_saveexec_b32 s4, s3
	s_cbranch_execz .LBB154_6
; %bb.5:
	global_load_b32 v3, v7, s[8:9] offset:2048
.LBB154_6:
	s_or_b32 exec_lo, exec_lo, s4
	v_or_b32_e32 v8, 0x300, v0
	s_delay_alu instid0(VALU_DEP_1) | instskip(NEXT) | instid1(VALU_DEP_1)
	v_cmp_gt_u32_e64 s4, s10, v8
	s_and_saveexec_b32 s5, s4
	s_cbranch_execz .LBB154_8
; %bb.7:
	global_load_b32 v4, v7, s[8:9] offset:3072
.LBB154_8:
	s_or_b32 exec_lo, exec_lo, s5
	v_lshrrev_b32_e32 v12, 3, v0
	v_lshrrev_b32_e32 v1, 3, v1
	;; [unrolled: 1-line block ×4, first 2 shown]
	s_delay_alu instid0(VALU_DEP_4) | instskip(NEXT) | instid1(VALU_DEP_4)
	v_and_b32_e32 v9, 28, v12
	v_and_b32_e32 v1, 60, v1
	s_delay_alu instid0(VALU_DEP_4) | instskip(NEXT) | instid1(VALU_DEP_4)
	v_and_b32_e32 v6, 0x7c, v6
	v_and_b32_e32 v11, 0x7c, v8
	v_add_lshl_u32 v12, v12, v7, 2
	v_add_nc_u32_e32 v8, v9, v7
	v_add_nc_u32_e32 v9, v1, v7
	;; [unrolled: 1-line block ×4, first 2 shown]
	s_waitcnt vmcnt(0)
	ds_store_b32 v8, v5
	ds_store_b32 v9, v2 offset:1024
	ds_store_b32 v10, v3 offset:2048
	;; [unrolled: 1-line block ×3, first 2 shown]
	s_waitcnt lgkmcnt(0)
	s_barrier
	buffer_gl0_inv
	ds_load_2addr_b32 v[1:2], v12 offset1:1
	ds_load_2addr_b32 v[3:4], v12 offset0:2 offset1:3
	s_waitcnt lgkmcnt(0)
	s_barrier
	buffer_gl0_inv
	v_mov_b32_e32 v19, v1
	v_dual_max_f32 v15, v2, v2 :: v_dual_max_f32 v18, v1, v1
	v_cmp_u_f32_e64 s8, v1, v1
	v_cmp_u_f32_e64 s5, v2, v2
	s_delay_alu instid0(VALU_DEP_3) | instskip(SKIP_1) | instid1(VALU_DEP_2)
	v_min_f32_e32 v16, v18, v15
	v_max_f32_e32 v17, v18, v15
	v_cndmask_b32_e64 v5, v16, v1, s8
	s_delay_alu instid0(VALU_DEP_2) | instskip(NEXT) | instid1(VALU_DEP_2)
	v_cndmask_b32_e64 v13, v17, v1, s8
	v_cndmask_b32_e64 v6, v5, v2, s5
	s_delay_alu instid0(VALU_DEP_2) | instskip(NEXT) | instid1(VALU_DEP_2)
	v_cndmask_b32_e64 v5, v13, v2, s5
	v_cmp_class_f32_e64 s7, v6, 0x1f8
	s_delay_alu instid0(VALU_DEP_2) | instskip(NEXT) | instid1(VALU_DEP_1)
	v_cmp_neq_f32_e64 s6, v6, v5
	s_or_b32 s6, s6, s7
	s_delay_alu instid0(SALU_CYCLE_1)
	s_and_saveexec_b32 s7, s6
	s_cbranch_execz .LBB154_10
; %bb.9:
	v_sub_f32_e32 v6, v6, v5
	s_delay_alu instid0(VALU_DEP_1) | instskip(NEXT) | instid1(VALU_DEP_1)
	v_mul_f32_e32 v13, 0x3fb8aa3b, v6
	v_fma_f32 v14, 0x3fb8aa3b, v6, -v13
	v_rndne_f32_e32 v19, v13
	s_delay_alu instid0(VALU_DEP_1) | instskip(SKIP_1) | instid1(VALU_DEP_2)
	v_dual_sub_f32 v13, v13, v19 :: v_dual_fmamk_f32 v14, v6, 0x32a5705f, v14
	v_cmp_ngt_f32_e64 s6, 0xc2ce8ed0, v6
	v_add_f32_e32 v13, v13, v14
	v_cvt_i32_f32_e32 v14, v19
	s_delay_alu instid0(VALU_DEP_2) | instskip(SKIP_2) | instid1(VALU_DEP_1)
	v_exp_f32_e32 v13, v13
	s_waitcnt_depctr 0xfff
	v_ldexp_f32 v13, v13, v14
	v_cndmask_b32_e64 v13, 0, v13, s6
	v_cmp_nlt_f32_e64 s6, 0x42b17218, v6
	s_delay_alu instid0(VALU_DEP_1) | instskip(NEXT) | instid1(VALU_DEP_1)
	v_cndmask_b32_e64 v6, 0x7f800000, v13, s6
	v_add_f32_e32 v19, 1.0, v6
	v_cmp_gt_f32_e64 s9, 0x33800000, |v6|
	s_delay_alu instid0(VALU_DEP_2) | instskip(NEXT) | instid1(VALU_DEP_1)
	v_cvt_f64_f32_e32 v[13:14], v19
	v_frexp_exp_i32_f64_e32 v13, v[13:14]
	v_frexp_mant_f32_e32 v14, v19
	s_delay_alu instid0(VALU_DEP_1) | instskip(SKIP_1) | instid1(VALU_DEP_1)
	v_cmp_gt_f32_e64 s6, 0x3f2aaaab, v14
	v_add_f32_e32 v14, -1.0, v19
	v_sub_f32_e32 v21, v14, v19
	s_delay_alu instid0(VALU_DEP_1) | instskip(NEXT) | instid1(VALU_DEP_4)
	v_dual_sub_f32 v14, v6, v14 :: v_dual_add_f32 v21, 1.0, v21
	v_subrev_co_ci_u32_e64 v13, s6, 0, v13, s6
	s_mov_b32 s6, 0x3e9b6dac
	s_delay_alu instid0(VALU_DEP_1) | instskip(SKIP_1) | instid1(VALU_DEP_2)
	v_sub_nc_u32_e32 v20, 0, v13
	v_cvt_f32_i32_e32 v13, v13
	v_ldexp_f32 v19, v19, v20
	s_delay_alu instid0(VALU_DEP_1) | instskip(NEXT) | instid1(VALU_DEP_1)
	v_add_f32_e32 v22, 1.0, v19
	v_dual_add_f32 v14, v14, v21 :: v_dual_add_f32 v21, -1.0, v22
	s_delay_alu instid0(VALU_DEP_1) | instskip(NEXT) | instid1(VALU_DEP_2)
	v_ldexp_f32 v14, v14, v20
	v_dual_add_f32 v20, -1.0, v19 :: v_dual_sub_f32 v21, v19, v21
	s_delay_alu instid0(VALU_DEP_1) | instskip(NEXT) | instid1(VALU_DEP_2)
	v_add_f32_e32 v23, 1.0, v20
	v_add_f32_e32 v21, v14, v21
	s_delay_alu instid0(VALU_DEP_2) | instskip(NEXT) | instid1(VALU_DEP_1)
	v_sub_f32_e32 v19, v19, v23
	v_add_f32_e32 v14, v14, v19
	s_delay_alu instid0(VALU_DEP_1) | instskip(NEXT) | instid1(VALU_DEP_1)
	v_dual_add_f32 v24, v20, v14 :: v_dual_add_f32 v23, v22, v21
	v_sub_f32_e32 v20, v20, v24
	s_delay_alu instid0(VALU_DEP_2) | instskip(SKIP_1) | instid1(VALU_DEP_1)
	v_rcp_f32_e32 v19, v23
	v_sub_f32_e32 v22, v22, v23
	v_dual_add_f32 v14, v14, v20 :: v_dual_add_f32 v21, v21, v22
	s_waitcnt_depctr 0xfff
	v_mul_f32_e32 v25, v24, v19
	s_delay_alu instid0(VALU_DEP_1) | instskip(NEXT) | instid1(VALU_DEP_1)
	v_mul_f32_e32 v26, v23, v25
	v_fma_f32 v22, v25, v23, -v26
	s_delay_alu instid0(VALU_DEP_1) | instskip(NEXT) | instid1(VALU_DEP_1)
	v_fmac_f32_e32 v22, v25, v21
	v_add_f32_e32 v27, v26, v22
	s_delay_alu instid0(VALU_DEP_1) | instskip(NEXT) | instid1(VALU_DEP_1)
	v_sub_f32_e32 v28, v24, v27
	v_sub_f32_e32 v24, v24, v28
	;; [unrolled: 1-line block ×3, first 2 shown]
	s_delay_alu instid0(VALU_DEP_2) | instskip(NEXT) | instid1(VALU_DEP_2)
	v_sub_f32_e32 v24, v24, v27
	v_sub_f32_e32 v20, v20, v22
	s_delay_alu instid0(VALU_DEP_2) | instskip(NEXT) | instid1(VALU_DEP_1)
	v_add_f32_e32 v14, v14, v24
	v_add_f32_e32 v14, v20, v14
	s_delay_alu instid0(VALU_DEP_1) | instskip(NEXT) | instid1(VALU_DEP_1)
	v_add_f32_e32 v20, v28, v14
	v_mul_f32_e32 v22, v19, v20
	s_delay_alu instid0(VALU_DEP_1) | instskip(NEXT) | instid1(VALU_DEP_1)
	v_dual_sub_f32 v27, v28, v20 :: v_dual_mul_f32 v24, v23, v22
	v_add_f32_e32 v14, v14, v27
	s_delay_alu instid0(VALU_DEP_2) | instskip(NEXT) | instid1(VALU_DEP_1)
	v_fma_f32 v23, v22, v23, -v24
	v_fmac_f32_e32 v23, v22, v21
	s_delay_alu instid0(VALU_DEP_1) | instskip(NEXT) | instid1(VALU_DEP_1)
	v_add_f32_e32 v21, v24, v23
	v_sub_f32_e32 v26, v20, v21
	v_sub_f32_e32 v24, v21, v24
	s_delay_alu instid0(VALU_DEP_2) | instskip(NEXT) | instid1(VALU_DEP_1)
	v_sub_f32_e32 v20, v20, v26
	v_sub_f32_e32 v20, v20, v21
	s_delay_alu instid0(VALU_DEP_1) | instskip(SKIP_1) | instid1(VALU_DEP_1)
	v_dual_sub_f32 v21, v24, v23 :: v_dual_add_f32 v14, v14, v20
	v_add_f32_e32 v20, v25, v22
	v_dual_add_f32 v14, v21, v14 :: v_dual_sub_f32 v21, v20, v25
	s_delay_alu instid0(VALU_DEP_1) | instskip(NEXT) | instid1(VALU_DEP_1)
	v_add_f32_e32 v14, v26, v14
	v_dual_sub_f32 v21, v22, v21 :: v_dual_mul_f32 v14, v19, v14
	s_delay_alu instid0(VALU_DEP_1) | instskip(NEXT) | instid1(VALU_DEP_1)
	v_add_f32_e32 v14, v21, v14
	v_add_f32_e32 v19, v20, v14
	s_delay_alu instid0(VALU_DEP_1) | instskip(NEXT) | instid1(VALU_DEP_1)
	v_mul_f32_e32 v21, v19, v19
	v_fmaak_f32 v22, s6, v21, 0x3ecc95a3
	v_mul_f32_e32 v23, v19, v21
	v_cmp_eq_f32_e64 s6, 0x7f800000, v6
	s_delay_alu instid0(VALU_DEP_3) | instskip(SKIP_2) | instid1(VALU_DEP_4)
	v_fmaak_f32 v21, v21, v22, 0x3f2aaada
	v_ldexp_f32 v22, v19, 1
	v_sub_f32_e32 v19, v19, v20
	s_or_b32 s6, s6, s9
	s_delay_alu instid0(VALU_DEP_3) | instskip(NEXT) | instid1(VALU_DEP_2)
	v_mul_f32_e32 v21, v23, v21
	v_dual_mul_f32 v23, 0x3f317218, v13 :: v_dual_sub_f32 v14, v14, v19
	s_delay_alu instid0(VALU_DEP_2) | instskip(NEXT) | instid1(VALU_DEP_2)
	v_add_f32_e32 v20, v22, v21
	v_ldexp_f32 v14, v14, 1
	s_delay_alu instid0(VALU_DEP_2) | instskip(NEXT) | instid1(VALU_DEP_4)
	v_sub_f32_e32 v19, v20, v22
	v_fma_f32 v22, 0x3f317218, v13, -v23
	s_delay_alu instid0(VALU_DEP_2) | instskip(NEXT) | instid1(VALU_DEP_1)
	v_sub_f32_e32 v19, v21, v19
	v_dual_fmamk_f32 v13, v13, 0xb102e308, v22 :: v_dual_add_f32 v14, v14, v19
	s_delay_alu instid0(VALU_DEP_1) | instskip(NEXT) | instid1(VALU_DEP_1)
	v_add_f32_e32 v19, v23, v13
	v_sub_f32_e32 v23, v19, v23
	s_delay_alu instid0(VALU_DEP_1) | instskip(NEXT) | instid1(VALU_DEP_4)
	v_sub_f32_e32 v13, v13, v23
	v_add_f32_e32 v21, v20, v14
	s_delay_alu instid0(VALU_DEP_1) | instskip(NEXT) | instid1(VALU_DEP_1)
	v_sub_f32_e32 v20, v21, v20
	v_sub_f32_e32 v14, v14, v20
	v_add_f32_e32 v22, v19, v21
	s_delay_alu instid0(VALU_DEP_1) | instskip(NEXT) | instid1(VALU_DEP_1)
	v_sub_f32_e32 v24, v22, v19
	v_sub_f32_e32 v20, v21, v24
	s_delay_alu instid0(VALU_DEP_4) | instskip(SKIP_1) | instid1(VALU_DEP_1)
	v_add_f32_e32 v21, v13, v14
	v_sub_f32_e32 v25, v22, v24
	v_sub_f32_e32 v19, v19, v25
	s_delay_alu instid0(VALU_DEP_1) | instskip(NEXT) | instid1(VALU_DEP_1)
	v_dual_add_f32 v19, v20, v19 :: v_dual_sub_f32 v20, v21, v13
	v_dual_add_f32 v19, v21, v19 :: v_dual_sub_f32 v14, v14, v20
	v_sub_f32_e32 v21, v21, v20
	s_delay_alu instid0(VALU_DEP_2) | instskip(NEXT) | instid1(VALU_DEP_1)
	v_add_f32_e32 v23, v22, v19
	v_dual_sub_f32 v13, v13, v21 :: v_dual_sub_f32 v20, v23, v22
	s_delay_alu instid0(VALU_DEP_1) | instskip(NEXT) | instid1(VALU_DEP_1)
	v_dual_add_f32 v13, v14, v13 :: v_dual_sub_f32 v14, v19, v20
	v_add_f32_e32 v13, v13, v14
	s_delay_alu instid0(VALU_DEP_1) | instskip(NEXT) | instid1(VALU_DEP_1)
	v_add_f32_e32 v13, v23, v13
	v_cndmask_b32_e64 v6, v13, v6, s6
	s_delay_alu instid0(VALU_DEP_1)
	v_add_f32_e32 v19, v5, v6
.LBB154_10:
	s_or_b32 exec_lo, exec_lo, s7
	s_delay_alu instid0(VALU_DEP_1) | instskip(SKIP_2) | instid1(VALU_DEP_2)
	v_max_f32_e32 v5, v19, v19
	v_max_f32_e32 v13, v3, v3
	v_cmp_u_f32_e64 s6, v19, v19
	v_min_f32_e32 v6, v5, v13
	v_max_f32_e32 v5, v5, v13
	s_delay_alu instid0(VALU_DEP_2) | instskip(NEXT) | instid1(VALU_DEP_2)
	v_cndmask_b32_e64 v6, v6, v19, s6
	v_cndmask_b32_e64 v5, v5, v19, s6
	v_cmp_u_f32_e64 s6, v3, v3
	s_delay_alu instid0(VALU_DEP_1) | instskip(NEXT) | instid1(VALU_DEP_3)
	v_cndmask_b32_e64 v6, v6, v3, s6
	v_cndmask_b32_e64 v5, v5, v3, s6
	s_delay_alu instid0(VALU_DEP_2) | instskip(NEXT) | instid1(VALU_DEP_2)
	v_cmp_class_f32_e64 s9, v6, 0x1f8
	v_cmp_neq_f32_e64 s7, v6, v5
	s_delay_alu instid0(VALU_DEP_1) | instskip(NEXT) | instid1(SALU_CYCLE_1)
	s_or_b32 s7, s7, s9
	s_and_saveexec_b32 s9, s7
	s_cbranch_execz .LBB154_12
; %bb.11:
	v_sub_f32_e32 v6, v6, v5
	s_delay_alu instid0(VALU_DEP_1) | instskip(SKIP_1) | instid1(VALU_DEP_2)
	v_mul_f32_e32 v14, 0x3fb8aa3b, v6
	v_cmp_ngt_f32_e64 s7, 0xc2ce8ed0, v6
	v_fma_f32 v19, 0x3fb8aa3b, v6, -v14
	v_rndne_f32_e32 v20, v14
	s_delay_alu instid0(VALU_DEP_2) | instskip(NEXT) | instid1(VALU_DEP_2)
	v_fmamk_f32 v19, v6, 0x32a5705f, v19
	v_sub_f32_e32 v14, v14, v20
	s_delay_alu instid0(VALU_DEP_1) | instskip(SKIP_1) | instid1(VALU_DEP_2)
	v_add_f32_e32 v14, v14, v19
	v_cvt_i32_f32_e32 v19, v20
	v_exp_f32_e32 v14, v14
	s_waitcnt_depctr 0xfff
	v_ldexp_f32 v14, v14, v19
	s_delay_alu instid0(VALU_DEP_1) | instskip(SKIP_1) | instid1(VALU_DEP_1)
	v_cndmask_b32_e64 v14, 0, v14, s7
	v_cmp_nlt_f32_e64 s7, 0x42b17218, v6
	v_cndmask_b32_e64 v6, 0x7f800000, v14, s7
	s_delay_alu instid0(VALU_DEP_1) | instskip(SKIP_1) | instid1(VALU_DEP_2)
	v_add_f32_e32 v14, 1.0, v6
	v_cmp_gt_f32_e64 s10, 0x33800000, |v6|
	v_cvt_f64_f32_e32 v[19:20], v14
	s_delay_alu instid0(VALU_DEP_1) | instskip(SKIP_1) | instid1(VALU_DEP_1)
	v_frexp_exp_i32_f64_e32 v19, v[19:20]
	v_frexp_mant_f32_e32 v20, v14
	v_cmp_gt_f32_e64 s7, 0x3f2aaaab, v20
	v_add_f32_e32 v20, -1.0, v14
	s_delay_alu instid0(VALU_DEP_1) | instskip(NEXT) | instid1(VALU_DEP_1)
	v_sub_f32_e32 v22, v20, v14
	v_add_f32_e32 v22, 1.0, v22
	s_delay_alu instid0(VALU_DEP_4) | instskip(SKIP_1) | instid1(VALU_DEP_1)
	v_subrev_co_ci_u32_e64 v19, s7, 0, v19, s7
	s_mov_b32 s7, 0x3e9b6dac
	v_sub_nc_u32_e32 v21, 0, v19
	v_cvt_f32_i32_e32 v19, v19
	s_delay_alu instid0(VALU_DEP_2) | instskip(NEXT) | instid1(VALU_DEP_1)
	v_ldexp_f32 v14, v14, v21
	v_dual_sub_f32 v20, v6, v20 :: v_dual_add_f32 v23, 1.0, v14
	s_delay_alu instid0(VALU_DEP_1) | instskip(NEXT) | instid1(VALU_DEP_1)
	v_add_f32_e32 v20, v20, v22
	v_ldexp_f32 v20, v20, v21
	s_delay_alu instid0(VALU_DEP_3) | instskip(NEXT) | instid1(VALU_DEP_1)
	v_dual_add_f32 v21, -1.0, v14 :: v_dual_add_f32 v22, -1.0, v23
	v_add_f32_e32 v24, 1.0, v21
	s_delay_alu instid0(VALU_DEP_2) | instskip(NEXT) | instid1(VALU_DEP_2)
	v_sub_f32_e32 v22, v14, v22
	v_sub_f32_e32 v14, v14, v24
	s_delay_alu instid0(VALU_DEP_2) | instskip(NEXT) | instid1(VALU_DEP_2)
	v_add_f32_e32 v22, v20, v22
	v_add_f32_e32 v14, v20, v14
	s_delay_alu instid0(VALU_DEP_2) | instskip(NEXT) | instid1(VALU_DEP_2)
	v_add_f32_e32 v24, v23, v22
	v_add_f32_e32 v25, v21, v14
	s_delay_alu instid0(VALU_DEP_2) | instskip(SKIP_1) | instid1(VALU_DEP_1)
	v_rcp_f32_e32 v20, v24
	v_sub_f32_e32 v23, v23, v24
	v_dual_sub_f32 v21, v21, v25 :: v_dual_add_f32 v22, v22, v23
	s_delay_alu instid0(VALU_DEP_1) | instskip(SKIP_2) | instid1(VALU_DEP_1)
	v_add_f32_e32 v14, v14, v21
	s_waitcnt_depctr 0xfff
	v_mul_f32_e32 v26, v25, v20
	v_mul_f32_e32 v27, v24, v26
	s_delay_alu instid0(VALU_DEP_1) | instskip(NEXT) | instid1(VALU_DEP_1)
	v_fma_f32 v23, v26, v24, -v27
	v_fmac_f32_e32 v23, v26, v22
	s_delay_alu instid0(VALU_DEP_1) | instskip(NEXT) | instid1(VALU_DEP_1)
	v_add_f32_e32 v28, v27, v23
	v_sub_f32_e32 v29, v25, v28
	v_sub_f32_e32 v21, v28, v27
	s_delay_alu instid0(VALU_DEP_2) | instskip(NEXT) | instid1(VALU_DEP_2)
	v_sub_f32_e32 v25, v25, v29
	v_sub_f32_e32 v21, v21, v23
	s_delay_alu instid0(VALU_DEP_2) | instskip(NEXT) | instid1(VALU_DEP_1)
	v_sub_f32_e32 v25, v25, v28
	v_add_f32_e32 v14, v14, v25
	s_delay_alu instid0(VALU_DEP_1) | instskip(NEXT) | instid1(VALU_DEP_1)
	v_add_f32_e32 v14, v21, v14
	v_add_f32_e32 v21, v29, v14
	s_delay_alu instid0(VALU_DEP_1) | instskip(NEXT) | instid1(VALU_DEP_1)
	v_mul_f32_e32 v23, v20, v21
	v_dual_sub_f32 v28, v29, v21 :: v_dual_mul_f32 v25, v24, v23
	s_delay_alu instid0(VALU_DEP_1) | instskip(NEXT) | instid1(VALU_DEP_2)
	v_add_f32_e32 v14, v14, v28
	v_fma_f32 v24, v23, v24, -v25
	s_delay_alu instid0(VALU_DEP_1) | instskip(NEXT) | instid1(VALU_DEP_1)
	v_fmac_f32_e32 v24, v23, v22
	v_add_f32_e32 v22, v25, v24
	s_delay_alu instid0(VALU_DEP_1) | instskip(SKIP_1) | instid1(VALU_DEP_2)
	v_sub_f32_e32 v27, v21, v22
	v_sub_f32_e32 v25, v22, v25
	v_sub_f32_e32 v21, v21, v27
	s_delay_alu instid0(VALU_DEP_1) | instskip(NEXT) | instid1(VALU_DEP_3)
	v_sub_f32_e32 v21, v21, v22
	v_sub_f32_e32 v22, v25, v24
	s_delay_alu instid0(VALU_DEP_2) | instskip(SKIP_1) | instid1(VALU_DEP_2)
	v_add_f32_e32 v14, v14, v21
	v_add_f32_e32 v21, v26, v23
	;; [unrolled: 1-line block ×3, first 2 shown]
	s_delay_alu instid0(VALU_DEP_2) | instskip(NEXT) | instid1(VALU_DEP_2)
	v_sub_f32_e32 v22, v21, v26
	v_add_f32_e32 v14, v27, v14
	s_delay_alu instid0(VALU_DEP_2) | instskip(NEXT) | instid1(VALU_DEP_2)
	v_sub_f32_e32 v22, v23, v22
	v_mul_f32_e32 v14, v20, v14
	s_delay_alu instid0(VALU_DEP_1) | instskip(NEXT) | instid1(VALU_DEP_1)
	v_add_f32_e32 v14, v22, v14
	v_add_f32_e32 v20, v21, v14
	s_delay_alu instid0(VALU_DEP_1) | instskip(NEXT) | instid1(VALU_DEP_1)
	v_mul_f32_e32 v22, v20, v20
	v_fmaak_f32 v23, s7, v22, 0x3ecc95a3
	v_mul_f32_e32 v24, v20, v22
	v_cmp_eq_f32_e64 s7, 0x7f800000, v6
	s_delay_alu instid0(VALU_DEP_3) | instskip(SKIP_2) | instid1(VALU_DEP_4)
	v_fmaak_f32 v22, v22, v23, 0x3f2aaada
	v_ldexp_f32 v23, v20, 1
	v_sub_f32_e32 v20, v20, v21
	s_or_b32 s7, s7, s10
	s_delay_alu instid0(VALU_DEP_3) | instskip(SKIP_1) | instid1(VALU_DEP_2)
	v_mul_f32_e32 v22, v24, v22
	v_mul_f32_e32 v24, 0x3f317218, v19
	v_dual_sub_f32 v14, v14, v20 :: v_dual_add_f32 v21, v23, v22
	s_delay_alu instid0(VALU_DEP_1) | instskip(NEXT) | instid1(VALU_DEP_2)
	v_ldexp_f32 v14, v14, 1
	v_sub_f32_e32 v20, v21, v23
	s_delay_alu instid0(VALU_DEP_4) | instskip(NEXT) | instid1(VALU_DEP_1)
	v_fma_f32 v23, 0x3f317218, v19, -v24
	v_dual_sub_f32 v20, v22, v20 :: v_dual_fmamk_f32 v19, v19, 0xb102e308, v23
	s_delay_alu instid0(VALU_DEP_1) | instskip(NEXT) | instid1(VALU_DEP_2)
	v_add_f32_e32 v14, v14, v20
	v_add_f32_e32 v20, v24, v19
	s_delay_alu instid0(VALU_DEP_2) | instskip(NEXT) | instid1(VALU_DEP_2)
	v_add_f32_e32 v22, v21, v14
	v_sub_f32_e32 v24, v20, v24
	s_delay_alu instid0(VALU_DEP_2) | instskip(SKIP_1) | instid1(VALU_DEP_3)
	v_add_f32_e32 v23, v20, v22
	v_sub_f32_e32 v21, v22, v21
	v_sub_f32_e32 v19, v19, v24
	s_delay_alu instid0(VALU_DEP_2) | instskip(NEXT) | instid1(VALU_DEP_1)
	v_dual_sub_f32 v25, v23, v20 :: v_dual_sub_f32 v14, v14, v21
	v_sub_f32_e32 v26, v23, v25
	s_delay_alu instid0(VALU_DEP_2) | instskip(NEXT) | instid1(VALU_DEP_2)
	v_dual_sub_f32 v21, v22, v25 :: v_dual_add_f32 v22, v19, v14
	v_sub_f32_e32 v20, v20, v26
	s_delay_alu instid0(VALU_DEP_1) | instskip(NEXT) | instid1(VALU_DEP_1)
	v_dual_add_f32 v20, v21, v20 :: v_dual_sub_f32 v21, v22, v19
	v_add_f32_e32 v20, v22, v20
	s_delay_alu instid0(VALU_DEP_2) | instskip(SKIP_1) | instid1(VALU_DEP_3)
	v_sub_f32_e32 v22, v22, v21
	v_sub_f32_e32 v14, v14, v21
	v_add_f32_e32 v24, v23, v20
	s_delay_alu instid0(VALU_DEP_3) | instskip(NEXT) | instid1(VALU_DEP_2)
	v_sub_f32_e32 v19, v19, v22
	v_sub_f32_e32 v21, v24, v23
	s_delay_alu instid0(VALU_DEP_1) | instskip(NEXT) | instid1(VALU_DEP_1)
	v_dual_add_f32 v14, v14, v19 :: v_dual_sub_f32 v19, v20, v21
	v_add_f32_e32 v14, v14, v19
	s_delay_alu instid0(VALU_DEP_1) | instskip(NEXT) | instid1(VALU_DEP_1)
	v_add_f32_e32 v14, v24, v14
	v_cndmask_b32_e64 v6, v14, v6, s7
	s_delay_alu instid0(VALU_DEP_1)
	v_add_f32_e32 v19, v5, v6
.LBB154_12:
	s_or_b32 exec_lo, exec_lo, s9
	s_delay_alu instid0(VALU_DEP_1) | instskip(SKIP_1) | instid1(VALU_DEP_2)
	v_dual_max_f32 v5, v19, v19 :: v_dual_max_f32 v14, v4, v4
	v_cmp_u_f32_e64 s7, v19, v19
	v_min_f32_e32 v6, v5, v14
	v_max_f32_e32 v5, v5, v14
	s_delay_alu instid0(VALU_DEP_2) | instskip(NEXT) | instid1(VALU_DEP_2)
	v_cndmask_b32_e64 v6, v6, v19, s7
	v_cndmask_b32_e64 v5, v5, v19, s7
	v_cmp_u_f32_e64 s7, v4, v4
	s_delay_alu instid0(VALU_DEP_1) | instskip(NEXT) | instid1(VALU_DEP_3)
	v_cndmask_b32_e64 v6, v6, v4, s7
	v_cndmask_b32_e64 v5, v5, v4, s7
	s_delay_alu instid0(VALU_DEP_2) | instskip(NEXT) | instid1(VALU_DEP_2)
	v_cmp_class_f32_e64 s10, v6, 0x1f8
	v_cmp_neq_f32_e64 s9, v6, v5
	s_delay_alu instid0(VALU_DEP_1) | instskip(NEXT) | instid1(SALU_CYCLE_1)
	s_or_b32 s9, s9, s10
	s_and_saveexec_b32 s10, s9
	s_cbranch_execz .LBB154_14
; %bb.13:
	v_sub_f32_e32 v6, v6, v5
	s_delay_alu instid0(VALU_DEP_1) | instskip(NEXT) | instid1(VALU_DEP_1)
	v_mul_f32_e32 v19, 0x3fb8aa3b, v6
	v_fma_f32 v20, 0x3fb8aa3b, v6, -v19
	v_rndne_f32_e32 v21, v19
	s_delay_alu instid0(VALU_DEP_1) | instskip(NEXT) | instid1(VALU_DEP_1)
	v_dual_fmamk_f32 v20, v6, 0x32a5705f, v20 :: v_dual_sub_f32 v19, v19, v21
	v_add_f32_e32 v19, v19, v20
	v_cvt_i32_f32_e32 v20, v21
	v_cmp_ngt_f32_e64 s9, 0xc2ce8ed0, v6
	s_delay_alu instid0(VALU_DEP_3) | instskip(SKIP_2) | instid1(VALU_DEP_1)
	v_exp_f32_e32 v19, v19
	s_waitcnt_depctr 0xfff
	v_ldexp_f32 v19, v19, v20
	v_cndmask_b32_e64 v19, 0, v19, s9
	v_cmp_nlt_f32_e64 s9, 0x42b17218, v6
	s_delay_alu instid0(VALU_DEP_1) | instskip(NEXT) | instid1(VALU_DEP_1)
	v_cndmask_b32_e64 v6, 0x7f800000, v19, s9
	v_add_f32_e32 v21, 1.0, v6
	v_cmp_gt_f32_e64 s11, 0x33800000, |v6|
	s_delay_alu instid0(VALU_DEP_2) | instskip(NEXT) | instid1(VALU_DEP_1)
	v_cvt_f64_f32_e32 v[19:20], v21
	v_frexp_exp_i32_f64_e32 v19, v[19:20]
	v_frexp_mant_f32_e32 v20, v21
	s_delay_alu instid0(VALU_DEP_1) | instskip(SKIP_1) | instid1(VALU_DEP_1)
	v_cmp_gt_f32_e64 s9, 0x3f2aaaab, v20
	v_add_f32_e32 v20, -1.0, v21
	v_dual_sub_f32 v23, v20, v21 :: v_dual_sub_f32 v20, v6, v20
	s_delay_alu instid0(VALU_DEP_3) | instskip(SKIP_1) | instid1(VALU_DEP_1)
	v_subrev_co_ci_u32_e64 v19, s9, 0, v19, s9
	s_mov_b32 s9, 0x3e9b6dac
	v_sub_nc_u32_e32 v22, 0, v19
	v_cvt_f32_i32_e32 v19, v19
	s_delay_alu instid0(VALU_DEP_2) | instskip(NEXT) | instid1(VALU_DEP_1)
	v_ldexp_f32 v21, v21, v22
	v_dual_add_f32 v23, 1.0, v23 :: v_dual_add_f32 v24, 1.0, v21
	s_delay_alu instid0(VALU_DEP_1) | instskip(NEXT) | instid1(VALU_DEP_1)
	v_dual_add_f32 v20, v20, v23 :: v_dual_add_f32 v23, -1.0, v24
	v_ldexp_f32 v20, v20, v22
	s_delay_alu instid0(VALU_DEP_2) | instskip(NEXT) | instid1(VALU_DEP_1)
	v_dual_add_f32 v22, -1.0, v21 :: v_dual_sub_f32 v23, v21, v23
	v_add_f32_e32 v25, 1.0, v22
	s_delay_alu instid0(VALU_DEP_2) | instskip(NEXT) | instid1(VALU_DEP_2)
	v_add_f32_e32 v23, v20, v23
	v_sub_f32_e32 v21, v21, v25
	s_delay_alu instid0(VALU_DEP_1) | instskip(NEXT) | instid1(VALU_DEP_1)
	v_add_f32_e32 v20, v20, v21
	v_dual_add_f32 v26, v22, v20 :: v_dual_add_f32 v25, v24, v23
	s_delay_alu instid0(VALU_DEP_1) | instskip(NEXT) | instid1(VALU_DEP_2)
	v_sub_f32_e32 v22, v22, v26
	v_rcp_f32_e32 v21, v25
	v_sub_f32_e32 v24, v24, v25
	s_delay_alu instid0(VALU_DEP_1) | instskip(SKIP_2) | instid1(VALU_DEP_1)
	v_dual_add_f32 v20, v20, v22 :: v_dual_add_f32 v23, v23, v24
	s_waitcnt_depctr 0xfff
	v_mul_f32_e32 v27, v26, v21
	v_mul_f32_e32 v28, v25, v27
	s_delay_alu instid0(VALU_DEP_1) | instskip(NEXT) | instid1(VALU_DEP_1)
	v_fma_f32 v24, v27, v25, -v28
	v_fmac_f32_e32 v24, v27, v23
	s_delay_alu instid0(VALU_DEP_1) | instskip(NEXT) | instid1(VALU_DEP_1)
	v_add_f32_e32 v29, v28, v24
	v_sub_f32_e32 v30, v26, v29
	s_delay_alu instid0(VALU_DEP_1) | instskip(SKIP_1) | instid1(VALU_DEP_2)
	v_sub_f32_e32 v26, v26, v30
	v_sub_f32_e32 v22, v29, v28
	;; [unrolled: 1-line block ×3, first 2 shown]
	s_delay_alu instid0(VALU_DEP_2) | instskip(NEXT) | instid1(VALU_DEP_2)
	v_sub_f32_e32 v22, v22, v24
	v_add_f32_e32 v20, v20, v26
	s_delay_alu instid0(VALU_DEP_1) | instskip(NEXT) | instid1(VALU_DEP_1)
	v_add_f32_e32 v20, v22, v20
	v_add_f32_e32 v22, v30, v20
	s_delay_alu instid0(VALU_DEP_1) | instskip(NEXT) | instid1(VALU_DEP_1)
	v_mul_f32_e32 v24, v21, v22
	v_dual_sub_f32 v29, v30, v22 :: v_dual_mul_f32 v26, v25, v24
	s_delay_alu instid0(VALU_DEP_1) | instskip(NEXT) | instid1(VALU_DEP_2)
	v_add_f32_e32 v20, v20, v29
	v_fma_f32 v25, v24, v25, -v26
	s_delay_alu instid0(VALU_DEP_1) | instskip(NEXT) | instid1(VALU_DEP_1)
	v_fmac_f32_e32 v25, v24, v23
	v_add_f32_e32 v23, v26, v25
	s_delay_alu instid0(VALU_DEP_1) | instskip(SKIP_1) | instid1(VALU_DEP_2)
	v_sub_f32_e32 v28, v22, v23
	v_sub_f32_e32 v26, v23, v26
	;; [unrolled: 1-line block ×3, first 2 shown]
	s_delay_alu instid0(VALU_DEP_1) | instskip(NEXT) | instid1(VALU_DEP_1)
	v_sub_f32_e32 v22, v22, v23
	v_dual_sub_f32 v23, v26, v25 :: v_dual_add_f32 v20, v20, v22
	v_add_f32_e32 v22, v27, v24
	s_delay_alu instid0(VALU_DEP_1) | instskip(NEXT) | instid1(VALU_DEP_1)
	v_dual_add_f32 v20, v23, v20 :: v_dual_sub_f32 v23, v22, v27
	v_add_f32_e32 v20, v28, v20
	s_delay_alu instid0(VALU_DEP_1) | instskip(NEXT) | instid1(VALU_DEP_1)
	v_dual_sub_f32 v23, v24, v23 :: v_dual_mul_f32 v20, v21, v20
	v_add_f32_e32 v20, v23, v20
	s_delay_alu instid0(VALU_DEP_1) | instskip(NEXT) | instid1(VALU_DEP_1)
	v_add_f32_e32 v21, v22, v20
	v_mul_f32_e32 v23, v21, v21
	s_delay_alu instid0(VALU_DEP_1) | instskip(SKIP_2) | instid1(VALU_DEP_3)
	v_fmaak_f32 v24, s9, v23, 0x3ecc95a3
	v_mul_f32_e32 v25, v21, v23
	v_cmp_eq_f32_e64 s9, 0x7f800000, v6
	v_fmaak_f32 v23, v23, v24, 0x3f2aaada
	v_ldexp_f32 v24, v21, 1
	v_sub_f32_e32 v21, v21, v22
	s_delay_alu instid0(VALU_DEP_4) | instskip(NEXT) | instid1(VALU_DEP_3)
	s_or_b32 s9, s9, s11
	v_mul_f32_e32 v23, v25, v23
	s_delay_alu instid0(VALU_DEP_2) | instskip(NEXT) | instid1(VALU_DEP_2)
	v_dual_mul_f32 v25, 0x3f317218, v19 :: v_dual_sub_f32 v20, v20, v21
	v_add_f32_e32 v22, v24, v23
	s_delay_alu instid0(VALU_DEP_2) | instskip(NEXT) | instid1(VALU_DEP_2)
	v_ldexp_f32 v20, v20, 1
	v_sub_f32_e32 v21, v22, v24
	s_delay_alu instid0(VALU_DEP_4) | instskip(NEXT) | instid1(VALU_DEP_2)
	v_fma_f32 v24, 0x3f317218, v19, -v25
	v_sub_f32_e32 v21, v23, v21
	s_delay_alu instid0(VALU_DEP_1) | instskip(NEXT) | instid1(VALU_DEP_1)
	v_dual_fmamk_f32 v19, v19, 0xb102e308, v24 :: v_dual_add_f32 v20, v20, v21
	v_add_f32_e32 v21, v25, v19
	s_delay_alu instid0(VALU_DEP_1) | instskip(NEXT) | instid1(VALU_DEP_1)
	v_sub_f32_e32 v25, v21, v25
	v_sub_f32_e32 v19, v19, v25
	s_delay_alu instid0(VALU_DEP_4) | instskip(NEXT) | instid1(VALU_DEP_1)
	v_add_f32_e32 v23, v22, v20
	v_sub_f32_e32 v22, v23, v22
	s_delay_alu instid0(VALU_DEP_1) | instskip(SKIP_1) | instid1(VALU_DEP_1)
	v_sub_f32_e32 v20, v20, v22
	v_add_f32_e32 v24, v21, v23
	v_sub_f32_e32 v26, v24, v21
	s_delay_alu instid0(VALU_DEP_1) | instskip(NEXT) | instid1(VALU_DEP_4)
	v_sub_f32_e32 v22, v23, v26
	v_add_f32_e32 v23, v19, v20
	v_sub_f32_e32 v27, v24, v26
	s_delay_alu instid0(VALU_DEP_1) | instskip(NEXT) | instid1(VALU_DEP_1)
	v_sub_f32_e32 v21, v21, v27
	v_dual_add_f32 v21, v22, v21 :: v_dual_sub_f32 v22, v23, v19
	s_delay_alu instid0(VALU_DEP_1) | instskip(SKIP_1) | instid1(VALU_DEP_2)
	v_dual_add_f32 v21, v23, v21 :: v_dual_sub_f32 v20, v20, v22
	v_sub_f32_e32 v23, v23, v22
	v_add_f32_e32 v25, v24, v21
	s_delay_alu instid0(VALU_DEP_1) | instskip(NEXT) | instid1(VALU_DEP_1)
	v_dual_sub_f32 v19, v19, v23 :: v_dual_sub_f32 v22, v25, v24
	v_dual_add_f32 v19, v20, v19 :: v_dual_sub_f32 v20, v21, v22
	s_delay_alu instid0(VALU_DEP_1) | instskip(NEXT) | instid1(VALU_DEP_1)
	v_add_f32_e32 v19, v19, v20
	v_add_f32_e32 v19, v25, v19
	s_delay_alu instid0(VALU_DEP_1) | instskip(NEXT) | instid1(VALU_DEP_1)
	v_cndmask_b32_e64 v6, v19, v6, s9
	v_add_f32_e32 v19, v5, v6
.LBB154_14:
	s_or_b32 exec_lo, exec_lo, s10
	s_load_b64 s[10:11], s[0:1], 0x18
	s_mov_b32 s9, exec_lo
	ds_store_b32 v8, v19
	s_waitcnt lgkmcnt(0)
	s_barrier
	buffer_gl0_inv
	v_cmpx_gt_u32_e32 32, v0
	s_cbranch_execz .LBB154_66
; %bb.15:
	v_and_b32_e32 v5, 0xfc, v0
	s_delay_alu instid0(VALU_DEP_1)
	v_lshl_or_b32 v20, v0, 5, v5
	ds_load_2addr_b32 v[5:6], v20 offset1:1
	s_waitcnt lgkmcnt(0)
	v_dual_max_f32 v22, v6, v6 :: v_dual_max_f32 v21, v5, v5
	v_cmp_u_f32_e64 s0, v5, v5
	v_cmp_u_f32_e64 s1, v6, v6
	s_delay_alu instid0(VALU_DEP_3) | instskip(SKIP_1) | instid1(VALU_DEP_2)
	v_min_f32_e32 v23, v21, v22
	v_max_f32_e32 v22, v21, v22
	v_cndmask_b32_e64 v23, v23, v5, s0
	s_delay_alu instid0(VALU_DEP_2) | instskip(NEXT) | instid1(VALU_DEP_2)
	v_cndmask_b32_e64 v24, v22, v5, s0
	v_cndmask_b32_e64 v22, v23, v6, s1
	s_delay_alu instid0(VALU_DEP_2) | instskip(SKIP_1) | instid1(VALU_DEP_3)
	v_cndmask_b32_e64 v6, v24, v6, s1
	v_mov_b32_e32 v23, v5
	v_cmp_class_f32_e64 s12, v22, 0x1f8
	s_delay_alu instid0(VALU_DEP_3) | instskip(NEXT) | instid1(VALU_DEP_1)
	v_cmp_neq_f32_e64 s1, v22, v6
	s_or_b32 s1, s1, s12
	s_delay_alu instid0(SALU_CYCLE_1)
	s_and_saveexec_b32 s12, s1
	s_cbranch_execz .LBB154_17
; %bb.16:
	v_sub_f32_e32 v22, v22, v6
	s_delay_alu instid0(VALU_DEP_1) | instskip(NEXT) | instid1(VALU_DEP_1)
	v_mul_f32_e32 v23, 0x3fb8aa3b, v22
	v_fma_f32 v24, 0x3fb8aa3b, v22, -v23
	v_rndne_f32_e32 v25, v23
	s_delay_alu instid0(VALU_DEP_1) | instskip(SKIP_1) | instid1(VALU_DEP_2)
	v_dual_sub_f32 v23, v23, v25 :: v_dual_fmamk_f32 v24, v22, 0x32a5705f, v24
	v_cmp_ngt_f32_e64 s1, 0xc2ce8ed0, v22
	v_add_f32_e32 v23, v23, v24
	v_cvt_i32_f32_e32 v24, v25
	s_delay_alu instid0(VALU_DEP_2) | instskip(SKIP_2) | instid1(VALU_DEP_1)
	v_exp_f32_e32 v23, v23
	s_waitcnt_depctr 0xfff
	v_ldexp_f32 v23, v23, v24
	v_cndmask_b32_e64 v23, 0, v23, s1
	v_cmp_nlt_f32_e64 s1, 0x42b17218, v22
	s_delay_alu instid0(VALU_DEP_1) | instskip(NEXT) | instid1(VALU_DEP_1)
	v_cndmask_b32_e64 v24, 0x7f800000, v23, s1
	v_add_f32_e32 v25, 1.0, v24
	v_cmp_gt_f32_e64 s13, 0x33800000, |v24|
	s_delay_alu instid0(VALU_DEP_2) | instskip(NEXT) | instid1(VALU_DEP_1)
	v_cvt_f64_f32_e32 v[22:23], v25
	v_frexp_exp_i32_f64_e32 v22, v[22:23]
	v_frexp_mant_f32_e32 v23, v25
	s_delay_alu instid0(VALU_DEP_1) | instskip(SKIP_1) | instid1(VALU_DEP_1)
	v_cmp_gt_f32_e64 s1, 0x3f2aaaab, v23
	v_add_f32_e32 v23, -1.0, v25
	v_sub_f32_e32 v27, v23, v25
	v_sub_f32_e32 v23, v24, v23
	s_delay_alu instid0(VALU_DEP_4) | instskip(SKIP_1) | instid1(VALU_DEP_1)
	v_subrev_co_ci_u32_e64 v22, s1, 0, v22, s1
	s_mov_b32 s1, 0x3e9b6dac
	v_sub_nc_u32_e32 v26, 0, v22
	v_cvt_f32_i32_e32 v22, v22
	s_delay_alu instid0(VALU_DEP_2) | instskip(NEXT) | instid1(VALU_DEP_1)
	v_ldexp_f32 v25, v25, v26
	v_dual_add_f32 v28, 1.0, v25 :: v_dual_add_f32 v27, 1.0, v27
	s_delay_alu instid0(VALU_DEP_1) | instskip(NEXT) | instid1(VALU_DEP_2)
	v_add_f32_e32 v23, v23, v27
	v_add_f32_e32 v27, -1.0, v28
	s_delay_alu instid0(VALU_DEP_2) | instskip(NEXT) | instid1(VALU_DEP_2)
	v_ldexp_f32 v23, v23, v26
	v_dual_add_f32 v26, -1.0, v25 :: v_dual_sub_f32 v27, v25, v27
	s_delay_alu instid0(VALU_DEP_1) | instskip(NEXT) | instid1(VALU_DEP_2)
	v_add_f32_e32 v29, 1.0, v26
	v_add_f32_e32 v27, v23, v27
	s_delay_alu instid0(VALU_DEP_2) | instskip(NEXT) | instid1(VALU_DEP_2)
	v_sub_f32_e32 v25, v25, v29
	v_add_f32_e32 v29, v28, v27
	s_delay_alu instid0(VALU_DEP_2) | instskip(NEXT) | instid1(VALU_DEP_2)
	v_add_f32_e32 v23, v23, v25
	v_rcp_f32_e32 v25, v29
	v_sub_f32_e32 v28, v28, v29
	s_delay_alu instid0(VALU_DEP_1) | instskip(NEXT) | instid1(VALU_DEP_1)
	v_dual_add_f32 v30, v26, v23 :: v_dual_add_f32 v27, v27, v28
	v_sub_f32_e32 v26, v26, v30
	s_waitcnt_depctr 0xfff
	v_mul_f32_e32 v31, v30, v25
	s_delay_alu instid0(VALU_DEP_1) | instskip(NEXT) | instid1(VALU_DEP_1)
	v_dual_add_f32 v23, v23, v26 :: v_dual_mul_f32 v32, v29, v31
	v_fma_f32 v28, v31, v29, -v32
	s_delay_alu instid0(VALU_DEP_1) | instskip(NEXT) | instid1(VALU_DEP_1)
	v_fmac_f32_e32 v28, v31, v27
	v_add_f32_e32 v33, v32, v28
	s_delay_alu instid0(VALU_DEP_1) | instskip(SKIP_1) | instid1(VALU_DEP_2)
	v_sub_f32_e32 v34, v30, v33
	v_sub_f32_e32 v26, v33, v32
	;; [unrolled: 1-line block ×3, first 2 shown]
	s_delay_alu instid0(VALU_DEP_2) | instskip(NEXT) | instid1(VALU_DEP_2)
	v_sub_f32_e32 v26, v26, v28
	v_sub_f32_e32 v30, v30, v33
	s_delay_alu instid0(VALU_DEP_1) | instskip(NEXT) | instid1(VALU_DEP_1)
	v_add_f32_e32 v23, v23, v30
	v_add_f32_e32 v23, v26, v23
	s_delay_alu instid0(VALU_DEP_1) | instskip(NEXT) | instid1(VALU_DEP_1)
	v_add_f32_e32 v26, v34, v23
	v_mul_f32_e32 v28, v25, v26
	s_delay_alu instid0(VALU_DEP_1) | instskip(NEXT) | instid1(VALU_DEP_1)
	v_dual_sub_f32 v33, v34, v26 :: v_dual_mul_f32 v30, v29, v28
	v_add_f32_e32 v23, v23, v33
	s_delay_alu instid0(VALU_DEP_2) | instskip(NEXT) | instid1(VALU_DEP_1)
	v_fma_f32 v29, v28, v29, -v30
	v_fmac_f32_e32 v29, v28, v27
	s_delay_alu instid0(VALU_DEP_1) | instskip(NEXT) | instid1(VALU_DEP_1)
	v_add_f32_e32 v27, v30, v29
	v_sub_f32_e32 v32, v26, v27
	v_sub_f32_e32 v30, v27, v30
	s_delay_alu instid0(VALU_DEP_2) | instskip(NEXT) | instid1(VALU_DEP_1)
	v_sub_f32_e32 v26, v26, v32
	v_sub_f32_e32 v26, v26, v27
	s_delay_alu instid0(VALU_DEP_3) | instskip(NEXT) | instid1(VALU_DEP_2)
	v_sub_f32_e32 v27, v30, v29
	v_add_f32_e32 v23, v23, v26
	v_add_f32_e32 v26, v31, v28
	s_delay_alu instid0(VALU_DEP_2) | instskip(NEXT) | instid1(VALU_DEP_2)
	v_add_f32_e32 v23, v27, v23
	v_sub_f32_e32 v27, v26, v31
	s_delay_alu instid0(VALU_DEP_2) | instskip(NEXT) | instid1(VALU_DEP_2)
	v_add_f32_e32 v23, v32, v23
	v_sub_f32_e32 v27, v28, v27
	s_delay_alu instid0(VALU_DEP_2) | instskip(NEXT) | instid1(VALU_DEP_1)
	v_mul_f32_e32 v23, v25, v23
	v_add_f32_e32 v23, v27, v23
	s_delay_alu instid0(VALU_DEP_1) | instskip(NEXT) | instid1(VALU_DEP_1)
	v_add_f32_e32 v25, v26, v23
	v_mul_f32_e32 v27, v25, v25
	s_delay_alu instid0(VALU_DEP_1) | instskip(SKIP_2) | instid1(VALU_DEP_3)
	v_fmaak_f32 v28, s1, v27, 0x3ecc95a3
	v_mul_f32_e32 v29, v25, v27
	v_cmp_eq_f32_e64 s1, 0x7f800000, v24
	v_fmaak_f32 v27, v27, v28, 0x3f2aaada
	v_ldexp_f32 v28, v25, 1
	v_sub_f32_e32 v25, v25, v26
	s_delay_alu instid0(VALU_DEP_4) | instskip(NEXT) | instid1(VALU_DEP_3)
	s_or_b32 s1, s1, s13
	v_mul_f32_e32 v27, v29, v27
	v_mul_f32_e32 v29, 0x3f317218, v22
	s_delay_alu instid0(VALU_DEP_2) | instskip(NEXT) | instid1(VALU_DEP_1)
	v_dual_sub_f32 v23, v23, v25 :: v_dual_add_f32 v26, v28, v27
	v_ldexp_f32 v23, v23, 1
	s_delay_alu instid0(VALU_DEP_2) | instskip(NEXT) | instid1(VALU_DEP_4)
	v_sub_f32_e32 v25, v26, v28
	v_fma_f32 v28, 0x3f317218, v22, -v29
	s_delay_alu instid0(VALU_DEP_1) | instskip(NEXT) | instid1(VALU_DEP_1)
	v_dual_sub_f32 v25, v27, v25 :: v_dual_fmamk_f32 v22, v22, 0xb102e308, v28
	v_add_f32_e32 v23, v23, v25
	s_delay_alu instid0(VALU_DEP_2) | instskip(NEXT) | instid1(VALU_DEP_2)
	v_add_f32_e32 v25, v29, v22
	v_add_f32_e32 v27, v26, v23
	s_delay_alu instid0(VALU_DEP_2) | instskip(NEXT) | instid1(VALU_DEP_2)
	v_sub_f32_e32 v29, v25, v29
	v_add_f32_e32 v28, v25, v27
	v_sub_f32_e32 v26, v27, v26
	s_delay_alu instid0(VALU_DEP_3) | instskip(NEXT) | instid1(VALU_DEP_2)
	v_sub_f32_e32 v22, v22, v29
	v_dual_sub_f32 v30, v28, v25 :: v_dual_sub_f32 v23, v23, v26
	s_delay_alu instid0(VALU_DEP_1) | instskip(NEXT) | instid1(VALU_DEP_2)
	v_sub_f32_e32 v31, v28, v30
	v_dual_sub_f32 v26, v27, v30 :: v_dual_add_f32 v27, v22, v23
	s_delay_alu instid0(VALU_DEP_2) | instskip(NEXT) | instid1(VALU_DEP_1)
	v_sub_f32_e32 v25, v25, v31
	v_dual_add_f32 v25, v26, v25 :: v_dual_sub_f32 v26, v27, v22
	s_delay_alu instid0(VALU_DEP_1) | instskip(NEXT) | instid1(VALU_DEP_2)
	v_add_f32_e32 v25, v27, v25
	v_sub_f32_e32 v27, v27, v26
	v_sub_f32_e32 v23, v23, v26
	s_delay_alu instid0(VALU_DEP_2) | instskip(NEXT) | instid1(VALU_DEP_1)
	v_dual_add_f32 v29, v28, v25 :: v_dual_sub_f32 v22, v22, v27
	v_sub_f32_e32 v26, v29, v28
	s_delay_alu instid0(VALU_DEP_2) | instskip(NEXT) | instid1(VALU_DEP_2)
	v_add_f32_e32 v22, v23, v22
	v_sub_f32_e32 v23, v25, v26
	s_delay_alu instid0(VALU_DEP_1) | instskip(NEXT) | instid1(VALU_DEP_1)
	v_add_f32_e32 v22, v22, v23
	v_add_f32_e32 v22, v29, v22
	s_delay_alu instid0(VALU_DEP_1) | instskip(NEXT) | instid1(VALU_DEP_1)
	v_cndmask_b32_e64 v22, v22, v24, s1
	v_add_f32_e32 v23, v6, v22
.LBB154_17:
	s_or_b32 exec_lo, exec_lo, s12
	ds_load_b32 v6, v20 offset:8
	v_max_f32_e32 v22, v23, v23
	v_cmp_u_f32_e64 s1, v23, v23
	s_waitcnt lgkmcnt(0)
	v_max_f32_e32 v24, v6, v6
	s_delay_alu instid0(VALU_DEP_1) | instskip(SKIP_1) | instid1(VALU_DEP_2)
	v_min_f32_e32 v25, v22, v24
	v_max_f32_e32 v22, v22, v24
	v_cndmask_b32_e64 v24, v25, v23, s1
	s_delay_alu instid0(VALU_DEP_2) | instskip(SKIP_1) | instid1(VALU_DEP_1)
	v_cndmask_b32_e64 v25, v22, v23, s1
	v_cmp_u_f32_e64 s1, v6, v6
	v_cndmask_b32_e64 v22, v24, v6, s1
	s_delay_alu instid0(VALU_DEP_3) | instskip(NEXT) | instid1(VALU_DEP_2)
	v_cndmask_b32_e64 v6, v25, v6, s1
	v_cmp_class_f32_e64 s12, v22, 0x1f8
	s_delay_alu instid0(VALU_DEP_2) | instskip(NEXT) | instid1(VALU_DEP_1)
	v_cmp_neq_f32_e64 s1, v22, v6
	s_or_b32 s1, s1, s12
	s_delay_alu instid0(SALU_CYCLE_1)
	s_and_saveexec_b32 s12, s1
	s_cbranch_execz .LBB154_19
; %bb.18:
	v_sub_f32_e32 v22, v22, v6
	s_delay_alu instid0(VALU_DEP_1) | instskip(NEXT) | instid1(VALU_DEP_1)
	v_mul_f32_e32 v23, 0x3fb8aa3b, v22
	v_fma_f32 v24, 0x3fb8aa3b, v22, -v23
	v_rndne_f32_e32 v25, v23
	s_delay_alu instid0(VALU_DEP_1) | instskip(SKIP_1) | instid1(VALU_DEP_2)
	v_dual_sub_f32 v23, v23, v25 :: v_dual_fmamk_f32 v24, v22, 0x32a5705f, v24
	v_cmp_ngt_f32_e64 s1, 0xc2ce8ed0, v22
	v_add_f32_e32 v23, v23, v24
	v_cvt_i32_f32_e32 v24, v25
	s_delay_alu instid0(VALU_DEP_2) | instskip(SKIP_2) | instid1(VALU_DEP_1)
	v_exp_f32_e32 v23, v23
	s_waitcnt_depctr 0xfff
	v_ldexp_f32 v23, v23, v24
	v_cndmask_b32_e64 v23, 0, v23, s1
	v_cmp_nlt_f32_e64 s1, 0x42b17218, v22
	s_delay_alu instid0(VALU_DEP_1) | instskip(NEXT) | instid1(VALU_DEP_1)
	v_cndmask_b32_e64 v24, 0x7f800000, v23, s1
	v_add_f32_e32 v25, 1.0, v24
	v_cmp_gt_f32_e64 s13, 0x33800000, |v24|
	s_delay_alu instid0(VALU_DEP_2) | instskip(NEXT) | instid1(VALU_DEP_1)
	v_cvt_f64_f32_e32 v[22:23], v25
	v_frexp_exp_i32_f64_e32 v22, v[22:23]
	v_frexp_mant_f32_e32 v23, v25
	s_delay_alu instid0(VALU_DEP_1) | instskip(SKIP_1) | instid1(VALU_DEP_1)
	v_cmp_gt_f32_e64 s1, 0x3f2aaaab, v23
	v_add_f32_e32 v23, -1.0, v25
	v_sub_f32_e32 v27, v23, v25
	v_sub_f32_e32 v23, v24, v23
	s_delay_alu instid0(VALU_DEP_4) | instskip(SKIP_1) | instid1(VALU_DEP_1)
	v_subrev_co_ci_u32_e64 v22, s1, 0, v22, s1
	s_mov_b32 s1, 0x3e9b6dac
	v_sub_nc_u32_e32 v26, 0, v22
	v_cvt_f32_i32_e32 v22, v22
	s_delay_alu instid0(VALU_DEP_2) | instskip(NEXT) | instid1(VALU_DEP_1)
	v_ldexp_f32 v25, v25, v26
	v_dual_add_f32 v28, 1.0, v25 :: v_dual_add_f32 v27, 1.0, v27
	s_delay_alu instid0(VALU_DEP_1) | instskip(NEXT) | instid1(VALU_DEP_2)
	v_add_f32_e32 v23, v23, v27
	v_add_f32_e32 v27, -1.0, v28
	s_delay_alu instid0(VALU_DEP_2) | instskip(NEXT) | instid1(VALU_DEP_2)
	v_ldexp_f32 v23, v23, v26
	v_dual_add_f32 v26, -1.0, v25 :: v_dual_sub_f32 v27, v25, v27
	s_delay_alu instid0(VALU_DEP_1) | instskip(NEXT) | instid1(VALU_DEP_2)
	v_add_f32_e32 v29, 1.0, v26
	v_add_f32_e32 v27, v23, v27
	s_delay_alu instid0(VALU_DEP_2) | instskip(NEXT) | instid1(VALU_DEP_2)
	v_sub_f32_e32 v25, v25, v29
	v_add_f32_e32 v29, v28, v27
	s_delay_alu instid0(VALU_DEP_2) | instskip(NEXT) | instid1(VALU_DEP_2)
	v_add_f32_e32 v23, v23, v25
	v_rcp_f32_e32 v25, v29
	v_sub_f32_e32 v28, v28, v29
	s_delay_alu instid0(VALU_DEP_1) | instskip(NEXT) | instid1(VALU_DEP_1)
	v_dual_add_f32 v30, v26, v23 :: v_dual_add_f32 v27, v27, v28
	v_sub_f32_e32 v26, v26, v30
	s_waitcnt_depctr 0xfff
	v_mul_f32_e32 v31, v30, v25
	s_delay_alu instid0(VALU_DEP_1) | instskip(NEXT) | instid1(VALU_DEP_1)
	v_dual_add_f32 v23, v23, v26 :: v_dual_mul_f32 v32, v29, v31
	v_fma_f32 v28, v31, v29, -v32
	s_delay_alu instid0(VALU_DEP_1) | instskip(NEXT) | instid1(VALU_DEP_1)
	v_fmac_f32_e32 v28, v31, v27
	v_add_f32_e32 v33, v32, v28
	s_delay_alu instid0(VALU_DEP_1) | instskip(SKIP_1) | instid1(VALU_DEP_2)
	v_sub_f32_e32 v34, v30, v33
	v_sub_f32_e32 v26, v33, v32
	;; [unrolled: 1-line block ×3, first 2 shown]
	s_delay_alu instid0(VALU_DEP_2) | instskip(NEXT) | instid1(VALU_DEP_2)
	v_sub_f32_e32 v26, v26, v28
	v_sub_f32_e32 v30, v30, v33
	s_delay_alu instid0(VALU_DEP_1) | instskip(NEXT) | instid1(VALU_DEP_1)
	v_add_f32_e32 v23, v23, v30
	v_add_f32_e32 v23, v26, v23
	s_delay_alu instid0(VALU_DEP_1) | instskip(NEXT) | instid1(VALU_DEP_1)
	v_add_f32_e32 v26, v34, v23
	v_mul_f32_e32 v28, v25, v26
	s_delay_alu instid0(VALU_DEP_1) | instskip(NEXT) | instid1(VALU_DEP_1)
	v_dual_sub_f32 v33, v34, v26 :: v_dual_mul_f32 v30, v29, v28
	v_add_f32_e32 v23, v23, v33
	s_delay_alu instid0(VALU_DEP_2) | instskip(NEXT) | instid1(VALU_DEP_1)
	v_fma_f32 v29, v28, v29, -v30
	v_fmac_f32_e32 v29, v28, v27
	s_delay_alu instid0(VALU_DEP_1) | instskip(NEXT) | instid1(VALU_DEP_1)
	v_add_f32_e32 v27, v30, v29
	v_sub_f32_e32 v32, v26, v27
	v_sub_f32_e32 v30, v27, v30
	s_delay_alu instid0(VALU_DEP_2) | instskip(NEXT) | instid1(VALU_DEP_1)
	v_sub_f32_e32 v26, v26, v32
	v_sub_f32_e32 v26, v26, v27
	s_delay_alu instid0(VALU_DEP_3) | instskip(NEXT) | instid1(VALU_DEP_2)
	v_sub_f32_e32 v27, v30, v29
	v_add_f32_e32 v23, v23, v26
	v_add_f32_e32 v26, v31, v28
	s_delay_alu instid0(VALU_DEP_2) | instskip(NEXT) | instid1(VALU_DEP_2)
	v_add_f32_e32 v23, v27, v23
	v_sub_f32_e32 v27, v26, v31
	s_delay_alu instid0(VALU_DEP_2) | instskip(NEXT) | instid1(VALU_DEP_2)
	v_add_f32_e32 v23, v32, v23
	v_sub_f32_e32 v27, v28, v27
	s_delay_alu instid0(VALU_DEP_2) | instskip(NEXT) | instid1(VALU_DEP_1)
	v_mul_f32_e32 v23, v25, v23
	v_add_f32_e32 v23, v27, v23
	s_delay_alu instid0(VALU_DEP_1) | instskip(NEXT) | instid1(VALU_DEP_1)
	v_add_f32_e32 v25, v26, v23
	v_mul_f32_e32 v27, v25, v25
	s_delay_alu instid0(VALU_DEP_1) | instskip(SKIP_2) | instid1(VALU_DEP_3)
	v_fmaak_f32 v28, s1, v27, 0x3ecc95a3
	v_mul_f32_e32 v29, v25, v27
	v_cmp_eq_f32_e64 s1, 0x7f800000, v24
	v_fmaak_f32 v27, v27, v28, 0x3f2aaada
	v_ldexp_f32 v28, v25, 1
	v_sub_f32_e32 v25, v25, v26
	s_delay_alu instid0(VALU_DEP_4) | instskip(NEXT) | instid1(VALU_DEP_3)
	s_or_b32 s1, s1, s13
	v_mul_f32_e32 v27, v29, v27
	v_mul_f32_e32 v29, 0x3f317218, v22
	s_delay_alu instid0(VALU_DEP_2) | instskip(NEXT) | instid1(VALU_DEP_1)
	v_dual_sub_f32 v23, v23, v25 :: v_dual_add_f32 v26, v28, v27
	v_ldexp_f32 v23, v23, 1
	s_delay_alu instid0(VALU_DEP_2) | instskip(NEXT) | instid1(VALU_DEP_4)
	v_sub_f32_e32 v25, v26, v28
	v_fma_f32 v28, 0x3f317218, v22, -v29
	s_delay_alu instid0(VALU_DEP_1) | instskip(NEXT) | instid1(VALU_DEP_1)
	v_dual_sub_f32 v25, v27, v25 :: v_dual_fmamk_f32 v22, v22, 0xb102e308, v28
	v_add_f32_e32 v23, v23, v25
	s_delay_alu instid0(VALU_DEP_2) | instskip(NEXT) | instid1(VALU_DEP_2)
	v_add_f32_e32 v25, v29, v22
	v_add_f32_e32 v27, v26, v23
	s_delay_alu instid0(VALU_DEP_2) | instskip(NEXT) | instid1(VALU_DEP_2)
	v_sub_f32_e32 v29, v25, v29
	v_add_f32_e32 v28, v25, v27
	v_sub_f32_e32 v26, v27, v26
	s_delay_alu instid0(VALU_DEP_3) | instskip(NEXT) | instid1(VALU_DEP_2)
	v_sub_f32_e32 v22, v22, v29
	v_dual_sub_f32 v30, v28, v25 :: v_dual_sub_f32 v23, v23, v26
	s_delay_alu instid0(VALU_DEP_1) | instskip(NEXT) | instid1(VALU_DEP_2)
	v_sub_f32_e32 v31, v28, v30
	v_dual_sub_f32 v26, v27, v30 :: v_dual_add_f32 v27, v22, v23
	s_delay_alu instid0(VALU_DEP_2) | instskip(NEXT) | instid1(VALU_DEP_1)
	v_sub_f32_e32 v25, v25, v31
	v_dual_add_f32 v25, v26, v25 :: v_dual_sub_f32 v26, v27, v22
	s_delay_alu instid0(VALU_DEP_1) | instskip(NEXT) | instid1(VALU_DEP_2)
	v_add_f32_e32 v25, v27, v25
	v_sub_f32_e32 v27, v27, v26
	v_sub_f32_e32 v23, v23, v26
	s_delay_alu instid0(VALU_DEP_2) | instskip(NEXT) | instid1(VALU_DEP_1)
	v_dual_add_f32 v29, v28, v25 :: v_dual_sub_f32 v22, v22, v27
	v_sub_f32_e32 v26, v29, v28
	s_delay_alu instid0(VALU_DEP_2) | instskip(NEXT) | instid1(VALU_DEP_2)
	v_add_f32_e32 v22, v23, v22
	v_sub_f32_e32 v23, v25, v26
	s_delay_alu instid0(VALU_DEP_1) | instskip(NEXT) | instid1(VALU_DEP_1)
	v_add_f32_e32 v22, v22, v23
	v_add_f32_e32 v22, v29, v22
	s_delay_alu instid0(VALU_DEP_1) | instskip(NEXT) | instid1(VALU_DEP_1)
	v_cndmask_b32_e64 v22, v22, v24, s1
	v_add_f32_e32 v23, v6, v22
.LBB154_19:
	s_or_b32 exec_lo, exec_lo, s12
	ds_load_b32 v6, v20 offset:12
	v_max_f32_e32 v22, v23, v23
	v_cmp_u_f32_e64 s1, v23, v23
	s_waitcnt lgkmcnt(0)
	v_max_f32_e32 v24, v6, v6
	s_delay_alu instid0(VALU_DEP_1) | instskip(SKIP_1) | instid1(VALU_DEP_2)
	v_min_f32_e32 v25, v22, v24
	v_max_f32_e32 v22, v22, v24
	v_cndmask_b32_e64 v24, v25, v23, s1
	s_delay_alu instid0(VALU_DEP_2) | instskip(SKIP_1) | instid1(VALU_DEP_1)
	v_cndmask_b32_e64 v25, v22, v23, s1
	v_cmp_u_f32_e64 s1, v6, v6
	v_cndmask_b32_e64 v22, v24, v6, s1
	s_delay_alu instid0(VALU_DEP_3) | instskip(NEXT) | instid1(VALU_DEP_2)
	v_cndmask_b32_e64 v6, v25, v6, s1
	v_cmp_class_f32_e64 s12, v22, 0x1f8
	s_delay_alu instid0(VALU_DEP_2) | instskip(NEXT) | instid1(VALU_DEP_1)
	v_cmp_neq_f32_e64 s1, v22, v6
	s_or_b32 s1, s1, s12
	s_delay_alu instid0(SALU_CYCLE_1)
	s_and_saveexec_b32 s12, s1
	s_cbranch_execz .LBB154_21
; %bb.20:
	v_sub_f32_e32 v22, v22, v6
	s_delay_alu instid0(VALU_DEP_1) | instskip(NEXT) | instid1(VALU_DEP_1)
	v_mul_f32_e32 v23, 0x3fb8aa3b, v22
	v_fma_f32 v24, 0x3fb8aa3b, v22, -v23
	v_rndne_f32_e32 v25, v23
	s_delay_alu instid0(VALU_DEP_1) | instskip(SKIP_1) | instid1(VALU_DEP_2)
	v_dual_sub_f32 v23, v23, v25 :: v_dual_fmamk_f32 v24, v22, 0x32a5705f, v24
	v_cmp_ngt_f32_e64 s1, 0xc2ce8ed0, v22
	v_add_f32_e32 v23, v23, v24
	v_cvt_i32_f32_e32 v24, v25
	s_delay_alu instid0(VALU_DEP_2) | instskip(SKIP_2) | instid1(VALU_DEP_1)
	v_exp_f32_e32 v23, v23
	s_waitcnt_depctr 0xfff
	v_ldexp_f32 v23, v23, v24
	v_cndmask_b32_e64 v23, 0, v23, s1
	v_cmp_nlt_f32_e64 s1, 0x42b17218, v22
	s_delay_alu instid0(VALU_DEP_1) | instskip(NEXT) | instid1(VALU_DEP_1)
	v_cndmask_b32_e64 v24, 0x7f800000, v23, s1
	v_add_f32_e32 v25, 1.0, v24
	v_cmp_gt_f32_e64 s13, 0x33800000, |v24|
	s_delay_alu instid0(VALU_DEP_2) | instskip(NEXT) | instid1(VALU_DEP_1)
	v_cvt_f64_f32_e32 v[22:23], v25
	v_frexp_exp_i32_f64_e32 v22, v[22:23]
	v_frexp_mant_f32_e32 v23, v25
	s_delay_alu instid0(VALU_DEP_1) | instskip(SKIP_1) | instid1(VALU_DEP_1)
	v_cmp_gt_f32_e64 s1, 0x3f2aaaab, v23
	v_add_f32_e32 v23, -1.0, v25
	v_sub_f32_e32 v27, v23, v25
	v_sub_f32_e32 v23, v24, v23
	s_delay_alu instid0(VALU_DEP_4) | instskip(SKIP_1) | instid1(VALU_DEP_1)
	v_subrev_co_ci_u32_e64 v22, s1, 0, v22, s1
	s_mov_b32 s1, 0x3e9b6dac
	v_sub_nc_u32_e32 v26, 0, v22
	v_cvt_f32_i32_e32 v22, v22
	s_delay_alu instid0(VALU_DEP_2) | instskip(NEXT) | instid1(VALU_DEP_1)
	v_ldexp_f32 v25, v25, v26
	v_dual_add_f32 v28, 1.0, v25 :: v_dual_add_f32 v27, 1.0, v27
	s_delay_alu instid0(VALU_DEP_1) | instskip(NEXT) | instid1(VALU_DEP_2)
	v_add_f32_e32 v23, v23, v27
	v_add_f32_e32 v27, -1.0, v28
	s_delay_alu instid0(VALU_DEP_2) | instskip(NEXT) | instid1(VALU_DEP_2)
	v_ldexp_f32 v23, v23, v26
	v_dual_add_f32 v26, -1.0, v25 :: v_dual_sub_f32 v27, v25, v27
	s_delay_alu instid0(VALU_DEP_1) | instskip(NEXT) | instid1(VALU_DEP_2)
	v_add_f32_e32 v29, 1.0, v26
	v_add_f32_e32 v27, v23, v27
	s_delay_alu instid0(VALU_DEP_2) | instskip(NEXT) | instid1(VALU_DEP_2)
	v_sub_f32_e32 v25, v25, v29
	v_add_f32_e32 v29, v28, v27
	s_delay_alu instid0(VALU_DEP_2) | instskip(NEXT) | instid1(VALU_DEP_2)
	v_add_f32_e32 v23, v23, v25
	v_rcp_f32_e32 v25, v29
	v_sub_f32_e32 v28, v28, v29
	s_delay_alu instid0(VALU_DEP_1) | instskip(NEXT) | instid1(VALU_DEP_1)
	v_dual_add_f32 v30, v26, v23 :: v_dual_add_f32 v27, v27, v28
	v_sub_f32_e32 v26, v26, v30
	s_waitcnt_depctr 0xfff
	v_mul_f32_e32 v31, v30, v25
	s_delay_alu instid0(VALU_DEP_1) | instskip(NEXT) | instid1(VALU_DEP_1)
	v_dual_add_f32 v23, v23, v26 :: v_dual_mul_f32 v32, v29, v31
	v_fma_f32 v28, v31, v29, -v32
	s_delay_alu instid0(VALU_DEP_1) | instskip(NEXT) | instid1(VALU_DEP_1)
	v_fmac_f32_e32 v28, v31, v27
	v_add_f32_e32 v33, v32, v28
	s_delay_alu instid0(VALU_DEP_1) | instskip(SKIP_1) | instid1(VALU_DEP_2)
	v_sub_f32_e32 v34, v30, v33
	v_sub_f32_e32 v26, v33, v32
	v_sub_f32_e32 v30, v30, v34
	s_delay_alu instid0(VALU_DEP_2) | instskip(NEXT) | instid1(VALU_DEP_2)
	v_sub_f32_e32 v26, v26, v28
	v_sub_f32_e32 v30, v30, v33
	s_delay_alu instid0(VALU_DEP_1) | instskip(NEXT) | instid1(VALU_DEP_1)
	v_add_f32_e32 v23, v23, v30
	v_add_f32_e32 v23, v26, v23
	s_delay_alu instid0(VALU_DEP_1) | instskip(NEXT) | instid1(VALU_DEP_1)
	v_add_f32_e32 v26, v34, v23
	v_mul_f32_e32 v28, v25, v26
	s_delay_alu instid0(VALU_DEP_1) | instskip(NEXT) | instid1(VALU_DEP_1)
	v_dual_sub_f32 v33, v34, v26 :: v_dual_mul_f32 v30, v29, v28
	v_add_f32_e32 v23, v23, v33
	s_delay_alu instid0(VALU_DEP_2) | instskip(NEXT) | instid1(VALU_DEP_1)
	v_fma_f32 v29, v28, v29, -v30
	v_fmac_f32_e32 v29, v28, v27
	s_delay_alu instid0(VALU_DEP_1) | instskip(NEXT) | instid1(VALU_DEP_1)
	v_add_f32_e32 v27, v30, v29
	v_sub_f32_e32 v32, v26, v27
	v_sub_f32_e32 v30, v27, v30
	s_delay_alu instid0(VALU_DEP_2) | instskip(NEXT) | instid1(VALU_DEP_1)
	v_sub_f32_e32 v26, v26, v32
	v_sub_f32_e32 v26, v26, v27
	s_delay_alu instid0(VALU_DEP_3) | instskip(NEXT) | instid1(VALU_DEP_2)
	v_sub_f32_e32 v27, v30, v29
	v_add_f32_e32 v23, v23, v26
	v_add_f32_e32 v26, v31, v28
	s_delay_alu instid0(VALU_DEP_2) | instskip(NEXT) | instid1(VALU_DEP_2)
	v_add_f32_e32 v23, v27, v23
	v_sub_f32_e32 v27, v26, v31
	s_delay_alu instid0(VALU_DEP_2) | instskip(NEXT) | instid1(VALU_DEP_2)
	v_add_f32_e32 v23, v32, v23
	v_sub_f32_e32 v27, v28, v27
	s_delay_alu instid0(VALU_DEP_2) | instskip(NEXT) | instid1(VALU_DEP_1)
	v_mul_f32_e32 v23, v25, v23
	v_add_f32_e32 v23, v27, v23
	s_delay_alu instid0(VALU_DEP_1) | instskip(NEXT) | instid1(VALU_DEP_1)
	v_add_f32_e32 v25, v26, v23
	v_mul_f32_e32 v27, v25, v25
	s_delay_alu instid0(VALU_DEP_1) | instskip(SKIP_2) | instid1(VALU_DEP_3)
	v_fmaak_f32 v28, s1, v27, 0x3ecc95a3
	v_mul_f32_e32 v29, v25, v27
	v_cmp_eq_f32_e64 s1, 0x7f800000, v24
	v_fmaak_f32 v27, v27, v28, 0x3f2aaada
	v_ldexp_f32 v28, v25, 1
	v_sub_f32_e32 v25, v25, v26
	s_delay_alu instid0(VALU_DEP_4) | instskip(NEXT) | instid1(VALU_DEP_3)
	s_or_b32 s1, s1, s13
	v_mul_f32_e32 v27, v29, v27
	v_mul_f32_e32 v29, 0x3f317218, v22
	s_delay_alu instid0(VALU_DEP_2) | instskip(NEXT) | instid1(VALU_DEP_1)
	v_dual_sub_f32 v23, v23, v25 :: v_dual_add_f32 v26, v28, v27
	v_ldexp_f32 v23, v23, 1
	s_delay_alu instid0(VALU_DEP_2) | instskip(NEXT) | instid1(VALU_DEP_4)
	v_sub_f32_e32 v25, v26, v28
	v_fma_f32 v28, 0x3f317218, v22, -v29
	s_delay_alu instid0(VALU_DEP_1) | instskip(NEXT) | instid1(VALU_DEP_1)
	v_dual_sub_f32 v25, v27, v25 :: v_dual_fmamk_f32 v22, v22, 0xb102e308, v28
	v_add_f32_e32 v23, v23, v25
	s_delay_alu instid0(VALU_DEP_2) | instskip(NEXT) | instid1(VALU_DEP_2)
	v_add_f32_e32 v25, v29, v22
	v_add_f32_e32 v27, v26, v23
	s_delay_alu instid0(VALU_DEP_2) | instskip(NEXT) | instid1(VALU_DEP_2)
	v_sub_f32_e32 v29, v25, v29
	v_add_f32_e32 v28, v25, v27
	v_sub_f32_e32 v26, v27, v26
	s_delay_alu instid0(VALU_DEP_3) | instskip(NEXT) | instid1(VALU_DEP_2)
	v_sub_f32_e32 v22, v22, v29
	v_dual_sub_f32 v30, v28, v25 :: v_dual_sub_f32 v23, v23, v26
	s_delay_alu instid0(VALU_DEP_1) | instskip(NEXT) | instid1(VALU_DEP_2)
	v_sub_f32_e32 v31, v28, v30
	v_dual_sub_f32 v26, v27, v30 :: v_dual_add_f32 v27, v22, v23
	s_delay_alu instid0(VALU_DEP_2) | instskip(NEXT) | instid1(VALU_DEP_1)
	v_sub_f32_e32 v25, v25, v31
	v_dual_add_f32 v25, v26, v25 :: v_dual_sub_f32 v26, v27, v22
	s_delay_alu instid0(VALU_DEP_1) | instskip(NEXT) | instid1(VALU_DEP_2)
	v_add_f32_e32 v25, v27, v25
	v_sub_f32_e32 v27, v27, v26
	v_sub_f32_e32 v23, v23, v26
	s_delay_alu instid0(VALU_DEP_2) | instskip(NEXT) | instid1(VALU_DEP_1)
	v_dual_add_f32 v29, v28, v25 :: v_dual_sub_f32 v22, v22, v27
	v_sub_f32_e32 v26, v29, v28
	s_delay_alu instid0(VALU_DEP_2) | instskip(NEXT) | instid1(VALU_DEP_2)
	v_add_f32_e32 v22, v23, v22
	v_sub_f32_e32 v23, v25, v26
	s_delay_alu instid0(VALU_DEP_1) | instskip(NEXT) | instid1(VALU_DEP_1)
	v_add_f32_e32 v22, v22, v23
	v_add_f32_e32 v22, v29, v22
	s_delay_alu instid0(VALU_DEP_1) | instskip(NEXT) | instid1(VALU_DEP_1)
	v_cndmask_b32_e64 v22, v22, v24, s1
	v_add_f32_e32 v23, v6, v22
.LBB154_21:
	s_or_b32 exec_lo, exec_lo, s12
	ds_load_b32 v6, v20 offset:16
	v_max_f32_e32 v22, v23, v23
	v_cmp_u_f32_e64 s1, v23, v23
	s_waitcnt lgkmcnt(0)
	v_max_f32_e32 v24, v6, v6
	s_delay_alu instid0(VALU_DEP_1) | instskip(SKIP_1) | instid1(VALU_DEP_2)
	v_min_f32_e32 v25, v22, v24
	v_max_f32_e32 v22, v22, v24
	v_cndmask_b32_e64 v24, v25, v23, s1
	s_delay_alu instid0(VALU_DEP_2) | instskip(SKIP_1) | instid1(VALU_DEP_1)
	v_cndmask_b32_e64 v25, v22, v23, s1
	v_cmp_u_f32_e64 s1, v6, v6
	v_cndmask_b32_e64 v22, v24, v6, s1
	s_delay_alu instid0(VALU_DEP_3) | instskip(NEXT) | instid1(VALU_DEP_2)
	v_cndmask_b32_e64 v6, v25, v6, s1
	v_cmp_class_f32_e64 s12, v22, 0x1f8
	s_delay_alu instid0(VALU_DEP_2) | instskip(NEXT) | instid1(VALU_DEP_1)
	v_cmp_neq_f32_e64 s1, v22, v6
	s_or_b32 s1, s1, s12
	s_delay_alu instid0(SALU_CYCLE_1)
	s_and_saveexec_b32 s12, s1
	s_cbranch_execz .LBB154_23
; %bb.22:
	v_sub_f32_e32 v22, v22, v6
	s_delay_alu instid0(VALU_DEP_1) | instskip(NEXT) | instid1(VALU_DEP_1)
	v_mul_f32_e32 v23, 0x3fb8aa3b, v22
	v_fma_f32 v24, 0x3fb8aa3b, v22, -v23
	v_rndne_f32_e32 v25, v23
	s_delay_alu instid0(VALU_DEP_1) | instskip(SKIP_1) | instid1(VALU_DEP_2)
	v_dual_sub_f32 v23, v23, v25 :: v_dual_fmamk_f32 v24, v22, 0x32a5705f, v24
	v_cmp_ngt_f32_e64 s1, 0xc2ce8ed0, v22
	v_add_f32_e32 v23, v23, v24
	v_cvt_i32_f32_e32 v24, v25
	s_delay_alu instid0(VALU_DEP_2) | instskip(SKIP_2) | instid1(VALU_DEP_1)
	v_exp_f32_e32 v23, v23
	s_waitcnt_depctr 0xfff
	v_ldexp_f32 v23, v23, v24
	v_cndmask_b32_e64 v23, 0, v23, s1
	v_cmp_nlt_f32_e64 s1, 0x42b17218, v22
	s_delay_alu instid0(VALU_DEP_1) | instskip(NEXT) | instid1(VALU_DEP_1)
	v_cndmask_b32_e64 v24, 0x7f800000, v23, s1
	v_add_f32_e32 v25, 1.0, v24
	v_cmp_gt_f32_e64 s13, 0x33800000, |v24|
	s_delay_alu instid0(VALU_DEP_2) | instskip(NEXT) | instid1(VALU_DEP_1)
	v_cvt_f64_f32_e32 v[22:23], v25
	v_frexp_exp_i32_f64_e32 v22, v[22:23]
	v_frexp_mant_f32_e32 v23, v25
	s_delay_alu instid0(VALU_DEP_1) | instskip(SKIP_1) | instid1(VALU_DEP_1)
	v_cmp_gt_f32_e64 s1, 0x3f2aaaab, v23
	v_add_f32_e32 v23, -1.0, v25
	v_sub_f32_e32 v27, v23, v25
	v_sub_f32_e32 v23, v24, v23
	s_delay_alu instid0(VALU_DEP_4) | instskip(SKIP_1) | instid1(VALU_DEP_1)
	v_subrev_co_ci_u32_e64 v22, s1, 0, v22, s1
	s_mov_b32 s1, 0x3e9b6dac
	v_sub_nc_u32_e32 v26, 0, v22
	v_cvt_f32_i32_e32 v22, v22
	s_delay_alu instid0(VALU_DEP_2) | instskip(NEXT) | instid1(VALU_DEP_1)
	v_ldexp_f32 v25, v25, v26
	v_dual_add_f32 v28, 1.0, v25 :: v_dual_add_f32 v27, 1.0, v27
	s_delay_alu instid0(VALU_DEP_1) | instskip(NEXT) | instid1(VALU_DEP_2)
	v_add_f32_e32 v23, v23, v27
	v_add_f32_e32 v27, -1.0, v28
	s_delay_alu instid0(VALU_DEP_2) | instskip(NEXT) | instid1(VALU_DEP_2)
	v_ldexp_f32 v23, v23, v26
	v_dual_add_f32 v26, -1.0, v25 :: v_dual_sub_f32 v27, v25, v27
	s_delay_alu instid0(VALU_DEP_1) | instskip(NEXT) | instid1(VALU_DEP_2)
	v_add_f32_e32 v29, 1.0, v26
	v_add_f32_e32 v27, v23, v27
	s_delay_alu instid0(VALU_DEP_2) | instskip(NEXT) | instid1(VALU_DEP_2)
	v_sub_f32_e32 v25, v25, v29
	v_add_f32_e32 v29, v28, v27
	s_delay_alu instid0(VALU_DEP_2) | instskip(NEXT) | instid1(VALU_DEP_2)
	v_add_f32_e32 v23, v23, v25
	v_rcp_f32_e32 v25, v29
	v_sub_f32_e32 v28, v28, v29
	s_delay_alu instid0(VALU_DEP_1) | instskip(NEXT) | instid1(VALU_DEP_1)
	v_dual_add_f32 v30, v26, v23 :: v_dual_add_f32 v27, v27, v28
	v_sub_f32_e32 v26, v26, v30
	s_waitcnt_depctr 0xfff
	v_mul_f32_e32 v31, v30, v25
	s_delay_alu instid0(VALU_DEP_1) | instskip(NEXT) | instid1(VALU_DEP_1)
	v_dual_add_f32 v23, v23, v26 :: v_dual_mul_f32 v32, v29, v31
	v_fma_f32 v28, v31, v29, -v32
	s_delay_alu instid0(VALU_DEP_1) | instskip(NEXT) | instid1(VALU_DEP_1)
	v_fmac_f32_e32 v28, v31, v27
	v_add_f32_e32 v33, v32, v28
	s_delay_alu instid0(VALU_DEP_1) | instskip(SKIP_1) | instid1(VALU_DEP_2)
	v_sub_f32_e32 v34, v30, v33
	v_sub_f32_e32 v26, v33, v32
	;; [unrolled: 1-line block ×3, first 2 shown]
	s_delay_alu instid0(VALU_DEP_2) | instskip(NEXT) | instid1(VALU_DEP_2)
	v_sub_f32_e32 v26, v26, v28
	v_sub_f32_e32 v30, v30, v33
	s_delay_alu instid0(VALU_DEP_1) | instskip(NEXT) | instid1(VALU_DEP_1)
	v_add_f32_e32 v23, v23, v30
	v_add_f32_e32 v23, v26, v23
	s_delay_alu instid0(VALU_DEP_1) | instskip(NEXT) | instid1(VALU_DEP_1)
	v_add_f32_e32 v26, v34, v23
	v_mul_f32_e32 v28, v25, v26
	s_delay_alu instid0(VALU_DEP_1) | instskip(NEXT) | instid1(VALU_DEP_1)
	v_dual_sub_f32 v33, v34, v26 :: v_dual_mul_f32 v30, v29, v28
	v_add_f32_e32 v23, v23, v33
	s_delay_alu instid0(VALU_DEP_2) | instskip(NEXT) | instid1(VALU_DEP_1)
	v_fma_f32 v29, v28, v29, -v30
	v_fmac_f32_e32 v29, v28, v27
	s_delay_alu instid0(VALU_DEP_1) | instskip(NEXT) | instid1(VALU_DEP_1)
	v_add_f32_e32 v27, v30, v29
	v_sub_f32_e32 v32, v26, v27
	v_sub_f32_e32 v30, v27, v30
	s_delay_alu instid0(VALU_DEP_2) | instskip(NEXT) | instid1(VALU_DEP_1)
	v_sub_f32_e32 v26, v26, v32
	v_sub_f32_e32 v26, v26, v27
	s_delay_alu instid0(VALU_DEP_3) | instskip(NEXT) | instid1(VALU_DEP_2)
	v_sub_f32_e32 v27, v30, v29
	v_add_f32_e32 v23, v23, v26
	v_add_f32_e32 v26, v31, v28
	s_delay_alu instid0(VALU_DEP_2) | instskip(NEXT) | instid1(VALU_DEP_2)
	v_add_f32_e32 v23, v27, v23
	v_sub_f32_e32 v27, v26, v31
	s_delay_alu instid0(VALU_DEP_2) | instskip(NEXT) | instid1(VALU_DEP_2)
	v_add_f32_e32 v23, v32, v23
	v_sub_f32_e32 v27, v28, v27
	s_delay_alu instid0(VALU_DEP_2) | instskip(NEXT) | instid1(VALU_DEP_1)
	v_mul_f32_e32 v23, v25, v23
	v_add_f32_e32 v23, v27, v23
	s_delay_alu instid0(VALU_DEP_1) | instskip(NEXT) | instid1(VALU_DEP_1)
	v_add_f32_e32 v25, v26, v23
	v_mul_f32_e32 v27, v25, v25
	s_delay_alu instid0(VALU_DEP_1) | instskip(SKIP_2) | instid1(VALU_DEP_3)
	v_fmaak_f32 v28, s1, v27, 0x3ecc95a3
	v_mul_f32_e32 v29, v25, v27
	v_cmp_eq_f32_e64 s1, 0x7f800000, v24
	v_fmaak_f32 v27, v27, v28, 0x3f2aaada
	v_ldexp_f32 v28, v25, 1
	v_sub_f32_e32 v25, v25, v26
	s_delay_alu instid0(VALU_DEP_4) | instskip(NEXT) | instid1(VALU_DEP_3)
	s_or_b32 s1, s1, s13
	v_mul_f32_e32 v27, v29, v27
	v_mul_f32_e32 v29, 0x3f317218, v22
	s_delay_alu instid0(VALU_DEP_2) | instskip(NEXT) | instid1(VALU_DEP_1)
	v_dual_sub_f32 v23, v23, v25 :: v_dual_add_f32 v26, v28, v27
	v_ldexp_f32 v23, v23, 1
	s_delay_alu instid0(VALU_DEP_2) | instskip(NEXT) | instid1(VALU_DEP_4)
	v_sub_f32_e32 v25, v26, v28
	v_fma_f32 v28, 0x3f317218, v22, -v29
	s_delay_alu instid0(VALU_DEP_1) | instskip(NEXT) | instid1(VALU_DEP_1)
	v_dual_sub_f32 v25, v27, v25 :: v_dual_fmamk_f32 v22, v22, 0xb102e308, v28
	v_add_f32_e32 v23, v23, v25
	s_delay_alu instid0(VALU_DEP_2) | instskip(NEXT) | instid1(VALU_DEP_2)
	v_add_f32_e32 v25, v29, v22
	v_add_f32_e32 v27, v26, v23
	s_delay_alu instid0(VALU_DEP_2) | instskip(NEXT) | instid1(VALU_DEP_2)
	v_sub_f32_e32 v29, v25, v29
	v_add_f32_e32 v28, v25, v27
	v_sub_f32_e32 v26, v27, v26
	s_delay_alu instid0(VALU_DEP_3) | instskip(NEXT) | instid1(VALU_DEP_2)
	v_sub_f32_e32 v22, v22, v29
	v_dual_sub_f32 v30, v28, v25 :: v_dual_sub_f32 v23, v23, v26
	s_delay_alu instid0(VALU_DEP_1) | instskip(NEXT) | instid1(VALU_DEP_2)
	v_sub_f32_e32 v31, v28, v30
	v_dual_sub_f32 v26, v27, v30 :: v_dual_add_f32 v27, v22, v23
	s_delay_alu instid0(VALU_DEP_2) | instskip(NEXT) | instid1(VALU_DEP_1)
	v_sub_f32_e32 v25, v25, v31
	v_dual_add_f32 v25, v26, v25 :: v_dual_sub_f32 v26, v27, v22
	s_delay_alu instid0(VALU_DEP_1) | instskip(NEXT) | instid1(VALU_DEP_2)
	v_add_f32_e32 v25, v27, v25
	v_sub_f32_e32 v27, v27, v26
	v_sub_f32_e32 v23, v23, v26
	s_delay_alu instid0(VALU_DEP_2) | instskip(NEXT) | instid1(VALU_DEP_1)
	v_dual_add_f32 v29, v28, v25 :: v_dual_sub_f32 v22, v22, v27
	v_sub_f32_e32 v26, v29, v28
	s_delay_alu instid0(VALU_DEP_2) | instskip(NEXT) | instid1(VALU_DEP_2)
	v_add_f32_e32 v22, v23, v22
	v_sub_f32_e32 v23, v25, v26
	s_delay_alu instid0(VALU_DEP_1) | instskip(NEXT) | instid1(VALU_DEP_1)
	v_add_f32_e32 v22, v22, v23
	v_add_f32_e32 v22, v29, v22
	s_delay_alu instid0(VALU_DEP_1) | instskip(NEXT) | instid1(VALU_DEP_1)
	v_cndmask_b32_e64 v22, v22, v24, s1
	v_add_f32_e32 v23, v6, v22
.LBB154_23:
	s_or_b32 exec_lo, exec_lo, s12
	ds_load_b32 v6, v20 offset:20
	v_max_f32_e32 v22, v23, v23
	v_cmp_u_f32_e64 s1, v23, v23
	s_waitcnt lgkmcnt(0)
	v_max_f32_e32 v24, v6, v6
	s_delay_alu instid0(VALU_DEP_1) | instskip(SKIP_1) | instid1(VALU_DEP_2)
	v_min_f32_e32 v25, v22, v24
	v_max_f32_e32 v22, v22, v24
	v_cndmask_b32_e64 v24, v25, v23, s1
	s_delay_alu instid0(VALU_DEP_2) | instskip(SKIP_1) | instid1(VALU_DEP_1)
	v_cndmask_b32_e64 v25, v22, v23, s1
	v_cmp_u_f32_e64 s1, v6, v6
	v_cndmask_b32_e64 v22, v24, v6, s1
	s_delay_alu instid0(VALU_DEP_3) | instskip(NEXT) | instid1(VALU_DEP_2)
	v_cndmask_b32_e64 v6, v25, v6, s1
	v_cmp_class_f32_e64 s12, v22, 0x1f8
	s_delay_alu instid0(VALU_DEP_2) | instskip(NEXT) | instid1(VALU_DEP_1)
	v_cmp_neq_f32_e64 s1, v22, v6
	s_or_b32 s1, s1, s12
	s_delay_alu instid0(SALU_CYCLE_1)
	s_and_saveexec_b32 s12, s1
	s_cbranch_execz .LBB154_25
; %bb.24:
	v_sub_f32_e32 v22, v22, v6
	s_delay_alu instid0(VALU_DEP_1) | instskip(NEXT) | instid1(VALU_DEP_1)
	v_mul_f32_e32 v23, 0x3fb8aa3b, v22
	v_fma_f32 v24, 0x3fb8aa3b, v22, -v23
	v_rndne_f32_e32 v25, v23
	s_delay_alu instid0(VALU_DEP_1) | instskip(SKIP_1) | instid1(VALU_DEP_2)
	v_dual_sub_f32 v23, v23, v25 :: v_dual_fmamk_f32 v24, v22, 0x32a5705f, v24
	v_cmp_ngt_f32_e64 s1, 0xc2ce8ed0, v22
	v_add_f32_e32 v23, v23, v24
	v_cvt_i32_f32_e32 v24, v25
	s_delay_alu instid0(VALU_DEP_2) | instskip(SKIP_2) | instid1(VALU_DEP_1)
	v_exp_f32_e32 v23, v23
	s_waitcnt_depctr 0xfff
	v_ldexp_f32 v23, v23, v24
	v_cndmask_b32_e64 v23, 0, v23, s1
	v_cmp_nlt_f32_e64 s1, 0x42b17218, v22
	s_delay_alu instid0(VALU_DEP_1) | instskip(NEXT) | instid1(VALU_DEP_1)
	v_cndmask_b32_e64 v24, 0x7f800000, v23, s1
	v_add_f32_e32 v25, 1.0, v24
	v_cmp_gt_f32_e64 s13, 0x33800000, |v24|
	s_delay_alu instid0(VALU_DEP_2) | instskip(NEXT) | instid1(VALU_DEP_1)
	v_cvt_f64_f32_e32 v[22:23], v25
	v_frexp_exp_i32_f64_e32 v22, v[22:23]
	v_frexp_mant_f32_e32 v23, v25
	s_delay_alu instid0(VALU_DEP_1) | instskip(SKIP_1) | instid1(VALU_DEP_1)
	v_cmp_gt_f32_e64 s1, 0x3f2aaaab, v23
	v_add_f32_e32 v23, -1.0, v25
	v_sub_f32_e32 v27, v23, v25
	v_sub_f32_e32 v23, v24, v23
	s_delay_alu instid0(VALU_DEP_4) | instskip(SKIP_1) | instid1(VALU_DEP_1)
	v_subrev_co_ci_u32_e64 v22, s1, 0, v22, s1
	s_mov_b32 s1, 0x3e9b6dac
	v_sub_nc_u32_e32 v26, 0, v22
	v_cvt_f32_i32_e32 v22, v22
	s_delay_alu instid0(VALU_DEP_2) | instskip(NEXT) | instid1(VALU_DEP_1)
	v_ldexp_f32 v25, v25, v26
	v_dual_add_f32 v28, 1.0, v25 :: v_dual_add_f32 v27, 1.0, v27
	s_delay_alu instid0(VALU_DEP_1) | instskip(NEXT) | instid1(VALU_DEP_2)
	v_add_f32_e32 v23, v23, v27
	v_add_f32_e32 v27, -1.0, v28
	s_delay_alu instid0(VALU_DEP_2) | instskip(NEXT) | instid1(VALU_DEP_2)
	v_ldexp_f32 v23, v23, v26
	v_dual_add_f32 v26, -1.0, v25 :: v_dual_sub_f32 v27, v25, v27
	s_delay_alu instid0(VALU_DEP_1) | instskip(NEXT) | instid1(VALU_DEP_2)
	v_add_f32_e32 v29, 1.0, v26
	v_add_f32_e32 v27, v23, v27
	s_delay_alu instid0(VALU_DEP_2) | instskip(NEXT) | instid1(VALU_DEP_2)
	v_sub_f32_e32 v25, v25, v29
	v_add_f32_e32 v29, v28, v27
	s_delay_alu instid0(VALU_DEP_2) | instskip(NEXT) | instid1(VALU_DEP_2)
	v_add_f32_e32 v23, v23, v25
	v_rcp_f32_e32 v25, v29
	v_sub_f32_e32 v28, v28, v29
	s_delay_alu instid0(VALU_DEP_1) | instskip(NEXT) | instid1(VALU_DEP_1)
	v_dual_add_f32 v30, v26, v23 :: v_dual_add_f32 v27, v27, v28
	v_sub_f32_e32 v26, v26, v30
	s_waitcnt_depctr 0xfff
	v_mul_f32_e32 v31, v30, v25
	s_delay_alu instid0(VALU_DEP_1) | instskip(NEXT) | instid1(VALU_DEP_1)
	v_dual_add_f32 v23, v23, v26 :: v_dual_mul_f32 v32, v29, v31
	v_fma_f32 v28, v31, v29, -v32
	s_delay_alu instid0(VALU_DEP_1) | instskip(NEXT) | instid1(VALU_DEP_1)
	v_fmac_f32_e32 v28, v31, v27
	v_add_f32_e32 v33, v32, v28
	s_delay_alu instid0(VALU_DEP_1) | instskip(SKIP_1) | instid1(VALU_DEP_2)
	v_sub_f32_e32 v34, v30, v33
	v_sub_f32_e32 v26, v33, v32
	;; [unrolled: 1-line block ×3, first 2 shown]
	s_delay_alu instid0(VALU_DEP_2) | instskip(NEXT) | instid1(VALU_DEP_2)
	v_sub_f32_e32 v26, v26, v28
	v_sub_f32_e32 v30, v30, v33
	s_delay_alu instid0(VALU_DEP_1) | instskip(NEXT) | instid1(VALU_DEP_1)
	v_add_f32_e32 v23, v23, v30
	v_add_f32_e32 v23, v26, v23
	s_delay_alu instid0(VALU_DEP_1) | instskip(NEXT) | instid1(VALU_DEP_1)
	v_add_f32_e32 v26, v34, v23
	v_mul_f32_e32 v28, v25, v26
	s_delay_alu instid0(VALU_DEP_1) | instskip(NEXT) | instid1(VALU_DEP_1)
	v_dual_sub_f32 v33, v34, v26 :: v_dual_mul_f32 v30, v29, v28
	v_add_f32_e32 v23, v23, v33
	s_delay_alu instid0(VALU_DEP_2) | instskip(NEXT) | instid1(VALU_DEP_1)
	v_fma_f32 v29, v28, v29, -v30
	v_fmac_f32_e32 v29, v28, v27
	s_delay_alu instid0(VALU_DEP_1) | instskip(NEXT) | instid1(VALU_DEP_1)
	v_add_f32_e32 v27, v30, v29
	v_sub_f32_e32 v32, v26, v27
	v_sub_f32_e32 v30, v27, v30
	s_delay_alu instid0(VALU_DEP_2) | instskip(NEXT) | instid1(VALU_DEP_1)
	v_sub_f32_e32 v26, v26, v32
	v_sub_f32_e32 v26, v26, v27
	s_delay_alu instid0(VALU_DEP_3) | instskip(NEXT) | instid1(VALU_DEP_2)
	v_sub_f32_e32 v27, v30, v29
	v_add_f32_e32 v23, v23, v26
	v_add_f32_e32 v26, v31, v28
	s_delay_alu instid0(VALU_DEP_2) | instskip(NEXT) | instid1(VALU_DEP_2)
	v_add_f32_e32 v23, v27, v23
	v_sub_f32_e32 v27, v26, v31
	s_delay_alu instid0(VALU_DEP_2) | instskip(NEXT) | instid1(VALU_DEP_2)
	v_add_f32_e32 v23, v32, v23
	v_sub_f32_e32 v27, v28, v27
	s_delay_alu instid0(VALU_DEP_2) | instskip(NEXT) | instid1(VALU_DEP_1)
	v_mul_f32_e32 v23, v25, v23
	v_add_f32_e32 v23, v27, v23
	s_delay_alu instid0(VALU_DEP_1) | instskip(NEXT) | instid1(VALU_DEP_1)
	v_add_f32_e32 v25, v26, v23
	v_mul_f32_e32 v27, v25, v25
	s_delay_alu instid0(VALU_DEP_1) | instskip(SKIP_2) | instid1(VALU_DEP_3)
	v_fmaak_f32 v28, s1, v27, 0x3ecc95a3
	v_mul_f32_e32 v29, v25, v27
	v_cmp_eq_f32_e64 s1, 0x7f800000, v24
	v_fmaak_f32 v27, v27, v28, 0x3f2aaada
	v_ldexp_f32 v28, v25, 1
	v_sub_f32_e32 v25, v25, v26
	s_delay_alu instid0(VALU_DEP_4) | instskip(NEXT) | instid1(VALU_DEP_3)
	s_or_b32 s1, s1, s13
	v_mul_f32_e32 v27, v29, v27
	v_mul_f32_e32 v29, 0x3f317218, v22
	s_delay_alu instid0(VALU_DEP_2) | instskip(NEXT) | instid1(VALU_DEP_1)
	v_dual_sub_f32 v23, v23, v25 :: v_dual_add_f32 v26, v28, v27
	v_ldexp_f32 v23, v23, 1
	s_delay_alu instid0(VALU_DEP_2) | instskip(NEXT) | instid1(VALU_DEP_4)
	v_sub_f32_e32 v25, v26, v28
	v_fma_f32 v28, 0x3f317218, v22, -v29
	s_delay_alu instid0(VALU_DEP_1) | instskip(NEXT) | instid1(VALU_DEP_1)
	v_dual_sub_f32 v25, v27, v25 :: v_dual_fmamk_f32 v22, v22, 0xb102e308, v28
	v_add_f32_e32 v23, v23, v25
	s_delay_alu instid0(VALU_DEP_2) | instskip(NEXT) | instid1(VALU_DEP_2)
	v_add_f32_e32 v25, v29, v22
	v_add_f32_e32 v27, v26, v23
	s_delay_alu instid0(VALU_DEP_2) | instskip(NEXT) | instid1(VALU_DEP_2)
	v_sub_f32_e32 v29, v25, v29
	v_add_f32_e32 v28, v25, v27
	v_sub_f32_e32 v26, v27, v26
	s_delay_alu instid0(VALU_DEP_3) | instskip(NEXT) | instid1(VALU_DEP_2)
	v_sub_f32_e32 v22, v22, v29
	v_dual_sub_f32 v30, v28, v25 :: v_dual_sub_f32 v23, v23, v26
	s_delay_alu instid0(VALU_DEP_1) | instskip(NEXT) | instid1(VALU_DEP_2)
	v_sub_f32_e32 v31, v28, v30
	v_dual_sub_f32 v26, v27, v30 :: v_dual_add_f32 v27, v22, v23
	s_delay_alu instid0(VALU_DEP_2) | instskip(NEXT) | instid1(VALU_DEP_1)
	v_sub_f32_e32 v25, v25, v31
	v_dual_add_f32 v25, v26, v25 :: v_dual_sub_f32 v26, v27, v22
	s_delay_alu instid0(VALU_DEP_1) | instskip(NEXT) | instid1(VALU_DEP_2)
	v_add_f32_e32 v25, v27, v25
	v_sub_f32_e32 v27, v27, v26
	v_sub_f32_e32 v23, v23, v26
	s_delay_alu instid0(VALU_DEP_2) | instskip(NEXT) | instid1(VALU_DEP_1)
	v_dual_add_f32 v29, v28, v25 :: v_dual_sub_f32 v22, v22, v27
	v_sub_f32_e32 v26, v29, v28
	s_delay_alu instid0(VALU_DEP_2) | instskip(NEXT) | instid1(VALU_DEP_2)
	v_add_f32_e32 v22, v23, v22
	v_sub_f32_e32 v23, v25, v26
	s_delay_alu instid0(VALU_DEP_1) | instskip(NEXT) | instid1(VALU_DEP_1)
	v_add_f32_e32 v22, v22, v23
	v_add_f32_e32 v22, v29, v22
	s_delay_alu instid0(VALU_DEP_1) | instskip(NEXT) | instid1(VALU_DEP_1)
	v_cndmask_b32_e64 v22, v22, v24, s1
	v_add_f32_e32 v23, v6, v22
.LBB154_25:
	s_or_b32 exec_lo, exec_lo, s12
	ds_load_b32 v6, v20 offset:24
	v_max_f32_e32 v22, v23, v23
	v_cmp_u_f32_e64 s1, v23, v23
	s_waitcnt lgkmcnt(0)
	v_max_f32_e32 v24, v6, v6
	s_delay_alu instid0(VALU_DEP_1) | instskip(SKIP_1) | instid1(VALU_DEP_2)
	v_min_f32_e32 v25, v22, v24
	v_max_f32_e32 v22, v22, v24
	v_cndmask_b32_e64 v24, v25, v23, s1
	s_delay_alu instid0(VALU_DEP_2) | instskip(SKIP_1) | instid1(VALU_DEP_1)
	v_cndmask_b32_e64 v25, v22, v23, s1
	v_cmp_u_f32_e64 s1, v6, v6
	v_cndmask_b32_e64 v22, v24, v6, s1
	s_delay_alu instid0(VALU_DEP_3) | instskip(NEXT) | instid1(VALU_DEP_2)
	v_cndmask_b32_e64 v6, v25, v6, s1
	v_cmp_class_f32_e64 s12, v22, 0x1f8
	s_delay_alu instid0(VALU_DEP_2) | instskip(NEXT) | instid1(VALU_DEP_1)
	v_cmp_neq_f32_e64 s1, v22, v6
	s_or_b32 s1, s1, s12
	s_delay_alu instid0(SALU_CYCLE_1)
	s_and_saveexec_b32 s12, s1
	s_cbranch_execz .LBB154_27
; %bb.26:
	v_sub_f32_e32 v22, v22, v6
	s_delay_alu instid0(VALU_DEP_1) | instskip(NEXT) | instid1(VALU_DEP_1)
	v_mul_f32_e32 v23, 0x3fb8aa3b, v22
	v_fma_f32 v24, 0x3fb8aa3b, v22, -v23
	v_rndne_f32_e32 v25, v23
	s_delay_alu instid0(VALU_DEP_1) | instskip(SKIP_1) | instid1(VALU_DEP_2)
	v_dual_sub_f32 v23, v23, v25 :: v_dual_fmamk_f32 v24, v22, 0x32a5705f, v24
	v_cmp_ngt_f32_e64 s1, 0xc2ce8ed0, v22
	v_add_f32_e32 v23, v23, v24
	v_cvt_i32_f32_e32 v24, v25
	s_delay_alu instid0(VALU_DEP_2) | instskip(SKIP_2) | instid1(VALU_DEP_1)
	v_exp_f32_e32 v23, v23
	s_waitcnt_depctr 0xfff
	v_ldexp_f32 v23, v23, v24
	v_cndmask_b32_e64 v23, 0, v23, s1
	v_cmp_nlt_f32_e64 s1, 0x42b17218, v22
	s_delay_alu instid0(VALU_DEP_1) | instskip(NEXT) | instid1(VALU_DEP_1)
	v_cndmask_b32_e64 v24, 0x7f800000, v23, s1
	v_add_f32_e32 v25, 1.0, v24
	v_cmp_gt_f32_e64 s13, 0x33800000, |v24|
	s_delay_alu instid0(VALU_DEP_2) | instskip(NEXT) | instid1(VALU_DEP_1)
	v_cvt_f64_f32_e32 v[22:23], v25
	v_frexp_exp_i32_f64_e32 v22, v[22:23]
	v_frexp_mant_f32_e32 v23, v25
	s_delay_alu instid0(VALU_DEP_1) | instskip(SKIP_1) | instid1(VALU_DEP_1)
	v_cmp_gt_f32_e64 s1, 0x3f2aaaab, v23
	v_add_f32_e32 v23, -1.0, v25
	v_sub_f32_e32 v27, v23, v25
	v_sub_f32_e32 v23, v24, v23
	s_delay_alu instid0(VALU_DEP_4) | instskip(SKIP_1) | instid1(VALU_DEP_1)
	v_subrev_co_ci_u32_e64 v22, s1, 0, v22, s1
	s_mov_b32 s1, 0x3e9b6dac
	v_sub_nc_u32_e32 v26, 0, v22
	v_cvt_f32_i32_e32 v22, v22
	s_delay_alu instid0(VALU_DEP_2) | instskip(NEXT) | instid1(VALU_DEP_1)
	v_ldexp_f32 v25, v25, v26
	v_dual_add_f32 v28, 1.0, v25 :: v_dual_add_f32 v27, 1.0, v27
	s_delay_alu instid0(VALU_DEP_1) | instskip(NEXT) | instid1(VALU_DEP_2)
	v_add_f32_e32 v23, v23, v27
	v_add_f32_e32 v27, -1.0, v28
	s_delay_alu instid0(VALU_DEP_2) | instskip(NEXT) | instid1(VALU_DEP_2)
	v_ldexp_f32 v23, v23, v26
	v_dual_add_f32 v26, -1.0, v25 :: v_dual_sub_f32 v27, v25, v27
	s_delay_alu instid0(VALU_DEP_1) | instskip(NEXT) | instid1(VALU_DEP_2)
	v_add_f32_e32 v29, 1.0, v26
	v_add_f32_e32 v27, v23, v27
	s_delay_alu instid0(VALU_DEP_2) | instskip(NEXT) | instid1(VALU_DEP_2)
	v_sub_f32_e32 v25, v25, v29
	v_add_f32_e32 v29, v28, v27
	s_delay_alu instid0(VALU_DEP_2) | instskip(NEXT) | instid1(VALU_DEP_2)
	v_add_f32_e32 v23, v23, v25
	v_rcp_f32_e32 v25, v29
	v_sub_f32_e32 v28, v28, v29
	s_delay_alu instid0(VALU_DEP_1) | instskip(NEXT) | instid1(VALU_DEP_1)
	v_dual_add_f32 v30, v26, v23 :: v_dual_add_f32 v27, v27, v28
	v_sub_f32_e32 v26, v26, v30
	s_waitcnt_depctr 0xfff
	v_mul_f32_e32 v31, v30, v25
	s_delay_alu instid0(VALU_DEP_1) | instskip(NEXT) | instid1(VALU_DEP_1)
	v_dual_add_f32 v23, v23, v26 :: v_dual_mul_f32 v32, v29, v31
	v_fma_f32 v28, v31, v29, -v32
	s_delay_alu instid0(VALU_DEP_1) | instskip(NEXT) | instid1(VALU_DEP_1)
	v_fmac_f32_e32 v28, v31, v27
	v_add_f32_e32 v33, v32, v28
	s_delay_alu instid0(VALU_DEP_1) | instskip(SKIP_1) | instid1(VALU_DEP_2)
	v_sub_f32_e32 v34, v30, v33
	v_sub_f32_e32 v26, v33, v32
	;; [unrolled: 1-line block ×3, first 2 shown]
	s_delay_alu instid0(VALU_DEP_2) | instskip(NEXT) | instid1(VALU_DEP_2)
	v_sub_f32_e32 v26, v26, v28
	v_sub_f32_e32 v30, v30, v33
	s_delay_alu instid0(VALU_DEP_1) | instskip(NEXT) | instid1(VALU_DEP_1)
	v_add_f32_e32 v23, v23, v30
	v_add_f32_e32 v23, v26, v23
	s_delay_alu instid0(VALU_DEP_1) | instskip(NEXT) | instid1(VALU_DEP_1)
	v_add_f32_e32 v26, v34, v23
	v_mul_f32_e32 v28, v25, v26
	s_delay_alu instid0(VALU_DEP_1) | instskip(NEXT) | instid1(VALU_DEP_1)
	v_dual_sub_f32 v33, v34, v26 :: v_dual_mul_f32 v30, v29, v28
	v_add_f32_e32 v23, v23, v33
	s_delay_alu instid0(VALU_DEP_2) | instskip(NEXT) | instid1(VALU_DEP_1)
	v_fma_f32 v29, v28, v29, -v30
	v_fmac_f32_e32 v29, v28, v27
	s_delay_alu instid0(VALU_DEP_1) | instskip(NEXT) | instid1(VALU_DEP_1)
	v_add_f32_e32 v27, v30, v29
	v_sub_f32_e32 v32, v26, v27
	v_sub_f32_e32 v30, v27, v30
	s_delay_alu instid0(VALU_DEP_2) | instskip(NEXT) | instid1(VALU_DEP_1)
	v_sub_f32_e32 v26, v26, v32
	v_sub_f32_e32 v26, v26, v27
	s_delay_alu instid0(VALU_DEP_3) | instskip(NEXT) | instid1(VALU_DEP_2)
	v_sub_f32_e32 v27, v30, v29
	v_add_f32_e32 v23, v23, v26
	v_add_f32_e32 v26, v31, v28
	s_delay_alu instid0(VALU_DEP_2) | instskip(NEXT) | instid1(VALU_DEP_2)
	v_add_f32_e32 v23, v27, v23
	v_sub_f32_e32 v27, v26, v31
	s_delay_alu instid0(VALU_DEP_2) | instskip(NEXT) | instid1(VALU_DEP_2)
	v_add_f32_e32 v23, v32, v23
	v_sub_f32_e32 v27, v28, v27
	s_delay_alu instid0(VALU_DEP_2) | instskip(NEXT) | instid1(VALU_DEP_1)
	v_mul_f32_e32 v23, v25, v23
	v_add_f32_e32 v23, v27, v23
	s_delay_alu instid0(VALU_DEP_1) | instskip(NEXT) | instid1(VALU_DEP_1)
	v_add_f32_e32 v25, v26, v23
	v_mul_f32_e32 v27, v25, v25
	s_delay_alu instid0(VALU_DEP_1) | instskip(SKIP_2) | instid1(VALU_DEP_3)
	v_fmaak_f32 v28, s1, v27, 0x3ecc95a3
	v_mul_f32_e32 v29, v25, v27
	v_cmp_eq_f32_e64 s1, 0x7f800000, v24
	v_fmaak_f32 v27, v27, v28, 0x3f2aaada
	v_ldexp_f32 v28, v25, 1
	v_sub_f32_e32 v25, v25, v26
	s_delay_alu instid0(VALU_DEP_4) | instskip(NEXT) | instid1(VALU_DEP_3)
	s_or_b32 s1, s1, s13
	v_mul_f32_e32 v27, v29, v27
	v_mul_f32_e32 v29, 0x3f317218, v22
	s_delay_alu instid0(VALU_DEP_2) | instskip(NEXT) | instid1(VALU_DEP_1)
	v_dual_sub_f32 v23, v23, v25 :: v_dual_add_f32 v26, v28, v27
	v_ldexp_f32 v23, v23, 1
	s_delay_alu instid0(VALU_DEP_2) | instskip(NEXT) | instid1(VALU_DEP_4)
	v_sub_f32_e32 v25, v26, v28
	v_fma_f32 v28, 0x3f317218, v22, -v29
	s_delay_alu instid0(VALU_DEP_1) | instskip(NEXT) | instid1(VALU_DEP_1)
	v_dual_sub_f32 v25, v27, v25 :: v_dual_fmamk_f32 v22, v22, 0xb102e308, v28
	v_add_f32_e32 v23, v23, v25
	s_delay_alu instid0(VALU_DEP_2) | instskip(NEXT) | instid1(VALU_DEP_2)
	v_add_f32_e32 v25, v29, v22
	v_add_f32_e32 v27, v26, v23
	s_delay_alu instid0(VALU_DEP_2) | instskip(NEXT) | instid1(VALU_DEP_2)
	v_sub_f32_e32 v29, v25, v29
	v_add_f32_e32 v28, v25, v27
	v_sub_f32_e32 v26, v27, v26
	s_delay_alu instid0(VALU_DEP_3) | instskip(NEXT) | instid1(VALU_DEP_2)
	v_sub_f32_e32 v22, v22, v29
	v_dual_sub_f32 v30, v28, v25 :: v_dual_sub_f32 v23, v23, v26
	s_delay_alu instid0(VALU_DEP_1) | instskip(NEXT) | instid1(VALU_DEP_2)
	v_sub_f32_e32 v31, v28, v30
	v_dual_sub_f32 v26, v27, v30 :: v_dual_add_f32 v27, v22, v23
	s_delay_alu instid0(VALU_DEP_2) | instskip(NEXT) | instid1(VALU_DEP_1)
	v_sub_f32_e32 v25, v25, v31
	v_dual_add_f32 v25, v26, v25 :: v_dual_sub_f32 v26, v27, v22
	s_delay_alu instid0(VALU_DEP_1) | instskip(NEXT) | instid1(VALU_DEP_2)
	v_add_f32_e32 v25, v27, v25
	v_sub_f32_e32 v27, v27, v26
	v_sub_f32_e32 v23, v23, v26
	s_delay_alu instid0(VALU_DEP_2) | instskip(NEXT) | instid1(VALU_DEP_1)
	v_dual_add_f32 v29, v28, v25 :: v_dual_sub_f32 v22, v22, v27
	v_sub_f32_e32 v26, v29, v28
	s_delay_alu instid0(VALU_DEP_2) | instskip(NEXT) | instid1(VALU_DEP_2)
	v_add_f32_e32 v22, v23, v22
	v_sub_f32_e32 v23, v25, v26
	s_delay_alu instid0(VALU_DEP_1) | instskip(NEXT) | instid1(VALU_DEP_1)
	v_add_f32_e32 v22, v22, v23
	v_add_f32_e32 v22, v29, v22
	s_delay_alu instid0(VALU_DEP_1) | instskip(NEXT) | instid1(VALU_DEP_1)
	v_cndmask_b32_e64 v22, v22, v24, s1
	v_add_f32_e32 v23, v6, v22
.LBB154_27:
	s_or_b32 exec_lo, exec_lo, s12
	ds_load_b32 v6, v20 offset:28
	v_max_f32_e32 v22, v23, v23
	v_cmp_u_f32_e64 s1, v23, v23
	s_waitcnt lgkmcnt(0)
	v_max_f32_e32 v24, v6, v6
	s_delay_alu instid0(VALU_DEP_1) | instskip(SKIP_1) | instid1(VALU_DEP_2)
	v_min_f32_e32 v25, v22, v24
	v_max_f32_e32 v22, v22, v24
	v_cndmask_b32_e64 v24, v25, v23, s1
	s_delay_alu instid0(VALU_DEP_2) | instskip(SKIP_1) | instid1(VALU_DEP_1)
	v_cndmask_b32_e64 v25, v22, v23, s1
	v_cmp_u_f32_e64 s1, v6, v6
	v_cndmask_b32_e64 v22, v24, v6, s1
	s_delay_alu instid0(VALU_DEP_3) | instskip(NEXT) | instid1(VALU_DEP_2)
	v_cndmask_b32_e64 v6, v25, v6, s1
	v_cmp_class_f32_e64 s12, v22, 0x1f8
	s_delay_alu instid0(VALU_DEP_2) | instskip(NEXT) | instid1(VALU_DEP_1)
	v_cmp_neq_f32_e64 s1, v22, v6
	s_or_b32 s1, s1, s12
	s_delay_alu instid0(SALU_CYCLE_1)
	s_and_saveexec_b32 s12, s1
	s_cbranch_execz .LBB154_29
; %bb.28:
	v_sub_f32_e32 v22, v22, v6
	s_delay_alu instid0(VALU_DEP_1) | instskip(NEXT) | instid1(VALU_DEP_1)
	v_mul_f32_e32 v23, 0x3fb8aa3b, v22
	v_fma_f32 v24, 0x3fb8aa3b, v22, -v23
	v_rndne_f32_e32 v25, v23
	s_delay_alu instid0(VALU_DEP_1) | instskip(SKIP_1) | instid1(VALU_DEP_2)
	v_dual_sub_f32 v23, v23, v25 :: v_dual_fmamk_f32 v24, v22, 0x32a5705f, v24
	v_cmp_ngt_f32_e64 s1, 0xc2ce8ed0, v22
	v_add_f32_e32 v23, v23, v24
	v_cvt_i32_f32_e32 v24, v25
	s_delay_alu instid0(VALU_DEP_2) | instskip(SKIP_2) | instid1(VALU_DEP_1)
	v_exp_f32_e32 v23, v23
	s_waitcnt_depctr 0xfff
	v_ldexp_f32 v23, v23, v24
	v_cndmask_b32_e64 v23, 0, v23, s1
	v_cmp_nlt_f32_e64 s1, 0x42b17218, v22
	s_delay_alu instid0(VALU_DEP_1) | instskip(NEXT) | instid1(VALU_DEP_1)
	v_cndmask_b32_e64 v24, 0x7f800000, v23, s1
	v_add_f32_e32 v25, 1.0, v24
	v_cmp_gt_f32_e64 s13, 0x33800000, |v24|
	s_delay_alu instid0(VALU_DEP_2) | instskip(NEXT) | instid1(VALU_DEP_1)
	v_cvt_f64_f32_e32 v[22:23], v25
	v_frexp_exp_i32_f64_e32 v22, v[22:23]
	v_frexp_mant_f32_e32 v23, v25
	s_delay_alu instid0(VALU_DEP_1) | instskip(SKIP_1) | instid1(VALU_DEP_1)
	v_cmp_gt_f32_e64 s1, 0x3f2aaaab, v23
	v_add_f32_e32 v23, -1.0, v25
	v_sub_f32_e32 v27, v23, v25
	v_sub_f32_e32 v23, v24, v23
	s_delay_alu instid0(VALU_DEP_4) | instskip(SKIP_1) | instid1(VALU_DEP_1)
	v_subrev_co_ci_u32_e64 v22, s1, 0, v22, s1
	s_mov_b32 s1, 0x3e9b6dac
	v_sub_nc_u32_e32 v26, 0, v22
	v_cvt_f32_i32_e32 v22, v22
	s_delay_alu instid0(VALU_DEP_2) | instskip(NEXT) | instid1(VALU_DEP_1)
	v_ldexp_f32 v25, v25, v26
	v_dual_add_f32 v28, 1.0, v25 :: v_dual_add_f32 v27, 1.0, v27
	s_delay_alu instid0(VALU_DEP_1) | instskip(NEXT) | instid1(VALU_DEP_2)
	v_add_f32_e32 v23, v23, v27
	v_add_f32_e32 v27, -1.0, v28
	s_delay_alu instid0(VALU_DEP_2) | instskip(NEXT) | instid1(VALU_DEP_2)
	v_ldexp_f32 v23, v23, v26
	v_dual_add_f32 v26, -1.0, v25 :: v_dual_sub_f32 v27, v25, v27
	s_delay_alu instid0(VALU_DEP_1) | instskip(NEXT) | instid1(VALU_DEP_2)
	v_add_f32_e32 v29, 1.0, v26
	v_add_f32_e32 v27, v23, v27
	s_delay_alu instid0(VALU_DEP_2) | instskip(NEXT) | instid1(VALU_DEP_2)
	v_sub_f32_e32 v25, v25, v29
	v_add_f32_e32 v29, v28, v27
	s_delay_alu instid0(VALU_DEP_2) | instskip(NEXT) | instid1(VALU_DEP_2)
	v_add_f32_e32 v23, v23, v25
	v_rcp_f32_e32 v25, v29
	v_sub_f32_e32 v28, v28, v29
	s_delay_alu instid0(VALU_DEP_1) | instskip(NEXT) | instid1(VALU_DEP_1)
	v_dual_add_f32 v30, v26, v23 :: v_dual_add_f32 v27, v27, v28
	v_sub_f32_e32 v26, v26, v30
	s_waitcnt_depctr 0xfff
	v_mul_f32_e32 v31, v30, v25
	s_delay_alu instid0(VALU_DEP_1) | instskip(NEXT) | instid1(VALU_DEP_1)
	v_dual_add_f32 v23, v23, v26 :: v_dual_mul_f32 v32, v29, v31
	v_fma_f32 v28, v31, v29, -v32
	s_delay_alu instid0(VALU_DEP_1) | instskip(NEXT) | instid1(VALU_DEP_1)
	v_fmac_f32_e32 v28, v31, v27
	v_add_f32_e32 v33, v32, v28
	s_delay_alu instid0(VALU_DEP_1) | instskip(SKIP_1) | instid1(VALU_DEP_2)
	v_sub_f32_e32 v34, v30, v33
	v_sub_f32_e32 v26, v33, v32
	;; [unrolled: 1-line block ×3, first 2 shown]
	s_delay_alu instid0(VALU_DEP_2) | instskip(NEXT) | instid1(VALU_DEP_2)
	v_sub_f32_e32 v26, v26, v28
	v_sub_f32_e32 v30, v30, v33
	s_delay_alu instid0(VALU_DEP_1) | instskip(NEXT) | instid1(VALU_DEP_1)
	v_add_f32_e32 v23, v23, v30
	v_add_f32_e32 v23, v26, v23
	s_delay_alu instid0(VALU_DEP_1) | instskip(NEXT) | instid1(VALU_DEP_1)
	v_add_f32_e32 v26, v34, v23
	v_mul_f32_e32 v28, v25, v26
	s_delay_alu instid0(VALU_DEP_1) | instskip(NEXT) | instid1(VALU_DEP_1)
	v_dual_sub_f32 v33, v34, v26 :: v_dual_mul_f32 v30, v29, v28
	v_add_f32_e32 v23, v23, v33
	s_delay_alu instid0(VALU_DEP_2) | instskip(NEXT) | instid1(VALU_DEP_1)
	v_fma_f32 v29, v28, v29, -v30
	v_fmac_f32_e32 v29, v28, v27
	s_delay_alu instid0(VALU_DEP_1) | instskip(NEXT) | instid1(VALU_DEP_1)
	v_add_f32_e32 v27, v30, v29
	v_sub_f32_e32 v32, v26, v27
	v_sub_f32_e32 v30, v27, v30
	s_delay_alu instid0(VALU_DEP_2) | instskip(NEXT) | instid1(VALU_DEP_1)
	v_sub_f32_e32 v26, v26, v32
	v_sub_f32_e32 v26, v26, v27
	s_delay_alu instid0(VALU_DEP_3) | instskip(NEXT) | instid1(VALU_DEP_2)
	v_sub_f32_e32 v27, v30, v29
	v_add_f32_e32 v23, v23, v26
	v_add_f32_e32 v26, v31, v28
	s_delay_alu instid0(VALU_DEP_2) | instskip(NEXT) | instid1(VALU_DEP_2)
	v_add_f32_e32 v23, v27, v23
	v_sub_f32_e32 v27, v26, v31
	s_delay_alu instid0(VALU_DEP_2) | instskip(NEXT) | instid1(VALU_DEP_2)
	v_add_f32_e32 v23, v32, v23
	v_sub_f32_e32 v27, v28, v27
	s_delay_alu instid0(VALU_DEP_2) | instskip(NEXT) | instid1(VALU_DEP_1)
	v_mul_f32_e32 v23, v25, v23
	v_add_f32_e32 v23, v27, v23
	s_delay_alu instid0(VALU_DEP_1) | instskip(NEXT) | instid1(VALU_DEP_1)
	v_add_f32_e32 v25, v26, v23
	v_mul_f32_e32 v27, v25, v25
	s_delay_alu instid0(VALU_DEP_1) | instskip(SKIP_2) | instid1(VALU_DEP_3)
	v_fmaak_f32 v28, s1, v27, 0x3ecc95a3
	v_mul_f32_e32 v29, v25, v27
	v_cmp_eq_f32_e64 s1, 0x7f800000, v24
	v_fmaak_f32 v27, v27, v28, 0x3f2aaada
	v_ldexp_f32 v28, v25, 1
	v_sub_f32_e32 v25, v25, v26
	s_delay_alu instid0(VALU_DEP_4) | instskip(NEXT) | instid1(VALU_DEP_3)
	s_or_b32 s1, s1, s13
	v_mul_f32_e32 v27, v29, v27
	v_mul_f32_e32 v29, 0x3f317218, v22
	s_delay_alu instid0(VALU_DEP_2) | instskip(NEXT) | instid1(VALU_DEP_1)
	v_dual_sub_f32 v23, v23, v25 :: v_dual_add_f32 v26, v28, v27
	v_ldexp_f32 v23, v23, 1
	s_delay_alu instid0(VALU_DEP_2) | instskip(NEXT) | instid1(VALU_DEP_4)
	v_sub_f32_e32 v25, v26, v28
	v_fma_f32 v28, 0x3f317218, v22, -v29
	s_delay_alu instid0(VALU_DEP_1) | instskip(NEXT) | instid1(VALU_DEP_1)
	v_dual_sub_f32 v25, v27, v25 :: v_dual_fmamk_f32 v22, v22, 0xb102e308, v28
	v_add_f32_e32 v23, v23, v25
	s_delay_alu instid0(VALU_DEP_2) | instskip(NEXT) | instid1(VALU_DEP_2)
	v_add_f32_e32 v25, v29, v22
	v_add_f32_e32 v27, v26, v23
	s_delay_alu instid0(VALU_DEP_2) | instskip(NEXT) | instid1(VALU_DEP_2)
	v_sub_f32_e32 v29, v25, v29
	v_add_f32_e32 v28, v25, v27
	v_sub_f32_e32 v26, v27, v26
	s_delay_alu instid0(VALU_DEP_3) | instskip(NEXT) | instid1(VALU_DEP_2)
	v_sub_f32_e32 v22, v22, v29
	v_dual_sub_f32 v30, v28, v25 :: v_dual_sub_f32 v23, v23, v26
	s_delay_alu instid0(VALU_DEP_1) | instskip(NEXT) | instid1(VALU_DEP_2)
	v_sub_f32_e32 v31, v28, v30
	v_dual_sub_f32 v26, v27, v30 :: v_dual_add_f32 v27, v22, v23
	s_delay_alu instid0(VALU_DEP_2) | instskip(NEXT) | instid1(VALU_DEP_1)
	v_sub_f32_e32 v25, v25, v31
	v_dual_add_f32 v25, v26, v25 :: v_dual_sub_f32 v26, v27, v22
	s_delay_alu instid0(VALU_DEP_1) | instskip(NEXT) | instid1(VALU_DEP_2)
	v_add_f32_e32 v25, v27, v25
	v_sub_f32_e32 v27, v27, v26
	v_sub_f32_e32 v23, v23, v26
	s_delay_alu instid0(VALU_DEP_2) | instskip(NEXT) | instid1(VALU_DEP_1)
	v_dual_add_f32 v29, v28, v25 :: v_dual_sub_f32 v22, v22, v27
	v_sub_f32_e32 v26, v29, v28
	s_delay_alu instid0(VALU_DEP_2) | instskip(NEXT) | instid1(VALU_DEP_2)
	v_add_f32_e32 v22, v23, v22
	v_sub_f32_e32 v23, v25, v26
	s_delay_alu instid0(VALU_DEP_1) | instskip(NEXT) | instid1(VALU_DEP_1)
	v_add_f32_e32 v22, v22, v23
	v_add_f32_e32 v22, v29, v22
	s_delay_alu instid0(VALU_DEP_1) | instskip(NEXT) | instid1(VALU_DEP_1)
	v_cndmask_b32_e64 v22, v22, v24, s1
	v_add_f32_e32 v23, v6, v22
.LBB154_29:
	s_or_b32 exec_lo, exec_lo, s12
	v_mbcnt_lo_u32_b32 v6, -1, 0
	s_delay_alu instid0(VALU_DEP_2) | instskip(SKIP_1) | instid1(VALU_DEP_2)
	v_mov_b32_dpp v24, v23 row_shr:1 row_mask:0xf bank_mask:0xf
	s_mov_b32 s12, exec_lo
	v_and_b32_e32 v22, 15, v6
	s_delay_alu instid0(VALU_DEP_1)
	v_cmpx_ne_u32_e32 0, v22
	s_xor_b32 s12, exec_lo, s12
	s_cbranch_execz .LBB154_33
; %bb.30:
	v_dual_max_f32 v25, v23, v23 :: v_dual_max_f32 v26, v24, v24
	v_cmp_u_f32_e64 s1, v24, v24
	s_delay_alu instid0(VALU_DEP_2) | instskip(SKIP_1) | instid1(VALU_DEP_2)
	v_min_f32_e32 v27, v26, v25
	v_max_f32_e32 v25, v26, v25
	v_cndmask_b32_e64 v26, v27, v24, s1
	s_delay_alu instid0(VALU_DEP_2) | instskip(SKIP_1) | instid1(VALU_DEP_1)
	v_cndmask_b32_e64 v27, v25, v24, s1
	v_cmp_u_f32_e64 s1, v23, v23
	v_cndmask_b32_e64 v25, v26, v23, s1
	s_delay_alu instid0(VALU_DEP_3) | instskip(NEXT) | instid1(VALU_DEP_2)
	v_cndmask_b32_e64 v23, v27, v23, s1
	v_cmp_class_f32_e64 s13, v25, 0x1f8
	s_delay_alu instid0(VALU_DEP_2) | instskip(NEXT) | instid1(VALU_DEP_1)
	v_cmp_neq_f32_e64 s1, v25, v23
	s_or_b32 s1, s1, s13
	s_delay_alu instid0(SALU_CYCLE_1)
	s_and_saveexec_b32 s13, s1
	s_cbranch_execz .LBB154_32
; %bb.31:
	v_sub_f32_e32 v24, v25, v23
	s_delay_alu instid0(VALU_DEP_1) | instskip(SKIP_1) | instid1(VALU_DEP_2)
	v_mul_f32_e32 v25, 0x3fb8aa3b, v24
	v_cmp_ngt_f32_e64 s1, 0xc2ce8ed0, v24
	v_fma_f32 v26, 0x3fb8aa3b, v24, -v25
	v_rndne_f32_e32 v27, v25
	s_delay_alu instid0(VALU_DEP_1) | instskip(NEXT) | instid1(VALU_DEP_1)
	v_dual_fmamk_f32 v26, v24, 0x32a5705f, v26 :: v_dual_sub_f32 v25, v25, v27
	v_add_f32_e32 v25, v25, v26
	v_cvt_i32_f32_e32 v26, v27
	s_delay_alu instid0(VALU_DEP_2) | instskip(SKIP_2) | instid1(VALU_DEP_1)
	v_exp_f32_e32 v25, v25
	s_waitcnt_depctr 0xfff
	v_ldexp_f32 v25, v25, v26
	v_cndmask_b32_e64 v25, 0, v25, s1
	v_cmp_nlt_f32_e64 s1, 0x42b17218, v24
	s_delay_alu instid0(VALU_DEP_1) | instskip(NEXT) | instid1(VALU_DEP_1)
	v_cndmask_b32_e64 v26, 0x7f800000, v25, s1
	v_add_f32_e32 v27, 1.0, v26
	v_cmp_gt_f32_e64 s14, 0x33800000, |v26|
	s_delay_alu instid0(VALU_DEP_2) | instskip(NEXT) | instid1(VALU_DEP_1)
	v_cvt_f64_f32_e32 v[24:25], v27
	v_frexp_exp_i32_f64_e32 v24, v[24:25]
	v_frexp_mant_f32_e32 v25, v27
	s_delay_alu instid0(VALU_DEP_1) | instskip(SKIP_1) | instid1(VALU_DEP_1)
	v_cmp_gt_f32_e64 s1, 0x3f2aaaab, v25
	v_add_f32_e32 v25, -1.0, v27
	v_sub_f32_e32 v29, v25, v27
	v_sub_f32_e32 v25, v26, v25
	s_delay_alu instid0(VALU_DEP_4) | instskip(SKIP_1) | instid1(VALU_DEP_1)
	v_subrev_co_ci_u32_e64 v24, s1, 0, v24, s1
	s_mov_b32 s1, 0x3e9b6dac
	v_sub_nc_u32_e32 v28, 0, v24
	v_cvt_f32_i32_e32 v24, v24
	s_delay_alu instid0(VALU_DEP_2) | instskip(NEXT) | instid1(VALU_DEP_1)
	v_ldexp_f32 v27, v27, v28
	v_dual_add_f32 v30, 1.0, v27 :: v_dual_add_f32 v29, 1.0, v29
	s_delay_alu instid0(VALU_DEP_1) | instskip(NEXT) | instid1(VALU_DEP_2)
	v_add_f32_e32 v25, v25, v29
	v_add_f32_e32 v29, -1.0, v30
	s_delay_alu instid0(VALU_DEP_2) | instskip(NEXT) | instid1(VALU_DEP_2)
	v_ldexp_f32 v25, v25, v28
	v_dual_add_f32 v28, -1.0, v27 :: v_dual_sub_f32 v29, v27, v29
	s_delay_alu instid0(VALU_DEP_1) | instskip(NEXT) | instid1(VALU_DEP_2)
	v_add_f32_e32 v31, 1.0, v28
	v_add_f32_e32 v29, v25, v29
	s_delay_alu instid0(VALU_DEP_2) | instskip(NEXT) | instid1(VALU_DEP_2)
	v_sub_f32_e32 v27, v27, v31
	v_add_f32_e32 v31, v30, v29
	s_delay_alu instid0(VALU_DEP_2) | instskip(NEXT) | instid1(VALU_DEP_2)
	v_add_f32_e32 v25, v25, v27
	v_rcp_f32_e32 v27, v31
	v_sub_f32_e32 v30, v30, v31
	s_delay_alu instid0(VALU_DEP_1) | instskip(NEXT) | instid1(VALU_DEP_1)
	v_dual_add_f32 v32, v28, v25 :: v_dual_add_f32 v29, v29, v30
	v_sub_f32_e32 v28, v28, v32
	s_waitcnt_depctr 0xfff
	v_mul_f32_e32 v33, v32, v27
	s_delay_alu instid0(VALU_DEP_1) | instskip(NEXT) | instid1(VALU_DEP_1)
	v_dual_add_f32 v25, v25, v28 :: v_dual_mul_f32 v34, v31, v33
	v_fma_f32 v30, v33, v31, -v34
	s_delay_alu instid0(VALU_DEP_1) | instskip(NEXT) | instid1(VALU_DEP_1)
	v_fmac_f32_e32 v30, v33, v29
	v_add_f32_e32 v35, v34, v30
	s_delay_alu instid0(VALU_DEP_1) | instskip(SKIP_1) | instid1(VALU_DEP_2)
	v_sub_f32_e32 v36, v32, v35
	v_sub_f32_e32 v28, v35, v34
	;; [unrolled: 1-line block ×3, first 2 shown]
	s_delay_alu instid0(VALU_DEP_2) | instskip(NEXT) | instid1(VALU_DEP_2)
	v_sub_f32_e32 v28, v28, v30
	v_sub_f32_e32 v32, v32, v35
	s_delay_alu instid0(VALU_DEP_1) | instskip(NEXT) | instid1(VALU_DEP_1)
	v_add_f32_e32 v25, v25, v32
	v_add_f32_e32 v25, v28, v25
	s_delay_alu instid0(VALU_DEP_1) | instskip(NEXT) | instid1(VALU_DEP_1)
	v_add_f32_e32 v28, v36, v25
	v_mul_f32_e32 v30, v27, v28
	s_delay_alu instid0(VALU_DEP_1) | instskip(NEXT) | instid1(VALU_DEP_1)
	v_dual_sub_f32 v35, v36, v28 :: v_dual_mul_f32 v32, v31, v30
	v_add_f32_e32 v25, v25, v35
	s_delay_alu instid0(VALU_DEP_2) | instskip(NEXT) | instid1(VALU_DEP_1)
	v_fma_f32 v31, v30, v31, -v32
	v_fmac_f32_e32 v31, v30, v29
	s_delay_alu instid0(VALU_DEP_1) | instskip(NEXT) | instid1(VALU_DEP_1)
	v_add_f32_e32 v29, v32, v31
	v_sub_f32_e32 v34, v28, v29
	v_sub_f32_e32 v32, v29, v32
	s_delay_alu instid0(VALU_DEP_2) | instskip(NEXT) | instid1(VALU_DEP_1)
	v_sub_f32_e32 v28, v28, v34
	v_sub_f32_e32 v28, v28, v29
	s_delay_alu instid0(VALU_DEP_3) | instskip(NEXT) | instid1(VALU_DEP_2)
	v_sub_f32_e32 v29, v32, v31
	v_add_f32_e32 v25, v25, v28
	v_add_f32_e32 v28, v33, v30
	s_delay_alu instid0(VALU_DEP_2) | instskip(NEXT) | instid1(VALU_DEP_2)
	v_add_f32_e32 v25, v29, v25
	v_sub_f32_e32 v29, v28, v33
	s_delay_alu instid0(VALU_DEP_2) | instskip(NEXT) | instid1(VALU_DEP_2)
	v_add_f32_e32 v25, v34, v25
	v_sub_f32_e32 v29, v30, v29
	s_delay_alu instid0(VALU_DEP_2) | instskip(NEXT) | instid1(VALU_DEP_1)
	v_mul_f32_e32 v25, v27, v25
	v_add_f32_e32 v25, v29, v25
	s_delay_alu instid0(VALU_DEP_1) | instskip(NEXT) | instid1(VALU_DEP_1)
	v_add_f32_e32 v27, v28, v25
	v_mul_f32_e32 v29, v27, v27
	s_delay_alu instid0(VALU_DEP_1) | instskip(SKIP_2) | instid1(VALU_DEP_3)
	v_fmaak_f32 v30, s1, v29, 0x3ecc95a3
	v_mul_f32_e32 v31, v27, v29
	v_cmp_eq_f32_e64 s1, 0x7f800000, v26
	v_fmaak_f32 v29, v29, v30, 0x3f2aaada
	v_ldexp_f32 v30, v27, 1
	v_sub_f32_e32 v27, v27, v28
	s_delay_alu instid0(VALU_DEP_4) | instskip(NEXT) | instid1(VALU_DEP_3)
	s_or_b32 s1, s1, s14
	v_mul_f32_e32 v29, v31, v29
	v_mul_f32_e32 v31, 0x3f317218, v24
	s_delay_alu instid0(VALU_DEP_2) | instskip(NEXT) | instid1(VALU_DEP_1)
	v_dual_sub_f32 v25, v25, v27 :: v_dual_add_f32 v28, v30, v29
	v_ldexp_f32 v25, v25, 1
	s_delay_alu instid0(VALU_DEP_2) | instskip(NEXT) | instid1(VALU_DEP_4)
	v_sub_f32_e32 v27, v28, v30
	v_fma_f32 v30, 0x3f317218, v24, -v31
	s_delay_alu instid0(VALU_DEP_1) | instskip(NEXT) | instid1(VALU_DEP_1)
	v_dual_sub_f32 v27, v29, v27 :: v_dual_fmamk_f32 v24, v24, 0xb102e308, v30
	v_add_f32_e32 v25, v25, v27
	s_delay_alu instid0(VALU_DEP_2) | instskip(NEXT) | instid1(VALU_DEP_2)
	v_add_f32_e32 v27, v31, v24
	v_add_f32_e32 v29, v28, v25
	s_delay_alu instid0(VALU_DEP_2) | instskip(NEXT) | instid1(VALU_DEP_2)
	v_sub_f32_e32 v31, v27, v31
	v_add_f32_e32 v30, v27, v29
	v_sub_f32_e32 v28, v29, v28
	s_delay_alu instid0(VALU_DEP_3) | instskip(NEXT) | instid1(VALU_DEP_2)
	v_sub_f32_e32 v24, v24, v31
	v_dual_sub_f32 v32, v30, v27 :: v_dual_sub_f32 v25, v25, v28
	s_delay_alu instid0(VALU_DEP_1) | instskip(NEXT) | instid1(VALU_DEP_2)
	v_sub_f32_e32 v33, v30, v32
	v_dual_sub_f32 v28, v29, v32 :: v_dual_add_f32 v29, v24, v25
	s_delay_alu instid0(VALU_DEP_2) | instskip(NEXT) | instid1(VALU_DEP_1)
	v_sub_f32_e32 v27, v27, v33
	v_dual_add_f32 v27, v28, v27 :: v_dual_sub_f32 v28, v29, v24
	s_delay_alu instid0(VALU_DEP_1) | instskip(NEXT) | instid1(VALU_DEP_2)
	v_add_f32_e32 v27, v29, v27
	v_sub_f32_e32 v29, v29, v28
	v_sub_f32_e32 v25, v25, v28
	s_delay_alu instid0(VALU_DEP_2) | instskip(NEXT) | instid1(VALU_DEP_1)
	v_dual_add_f32 v31, v30, v27 :: v_dual_sub_f32 v24, v24, v29
	v_sub_f32_e32 v28, v31, v30
	s_delay_alu instid0(VALU_DEP_2) | instskip(NEXT) | instid1(VALU_DEP_2)
	v_add_f32_e32 v24, v25, v24
	v_sub_f32_e32 v25, v27, v28
	s_delay_alu instid0(VALU_DEP_1) | instskip(NEXT) | instid1(VALU_DEP_1)
	v_add_f32_e32 v24, v24, v25
	v_add_f32_e32 v24, v31, v24
	s_delay_alu instid0(VALU_DEP_1) | instskip(NEXT) | instid1(VALU_DEP_1)
	v_cndmask_b32_e64 v24, v24, v26, s1
	v_add_f32_e32 v24, v23, v24
.LBB154_32:
	s_or_b32 exec_lo, exec_lo, s13
	s_delay_alu instid0(VALU_DEP_1)
	v_mov_b32_e32 v23, v24
.LBB154_33:
	s_or_b32 exec_lo, exec_lo, s12
	s_delay_alu instid0(VALU_DEP_1)
	v_mov_b32_dpp v24, v23 row_shr:2 row_mask:0xf bank_mask:0xf
	s_mov_b32 s12, exec_lo
	v_cmpx_lt_u32_e32 1, v22
	s_cbranch_execz .LBB154_37
; %bb.34:
	s_delay_alu instid0(VALU_DEP_2) | instskip(SKIP_1) | instid1(VALU_DEP_2)
	v_dual_max_f32 v25, v23, v23 :: v_dual_max_f32 v26, v24, v24
	v_cmp_u_f32_e64 s1, v24, v24
	v_min_f32_e32 v27, v26, v25
	v_max_f32_e32 v25, v26, v25
	s_delay_alu instid0(VALU_DEP_2) | instskip(NEXT) | instid1(VALU_DEP_2)
	v_cndmask_b32_e64 v26, v27, v24, s1
	v_cndmask_b32_e64 v27, v25, v24, s1
	v_cmp_u_f32_e64 s1, v23, v23
	s_delay_alu instid0(VALU_DEP_1) | instskip(NEXT) | instid1(VALU_DEP_3)
	v_cndmask_b32_e64 v25, v26, v23, s1
	v_cndmask_b32_e64 v23, v27, v23, s1
	s_delay_alu instid0(VALU_DEP_2) | instskip(NEXT) | instid1(VALU_DEP_2)
	v_cmp_class_f32_e64 s13, v25, 0x1f8
	v_cmp_neq_f32_e64 s1, v25, v23
	s_delay_alu instid0(VALU_DEP_1) | instskip(NEXT) | instid1(SALU_CYCLE_1)
	s_or_b32 s1, s1, s13
	s_and_saveexec_b32 s13, s1
	s_cbranch_execz .LBB154_36
; %bb.35:
	v_sub_f32_e32 v24, v25, v23
	s_delay_alu instid0(VALU_DEP_1) | instskip(SKIP_1) | instid1(VALU_DEP_2)
	v_mul_f32_e32 v25, 0x3fb8aa3b, v24
	v_cmp_ngt_f32_e64 s1, 0xc2ce8ed0, v24
	v_fma_f32 v26, 0x3fb8aa3b, v24, -v25
	v_rndne_f32_e32 v27, v25
	s_delay_alu instid0(VALU_DEP_1) | instskip(NEXT) | instid1(VALU_DEP_1)
	v_dual_fmamk_f32 v26, v24, 0x32a5705f, v26 :: v_dual_sub_f32 v25, v25, v27
	v_add_f32_e32 v25, v25, v26
	v_cvt_i32_f32_e32 v26, v27
	s_delay_alu instid0(VALU_DEP_2) | instskip(SKIP_2) | instid1(VALU_DEP_1)
	v_exp_f32_e32 v25, v25
	s_waitcnt_depctr 0xfff
	v_ldexp_f32 v25, v25, v26
	v_cndmask_b32_e64 v25, 0, v25, s1
	v_cmp_nlt_f32_e64 s1, 0x42b17218, v24
	s_delay_alu instid0(VALU_DEP_1) | instskip(NEXT) | instid1(VALU_DEP_1)
	v_cndmask_b32_e64 v26, 0x7f800000, v25, s1
	v_add_f32_e32 v27, 1.0, v26
	v_cmp_gt_f32_e64 s14, 0x33800000, |v26|
	s_delay_alu instid0(VALU_DEP_2) | instskip(NEXT) | instid1(VALU_DEP_1)
	v_cvt_f64_f32_e32 v[24:25], v27
	v_frexp_exp_i32_f64_e32 v24, v[24:25]
	v_frexp_mant_f32_e32 v25, v27
	s_delay_alu instid0(VALU_DEP_1) | instskip(SKIP_1) | instid1(VALU_DEP_1)
	v_cmp_gt_f32_e64 s1, 0x3f2aaaab, v25
	v_add_f32_e32 v25, -1.0, v27
	v_sub_f32_e32 v29, v25, v27
	v_sub_f32_e32 v25, v26, v25
	s_delay_alu instid0(VALU_DEP_4) | instskip(SKIP_1) | instid1(VALU_DEP_1)
	v_subrev_co_ci_u32_e64 v24, s1, 0, v24, s1
	s_mov_b32 s1, 0x3e9b6dac
	v_sub_nc_u32_e32 v28, 0, v24
	v_cvt_f32_i32_e32 v24, v24
	s_delay_alu instid0(VALU_DEP_2) | instskip(NEXT) | instid1(VALU_DEP_1)
	v_ldexp_f32 v27, v27, v28
	v_dual_add_f32 v30, 1.0, v27 :: v_dual_add_f32 v29, 1.0, v29
	s_delay_alu instid0(VALU_DEP_1) | instskip(NEXT) | instid1(VALU_DEP_2)
	v_add_f32_e32 v25, v25, v29
	v_add_f32_e32 v29, -1.0, v30
	s_delay_alu instid0(VALU_DEP_2) | instskip(NEXT) | instid1(VALU_DEP_2)
	v_ldexp_f32 v25, v25, v28
	v_dual_add_f32 v28, -1.0, v27 :: v_dual_sub_f32 v29, v27, v29
	s_delay_alu instid0(VALU_DEP_1) | instskip(NEXT) | instid1(VALU_DEP_2)
	v_add_f32_e32 v31, 1.0, v28
	v_add_f32_e32 v29, v25, v29
	s_delay_alu instid0(VALU_DEP_2) | instskip(NEXT) | instid1(VALU_DEP_2)
	v_sub_f32_e32 v27, v27, v31
	v_add_f32_e32 v31, v30, v29
	s_delay_alu instid0(VALU_DEP_2) | instskip(NEXT) | instid1(VALU_DEP_2)
	v_add_f32_e32 v25, v25, v27
	v_rcp_f32_e32 v27, v31
	v_sub_f32_e32 v30, v30, v31
	s_delay_alu instid0(VALU_DEP_1) | instskip(NEXT) | instid1(VALU_DEP_1)
	v_dual_add_f32 v32, v28, v25 :: v_dual_add_f32 v29, v29, v30
	v_sub_f32_e32 v28, v28, v32
	s_waitcnt_depctr 0xfff
	v_mul_f32_e32 v33, v32, v27
	s_delay_alu instid0(VALU_DEP_1) | instskip(NEXT) | instid1(VALU_DEP_1)
	v_dual_add_f32 v25, v25, v28 :: v_dual_mul_f32 v34, v31, v33
	v_fma_f32 v30, v33, v31, -v34
	s_delay_alu instid0(VALU_DEP_1) | instskip(NEXT) | instid1(VALU_DEP_1)
	v_fmac_f32_e32 v30, v33, v29
	v_add_f32_e32 v35, v34, v30
	s_delay_alu instid0(VALU_DEP_1) | instskip(SKIP_1) | instid1(VALU_DEP_2)
	v_sub_f32_e32 v36, v32, v35
	v_sub_f32_e32 v28, v35, v34
	;; [unrolled: 1-line block ×3, first 2 shown]
	s_delay_alu instid0(VALU_DEP_2) | instskip(NEXT) | instid1(VALU_DEP_2)
	v_sub_f32_e32 v28, v28, v30
	v_sub_f32_e32 v32, v32, v35
	s_delay_alu instid0(VALU_DEP_1) | instskip(NEXT) | instid1(VALU_DEP_1)
	v_add_f32_e32 v25, v25, v32
	v_add_f32_e32 v25, v28, v25
	s_delay_alu instid0(VALU_DEP_1) | instskip(NEXT) | instid1(VALU_DEP_1)
	v_add_f32_e32 v28, v36, v25
	v_mul_f32_e32 v30, v27, v28
	s_delay_alu instid0(VALU_DEP_1) | instskip(NEXT) | instid1(VALU_DEP_1)
	v_dual_sub_f32 v35, v36, v28 :: v_dual_mul_f32 v32, v31, v30
	v_add_f32_e32 v25, v25, v35
	s_delay_alu instid0(VALU_DEP_2) | instskip(NEXT) | instid1(VALU_DEP_1)
	v_fma_f32 v31, v30, v31, -v32
	v_fmac_f32_e32 v31, v30, v29
	s_delay_alu instid0(VALU_DEP_1) | instskip(NEXT) | instid1(VALU_DEP_1)
	v_add_f32_e32 v29, v32, v31
	v_sub_f32_e32 v34, v28, v29
	v_sub_f32_e32 v32, v29, v32
	s_delay_alu instid0(VALU_DEP_2) | instskip(NEXT) | instid1(VALU_DEP_1)
	v_sub_f32_e32 v28, v28, v34
	v_sub_f32_e32 v28, v28, v29
	s_delay_alu instid0(VALU_DEP_3) | instskip(NEXT) | instid1(VALU_DEP_2)
	v_sub_f32_e32 v29, v32, v31
	v_add_f32_e32 v25, v25, v28
	v_add_f32_e32 v28, v33, v30
	s_delay_alu instid0(VALU_DEP_2) | instskip(NEXT) | instid1(VALU_DEP_2)
	v_add_f32_e32 v25, v29, v25
	v_sub_f32_e32 v29, v28, v33
	s_delay_alu instid0(VALU_DEP_2) | instskip(NEXT) | instid1(VALU_DEP_2)
	v_add_f32_e32 v25, v34, v25
	v_sub_f32_e32 v29, v30, v29
	s_delay_alu instid0(VALU_DEP_2) | instskip(NEXT) | instid1(VALU_DEP_1)
	v_mul_f32_e32 v25, v27, v25
	v_add_f32_e32 v25, v29, v25
	s_delay_alu instid0(VALU_DEP_1) | instskip(NEXT) | instid1(VALU_DEP_1)
	v_add_f32_e32 v27, v28, v25
	v_mul_f32_e32 v29, v27, v27
	s_delay_alu instid0(VALU_DEP_1) | instskip(SKIP_2) | instid1(VALU_DEP_3)
	v_fmaak_f32 v30, s1, v29, 0x3ecc95a3
	v_mul_f32_e32 v31, v27, v29
	v_cmp_eq_f32_e64 s1, 0x7f800000, v26
	v_fmaak_f32 v29, v29, v30, 0x3f2aaada
	v_ldexp_f32 v30, v27, 1
	v_sub_f32_e32 v27, v27, v28
	s_delay_alu instid0(VALU_DEP_4) | instskip(NEXT) | instid1(VALU_DEP_3)
	s_or_b32 s1, s1, s14
	v_mul_f32_e32 v29, v31, v29
	v_mul_f32_e32 v31, 0x3f317218, v24
	s_delay_alu instid0(VALU_DEP_2) | instskip(NEXT) | instid1(VALU_DEP_1)
	v_dual_sub_f32 v25, v25, v27 :: v_dual_add_f32 v28, v30, v29
	v_ldexp_f32 v25, v25, 1
	s_delay_alu instid0(VALU_DEP_2) | instskip(NEXT) | instid1(VALU_DEP_4)
	v_sub_f32_e32 v27, v28, v30
	v_fma_f32 v30, 0x3f317218, v24, -v31
	s_delay_alu instid0(VALU_DEP_1) | instskip(NEXT) | instid1(VALU_DEP_1)
	v_dual_sub_f32 v27, v29, v27 :: v_dual_fmamk_f32 v24, v24, 0xb102e308, v30
	v_add_f32_e32 v25, v25, v27
	s_delay_alu instid0(VALU_DEP_2) | instskip(NEXT) | instid1(VALU_DEP_2)
	v_add_f32_e32 v27, v31, v24
	v_add_f32_e32 v29, v28, v25
	s_delay_alu instid0(VALU_DEP_2) | instskip(NEXT) | instid1(VALU_DEP_2)
	v_sub_f32_e32 v31, v27, v31
	v_add_f32_e32 v30, v27, v29
	v_sub_f32_e32 v28, v29, v28
	s_delay_alu instid0(VALU_DEP_3) | instskip(NEXT) | instid1(VALU_DEP_2)
	v_sub_f32_e32 v24, v24, v31
	v_dual_sub_f32 v32, v30, v27 :: v_dual_sub_f32 v25, v25, v28
	s_delay_alu instid0(VALU_DEP_1) | instskip(NEXT) | instid1(VALU_DEP_2)
	v_sub_f32_e32 v33, v30, v32
	v_dual_sub_f32 v28, v29, v32 :: v_dual_add_f32 v29, v24, v25
	s_delay_alu instid0(VALU_DEP_2) | instskip(NEXT) | instid1(VALU_DEP_1)
	v_sub_f32_e32 v27, v27, v33
	v_dual_add_f32 v27, v28, v27 :: v_dual_sub_f32 v28, v29, v24
	s_delay_alu instid0(VALU_DEP_1) | instskip(NEXT) | instid1(VALU_DEP_2)
	v_add_f32_e32 v27, v29, v27
	v_sub_f32_e32 v29, v29, v28
	v_sub_f32_e32 v25, v25, v28
	s_delay_alu instid0(VALU_DEP_2) | instskip(NEXT) | instid1(VALU_DEP_1)
	v_dual_add_f32 v31, v30, v27 :: v_dual_sub_f32 v24, v24, v29
	v_sub_f32_e32 v28, v31, v30
	s_delay_alu instid0(VALU_DEP_2) | instskip(NEXT) | instid1(VALU_DEP_2)
	v_add_f32_e32 v24, v25, v24
	v_sub_f32_e32 v25, v27, v28
	s_delay_alu instid0(VALU_DEP_1) | instskip(NEXT) | instid1(VALU_DEP_1)
	v_add_f32_e32 v24, v24, v25
	v_add_f32_e32 v24, v31, v24
	s_delay_alu instid0(VALU_DEP_1) | instskip(NEXT) | instid1(VALU_DEP_1)
	v_cndmask_b32_e64 v24, v24, v26, s1
	v_add_f32_e32 v24, v23, v24
.LBB154_36:
	s_or_b32 exec_lo, exec_lo, s13
	s_delay_alu instid0(VALU_DEP_1)
	v_mov_b32_e32 v23, v24
.LBB154_37:
	s_or_b32 exec_lo, exec_lo, s12
	s_delay_alu instid0(VALU_DEP_1)
	v_mov_b32_dpp v24, v23 row_shr:4 row_mask:0xf bank_mask:0xf
	s_mov_b32 s12, exec_lo
	v_cmpx_lt_u32_e32 3, v22
	s_cbranch_execz .LBB154_41
; %bb.38:
	s_delay_alu instid0(VALU_DEP_2) | instskip(SKIP_1) | instid1(VALU_DEP_2)
	v_dual_max_f32 v25, v23, v23 :: v_dual_max_f32 v26, v24, v24
	v_cmp_u_f32_e64 s1, v24, v24
	v_min_f32_e32 v27, v26, v25
	v_max_f32_e32 v25, v26, v25
	s_delay_alu instid0(VALU_DEP_2) | instskip(NEXT) | instid1(VALU_DEP_2)
	v_cndmask_b32_e64 v26, v27, v24, s1
	v_cndmask_b32_e64 v27, v25, v24, s1
	v_cmp_u_f32_e64 s1, v23, v23
	s_delay_alu instid0(VALU_DEP_1) | instskip(NEXT) | instid1(VALU_DEP_3)
	v_cndmask_b32_e64 v25, v26, v23, s1
	v_cndmask_b32_e64 v23, v27, v23, s1
	s_delay_alu instid0(VALU_DEP_2) | instskip(NEXT) | instid1(VALU_DEP_2)
	v_cmp_class_f32_e64 s13, v25, 0x1f8
	v_cmp_neq_f32_e64 s1, v25, v23
	s_delay_alu instid0(VALU_DEP_1) | instskip(NEXT) | instid1(SALU_CYCLE_1)
	s_or_b32 s1, s1, s13
	s_and_saveexec_b32 s13, s1
	s_cbranch_execz .LBB154_40
; %bb.39:
	v_sub_f32_e32 v24, v25, v23
	s_delay_alu instid0(VALU_DEP_1) | instskip(SKIP_1) | instid1(VALU_DEP_2)
	v_mul_f32_e32 v25, 0x3fb8aa3b, v24
	v_cmp_ngt_f32_e64 s1, 0xc2ce8ed0, v24
	v_fma_f32 v26, 0x3fb8aa3b, v24, -v25
	v_rndne_f32_e32 v27, v25
	s_delay_alu instid0(VALU_DEP_1) | instskip(NEXT) | instid1(VALU_DEP_1)
	v_dual_fmamk_f32 v26, v24, 0x32a5705f, v26 :: v_dual_sub_f32 v25, v25, v27
	v_add_f32_e32 v25, v25, v26
	v_cvt_i32_f32_e32 v26, v27
	s_delay_alu instid0(VALU_DEP_2) | instskip(SKIP_2) | instid1(VALU_DEP_1)
	v_exp_f32_e32 v25, v25
	s_waitcnt_depctr 0xfff
	v_ldexp_f32 v25, v25, v26
	v_cndmask_b32_e64 v25, 0, v25, s1
	v_cmp_nlt_f32_e64 s1, 0x42b17218, v24
	s_delay_alu instid0(VALU_DEP_1) | instskip(NEXT) | instid1(VALU_DEP_1)
	v_cndmask_b32_e64 v26, 0x7f800000, v25, s1
	v_add_f32_e32 v27, 1.0, v26
	v_cmp_gt_f32_e64 s14, 0x33800000, |v26|
	s_delay_alu instid0(VALU_DEP_2) | instskip(NEXT) | instid1(VALU_DEP_1)
	v_cvt_f64_f32_e32 v[24:25], v27
	v_frexp_exp_i32_f64_e32 v24, v[24:25]
	v_frexp_mant_f32_e32 v25, v27
	s_delay_alu instid0(VALU_DEP_1) | instskip(SKIP_1) | instid1(VALU_DEP_1)
	v_cmp_gt_f32_e64 s1, 0x3f2aaaab, v25
	v_add_f32_e32 v25, -1.0, v27
	v_sub_f32_e32 v29, v25, v27
	v_sub_f32_e32 v25, v26, v25
	s_delay_alu instid0(VALU_DEP_4) | instskip(SKIP_1) | instid1(VALU_DEP_1)
	v_subrev_co_ci_u32_e64 v24, s1, 0, v24, s1
	s_mov_b32 s1, 0x3e9b6dac
	v_sub_nc_u32_e32 v28, 0, v24
	v_cvt_f32_i32_e32 v24, v24
	s_delay_alu instid0(VALU_DEP_2) | instskip(NEXT) | instid1(VALU_DEP_1)
	v_ldexp_f32 v27, v27, v28
	v_dual_add_f32 v30, 1.0, v27 :: v_dual_add_f32 v29, 1.0, v29
	s_delay_alu instid0(VALU_DEP_1) | instskip(NEXT) | instid1(VALU_DEP_2)
	v_add_f32_e32 v25, v25, v29
	v_add_f32_e32 v29, -1.0, v30
	s_delay_alu instid0(VALU_DEP_2) | instskip(NEXT) | instid1(VALU_DEP_2)
	v_ldexp_f32 v25, v25, v28
	v_dual_add_f32 v28, -1.0, v27 :: v_dual_sub_f32 v29, v27, v29
	s_delay_alu instid0(VALU_DEP_1) | instskip(NEXT) | instid1(VALU_DEP_2)
	v_add_f32_e32 v31, 1.0, v28
	v_add_f32_e32 v29, v25, v29
	s_delay_alu instid0(VALU_DEP_2) | instskip(NEXT) | instid1(VALU_DEP_2)
	v_sub_f32_e32 v27, v27, v31
	v_add_f32_e32 v31, v30, v29
	s_delay_alu instid0(VALU_DEP_2) | instskip(NEXT) | instid1(VALU_DEP_2)
	v_add_f32_e32 v25, v25, v27
	v_rcp_f32_e32 v27, v31
	v_sub_f32_e32 v30, v30, v31
	s_delay_alu instid0(VALU_DEP_1) | instskip(NEXT) | instid1(VALU_DEP_1)
	v_dual_add_f32 v32, v28, v25 :: v_dual_add_f32 v29, v29, v30
	v_sub_f32_e32 v28, v28, v32
	s_waitcnt_depctr 0xfff
	v_mul_f32_e32 v33, v32, v27
	s_delay_alu instid0(VALU_DEP_1) | instskip(NEXT) | instid1(VALU_DEP_1)
	v_dual_add_f32 v25, v25, v28 :: v_dual_mul_f32 v34, v31, v33
	v_fma_f32 v30, v33, v31, -v34
	s_delay_alu instid0(VALU_DEP_1) | instskip(NEXT) | instid1(VALU_DEP_1)
	v_fmac_f32_e32 v30, v33, v29
	v_add_f32_e32 v35, v34, v30
	s_delay_alu instid0(VALU_DEP_1) | instskip(SKIP_1) | instid1(VALU_DEP_2)
	v_sub_f32_e32 v36, v32, v35
	v_sub_f32_e32 v28, v35, v34
	;; [unrolled: 1-line block ×3, first 2 shown]
	s_delay_alu instid0(VALU_DEP_2) | instskip(NEXT) | instid1(VALU_DEP_2)
	v_sub_f32_e32 v28, v28, v30
	v_sub_f32_e32 v32, v32, v35
	s_delay_alu instid0(VALU_DEP_1) | instskip(NEXT) | instid1(VALU_DEP_1)
	v_add_f32_e32 v25, v25, v32
	v_add_f32_e32 v25, v28, v25
	s_delay_alu instid0(VALU_DEP_1) | instskip(NEXT) | instid1(VALU_DEP_1)
	v_add_f32_e32 v28, v36, v25
	v_mul_f32_e32 v30, v27, v28
	s_delay_alu instid0(VALU_DEP_1) | instskip(NEXT) | instid1(VALU_DEP_1)
	v_dual_sub_f32 v35, v36, v28 :: v_dual_mul_f32 v32, v31, v30
	v_add_f32_e32 v25, v25, v35
	s_delay_alu instid0(VALU_DEP_2) | instskip(NEXT) | instid1(VALU_DEP_1)
	v_fma_f32 v31, v30, v31, -v32
	v_fmac_f32_e32 v31, v30, v29
	s_delay_alu instid0(VALU_DEP_1) | instskip(NEXT) | instid1(VALU_DEP_1)
	v_add_f32_e32 v29, v32, v31
	v_sub_f32_e32 v34, v28, v29
	v_sub_f32_e32 v32, v29, v32
	s_delay_alu instid0(VALU_DEP_2) | instskip(NEXT) | instid1(VALU_DEP_1)
	v_sub_f32_e32 v28, v28, v34
	v_sub_f32_e32 v28, v28, v29
	s_delay_alu instid0(VALU_DEP_3) | instskip(NEXT) | instid1(VALU_DEP_2)
	v_sub_f32_e32 v29, v32, v31
	v_add_f32_e32 v25, v25, v28
	v_add_f32_e32 v28, v33, v30
	s_delay_alu instid0(VALU_DEP_2) | instskip(NEXT) | instid1(VALU_DEP_2)
	v_add_f32_e32 v25, v29, v25
	v_sub_f32_e32 v29, v28, v33
	s_delay_alu instid0(VALU_DEP_2) | instskip(NEXT) | instid1(VALU_DEP_2)
	v_add_f32_e32 v25, v34, v25
	v_sub_f32_e32 v29, v30, v29
	s_delay_alu instid0(VALU_DEP_2) | instskip(NEXT) | instid1(VALU_DEP_1)
	v_mul_f32_e32 v25, v27, v25
	v_add_f32_e32 v25, v29, v25
	s_delay_alu instid0(VALU_DEP_1) | instskip(NEXT) | instid1(VALU_DEP_1)
	v_add_f32_e32 v27, v28, v25
	v_mul_f32_e32 v29, v27, v27
	s_delay_alu instid0(VALU_DEP_1) | instskip(SKIP_2) | instid1(VALU_DEP_3)
	v_fmaak_f32 v30, s1, v29, 0x3ecc95a3
	v_mul_f32_e32 v31, v27, v29
	v_cmp_eq_f32_e64 s1, 0x7f800000, v26
	v_fmaak_f32 v29, v29, v30, 0x3f2aaada
	v_ldexp_f32 v30, v27, 1
	v_sub_f32_e32 v27, v27, v28
	s_delay_alu instid0(VALU_DEP_4) | instskip(NEXT) | instid1(VALU_DEP_3)
	s_or_b32 s1, s1, s14
	v_mul_f32_e32 v29, v31, v29
	v_mul_f32_e32 v31, 0x3f317218, v24
	s_delay_alu instid0(VALU_DEP_2) | instskip(NEXT) | instid1(VALU_DEP_1)
	v_dual_sub_f32 v25, v25, v27 :: v_dual_add_f32 v28, v30, v29
	v_ldexp_f32 v25, v25, 1
	s_delay_alu instid0(VALU_DEP_2) | instskip(NEXT) | instid1(VALU_DEP_4)
	v_sub_f32_e32 v27, v28, v30
	v_fma_f32 v30, 0x3f317218, v24, -v31
	s_delay_alu instid0(VALU_DEP_1) | instskip(NEXT) | instid1(VALU_DEP_1)
	v_dual_sub_f32 v27, v29, v27 :: v_dual_fmamk_f32 v24, v24, 0xb102e308, v30
	v_add_f32_e32 v25, v25, v27
	s_delay_alu instid0(VALU_DEP_2) | instskip(NEXT) | instid1(VALU_DEP_2)
	v_add_f32_e32 v27, v31, v24
	v_add_f32_e32 v29, v28, v25
	s_delay_alu instid0(VALU_DEP_2) | instskip(NEXT) | instid1(VALU_DEP_2)
	v_sub_f32_e32 v31, v27, v31
	v_add_f32_e32 v30, v27, v29
	v_sub_f32_e32 v28, v29, v28
	s_delay_alu instid0(VALU_DEP_3) | instskip(NEXT) | instid1(VALU_DEP_2)
	v_sub_f32_e32 v24, v24, v31
	v_dual_sub_f32 v32, v30, v27 :: v_dual_sub_f32 v25, v25, v28
	s_delay_alu instid0(VALU_DEP_1) | instskip(NEXT) | instid1(VALU_DEP_2)
	v_sub_f32_e32 v33, v30, v32
	v_dual_sub_f32 v28, v29, v32 :: v_dual_add_f32 v29, v24, v25
	s_delay_alu instid0(VALU_DEP_2) | instskip(NEXT) | instid1(VALU_DEP_1)
	v_sub_f32_e32 v27, v27, v33
	v_dual_add_f32 v27, v28, v27 :: v_dual_sub_f32 v28, v29, v24
	s_delay_alu instid0(VALU_DEP_1) | instskip(NEXT) | instid1(VALU_DEP_2)
	v_add_f32_e32 v27, v29, v27
	v_sub_f32_e32 v29, v29, v28
	v_sub_f32_e32 v25, v25, v28
	s_delay_alu instid0(VALU_DEP_2) | instskip(NEXT) | instid1(VALU_DEP_1)
	v_dual_add_f32 v31, v30, v27 :: v_dual_sub_f32 v24, v24, v29
	v_sub_f32_e32 v28, v31, v30
	s_delay_alu instid0(VALU_DEP_2) | instskip(NEXT) | instid1(VALU_DEP_2)
	v_add_f32_e32 v24, v25, v24
	v_sub_f32_e32 v25, v27, v28
	s_delay_alu instid0(VALU_DEP_1) | instskip(NEXT) | instid1(VALU_DEP_1)
	v_add_f32_e32 v24, v24, v25
	v_add_f32_e32 v24, v31, v24
	s_delay_alu instid0(VALU_DEP_1) | instskip(NEXT) | instid1(VALU_DEP_1)
	v_cndmask_b32_e64 v24, v24, v26, s1
	v_add_f32_e32 v24, v23, v24
.LBB154_40:
	s_or_b32 exec_lo, exec_lo, s13
	s_delay_alu instid0(VALU_DEP_1)
	v_mov_b32_e32 v23, v24
.LBB154_41:
	s_or_b32 exec_lo, exec_lo, s12
	s_delay_alu instid0(VALU_DEP_1)
	v_mov_b32_dpp v24, v23 row_shr:8 row_mask:0xf bank_mask:0xf
	s_mov_b32 s12, exec_lo
	v_cmpx_lt_u32_e32 7, v22
	s_cbranch_execz .LBB154_45
; %bb.42:
	s_delay_alu instid0(VALU_DEP_2) | instskip(SKIP_1) | instid1(VALU_DEP_2)
	v_dual_max_f32 v22, v23, v23 :: v_dual_max_f32 v25, v24, v24
	v_cmp_u_f32_e64 s1, v24, v24
	v_min_f32_e32 v26, v25, v22
	v_max_f32_e32 v22, v25, v22
	s_delay_alu instid0(VALU_DEP_2) | instskip(NEXT) | instid1(VALU_DEP_2)
	v_cndmask_b32_e64 v25, v26, v24, s1
	v_cndmask_b32_e64 v22, v22, v24, s1
	v_cmp_u_f32_e64 s1, v23, v23
	s_delay_alu instid0(VALU_DEP_1) | instskip(NEXT) | instid1(VALU_DEP_3)
	v_cndmask_b32_e64 v25, v25, v23, s1
	v_cndmask_b32_e64 v22, v22, v23, s1
	s_delay_alu instid0(VALU_DEP_2) | instskip(NEXT) | instid1(VALU_DEP_2)
	v_cmp_class_f32_e64 s13, v25, 0x1f8
	v_cmp_neq_f32_e64 s1, v25, v22
	s_delay_alu instid0(VALU_DEP_1) | instskip(NEXT) | instid1(SALU_CYCLE_1)
	s_or_b32 s1, s1, s13
	s_and_saveexec_b32 s13, s1
	s_cbranch_execz .LBB154_44
; %bb.43:
	v_sub_f32_e32 v23, v25, v22
	s_delay_alu instid0(VALU_DEP_1) | instskip(NEXT) | instid1(VALU_DEP_1)
	v_mul_f32_e32 v24, 0x3fb8aa3b, v23
	v_fma_f32 v25, 0x3fb8aa3b, v23, -v24
	v_rndne_f32_e32 v26, v24
	s_delay_alu instid0(VALU_DEP_1) | instskip(NEXT) | instid1(VALU_DEP_1)
	v_dual_fmamk_f32 v25, v23, 0x32a5705f, v25 :: v_dual_sub_f32 v24, v24, v26
	v_add_f32_e32 v24, v24, v25
	v_cvt_i32_f32_e32 v25, v26
	v_cmp_ngt_f32_e64 s1, 0xc2ce8ed0, v23
	s_delay_alu instid0(VALU_DEP_3) | instskip(SKIP_2) | instid1(VALU_DEP_1)
	v_exp_f32_e32 v24, v24
	s_waitcnt_depctr 0xfff
	v_ldexp_f32 v24, v24, v25
	v_cndmask_b32_e64 v24, 0, v24, s1
	v_cmp_nlt_f32_e64 s1, 0x42b17218, v23
	s_delay_alu instid0(VALU_DEP_1) | instskip(NEXT) | instid1(VALU_DEP_1)
	v_cndmask_b32_e64 v25, 0x7f800000, v24, s1
	v_add_f32_e32 v26, 1.0, v25
	v_cmp_gt_f32_e64 s14, 0x33800000, |v25|
	s_delay_alu instid0(VALU_DEP_2) | instskip(NEXT) | instid1(VALU_DEP_1)
	v_cvt_f64_f32_e32 v[23:24], v26
	v_frexp_exp_i32_f64_e32 v23, v[23:24]
	v_frexp_mant_f32_e32 v24, v26
	s_delay_alu instid0(VALU_DEP_1) | instskip(SKIP_1) | instid1(VALU_DEP_1)
	v_cmp_gt_f32_e64 s1, 0x3f2aaaab, v24
	v_add_f32_e32 v24, -1.0, v26
	v_sub_f32_e32 v28, v24, v26
	s_delay_alu instid0(VALU_DEP_3) | instskip(SKIP_1) | instid1(VALU_DEP_1)
	v_subrev_co_ci_u32_e64 v23, s1, 0, v23, s1
	s_mov_b32 s1, 0x3e9b6dac
	v_sub_nc_u32_e32 v27, 0, v23
	v_cvt_f32_i32_e32 v23, v23
	s_delay_alu instid0(VALU_DEP_2) | instskip(NEXT) | instid1(VALU_DEP_1)
	v_ldexp_f32 v26, v26, v27
	v_dual_sub_f32 v24, v25, v24 :: v_dual_add_f32 v29, 1.0, v26
	v_add_f32_e32 v28, 1.0, v28
	s_delay_alu instid0(VALU_DEP_1) | instskip(NEXT) | instid1(VALU_DEP_3)
	v_add_f32_e32 v24, v24, v28
	v_add_f32_e32 v28, -1.0, v29
	s_delay_alu instid0(VALU_DEP_2) | instskip(NEXT) | instid1(VALU_DEP_2)
	v_ldexp_f32 v24, v24, v27
	v_dual_add_f32 v27, -1.0, v26 :: v_dual_sub_f32 v28, v26, v28
	s_delay_alu instid0(VALU_DEP_1) | instskip(NEXT) | instid1(VALU_DEP_2)
	v_add_f32_e32 v30, 1.0, v27
	v_add_f32_e32 v28, v24, v28
	s_delay_alu instid0(VALU_DEP_2) | instskip(NEXT) | instid1(VALU_DEP_2)
	v_sub_f32_e32 v26, v26, v30
	v_add_f32_e32 v30, v29, v28
	s_delay_alu instid0(VALU_DEP_2) | instskip(NEXT) | instid1(VALU_DEP_2)
	v_add_f32_e32 v24, v24, v26
	v_rcp_f32_e32 v26, v30
	v_sub_f32_e32 v29, v29, v30
	s_delay_alu instid0(VALU_DEP_1) | instskip(NEXT) | instid1(VALU_DEP_1)
	v_dual_add_f32 v31, v27, v24 :: v_dual_add_f32 v28, v28, v29
	v_sub_f32_e32 v27, v27, v31
	s_waitcnt_depctr 0xfff
	v_mul_f32_e32 v32, v31, v26
	s_delay_alu instid0(VALU_DEP_1) | instskip(NEXT) | instid1(VALU_DEP_1)
	v_dual_add_f32 v24, v24, v27 :: v_dual_mul_f32 v33, v30, v32
	v_fma_f32 v29, v32, v30, -v33
	s_delay_alu instid0(VALU_DEP_1) | instskip(NEXT) | instid1(VALU_DEP_1)
	v_fmac_f32_e32 v29, v32, v28
	v_add_f32_e32 v34, v33, v29
	s_delay_alu instid0(VALU_DEP_1) | instskip(SKIP_1) | instid1(VALU_DEP_2)
	v_sub_f32_e32 v35, v31, v34
	v_sub_f32_e32 v27, v34, v33
	;; [unrolled: 1-line block ×3, first 2 shown]
	s_delay_alu instid0(VALU_DEP_2) | instskip(NEXT) | instid1(VALU_DEP_2)
	v_sub_f32_e32 v27, v27, v29
	v_sub_f32_e32 v31, v31, v34
	s_delay_alu instid0(VALU_DEP_1) | instskip(NEXT) | instid1(VALU_DEP_1)
	v_add_f32_e32 v24, v24, v31
	v_add_f32_e32 v24, v27, v24
	s_delay_alu instid0(VALU_DEP_1) | instskip(NEXT) | instid1(VALU_DEP_1)
	v_add_f32_e32 v27, v35, v24
	v_mul_f32_e32 v29, v26, v27
	s_delay_alu instid0(VALU_DEP_1) | instskip(NEXT) | instid1(VALU_DEP_1)
	v_dual_sub_f32 v34, v35, v27 :: v_dual_mul_f32 v31, v30, v29
	v_add_f32_e32 v24, v24, v34
	s_delay_alu instid0(VALU_DEP_2) | instskip(NEXT) | instid1(VALU_DEP_1)
	v_fma_f32 v30, v29, v30, -v31
	v_fmac_f32_e32 v30, v29, v28
	s_delay_alu instid0(VALU_DEP_1) | instskip(NEXT) | instid1(VALU_DEP_1)
	v_add_f32_e32 v28, v31, v30
	v_sub_f32_e32 v33, v27, v28
	v_sub_f32_e32 v31, v28, v31
	s_delay_alu instid0(VALU_DEP_2) | instskip(NEXT) | instid1(VALU_DEP_1)
	v_sub_f32_e32 v27, v27, v33
	v_sub_f32_e32 v27, v27, v28
	s_delay_alu instid0(VALU_DEP_3) | instskip(NEXT) | instid1(VALU_DEP_2)
	v_sub_f32_e32 v28, v31, v30
	v_add_f32_e32 v24, v24, v27
	v_add_f32_e32 v27, v32, v29
	s_delay_alu instid0(VALU_DEP_2) | instskip(NEXT) | instid1(VALU_DEP_2)
	v_add_f32_e32 v24, v28, v24
	v_sub_f32_e32 v28, v27, v32
	s_delay_alu instid0(VALU_DEP_2) | instskip(NEXT) | instid1(VALU_DEP_2)
	v_add_f32_e32 v24, v33, v24
	v_sub_f32_e32 v28, v29, v28
	s_delay_alu instid0(VALU_DEP_2) | instskip(NEXT) | instid1(VALU_DEP_1)
	v_mul_f32_e32 v24, v26, v24
	v_add_f32_e32 v24, v28, v24
	s_delay_alu instid0(VALU_DEP_1) | instskip(NEXT) | instid1(VALU_DEP_1)
	v_add_f32_e32 v26, v27, v24
	v_mul_f32_e32 v28, v26, v26
	s_delay_alu instid0(VALU_DEP_1) | instskip(SKIP_2) | instid1(VALU_DEP_3)
	v_fmaak_f32 v29, s1, v28, 0x3ecc95a3
	v_mul_f32_e32 v30, v26, v28
	v_cmp_eq_f32_e64 s1, 0x7f800000, v25
	v_fmaak_f32 v28, v28, v29, 0x3f2aaada
	v_ldexp_f32 v29, v26, 1
	v_sub_f32_e32 v26, v26, v27
	s_delay_alu instid0(VALU_DEP_4) | instskip(NEXT) | instid1(VALU_DEP_3)
	s_or_b32 s1, s1, s14
	v_mul_f32_e32 v28, v30, v28
	v_mul_f32_e32 v30, 0x3f317218, v23
	s_delay_alu instid0(VALU_DEP_2) | instskip(NEXT) | instid1(VALU_DEP_1)
	v_dual_sub_f32 v24, v24, v26 :: v_dual_add_f32 v27, v29, v28
	v_ldexp_f32 v24, v24, 1
	s_delay_alu instid0(VALU_DEP_2) | instskip(NEXT) | instid1(VALU_DEP_4)
	v_sub_f32_e32 v26, v27, v29
	v_fma_f32 v29, 0x3f317218, v23, -v30
	s_delay_alu instid0(VALU_DEP_1) | instskip(NEXT) | instid1(VALU_DEP_1)
	v_dual_sub_f32 v26, v28, v26 :: v_dual_fmamk_f32 v23, v23, 0xb102e308, v29
	v_add_f32_e32 v24, v24, v26
	s_delay_alu instid0(VALU_DEP_2) | instskip(NEXT) | instid1(VALU_DEP_2)
	v_add_f32_e32 v26, v30, v23
	v_add_f32_e32 v28, v27, v24
	s_delay_alu instid0(VALU_DEP_2) | instskip(NEXT) | instid1(VALU_DEP_2)
	v_sub_f32_e32 v30, v26, v30
	v_add_f32_e32 v29, v26, v28
	v_sub_f32_e32 v27, v28, v27
	s_delay_alu instid0(VALU_DEP_3) | instskip(NEXT) | instid1(VALU_DEP_2)
	v_sub_f32_e32 v23, v23, v30
	v_dual_sub_f32 v31, v29, v26 :: v_dual_sub_f32 v24, v24, v27
	s_delay_alu instid0(VALU_DEP_1) | instskip(NEXT) | instid1(VALU_DEP_2)
	v_sub_f32_e32 v32, v29, v31
	v_dual_sub_f32 v27, v28, v31 :: v_dual_add_f32 v28, v23, v24
	s_delay_alu instid0(VALU_DEP_2) | instskip(NEXT) | instid1(VALU_DEP_1)
	v_sub_f32_e32 v26, v26, v32
	v_dual_add_f32 v26, v27, v26 :: v_dual_sub_f32 v27, v28, v23
	s_delay_alu instid0(VALU_DEP_1) | instskip(NEXT) | instid1(VALU_DEP_2)
	v_add_f32_e32 v26, v28, v26
	v_sub_f32_e32 v28, v28, v27
	v_sub_f32_e32 v24, v24, v27
	s_delay_alu instid0(VALU_DEP_2) | instskip(NEXT) | instid1(VALU_DEP_1)
	v_dual_add_f32 v30, v29, v26 :: v_dual_sub_f32 v23, v23, v28
	v_sub_f32_e32 v27, v30, v29
	s_delay_alu instid0(VALU_DEP_2) | instskip(NEXT) | instid1(VALU_DEP_2)
	v_add_f32_e32 v23, v24, v23
	v_sub_f32_e32 v24, v26, v27
	s_delay_alu instid0(VALU_DEP_1) | instskip(NEXT) | instid1(VALU_DEP_1)
	v_add_f32_e32 v23, v23, v24
	v_add_f32_e32 v23, v30, v23
	s_delay_alu instid0(VALU_DEP_1) | instskip(NEXT) | instid1(VALU_DEP_1)
	v_cndmask_b32_e64 v23, v23, v25, s1
	v_add_f32_e32 v24, v22, v23
.LBB154_44:
	s_or_b32 exec_lo, exec_lo, s13
	s_delay_alu instid0(VALU_DEP_1)
	v_mov_b32_e32 v23, v24
.LBB154_45:
	s_or_b32 exec_lo, exec_lo, s12
	ds_swizzle_b32 v24, v23 offset:swizzle(BROADCAST,32,15)
	v_and_b32_e32 v22, 16, v6
	s_mov_b32 s12, exec_lo
	s_delay_alu instid0(VALU_DEP_1)
	v_cmpx_ne_u32_e32 0, v22
	s_cbranch_execz .LBB154_49
; %bb.46:
	s_waitcnt lgkmcnt(0)
	v_dual_max_f32 v22, v23, v23 :: v_dual_max_f32 v25, v24, v24
	v_cmp_u_f32_e64 s1, v24, v24
	s_delay_alu instid0(VALU_DEP_2) | instskip(SKIP_1) | instid1(VALU_DEP_2)
	v_min_f32_e32 v26, v25, v22
	v_max_f32_e32 v22, v25, v22
	v_cndmask_b32_e64 v25, v26, v24, s1
	s_delay_alu instid0(VALU_DEP_2) | instskip(SKIP_1) | instid1(VALU_DEP_1)
	v_cndmask_b32_e64 v22, v22, v24, s1
	v_cmp_u_f32_e64 s1, v23, v23
	v_cndmask_b32_e64 v25, v25, v23, s1
	s_delay_alu instid0(VALU_DEP_3) | instskip(NEXT) | instid1(VALU_DEP_2)
	v_cndmask_b32_e64 v22, v22, v23, s1
	v_cmp_class_f32_e64 s13, v25, 0x1f8
	s_delay_alu instid0(VALU_DEP_2) | instskip(NEXT) | instid1(VALU_DEP_1)
	v_cmp_neq_f32_e64 s1, v25, v22
	s_or_b32 s1, s1, s13
	s_delay_alu instid0(SALU_CYCLE_1)
	s_and_saveexec_b32 s13, s1
	s_cbranch_execz .LBB154_48
; %bb.47:
	v_sub_f32_e32 v23, v25, v22
	s_delay_alu instid0(VALU_DEP_1) | instskip(NEXT) | instid1(VALU_DEP_1)
	v_mul_f32_e32 v24, 0x3fb8aa3b, v23
	v_fma_f32 v25, 0x3fb8aa3b, v23, -v24
	v_rndne_f32_e32 v26, v24
	s_delay_alu instid0(VALU_DEP_1) | instskip(NEXT) | instid1(VALU_DEP_1)
	v_dual_fmamk_f32 v25, v23, 0x32a5705f, v25 :: v_dual_sub_f32 v24, v24, v26
	v_add_f32_e32 v24, v24, v25
	v_cvt_i32_f32_e32 v25, v26
	v_cmp_ngt_f32_e64 s1, 0xc2ce8ed0, v23
	s_delay_alu instid0(VALU_DEP_3) | instskip(SKIP_2) | instid1(VALU_DEP_1)
	v_exp_f32_e32 v24, v24
	s_waitcnt_depctr 0xfff
	v_ldexp_f32 v24, v24, v25
	v_cndmask_b32_e64 v24, 0, v24, s1
	v_cmp_nlt_f32_e64 s1, 0x42b17218, v23
	s_delay_alu instid0(VALU_DEP_1) | instskip(NEXT) | instid1(VALU_DEP_1)
	v_cndmask_b32_e64 v25, 0x7f800000, v24, s1
	v_add_f32_e32 v26, 1.0, v25
	v_cmp_gt_f32_e64 s14, 0x33800000, |v25|
	s_delay_alu instid0(VALU_DEP_2) | instskip(NEXT) | instid1(VALU_DEP_1)
	v_cvt_f64_f32_e32 v[23:24], v26
	v_frexp_exp_i32_f64_e32 v23, v[23:24]
	v_frexp_mant_f32_e32 v24, v26
	s_delay_alu instid0(VALU_DEP_1) | instskip(SKIP_1) | instid1(VALU_DEP_1)
	v_cmp_gt_f32_e64 s1, 0x3f2aaaab, v24
	v_add_f32_e32 v24, -1.0, v26
	v_sub_f32_e32 v28, v24, v26
	s_delay_alu instid0(VALU_DEP_3) | instskip(SKIP_1) | instid1(VALU_DEP_1)
	v_subrev_co_ci_u32_e64 v23, s1, 0, v23, s1
	s_mov_b32 s1, 0x3e9b6dac
	v_sub_nc_u32_e32 v27, 0, v23
	v_cvt_f32_i32_e32 v23, v23
	s_delay_alu instid0(VALU_DEP_2) | instskip(NEXT) | instid1(VALU_DEP_1)
	v_ldexp_f32 v26, v26, v27
	v_dual_sub_f32 v24, v25, v24 :: v_dual_add_f32 v29, 1.0, v26
	v_add_f32_e32 v28, 1.0, v28
	s_delay_alu instid0(VALU_DEP_1) | instskip(NEXT) | instid1(VALU_DEP_3)
	v_add_f32_e32 v24, v24, v28
	v_add_f32_e32 v28, -1.0, v29
	s_delay_alu instid0(VALU_DEP_2) | instskip(NEXT) | instid1(VALU_DEP_2)
	v_ldexp_f32 v24, v24, v27
	v_dual_add_f32 v27, -1.0, v26 :: v_dual_sub_f32 v28, v26, v28
	s_delay_alu instid0(VALU_DEP_1) | instskip(NEXT) | instid1(VALU_DEP_2)
	v_add_f32_e32 v30, 1.0, v27
	v_add_f32_e32 v28, v24, v28
	s_delay_alu instid0(VALU_DEP_2) | instskip(NEXT) | instid1(VALU_DEP_2)
	v_sub_f32_e32 v26, v26, v30
	v_add_f32_e32 v30, v29, v28
	s_delay_alu instid0(VALU_DEP_2) | instskip(NEXT) | instid1(VALU_DEP_2)
	v_add_f32_e32 v24, v24, v26
	v_rcp_f32_e32 v26, v30
	v_sub_f32_e32 v29, v29, v30
	s_delay_alu instid0(VALU_DEP_1) | instskip(NEXT) | instid1(VALU_DEP_1)
	v_dual_add_f32 v31, v27, v24 :: v_dual_add_f32 v28, v28, v29
	v_sub_f32_e32 v27, v27, v31
	s_waitcnt_depctr 0xfff
	v_mul_f32_e32 v32, v31, v26
	s_delay_alu instid0(VALU_DEP_1) | instskip(NEXT) | instid1(VALU_DEP_1)
	v_dual_add_f32 v24, v24, v27 :: v_dual_mul_f32 v33, v30, v32
	v_fma_f32 v29, v32, v30, -v33
	s_delay_alu instid0(VALU_DEP_1) | instskip(NEXT) | instid1(VALU_DEP_1)
	v_fmac_f32_e32 v29, v32, v28
	v_add_f32_e32 v34, v33, v29
	s_delay_alu instid0(VALU_DEP_1) | instskip(SKIP_1) | instid1(VALU_DEP_2)
	v_sub_f32_e32 v35, v31, v34
	v_sub_f32_e32 v27, v34, v33
	v_sub_f32_e32 v31, v31, v35
	s_delay_alu instid0(VALU_DEP_2) | instskip(NEXT) | instid1(VALU_DEP_2)
	v_sub_f32_e32 v27, v27, v29
	v_sub_f32_e32 v31, v31, v34
	s_delay_alu instid0(VALU_DEP_1) | instskip(NEXT) | instid1(VALU_DEP_1)
	v_add_f32_e32 v24, v24, v31
	v_add_f32_e32 v24, v27, v24
	s_delay_alu instid0(VALU_DEP_1) | instskip(NEXT) | instid1(VALU_DEP_1)
	v_add_f32_e32 v27, v35, v24
	v_mul_f32_e32 v29, v26, v27
	s_delay_alu instid0(VALU_DEP_1) | instskip(NEXT) | instid1(VALU_DEP_1)
	v_dual_sub_f32 v34, v35, v27 :: v_dual_mul_f32 v31, v30, v29
	v_add_f32_e32 v24, v24, v34
	s_delay_alu instid0(VALU_DEP_2) | instskip(NEXT) | instid1(VALU_DEP_1)
	v_fma_f32 v30, v29, v30, -v31
	v_fmac_f32_e32 v30, v29, v28
	s_delay_alu instid0(VALU_DEP_1) | instskip(NEXT) | instid1(VALU_DEP_1)
	v_add_f32_e32 v28, v31, v30
	v_sub_f32_e32 v33, v27, v28
	v_sub_f32_e32 v31, v28, v31
	s_delay_alu instid0(VALU_DEP_2) | instskip(NEXT) | instid1(VALU_DEP_1)
	v_sub_f32_e32 v27, v27, v33
	v_sub_f32_e32 v27, v27, v28
	s_delay_alu instid0(VALU_DEP_3) | instskip(NEXT) | instid1(VALU_DEP_2)
	v_sub_f32_e32 v28, v31, v30
	v_add_f32_e32 v24, v24, v27
	v_add_f32_e32 v27, v32, v29
	s_delay_alu instid0(VALU_DEP_2) | instskip(NEXT) | instid1(VALU_DEP_2)
	v_add_f32_e32 v24, v28, v24
	v_sub_f32_e32 v28, v27, v32
	s_delay_alu instid0(VALU_DEP_2) | instskip(NEXT) | instid1(VALU_DEP_2)
	v_add_f32_e32 v24, v33, v24
	v_sub_f32_e32 v28, v29, v28
	s_delay_alu instid0(VALU_DEP_2) | instskip(NEXT) | instid1(VALU_DEP_1)
	v_mul_f32_e32 v24, v26, v24
	v_add_f32_e32 v24, v28, v24
	s_delay_alu instid0(VALU_DEP_1) | instskip(NEXT) | instid1(VALU_DEP_1)
	v_add_f32_e32 v26, v27, v24
	v_mul_f32_e32 v28, v26, v26
	s_delay_alu instid0(VALU_DEP_1) | instskip(SKIP_2) | instid1(VALU_DEP_3)
	v_fmaak_f32 v29, s1, v28, 0x3ecc95a3
	v_mul_f32_e32 v30, v26, v28
	v_cmp_eq_f32_e64 s1, 0x7f800000, v25
	v_fmaak_f32 v28, v28, v29, 0x3f2aaada
	v_ldexp_f32 v29, v26, 1
	v_sub_f32_e32 v26, v26, v27
	s_delay_alu instid0(VALU_DEP_4) | instskip(NEXT) | instid1(VALU_DEP_3)
	s_or_b32 s1, s1, s14
	v_mul_f32_e32 v28, v30, v28
	v_mul_f32_e32 v30, 0x3f317218, v23
	s_delay_alu instid0(VALU_DEP_2) | instskip(NEXT) | instid1(VALU_DEP_1)
	v_dual_sub_f32 v24, v24, v26 :: v_dual_add_f32 v27, v29, v28
	v_ldexp_f32 v24, v24, 1
	s_delay_alu instid0(VALU_DEP_2) | instskip(NEXT) | instid1(VALU_DEP_4)
	v_sub_f32_e32 v26, v27, v29
	v_fma_f32 v29, 0x3f317218, v23, -v30
	s_delay_alu instid0(VALU_DEP_1) | instskip(NEXT) | instid1(VALU_DEP_1)
	v_dual_sub_f32 v26, v28, v26 :: v_dual_fmamk_f32 v23, v23, 0xb102e308, v29
	v_add_f32_e32 v24, v24, v26
	s_delay_alu instid0(VALU_DEP_2) | instskip(NEXT) | instid1(VALU_DEP_2)
	v_add_f32_e32 v26, v30, v23
	v_add_f32_e32 v28, v27, v24
	s_delay_alu instid0(VALU_DEP_2) | instskip(NEXT) | instid1(VALU_DEP_2)
	v_sub_f32_e32 v30, v26, v30
	v_add_f32_e32 v29, v26, v28
	v_sub_f32_e32 v27, v28, v27
	s_delay_alu instid0(VALU_DEP_3) | instskip(NEXT) | instid1(VALU_DEP_2)
	v_sub_f32_e32 v23, v23, v30
	v_dual_sub_f32 v31, v29, v26 :: v_dual_sub_f32 v24, v24, v27
	s_delay_alu instid0(VALU_DEP_1) | instskip(NEXT) | instid1(VALU_DEP_2)
	v_sub_f32_e32 v32, v29, v31
	v_dual_sub_f32 v27, v28, v31 :: v_dual_add_f32 v28, v23, v24
	s_delay_alu instid0(VALU_DEP_2) | instskip(NEXT) | instid1(VALU_DEP_1)
	v_sub_f32_e32 v26, v26, v32
	v_dual_add_f32 v26, v27, v26 :: v_dual_sub_f32 v27, v28, v23
	s_delay_alu instid0(VALU_DEP_1) | instskip(NEXT) | instid1(VALU_DEP_2)
	v_add_f32_e32 v26, v28, v26
	v_sub_f32_e32 v28, v28, v27
	v_sub_f32_e32 v24, v24, v27
	s_delay_alu instid0(VALU_DEP_2) | instskip(NEXT) | instid1(VALU_DEP_1)
	v_dual_add_f32 v30, v29, v26 :: v_dual_sub_f32 v23, v23, v28
	v_sub_f32_e32 v27, v30, v29
	s_delay_alu instid0(VALU_DEP_2) | instskip(NEXT) | instid1(VALU_DEP_2)
	v_add_f32_e32 v23, v24, v23
	v_sub_f32_e32 v24, v26, v27
	s_delay_alu instid0(VALU_DEP_1) | instskip(NEXT) | instid1(VALU_DEP_1)
	v_add_f32_e32 v23, v23, v24
	v_add_f32_e32 v23, v30, v23
	s_delay_alu instid0(VALU_DEP_1) | instskip(NEXT) | instid1(VALU_DEP_1)
	v_cndmask_b32_e64 v23, v23, v25, s1
	v_add_f32_e32 v24, v22, v23
.LBB154_48:
	s_or_b32 exec_lo, exec_lo, s13
	s_delay_alu instid0(VALU_DEP_1)
	v_mov_b32_e32 v23, v24
.LBB154_49:
	s_or_b32 exec_lo, exec_lo, s12
	v_add_nc_u32_e32 v22, -1, v6
	s_delay_alu instid0(VALU_DEP_1) | instskip(NEXT) | instid1(VALU_DEP_1)
	v_cmp_gt_i32_e64 s1, 0, v22
	v_cndmask_b32_e64 v6, v22, v6, s1
	s_delay_alu instid0(VALU_DEP_1) | instskip(SKIP_4) | instid1(VALU_DEP_2)
	v_lshlrev_b32_e32 v6, 2, v6
	ds_bpermute_b32 v6, v6, v23
	s_waitcnt lgkmcnt(0)
	v_max_f32_e32 v22, v6, v6
	v_cmp_u_f32_e64 s1, v6, v6
	v_min_f32_e32 v23, v22, v21
	v_max_f32_e32 v21, v22, v21
	s_delay_alu instid0(VALU_DEP_2) | instskip(NEXT) | instid1(VALU_DEP_2)
	v_cndmask_b32_e64 v22, v23, v6, s1
	v_cndmask_b32_e64 v23, v21, v6, s1
	s_delay_alu instid0(VALU_DEP_2) | instskip(NEXT) | instid1(VALU_DEP_2)
	v_cndmask_b32_e64 v21, v22, v5, s0
	v_cndmask_b32_e64 v5, v23, v5, s0
	s_delay_alu instid0(VALU_DEP_2) | instskip(NEXT) | instid1(VALU_DEP_2)
	v_cmp_class_f32_e64 s1, v21, 0x1f8
	v_cmp_neq_f32_e64 s0, v21, v5
	s_delay_alu instid0(VALU_DEP_1) | instskip(NEXT) | instid1(SALU_CYCLE_1)
	s_or_b32 s0, s0, s1
	s_and_saveexec_b32 s1, s0
	s_cbranch_execz .LBB154_51
; %bb.50:
	v_sub_f32_e32 v6, v21, v5
	s_delay_alu instid0(VALU_DEP_1) | instskip(SKIP_1) | instid1(VALU_DEP_2)
	v_mul_f32_e32 v21, 0x3fb8aa3b, v6
	v_cmp_ngt_f32_e64 s0, 0xc2ce8ed0, v6
	v_fma_f32 v22, 0x3fb8aa3b, v6, -v21
	v_rndne_f32_e32 v23, v21
	s_delay_alu instid0(VALU_DEP_1) | instskip(NEXT) | instid1(VALU_DEP_1)
	v_dual_fmamk_f32 v22, v6, 0x32a5705f, v22 :: v_dual_sub_f32 v21, v21, v23
	v_add_f32_e32 v21, v21, v22
	v_cvt_i32_f32_e32 v22, v23
	s_delay_alu instid0(VALU_DEP_2) | instskip(SKIP_2) | instid1(VALU_DEP_1)
	v_exp_f32_e32 v21, v21
	s_waitcnt_depctr 0xfff
	v_ldexp_f32 v21, v21, v22
	v_cndmask_b32_e64 v21, 0, v21, s0
	v_cmp_nlt_f32_e64 s0, 0x42b17218, v6
	s_delay_alu instid0(VALU_DEP_1) | instskip(NEXT) | instid1(VALU_DEP_1)
	v_cndmask_b32_e64 v6, 0x7f800000, v21, s0
	v_add_f32_e32 v23, 1.0, v6
	v_cmp_gt_f32_e64 s12, 0x33800000, |v6|
	s_delay_alu instid0(VALU_DEP_2) | instskip(NEXT) | instid1(VALU_DEP_1)
	v_cvt_f64_f32_e32 v[21:22], v23
	v_frexp_exp_i32_f64_e32 v21, v[21:22]
	v_frexp_mant_f32_e32 v22, v23
	s_delay_alu instid0(VALU_DEP_1) | instskip(SKIP_1) | instid1(VALU_DEP_1)
	v_cmp_gt_f32_e64 s0, 0x3f2aaaab, v22
	v_add_f32_e32 v22, -1.0, v23
	v_sub_f32_e32 v25, v22, v23
	s_delay_alu instid0(VALU_DEP_1) | instskip(NEXT) | instid1(VALU_DEP_1)
	v_dual_sub_f32 v22, v6, v22 :: v_dual_add_f32 v25, 1.0, v25
	v_add_f32_e32 v22, v22, v25
	v_subrev_co_ci_u32_e64 v21, s0, 0, v21, s0
	s_mov_b32 s0, 0x3e9b6dac
	s_delay_alu instid0(VALU_DEP_1) | instskip(SKIP_1) | instid1(VALU_DEP_2)
	v_sub_nc_u32_e32 v24, 0, v21
	v_cvt_f32_i32_e32 v21, v21
	v_ldexp_f32 v23, v23, v24
	v_ldexp_f32 v22, v22, v24
	s_delay_alu instid0(VALU_DEP_2) | instskip(NEXT) | instid1(VALU_DEP_1)
	v_add_f32_e32 v26, 1.0, v23
	v_dual_add_f32 v24, -1.0, v23 :: v_dual_add_f32 v25, -1.0, v26
	s_delay_alu instid0(VALU_DEP_1) | instskip(NEXT) | instid1(VALU_DEP_2)
	v_add_f32_e32 v27, 1.0, v24
	v_sub_f32_e32 v25, v23, v25
	s_delay_alu instid0(VALU_DEP_2) | instskip(NEXT) | instid1(VALU_DEP_2)
	v_sub_f32_e32 v23, v23, v27
	v_add_f32_e32 v25, v22, v25
	s_delay_alu instid0(VALU_DEP_2) | instskip(NEXT) | instid1(VALU_DEP_1)
	v_add_f32_e32 v22, v22, v23
	v_dual_add_f32 v28, v24, v22 :: v_dual_add_f32 v27, v26, v25
	s_delay_alu instid0(VALU_DEP_1) | instskip(NEXT) | instid1(VALU_DEP_2)
	v_sub_f32_e32 v24, v24, v28
	v_rcp_f32_e32 v23, v27
	v_sub_f32_e32 v26, v26, v27
	s_delay_alu instid0(VALU_DEP_1) | instskip(SKIP_2) | instid1(VALU_DEP_1)
	v_dual_add_f32 v22, v22, v24 :: v_dual_add_f32 v25, v25, v26
	s_waitcnt_depctr 0xfff
	v_mul_f32_e32 v29, v28, v23
	v_mul_f32_e32 v30, v27, v29
	s_delay_alu instid0(VALU_DEP_1) | instskip(NEXT) | instid1(VALU_DEP_1)
	v_fma_f32 v26, v29, v27, -v30
	v_fmac_f32_e32 v26, v29, v25
	s_delay_alu instid0(VALU_DEP_1) | instskip(NEXT) | instid1(VALU_DEP_1)
	v_add_f32_e32 v31, v30, v26
	v_sub_f32_e32 v32, v28, v31
	s_delay_alu instid0(VALU_DEP_1) | instskip(SKIP_1) | instid1(VALU_DEP_2)
	v_sub_f32_e32 v28, v28, v32
	v_sub_f32_e32 v24, v31, v30
	v_sub_f32_e32 v28, v28, v31
	s_delay_alu instid0(VALU_DEP_2) | instskip(NEXT) | instid1(VALU_DEP_2)
	v_sub_f32_e32 v24, v24, v26
	v_add_f32_e32 v22, v22, v28
	s_delay_alu instid0(VALU_DEP_1) | instskip(NEXT) | instid1(VALU_DEP_1)
	v_add_f32_e32 v22, v24, v22
	v_add_f32_e32 v24, v32, v22
	s_delay_alu instid0(VALU_DEP_1) | instskip(NEXT) | instid1(VALU_DEP_1)
	v_mul_f32_e32 v26, v23, v24
	v_dual_sub_f32 v31, v32, v24 :: v_dual_mul_f32 v28, v27, v26
	s_delay_alu instid0(VALU_DEP_1) | instskip(NEXT) | instid1(VALU_DEP_2)
	v_add_f32_e32 v22, v22, v31
	v_fma_f32 v27, v26, v27, -v28
	s_delay_alu instid0(VALU_DEP_1) | instskip(NEXT) | instid1(VALU_DEP_1)
	v_fmac_f32_e32 v27, v26, v25
	v_add_f32_e32 v25, v28, v27
	s_delay_alu instid0(VALU_DEP_1) | instskip(SKIP_1) | instid1(VALU_DEP_2)
	v_sub_f32_e32 v30, v24, v25
	v_sub_f32_e32 v28, v25, v28
	;; [unrolled: 1-line block ×3, first 2 shown]
	s_delay_alu instid0(VALU_DEP_1) | instskip(NEXT) | instid1(VALU_DEP_1)
	v_sub_f32_e32 v24, v24, v25
	v_dual_sub_f32 v25, v28, v27 :: v_dual_add_f32 v22, v22, v24
	v_add_f32_e32 v24, v29, v26
	s_delay_alu instid0(VALU_DEP_1) | instskip(NEXT) | instid1(VALU_DEP_1)
	v_dual_add_f32 v22, v25, v22 :: v_dual_sub_f32 v25, v24, v29
	v_add_f32_e32 v22, v30, v22
	s_delay_alu instid0(VALU_DEP_1) | instskip(NEXT) | instid1(VALU_DEP_1)
	v_dual_sub_f32 v25, v26, v25 :: v_dual_mul_f32 v22, v23, v22
	v_add_f32_e32 v22, v25, v22
	s_delay_alu instid0(VALU_DEP_1) | instskip(NEXT) | instid1(VALU_DEP_1)
	v_add_f32_e32 v23, v24, v22
	v_mul_f32_e32 v25, v23, v23
	s_delay_alu instid0(VALU_DEP_1) | instskip(SKIP_2) | instid1(VALU_DEP_3)
	v_fmaak_f32 v26, s0, v25, 0x3ecc95a3
	v_mul_f32_e32 v27, v23, v25
	v_cmp_eq_f32_e64 s0, 0x7f800000, v6
	v_fmaak_f32 v25, v25, v26, 0x3f2aaada
	v_ldexp_f32 v26, v23, 1
	v_sub_f32_e32 v23, v23, v24
	s_delay_alu instid0(VALU_DEP_4) | instskip(NEXT) | instid1(VALU_DEP_3)
	s_or_b32 s0, s0, s12
	v_mul_f32_e32 v25, v27, v25
	s_delay_alu instid0(VALU_DEP_2) | instskip(NEXT) | instid1(VALU_DEP_2)
	v_dual_mul_f32 v27, 0x3f317218, v21 :: v_dual_sub_f32 v22, v22, v23
	v_add_f32_e32 v24, v26, v25
	s_delay_alu instid0(VALU_DEP_2) | instskip(NEXT) | instid1(VALU_DEP_2)
	v_ldexp_f32 v22, v22, 1
	v_sub_f32_e32 v23, v24, v26
	s_delay_alu instid0(VALU_DEP_4) | instskip(NEXT) | instid1(VALU_DEP_2)
	v_fma_f32 v26, 0x3f317218, v21, -v27
	v_sub_f32_e32 v23, v25, v23
	s_delay_alu instid0(VALU_DEP_1) | instskip(NEXT) | instid1(VALU_DEP_1)
	v_dual_fmamk_f32 v21, v21, 0xb102e308, v26 :: v_dual_add_f32 v22, v22, v23
	v_add_f32_e32 v23, v27, v21
	s_delay_alu instid0(VALU_DEP_1) | instskip(NEXT) | instid1(VALU_DEP_1)
	v_sub_f32_e32 v27, v23, v27
	v_sub_f32_e32 v21, v21, v27
	s_delay_alu instid0(VALU_DEP_4) | instskip(NEXT) | instid1(VALU_DEP_1)
	v_add_f32_e32 v25, v24, v22
	v_sub_f32_e32 v24, v25, v24
	s_delay_alu instid0(VALU_DEP_1) | instskip(SKIP_1) | instid1(VALU_DEP_1)
	v_sub_f32_e32 v22, v22, v24
	v_add_f32_e32 v26, v23, v25
	v_sub_f32_e32 v28, v26, v23
	s_delay_alu instid0(VALU_DEP_1) | instskip(NEXT) | instid1(VALU_DEP_4)
	v_sub_f32_e32 v24, v25, v28
	v_add_f32_e32 v25, v21, v22
	v_sub_f32_e32 v29, v26, v28
	s_delay_alu instid0(VALU_DEP_1) | instskip(NEXT) | instid1(VALU_DEP_1)
	v_sub_f32_e32 v23, v23, v29
	v_dual_add_f32 v23, v24, v23 :: v_dual_sub_f32 v24, v25, v21
	s_delay_alu instid0(VALU_DEP_1) | instskip(SKIP_1) | instid1(VALU_DEP_2)
	v_dual_add_f32 v23, v25, v23 :: v_dual_sub_f32 v22, v22, v24
	v_sub_f32_e32 v25, v25, v24
	v_add_f32_e32 v27, v26, v23
	s_delay_alu instid0(VALU_DEP_1) | instskip(NEXT) | instid1(VALU_DEP_1)
	v_dual_sub_f32 v21, v21, v25 :: v_dual_sub_f32 v24, v27, v26
	v_dual_add_f32 v21, v22, v21 :: v_dual_sub_f32 v22, v23, v24
	s_delay_alu instid0(VALU_DEP_1) | instskip(NEXT) | instid1(VALU_DEP_1)
	v_add_f32_e32 v21, v21, v22
	v_add_f32_e32 v21, v27, v21
	s_delay_alu instid0(VALU_DEP_1) | instskip(NEXT) | instid1(VALU_DEP_1)
	v_cndmask_b32_e64 v6, v21, v6, s0
	v_add_f32_e32 v6, v5, v6
.LBB154_51:
	s_or_b32 exec_lo, exec_lo, s1
	v_cmp_eq_u32_e64 s0, 0, v0
	; wave barrier
	s_delay_alu instid0(VALU_DEP_1)
	v_cndmask_b32_e64 v5, v6, v19, s0
	ds_store_b32 v20, v5
	; wave barrier
	ds_load_b32 v6, v20 offset:4
	v_max_f32_e32 v21, v5, v5
	v_cmp_u_f32_e64 s0, v5, v5
	s_waitcnt lgkmcnt(0)
	v_max_f32_e32 v22, v6, v6
	s_delay_alu instid0(VALU_DEP_1) | instskip(SKIP_1) | instid1(VALU_DEP_2)
	v_min_f32_e32 v23, v21, v22
	v_max_f32_e32 v21, v21, v22
	v_cndmask_b32_e64 v22, v23, v5, s0
	s_delay_alu instid0(VALU_DEP_2) | instskip(SKIP_1) | instid1(VALU_DEP_1)
	v_cndmask_b32_e64 v23, v21, v5, s0
	v_cmp_u_f32_e64 s0, v6, v6
	v_cndmask_b32_e64 v21, v22, v6, s0
	s_delay_alu instid0(VALU_DEP_3) | instskip(NEXT) | instid1(VALU_DEP_2)
	v_cndmask_b32_e64 v6, v23, v6, s0
	v_cmp_class_f32_e64 s1, v21, 0x1f8
	s_delay_alu instid0(VALU_DEP_2) | instskip(NEXT) | instid1(VALU_DEP_1)
	v_cmp_neq_f32_e64 s0, v21, v6
	s_or_b32 s0, s0, s1
	s_delay_alu instid0(SALU_CYCLE_1)
	s_and_saveexec_b32 s1, s0
	s_cbranch_execz .LBB154_53
; %bb.52:
	v_sub_f32_e32 v5, v21, v6
	s_delay_alu instid0(VALU_DEP_1) | instskip(SKIP_1) | instid1(VALU_DEP_2)
	v_mul_f32_e32 v21, 0x3fb8aa3b, v5
	v_cmp_ngt_f32_e64 s0, 0xc2ce8ed0, v5
	v_fma_f32 v22, 0x3fb8aa3b, v5, -v21
	v_rndne_f32_e32 v23, v21
	s_delay_alu instid0(VALU_DEP_2) | instskip(NEXT) | instid1(VALU_DEP_2)
	v_fmamk_f32 v22, v5, 0x32a5705f, v22
	v_sub_f32_e32 v21, v21, v23
	s_delay_alu instid0(VALU_DEP_1) | instskip(SKIP_1) | instid1(VALU_DEP_2)
	v_add_f32_e32 v21, v21, v22
	v_cvt_i32_f32_e32 v22, v23
	v_exp_f32_e32 v21, v21
	s_waitcnt_depctr 0xfff
	v_ldexp_f32 v21, v21, v22
	s_delay_alu instid0(VALU_DEP_1) | instskip(SKIP_1) | instid1(VALU_DEP_1)
	v_cndmask_b32_e64 v21, 0, v21, s0
	v_cmp_nlt_f32_e64 s0, 0x42b17218, v5
	v_cndmask_b32_e64 v5, 0x7f800000, v21, s0
	s_delay_alu instid0(VALU_DEP_1) | instskip(SKIP_1) | instid1(VALU_DEP_2)
	v_add_f32_e32 v23, 1.0, v5
	v_cmp_gt_f32_e64 s12, 0x33800000, |v5|
	v_cvt_f64_f32_e32 v[21:22], v23
	s_delay_alu instid0(VALU_DEP_1) | instskip(SKIP_1) | instid1(VALU_DEP_1)
	v_frexp_exp_i32_f64_e32 v21, v[21:22]
	v_frexp_mant_f32_e32 v22, v23
	v_cmp_gt_f32_e64 s0, 0x3f2aaaab, v22
	v_add_f32_e32 v22, -1.0, v23
	s_delay_alu instid0(VALU_DEP_1) | instskip(NEXT) | instid1(VALU_DEP_3)
	v_dual_sub_f32 v25, v22, v23 :: v_dual_sub_f32 v22, v5, v22
	v_subrev_co_ci_u32_e64 v21, s0, 0, v21, s0
	s_mov_b32 s0, 0x3e9b6dac
	s_delay_alu instid0(VALU_DEP_1) | instskip(SKIP_1) | instid1(VALU_DEP_2)
	v_sub_nc_u32_e32 v24, 0, v21
	v_cvt_f32_i32_e32 v21, v21
	v_ldexp_f32 v23, v23, v24
	s_delay_alu instid0(VALU_DEP_1) | instskip(NEXT) | instid1(VALU_DEP_1)
	v_dual_add_f32 v25, 1.0, v25 :: v_dual_add_f32 v26, 1.0, v23
	v_add_f32_e32 v22, v22, v25
	s_delay_alu instid0(VALU_DEP_1) | instskip(NEXT) | instid1(VALU_DEP_3)
	v_ldexp_f32 v22, v22, v24
	v_dual_add_f32 v24, -1.0, v23 :: v_dual_add_f32 v25, -1.0, v26
	s_delay_alu instid0(VALU_DEP_1) | instskip(NEXT) | instid1(VALU_DEP_2)
	v_add_f32_e32 v27, 1.0, v24
	v_sub_f32_e32 v25, v23, v25
	s_delay_alu instid0(VALU_DEP_2) | instskip(NEXT) | instid1(VALU_DEP_2)
	v_sub_f32_e32 v23, v23, v27
	v_add_f32_e32 v25, v22, v25
	s_delay_alu instid0(VALU_DEP_2) | instskip(NEXT) | instid1(VALU_DEP_1)
	v_add_f32_e32 v22, v22, v23
	v_dual_add_f32 v28, v24, v22 :: v_dual_add_f32 v27, v26, v25
	s_delay_alu instid0(VALU_DEP_1) | instskip(NEXT) | instid1(VALU_DEP_2)
	v_sub_f32_e32 v24, v24, v28
	v_rcp_f32_e32 v23, v27
	v_sub_f32_e32 v26, v26, v27
	s_delay_alu instid0(VALU_DEP_1) | instskip(SKIP_2) | instid1(VALU_DEP_1)
	v_dual_add_f32 v22, v22, v24 :: v_dual_add_f32 v25, v25, v26
	s_waitcnt_depctr 0xfff
	v_mul_f32_e32 v29, v28, v23
	v_mul_f32_e32 v30, v27, v29
	s_delay_alu instid0(VALU_DEP_1) | instskip(NEXT) | instid1(VALU_DEP_1)
	v_fma_f32 v26, v29, v27, -v30
	v_fmac_f32_e32 v26, v29, v25
	s_delay_alu instid0(VALU_DEP_1) | instskip(NEXT) | instid1(VALU_DEP_1)
	v_add_f32_e32 v31, v30, v26
	v_sub_f32_e32 v32, v28, v31
	v_sub_f32_e32 v24, v31, v30
	s_delay_alu instid0(VALU_DEP_2) | instskip(NEXT) | instid1(VALU_DEP_2)
	v_sub_f32_e32 v28, v28, v32
	v_sub_f32_e32 v24, v24, v26
	s_delay_alu instid0(VALU_DEP_2) | instskip(NEXT) | instid1(VALU_DEP_1)
	v_sub_f32_e32 v28, v28, v31
	v_add_f32_e32 v22, v22, v28
	s_delay_alu instid0(VALU_DEP_1) | instskip(NEXT) | instid1(VALU_DEP_1)
	v_add_f32_e32 v22, v24, v22
	v_add_f32_e32 v24, v32, v22
	s_delay_alu instid0(VALU_DEP_1) | instskip(NEXT) | instid1(VALU_DEP_1)
	v_mul_f32_e32 v26, v23, v24
	v_dual_sub_f32 v31, v32, v24 :: v_dual_mul_f32 v28, v27, v26
	s_delay_alu instid0(VALU_DEP_1) | instskip(NEXT) | instid1(VALU_DEP_2)
	v_add_f32_e32 v22, v22, v31
	v_fma_f32 v27, v26, v27, -v28
	s_delay_alu instid0(VALU_DEP_1) | instskip(NEXT) | instid1(VALU_DEP_1)
	v_fmac_f32_e32 v27, v26, v25
	v_add_f32_e32 v25, v28, v27
	s_delay_alu instid0(VALU_DEP_1) | instskip(NEXT) | instid1(VALU_DEP_1)
	v_sub_f32_e32 v30, v24, v25
	v_sub_f32_e32 v24, v24, v30
	s_delay_alu instid0(VALU_DEP_1) | instskip(NEXT) | instid1(VALU_DEP_1)
	v_sub_f32_e32 v24, v24, v25
	v_add_f32_e32 v22, v22, v24
	v_add_f32_e32 v24, v29, v26
	v_sub_f32_e32 v28, v25, v28
	s_delay_alu instid0(VALU_DEP_1) | instskip(NEXT) | instid1(VALU_DEP_1)
	v_sub_f32_e32 v25, v28, v27
	v_dual_add_f32 v22, v25, v22 :: v_dual_sub_f32 v25, v24, v29
	s_delay_alu instid0(VALU_DEP_1) | instskip(NEXT) | instid1(VALU_DEP_1)
	v_add_f32_e32 v22, v30, v22
	v_dual_sub_f32 v25, v26, v25 :: v_dual_mul_f32 v22, v23, v22
	s_delay_alu instid0(VALU_DEP_1) | instskip(NEXT) | instid1(VALU_DEP_1)
	v_add_f32_e32 v22, v25, v22
	v_add_f32_e32 v23, v24, v22
	s_delay_alu instid0(VALU_DEP_1) | instskip(NEXT) | instid1(VALU_DEP_1)
	v_mul_f32_e32 v25, v23, v23
	v_fmaak_f32 v26, s0, v25, 0x3ecc95a3
	v_mul_f32_e32 v27, v23, v25
	v_cmp_eq_f32_e64 s0, 0x7f800000, v5
	s_delay_alu instid0(VALU_DEP_3) | instskip(SKIP_2) | instid1(VALU_DEP_4)
	v_fmaak_f32 v25, v25, v26, 0x3f2aaada
	v_ldexp_f32 v26, v23, 1
	v_sub_f32_e32 v23, v23, v24
	s_or_b32 s0, s0, s12
	s_delay_alu instid0(VALU_DEP_3) | instskip(NEXT) | instid1(VALU_DEP_2)
	v_mul_f32_e32 v25, v27, v25
	v_dual_mul_f32 v27, 0x3f317218, v21 :: v_dual_sub_f32 v22, v22, v23
	s_delay_alu instid0(VALU_DEP_2) | instskip(NEXT) | instid1(VALU_DEP_2)
	v_add_f32_e32 v24, v26, v25
	v_ldexp_f32 v22, v22, 1
	s_delay_alu instid0(VALU_DEP_2) | instskip(NEXT) | instid1(VALU_DEP_4)
	v_sub_f32_e32 v23, v24, v26
	v_fma_f32 v26, 0x3f317218, v21, -v27
	s_delay_alu instid0(VALU_DEP_2) | instskip(NEXT) | instid1(VALU_DEP_1)
	v_sub_f32_e32 v23, v25, v23
	v_dual_fmamk_f32 v21, v21, 0xb102e308, v26 :: v_dual_add_f32 v22, v22, v23
	s_delay_alu instid0(VALU_DEP_1) | instskip(NEXT) | instid1(VALU_DEP_1)
	v_add_f32_e32 v23, v27, v21
	v_sub_f32_e32 v27, v23, v27
	s_delay_alu instid0(VALU_DEP_1) | instskip(NEXT) | instid1(VALU_DEP_4)
	v_sub_f32_e32 v21, v21, v27
	v_add_f32_e32 v25, v24, v22
	s_delay_alu instid0(VALU_DEP_1) | instskip(NEXT) | instid1(VALU_DEP_1)
	v_sub_f32_e32 v24, v25, v24
	v_sub_f32_e32 v22, v22, v24
	v_add_f32_e32 v26, v23, v25
	s_delay_alu instid0(VALU_DEP_1) | instskip(NEXT) | instid1(VALU_DEP_1)
	v_sub_f32_e32 v28, v26, v23
	v_sub_f32_e32 v24, v25, v28
	s_delay_alu instid0(VALU_DEP_4) | instskip(SKIP_1) | instid1(VALU_DEP_1)
	v_add_f32_e32 v25, v21, v22
	v_sub_f32_e32 v29, v26, v28
	v_sub_f32_e32 v23, v23, v29
	s_delay_alu instid0(VALU_DEP_1) | instskip(NEXT) | instid1(VALU_DEP_1)
	v_dual_add_f32 v23, v24, v23 :: v_dual_sub_f32 v24, v25, v21
	v_dual_add_f32 v23, v25, v23 :: v_dual_sub_f32 v22, v22, v24
	v_sub_f32_e32 v25, v25, v24
	s_delay_alu instid0(VALU_DEP_2) | instskip(NEXT) | instid1(VALU_DEP_1)
	v_add_f32_e32 v27, v26, v23
	v_dual_sub_f32 v21, v21, v25 :: v_dual_sub_f32 v24, v27, v26
	s_delay_alu instid0(VALU_DEP_1) | instskip(NEXT) | instid1(VALU_DEP_1)
	v_dual_add_f32 v21, v22, v21 :: v_dual_sub_f32 v22, v23, v24
	v_add_f32_e32 v21, v21, v22
	s_delay_alu instid0(VALU_DEP_1) | instskip(NEXT) | instid1(VALU_DEP_1)
	v_add_f32_e32 v21, v27, v21
	v_cndmask_b32_e64 v5, v21, v5, s0
	s_delay_alu instid0(VALU_DEP_1)
	v_add_f32_e32 v5, v6, v5
.LBB154_53:
	s_or_b32 exec_lo, exec_lo, s1
	ds_load_b32 v6, v20 offset:8
	v_max_f32_e32 v21, v5, v5
	v_cmp_u_f32_e64 s0, v5, v5
	ds_store_b32 v20, v5 offset:4
	s_waitcnt lgkmcnt(1)
	v_max_f32_e32 v22, v6, v6
	s_delay_alu instid0(VALU_DEP_1) | instskip(SKIP_1) | instid1(VALU_DEP_2)
	v_min_f32_e32 v23, v21, v22
	v_max_f32_e32 v21, v21, v22
	v_cndmask_b32_e64 v22, v23, v5, s0
	s_delay_alu instid0(VALU_DEP_2) | instskip(SKIP_1) | instid1(VALU_DEP_1)
	v_cndmask_b32_e64 v23, v21, v5, s0
	v_cmp_u_f32_e64 s0, v6, v6
	v_cndmask_b32_e64 v21, v22, v6, s0
	s_delay_alu instid0(VALU_DEP_3) | instskip(NEXT) | instid1(VALU_DEP_2)
	v_cndmask_b32_e64 v6, v23, v6, s0
	v_cmp_class_f32_e64 s1, v21, 0x1f8
	s_delay_alu instid0(VALU_DEP_2) | instskip(NEXT) | instid1(VALU_DEP_1)
	v_cmp_neq_f32_e64 s0, v21, v6
	s_or_b32 s0, s0, s1
	s_delay_alu instid0(SALU_CYCLE_1)
	s_and_saveexec_b32 s1, s0
	s_cbranch_execz .LBB154_55
; %bb.54:
	v_sub_f32_e32 v5, v21, v6
	s_delay_alu instid0(VALU_DEP_1) | instskip(SKIP_1) | instid1(VALU_DEP_2)
	v_mul_f32_e32 v21, 0x3fb8aa3b, v5
	v_cmp_ngt_f32_e64 s0, 0xc2ce8ed0, v5
	v_fma_f32 v22, 0x3fb8aa3b, v5, -v21
	v_rndne_f32_e32 v23, v21
	s_delay_alu instid0(VALU_DEP_2) | instskip(NEXT) | instid1(VALU_DEP_2)
	v_fmamk_f32 v22, v5, 0x32a5705f, v22
	v_sub_f32_e32 v21, v21, v23
	s_delay_alu instid0(VALU_DEP_1) | instskip(SKIP_1) | instid1(VALU_DEP_2)
	v_add_f32_e32 v21, v21, v22
	v_cvt_i32_f32_e32 v22, v23
	v_exp_f32_e32 v21, v21
	s_waitcnt_depctr 0xfff
	v_ldexp_f32 v21, v21, v22
	s_delay_alu instid0(VALU_DEP_1) | instskip(SKIP_1) | instid1(VALU_DEP_1)
	v_cndmask_b32_e64 v21, 0, v21, s0
	v_cmp_nlt_f32_e64 s0, 0x42b17218, v5
	v_cndmask_b32_e64 v5, 0x7f800000, v21, s0
	s_delay_alu instid0(VALU_DEP_1) | instskip(SKIP_1) | instid1(VALU_DEP_2)
	v_add_f32_e32 v23, 1.0, v5
	v_cmp_gt_f32_e64 s12, 0x33800000, |v5|
	v_cvt_f64_f32_e32 v[21:22], v23
	s_delay_alu instid0(VALU_DEP_1) | instskip(SKIP_1) | instid1(VALU_DEP_1)
	v_frexp_exp_i32_f64_e32 v21, v[21:22]
	v_frexp_mant_f32_e32 v22, v23
	v_cmp_gt_f32_e64 s0, 0x3f2aaaab, v22
	v_add_f32_e32 v22, -1.0, v23
	s_delay_alu instid0(VALU_DEP_1) | instskip(NEXT) | instid1(VALU_DEP_3)
	v_dual_sub_f32 v25, v22, v23 :: v_dual_sub_f32 v22, v5, v22
	v_subrev_co_ci_u32_e64 v21, s0, 0, v21, s0
	s_mov_b32 s0, 0x3e9b6dac
	s_delay_alu instid0(VALU_DEP_1) | instskip(SKIP_1) | instid1(VALU_DEP_2)
	v_sub_nc_u32_e32 v24, 0, v21
	v_cvt_f32_i32_e32 v21, v21
	v_ldexp_f32 v23, v23, v24
	s_delay_alu instid0(VALU_DEP_1) | instskip(NEXT) | instid1(VALU_DEP_1)
	v_dual_add_f32 v25, 1.0, v25 :: v_dual_add_f32 v26, 1.0, v23
	v_add_f32_e32 v22, v22, v25
	s_delay_alu instid0(VALU_DEP_1) | instskip(NEXT) | instid1(VALU_DEP_3)
	v_ldexp_f32 v22, v22, v24
	v_dual_add_f32 v24, -1.0, v23 :: v_dual_add_f32 v25, -1.0, v26
	s_delay_alu instid0(VALU_DEP_1) | instskip(NEXT) | instid1(VALU_DEP_2)
	v_add_f32_e32 v27, 1.0, v24
	v_sub_f32_e32 v25, v23, v25
	s_delay_alu instid0(VALU_DEP_2) | instskip(NEXT) | instid1(VALU_DEP_2)
	v_sub_f32_e32 v23, v23, v27
	v_add_f32_e32 v25, v22, v25
	s_delay_alu instid0(VALU_DEP_2) | instskip(NEXT) | instid1(VALU_DEP_1)
	v_add_f32_e32 v22, v22, v23
	v_dual_add_f32 v28, v24, v22 :: v_dual_add_f32 v27, v26, v25
	s_delay_alu instid0(VALU_DEP_1) | instskip(NEXT) | instid1(VALU_DEP_2)
	v_sub_f32_e32 v24, v24, v28
	v_rcp_f32_e32 v23, v27
	v_sub_f32_e32 v26, v26, v27
	s_delay_alu instid0(VALU_DEP_1) | instskip(SKIP_2) | instid1(VALU_DEP_1)
	v_dual_add_f32 v22, v22, v24 :: v_dual_add_f32 v25, v25, v26
	s_waitcnt_depctr 0xfff
	v_mul_f32_e32 v29, v28, v23
	v_mul_f32_e32 v30, v27, v29
	s_delay_alu instid0(VALU_DEP_1) | instskip(NEXT) | instid1(VALU_DEP_1)
	v_fma_f32 v26, v29, v27, -v30
	v_fmac_f32_e32 v26, v29, v25
	s_delay_alu instid0(VALU_DEP_1) | instskip(NEXT) | instid1(VALU_DEP_1)
	v_add_f32_e32 v31, v30, v26
	v_sub_f32_e32 v32, v28, v31
	v_sub_f32_e32 v24, v31, v30
	s_delay_alu instid0(VALU_DEP_2) | instskip(NEXT) | instid1(VALU_DEP_2)
	v_sub_f32_e32 v28, v28, v32
	v_sub_f32_e32 v24, v24, v26
	s_delay_alu instid0(VALU_DEP_2) | instskip(NEXT) | instid1(VALU_DEP_1)
	v_sub_f32_e32 v28, v28, v31
	v_add_f32_e32 v22, v22, v28
	s_delay_alu instid0(VALU_DEP_1) | instskip(NEXT) | instid1(VALU_DEP_1)
	v_add_f32_e32 v22, v24, v22
	v_add_f32_e32 v24, v32, v22
	s_delay_alu instid0(VALU_DEP_1) | instskip(NEXT) | instid1(VALU_DEP_1)
	v_mul_f32_e32 v26, v23, v24
	v_dual_sub_f32 v31, v32, v24 :: v_dual_mul_f32 v28, v27, v26
	s_delay_alu instid0(VALU_DEP_1) | instskip(NEXT) | instid1(VALU_DEP_2)
	v_add_f32_e32 v22, v22, v31
	v_fma_f32 v27, v26, v27, -v28
	s_delay_alu instid0(VALU_DEP_1) | instskip(NEXT) | instid1(VALU_DEP_1)
	v_fmac_f32_e32 v27, v26, v25
	v_add_f32_e32 v25, v28, v27
	s_delay_alu instid0(VALU_DEP_1) | instskip(NEXT) | instid1(VALU_DEP_1)
	v_sub_f32_e32 v30, v24, v25
	v_sub_f32_e32 v24, v24, v30
	s_delay_alu instid0(VALU_DEP_1) | instskip(NEXT) | instid1(VALU_DEP_1)
	v_sub_f32_e32 v24, v24, v25
	v_add_f32_e32 v22, v22, v24
	v_add_f32_e32 v24, v29, v26
	v_sub_f32_e32 v28, v25, v28
	s_delay_alu instid0(VALU_DEP_1) | instskip(NEXT) | instid1(VALU_DEP_1)
	v_sub_f32_e32 v25, v28, v27
	v_dual_add_f32 v22, v25, v22 :: v_dual_sub_f32 v25, v24, v29
	s_delay_alu instid0(VALU_DEP_1) | instskip(NEXT) | instid1(VALU_DEP_1)
	v_add_f32_e32 v22, v30, v22
	v_dual_sub_f32 v25, v26, v25 :: v_dual_mul_f32 v22, v23, v22
	s_delay_alu instid0(VALU_DEP_1) | instskip(NEXT) | instid1(VALU_DEP_1)
	v_add_f32_e32 v22, v25, v22
	v_add_f32_e32 v23, v24, v22
	s_delay_alu instid0(VALU_DEP_1) | instskip(NEXT) | instid1(VALU_DEP_1)
	v_mul_f32_e32 v25, v23, v23
	v_fmaak_f32 v26, s0, v25, 0x3ecc95a3
	v_mul_f32_e32 v27, v23, v25
	v_cmp_eq_f32_e64 s0, 0x7f800000, v5
	s_delay_alu instid0(VALU_DEP_3) | instskip(SKIP_2) | instid1(VALU_DEP_4)
	v_fmaak_f32 v25, v25, v26, 0x3f2aaada
	v_ldexp_f32 v26, v23, 1
	v_sub_f32_e32 v23, v23, v24
	s_or_b32 s0, s0, s12
	s_delay_alu instid0(VALU_DEP_3) | instskip(NEXT) | instid1(VALU_DEP_2)
	v_mul_f32_e32 v25, v27, v25
	v_dual_mul_f32 v27, 0x3f317218, v21 :: v_dual_sub_f32 v22, v22, v23
	s_delay_alu instid0(VALU_DEP_2) | instskip(NEXT) | instid1(VALU_DEP_2)
	v_add_f32_e32 v24, v26, v25
	v_ldexp_f32 v22, v22, 1
	s_delay_alu instid0(VALU_DEP_2) | instskip(NEXT) | instid1(VALU_DEP_4)
	v_sub_f32_e32 v23, v24, v26
	v_fma_f32 v26, 0x3f317218, v21, -v27
	s_delay_alu instid0(VALU_DEP_2) | instskip(NEXT) | instid1(VALU_DEP_1)
	v_sub_f32_e32 v23, v25, v23
	v_dual_fmamk_f32 v21, v21, 0xb102e308, v26 :: v_dual_add_f32 v22, v22, v23
	s_delay_alu instid0(VALU_DEP_1) | instskip(NEXT) | instid1(VALU_DEP_1)
	v_add_f32_e32 v23, v27, v21
	v_sub_f32_e32 v27, v23, v27
	s_delay_alu instid0(VALU_DEP_1) | instskip(NEXT) | instid1(VALU_DEP_4)
	v_sub_f32_e32 v21, v21, v27
	v_add_f32_e32 v25, v24, v22
	s_delay_alu instid0(VALU_DEP_1) | instskip(NEXT) | instid1(VALU_DEP_1)
	v_sub_f32_e32 v24, v25, v24
	v_sub_f32_e32 v22, v22, v24
	v_add_f32_e32 v26, v23, v25
	s_delay_alu instid0(VALU_DEP_1) | instskip(NEXT) | instid1(VALU_DEP_1)
	v_sub_f32_e32 v28, v26, v23
	v_sub_f32_e32 v24, v25, v28
	s_delay_alu instid0(VALU_DEP_4) | instskip(SKIP_1) | instid1(VALU_DEP_1)
	v_add_f32_e32 v25, v21, v22
	v_sub_f32_e32 v29, v26, v28
	v_sub_f32_e32 v23, v23, v29
	s_delay_alu instid0(VALU_DEP_1) | instskip(NEXT) | instid1(VALU_DEP_1)
	v_dual_add_f32 v23, v24, v23 :: v_dual_sub_f32 v24, v25, v21
	v_dual_add_f32 v23, v25, v23 :: v_dual_sub_f32 v22, v22, v24
	v_sub_f32_e32 v25, v25, v24
	s_delay_alu instid0(VALU_DEP_2) | instskip(NEXT) | instid1(VALU_DEP_1)
	v_add_f32_e32 v27, v26, v23
	v_dual_sub_f32 v21, v21, v25 :: v_dual_sub_f32 v24, v27, v26
	s_delay_alu instid0(VALU_DEP_1) | instskip(NEXT) | instid1(VALU_DEP_1)
	v_dual_add_f32 v21, v22, v21 :: v_dual_sub_f32 v22, v23, v24
	v_add_f32_e32 v21, v21, v22
	s_delay_alu instid0(VALU_DEP_1) | instskip(NEXT) | instid1(VALU_DEP_1)
	v_add_f32_e32 v21, v27, v21
	v_cndmask_b32_e64 v5, v21, v5, s0
	s_delay_alu instid0(VALU_DEP_1)
	v_add_f32_e32 v5, v6, v5
.LBB154_55:
	s_or_b32 exec_lo, exec_lo, s1
	ds_load_b32 v6, v20 offset:12
	v_max_f32_e32 v21, v5, v5
	v_cmp_u_f32_e64 s0, v5, v5
	ds_store_b32 v20, v5 offset:8
	s_waitcnt lgkmcnt(1)
	v_max_f32_e32 v22, v6, v6
	s_delay_alu instid0(VALU_DEP_1) | instskip(SKIP_1) | instid1(VALU_DEP_2)
	v_min_f32_e32 v23, v21, v22
	v_max_f32_e32 v21, v21, v22
	v_cndmask_b32_e64 v22, v23, v5, s0
	s_delay_alu instid0(VALU_DEP_2) | instskip(SKIP_1) | instid1(VALU_DEP_1)
	v_cndmask_b32_e64 v23, v21, v5, s0
	v_cmp_u_f32_e64 s0, v6, v6
	v_cndmask_b32_e64 v21, v22, v6, s0
	s_delay_alu instid0(VALU_DEP_3) | instskip(NEXT) | instid1(VALU_DEP_2)
	v_cndmask_b32_e64 v6, v23, v6, s0
	v_cmp_class_f32_e64 s1, v21, 0x1f8
	s_delay_alu instid0(VALU_DEP_2) | instskip(NEXT) | instid1(VALU_DEP_1)
	v_cmp_neq_f32_e64 s0, v21, v6
	s_or_b32 s0, s0, s1
	s_delay_alu instid0(SALU_CYCLE_1)
	s_and_saveexec_b32 s1, s0
	s_cbranch_execz .LBB154_57
; %bb.56:
	v_sub_f32_e32 v5, v21, v6
	s_delay_alu instid0(VALU_DEP_1) | instskip(SKIP_1) | instid1(VALU_DEP_2)
	v_mul_f32_e32 v21, 0x3fb8aa3b, v5
	v_cmp_ngt_f32_e64 s0, 0xc2ce8ed0, v5
	v_fma_f32 v22, 0x3fb8aa3b, v5, -v21
	v_rndne_f32_e32 v23, v21
	s_delay_alu instid0(VALU_DEP_2) | instskip(NEXT) | instid1(VALU_DEP_2)
	v_fmamk_f32 v22, v5, 0x32a5705f, v22
	v_sub_f32_e32 v21, v21, v23
	s_delay_alu instid0(VALU_DEP_1) | instskip(SKIP_1) | instid1(VALU_DEP_2)
	v_add_f32_e32 v21, v21, v22
	v_cvt_i32_f32_e32 v22, v23
	v_exp_f32_e32 v21, v21
	s_waitcnt_depctr 0xfff
	v_ldexp_f32 v21, v21, v22
	s_delay_alu instid0(VALU_DEP_1) | instskip(SKIP_1) | instid1(VALU_DEP_1)
	v_cndmask_b32_e64 v21, 0, v21, s0
	v_cmp_nlt_f32_e64 s0, 0x42b17218, v5
	v_cndmask_b32_e64 v5, 0x7f800000, v21, s0
	s_delay_alu instid0(VALU_DEP_1) | instskip(SKIP_1) | instid1(VALU_DEP_2)
	v_add_f32_e32 v23, 1.0, v5
	v_cmp_gt_f32_e64 s12, 0x33800000, |v5|
	v_cvt_f64_f32_e32 v[21:22], v23
	s_delay_alu instid0(VALU_DEP_1) | instskip(SKIP_1) | instid1(VALU_DEP_1)
	v_frexp_exp_i32_f64_e32 v21, v[21:22]
	v_frexp_mant_f32_e32 v22, v23
	v_cmp_gt_f32_e64 s0, 0x3f2aaaab, v22
	v_add_f32_e32 v22, -1.0, v23
	s_delay_alu instid0(VALU_DEP_1) | instskip(NEXT) | instid1(VALU_DEP_3)
	v_dual_sub_f32 v25, v22, v23 :: v_dual_sub_f32 v22, v5, v22
	v_subrev_co_ci_u32_e64 v21, s0, 0, v21, s0
	s_mov_b32 s0, 0x3e9b6dac
	s_delay_alu instid0(VALU_DEP_1) | instskip(SKIP_1) | instid1(VALU_DEP_2)
	v_sub_nc_u32_e32 v24, 0, v21
	v_cvt_f32_i32_e32 v21, v21
	v_ldexp_f32 v23, v23, v24
	s_delay_alu instid0(VALU_DEP_1) | instskip(NEXT) | instid1(VALU_DEP_1)
	v_dual_add_f32 v25, 1.0, v25 :: v_dual_add_f32 v26, 1.0, v23
	v_add_f32_e32 v22, v22, v25
	s_delay_alu instid0(VALU_DEP_1) | instskip(NEXT) | instid1(VALU_DEP_3)
	v_ldexp_f32 v22, v22, v24
	v_dual_add_f32 v24, -1.0, v23 :: v_dual_add_f32 v25, -1.0, v26
	s_delay_alu instid0(VALU_DEP_1) | instskip(NEXT) | instid1(VALU_DEP_2)
	v_add_f32_e32 v27, 1.0, v24
	v_sub_f32_e32 v25, v23, v25
	s_delay_alu instid0(VALU_DEP_2) | instskip(NEXT) | instid1(VALU_DEP_2)
	v_sub_f32_e32 v23, v23, v27
	v_add_f32_e32 v25, v22, v25
	s_delay_alu instid0(VALU_DEP_2) | instskip(NEXT) | instid1(VALU_DEP_1)
	v_add_f32_e32 v22, v22, v23
	v_dual_add_f32 v28, v24, v22 :: v_dual_add_f32 v27, v26, v25
	s_delay_alu instid0(VALU_DEP_1) | instskip(NEXT) | instid1(VALU_DEP_2)
	v_sub_f32_e32 v24, v24, v28
	v_rcp_f32_e32 v23, v27
	v_sub_f32_e32 v26, v26, v27
	s_delay_alu instid0(VALU_DEP_1) | instskip(SKIP_2) | instid1(VALU_DEP_1)
	v_dual_add_f32 v22, v22, v24 :: v_dual_add_f32 v25, v25, v26
	s_waitcnt_depctr 0xfff
	v_mul_f32_e32 v29, v28, v23
	v_mul_f32_e32 v30, v27, v29
	s_delay_alu instid0(VALU_DEP_1) | instskip(NEXT) | instid1(VALU_DEP_1)
	v_fma_f32 v26, v29, v27, -v30
	v_fmac_f32_e32 v26, v29, v25
	s_delay_alu instid0(VALU_DEP_1) | instskip(NEXT) | instid1(VALU_DEP_1)
	v_add_f32_e32 v31, v30, v26
	v_sub_f32_e32 v32, v28, v31
	v_sub_f32_e32 v24, v31, v30
	s_delay_alu instid0(VALU_DEP_2) | instskip(NEXT) | instid1(VALU_DEP_2)
	v_sub_f32_e32 v28, v28, v32
	v_sub_f32_e32 v24, v24, v26
	s_delay_alu instid0(VALU_DEP_2) | instskip(NEXT) | instid1(VALU_DEP_1)
	v_sub_f32_e32 v28, v28, v31
	v_add_f32_e32 v22, v22, v28
	s_delay_alu instid0(VALU_DEP_1) | instskip(NEXT) | instid1(VALU_DEP_1)
	v_add_f32_e32 v22, v24, v22
	v_add_f32_e32 v24, v32, v22
	s_delay_alu instid0(VALU_DEP_1) | instskip(NEXT) | instid1(VALU_DEP_1)
	v_mul_f32_e32 v26, v23, v24
	v_dual_sub_f32 v31, v32, v24 :: v_dual_mul_f32 v28, v27, v26
	s_delay_alu instid0(VALU_DEP_1) | instskip(NEXT) | instid1(VALU_DEP_2)
	v_add_f32_e32 v22, v22, v31
	v_fma_f32 v27, v26, v27, -v28
	s_delay_alu instid0(VALU_DEP_1) | instskip(NEXT) | instid1(VALU_DEP_1)
	v_fmac_f32_e32 v27, v26, v25
	v_add_f32_e32 v25, v28, v27
	s_delay_alu instid0(VALU_DEP_1) | instskip(NEXT) | instid1(VALU_DEP_1)
	v_sub_f32_e32 v30, v24, v25
	v_sub_f32_e32 v24, v24, v30
	s_delay_alu instid0(VALU_DEP_1) | instskip(NEXT) | instid1(VALU_DEP_1)
	v_sub_f32_e32 v24, v24, v25
	v_add_f32_e32 v22, v22, v24
	v_add_f32_e32 v24, v29, v26
	v_sub_f32_e32 v28, v25, v28
	s_delay_alu instid0(VALU_DEP_1) | instskip(NEXT) | instid1(VALU_DEP_1)
	v_sub_f32_e32 v25, v28, v27
	v_dual_add_f32 v22, v25, v22 :: v_dual_sub_f32 v25, v24, v29
	s_delay_alu instid0(VALU_DEP_1) | instskip(NEXT) | instid1(VALU_DEP_1)
	v_add_f32_e32 v22, v30, v22
	v_dual_sub_f32 v25, v26, v25 :: v_dual_mul_f32 v22, v23, v22
	s_delay_alu instid0(VALU_DEP_1) | instskip(NEXT) | instid1(VALU_DEP_1)
	v_add_f32_e32 v22, v25, v22
	v_add_f32_e32 v23, v24, v22
	s_delay_alu instid0(VALU_DEP_1) | instskip(NEXT) | instid1(VALU_DEP_1)
	v_mul_f32_e32 v25, v23, v23
	v_fmaak_f32 v26, s0, v25, 0x3ecc95a3
	v_mul_f32_e32 v27, v23, v25
	v_cmp_eq_f32_e64 s0, 0x7f800000, v5
	s_delay_alu instid0(VALU_DEP_3) | instskip(SKIP_2) | instid1(VALU_DEP_4)
	v_fmaak_f32 v25, v25, v26, 0x3f2aaada
	v_ldexp_f32 v26, v23, 1
	v_sub_f32_e32 v23, v23, v24
	s_or_b32 s0, s0, s12
	s_delay_alu instid0(VALU_DEP_3) | instskip(NEXT) | instid1(VALU_DEP_2)
	v_mul_f32_e32 v25, v27, v25
	v_dual_mul_f32 v27, 0x3f317218, v21 :: v_dual_sub_f32 v22, v22, v23
	s_delay_alu instid0(VALU_DEP_2) | instskip(NEXT) | instid1(VALU_DEP_2)
	v_add_f32_e32 v24, v26, v25
	v_ldexp_f32 v22, v22, 1
	s_delay_alu instid0(VALU_DEP_2) | instskip(NEXT) | instid1(VALU_DEP_4)
	v_sub_f32_e32 v23, v24, v26
	v_fma_f32 v26, 0x3f317218, v21, -v27
	s_delay_alu instid0(VALU_DEP_2) | instskip(NEXT) | instid1(VALU_DEP_1)
	v_sub_f32_e32 v23, v25, v23
	v_dual_fmamk_f32 v21, v21, 0xb102e308, v26 :: v_dual_add_f32 v22, v22, v23
	s_delay_alu instid0(VALU_DEP_1) | instskip(NEXT) | instid1(VALU_DEP_1)
	v_add_f32_e32 v23, v27, v21
	v_sub_f32_e32 v27, v23, v27
	s_delay_alu instid0(VALU_DEP_1) | instskip(NEXT) | instid1(VALU_DEP_4)
	v_sub_f32_e32 v21, v21, v27
	v_add_f32_e32 v25, v24, v22
	s_delay_alu instid0(VALU_DEP_1) | instskip(NEXT) | instid1(VALU_DEP_1)
	v_sub_f32_e32 v24, v25, v24
	v_sub_f32_e32 v22, v22, v24
	v_add_f32_e32 v26, v23, v25
	s_delay_alu instid0(VALU_DEP_1) | instskip(NEXT) | instid1(VALU_DEP_1)
	v_sub_f32_e32 v28, v26, v23
	v_sub_f32_e32 v24, v25, v28
	s_delay_alu instid0(VALU_DEP_4) | instskip(SKIP_1) | instid1(VALU_DEP_1)
	v_add_f32_e32 v25, v21, v22
	v_sub_f32_e32 v29, v26, v28
	v_sub_f32_e32 v23, v23, v29
	s_delay_alu instid0(VALU_DEP_1) | instskip(NEXT) | instid1(VALU_DEP_1)
	v_dual_add_f32 v23, v24, v23 :: v_dual_sub_f32 v24, v25, v21
	v_dual_add_f32 v23, v25, v23 :: v_dual_sub_f32 v22, v22, v24
	v_sub_f32_e32 v25, v25, v24
	s_delay_alu instid0(VALU_DEP_2) | instskip(NEXT) | instid1(VALU_DEP_1)
	v_add_f32_e32 v27, v26, v23
	v_dual_sub_f32 v21, v21, v25 :: v_dual_sub_f32 v24, v27, v26
	s_delay_alu instid0(VALU_DEP_1) | instskip(NEXT) | instid1(VALU_DEP_1)
	v_dual_add_f32 v21, v22, v21 :: v_dual_sub_f32 v22, v23, v24
	v_add_f32_e32 v21, v21, v22
	s_delay_alu instid0(VALU_DEP_1) | instskip(NEXT) | instid1(VALU_DEP_1)
	v_add_f32_e32 v21, v27, v21
	v_cndmask_b32_e64 v5, v21, v5, s0
	s_delay_alu instid0(VALU_DEP_1)
	v_add_f32_e32 v5, v6, v5
.LBB154_57:
	s_or_b32 exec_lo, exec_lo, s1
	ds_load_b32 v6, v20 offset:16
	v_max_f32_e32 v21, v5, v5
	v_cmp_u_f32_e64 s0, v5, v5
	ds_store_b32 v20, v5 offset:12
	s_waitcnt lgkmcnt(1)
	v_max_f32_e32 v22, v6, v6
	s_delay_alu instid0(VALU_DEP_1) | instskip(SKIP_1) | instid1(VALU_DEP_2)
	v_min_f32_e32 v23, v21, v22
	v_max_f32_e32 v21, v21, v22
	v_cndmask_b32_e64 v22, v23, v5, s0
	s_delay_alu instid0(VALU_DEP_2) | instskip(SKIP_1) | instid1(VALU_DEP_1)
	v_cndmask_b32_e64 v23, v21, v5, s0
	v_cmp_u_f32_e64 s0, v6, v6
	v_cndmask_b32_e64 v21, v22, v6, s0
	s_delay_alu instid0(VALU_DEP_3) | instskip(NEXT) | instid1(VALU_DEP_2)
	v_cndmask_b32_e64 v6, v23, v6, s0
	v_cmp_class_f32_e64 s1, v21, 0x1f8
	s_delay_alu instid0(VALU_DEP_2) | instskip(NEXT) | instid1(VALU_DEP_1)
	v_cmp_neq_f32_e64 s0, v21, v6
	s_or_b32 s0, s0, s1
	s_delay_alu instid0(SALU_CYCLE_1)
	s_and_saveexec_b32 s1, s0
	s_cbranch_execz .LBB154_59
; %bb.58:
	v_sub_f32_e32 v5, v21, v6
	s_delay_alu instid0(VALU_DEP_1) | instskip(SKIP_1) | instid1(VALU_DEP_2)
	v_mul_f32_e32 v21, 0x3fb8aa3b, v5
	v_cmp_ngt_f32_e64 s0, 0xc2ce8ed0, v5
	v_fma_f32 v22, 0x3fb8aa3b, v5, -v21
	v_rndne_f32_e32 v23, v21
	s_delay_alu instid0(VALU_DEP_2) | instskip(NEXT) | instid1(VALU_DEP_2)
	v_fmamk_f32 v22, v5, 0x32a5705f, v22
	v_sub_f32_e32 v21, v21, v23
	s_delay_alu instid0(VALU_DEP_1) | instskip(SKIP_1) | instid1(VALU_DEP_2)
	v_add_f32_e32 v21, v21, v22
	v_cvt_i32_f32_e32 v22, v23
	v_exp_f32_e32 v21, v21
	s_waitcnt_depctr 0xfff
	v_ldexp_f32 v21, v21, v22
	s_delay_alu instid0(VALU_DEP_1) | instskip(SKIP_1) | instid1(VALU_DEP_1)
	v_cndmask_b32_e64 v21, 0, v21, s0
	v_cmp_nlt_f32_e64 s0, 0x42b17218, v5
	v_cndmask_b32_e64 v5, 0x7f800000, v21, s0
	s_delay_alu instid0(VALU_DEP_1) | instskip(SKIP_1) | instid1(VALU_DEP_2)
	v_add_f32_e32 v23, 1.0, v5
	v_cmp_gt_f32_e64 s12, 0x33800000, |v5|
	v_cvt_f64_f32_e32 v[21:22], v23
	s_delay_alu instid0(VALU_DEP_1) | instskip(SKIP_1) | instid1(VALU_DEP_1)
	v_frexp_exp_i32_f64_e32 v21, v[21:22]
	v_frexp_mant_f32_e32 v22, v23
	v_cmp_gt_f32_e64 s0, 0x3f2aaaab, v22
	v_add_f32_e32 v22, -1.0, v23
	s_delay_alu instid0(VALU_DEP_1) | instskip(NEXT) | instid1(VALU_DEP_3)
	v_dual_sub_f32 v25, v22, v23 :: v_dual_sub_f32 v22, v5, v22
	v_subrev_co_ci_u32_e64 v21, s0, 0, v21, s0
	s_mov_b32 s0, 0x3e9b6dac
	s_delay_alu instid0(VALU_DEP_1) | instskip(SKIP_1) | instid1(VALU_DEP_2)
	v_sub_nc_u32_e32 v24, 0, v21
	v_cvt_f32_i32_e32 v21, v21
	v_ldexp_f32 v23, v23, v24
	s_delay_alu instid0(VALU_DEP_1) | instskip(NEXT) | instid1(VALU_DEP_1)
	v_dual_add_f32 v25, 1.0, v25 :: v_dual_add_f32 v26, 1.0, v23
	v_add_f32_e32 v22, v22, v25
	s_delay_alu instid0(VALU_DEP_1) | instskip(NEXT) | instid1(VALU_DEP_3)
	v_ldexp_f32 v22, v22, v24
	v_dual_add_f32 v24, -1.0, v23 :: v_dual_add_f32 v25, -1.0, v26
	s_delay_alu instid0(VALU_DEP_1) | instskip(NEXT) | instid1(VALU_DEP_2)
	v_add_f32_e32 v27, 1.0, v24
	v_sub_f32_e32 v25, v23, v25
	s_delay_alu instid0(VALU_DEP_2) | instskip(NEXT) | instid1(VALU_DEP_2)
	v_sub_f32_e32 v23, v23, v27
	v_add_f32_e32 v25, v22, v25
	s_delay_alu instid0(VALU_DEP_2) | instskip(NEXT) | instid1(VALU_DEP_1)
	v_add_f32_e32 v22, v22, v23
	v_dual_add_f32 v28, v24, v22 :: v_dual_add_f32 v27, v26, v25
	s_delay_alu instid0(VALU_DEP_1) | instskip(NEXT) | instid1(VALU_DEP_2)
	v_sub_f32_e32 v24, v24, v28
	v_rcp_f32_e32 v23, v27
	v_sub_f32_e32 v26, v26, v27
	s_delay_alu instid0(VALU_DEP_1) | instskip(SKIP_2) | instid1(VALU_DEP_1)
	v_dual_add_f32 v22, v22, v24 :: v_dual_add_f32 v25, v25, v26
	s_waitcnt_depctr 0xfff
	v_mul_f32_e32 v29, v28, v23
	v_mul_f32_e32 v30, v27, v29
	s_delay_alu instid0(VALU_DEP_1) | instskip(NEXT) | instid1(VALU_DEP_1)
	v_fma_f32 v26, v29, v27, -v30
	v_fmac_f32_e32 v26, v29, v25
	s_delay_alu instid0(VALU_DEP_1) | instskip(NEXT) | instid1(VALU_DEP_1)
	v_add_f32_e32 v31, v30, v26
	v_sub_f32_e32 v32, v28, v31
	v_sub_f32_e32 v24, v31, v30
	s_delay_alu instid0(VALU_DEP_2) | instskip(NEXT) | instid1(VALU_DEP_2)
	v_sub_f32_e32 v28, v28, v32
	v_sub_f32_e32 v24, v24, v26
	s_delay_alu instid0(VALU_DEP_2) | instskip(NEXT) | instid1(VALU_DEP_1)
	v_sub_f32_e32 v28, v28, v31
	v_add_f32_e32 v22, v22, v28
	s_delay_alu instid0(VALU_DEP_1) | instskip(NEXT) | instid1(VALU_DEP_1)
	v_add_f32_e32 v22, v24, v22
	v_add_f32_e32 v24, v32, v22
	s_delay_alu instid0(VALU_DEP_1) | instskip(NEXT) | instid1(VALU_DEP_1)
	v_mul_f32_e32 v26, v23, v24
	v_dual_sub_f32 v31, v32, v24 :: v_dual_mul_f32 v28, v27, v26
	s_delay_alu instid0(VALU_DEP_1) | instskip(NEXT) | instid1(VALU_DEP_2)
	v_add_f32_e32 v22, v22, v31
	v_fma_f32 v27, v26, v27, -v28
	s_delay_alu instid0(VALU_DEP_1) | instskip(NEXT) | instid1(VALU_DEP_1)
	v_fmac_f32_e32 v27, v26, v25
	v_add_f32_e32 v25, v28, v27
	s_delay_alu instid0(VALU_DEP_1) | instskip(NEXT) | instid1(VALU_DEP_1)
	v_sub_f32_e32 v30, v24, v25
	v_sub_f32_e32 v24, v24, v30
	s_delay_alu instid0(VALU_DEP_1) | instskip(NEXT) | instid1(VALU_DEP_1)
	v_sub_f32_e32 v24, v24, v25
	v_add_f32_e32 v22, v22, v24
	v_add_f32_e32 v24, v29, v26
	v_sub_f32_e32 v28, v25, v28
	s_delay_alu instid0(VALU_DEP_1) | instskip(NEXT) | instid1(VALU_DEP_1)
	v_sub_f32_e32 v25, v28, v27
	v_dual_add_f32 v22, v25, v22 :: v_dual_sub_f32 v25, v24, v29
	s_delay_alu instid0(VALU_DEP_1) | instskip(NEXT) | instid1(VALU_DEP_1)
	v_add_f32_e32 v22, v30, v22
	v_dual_sub_f32 v25, v26, v25 :: v_dual_mul_f32 v22, v23, v22
	s_delay_alu instid0(VALU_DEP_1) | instskip(NEXT) | instid1(VALU_DEP_1)
	v_add_f32_e32 v22, v25, v22
	v_add_f32_e32 v23, v24, v22
	s_delay_alu instid0(VALU_DEP_1) | instskip(NEXT) | instid1(VALU_DEP_1)
	v_mul_f32_e32 v25, v23, v23
	v_fmaak_f32 v26, s0, v25, 0x3ecc95a3
	v_mul_f32_e32 v27, v23, v25
	v_cmp_eq_f32_e64 s0, 0x7f800000, v5
	s_delay_alu instid0(VALU_DEP_3) | instskip(SKIP_2) | instid1(VALU_DEP_4)
	v_fmaak_f32 v25, v25, v26, 0x3f2aaada
	v_ldexp_f32 v26, v23, 1
	v_sub_f32_e32 v23, v23, v24
	s_or_b32 s0, s0, s12
	s_delay_alu instid0(VALU_DEP_3) | instskip(NEXT) | instid1(VALU_DEP_2)
	v_mul_f32_e32 v25, v27, v25
	v_dual_mul_f32 v27, 0x3f317218, v21 :: v_dual_sub_f32 v22, v22, v23
	s_delay_alu instid0(VALU_DEP_2) | instskip(NEXT) | instid1(VALU_DEP_2)
	v_add_f32_e32 v24, v26, v25
	v_ldexp_f32 v22, v22, 1
	s_delay_alu instid0(VALU_DEP_2) | instskip(NEXT) | instid1(VALU_DEP_4)
	v_sub_f32_e32 v23, v24, v26
	v_fma_f32 v26, 0x3f317218, v21, -v27
	s_delay_alu instid0(VALU_DEP_2) | instskip(NEXT) | instid1(VALU_DEP_1)
	v_sub_f32_e32 v23, v25, v23
	v_dual_fmamk_f32 v21, v21, 0xb102e308, v26 :: v_dual_add_f32 v22, v22, v23
	s_delay_alu instid0(VALU_DEP_1) | instskip(NEXT) | instid1(VALU_DEP_1)
	v_add_f32_e32 v23, v27, v21
	v_sub_f32_e32 v27, v23, v27
	s_delay_alu instid0(VALU_DEP_1) | instskip(NEXT) | instid1(VALU_DEP_4)
	v_sub_f32_e32 v21, v21, v27
	v_add_f32_e32 v25, v24, v22
	s_delay_alu instid0(VALU_DEP_1) | instskip(NEXT) | instid1(VALU_DEP_1)
	v_sub_f32_e32 v24, v25, v24
	v_sub_f32_e32 v22, v22, v24
	v_add_f32_e32 v26, v23, v25
	s_delay_alu instid0(VALU_DEP_1) | instskip(NEXT) | instid1(VALU_DEP_1)
	v_sub_f32_e32 v28, v26, v23
	v_sub_f32_e32 v24, v25, v28
	s_delay_alu instid0(VALU_DEP_4) | instskip(SKIP_1) | instid1(VALU_DEP_1)
	v_add_f32_e32 v25, v21, v22
	v_sub_f32_e32 v29, v26, v28
	v_sub_f32_e32 v23, v23, v29
	s_delay_alu instid0(VALU_DEP_1) | instskip(NEXT) | instid1(VALU_DEP_1)
	v_dual_add_f32 v23, v24, v23 :: v_dual_sub_f32 v24, v25, v21
	v_dual_add_f32 v23, v25, v23 :: v_dual_sub_f32 v22, v22, v24
	v_sub_f32_e32 v25, v25, v24
	s_delay_alu instid0(VALU_DEP_2) | instskip(NEXT) | instid1(VALU_DEP_1)
	v_add_f32_e32 v27, v26, v23
	v_dual_sub_f32 v21, v21, v25 :: v_dual_sub_f32 v24, v27, v26
	s_delay_alu instid0(VALU_DEP_1) | instskip(NEXT) | instid1(VALU_DEP_1)
	v_dual_add_f32 v21, v22, v21 :: v_dual_sub_f32 v22, v23, v24
	v_add_f32_e32 v21, v21, v22
	s_delay_alu instid0(VALU_DEP_1) | instskip(NEXT) | instid1(VALU_DEP_1)
	v_add_f32_e32 v21, v27, v21
	v_cndmask_b32_e64 v5, v21, v5, s0
	s_delay_alu instid0(VALU_DEP_1)
	v_add_f32_e32 v5, v6, v5
.LBB154_59:
	s_or_b32 exec_lo, exec_lo, s1
	ds_load_b32 v6, v20 offset:20
	v_max_f32_e32 v21, v5, v5
	v_cmp_u_f32_e64 s0, v5, v5
	ds_store_b32 v20, v5 offset:16
	s_waitcnt lgkmcnt(1)
	v_max_f32_e32 v22, v6, v6
	s_delay_alu instid0(VALU_DEP_1) | instskip(SKIP_1) | instid1(VALU_DEP_2)
	v_min_f32_e32 v23, v21, v22
	v_max_f32_e32 v21, v21, v22
	v_cndmask_b32_e64 v22, v23, v5, s0
	s_delay_alu instid0(VALU_DEP_2) | instskip(SKIP_1) | instid1(VALU_DEP_1)
	v_cndmask_b32_e64 v23, v21, v5, s0
	v_cmp_u_f32_e64 s0, v6, v6
	v_cndmask_b32_e64 v21, v22, v6, s0
	s_delay_alu instid0(VALU_DEP_3) | instskip(NEXT) | instid1(VALU_DEP_2)
	v_cndmask_b32_e64 v6, v23, v6, s0
	v_cmp_class_f32_e64 s1, v21, 0x1f8
	s_delay_alu instid0(VALU_DEP_2) | instskip(NEXT) | instid1(VALU_DEP_1)
	v_cmp_neq_f32_e64 s0, v21, v6
	s_or_b32 s0, s0, s1
	s_delay_alu instid0(SALU_CYCLE_1)
	s_and_saveexec_b32 s1, s0
	s_cbranch_execz .LBB154_61
; %bb.60:
	v_sub_f32_e32 v5, v21, v6
	s_delay_alu instid0(VALU_DEP_1) | instskip(SKIP_1) | instid1(VALU_DEP_2)
	v_mul_f32_e32 v21, 0x3fb8aa3b, v5
	v_cmp_ngt_f32_e64 s0, 0xc2ce8ed0, v5
	v_fma_f32 v22, 0x3fb8aa3b, v5, -v21
	v_rndne_f32_e32 v23, v21
	s_delay_alu instid0(VALU_DEP_2) | instskip(NEXT) | instid1(VALU_DEP_2)
	v_fmamk_f32 v22, v5, 0x32a5705f, v22
	v_sub_f32_e32 v21, v21, v23
	s_delay_alu instid0(VALU_DEP_1) | instskip(SKIP_1) | instid1(VALU_DEP_2)
	v_add_f32_e32 v21, v21, v22
	v_cvt_i32_f32_e32 v22, v23
	v_exp_f32_e32 v21, v21
	s_waitcnt_depctr 0xfff
	v_ldexp_f32 v21, v21, v22
	s_delay_alu instid0(VALU_DEP_1) | instskip(SKIP_1) | instid1(VALU_DEP_1)
	v_cndmask_b32_e64 v21, 0, v21, s0
	v_cmp_nlt_f32_e64 s0, 0x42b17218, v5
	v_cndmask_b32_e64 v5, 0x7f800000, v21, s0
	s_delay_alu instid0(VALU_DEP_1) | instskip(SKIP_1) | instid1(VALU_DEP_2)
	v_add_f32_e32 v23, 1.0, v5
	v_cmp_gt_f32_e64 s12, 0x33800000, |v5|
	v_cvt_f64_f32_e32 v[21:22], v23
	s_delay_alu instid0(VALU_DEP_1) | instskip(SKIP_1) | instid1(VALU_DEP_1)
	v_frexp_exp_i32_f64_e32 v21, v[21:22]
	v_frexp_mant_f32_e32 v22, v23
	v_cmp_gt_f32_e64 s0, 0x3f2aaaab, v22
	v_add_f32_e32 v22, -1.0, v23
	s_delay_alu instid0(VALU_DEP_1) | instskip(NEXT) | instid1(VALU_DEP_3)
	v_dual_sub_f32 v25, v22, v23 :: v_dual_sub_f32 v22, v5, v22
	v_subrev_co_ci_u32_e64 v21, s0, 0, v21, s0
	s_mov_b32 s0, 0x3e9b6dac
	s_delay_alu instid0(VALU_DEP_1) | instskip(SKIP_1) | instid1(VALU_DEP_2)
	v_sub_nc_u32_e32 v24, 0, v21
	v_cvt_f32_i32_e32 v21, v21
	v_ldexp_f32 v23, v23, v24
	s_delay_alu instid0(VALU_DEP_1) | instskip(NEXT) | instid1(VALU_DEP_1)
	v_dual_add_f32 v25, 1.0, v25 :: v_dual_add_f32 v26, 1.0, v23
	v_add_f32_e32 v22, v22, v25
	s_delay_alu instid0(VALU_DEP_1) | instskip(NEXT) | instid1(VALU_DEP_3)
	v_ldexp_f32 v22, v22, v24
	v_dual_add_f32 v24, -1.0, v23 :: v_dual_add_f32 v25, -1.0, v26
	s_delay_alu instid0(VALU_DEP_1) | instskip(NEXT) | instid1(VALU_DEP_2)
	v_add_f32_e32 v27, 1.0, v24
	v_sub_f32_e32 v25, v23, v25
	s_delay_alu instid0(VALU_DEP_2) | instskip(NEXT) | instid1(VALU_DEP_2)
	v_sub_f32_e32 v23, v23, v27
	v_add_f32_e32 v25, v22, v25
	s_delay_alu instid0(VALU_DEP_2) | instskip(NEXT) | instid1(VALU_DEP_1)
	v_add_f32_e32 v22, v22, v23
	v_dual_add_f32 v28, v24, v22 :: v_dual_add_f32 v27, v26, v25
	s_delay_alu instid0(VALU_DEP_1) | instskip(NEXT) | instid1(VALU_DEP_2)
	v_sub_f32_e32 v24, v24, v28
	v_rcp_f32_e32 v23, v27
	v_sub_f32_e32 v26, v26, v27
	s_delay_alu instid0(VALU_DEP_1) | instskip(SKIP_2) | instid1(VALU_DEP_1)
	v_dual_add_f32 v22, v22, v24 :: v_dual_add_f32 v25, v25, v26
	s_waitcnt_depctr 0xfff
	v_mul_f32_e32 v29, v28, v23
	v_mul_f32_e32 v30, v27, v29
	s_delay_alu instid0(VALU_DEP_1) | instskip(NEXT) | instid1(VALU_DEP_1)
	v_fma_f32 v26, v29, v27, -v30
	v_fmac_f32_e32 v26, v29, v25
	s_delay_alu instid0(VALU_DEP_1) | instskip(NEXT) | instid1(VALU_DEP_1)
	v_add_f32_e32 v31, v30, v26
	v_sub_f32_e32 v32, v28, v31
	v_sub_f32_e32 v24, v31, v30
	s_delay_alu instid0(VALU_DEP_2) | instskip(NEXT) | instid1(VALU_DEP_2)
	v_sub_f32_e32 v28, v28, v32
	v_sub_f32_e32 v24, v24, v26
	s_delay_alu instid0(VALU_DEP_2) | instskip(NEXT) | instid1(VALU_DEP_1)
	v_sub_f32_e32 v28, v28, v31
	v_add_f32_e32 v22, v22, v28
	s_delay_alu instid0(VALU_DEP_1) | instskip(NEXT) | instid1(VALU_DEP_1)
	v_add_f32_e32 v22, v24, v22
	v_add_f32_e32 v24, v32, v22
	s_delay_alu instid0(VALU_DEP_1) | instskip(NEXT) | instid1(VALU_DEP_1)
	v_mul_f32_e32 v26, v23, v24
	v_dual_sub_f32 v31, v32, v24 :: v_dual_mul_f32 v28, v27, v26
	s_delay_alu instid0(VALU_DEP_1) | instskip(NEXT) | instid1(VALU_DEP_2)
	v_add_f32_e32 v22, v22, v31
	v_fma_f32 v27, v26, v27, -v28
	s_delay_alu instid0(VALU_DEP_1) | instskip(NEXT) | instid1(VALU_DEP_1)
	v_fmac_f32_e32 v27, v26, v25
	v_add_f32_e32 v25, v28, v27
	s_delay_alu instid0(VALU_DEP_1) | instskip(NEXT) | instid1(VALU_DEP_1)
	v_sub_f32_e32 v30, v24, v25
	v_sub_f32_e32 v24, v24, v30
	s_delay_alu instid0(VALU_DEP_1) | instskip(NEXT) | instid1(VALU_DEP_1)
	v_sub_f32_e32 v24, v24, v25
	v_add_f32_e32 v22, v22, v24
	v_add_f32_e32 v24, v29, v26
	v_sub_f32_e32 v28, v25, v28
	s_delay_alu instid0(VALU_DEP_1) | instskip(NEXT) | instid1(VALU_DEP_1)
	v_sub_f32_e32 v25, v28, v27
	v_dual_add_f32 v22, v25, v22 :: v_dual_sub_f32 v25, v24, v29
	s_delay_alu instid0(VALU_DEP_1) | instskip(NEXT) | instid1(VALU_DEP_1)
	v_add_f32_e32 v22, v30, v22
	v_dual_sub_f32 v25, v26, v25 :: v_dual_mul_f32 v22, v23, v22
	s_delay_alu instid0(VALU_DEP_1) | instskip(NEXT) | instid1(VALU_DEP_1)
	v_add_f32_e32 v22, v25, v22
	v_add_f32_e32 v23, v24, v22
	s_delay_alu instid0(VALU_DEP_1) | instskip(NEXT) | instid1(VALU_DEP_1)
	v_mul_f32_e32 v25, v23, v23
	v_fmaak_f32 v26, s0, v25, 0x3ecc95a3
	v_mul_f32_e32 v27, v23, v25
	v_cmp_eq_f32_e64 s0, 0x7f800000, v5
	s_delay_alu instid0(VALU_DEP_3) | instskip(SKIP_2) | instid1(VALU_DEP_4)
	v_fmaak_f32 v25, v25, v26, 0x3f2aaada
	v_ldexp_f32 v26, v23, 1
	v_sub_f32_e32 v23, v23, v24
	s_or_b32 s0, s0, s12
	s_delay_alu instid0(VALU_DEP_3) | instskip(NEXT) | instid1(VALU_DEP_2)
	v_mul_f32_e32 v25, v27, v25
	v_dual_mul_f32 v27, 0x3f317218, v21 :: v_dual_sub_f32 v22, v22, v23
	s_delay_alu instid0(VALU_DEP_2) | instskip(NEXT) | instid1(VALU_DEP_2)
	v_add_f32_e32 v24, v26, v25
	v_ldexp_f32 v22, v22, 1
	s_delay_alu instid0(VALU_DEP_2) | instskip(NEXT) | instid1(VALU_DEP_4)
	v_sub_f32_e32 v23, v24, v26
	v_fma_f32 v26, 0x3f317218, v21, -v27
	s_delay_alu instid0(VALU_DEP_2) | instskip(NEXT) | instid1(VALU_DEP_1)
	v_sub_f32_e32 v23, v25, v23
	v_dual_fmamk_f32 v21, v21, 0xb102e308, v26 :: v_dual_add_f32 v22, v22, v23
	s_delay_alu instid0(VALU_DEP_1) | instskip(NEXT) | instid1(VALU_DEP_1)
	v_add_f32_e32 v23, v27, v21
	v_sub_f32_e32 v27, v23, v27
	s_delay_alu instid0(VALU_DEP_1) | instskip(NEXT) | instid1(VALU_DEP_4)
	v_sub_f32_e32 v21, v21, v27
	v_add_f32_e32 v25, v24, v22
	s_delay_alu instid0(VALU_DEP_1) | instskip(NEXT) | instid1(VALU_DEP_1)
	v_sub_f32_e32 v24, v25, v24
	v_sub_f32_e32 v22, v22, v24
	v_add_f32_e32 v26, v23, v25
	s_delay_alu instid0(VALU_DEP_1) | instskip(NEXT) | instid1(VALU_DEP_1)
	v_sub_f32_e32 v28, v26, v23
	v_sub_f32_e32 v24, v25, v28
	s_delay_alu instid0(VALU_DEP_4) | instskip(SKIP_1) | instid1(VALU_DEP_1)
	v_add_f32_e32 v25, v21, v22
	v_sub_f32_e32 v29, v26, v28
	v_sub_f32_e32 v23, v23, v29
	s_delay_alu instid0(VALU_DEP_1) | instskip(NEXT) | instid1(VALU_DEP_1)
	v_dual_add_f32 v23, v24, v23 :: v_dual_sub_f32 v24, v25, v21
	v_dual_add_f32 v23, v25, v23 :: v_dual_sub_f32 v22, v22, v24
	v_sub_f32_e32 v25, v25, v24
	s_delay_alu instid0(VALU_DEP_2) | instskip(NEXT) | instid1(VALU_DEP_1)
	v_add_f32_e32 v27, v26, v23
	v_dual_sub_f32 v21, v21, v25 :: v_dual_sub_f32 v24, v27, v26
	s_delay_alu instid0(VALU_DEP_1) | instskip(NEXT) | instid1(VALU_DEP_1)
	v_dual_add_f32 v21, v22, v21 :: v_dual_sub_f32 v22, v23, v24
	v_add_f32_e32 v21, v21, v22
	s_delay_alu instid0(VALU_DEP_1) | instskip(NEXT) | instid1(VALU_DEP_1)
	v_add_f32_e32 v21, v27, v21
	v_cndmask_b32_e64 v5, v21, v5, s0
	s_delay_alu instid0(VALU_DEP_1)
	v_add_f32_e32 v5, v6, v5
.LBB154_61:
	s_or_b32 exec_lo, exec_lo, s1
	ds_load_b32 v6, v20 offset:24
	v_max_f32_e32 v21, v5, v5
	v_cmp_u_f32_e64 s0, v5, v5
	ds_store_b32 v20, v5 offset:20
	s_waitcnt lgkmcnt(1)
	v_max_f32_e32 v22, v6, v6
	s_delay_alu instid0(VALU_DEP_1) | instskip(SKIP_1) | instid1(VALU_DEP_2)
	v_min_f32_e32 v23, v21, v22
	v_max_f32_e32 v21, v21, v22
	v_cndmask_b32_e64 v22, v23, v5, s0
	s_delay_alu instid0(VALU_DEP_2) | instskip(SKIP_1) | instid1(VALU_DEP_1)
	v_cndmask_b32_e64 v23, v21, v5, s0
	v_cmp_u_f32_e64 s0, v6, v6
	v_cndmask_b32_e64 v21, v22, v6, s0
	s_delay_alu instid0(VALU_DEP_3) | instskip(NEXT) | instid1(VALU_DEP_2)
	v_cndmask_b32_e64 v6, v23, v6, s0
	v_cmp_class_f32_e64 s1, v21, 0x1f8
	s_delay_alu instid0(VALU_DEP_2) | instskip(NEXT) | instid1(VALU_DEP_1)
	v_cmp_neq_f32_e64 s0, v21, v6
	s_or_b32 s0, s0, s1
	s_delay_alu instid0(SALU_CYCLE_1)
	s_and_saveexec_b32 s1, s0
	s_cbranch_execz .LBB154_63
; %bb.62:
	v_sub_f32_e32 v5, v21, v6
	s_delay_alu instid0(VALU_DEP_1) | instskip(SKIP_1) | instid1(VALU_DEP_2)
	v_mul_f32_e32 v21, 0x3fb8aa3b, v5
	v_cmp_ngt_f32_e64 s0, 0xc2ce8ed0, v5
	v_fma_f32 v22, 0x3fb8aa3b, v5, -v21
	v_rndne_f32_e32 v23, v21
	s_delay_alu instid0(VALU_DEP_2) | instskip(NEXT) | instid1(VALU_DEP_2)
	v_fmamk_f32 v22, v5, 0x32a5705f, v22
	v_sub_f32_e32 v21, v21, v23
	s_delay_alu instid0(VALU_DEP_1) | instskip(SKIP_1) | instid1(VALU_DEP_2)
	v_add_f32_e32 v21, v21, v22
	v_cvt_i32_f32_e32 v22, v23
	v_exp_f32_e32 v21, v21
	s_waitcnt_depctr 0xfff
	v_ldexp_f32 v21, v21, v22
	s_delay_alu instid0(VALU_DEP_1) | instskip(SKIP_1) | instid1(VALU_DEP_1)
	v_cndmask_b32_e64 v21, 0, v21, s0
	v_cmp_nlt_f32_e64 s0, 0x42b17218, v5
	v_cndmask_b32_e64 v5, 0x7f800000, v21, s0
	s_delay_alu instid0(VALU_DEP_1) | instskip(SKIP_1) | instid1(VALU_DEP_2)
	v_add_f32_e32 v23, 1.0, v5
	v_cmp_gt_f32_e64 s12, 0x33800000, |v5|
	v_cvt_f64_f32_e32 v[21:22], v23
	s_delay_alu instid0(VALU_DEP_1) | instskip(SKIP_1) | instid1(VALU_DEP_1)
	v_frexp_exp_i32_f64_e32 v21, v[21:22]
	v_frexp_mant_f32_e32 v22, v23
	v_cmp_gt_f32_e64 s0, 0x3f2aaaab, v22
	v_add_f32_e32 v22, -1.0, v23
	s_delay_alu instid0(VALU_DEP_1) | instskip(NEXT) | instid1(VALU_DEP_3)
	v_dual_sub_f32 v25, v22, v23 :: v_dual_sub_f32 v22, v5, v22
	v_subrev_co_ci_u32_e64 v21, s0, 0, v21, s0
	s_mov_b32 s0, 0x3e9b6dac
	s_delay_alu instid0(VALU_DEP_1) | instskip(SKIP_1) | instid1(VALU_DEP_2)
	v_sub_nc_u32_e32 v24, 0, v21
	v_cvt_f32_i32_e32 v21, v21
	v_ldexp_f32 v23, v23, v24
	s_delay_alu instid0(VALU_DEP_1) | instskip(NEXT) | instid1(VALU_DEP_1)
	v_dual_add_f32 v25, 1.0, v25 :: v_dual_add_f32 v26, 1.0, v23
	v_add_f32_e32 v22, v22, v25
	s_delay_alu instid0(VALU_DEP_1) | instskip(NEXT) | instid1(VALU_DEP_3)
	v_ldexp_f32 v22, v22, v24
	v_dual_add_f32 v24, -1.0, v23 :: v_dual_add_f32 v25, -1.0, v26
	s_delay_alu instid0(VALU_DEP_1) | instskip(NEXT) | instid1(VALU_DEP_2)
	v_add_f32_e32 v27, 1.0, v24
	v_sub_f32_e32 v25, v23, v25
	s_delay_alu instid0(VALU_DEP_2) | instskip(NEXT) | instid1(VALU_DEP_2)
	v_sub_f32_e32 v23, v23, v27
	v_add_f32_e32 v25, v22, v25
	s_delay_alu instid0(VALU_DEP_2) | instskip(NEXT) | instid1(VALU_DEP_1)
	v_add_f32_e32 v22, v22, v23
	v_dual_add_f32 v28, v24, v22 :: v_dual_add_f32 v27, v26, v25
	s_delay_alu instid0(VALU_DEP_1) | instskip(NEXT) | instid1(VALU_DEP_2)
	v_sub_f32_e32 v24, v24, v28
	v_rcp_f32_e32 v23, v27
	v_sub_f32_e32 v26, v26, v27
	s_delay_alu instid0(VALU_DEP_1) | instskip(SKIP_2) | instid1(VALU_DEP_1)
	v_dual_add_f32 v22, v22, v24 :: v_dual_add_f32 v25, v25, v26
	s_waitcnt_depctr 0xfff
	v_mul_f32_e32 v29, v28, v23
	v_mul_f32_e32 v30, v27, v29
	s_delay_alu instid0(VALU_DEP_1) | instskip(NEXT) | instid1(VALU_DEP_1)
	v_fma_f32 v26, v29, v27, -v30
	v_fmac_f32_e32 v26, v29, v25
	s_delay_alu instid0(VALU_DEP_1) | instskip(NEXT) | instid1(VALU_DEP_1)
	v_add_f32_e32 v31, v30, v26
	v_sub_f32_e32 v32, v28, v31
	v_sub_f32_e32 v24, v31, v30
	s_delay_alu instid0(VALU_DEP_2) | instskip(NEXT) | instid1(VALU_DEP_2)
	v_sub_f32_e32 v28, v28, v32
	v_sub_f32_e32 v24, v24, v26
	s_delay_alu instid0(VALU_DEP_2) | instskip(NEXT) | instid1(VALU_DEP_1)
	v_sub_f32_e32 v28, v28, v31
	v_add_f32_e32 v22, v22, v28
	s_delay_alu instid0(VALU_DEP_1) | instskip(NEXT) | instid1(VALU_DEP_1)
	v_add_f32_e32 v22, v24, v22
	v_add_f32_e32 v24, v32, v22
	s_delay_alu instid0(VALU_DEP_1) | instskip(NEXT) | instid1(VALU_DEP_1)
	v_mul_f32_e32 v26, v23, v24
	v_dual_sub_f32 v31, v32, v24 :: v_dual_mul_f32 v28, v27, v26
	s_delay_alu instid0(VALU_DEP_1) | instskip(NEXT) | instid1(VALU_DEP_2)
	v_add_f32_e32 v22, v22, v31
	v_fma_f32 v27, v26, v27, -v28
	s_delay_alu instid0(VALU_DEP_1) | instskip(NEXT) | instid1(VALU_DEP_1)
	v_fmac_f32_e32 v27, v26, v25
	v_add_f32_e32 v25, v28, v27
	s_delay_alu instid0(VALU_DEP_1) | instskip(NEXT) | instid1(VALU_DEP_1)
	v_sub_f32_e32 v30, v24, v25
	v_sub_f32_e32 v24, v24, v30
	s_delay_alu instid0(VALU_DEP_1) | instskip(NEXT) | instid1(VALU_DEP_1)
	v_sub_f32_e32 v24, v24, v25
	v_add_f32_e32 v22, v22, v24
	v_add_f32_e32 v24, v29, v26
	v_sub_f32_e32 v28, v25, v28
	s_delay_alu instid0(VALU_DEP_1) | instskip(NEXT) | instid1(VALU_DEP_1)
	v_sub_f32_e32 v25, v28, v27
	v_dual_add_f32 v22, v25, v22 :: v_dual_sub_f32 v25, v24, v29
	s_delay_alu instid0(VALU_DEP_1) | instskip(NEXT) | instid1(VALU_DEP_1)
	v_add_f32_e32 v22, v30, v22
	v_dual_sub_f32 v25, v26, v25 :: v_dual_mul_f32 v22, v23, v22
	s_delay_alu instid0(VALU_DEP_1) | instskip(NEXT) | instid1(VALU_DEP_1)
	v_add_f32_e32 v22, v25, v22
	v_add_f32_e32 v23, v24, v22
	s_delay_alu instid0(VALU_DEP_1) | instskip(NEXT) | instid1(VALU_DEP_1)
	v_mul_f32_e32 v25, v23, v23
	v_fmaak_f32 v26, s0, v25, 0x3ecc95a3
	v_mul_f32_e32 v27, v23, v25
	v_cmp_eq_f32_e64 s0, 0x7f800000, v5
	s_delay_alu instid0(VALU_DEP_3) | instskip(SKIP_2) | instid1(VALU_DEP_4)
	v_fmaak_f32 v25, v25, v26, 0x3f2aaada
	v_ldexp_f32 v26, v23, 1
	v_sub_f32_e32 v23, v23, v24
	s_or_b32 s0, s0, s12
	s_delay_alu instid0(VALU_DEP_3) | instskip(NEXT) | instid1(VALU_DEP_2)
	v_mul_f32_e32 v25, v27, v25
	v_dual_mul_f32 v27, 0x3f317218, v21 :: v_dual_sub_f32 v22, v22, v23
	s_delay_alu instid0(VALU_DEP_2) | instskip(NEXT) | instid1(VALU_DEP_2)
	v_add_f32_e32 v24, v26, v25
	v_ldexp_f32 v22, v22, 1
	s_delay_alu instid0(VALU_DEP_2) | instskip(NEXT) | instid1(VALU_DEP_4)
	v_sub_f32_e32 v23, v24, v26
	v_fma_f32 v26, 0x3f317218, v21, -v27
	s_delay_alu instid0(VALU_DEP_2) | instskip(NEXT) | instid1(VALU_DEP_1)
	v_sub_f32_e32 v23, v25, v23
	v_dual_fmamk_f32 v21, v21, 0xb102e308, v26 :: v_dual_add_f32 v22, v22, v23
	s_delay_alu instid0(VALU_DEP_1) | instskip(NEXT) | instid1(VALU_DEP_1)
	v_add_f32_e32 v23, v27, v21
	v_sub_f32_e32 v27, v23, v27
	s_delay_alu instid0(VALU_DEP_1) | instskip(NEXT) | instid1(VALU_DEP_4)
	v_sub_f32_e32 v21, v21, v27
	v_add_f32_e32 v25, v24, v22
	s_delay_alu instid0(VALU_DEP_1) | instskip(NEXT) | instid1(VALU_DEP_1)
	v_sub_f32_e32 v24, v25, v24
	v_sub_f32_e32 v22, v22, v24
	v_add_f32_e32 v26, v23, v25
	s_delay_alu instid0(VALU_DEP_1) | instskip(NEXT) | instid1(VALU_DEP_1)
	v_sub_f32_e32 v28, v26, v23
	v_sub_f32_e32 v24, v25, v28
	s_delay_alu instid0(VALU_DEP_4) | instskip(SKIP_1) | instid1(VALU_DEP_1)
	v_add_f32_e32 v25, v21, v22
	v_sub_f32_e32 v29, v26, v28
	v_sub_f32_e32 v23, v23, v29
	s_delay_alu instid0(VALU_DEP_1) | instskip(NEXT) | instid1(VALU_DEP_1)
	v_dual_add_f32 v23, v24, v23 :: v_dual_sub_f32 v24, v25, v21
	v_dual_add_f32 v23, v25, v23 :: v_dual_sub_f32 v22, v22, v24
	v_sub_f32_e32 v25, v25, v24
	s_delay_alu instid0(VALU_DEP_2) | instskip(NEXT) | instid1(VALU_DEP_1)
	v_add_f32_e32 v27, v26, v23
	v_dual_sub_f32 v21, v21, v25 :: v_dual_sub_f32 v24, v27, v26
	s_delay_alu instid0(VALU_DEP_1) | instskip(NEXT) | instid1(VALU_DEP_1)
	v_dual_add_f32 v21, v22, v21 :: v_dual_sub_f32 v22, v23, v24
	v_add_f32_e32 v21, v21, v22
	s_delay_alu instid0(VALU_DEP_1) | instskip(NEXT) | instid1(VALU_DEP_1)
	v_add_f32_e32 v21, v27, v21
	v_cndmask_b32_e64 v5, v21, v5, s0
	s_delay_alu instid0(VALU_DEP_1)
	v_add_f32_e32 v5, v6, v5
.LBB154_63:
	s_or_b32 exec_lo, exec_lo, s1
	ds_load_b32 v6, v20 offset:28
	v_max_f32_e32 v21, v5, v5
	v_cmp_u_f32_e64 s0, v5, v5
	ds_store_b32 v20, v5 offset:24
	s_waitcnt lgkmcnt(1)
	v_max_f32_e32 v22, v6, v6
	s_delay_alu instid0(VALU_DEP_1) | instskip(SKIP_1) | instid1(VALU_DEP_2)
	v_min_f32_e32 v23, v21, v22
	v_max_f32_e32 v21, v21, v22
	v_cndmask_b32_e64 v22, v23, v5, s0
	s_delay_alu instid0(VALU_DEP_2) | instskip(SKIP_1) | instid1(VALU_DEP_1)
	v_cndmask_b32_e64 v23, v21, v5, s0
	v_cmp_u_f32_e64 s0, v6, v6
	v_cndmask_b32_e64 v21, v22, v6, s0
	s_delay_alu instid0(VALU_DEP_3) | instskip(NEXT) | instid1(VALU_DEP_2)
	v_cndmask_b32_e64 v6, v23, v6, s0
	v_cmp_class_f32_e64 s1, v21, 0x1f8
	s_delay_alu instid0(VALU_DEP_2) | instskip(NEXT) | instid1(VALU_DEP_1)
	v_cmp_neq_f32_e64 s0, v21, v6
	s_or_b32 s0, s0, s1
	s_delay_alu instid0(SALU_CYCLE_1)
	s_and_saveexec_b32 s1, s0
	s_cbranch_execz .LBB154_65
; %bb.64:
	v_sub_f32_e32 v5, v21, v6
	s_delay_alu instid0(VALU_DEP_1) | instskip(SKIP_1) | instid1(VALU_DEP_2)
	v_mul_f32_e32 v21, 0x3fb8aa3b, v5
	v_cmp_ngt_f32_e64 s0, 0xc2ce8ed0, v5
	v_fma_f32 v22, 0x3fb8aa3b, v5, -v21
	v_rndne_f32_e32 v23, v21
	s_delay_alu instid0(VALU_DEP_2) | instskip(NEXT) | instid1(VALU_DEP_2)
	v_fmamk_f32 v22, v5, 0x32a5705f, v22
	v_sub_f32_e32 v21, v21, v23
	s_delay_alu instid0(VALU_DEP_1) | instskip(SKIP_1) | instid1(VALU_DEP_2)
	v_add_f32_e32 v21, v21, v22
	v_cvt_i32_f32_e32 v22, v23
	v_exp_f32_e32 v21, v21
	s_waitcnt_depctr 0xfff
	v_ldexp_f32 v21, v21, v22
	s_delay_alu instid0(VALU_DEP_1) | instskip(SKIP_1) | instid1(VALU_DEP_1)
	v_cndmask_b32_e64 v21, 0, v21, s0
	v_cmp_nlt_f32_e64 s0, 0x42b17218, v5
	v_cndmask_b32_e64 v5, 0x7f800000, v21, s0
	s_delay_alu instid0(VALU_DEP_1) | instskip(SKIP_1) | instid1(VALU_DEP_2)
	v_add_f32_e32 v23, 1.0, v5
	v_cmp_gt_f32_e64 s12, 0x33800000, |v5|
	v_cvt_f64_f32_e32 v[21:22], v23
	s_delay_alu instid0(VALU_DEP_1) | instskip(SKIP_1) | instid1(VALU_DEP_1)
	v_frexp_exp_i32_f64_e32 v21, v[21:22]
	v_frexp_mant_f32_e32 v22, v23
	v_cmp_gt_f32_e64 s0, 0x3f2aaaab, v22
	v_add_f32_e32 v22, -1.0, v23
	s_delay_alu instid0(VALU_DEP_1) | instskip(NEXT) | instid1(VALU_DEP_3)
	v_dual_sub_f32 v25, v22, v23 :: v_dual_sub_f32 v22, v5, v22
	v_subrev_co_ci_u32_e64 v21, s0, 0, v21, s0
	s_mov_b32 s0, 0x3e9b6dac
	s_delay_alu instid0(VALU_DEP_1) | instskip(SKIP_1) | instid1(VALU_DEP_2)
	v_sub_nc_u32_e32 v24, 0, v21
	v_cvt_f32_i32_e32 v21, v21
	v_ldexp_f32 v23, v23, v24
	s_delay_alu instid0(VALU_DEP_1) | instskip(NEXT) | instid1(VALU_DEP_1)
	v_dual_add_f32 v25, 1.0, v25 :: v_dual_add_f32 v26, 1.0, v23
	v_add_f32_e32 v22, v22, v25
	s_delay_alu instid0(VALU_DEP_1) | instskip(NEXT) | instid1(VALU_DEP_3)
	v_ldexp_f32 v22, v22, v24
	v_dual_add_f32 v24, -1.0, v23 :: v_dual_add_f32 v25, -1.0, v26
	s_delay_alu instid0(VALU_DEP_1) | instskip(NEXT) | instid1(VALU_DEP_2)
	v_add_f32_e32 v27, 1.0, v24
	v_sub_f32_e32 v25, v23, v25
	s_delay_alu instid0(VALU_DEP_2) | instskip(NEXT) | instid1(VALU_DEP_2)
	v_sub_f32_e32 v23, v23, v27
	v_add_f32_e32 v25, v22, v25
	s_delay_alu instid0(VALU_DEP_2) | instskip(NEXT) | instid1(VALU_DEP_1)
	v_add_f32_e32 v22, v22, v23
	v_dual_add_f32 v28, v24, v22 :: v_dual_add_f32 v27, v26, v25
	s_delay_alu instid0(VALU_DEP_1) | instskip(NEXT) | instid1(VALU_DEP_2)
	v_sub_f32_e32 v24, v24, v28
	v_rcp_f32_e32 v23, v27
	v_sub_f32_e32 v26, v26, v27
	s_delay_alu instid0(VALU_DEP_1) | instskip(SKIP_2) | instid1(VALU_DEP_1)
	v_dual_add_f32 v22, v22, v24 :: v_dual_add_f32 v25, v25, v26
	s_waitcnt_depctr 0xfff
	v_mul_f32_e32 v29, v28, v23
	v_mul_f32_e32 v30, v27, v29
	s_delay_alu instid0(VALU_DEP_1) | instskip(NEXT) | instid1(VALU_DEP_1)
	v_fma_f32 v26, v29, v27, -v30
	v_fmac_f32_e32 v26, v29, v25
	s_delay_alu instid0(VALU_DEP_1) | instskip(NEXT) | instid1(VALU_DEP_1)
	v_add_f32_e32 v31, v30, v26
	v_sub_f32_e32 v32, v28, v31
	v_sub_f32_e32 v24, v31, v30
	s_delay_alu instid0(VALU_DEP_2) | instskip(NEXT) | instid1(VALU_DEP_2)
	v_sub_f32_e32 v28, v28, v32
	v_sub_f32_e32 v24, v24, v26
	s_delay_alu instid0(VALU_DEP_2) | instskip(NEXT) | instid1(VALU_DEP_1)
	v_sub_f32_e32 v28, v28, v31
	v_add_f32_e32 v22, v22, v28
	s_delay_alu instid0(VALU_DEP_1) | instskip(NEXT) | instid1(VALU_DEP_1)
	v_add_f32_e32 v22, v24, v22
	v_add_f32_e32 v24, v32, v22
	s_delay_alu instid0(VALU_DEP_1) | instskip(NEXT) | instid1(VALU_DEP_1)
	v_mul_f32_e32 v26, v23, v24
	v_dual_sub_f32 v31, v32, v24 :: v_dual_mul_f32 v28, v27, v26
	s_delay_alu instid0(VALU_DEP_1) | instskip(NEXT) | instid1(VALU_DEP_2)
	v_add_f32_e32 v22, v22, v31
	v_fma_f32 v27, v26, v27, -v28
	s_delay_alu instid0(VALU_DEP_1) | instskip(NEXT) | instid1(VALU_DEP_1)
	v_fmac_f32_e32 v27, v26, v25
	v_add_f32_e32 v25, v28, v27
	s_delay_alu instid0(VALU_DEP_1) | instskip(NEXT) | instid1(VALU_DEP_1)
	v_sub_f32_e32 v30, v24, v25
	v_sub_f32_e32 v24, v24, v30
	s_delay_alu instid0(VALU_DEP_1) | instskip(NEXT) | instid1(VALU_DEP_1)
	v_sub_f32_e32 v24, v24, v25
	v_add_f32_e32 v22, v22, v24
	v_add_f32_e32 v24, v29, v26
	v_sub_f32_e32 v28, v25, v28
	s_delay_alu instid0(VALU_DEP_1) | instskip(NEXT) | instid1(VALU_DEP_1)
	v_sub_f32_e32 v25, v28, v27
	v_dual_add_f32 v22, v25, v22 :: v_dual_sub_f32 v25, v24, v29
	s_delay_alu instid0(VALU_DEP_1) | instskip(NEXT) | instid1(VALU_DEP_1)
	v_add_f32_e32 v22, v30, v22
	v_dual_sub_f32 v25, v26, v25 :: v_dual_mul_f32 v22, v23, v22
	s_delay_alu instid0(VALU_DEP_1) | instskip(NEXT) | instid1(VALU_DEP_1)
	v_add_f32_e32 v22, v25, v22
	v_add_f32_e32 v23, v24, v22
	s_delay_alu instid0(VALU_DEP_1) | instskip(NEXT) | instid1(VALU_DEP_1)
	v_mul_f32_e32 v25, v23, v23
	v_fmaak_f32 v26, s0, v25, 0x3ecc95a3
	v_mul_f32_e32 v27, v23, v25
	v_cmp_eq_f32_e64 s0, 0x7f800000, v5
	s_delay_alu instid0(VALU_DEP_3) | instskip(SKIP_2) | instid1(VALU_DEP_4)
	v_fmaak_f32 v25, v25, v26, 0x3f2aaada
	v_ldexp_f32 v26, v23, 1
	v_sub_f32_e32 v23, v23, v24
	s_or_b32 s0, s0, s12
	s_delay_alu instid0(VALU_DEP_3) | instskip(NEXT) | instid1(VALU_DEP_2)
	v_mul_f32_e32 v25, v27, v25
	v_dual_mul_f32 v27, 0x3f317218, v21 :: v_dual_sub_f32 v22, v22, v23
	s_delay_alu instid0(VALU_DEP_2) | instskip(NEXT) | instid1(VALU_DEP_2)
	v_add_f32_e32 v24, v26, v25
	v_ldexp_f32 v22, v22, 1
	s_delay_alu instid0(VALU_DEP_2) | instskip(NEXT) | instid1(VALU_DEP_4)
	v_sub_f32_e32 v23, v24, v26
	v_fma_f32 v26, 0x3f317218, v21, -v27
	s_delay_alu instid0(VALU_DEP_2) | instskip(NEXT) | instid1(VALU_DEP_1)
	v_sub_f32_e32 v23, v25, v23
	v_dual_fmamk_f32 v21, v21, 0xb102e308, v26 :: v_dual_add_f32 v22, v22, v23
	s_delay_alu instid0(VALU_DEP_1) | instskip(NEXT) | instid1(VALU_DEP_1)
	v_add_f32_e32 v23, v27, v21
	v_sub_f32_e32 v27, v23, v27
	s_delay_alu instid0(VALU_DEP_1) | instskip(NEXT) | instid1(VALU_DEP_4)
	v_sub_f32_e32 v21, v21, v27
	v_add_f32_e32 v25, v24, v22
	s_delay_alu instid0(VALU_DEP_1) | instskip(NEXT) | instid1(VALU_DEP_1)
	v_sub_f32_e32 v24, v25, v24
	v_sub_f32_e32 v22, v22, v24
	v_add_f32_e32 v26, v23, v25
	s_delay_alu instid0(VALU_DEP_1) | instskip(NEXT) | instid1(VALU_DEP_1)
	v_sub_f32_e32 v28, v26, v23
	v_sub_f32_e32 v24, v25, v28
	s_delay_alu instid0(VALU_DEP_4) | instskip(SKIP_1) | instid1(VALU_DEP_1)
	v_add_f32_e32 v25, v21, v22
	v_sub_f32_e32 v29, v26, v28
	v_sub_f32_e32 v23, v23, v29
	s_delay_alu instid0(VALU_DEP_1) | instskip(NEXT) | instid1(VALU_DEP_1)
	v_dual_add_f32 v23, v24, v23 :: v_dual_sub_f32 v24, v25, v21
	v_dual_add_f32 v23, v25, v23 :: v_dual_sub_f32 v22, v22, v24
	v_sub_f32_e32 v25, v25, v24
	s_delay_alu instid0(VALU_DEP_2) | instskip(NEXT) | instid1(VALU_DEP_1)
	v_add_f32_e32 v27, v26, v23
	v_dual_sub_f32 v21, v21, v25 :: v_dual_sub_f32 v24, v27, v26
	s_delay_alu instid0(VALU_DEP_1) | instskip(NEXT) | instid1(VALU_DEP_1)
	v_dual_add_f32 v21, v22, v21 :: v_dual_sub_f32 v22, v23, v24
	v_add_f32_e32 v21, v21, v22
	s_delay_alu instid0(VALU_DEP_1) | instskip(NEXT) | instid1(VALU_DEP_1)
	v_add_f32_e32 v21, v27, v21
	v_cndmask_b32_e64 v5, v21, v5, s0
	s_delay_alu instid0(VALU_DEP_1)
	v_add_f32_e32 v5, v6, v5
.LBB154_65:
	s_or_b32 exec_lo, exec_lo, s1
	ds_store_b32 v20, v5 offset:28
.LBB154_66:
	s_or_b32 exec_lo, exec_lo, s9
	v_cmp_ne_u32_e64 s0, 0, v0
	s_waitcnt lgkmcnt(0)
	s_barrier
	buffer_gl0_inv
	s_and_saveexec_b32 s1, s0
	s_cbranch_execz .LBB154_68
; %bb.67:
	v_add_nc_u32_e32 v0, -1, v0
	s_delay_alu instid0(VALU_DEP_1) | instskip(NEXT) | instid1(VALU_DEP_1)
	v_lshrrev_b32_e32 v5, 5, v0
	v_add_lshl_u32 v0, v5, v0, 2
	ds_load_b32 v19, v0
.LBB154_68:
	s_or_b32 exec_lo, exec_lo, s1
	s_and_saveexec_b32 s1, s0
	s_cbranch_execz .LBB154_72
; %bb.69:
	s_waitcnt lgkmcnt(0)
	v_max_f32_e32 v0, v19, v19
	v_cmp_u_f32_e64 s0, v19, v19
	s_delay_alu instid0(VALU_DEP_2) | instskip(SKIP_1) | instid1(VALU_DEP_2)
	v_min_f32_e32 v5, v0, v18
	v_max_f32_e32 v0, v0, v18
	v_cndmask_b32_e64 v5, v5, v19, s0
	s_delay_alu instid0(VALU_DEP_2) | instskip(NEXT) | instid1(VALU_DEP_2)
	v_cndmask_b32_e64 v0, v0, v19, s0
	v_cndmask_b32_e64 v5, v5, v1, s8
	s_delay_alu instid0(VALU_DEP_2) | instskip(NEXT) | instid1(VALU_DEP_2)
	v_cndmask_b32_e64 v0, v0, v1, s8
	v_cmp_class_f32_e64 s8, v5, 0x1f8
	s_delay_alu instid0(VALU_DEP_2) | instskip(NEXT) | instid1(VALU_DEP_1)
	v_cmp_neq_f32_e64 s0, v5, v0
	s_or_b32 s0, s0, s8
	s_delay_alu instid0(SALU_CYCLE_1)
	s_and_saveexec_b32 s8, s0
	s_cbranch_execz .LBB154_71
; %bb.70:
	v_sub_f32_e32 v1, v5, v0
	s_delay_alu instid0(VALU_DEP_1) | instskip(SKIP_1) | instid1(VALU_DEP_2)
	v_mul_f32_e32 v5, 0x3fb8aa3b, v1
	v_cmp_ngt_f32_e64 s0, 0xc2ce8ed0, v1
	v_fma_f32 v6, 0x3fb8aa3b, v1, -v5
	v_rndne_f32_e32 v16, v5
	s_delay_alu instid0(VALU_DEP_2) | instskip(NEXT) | instid1(VALU_DEP_2)
	v_fmamk_f32 v6, v1, 0x32a5705f, v6
	v_sub_f32_e32 v5, v5, v16
	s_delay_alu instid0(VALU_DEP_1) | instskip(SKIP_1) | instid1(VALU_DEP_2)
	v_add_f32_e32 v5, v5, v6
	v_cvt_i32_f32_e32 v6, v16
	v_exp_f32_e32 v5, v5
	s_waitcnt_depctr 0xfff
	v_ldexp_f32 v5, v5, v6
	s_delay_alu instid0(VALU_DEP_1) | instskip(SKIP_1) | instid1(VALU_DEP_1)
	v_cndmask_b32_e64 v5, 0, v5, s0
	v_cmp_nlt_f32_e64 s0, 0x42b17218, v1
	v_cndmask_b32_e64 v1, 0x7f800000, v5, s0
	s_delay_alu instid0(VALU_DEP_1) | instskip(SKIP_1) | instid1(VALU_DEP_2)
	v_add_f32_e32 v16, 1.0, v1
	v_cmp_gt_f32_e64 s9, 0x33800000, |v1|
	v_cvt_f64_f32_e32 v[5:6], v16
	s_delay_alu instid0(VALU_DEP_1) | instskip(SKIP_1) | instid1(VALU_DEP_1)
	v_frexp_exp_i32_f64_e32 v5, v[5:6]
	v_frexp_mant_f32_e32 v6, v16
	v_cmp_gt_f32_e64 s0, 0x3f2aaaab, v6
	v_add_f32_e32 v6, -1.0, v16
	s_delay_alu instid0(VALU_DEP_1) | instskip(NEXT) | instid1(VALU_DEP_1)
	v_sub_f32_e32 v18, v6, v16
	v_add_f32_e32 v18, 1.0, v18
	s_delay_alu instid0(VALU_DEP_4) | instskip(SKIP_1) | instid1(VALU_DEP_1)
	v_subrev_co_ci_u32_e64 v5, s0, 0, v5, s0
	s_mov_b32 s0, 0x3e9b6dac
	v_sub_nc_u32_e32 v17, 0, v5
	v_cvt_f32_i32_e32 v5, v5
	s_delay_alu instid0(VALU_DEP_2) | instskip(NEXT) | instid1(VALU_DEP_1)
	v_ldexp_f32 v16, v16, v17
	v_dual_sub_f32 v6, v1, v6 :: v_dual_add_f32 v19, 1.0, v16
	s_delay_alu instid0(VALU_DEP_1) | instskip(NEXT) | instid1(VALU_DEP_1)
	v_add_f32_e32 v6, v6, v18
	v_ldexp_f32 v6, v6, v17
	s_delay_alu instid0(VALU_DEP_3) | instskip(NEXT) | instid1(VALU_DEP_1)
	v_dual_add_f32 v17, -1.0, v16 :: v_dual_add_f32 v18, -1.0, v19
	v_add_f32_e32 v20, 1.0, v17
	s_delay_alu instid0(VALU_DEP_2) | instskip(NEXT) | instid1(VALU_DEP_2)
	v_sub_f32_e32 v18, v16, v18
	v_sub_f32_e32 v16, v16, v20
	s_delay_alu instid0(VALU_DEP_2) | instskip(NEXT) | instid1(VALU_DEP_2)
	v_add_f32_e32 v18, v6, v18
	v_add_f32_e32 v6, v6, v16
	s_delay_alu instid0(VALU_DEP_1) | instskip(NEXT) | instid1(VALU_DEP_1)
	v_add_f32_e32 v21, v17, v6
	v_dual_sub_f32 v17, v17, v21 :: v_dual_add_f32 v20, v19, v18
	s_delay_alu instid0(VALU_DEP_1) | instskip(SKIP_1) | instid1(VALU_DEP_1)
	v_rcp_f32_e32 v16, v20
	v_sub_f32_e32 v19, v19, v20
	v_add_f32_e32 v18, v18, v19
	s_waitcnt_depctr 0xfff
	v_mul_f32_e32 v22, v21, v16
	s_delay_alu instid0(VALU_DEP_1) | instskip(NEXT) | instid1(VALU_DEP_1)
	v_mul_f32_e32 v23, v20, v22
	v_fma_f32 v19, v22, v20, -v23
	s_delay_alu instid0(VALU_DEP_1) | instskip(SKIP_1) | instid1(VALU_DEP_2)
	v_fmac_f32_e32 v19, v22, v18
	v_add_f32_e32 v6, v6, v17
	v_add_f32_e32 v24, v23, v19
	s_delay_alu instid0(VALU_DEP_1) | instskip(SKIP_1) | instid1(VALU_DEP_2)
	v_sub_f32_e32 v25, v21, v24
	v_sub_f32_e32 v17, v24, v23
	;; [unrolled: 1-line block ×3, first 2 shown]
	s_delay_alu instid0(VALU_DEP_2) | instskip(NEXT) | instid1(VALU_DEP_2)
	v_sub_f32_e32 v17, v17, v19
	v_sub_f32_e32 v21, v21, v24
	s_delay_alu instid0(VALU_DEP_1) | instskip(NEXT) | instid1(VALU_DEP_1)
	v_add_f32_e32 v6, v6, v21
	v_add_f32_e32 v6, v17, v6
	s_delay_alu instid0(VALU_DEP_1) | instskip(NEXT) | instid1(VALU_DEP_1)
	v_add_f32_e32 v17, v25, v6
	v_mul_f32_e32 v19, v16, v17
	s_delay_alu instid0(VALU_DEP_1) | instskip(NEXT) | instid1(VALU_DEP_1)
	v_dual_sub_f32 v24, v25, v17 :: v_dual_mul_f32 v21, v20, v19
	v_fma_f32 v20, v19, v20, -v21
	s_delay_alu instid0(VALU_DEP_1) | instskip(NEXT) | instid1(VALU_DEP_1)
	v_fmac_f32_e32 v20, v19, v18
	v_add_f32_e32 v18, v21, v20
	s_delay_alu instid0(VALU_DEP_1) | instskip(SKIP_1) | instid1(VALU_DEP_1)
	v_sub_f32_e32 v21, v18, v21
	v_dual_sub_f32 v23, v17, v18 :: v_dual_add_f32 v6, v6, v24
	v_sub_f32_e32 v17, v17, v23
	s_delay_alu instid0(VALU_DEP_1) | instskip(NEXT) | instid1(VALU_DEP_4)
	v_sub_f32_e32 v17, v17, v18
	v_sub_f32_e32 v18, v21, v20
	s_delay_alu instid0(VALU_DEP_2) | instskip(SKIP_1) | instid1(VALU_DEP_2)
	v_add_f32_e32 v6, v6, v17
	v_add_f32_e32 v17, v22, v19
	v_add_f32_e32 v6, v18, v6
	s_delay_alu instid0(VALU_DEP_2) | instskip(NEXT) | instid1(VALU_DEP_2)
	v_sub_f32_e32 v18, v17, v22
	v_add_f32_e32 v6, v23, v6
	s_delay_alu instid0(VALU_DEP_2) | instskip(NEXT) | instid1(VALU_DEP_2)
	v_sub_f32_e32 v18, v19, v18
	v_mul_f32_e32 v6, v16, v6
	s_delay_alu instid0(VALU_DEP_1) | instskip(NEXT) | instid1(VALU_DEP_1)
	v_add_f32_e32 v6, v18, v6
	v_add_f32_e32 v16, v17, v6
	s_delay_alu instid0(VALU_DEP_1) | instskip(NEXT) | instid1(VALU_DEP_1)
	v_mul_f32_e32 v18, v16, v16
	v_fmaak_f32 v19, s0, v18, 0x3ecc95a3
	v_mul_f32_e32 v20, v16, v18
	v_cmp_eq_f32_e64 s0, 0x7f800000, v1
	s_delay_alu instid0(VALU_DEP_3) | instskip(SKIP_2) | instid1(VALU_DEP_4)
	v_fmaak_f32 v18, v18, v19, 0x3f2aaada
	v_ldexp_f32 v19, v16, 1
	v_sub_f32_e32 v16, v16, v17
	s_or_b32 s0, s0, s9
	s_delay_alu instid0(VALU_DEP_3) | instskip(NEXT) | instid1(VALU_DEP_1)
	v_mul_f32_e32 v18, v20, v18
	v_dual_sub_f32 v6, v6, v16 :: v_dual_add_f32 v17, v19, v18
	s_delay_alu instid0(VALU_DEP_1) | instskip(NEXT) | instid1(VALU_DEP_2)
	v_ldexp_f32 v6, v6, 1
	v_sub_f32_e32 v16, v17, v19
	s_delay_alu instid0(VALU_DEP_1) | instskip(NEXT) | instid1(VALU_DEP_1)
	v_sub_f32_e32 v16, v18, v16
	v_add_f32_e32 v6, v6, v16
	s_delay_alu instid0(VALU_DEP_1) | instskip(SKIP_1) | instid1(VALU_DEP_2)
	v_add_f32_e32 v18, v17, v6
	v_mul_f32_e32 v20, 0x3f317218, v5
	v_sub_f32_e32 v17, v18, v17
	s_delay_alu instid0(VALU_DEP_2) | instskip(NEXT) | instid1(VALU_DEP_1)
	v_fma_f32 v19, 0x3f317218, v5, -v20
	v_dual_sub_f32 v6, v6, v17 :: v_dual_fmamk_f32 v5, v5, 0xb102e308, v19
	s_delay_alu instid0(VALU_DEP_1) | instskip(NEXT) | instid1(VALU_DEP_1)
	v_add_f32_e32 v16, v20, v5
	v_add_f32_e32 v19, v16, v18
	v_sub_f32_e32 v20, v16, v20
	s_delay_alu instid0(VALU_DEP_2) | instskip(NEXT) | instid1(VALU_DEP_1)
	v_sub_f32_e32 v21, v19, v16
	v_dual_sub_f32 v5, v5, v20 :: v_dual_sub_f32 v22, v19, v21
	s_delay_alu instid0(VALU_DEP_1) | instskip(NEXT) | instid1(VALU_DEP_2)
	v_dual_sub_f32 v17, v18, v21 :: v_dual_add_f32 v18, v5, v6
	v_sub_f32_e32 v16, v16, v22
	s_delay_alu instid0(VALU_DEP_1) | instskip(NEXT) | instid1(VALU_DEP_1)
	v_dual_add_f32 v16, v17, v16 :: v_dual_sub_f32 v17, v18, v5
	v_add_f32_e32 v16, v18, v16
	s_delay_alu instid0(VALU_DEP_2) | instskip(SKIP_1) | instid1(VALU_DEP_2)
	v_sub_f32_e32 v18, v18, v17
	v_sub_f32_e32 v6, v6, v17
	v_dual_add_f32 v20, v19, v16 :: v_dual_sub_f32 v5, v5, v18
	s_delay_alu instid0(VALU_DEP_1) | instskip(NEXT) | instid1(VALU_DEP_2)
	v_sub_f32_e32 v17, v20, v19
	v_add_f32_e32 v5, v6, v5
	s_delay_alu instid0(VALU_DEP_2) | instskip(NEXT) | instid1(VALU_DEP_1)
	v_sub_f32_e32 v6, v16, v17
	v_add_f32_e32 v5, v5, v6
	s_delay_alu instid0(VALU_DEP_1) | instskip(NEXT) | instid1(VALU_DEP_1)
	v_add_f32_e32 v5, v20, v5
	v_cndmask_b32_e64 v1, v5, v1, s0
	s_delay_alu instid0(VALU_DEP_1)
	v_add_f32_e32 v19, v0, v1
.LBB154_71:
	s_or_b32 exec_lo, exec_lo, s8
	s_delay_alu instid0(VALU_DEP_1) | instskip(SKIP_1) | instid1(VALU_DEP_1)
	v_max_f32_e32 v0, v19, v19
	;;#ASMSTART
	;;#ASMEND
	v_dual_mov_b32 v1, v19 :: v_dual_min_f32 v16, v0, v15
	v_max_f32_e32 v17, v0, v15
.LBB154_72:
	s_or_b32 exec_lo, exec_lo, s1
	s_delay_alu instid0(VALU_DEP_2) | instskip(NEXT) | instid1(VALU_DEP_1)
	v_cmp_u_f32_e64 s0, v1, v1
	v_cndmask_b32_e64 v0, v16, v1, s0
	s_delay_alu instid0(VALU_DEP_3) | instskip(NEXT) | instid1(VALU_DEP_2)
	v_cndmask_b32_e64 v6, v17, v1, s0
	v_cndmask_b32_e64 v5, v0, v2, s5
	s_delay_alu instid0(VALU_DEP_2) | instskip(SKIP_1) | instid1(VALU_DEP_3)
	v_cndmask_b32_e64 v2, v6, v2, s5
	v_mov_b32_e32 v0, v1
	v_cmp_class_f32_e64 s1, v5, 0x1f8
	s_delay_alu instid0(VALU_DEP_3) | instskip(NEXT) | instid1(VALU_DEP_1)
	v_cmp_neq_f32_e64 s0, v5, v2
	s_or_b32 s0, s0, s1
	s_delay_alu instid0(SALU_CYCLE_1)
	s_and_saveexec_b32 s1, s0
	s_cbranch_execz .LBB154_74
; %bb.73:
	v_sub_f32_e32 v0, v5, v2
	s_delay_alu instid0(VALU_DEP_1) | instskip(SKIP_1) | instid1(VALU_DEP_2)
	v_mul_f32_e32 v5, 0x3fb8aa3b, v0
	v_cmp_ngt_f32_e64 s0, 0xc2ce8ed0, v0
	v_fma_f32 v6, 0x3fb8aa3b, v0, -v5
	v_rndne_f32_e32 v15, v5
	s_delay_alu instid0(VALU_DEP_1) | instskip(NEXT) | instid1(VALU_DEP_1)
	v_dual_fmamk_f32 v6, v0, 0x32a5705f, v6 :: v_dual_sub_f32 v5, v5, v15
	v_add_f32_e32 v5, v5, v6
	v_cvt_i32_f32_e32 v6, v15
	s_delay_alu instid0(VALU_DEP_2) | instskip(SKIP_2) | instid1(VALU_DEP_1)
	v_exp_f32_e32 v5, v5
	s_waitcnt_depctr 0xfff
	v_ldexp_f32 v5, v5, v6
	v_cndmask_b32_e64 v5, 0, v5, s0
	v_cmp_nlt_f32_e64 s0, 0x42b17218, v0
	s_delay_alu instid0(VALU_DEP_1) | instskip(NEXT) | instid1(VALU_DEP_1)
	v_cndmask_b32_e64 v0, 0x7f800000, v5, s0
	v_add_f32_e32 v15, 1.0, v0
	v_cmp_gt_f32_e64 s5, 0x33800000, |v0|
	s_delay_alu instid0(VALU_DEP_2) | instskip(NEXT) | instid1(VALU_DEP_1)
	v_cvt_f64_f32_e32 v[5:6], v15
	v_frexp_exp_i32_f64_e32 v5, v[5:6]
	v_frexp_mant_f32_e32 v6, v15
	s_delay_alu instid0(VALU_DEP_1) | instskip(SKIP_1) | instid1(VALU_DEP_1)
	v_cmp_gt_f32_e64 s0, 0x3f2aaaab, v6
	v_add_f32_e32 v6, -1.0, v15
	v_dual_sub_f32 v17, v6, v15 :: v_dual_sub_f32 v6, v0, v6
	s_delay_alu instid0(VALU_DEP_3) | instskip(SKIP_1) | instid1(VALU_DEP_1)
	v_subrev_co_ci_u32_e64 v5, s0, 0, v5, s0
	s_mov_b32 s0, 0x3e9b6dac
	v_sub_nc_u32_e32 v16, 0, v5
	v_cvt_f32_i32_e32 v5, v5
	s_delay_alu instid0(VALU_DEP_2) | instskip(NEXT) | instid1(VALU_DEP_1)
	v_ldexp_f32 v15, v15, v16
	v_dual_add_f32 v17, 1.0, v17 :: v_dual_add_f32 v18, 1.0, v15
	s_delay_alu instid0(VALU_DEP_1) | instskip(NEXT) | instid1(VALU_DEP_1)
	v_dual_add_f32 v6, v6, v17 :: v_dual_add_f32 v17, -1.0, v18
	v_ldexp_f32 v6, v6, v16
	s_delay_alu instid0(VALU_DEP_2) | instskip(SKIP_1) | instid1(VALU_DEP_1)
	v_dual_add_f32 v16, -1.0, v15 :: v_dual_sub_f32 v17, v15, v17
	s_waitcnt lgkmcnt(0)
	v_add_f32_e32 v19, 1.0, v16
	s_delay_alu instid0(VALU_DEP_2) | instskip(NEXT) | instid1(VALU_DEP_2)
	v_add_f32_e32 v17, v6, v17
	v_sub_f32_e32 v15, v15, v19
	s_delay_alu instid0(VALU_DEP_1) | instskip(NEXT) | instid1(VALU_DEP_1)
	v_add_f32_e32 v6, v6, v15
	v_dual_add_f32 v20, v16, v6 :: v_dual_add_f32 v19, v18, v17
	s_delay_alu instid0(VALU_DEP_1) | instskip(NEXT) | instid1(VALU_DEP_2)
	v_sub_f32_e32 v16, v16, v20
	v_rcp_f32_e32 v15, v19
	v_sub_f32_e32 v18, v18, v19
	s_delay_alu instid0(VALU_DEP_1) | instskip(SKIP_2) | instid1(VALU_DEP_1)
	v_dual_add_f32 v6, v6, v16 :: v_dual_add_f32 v17, v17, v18
	s_waitcnt_depctr 0xfff
	v_mul_f32_e32 v21, v20, v15
	v_mul_f32_e32 v22, v19, v21
	s_delay_alu instid0(VALU_DEP_1) | instskip(NEXT) | instid1(VALU_DEP_1)
	v_fma_f32 v18, v21, v19, -v22
	v_fmac_f32_e32 v18, v21, v17
	s_delay_alu instid0(VALU_DEP_1) | instskip(NEXT) | instid1(VALU_DEP_1)
	v_add_f32_e32 v23, v22, v18
	v_sub_f32_e32 v24, v20, v23
	s_delay_alu instid0(VALU_DEP_1) | instskip(SKIP_1) | instid1(VALU_DEP_2)
	v_sub_f32_e32 v20, v20, v24
	v_sub_f32_e32 v16, v23, v22
	v_sub_f32_e32 v20, v20, v23
	s_delay_alu instid0(VALU_DEP_2) | instskip(NEXT) | instid1(VALU_DEP_2)
	v_sub_f32_e32 v16, v16, v18
	v_add_f32_e32 v6, v6, v20
	s_delay_alu instid0(VALU_DEP_1) | instskip(NEXT) | instid1(VALU_DEP_1)
	v_add_f32_e32 v6, v16, v6
	v_add_f32_e32 v16, v24, v6
	s_delay_alu instid0(VALU_DEP_1) | instskip(NEXT) | instid1(VALU_DEP_1)
	v_mul_f32_e32 v18, v15, v16
	v_dual_sub_f32 v23, v24, v16 :: v_dual_mul_f32 v20, v19, v18
	s_delay_alu instid0(VALU_DEP_1) | instskip(NEXT) | instid1(VALU_DEP_2)
	v_add_f32_e32 v6, v6, v23
	v_fma_f32 v19, v18, v19, -v20
	s_delay_alu instid0(VALU_DEP_1) | instskip(NEXT) | instid1(VALU_DEP_1)
	v_fmac_f32_e32 v19, v18, v17
	v_add_f32_e32 v17, v20, v19
	s_delay_alu instid0(VALU_DEP_1) | instskip(SKIP_1) | instid1(VALU_DEP_2)
	v_sub_f32_e32 v22, v16, v17
	v_sub_f32_e32 v20, v17, v20
	;; [unrolled: 1-line block ×3, first 2 shown]
	s_delay_alu instid0(VALU_DEP_1) | instskip(NEXT) | instid1(VALU_DEP_1)
	v_sub_f32_e32 v16, v16, v17
	v_dual_sub_f32 v17, v20, v19 :: v_dual_add_f32 v6, v6, v16
	v_add_f32_e32 v16, v21, v18
	s_delay_alu instid0(VALU_DEP_1) | instskip(NEXT) | instid1(VALU_DEP_1)
	v_dual_add_f32 v6, v17, v6 :: v_dual_sub_f32 v17, v16, v21
	v_add_f32_e32 v6, v22, v6
	s_delay_alu instid0(VALU_DEP_1) | instskip(NEXT) | instid1(VALU_DEP_1)
	v_dual_sub_f32 v17, v18, v17 :: v_dual_mul_f32 v6, v15, v6
	v_add_f32_e32 v6, v17, v6
	s_delay_alu instid0(VALU_DEP_1) | instskip(NEXT) | instid1(VALU_DEP_1)
	v_add_f32_e32 v15, v16, v6
	v_mul_f32_e32 v17, v15, v15
	s_delay_alu instid0(VALU_DEP_1) | instskip(SKIP_2) | instid1(VALU_DEP_3)
	v_fmaak_f32 v18, s0, v17, 0x3ecc95a3
	v_mul_f32_e32 v19, v15, v17
	v_cmp_eq_f32_e64 s0, 0x7f800000, v0
	v_fmaak_f32 v17, v17, v18, 0x3f2aaada
	v_ldexp_f32 v18, v15, 1
	v_sub_f32_e32 v15, v15, v16
	s_delay_alu instid0(VALU_DEP_4) | instskip(NEXT) | instid1(VALU_DEP_3)
	s_or_b32 s0, s0, s5
	v_mul_f32_e32 v17, v19, v17
	s_delay_alu instid0(VALU_DEP_2) | instskip(NEXT) | instid1(VALU_DEP_2)
	v_dual_mul_f32 v19, 0x3f317218, v5 :: v_dual_sub_f32 v6, v6, v15
	v_add_f32_e32 v16, v18, v17
	s_delay_alu instid0(VALU_DEP_2) | instskip(NEXT) | instid1(VALU_DEP_2)
	v_ldexp_f32 v6, v6, 1
	v_sub_f32_e32 v15, v16, v18
	s_delay_alu instid0(VALU_DEP_4) | instskip(NEXT) | instid1(VALU_DEP_2)
	v_fma_f32 v18, 0x3f317218, v5, -v19
	v_sub_f32_e32 v15, v17, v15
	s_delay_alu instid0(VALU_DEP_1) | instskip(NEXT) | instid1(VALU_DEP_1)
	v_dual_fmamk_f32 v5, v5, 0xb102e308, v18 :: v_dual_add_f32 v6, v6, v15
	v_add_f32_e32 v15, v19, v5
	s_delay_alu instid0(VALU_DEP_1) | instskip(NEXT) | instid1(VALU_DEP_1)
	v_sub_f32_e32 v19, v15, v19
	v_sub_f32_e32 v5, v5, v19
	s_delay_alu instid0(VALU_DEP_4) | instskip(NEXT) | instid1(VALU_DEP_1)
	v_add_f32_e32 v17, v16, v6
	v_sub_f32_e32 v16, v17, v16
	s_delay_alu instid0(VALU_DEP_1) | instskip(SKIP_1) | instid1(VALU_DEP_1)
	v_sub_f32_e32 v6, v6, v16
	v_add_f32_e32 v18, v15, v17
	v_sub_f32_e32 v20, v18, v15
	s_delay_alu instid0(VALU_DEP_1) | instskip(NEXT) | instid1(VALU_DEP_4)
	v_sub_f32_e32 v16, v17, v20
	v_add_f32_e32 v17, v5, v6
	v_sub_f32_e32 v21, v18, v20
	s_delay_alu instid0(VALU_DEP_1) | instskip(NEXT) | instid1(VALU_DEP_1)
	v_sub_f32_e32 v15, v15, v21
	v_dual_add_f32 v15, v16, v15 :: v_dual_sub_f32 v16, v17, v5
	s_delay_alu instid0(VALU_DEP_1) | instskip(SKIP_1) | instid1(VALU_DEP_2)
	v_dual_add_f32 v15, v17, v15 :: v_dual_sub_f32 v6, v6, v16
	v_sub_f32_e32 v17, v17, v16
	v_add_f32_e32 v19, v18, v15
	s_delay_alu instid0(VALU_DEP_1) | instskip(NEXT) | instid1(VALU_DEP_1)
	v_dual_sub_f32 v5, v5, v17 :: v_dual_sub_f32 v16, v19, v18
	v_dual_add_f32 v5, v6, v5 :: v_dual_sub_f32 v6, v15, v16
	s_delay_alu instid0(VALU_DEP_1) | instskip(NEXT) | instid1(VALU_DEP_1)
	v_add_f32_e32 v5, v5, v6
	v_add_f32_e32 v5, v19, v5
	s_delay_alu instid0(VALU_DEP_1) | instskip(NEXT) | instid1(VALU_DEP_1)
	v_cndmask_b32_e64 v0, v5, v0, s0
	v_add_f32_e32 v0, v2, v0
.LBB154_74:
	s_or_b32 exec_lo, exec_lo, s1
	s_delay_alu instid0(VALU_DEP_1) | instskip(SKIP_1) | instid1(VALU_DEP_2)
	v_max_f32_e32 v2, v0, v0
	v_cmp_u_f32_e64 s0, v0, v0
	v_min_f32_e32 v5, v2, v13
	v_max_f32_e32 v2, v2, v13
	s_delay_alu instid0(VALU_DEP_2) | instskip(NEXT) | instid1(VALU_DEP_2)
	v_cndmask_b32_e64 v5, v5, v0, s0
	v_cndmask_b32_e64 v2, v2, v0, s0
	s_delay_alu instid0(VALU_DEP_2) | instskip(NEXT) | instid1(VALU_DEP_2)
	v_cndmask_b32_e64 v5, v5, v3, s6
	v_cndmask_b32_e64 v3, v2, v3, s6
	v_mov_b32_e32 v2, v0
	s_delay_alu instid0(VALU_DEP_3) | instskip(NEXT) | instid1(VALU_DEP_3)
	v_cmp_class_f32_e64 s1, v5, 0x1f8
	v_cmp_neq_f32_e64 s0, v5, v3
	s_delay_alu instid0(VALU_DEP_1) | instskip(NEXT) | instid1(SALU_CYCLE_1)
	s_or_b32 s0, s0, s1
	s_and_saveexec_b32 s1, s0
	s_cbranch_execz .LBB154_76
; %bb.75:
	v_sub_f32_e32 v2, v5, v3
	s_delay_alu instid0(VALU_DEP_1) | instskip(SKIP_1) | instid1(VALU_DEP_2)
	v_mul_f32_e32 v5, 0x3fb8aa3b, v2
	v_cmp_ngt_f32_e64 s0, 0xc2ce8ed0, v2
	v_fma_f32 v6, 0x3fb8aa3b, v2, -v5
	v_rndne_f32_e32 v13, v5
	s_delay_alu instid0(VALU_DEP_1) | instskip(NEXT) | instid1(VALU_DEP_1)
	v_dual_fmamk_f32 v6, v2, 0x32a5705f, v6 :: v_dual_sub_f32 v5, v5, v13
	v_add_f32_e32 v5, v5, v6
	v_cvt_i32_f32_e32 v6, v13
	s_delay_alu instid0(VALU_DEP_2) | instskip(SKIP_2) | instid1(VALU_DEP_1)
	v_exp_f32_e32 v5, v5
	s_waitcnt_depctr 0xfff
	v_ldexp_f32 v5, v5, v6
	v_cndmask_b32_e64 v5, 0, v5, s0
	v_cmp_nlt_f32_e64 s0, 0x42b17218, v2
	s_delay_alu instid0(VALU_DEP_1) | instskip(NEXT) | instid1(VALU_DEP_1)
	v_cndmask_b32_e64 v2, 0x7f800000, v5, s0
	v_add_f32_e32 v13, 1.0, v2
	v_cmp_gt_f32_e64 s5, 0x33800000, |v2|
	s_delay_alu instid0(VALU_DEP_2) | instskip(NEXT) | instid1(VALU_DEP_1)
	v_cvt_f64_f32_e32 v[5:6], v13
	v_frexp_exp_i32_f64_e32 v5, v[5:6]
	v_frexp_mant_f32_e32 v6, v13
	s_delay_alu instid0(VALU_DEP_1) | instskip(SKIP_1) | instid1(VALU_DEP_1)
	v_cmp_gt_f32_e64 s0, 0x3f2aaaab, v6
	v_add_f32_e32 v6, -1.0, v13
	v_sub_f32_e32 v16, v6, v13
	s_delay_alu instid0(VALU_DEP_1) | instskip(NEXT) | instid1(VALU_DEP_4)
	v_add_f32_e32 v16, 1.0, v16
	v_subrev_co_ci_u32_e64 v5, s0, 0, v5, s0
	s_mov_b32 s0, 0x3e9b6dac
	s_delay_alu instid0(VALU_DEP_1) | instskip(SKIP_1) | instid1(VALU_DEP_2)
	v_sub_nc_u32_e32 v15, 0, v5
	v_cvt_f32_i32_e32 v5, v5
	v_ldexp_f32 v13, v13, v15
	s_delay_alu instid0(VALU_DEP_1) | instskip(NEXT) | instid1(VALU_DEP_1)
	v_dual_sub_f32 v6, v2, v6 :: v_dual_add_f32 v17, 1.0, v13
	v_add_f32_e32 v6, v6, v16
	s_delay_alu instid0(VALU_DEP_1) | instskip(SKIP_1) | instid1(VALU_DEP_4)
	v_ldexp_f32 v6, v6, v15
	v_add_f32_e32 v15, -1.0, v13
	v_add_f32_e32 v16, -1.0, v17
	s_delay_alu instid0(VALU_DEP_2) | instskip(NEXT) | instid1(VALU_DEP_2)
	v_add_f32_e32 v18, 1.0, v15
	v_sub_f32_e32 v16, v13, v16
	s_delay_alu instid0(VALU_DEP_1) | instskip(NEXT) | instid1(VALU_DEP_1)
	v_dual_sub_f32 v13, v13, v18 :: v_dual_add_f32 v16, v6, v16
	v_add_f32_e32 v6, v6, v13
	s_waitcnt lgkmcnt(0)
	s_delay_alu instid0(VALU_DEP_1) | instskip(NEXT) | instid1(VALU_DEP_1)
	v_dual_add_f32 v19, v15, v6 :: v_dual_add_f32 v18, v17, v16
	v_sub_f32_e32 v15, v15, v19
	s_delay_alu instid0(VALU_DEP_2) | instskip(SKIP_1) | instid1(VALU_DEP_1)
	v_rcp_f32_e32 v13, v18
	v_sub_f32_e32 v17, v17, v18
	v_add_f32_e32 v16, v16, v17
	s_waitcnt_depctr 0xfff
	v_mul_f32_e32 v20, v19, v13
	s_delay_alu instid0(VALU_DEP_1) | instskip(NEXT) | instid1(VALU_DEP_1)
	v_mul_f32_e32 v21, v18, v20
	v_fma_f32 v17, v20, v18, -v21
	s_delay_alu instid0(VALU_DEP_1) | instskip(NEXT) | instid1(VALU_DEP_1)
	v_fmac_f32_e32 v17, v20, v16
	v_add_f32_e32 v22, v21, v17
	s_delay_alu instid0(VALU_DEP_1) | instskip(NEXT) | instid1(VALU_DEP_1)
	v_sub_f32_e32 v23, v19, v22
	v_sub_f32_e32 v19, v19, v23
	v_add_f32_e32 v6, v6, v15
	v_sub_f32_e32 v15, v22, v21
	s_delay_alu instid0(VALU_DEP_3) | instskip(NEXT) | instid1(VALU_DEP_1)
	v_sub_f32_e32 v19, v19, v22
	v_dual_sub_f32 v15, v15, v17 :: v_dual_add_f32 v6, v6, v19
	s_delay_alu instid0(VALU_DEP_1) | instskip(NEXT) | instid1(VALU_DEP_1)
	v_add_f32_e32 v6, v15, v6
	v_add_f32_e32 v15, v23, v6
	s_delay_alu instid0(VALU_DEP_1) | instskip(NEXT) | instid1(VALU_DEP_1)
	v_mul_f32_e32 v17, v13, v15
	v_dual_sub_f32 v22, v23, v15 :: v_dual_mul_f32 v19, v18, v17
	s_delay_alu instid0(VALU_DEP_1) | instskip(NEXT) | instid1(VALU_DEP_2)
	v_add_f32_e32 v6, v6, v22
	v_fma_f32 v18, v17, v18, -v19
	s_delay_alu instid0(VALU_DEP_1) | instskip(NEXT) | instid1(VALU_DEP_1)
	v_fmac_f32_e32 v18, v17, v16
	v_add_f32_e32 v16, v19, v18
	s_delay_alu instid0(VALU_DEP_1) | instskip(NEXT) | instid1(VALU_DEP_1)
	v_sub_f32_e32 v21, v15, v16
	v_sub_f32_e32 v15, v15, v21
	s_delay_alu instid0(VALU_DEP_1) | instskip(NEXT) | instid1(VALU_DEP_1)
	v_sub_f32_e32 v15, v15, v16
	v_dual_add_f32 v6, v6, v15 :: v_dual_add_f32 v15, v20, v17
	v_sub_f32_e32 v19, v16, v19
	s_delay_alu instid0(VALU_DEP_1) | instskip(NEXT) | instid1(VALU_DEP_1)
	v_sub_f32_e32 v16, v19, v18
	v_add_f32_e32 v6, v16, v6
	s_delay_alu instid0(VALU_DEP_4) | instskip(NEXT) | instid1(VALU_DEP_2)
	v_sub_f32_e32 v16, v15, v20
	v_add_f32_e32 v6, v21, v6
	s_delay_alu instid0(VALU_DEP_2) | instskip(NEXT) | instid1(VALU_DEP_2)
	v_sub_f32_e32 v16, v17, v16
	v_mul_f32_e32 v6, v13, v6
	s_delay_alu instid0(VALU_DEP_1) | instskip(NEXT) | instid1(VALU_DEP_1)
	v_add_f32_e32 v6, v16, v6
	v_add_f32_e32 v13, v15, v6
	s_delay_alu instid0(VALU_DEP_1) | instskip(NEXT) | instid1(VALU_DEP_1)
	v_mul_f32_e32 v16, v13, v13
	v_fmaak_f32 v17, s0, v16, 0x3ecc95a3
	v_mul_f32_e32 v18, v13, v16
	v_cmp_eq_f32_e64 s0, 0x7f800000, v2
	s_delay_alu instid0(VALU_DEP_3) | instskip(SKIP_2) | instid1(VALU_DEP_4)
	v_fmaak_f32 v16, v16, v17, 0x3f2aaada
	v_ldexp_f32 v17, v13, 1
	v_sub_f32_e32 v13, v13, v15
	s_or_b32 s0, s0, s5
	s_delay_alu instid0(VALU_DEP_3) | instskip(NEXT) | instid1(VALU_DEP_1)
	v_mul_f32_e32 v16, v18, v16
	v_dual_add_f32 v15, v17, v16 :: v_dual_sub_f32 v6, v6, v13
	s_delay_alu instid0(VALU_DEP_1) | instskip(NEXT) | instid1(VALU_DEP_2)
	v_sub_f32_e32 v13, v15, v17
	v_ldexp_f32 v6, v6, 1
	s_delay_alu instid0(VALU_DEP_2) | instskip(NEXT) | instid1(VALU_DEP_1)
	v_sub_f32_e32 v13, v16, v13
	v_add_f32_e32 v6, v6, v13
	s_delay_alu instid0(VALU_DEP_1) | instskip(NEXT) | instid1(VALU_DEP_1)
	v_add_f32_e32 v16, v15, v6
	v_dual_mul_f32 v18, 0x3f317218, v5 :: v_dual_sub_f32 v15, v16, v15
	s_delay_alu instid0(VALU_DEP_1) | instskip(NEXT) | instid1(VALU_DEP_1)
	v_fma_f32 v17, 0x3f317218, v5, -v18
	v_fmamk_f32 v5, v5, 0xb102e308, v17
	s_delay_alu instid0(VALU_DEP_1) | instskip(NEXT) | instid1(VALU_DEP_1)
	v_add_f32_e32 v13, v18, v5
	v_add_f32_e32 v17, v13, v16
	s_delay_alu instid0(VALU_DEP_1) | instskip(NEXT) | instid1(VALU_DEP_1)
	v_sub_f32_e32 v19, v17, v13
	v_sub_f32_e32 v20, v17, v19
	;; [unrolled: 1-line block ×3, first 2 shown]
	s_delay_alu instid0(VALU_DEP_2) | instskip(SKIP_1) | instid1(VALU_DEP_3)
	v_dual_sub_f32 v13, v13, v20 :: v_dual_sub_f32 v6, v6, v15
	v_sub_f32_e32 v15, v16, v19
	v_sub_f32_e32 v5, v5, v18
	s_delay_alu instid0(VALU_DEP_1) | instskip(NEXT) | instid1(VALU_DEP_1)
	v_dual_add_f32 v13, v15, v13 :: v_dual_add_f32 v16, v5, v6
	v_sub_f32_e32 v15, v16, v5
	s_delay_alu instid0(VALU_DEP_1) | instskip(SKIP_1) | instid1(VALU_DEP_2)
	v_dual_add_f32 v13, v16, v13 :: v_dual_sub_f32 v6, v6, v15
	v_sub_f32_e32 v16, v16, v15
	v_add_f32_e32 v18, v17, v13
	s_delay_alu instid0(VALU_DEP_2) | instskip(NEXT) | instid1(VALU_DEP_2)
	v_sub_f32_e32 v5, v5, v16
	v_sub_f32_e32 v15, v18, v17
	s_delay_alu instid0(VALU_DEP_1) | instskip(NEXT) | instid1(VALU_DEP_1)
	v_dual_add_f32 v5, v6, v5 :: v_dual_sub_f32 v6, v13, v15
	v_add_f32_e32 v5, v5, v6
	s_delay_alu instid0(VALU_DEP_1) | instskip(NEXT) | instid1(VALU_DEP_1)
	v_add_f32_e32 v5, v18, v5
	v_cndmask_b32_e64 v2, v5, v2, s0
	s_delay_alu instid0(VALU_DEP_1)
	v_add_f32_e32 v2, v3, v2
.LBB154_76:
	s_or_b32 exec_lo, exec_lo, s1
	s_delay_alu instid0(VALU_DEP_1) | instskip(SKIP_1) | instid1(VALU_DEP_2)
	v_max_f32_e32 v3, v2, v2
	v_cmp_u_f32_e64 s0, v2, v2
	v_min_f32_e32 v5, v3, v14
	v_max_f32_e32 v3, v3, v14
	s_delay_alu instid0(VALU_DEP_2) | instskip(NEXT) | instid1(VALU_DEP_2)
	v_cndmask_b32_e64 v5, v5, v2, s0
	v_cndmask_b32_e64 v3, v3, v2, s0
	s_delay_alu instid0(VALU_DEP_2) | instskip(NEXT) | instid1(VALU_DEP_2)
	v_cndmask_b32_e64 v5, v5, v4, s7
	v_cndmask_b32_e64 v3, v3, v4, s7
	v_mov_b32_e32 v4, v2
	s_delay_alu instid0(VALU_DEP_3) | instskip(NEXT) | instid1(VALU_DEP_3)
	v_cmp_class_f32_e64 s1, v5, 0x1f8
	v_cmp_neq_f32_e64 s0, v5, v3
	s_delay_alu instid0(VALU_DEP_1) | instskip(NEXT) | instid1(SALU_CYCLE_1)
	s_or_b32 s0, s0, s1
	s_and_saveexec_b32 s1, s0
	s_cbranch_execz .LBB154_78
; %bb.77:
	v_sub_f32_e32 v4, v5, v3
	s_delay_alu instid0(VALU_DEP_1) | instskip(SKIP_1) | instid1(VALU_DEP_2)
	v_mul_f32_e32 v5, 0x3fb8aa3b, v4
	v_cmp_ngt_f32_e64 s0, 0xc2ce8ed0, v4
	v_fma_f32 v6, 0x3fb8aa3b, v4, -v5
	v_rndne_f32_e32 v13, v5
	s_delay_alu instid0(VALU_DEP_1) | instskip(NEXT) | instid1(VALU_DEP_1)
	v_dual_fmamk_f32 v6, v4, 0x32a5705f, v6 :: v_dual_sub_f32 v5, v5, v13
	v_add_f32_e32 v5, v5, v6
	v_cvt_i32_f32_e32 v6, v13
	s_delay_alu instid0(VALU_DEP_2) | instskip(SKIP_2) | instid1(VALU_DEP_1)
	v_exp_f32_e32 v5, v5
	s_waitcnt_depctr 0xfff
	v_ldexp_f32 v5, v5, v6
	v_cndmask_b32_e64 v5, 0, v5, s0
	v_cmp_nlt_f32_e64 s0, 0x42b17218, v4
	s_delay_alu instid0(VALU_DEP_1) | instskip(NEXT) | instid1(VALU_DEP_1)
	v_cndmask_b32_e64 v6, 0x7f800000, v5, s0
	v_add_f32_e32 v13, 1.0, v6
	v_cmp_gt_f32_e64 s5, 0x33800000, |v6|
	s_delay_alu instid0(VALU_DEP_2) | instskip(NEXT) | instid1(VALU_DEP_1)
	v_cvt_f64_f32_e32 v[4:5], v13
	v_frexp_exp_i32_f64_e32 v4, v[4:5]
	v_frexp_mant_f32_e32 v5, v13
	s_delay_alu instid0(VALU_DEP_1) | instskip(SKIP_1) | instid1(VALU_DEP_1)
	v_cmp_gt_f32_e64 s0, 0x3f2aaaab, v5
	v_add_f32_e32 v5, -1.0, v13
	v_sub_f32_e32 v15, v5, v13
	v_sub_f32_e32 v5, v6, v5
	s_delay_alu instid0(VALU_DEP_2) | instskip(SKIP_2) | instid1(VALU_DEP_1)
	v_add_f32_e32 v15, 1.0, v15
	v_subrev_co_ci_u32_e64 v4, s0, 0, v4, s0
	s_mov_b32 s0, 0x3e9b6dac
	v_sub_nc_u32_e32 v14, 0, v4
	v_cvt_f32_i32_e32 v4, v4
	s_delay_alu instid0(VALU_DEP_2) | instskip(NEXT) | instid1(VALU_DEP_1)
	v_ldexp_f32 v13, v13, v14
	v_dual_add_f32 v16, 1.0, v13 :: v_dual_add_f32 v5, v5, v15
	s_delay_alu instid0(VALU_DEP_1) | instskip(NEXT) | instid1(VALU_DEP_2)
	v_add_f32_e32 v15, -1.0, v16
	v_ldexp_f32 v5, v5, v14
	s_delay_alu instid0(VALU_DEP_2) | instskip(NEXT) | instid1(VALU_DEP_1)
	v_dual_add_f32 v14, -1.0, v13 :: v_dual_sub_f32 v15, v13, v15
	v_add_f32_e32 v17, 1.0, v14
	s_delay_alu instid0(VALU_DEP_2) | instskip(NEXT) | instid1(VALU_DEP_2)
	v_add_f32_e32 v15, v5, v15
	v_sub_f32_e32 v13, v13, v17
	s_delay_alu instid0(VALU_DEP_2) | instskip(NEXT) | instid1(VALU_DEP_2)
	v_add_f32_e32 v17, v16, v15
	v_add_f32_e32 v5, v5, v13
	s_delay_alu instid0(VALU_DEP_2) | instskip(SKIP_1) | instid1(VALU_DEP_1)
	v_rcp_f32_e32 v13, v17
	v_sub_f32_e32 v16, v16, v17
	v_dual_add_f32 v18, v14, v5 :: v_dual_add_f32 v15, v15, v16
	s_delay_alu instid0(VALU_DEP_1) | instskip(SKIP_4) | instid1(VALU_DEP_2)
	v_sub_f32_e32 v14, v14, v18
	s_waitcnt lgkmcnt(0)
	s_waitcnt_depctr 0xfff
	v_mul_f32_e32 v19, v18, v13
	v_add_f32_e32 v5, v5, v14
	v_mul_f32_e32 v20, v17, v19
	s_delay_alu instid0(VALU_DEP_1) | instskip(NEXT) | instid1(VALU_DEP_1)
	v_fma_f32 v16, v19, v17, -v20
	v_fmac_f32_e32 v16, v19, v15
	s_delay_alu instid0(VALU_DEP_1) | instskip(NEXT) | instid1(VALU_DEP_1)
	v_add_f32_e32 v21, v20, v16
	v_sub_f32_e32 v22, v18, v21
	v_sub_f32_e32 v14, v21, v20
	s_delay_alu instid0(VALU_DEP_2) | instskip(NEXT) | instid1(VALU_DEP_2)
	v_sub_f32_e32 v18, v18, v22
	v_sub_f32_e32 v14, v14, v16
	s_delay_alu instid0(VALU_DEP_2) | instskip(NEXT) | instid1(VALU_DEP_1)
	v_sub_f32_e32 v18, v18, v21
	v_add_f32_e32 v5, v5, v18
	s_delay_alu instid0(VALU_DEP_1) | instskip(NEXT) | instid1(VALU_DEP_1)
	v_add_f32_e32 v5, v14, v5
	v_add_f32_e32 v14, v22, v5
	s_delay_alu instid0(VALU_DEP_1) | instskip(NEXT) | instid1(VALU_DEP_1)
	v_mul_f32_e32 v16, v13, v14
	v_dual_sub_f32 v21, v22, v14 :: v_dual_mul_f32 v18, v17, v16
	s_delay_alu instid0(VALU_DEP_1) | instskip(NEXT) | instid1(VALU_DEP_2)
	v_add_f32_e32 v5, v5, v21
	v_fma_f32 v17, v16, v17, -v18
	s_delay_alu instid0(VALU_DEP_1) | instskip(NEXT) | instid1(VALU_DEP_1)
	v_fmac_f32_e32 v17, v16, v15
	v_add_f32_e32 v15, v18, v17
	s_delay_alu instid0(VALU_DEP_1) | instskip(SKIP_1) | instid1(VALU_DEP_2)
	v_sub_f32_e32 v20, v14, v15
	v_sub_f32_e32 v18, v15, v18
	;; [unrolled: 1-line block ×3, first 2 shown]
	s_delay_alu instid0(VALU_DEP_1) | instskip(NEXT) | instid1(VALU_DEP_1)
	v_sub_f32_e32 v14, v14, v15
	v_dual_add_f32 v5, v5, v14 :: v_dual_add_f32 v14, v19, v16
	s_delay_alu instid0(VALU_DEP_4) | instskip(NEXT) | instid1(VALU_DEP_1)
	v_sub_f32_e32 v15, v18, v17
	v_add_f32_e32 v5, v15, v5
	s_delay_alu instid0(VALU_DEP_3) | instskip(NEXT) | instid1(VALU_DEP_2)
	v_sub_f32_e32 v15, v14, v19
	v_add_f32_e32 v5, v20, v5
	s_delay_alu instid0(VALU_DEP_2) | instskip(NEXT) | instid1(VALU_DEP_2)
	v_sub_f32_e32 v15, v16, v15
	v_mul_f32_e32 v5, v13, v5
	s_delay_alu instid0(VALU_DEP_1) | instskip(NEXT) | instid1(VALU_DEP_1)
	v_add_f32_e32 v5, v15, v5
	v_add_f32_e32 v13, v14, v5
	s_delay_alu instid0(VALU_DEP_1) | instskip(NEXT) | instid1(VALU_DEP_1)
	v_mul_f32_e32 v15, v13, v13
	v_fmaak_f32 v16, s0, v15, 0x3ecc95a3
	v_mul_f32_e32 v17, v13, v15
	v_cmp_eq_f32_e64 s0, 0x7f800000, v6
	s_delay_alu instid0(VALU_DEP_3) | instskip(SKIP_2) | instid1(VALU_DEP_4)
	v_fmaak_f32 v15, v15, v16, 0x3f2aaada
	v_ldexp_f32 v16, v13, 1
	v_sub_f32_e32 v13, v13, v14
	s_or_b32 s0, s0, s5
	s_delay_alu instid0(VALU_DEP_3) | instskip(SKIP_1) | instid1(VALU_DEP_2)
	v_mul_f32_e32 v15, v17, v15
	v_mul_f32_e32 v17, 0x3f317218, v4
	v_dual_sub_f32 v5, v5, v13 :: v_dual_add_f32 v14, v16, v15
	s_delay_alu instid0(VALU_DEP_1) | instskip(NEXT) | instid1(VALU_DEP_2)
	v_ldexp_f32 v5, v5, 1
	v_sub_f32_e32 v13, v14, v16
	s_delay_alu instid0(VALU_DEP_4) | instskip(NEXT) | instid1(VALU_DEP_1)
	v_fma_f32 v16, 0x3f317218, v4, -v17
	v_dual_sub_f32 v13, v15, v13 :: v_dual_fmamk_f32 v4, v4, 0xb102e308, v16
	s_delay_alu instid0(VALU_DEP_1) | instskip(NEXT) | instid1(VALU_DEP_2)
	v_add_f32_e32 v5, v5, v13
	v_add_f32_e32 v13, v17, v4
	s_delay_alu instid0(VALU_DEP_2) | instskip(NEXT) | instid1(VALU_DEP_2)
	v_add_f32_e32 v15, v14, v5
	v_sub_f32_e32 v17, v13, v17
	s_delay_alu instid0(VALU_DEP_2) | instskip(SKIP_1) | instid1(VALU_DEP_3)
	v_add_f32_e32 v16, v13, v15
	v_sub_f32_e32 v14, v15, v14
	v_sub_f32_e32 v4, v4, v17
	s_delay_alu instid0(VALU_DEP_2) | instskip(NEXT) | instid1(VALU_DEP_1)
	v_dual_sub_f32 v18, v16, v13 :: v_dual_sub_f32 v5, v5, v14
	v_sub_f32_e32 v19, v16, v18
	s_delay_alu instid0(VALU_DEP_2) | instskip(NEXT) | instid1(VALU_DEP_2)
	v_dual_sub_f32 v14, v15, v18 :: v_dual_add_f32 v15, v4, v5
	v_sub_f32_e32 v13, v13, v19
	s_delay_alu instid0(VALU_DEP_1) | instskip(NEXT) | instid1(VALU_DEP_1)
	v_dual_add_f32 v13, v14, v13 :: v_dual_sub_f32 v14, v15, v4
	v_add_f32_e32 v13, v15, v13
	s_delay_alu instid0(VALU_DEP_2) | instskip(SKIP_1) | instid1(VALU_DEP_3)
	v_sub_f32_e32 v15, v15, v14
	v_sub_f32_e32 v5, v5, v14
	v_add_f32_e32 v17, v16, v13
	s_delay_alu instid0(VALU_DEP_3) | instskip(NEXT) | instid1(VALU_DEP_2)
	v_sub_f32_e32 v4, v4, v15
	v_sub_f32_e32 v14, v17, v16
	s_delay_alu instid0(VALU_DEP_2) | instskip(NEXT) | instid1(VALU_DEP_2)
	v_add_f32_e32 v4, v5, v4
	v_sub_f32_e32 v5, v13, v14
	s_delay_alu instid0(VALU_DEP_1) | instskip(NEXT) | instid1(VALU_DEP_1)
	v_add_f32_e32 v4, v4, v5
	v_add_f32_e32 v4, v17, v4
	s_delay_alu instid0(VALU_DEP_1) | instskip(NEXT) | instid1(VALU_DEP_1)
	v_cndmask_b32_e64 v4, v4, v6, s0
	v_add_f32_e32 v4, v3, v4
.LBB154_78:
	s_or_b32 exec_lo, exec_lo, s1
	s_waitcnt lgkmcnt(0)
	s_barrier
	buffer_gl0_inv
	ds_store_2addr_b32 v12, v1, v0 offset1:1
	ds_store_2addr_b32 v12, v2, v4 offset0:2 offset1:3
	s_waitcnt lgkmcnt(0)
	s_barrier
	buffer_gl0_inv
	ds_load_b32 v4, v9 offset:1024
	ds_load_b32 v3, v10 offset:2048
	;; [unrolled: 1-line block ×3, first 2 shown]
	v_add_co_u32 v0, s0, s10, v7
	s_delay_alu instid0(VALU_DEP_1)
	v_add_co_ci_u32_e64 v1, null, s11, 0, s0
	s_and_saveexec_b32 s0, vcc_lo
	s_cbranch_execnz .LBB154_83
; %bb.79:
	s_or_b32 exec_lo, exec_lo, s0
	s_and_saveexec_b32 s0, s2
	s_cbranch_execnz .LBB154_84
.LBB154_80:
	s_or_b32 exec_lo, exec_lo, s0
	s_and_saveexec_b32 s0, s3
	s_cbranch_execnz .LBB154_85
.LBB154_81:
	s_or_b32 exec_lo, exec_lo, s0
	s_and_saveexec_b32 s0, s4
	s_cbranch_execnz .LBB154_86
.LBB154_82:
	s_nop 0
	s_sendmsg sendmsg(MSG_DEALLOC_VGPRS)
	s_endpgm
.LBB154_83:
	ds_load_b32 v5, v8
	s_waitcnt lgkmcnt(0)
	global_store_b32 v[0:1], v5, off
	s_or_b32 exec_lo, exec_lo, s0
	s_and_saveexec_b32 s0, s2
	s_cbranch_execz .LBB154_80
.LBB154_84:
	s_waitcnt lgkmcnt(2)
	global_store_b32 v[0:1], v4, off offset:1024
	s_or_b32 exec_lo, exec_lo, s0
	s_and_saveexec_b32 s0, s3
	s_cbranch_execz .LBB154_81
.LBB154_85:
	s_waitcnt lgkmcnt(1)
	global_store_b32 v[0:1], v3, off offset:2048
	s_or_b32 exec_lo, exec_lo, s0
	s_and_saveexec_b32 s0, s4
	s_cbranch_execz .LBB154_82
.LBB154_86:
	s_waitcnt lgkmcnt(0)
	global_store_b32 v[0:1], v2, off offset:3072
	s_nop 0
	s_sendmsg sendmsg(MSG_DEALLOC_VGPRS)
	s_endpgm
	.section	.rodata,"a",@progbits
	.p2align	6, 0x0
	.amdhsa_kernel _ZN7rocprim17ROCPRIM_400000_NS6detail17trampoline_kernelINS0_14default_configENS1_20scan_config_selectorIfEEZZNS1_9scan_implILNS1_25lookback_scan_determinismE0ELb0ELb0ES3_PKfPffZZZN2at6native31launch_logcumsumexp_cuda_kernelERKNSB_10TensorBaseESF_lENKUlvE_clEvENKUlvE0_clEvEUlffE_fEEDaPvRmT3_T4_T5_mT6_P12ihipStream_tbENKUlT_T0_E_clISt17integral_constantIbLb1EESV_IbLb0EEEEDaSR_SS_EUlSR_E0_NS1_11comp_targetILNS1_3genE9ELNS1_11target_archE1100ELNS1_3gpuE3ELNS1_3repE0EEENS1_30default_config_static_selectorELNS0_4arch9wavefront6targetE0EEEvT1_
		.amdhsa_group_segment_fixed_size 4224
		.amdhsa_private_segment_fixed_size 0
		.amdhsa_kernarg_size 32
		.amdhsa_user_sgpr_count 15
		.amdhsa_user_sgpr_dispatch_ptr 0
		.amdhsa_user_sgpr_queue_ptr 0
		.amdhsa_user_sgpr_kernarg_segment_ptr 1
		.amdhsa_user_sgpr_dispatch_id 0
		.amdhsa_user_sgpr_private_segment_size 0
		.amdhsa_wavefront_size32 1
		.amdhsa_uses_dynamic_stack 0
		.amdhsa_enable_private_segment 0
		.amdhsa_system_sgpr_workgroup_id_x 1
		.amdhsa_system_sgpr_workgroup_id_y 0
		.amdhsa_system_sgpr_workgroup_id_z 0
		.amdhsa_system_sgpr_workgroup_info 0
		.amdhsa_system_vgpr_workitem_id 0
		.amdhsa_next_free_vgpr 37
		.amdhsa_next_free_sgpr 15
		.amdhsa_reserve_vcc 1
		.amdhsa_float_round_mode_32 0
		.amdhsa_float_round_mode_16_64 0
		.amdhsa_float_denorm_mode_32 3
		.amdhsa_float_denorm_mode_16_64 3
		.amdhsa_dx10_clamp 1
		.amdhsa_ieee_mode 1
		.amdhsa_fp16_overflow 0
		.amdhsa_workgroup_processor_mode 1
		.amdhsa_memory_ordered 1
		.amdhsa_forward_progress 0
		.amdhsa_shared_vgpr_count 0
		.amdhsa_exception_fp_ieee_invalid_op 0
		.amdhsa_exception_fp_denorm_src 0
		.amdhsa_exception_fp_ieee_div_zero 0
		.amdhsa_exception_fp_ieee_overflow 0
		.amdhsa_exception_fp_ieee_underflow 0
		.amdhsa_exception_fp_ieee_inexact 0
		.amdhsa_exception_int_div_zero 0
	.end_amdhsa_kernel
	.section	.text._ZN7rocprim17ROCPRIM_400000_NS6detail17trampoline_kernelINS0_14default_configENS1_20scan_config_selectorIfEEZZNS1_9scan_implILNS1_25lookback_scan_determinismE0ELb0ELb0ES3_PKfPffZZZN2at6native31launch_logcumsumexp_cuda_kernelERKNSB_10TensorBaseESF_lENKUlvE_clEvENKUlvE0_clEvEUlffE_fEEDaPvRmT3_T4_T5_mT6_P12ihipStream_tbENKUlT_T0_E_clISt17integral_constantIbLb1EESV_IbLb0EEEEDaSR_SS_EUlSR_E0_NS1_11comp_targetILNS1_3genE9ELNS1_11target_archE1100ELNS1_3gpuE3ELNS1_3repE0EEENS1_30default_config_static_selectorELNS0_4arch9wavefront6targetE0EEEvT1_,"axG",@progbits,_ZN7rocprim17ROCPRIM_400000_NS6detail17trampoline_kernelINS0_14default_configENS1_20scan_config_selectorIfEEZZNS1_9scan_implILNS1_25lookback_scan_determinismE0ELb0ELb0ES3_PKfPffZZZN2at6native31launch_logcumsumexp_cuda_kernelERKNSB_10TensorBaseESF_lENKUlvE_clEvENKUlvE0_clEvEUlffE_fEEDaPvRmT3_T4_T5_mT6_P12ihipStream_tbENKUlT_T0_E_clISt17integral_constantIbLb1EESV_IbLb0EEEEDaSR_SS_EUlSR_E0_NS1_11comp_targetILNS1_3genE9ELNS1_11target_archE1100ELNS1_3gpuE3ELNS1_3repE0EEENS1_30default_config_static_selectorELNS0_4arch9wavefront6targetE0EEEvT1_,comdat
.Lfunc_end154:
	.size	_ZN7rocprim17ROCPRIM_400000_NS6detail17trampoline_kernelINS0_14default_configENS1_20scan_config_selectorIfEEZZNS1_9scan_implILNS1_25lookback_scan_determinismE0ELb0ELb0ES3_PKfPffZZZN2at6native31launch_logcumsumexp_cuda_kernelERKNSB_10TensorBaseESF_lENKUlvE_clEvENKUlvE0_clEvEUlffE_fEEDaPvRmT3_T4_T5_mT6_P12ihipStream_tbENKUlT_T0_E_clISt17integral_constantIbLb1EESV_IbLb0EEEEDaSR_SS_EUlSR_E0_NS1_11comp_targetILNS1_3genE9ELNS1_11target_archE1100ELNS1_3gpuE3ELNS1_3repE0EEENS1_30default_config_static_selectorELNS0_4arch9wavefront6targetE0EEEvT1_, .Lfunc_end154-_ZN7rocprim17ROCPRIM_400000_NS6detail17trampoline_kernelINS0_14default_configENS1_20scan_config_selectorIfEEZZNS1_9scan_implILNS1_25lookback_scan_determinismE0ELb0ELb0ES3_PKfPffZZZN2at6native31launch_logcumsumexp_cuda_kernelERKNSB_10TensorBaseESF_lENKUlvE_clEvENKUlvE0_clEvEUlffE_fEEDaPvRmT3_T4_T5_mT6_P12ihipStream_tbENKUlT_T0_E_clISt17integral_constantIbLb1EESV_IbLb0EEEEDaSR_SS_EUlSR_E0_NS1_11comp_targetILNS1_3genE9ELNS1_11target_archE1100ELNS1_3gpuE3ELNS1_3repE0EEENS1_30default_config_static_selectorELNS0_4arch9wavefront6targetE0EEEvT1_
                                        ; -- End function
	.section	.AMDGPU.csdata,"",@progbits
; Kernel info:
; codeLenInByte = 26408
; NumSgprs: 17
; NumVgprs: 37
; ScratchSize: 0
; MemoryBound: 0
; FloatMode: 240
; IeeeMode: 1
; LDSByteSize: 4224 bytes/workgroup (compile time only)
; SGPRBlocks: 2
; VGPRBlocks: 4
; NumSGPRsForWavesPerEU: 17
; NumVGPRsForWavesPerEU: 37
; Occupancy: 16
; WaveLimiterHint : 0
; COMPUTE_PGM_RSRC2:SCRATCH_EN: 0
; COMPUTE_PGM_RSRC2:USER_SGPR: 15
; COMPUTE_PGM_RSRC2:TRAP_HANDLER: 0
; COMPUTE_PGM_RSRC2:TGID_X_EN: 1
; COMPUTE_PGM_RSRC2:TGID_Y_EN: 0
; COMPUTE_PGM_RSRC2:TGID_Z_EN: 0
; COMPUTE_PGM_RSRC2:TIDIG_COMP_CNT: 0
	.section	.text._ZN7rocprim17ROCPRIM_400000_NS6detail17trampoline_kernelINS0_14default_configENS1_20scan_config_selectorIfEEZZNS1_9scan_implILNS1_25lookback_scan_determinismE0ELb0ELb0ES3_PKfPffZZZN2at6native31launch_logcumsumexp_cuda_kernelERKNSB_10TensorBaseESF_lENKUlvE_clEvENKUlvE0_clEvEUlffE_fEEDaPvRmT3_T4_T5_mT6_P12ihipStream_tbENKUlT_T0_E_clISt17integral_constantIbLb1EESV_IbLb0EEEEDaSR_SS_EUlSR_E0_NS1_11comp_targetILNS1_3genE8ELNS1_11target_archE1030ELNS1_3gpuE2ELNS1_3repE0EEENS1_30default_config_static_selectorELNS0_4arch9wavefront6targetE0EEEvT1_,"axG",@progbits,_ZN7rocprim17ROCPRIM_400000_NS6detail17trampoline_kernelINS0_14default_configENS1_20scan_config_selectorIfEEZZNS1_9scan_implILNS1_25lookback_scan_determinismE0ELb0ELb0ES3_PKfPffZZZN2at6native31launch_logcumsumexp_cuda_kernelERKNSB_10TensorBaseESF_lENKUlvE_clEvENKUlvE0_clEvEUlffE_fEEDaPvRmT3_T4_T5_mT6_P12ihipStream_tbENKUlT_T0_E_clISt17integral_constantIbLb1EESV_IbLb0EEEEDaSR_SS_EUlSR_E0_NS1_11comp_targetILNS1_3genE8ELNS1_11target_archE1030ELNS1_3gpuE2ELNS1_3repE0EEENS1_30default_config_static_selectorELNS0_4arch9wavefront6targetE0EEEvT1_,comdat
	.globl	_ZN7rocprim17ROCPRIM_400000_NS6detail17trampoline_kernelINS0_14default_configENS1_20scan_config_selectorIfEEZZNS1_9scan_implILNS1_25lookback_scan_determinismE0ELb0ELb0ES3_PKfPffZZZN2at6native31launch_logcumsumexp_cuda_kernelERKNSB_10TensorBaseESF_lENKUlvE_clEvENKUlvE0_clEvEUlffE_fEEDaPvRmT3_T4_T5_mT6_P12ihipStream_tbENKUlT_T0_E_clISt17integral_constantIbLb1EESV_IbLb0EEEEDaSR_SS_EUlSR_E0_NS1_11comp_targetILNS1_3genE8ELNS1_11target_archE1030ELNS1_3gpuE2ELNS1_3repE0EEENS1_30default_config_static_selectorELNS0_4arch9wavefront6targetE0EEEvT1_ ; -- Begin function _ZN7rocprim17ROCPRIM_400000_NS6detail17trampoline_kernelINS0_14default_configENS1_20scan_config_selectorIfEEZZNS1_9scan_implILNS1_25lookback_scan_determinismE0ELb0ELb0ES3_PKfPffZZZN2at6native31launch_logcumsumexp_cuda_kernelERKNSB_10TensorBaseESF_lENKUlvE_clEvENKUlvE0_clEvEUlffE_fEEDaPvRmT3_T4_T5_mT6_P12ihipStream_tbENKUlT_T0_E_clISt17integral_constantIbLb1EESV_IbLb0EEEEDaSR_SS_EUlSR_E0_NS1_11comp_targetILNS1_3genE8ELNS1_11target_archE1030ELNS1_3gpuE2ELNS1_3repE0EEENS1_30default_config_static_selectorELNS0_4arch9wavefront6targetE0EEEvT1_
	.p2align	8
	.type	_ZN7rocprim17ROCPRIM_400000_NS6detail17trampoline_kernelINS0_14default_configENS1_20scan_config_selectorIfEEZZNS1_9scan_implILNS1_25lookback_scan_determinismE0ELb0ELb0ES3_PKfPffZZZN2at6native31launch_logcumsumexp_cuda_kernelERKNSB_10TensorBaseESF_lENKUlvE_clEvENKUlvE0_clEvEUlffE_fEEDaPvRmT3_T4_T5_mT6_P12ihipStream_tbENKUlT_T0_E_clISt17integral_constantIbLb1EESV_IbLb0EEEEDaSR_SS_EUlSR_E0_NS1_11comp_targetILNS1_3genE8ELNS1_11target_archE1030ELNS1_3gpuE2ELNS1_3repE0EEENS1_30default_config_static_selectorELNS0_4arch9wavefront6targetE0EEEvT1_,@function
_ZN7rocprim17ROCPRIM_400000_NS6detail17trampoline_kernelINS0_14default_configENS1_20scan_config_selectorIfEEZZNS1_9scan_implILNS1_25lookback_scan_determinismE0ELb0ELb0ES3_PKfPffZZZN2at6native31launch_logcumsumexp_cuda_kernelERKNSB_10TensorBaseESF_lENKUlvE_clEvENKUlvE0_clEvEUlffE_fEEDaPvRmT3_T4_T5_mT6_P12ihipStream_tbENKUlT_T0_E_clISt17integral_constantIbLb1EESV_IbLb0EEEEDaSR_SS_EUlSR_E0_NS1_11comp_targetILNS1_3genE8ELNS1_11target_archE1030ELNS1_3gpuE2ELNS1_3repE0EEENS1_30default_config_static_selectorELNS0_4arch9wavefront6targetE0EEEvT1_: ; @_ZN7rocprim17ROCPRIM_400000_NS6detail17trampoline_kernelINS0_14default_configENS1_20scan_config_selectorIfEEZZNS1_9scan_implILNS1_25lookback_scan_determinismE0ELb0ELb0ES3_PKfPffZZZN2at6native31launch_logcumsumexp_cuda_kernelERKNSB_10TensorBaseESF_lENKUlvE_clEvENKUlvE0_clEvEUlffE_fEEDaPvRmT3_T4_T5_mT6_P12ihipStream_tbENKUlT_T0_E_clISt17integral_constantIbLb1EESV_IbLb0EEEEDaSR_SS_EUlSR_E0_NS1_11comp_targetILNS1_3genE8ELNS1_11target_archE1030ELNS1_3gpuE2ELNS1_3repE0EEENS1_30default_config_static_selectorELNS0_4arch9wavefront6targetE0EEEvT1_
; %bb.0:
	.section	.rodata,"a",@progbits
	.p2align	6, 0x0
	.amdhsa_kernel _ZN7rocprim17ROCPRIM_400000_NS6detail17trampoline_kernelINS0_14default_configENS1_20scan_config_selectorIfEEZZNS1_9scan_implILNS1_25lookback_scan_determinismE0ELb0ELb0ES3_PKfPffZZZN2at6native31launch_logcumsumexp_cuda_kernelERKNSB_10TensorBaseESF_lENKUlvE_clEvENKUlvE0_clEvEUlffE_fEEDaPvRmT3_T4_T5_mT6_P12ihipStream_tbENKUlT_T0_E_clISt17integral_constantIbLb1EESV_IbLb0EEEEDaSR_SS_EUlSR_E0_NS1_11comp_targetILNS1_3genE8ELNS1_11target_archE1030ELNS1_3gpuE2ELNS1_3repE0EEENS1_30default_config_static_selectorELNS0_4arch9wavefront6targetE0EEEvT1_
		.amdhsa_group_segment_fixed_size 0
		.amdhsa_private_segment_fixed_size 0
		.amdhsa_kernarg_size 32
		.amdhsa_user_sgpr_count 15
		.amdhsa_user_sgpr_dispatch_ptr 0
		.amdhsa_user_sgpr_queue_ptr 0
		.amdhsa_user_sgpr_kernarg_segment_ptr 1
		.amdhsa_user_sgpr_dispatch_id 0
		.amdhsa_user_sgpr_private_segment_size 0
		.amdhsa_wavefront_size32 1
		.amdhsa_uses_dynamic_stack 0
		.amdhsa_enable_private_segment 0
		.amdhsa_system_sgpr_workgroup_id_x 1
		.amdhsa_system_sgpr_workgroup_id_y 0
		.amdhsa_system_sgpr_workgroup_id_z 0
		.amdhsa_system_sgpr_workgroup_info 0
		.amdhsa_system_vgpr_workitem_id 0
		.amdhsa_next_free_vgpr 1
		.amdhsa_next_free_sgpr 1
		.amdhsa_reserve_vcc 0
		.amdhsa_float_round_mode_32 0
		.amdhsa_float_round_mode_16_64 0
		.amdhsa_float_denorm_mode_32 3
		.amdhsa_float_denorm_mode_16_64 3
		.amdhsa_dx10_clamp 1
		.amdhsa_ieee_mode 1
		.amdhsa_fp16_overflow 0
		.amdhsa_workgroup_processor_mode 1
		.amdhsa_memory_ordered 1
		.amdhsa_forward_progress 0
		.amdhsa_shared_vgpr_count 0
		.amdhsa_exception_fp_ieee_invalid_op 0
		.amdhsa_exception_fp_denorm_src 0
		.amdhsa_exception_fp_ieee_div_zero 0
		.amdhsa_exception_fp_ieee_overflow 0
		.amdhsa_exception_fp_ieee_underflow 0
		.amdhsa_exception_fp_ieee_inexact 0
		.amdhsa_exception_int_div_zero 0
	.end_amdhsa_kernel
	.section	.text._ZN7rocprim17ROCPRIM_400000_NS6detail17trampoline_kernelINS0_14default_configENS1_20scan_config_selectorIfEEZZNS1_9scan_implILNS1_25lookback_scan_determinismE0ELb0ELb0ES3_PKfPffZZZN2at6native31launch_logcumsumexp_cuda_kernelERKNSB_10TensorBaseESF_lENKUlvE_clEvENKUlvE0_clEvEUlffE_fEEDaPvRmT3_T4_T5_mT6_P12ihipStream_tbENKUlT_T0_E_clISt17integral_constantIbLb1EESV_IbLb0EEEEDaSR_SS_EUlSR_E0_NS1_11comp_targetILNS1_3genE8ELNS1_11target_archE1030ELNS1_3gpuE2ELNS1_3repE0EEENS1_30default_config_static_selectorELNS0_4arch9wavefront6targetE0EEEvT1_,"axG",@progbits,_ZN7rocprim17ROCPRIM_400000_NS6detail17trampoline_kernelINS0_14default_configENS1_20scan_config_selectorIfEEZZNS1_9scan_implILNS1_25lookback_scan_determinismE0ELb0ELb0ES3_PKfPffZZZN2at6native31launch_logcumsumexp_cuda_kernelERKNSB_10TensorBaseESF_lENKUlvE_clEvENKUlvE0_clEvEUlffE_fEEDaPvRmT3_T4_T5_mT6_P12ihipStream_tbENKUlT_T0_E_clISt17integral_constantIbLb1EESV_IbLb0EEEEDaSR_SS_EUlSR_E0_NS1_11comp_targetILNS1_3genE8ELNS1_11target_archE1030ELNS1_3gpuE2ELNS1_3repE0EEENS1_30default_config_static_selectorELNS0_4arch9wavefront6targetE0EEEvT1_,comdat
.Lfunc_end155:
	.size	_ZN7rocprim17ROCPRIM_400000_NS6detail17trampoline_kernelINS0_14default_configENS1_20scan_config_selectorIfEEZZNS1_9scan_implILNS1_25lookback_scan_determinismE0ELb0ELb0ES3_PKfPffZZZN2at6native31launch_logcumsumexp_cuda_kernelERKNSB_10TensorBaseESF_lENKUlvE_clEvENKUlvE0_clEvEUlffE_fEEDaPvRmT3_T4_T5_mT6_P12ihipStream_tbENKUlT_T0_E_clISt17integral_constantIbLb1EESV_IbLb0EEEEDaSR_SS_EUlSR_E0_NS1_11comp_targetILNS1_3genE8ELNS1_11target_archE1030ELNS1_3gpuE2ELNS1_3repE0EEENS1_30default_config_static_selectorELNS0_4arch9wavefront6targetE0EEEvT1_, .Lfunc_end155-_ZN7rocprim17ROCPRIM_400000_NS6detail17trampoline_kernelINS0_14default_configENS1_20scan_config_selectorIfEEZZNS1_9scan_implILNS1_25lookback_scan_determinismE0ELb0ELb0ES3_PKfPffZZZN2at6native31launch_logcumsumexp_cuda_kernelERKNSB_10TensorBaseESF_lENKUlvE_clEvENKUlvE0_clEvEUlffE_fEEDaPvRmT3_T4_T5_mT6_P12ihipStream_tbENKUlT_T0_E_clISt17integral_constantIbLb1EESV_IbLb0EEEEDaSR_SS_EUlSR_E0_NS1_11comp_targetILNS1_3genE8ELNS1_11target_archE1030ELNS1_3gpuE2ELNS1_3repE0EEENS1_30default_config_static_selectorELNS0_4arch9wavefront6targetE0EEEvT1_
                                        ; -- End function
	.section	.AMDGPU.csdata,"",@progbits
; Kernel info:
; codeLenInByte = 0
; NumSgprs: 0
; NumVgprs: 0
; ScratchSize: 0
; MemoryBound: 0
; FloatMode: 240
; IeeeMode: 1
; LDSByteSize: 0 bytes/workgroup (compile time only)
; SGPRBlocks: 0
; VGPRBlocks: 0
; NumSGPRsForWavesPerEU: 1
; NumVGPRsForWavesPerEU: 1
; Occupancy: 16
; WaveLimiterHint : 0
; COMPUTE_PGM_RSRC2:SCRATCH_EN: 0
; COMPUTE_PGM_RSRC2:USER_SGPR: 15
; COMPUTE_PGM_RSRC2:TRAP_HANDLER: 0
; COMPUTE_PGM_RSRC2:TGID_X_EN: 1
; COMPUTE_PGM_RSRC2:TGID_Y_EN: 0
; COMPUTE_PGM_RSRC2:TGID_Z_EN: 0
; COMPUTE_PGM_RSRC2:TIDIG_COMP_CNT: 0
	.section	.text._ZN7rocprim17ROCPRIM_400000_NS6detail31init_lookback_scan_state_kernelINS1_19lookback_scan_stateIfLb0ELb1EEENS1_16block_id_wrapperIjLb1EEEEEvT_jT0_jPNS7_10value_typeE,"axG",@progbits,_ZN7rocprim17ROCPRIM_400000_NS6detail31init_lookback_scan_state_kernelINS1_19lookback_scan_stateIfLb0ELb1EEENS1_16block_id_wrapperIjLb1EEEEEvT_jT0_jPNS7_10value_typeE,comdat
	.protected	_ZN7rocprim17ROCPRIM_400000_NS6detail31init_lookback_scan_state_kernelINS1_19lookback_scan_stateIfLb0ELb1EEENS1_16block_id_wrapperIjLb1EEEEEvT_jT0_jPNS7_10value_typeE ; -- Begin function _ZN7rocprim17ROCPRIM_400000_NS6detail31init_lookback_scan_state_kernelINS1_19lookback_scan_stateIfLb0ELb1EEENS1_16block_id_wrapperIjLb1EEEEEvT_jT0_jPNS7_10value_typeE
	.globl	_ZN7rocprim17ROCPRIM_400000_NS6detail31init_lookback_scan_state_kernelINS1_19lookback_scan_stateIfLb0ELb1EEENS1_16block_id_wrapperIjLb1EEEEEvT_jT0_jPNS7_10value_typeE
	.p2align	8
	.type	_ZN7rocprim17ROCPRIM_400000_NS6detail31init_lookback_scan_state_kernelINS1_19lookback_scan_stateIfLb0ELb1EEENS1_16block_id_wrapperIjLb1EEEEEvT_jT0_jPNS7_10value_typeE,@function
_ZN7rocprim17ROCPRIM_400000_NS6detail31init_lookback_scan_state_kernelINS1_19lookback_scan_stateIfLb0ELb1EEENS1_16block_id_wrapperIjLb1EEEEEvT_jT0_jPNS7_10value_typeE: ; @_ZN7rocprim17ROCPRIM_400000_NS6detail31init_lookback_scan_state_kernelINS1_19lookback_scan_stateIfLb0ELb1EEENS1_16block_id_wrapperIjLb1EEEEEvT_jT0_jPNS7_10value_typeE
; %bb.0:
	s_clause 0x3
	s_load_b32 s6, s[0:1], 0x34
	s_load_b64 s[4:5], s[0:1], 0x20
	s_load_b64 s[2:3], s[0:1], 0x0
	s_load_b32 s8, s[0:1], 0x8
	s_waitcnt lgkmcnt(0)
	s_and_b32 s6, s6, 0xffff
	s_cmp_eq_u64 s[4:5], 0
	v_mad_u64_u32 v[1:2], null, s15, s6, v[0:1]
	s_cbranch_scc1 .LBB156_6
; %bb.1:
	s_load_b32 s6, s[0:1], 0x18
	s_waitcnt lgkmcnt(0)
	s_cmp_lt_u32 s6, s8
	s_cselect_b32 s7, s6, 0
	s_delay_alu instid0(VALU_DEP_1) | instid1(SALU_CYCLE_1)
	v_cmp_eq_u32_e32 vcc_lo, s7, v1
	s_mov_b32 s7, 0
	s_and_saveexec_b32 s9, vcc_lo
	s_cbranch_execz .LBB156_5
; %bb.2:
	s_add_i32 s6, s6, 32
	v_mov_b32_e32 v4, 0
	s_lshl_b64 s[6:7], s[6:7], 3
	s_delay_alu instid0(SALU_CYCLE_1) | instskip(SKIP_4) | instid1(VALU_DEP_1)
	s_add_u32 s6, s2, s6
	s_addc_u32 s7, s3, s7
	global_load_b64 v[2:3], v4, s[6:7] glc
	s_waitcnt vmcnt(0)
	v_and_b32_e32 v5, 0xff, v3
	v_cmp_ne_u64_e32 vcc_lo, 0, v[4:5]
	s_cbranch_vccnz .LBB156_4
.LBB156_3:                              ; =>This Inner Loop Header: Depth=1
	global_load_b64 v[2:3], v4, s[6:7] glc
	s_waitcnt vmcnt(0)
	v_and_b32_e32 v5, 0xff, v3
	s_delay_alu instid0(VALU_DEP_1)
	v_cmp_eq_u64_e32 vcc_lo, 0, v[4:5]
	s_cbranch_vccnz .LBB156_3
.LBB156_4:
	v_mov_b32_e32 v0, 0
	global_store_b32 v0, v2, s[4:5]
.LBB156_5:
	s_or_b32 exec_lo, exec_lo, s9
.LBB156_6:
	s_delay_alu instid0(SALU_CYCLE_1) | instskip(NEXT) | instid1(VALU_DEP_1)
	s_mov_b32 s4, exec_lo
	v_cmpx_eq_u32_e32 0, v1
	s_cbranch_execz .LBB156_8
; %bb.7:
	s_load_b64 s[0:1], s[0:1], 0x10
	v_mov_b32_e32 v0, 0
	s_waitcnt lgkmcnt(0)
	global_store_b32 v0, v0, s[0:1]
.LBB156_8:
	s_or_b32 exec_lo, exec_lo, s4
	s_delay_alu instid0(SALU_CYCLE_1)
	s_mov_b32 s0, exec_lo
	v_cmpx_gt_u32_e64 s8, v1
	s_cbranch_execz .LBB156_10
; %bb.9:
	v_dual_mov_b32 v3, 0 :: v_dual_add_nc_u32 v2, 32, v1
	s_delay_alu instid0(VALU_DEP_1) | instskip(SKIP_1) | instid1(VALU_DEP_2)
	v_lshlrev_b64 v[4:5], 3, v[2:3]
	v_mov_b32_e32 v2, v3
	v_add_co_u32 v4, vcc_lo, s2, v4
	s_delay_alu instid0(VALU_DEP_3)
	v_add_co_ci_u32_e32 v5, vcc_lo, s3, v5, vcc_lo
	global_store_b64 v[4:5], v[2:3], off
.LBB156_10:
	s_or_b32 exec_lo, exec_lo, s0
	s_delay_alu instid0(SALU_CYCLE_1)
	s_mov_b32 s0, exec_lo
	v_cmpx_gt_u32_e32 32, v1
	s_cbranch_execz .LBB156_12
; %bb.11:
	v_dual_mov_b32 v2, 0 :: v_dual_mov_b32 v3, 0xff
	s_delay_alu instid0(VALU_DEP_1) | instskip(NEXT) | instid1(VALU_DEP_1)
	v_lshlrev_b64 v[0:1], 3, v[1:2]
	v_add_co_u32 v0, vcc_lo, s2, v0
	s_delay_alu instid0(VALU_DEP_2)
	v_add_co_ci_u32_e32 v1, vcc_lo, s3, v1, vcc_lo
	global_store_b64 v[0:1], v[2:3], off
.LBB156_12:
	s_nop 0
	s_sendmsg sendmsg(MSG_DEALLOC_VGPRS)
	s_endpgm
	.section	.rodata,"a",@progbits
	.p2align	6, 0x0
	.amdhsa_kernel _ZN7rocprim17ROCPRIM_400000_NS6detail31init_lookback_scan_state_kernelINS1_19lookback_scan_stateIfLb0ELb1EEENS1_16block_id_wrapperIjLb1EEEEEvT_jT0_jPNS7_10value_typeE
		.amdhsa_group_segment_fixed_size 0
		.amdhsa_private_segment_fixed_size 0
		.amdhsa_kernarg_size 296
		.amdhsa_user_sgpr_count 15
		.amdhsa_user_sgpr_dispatch_ptr 0
		.amdhsa_user_sgpr_queue_ptr 0
		.amdhsa_user_sgpr_kernarg_segment_ptr 1
		.amdhsa_user_sgpr_dispatch_id 0
		.amdhsa_user_sgpr_private_segment_size 0
		.amdhsa_wavefront_size32 1
		.amdhsa_uses_dynamic_stack 0
		.amdhsa_enable_private_segment 0
		.amdhsa_system_sgpr_workgroup_id_x 1
		.amdhsa_system_sgpr_workgroup_id_y 0
		.amdhsa_system_sgpr_workgroup_id_z 0
		.amdhsa_system_sgpr_workgroup_info 0
		.amdhsa_system_vgpr_workitem_id 0
		.amdhsa_next_free_vgpr 6
		.amdhsa_next_free_sgpr 16
		.amdhsa_reserve_vcc 1
		.amdhsa_float_round_mode_32 0
		.amdhsa_float_round_mode_16_64 0
		.amdhsa_float_denorm_mode_32 3
		.amdhsa_float_denorm_mode_16_64 3
		.amdhsa_dx10_clamp 1
		.amdhsa_ieee_mode 1
		.amdhsa_fp16_overflow 0
		.amdhsa_workgroup_processor_mode 1
		.amdhsa_memory_ordered 1
		.amdhsa_forward_progress 0
		.amdhsa_shared_vgpr_count 0
		.amdhsa_exception_fp_ieee_invalid_op 0
		.amdhsa_exception_fp_denorm_src 0
		.amdhsa_exception_fp_ieee_div_zero 0
		.amdhsa_exception_fp_ieee_overflow 0
		.amdhsa_exception_fp_ieee_underflow 0
		.amdhsa_exception_fp_ieee_inexact 0
		.amdhsa_exception_int_div_zero 0
	.end_amdhsa_kernel
	.section	.text._ZN7rocprim17ROCPRIM_400000_NS6detail31init_lookback_scan_state_kernelINS1_19lookback_scan_stateIfLb0ELb1EEENS1_16block_id_wrapperIjLb1EEEEEvT_jT0_jPNS7_10value_typeE,"axG",@progbits,_ZN7rocprim17ROCPRIM_400000_NS6detail31init_lookback_scan_state_kernelINS1_19lookback_scan_stateIfLb0ELb1EEENS1_16block_id_wrapperIjLb1EEEEEvT_jT0_jPNS7_10value_typeE,comdat
.Lfunc_end156:
	.size	_ZN7rocprim17ROCPRIM_400000_NS6detail31init_lookback_scan_state_kernelINS1_19lookback_scan_stateIfLb0ELb1EEENS1_16block_id_wrapperIjLb1EEEEEvT_jT0_jPNS7_10value_typeE, .Lfunc_end156-_ZN7rocprim17ROCPRIM_400000_NS6detail31init_lookback_scan_state_kernelINS1_19lookback_scan_stateIfLb0ELb1EEENS1_16block_id_wrapperIjLb1EEEEEvT_jT0_jPNS7_10value_typeE
                                        ; -- End function
	.section	.AMDGPU.csdata,"",@progbits
; Kernel info:
; codeLenInByte = 396
; NumSgprs: 18
; NumVgprs: 6
; ScratchSize: 0
; MemoryBound: 0
; FloatMode: 240
; IeeeMode: 1
; LDSByteSize: 0 bytes/workgroup (compile time only)
; SGPRBlocks: 2
; VGPRBlocks: 0
; NumSGPRsForWavesPerEU: 18
; NumVGPRsForWavesPerEU: 6
; Occupancy: 16
; WaveLimiterHint : 0
; COMPUTE_PGM_RSRC2:SCRATCH_EN: 0
; COMPUTE_PGM_RSRC2:USER_SGPR: 15
; COMPUTE_PGM_RSRC2:TRAP_HANDLER: 0
; COMPUTE_PGM_RSRC2:TGID_X_EN: 1
; COMPUTE_PGM_RSRC2:TGID_Y_EN: 0
; COMPUTE_PGM_RSRC2:TGID_Z_EN: 0
; COMPUTE_PGM_RSRC2:TIDIG_COMP_CNT: 0
	.section	.text._ZN7rocprim17ROCPRIM_400000_NS6detail17trampoline_kernelINS0_14default_configENS1_20scan_config_selectorIfEEZZNS1_9scan_implILNS1_25lookback_scan_determinismE0ELb0ELb0ES3_PKfPffZZZN2at6native31launch_logcumsumexp_cuda_kernelERKNSB_10TensorBaseESF_lENKUlvE_clEvENKUlvE0_clEvEUlffE_fEEDaPvRmT3_T4_T5_mT6_P12ihipStream_tbENKUlT_T0_E_clISt17integral_constantIbLb0EESV_IbLb1EEEEDaSR_SS_EUlSR_E_NS1_11comp_targetILNS1_3genE0ELNS1_11target_archE4294967295ELNS1_3gpuE0ELNS1_3repE0EEENS1_30default_config_static_selectorELNS0_4arch9wavefront6targetE0EEEvT1_,"axG",@progbits,_ZN7rocprim17ROCPRIM_400000_NS6detail17trampoline_kernelINS0_14default_configENS1_20scan_config_selectorIfEEZZNS1_9scan_implILNS1_25lookback_scan_determinismE0ELb0ELb0ES3_PKfPffZZZN2at6native31launch_logcumsumexp_cuda_kernelERKNSB_10TensorBaseESF_lENKUlvE_clEvENKUlvE0_clEvEUlffE_fEEDaPvRmT3_T4_T5_mT6_P12ihipStream_tbENKUlT_T0_E_clISt17integral_constantIbLb0EESV_IbLb1EEEEDaSR_SS_EUlSR_E_NS1_11comp_targetILNS1_3genE0ELNS1_11target_archE4294967295ELNS1_3gpuE0ELNS1_3repE0EEENS1_30default_config_static_selectorELNS0_4arch9wavefront6targetE0EEEvT1_,comdat
	.globl	_ZN7rocprim17ROCPRIM_400000_NS6detail17trampoline_kernelINS0_14default_configENS1_20scan_config_selectorIfEEZZNS1_9scan_implILNS1_25lookback_scan_determinismE0ELb0ELb0ES3_PKfPffZZZN2at6native31launch_logcumsumexp_cuda_kernelERKNSB_10TensorBaseESF_lENKUlvE_clEvENKUlvE0_clEvEUlffE_fEEDaPvRmT3_T4_T5_mT6_P12ihipStream_tbENKUlT_T0_E_clISt17integral_constantIbLb0EESV_IbLb1EEEEDaSR_SS_EUlSR_E_NS1_11comp_targetILNS1_3genE0ELNS1_11target_archE4294967295ELNS1_3gpuE0ELNS1_3repE0EEENS1_30default_config_static_selectorELNS0_4arch9wavefront6targetE0EEEvT1_ ; -- Begin function _ZN7rocprim17ROCPRIM_400000_NS6detail17trampoline_kernelINS0_14default_configENS1_20scan_config_selectorIfEEZZNS1_9scan_implILNS1_25lookback_scan_determinismE0ELb0ELb0ES3_PKfPffZZZN2at6native31launch_logcumsumexp_cuda_kernelERKNSB_10TensorBaseESF_lENKUlvE_clEvENKUlvE0_clEvEUlffE_fEEDaPvRmT3_T4_T5_mT6_P12ihipStream_tbENKUlT_T0_E_clISt17integral_constantIbLb0EESV_IbLb1EEEEDaSR_SS_EUlSR_E_NS1_11comp_targetILNS1_3genE0ELNS1_11target_archE4294967295ELNS1_3gpuE0ELNS1_3repE0EEENS1_30default_config_static_selectorELNS0_4arch9wavefront6targetE0EEEvT1_
	.p2align	8
	.type	_ZN7rocprim17ROCPRIM_400000_NS6detail17trampoline_kernelINS0_14default_configENS1_20scan_config_selectorIfEEZZNS1_9scan_implILNS1_25lookback_scan_determinismE0ELb0ELb0ES3_PKfPffZZZN2at6native31launch_logcumsumexp_cuda_kernelERKNSB_10TensorBaseESF_lENKUlvE_clEvENKUlvE0_clEvEUlffE_fEEDaPvRmT3_T4_T5_mT6_P12ihipStream_tbENKUlT_T0_E_clISt17integral_constantIbLb0EESV_IbLb1EEEEDaSR_SS_EUlSR_E_NS1_11comp_targetILNS1_3genE0ELNS1_11target_archE4294967295ELNS1_3gpuE0ELNS1_3repE0EEENS1_30default_config_static_selectorELNS0_4arch9wavefront6targetE0EEEvT1_,@function
_ZN7rocprim17ROCPRIM_400000_NS6detail17trampoline_kernelINS0_14default_configENS1_20scan_config_selectorIfEEZZNS1_9scan_implILNS1_25lookback_scan_determinismE0ELb0ELb0ES3_PKfPffZZZN2at6native31launch_logcumsumexp_cuda_kernelERKNSB_10TensorBaseESF_lENKUlvE_clEvENKUlvE0_clEvEUlffE_fEEDaPvRmT3_T4_T5_mT6_P12ihipStream_tbENKUlT_T0_E_clISt17integral_constantIbLb0EESV_IbLb1EEEEDaSR_SS_EUlSR_E_NS1_11comp_targetILNS1_3genE0ELNS1_11target_archE4294967295ELNS1_3gpuE0ELNS1_3repE0EEENS1_30default_config_static_selectorELNS0_4arch9wavefront6targetE0EEEvT1_: ; @_ZN7rocprim17ROCPRIM_400000_NS6detail17trampoline_kernelINS0_14default_configENS1_20scan_config_selectorIfEEZZNS1_9scan_implILNS1_25lookback_scan_determinismE0ELb0ELb0ES3_PKfPffZZZN2at6native31launch_logcumsumexp_cuda_kernelERKNSB_10TensorBaseESF_lENKUlvE_clEvENKUlvE0_clEvEUlffE_fEEDaPvRmT3_T4_T5_mT6_P12ihipStream_tbENKUlT_T0_E_clISt17integral_constantIbLb0EESV_IbLb1EEEEDaSR_SS_EUlSR_E_NS1_11comp_targetILNS1_3genE0ELNS1_11target_archE4294967295ELNS1_3gpuE0ELNS1_3repE0EEENS1_30default_config_static_selectorELNS0_4arch9wavefront6targetE0EEEvT1_
; %bb.0:
	.section	.rodata,"a",@progbits
	.p2align	6, 0x0
	.amdhsa_kernel _ZN7rocprim17ROCPRIM_400000_NS6detail17trampoline_kernelINS0_14default_configENS1_20scan_config_selectorIfEEZZNS1_9scan_implILNS1_25lookback_scan_determinismE0ELb0ELb0ES3_PKfPffZZZN2at6native31launch_logcumsumexp_cuda_kernelERKNSB_10TensorBaseESF_lENKUlvE_clEvENKUlvE0_clEvEUlffE_fEEDaPvRmT3_T4_T5_mT6_P12ihipStream_tbENKUlT_T0_E_clISt17integral_constantIbLb0EESV_IbLb1EEEEDaSR_SS_EUlSR_E_NS1_11comp_targetILNS1_3genE0ELNS1_11target_archE4294967295ELNS1_3gpuE0ELNS1_3repE0EEENS1_30default_config_static_selectorELNS0_4arch9wavefront6targetE0EEEvT1_
		.amdhsa_group_segment_fixed_size 0
		.amdhsa_private_segment_fixed_size 0
		.amdhsa_kernarg_size 96
		.amdhsa_user_sgpr_count 15
		.amdhsa_user_sgpr_dispatch_ptr 0
		.amdhsa_user_sgpr_queue_ptr 0
		.amdhsa_user_sgpr_kernarg_segment_ptr 1
		.amdhsa_user_sgpr_dispatch_id 0
		.amdhsa_user_sgpr_private_segment_size 0
		.amdhsa_wavefront_size32 1
		.amdhsa_uses_dynamic_stack 0
		.amdhsa_enable_private_segment 0
		.amdhsa_system_sgpr_workgroup_id_x 1
		.amdhsa_system_sgpr_workgroup_id_y 0
		.amdhsa_system_sgpr_workgroup_id_z 0
		.amdhsa_system_sgpr_workgroup_info 0
		.amdhsa_system_vgpr_workitem_id 0
		.amdhsa_next_free_vgpr 1
		.amdhsa_next_free_sgpr 1
		.amdhsa_reserve_vcc 0
		.amdhsa_float_round_mode_32 0
		.amdhsa_float_round_mode_16_64 0
		.amdhsa_float_denorm_mode_32 3
		.amdhsa_float_denorm_mode_16_64 3
		.amdhsa_dx10_clamp 1
		.amdhsa_ieee_mode 1
		.amdhsa_fp16_overflow 0
		.amdhsa_workgroup_processor_mode 1
		.amdhsa_memory_ordered 1
		.amdhsa_forward_progress 0
		.amdhsa_shared_vgpr_count 0
		.amdhsa_exception_fp_ieee_invalid_op 0
		.amdhsa_exception_fp_denorm_src 0
		.amdhsa_exception_fp_ieee_div_zero 0
		.amdhsa_exception_fp_ieee_overflow 0
		.amdhsa_exception_fp_ieee_underflow 0
		.amdhsa_exception_fp_ieee_inexact 0
		.amdhsa_exception_int_div_zero 0
	.end_amdhsa_kernel
	.section	.text._ZN7rocprim17ROCPRIM_400000_NS6detail17trampoline_kernelINS0_14default_configENS1_20scan_config_selectorIfEEZZNS1_9scan_implILNS1_25lookback_scan_determinismE0ELb0ELb0ES3_PKfPffZZZN2at6native31launch_logcumsumexp_cuda_kernelERKNSB_10TensorBaseESF_lENKUlvE_clEvENKUlvE0_clEvEUlffE_fEEDaPvRmT3_T4_T5_mT6_P12ihipStream_tbENKUlT_T0_E_clISt17integral_constantIbLb0EESV_IbLb1EEEEDaSR_SS_EUlSR_E_NS1_11comp_targetILNS1_3genE0ELNS1_11target_archE4294967295ELNS1_3gpuE0ELNS1_3repE0EEENS1_30default_config_static_selectorELNS0_4arch9wavefront6targetE0EEEvT1_,"axG",@progbits,_ZN7rocprim17ROCPRIM_400000_NS6detail17trampoline_kernelINS0_14default_configENS1_20scan_config_selectorIfEEZZNS1_9scan_implILNS1_25lookback_scan_determinismE0ELb0ELb0ES3_PKfPffZZZN2at6native31launch_logcumsumexp_cuda_kernelERKNSB_10TensorBaseESF_lENKUlvE_clEvENKUlvE0_clEvEUlffE_fEEDaPvRmT3_T4_T5_mT6_P12ihipStream_tbENKUlT_T0_E_clISt17integral_constantIbLb0EESV_IbLb1EEEEDaSR_SS_EUlSR_E_NS1_11comp_targetILNS1_3genE0ELNS1_11target_archE4294967295ELNS1_3gpuE0ELNS1_3repE0EEENS1_30default_config_static_selectorELNS0_4arch9wavefront6targetE0EEEvT1_,comdat
.Lfunc_end157:
	.size	_ZN7rocprim17ROCPRIM_400000_NS6detail17trampoline_kernelINS0_14default_configENS1_20scan_config_selectorIfEEZZNS1_9scan_implILNS1_25lookback_scan_determinismE0ELb0ELb0ES3_PKfPffZZZN2at6native31launch_logcumsumexp_cuda_kernelERKNSB_10TensorBaseESF_lENKUlvE_clEvENKUlvE0_clEvEUlffE_fEEDaPvRmT3_T4_T5_mT6_P12ihipStream_tbENKUlT_T0_E_clISt17integral_constantIbLb0EESV_IbLb1EEEEDaSR_SS_EUlSR_E_NS1_11comp_targetILNS1_3genE0ELNS1_11target_archE4294967295ELNS1_3gpuE0ELNS1_3repE0EEENS1_30default_config_static_selectorELNS0_4arch9wavefront6targetE0EEEvT1_, .Lfunc_end157-_ZN7rocprim17ROCPRIM_400000_NS6detail17trampoline_kernelINS0_14default_configENS1_20scan_config_selectorIfEEZZNS1_9scan_implILNS1_25lookback_scan_determinismE0ELb0ELb0ES3_PKfPffZZZN2at6native31launch_logcumsumexp_cuda_kernelERKNSB_10TensorBaseESF_lENKUlvE_clEvENKUlvE0_clEvEUlffE_fEEDaPvRmT3_T4_T5_mT6_P12ihipStream_tbENKUlT_T0_E_clISt17integral_constantIbLb0EESV_IbLb1EEEEDaSR_SS_EUlSR_E_NS1_11comp_targetILNS1_3genE0ELNS1_11target_archE4294967295ELNS1_3gpuE0ELNS1_3repE0EEENS1_30default_config_static_selectorELNS0_4arch9wavefront6targetE0EEEvT1_
                                        ; -- End function
	.section	.AMDGPU.csdata,"",@progbits
; Kernel info:
; codeLenInByte = 0
; NumSgprs: 0
; NumVgprs: 0
; ScratchSize: 0
; MemoryBound: 0
; FloatMode: 240
; IeeeMode: 1
; LDSByteSize: 0 bytes/workgroup (compile time only)
; SGPRBlocks: 0
; VGPRBlocks: 0
; NumSGPRsForWavesPerEU: 1
; NumVGPRsForWavesPerEU: 1
; Occupancy: 16
; WaveLimiterHint : 0
; COMPUTE_PGM_RSRC2:SCRATCH_EN: 0
; COMPUTE_PGM_RSRC2:USER_SGPR: 15
; COMPUTE_PGM_RSRC2:TRAP_HANDLER: 0
; COMPUTE_PGM_RSRC2:TGID_X_EN: 1
; COMPUTE_PGM_RSRC2:TGID_Y_EN: 0
; COMPUTE_PGM_RSRC2:TGID_Z_EN: 0
; COMPUTE_PGM_RSRC2:TIDIG_COMP_CNT: 0
	.section	.text._ZN7rocprim17ROCPRIM_400000_NS6detail17trampoline_kernelINS0_14default_configENS1_20scan_config_selectorIfEEZZNS1_9scan_implILNS1_25lookback_scan_determinismE0ELb0ELb0ES3_PKfPffZZZN2at6native31launch_logcumsumexp_cuda_kernelERKNSB_10TensorBaseESF_lENKUlvE_clEvENKUlvE0_clEvEUlffE_fEEDaPvRmT3_T4_T5_mT6_P12ihipStream_tbENKUlT_T0_E_clISt17integral_constantIbLb0EESV_IbLb1EEEEDaSR_SS_EUlSR_E_NS1_11comp_targetILNS1_3genE5ELNS1_11target_archE942ELNS1_3gpuE9ELNS1_3repE0EEENS1_30default_config_static_selectorELNS0_4arch9wavefront6targetE0EEEvT1_,"axG",@progbits,_ZN7rocprim17ROCPRIM_400000_NS6detail17trampoline_kernelINS0_14default_configENS1_20scan_config_selectorIfEEZZNS1_9scan_implILNS1_25lookback_scan_determinismE0ELb0ELb0ES3_PKfPffZZZN2at6native31launch_logcumsumexp_cuda_kernelERKNSB_10TensorBaseESF_lENKUlvE_clEvENKUlvE0_clEvEUlffE_fEEDaPvRmT3_T4_T5_mT6_P12ihipStream_tbENKUlT_T0_E_clISt17integral_constantIbLb0EESV_IbLb1EEEEDaSR_SS_EUlSR_E_NS1_11comp_targetILNS1_3genE5ELNS1_11target_archE942ELNS1_3gpuE9ELNS1_3repE0EEENS1_30default_config_static_selectorELNS0_4arch9wavefront6targetE0EEEvT1_,comdat
	.globl	_ZN7rocprim17ROCPRIM_400000_NS6detail17trampoline_kernelINS0_14default_configENS1_20scan_config_selectorIfEEZZNS1_9scan_implILNS1_25lookback_scan_determinismE0ELb0ELb0ES3_PKfPffZZZN2at6native31launch_logcumsumexp_cuda_kernelERKNSB_10TensorBaseESF_lENKUlvE_clEvENKUlvE0_clEvEUlffE_fEEDaPvRmT3_T4_T5_mT6_P12ihipStream_tbENKUlT_T0_E_clISt17integral_constantIbLb0EESV_IbLb1EEEEDaSR_SS_EUlSR_E_NS1_11comp_targetILNS1_3genE5ELNS1_11target_archE942ELNS1_3gpuE9ELNS1_3repE0EEENS1_30default_config_static_selectorELNS0_4arch9wavefront6targetE0EEEvT1_ ; -- Begin function _ZN7rocprim17ROCPRIM_400000_NS6detail17trampoline_kernelINS0_14default_configENS1_20scan_config_selectorIfEEZZNS1_9scan_implILNS1_25lookback_scan_determinismE0ELb0ELb0ES3_PKfPffZZZN2at6native31launch_logcumsumexp_cuda_kernelERKNSB_10TensorBaseESF_lENKUlvE_clEvENKUlvE0_clEvEUlffE_fEEDaPvRmT3_T4_T5_mT6_P12ihipStream_tbENKUlT_T0_E_clISt17integral_constantIbLb0EESV_IbLb1EEEEDaSR_SS_EUlSR_E_NS1_11comp_targetILNS1_3genE5ELNS1_11target_archE942ELNS1_3gpuE9ELNS1_3repE0EEENS1_30default_config_static_selectorELNS0_4arch9wavefront6targetE0EEEvT1_
	.p2align	8
	.type	_ZN7rocprim17ROCPRIM_400000_NS6detail17trampoline_kernelINS0_14default_configENS1_20scan_config_selectorIfEEZZNS1_9scan_implILNS1_25lookback_scan_determinismE0ELb0ELb0ES3_PKfPffZZZN2at6native31launch_logcumsumexp_cuda_kernelERKNSB_10TensorBaseESF_lENKUlvE_clEvENKUlvE0_clEvEUlffE_fEEDaPvRmT3_T4_T5_mT6_P12ihipStream_tbENKUlT_T0_E_clISt17integral_constantIbLb0EESV_IbLb1EEEEDaSR_SS_EUlSR_E_NS1_11comp_targetILNS1_3genE5ELNS1_11target_archE942ELNS1_3gpuE9ELNS1_3repE0EEENS1_30default_config_static_selectorELNS0_4arch9wavefront6targetE0EEEvT1_,@function
_ZN7rocprim17ROCPRIM_400000_NS6detail17trampoline_kernelINS0_14default_configENS1_20scan_config_selectorIfEEZZNS1_9scan_implILNS1_25lookback_scan_determinismE0ELb0ELb0ES3_PKfPffZZZN2at6native31launch_logcumsumexp_cuda_kernelERKNSB_10TensorBaseESF_lENKUlvE_clEvENKUlvE0_clEvEUlffE_fEEDaPvRmT3_T4_T5_mT6_P12ihipStream_tbENKUlT_T0_E_clISt17integral_constantIbLb0EESV_IbLb1EEEEDaSR_SS_EUlSR_E_NS1_11comp_targetILNS1_3genE5ELNS1_11target_archE942ELNS1_3gpuE9ELNS1_3repE0EEENS1_30default_config_static_selectorELNS0_4arch9wavefront6targetE0EEEvT1_: ; @_ZN7rocprim17ROCPRIM_400000_NS6detail17trampoline_kernelINS0_14default_configENS1_20scan_config_selectorIfEEZZNS1_9scan_implILNS1_25lookback_scan_determinismE0ELb0ELb0ES3_PKfPffZZZN2at6native31launch_logcumsumexp_cuda_kernelERKNSB_10TensorBaseESF_lENKUlvE_clEvENKUlvE0_clEvEUlffE_fEEDaPvRmT3_T4_T5_mT6_P12ihipStream_tbENKUlT_T0_E_clISt17integral_constantIbLb0EESV_IbLb1EEEEDaSR_SS_EUlSR_E_NS1_11comp_targetILNS1_3genE5ELNS1_11target_archE942ELNS1_3gpuE9ELNS1_3repE0EEENS1_30default_config_static_selectorELNS0_4arch9wavefront6targetE0EEEvT1_
; %bb.0:
	.section	.rodata,"a",@progbits
	.p2align	6, 0x0
	.amdhsa_kernel _ZN7rocprim17ROCPRIM_400000_NS6detail17trampoline_kernelINS0_14default_configENS1_20scan_config_selectorIfEEZZNS1_9scan_implILNS1_25lookback_scan_determinismE0ELb0ELb0ES3_PKfPffZZZN2at6native31launch_logcumsumexp_cuda_kernelERKNSB_10TensorBaseESF_lENKUlvE_clEvENKUlvE0_clEvEUlffE_fEEDaPvRmT3_T4_T5_mT6_P12ihipStream_tbENKUlT_T0_E_clISt17integral_constantIbLb0EESV_IbLb1EEEEDaSR_SS_EUlSR_E_NS1_11comp_targetILNS1_3genE5ELNS1_11target_archE942ELNS1_3gpuE9ELNS1_3repE0EEENS1_30default_config_static_selectorELNS0_4arch9wavefront6targetE0EEEvT1_
		.amdhsa_group_segment_fixed_size 0
		.amdhsa_private_segment_fixed_size 0
		.amdhsa_kernarg_size 96
		.amdhsa_user_sgpr_count 15
		.amdhsa_user_sgpr_dispatch_ptr 0
		.amdhsa_user_sgpr_queue_ptr 0
		.amdhsa_user_sgpr_kernarg_segment_ptr 1
		.amdhsa_user_sgpr_dispatch_id 0
		.amdhsa_user_sgpr_private_segment_size 0
		.amdhsa_wavefront_size32 1
		.amdhsa_uses_dynamic_stack 0
		.amdhsa_enable_private_segment 0
		.amdhsa_system_sgpr_workgroup_id_x 1
		.amdhsa_system_sgpr_workgroup_id_y 0
		.amdhsa_system_sgpr_workgroup_id_z 0
		.amdhsa_system_sgpr_workgroup_info 0
		.amdhsa_system_vgpr_workitem_id 0
		.amdhsa_next_free_vgpr 1
		.amdhsa_next_free_sgpr 1
		.amdhsa_reserve_vcc 0
		.amdhsa_float_round_mode_32 0
		.amdhsa_float_round_mode_16_64 0
		.amdhsa_float_denorm_mode_32 3
		.amdhsa_float_denorm_mode_16_64 3
		.amdhsa_dx10_clamp 1
		.amdhsa_ieee_mode 1
		.amdhsa_fp16_overflow 0
		.amdhsa_workgroup_processor_mode 1
		.amdhsa_memory_ordered 1
		.amdhsa_forward_progress 0
		.amdhsa_shared_vgpr_count 0
		.amdhsa_exception_fp_ieee_invalid_op 0
		.amdhsa_exception_fp_denorm_src 0
		.amdhsa_exception_fp_ieee_div_zero 0
		.amdhsa_exception_fp_ieee_overflow 0
		.amdhsa_exception_fp_ieee_underflow 0
		.amdhsa_exception_fp_ieee_inexact 0
		.amdhsa_exception_int_div_zero 0
	.end_amdhsa_kernel
	.section	.text._ZN7rocprim17ROCPRIM_400000_NS6detail17trampoline_kernelINS0_14default_configENS1_20scan_config_selectorIfEEZZNS1_9scan_implILNS1_25lookback_scan_determinismE0ELb0ELb0ES3_PKfPffZZZN2at6native31launch_logcumsumexp_cuda_kernelERKNSB_10TensorBaseESF_lENKUlvE_clEvENKUlvE0_clEvEUlffE_fEEDaPvRmT3_T4_T5_mT6_P12ihipStream_tbENKUlT_T0_E_clISt17integral_constantIbLb0EESV_IbLb1EEEEDaSR_SS_EUlSR_E_NS1_11comp_targetILNS1_3genE5ELNS1_11target_archE942ELNS1_3gpuE9ELNS1_3repE0EEENS1_30default_config_static_selectorELNS0_4arch9wavefront6targetE0EEEvT1_,"axG",@progbits,_ZN7rocprim17ROCPRIM_400000_NS6detail17trampoline_kernelINS0_14default_configENS1_20scan_config_selectorIfEEZZNS1_9scan_implILNS1_25lookback_scan_determinismE0ELb0ELb0ES3_PKfPffZZZN2at6native31launch_logcumsumexp_cuda_kernelERKNSB_10TensorBaseESF_lENKUlvE_clEvENKUlvE0_clEvEUlffE_fEEDaPvRmT3_T4_T5_mT6_P12ihipStream_tbENKUlT_T0_E_clISt17integral_constantIbLb0EESV_IbLb1EEEEDaSR_SS_EUlSR_E_NS1_11comp_targetILNS1_3genE5ELNS1_11target_archE942ELNS1_3gpuE9ELNS1_3repE0EEENS1_30default_config_static_selectorELNS0_4arch9wavefront6targetE0EEEvT1_,comdat
.Lfunc_end158:
	.size	_ZN7rocprim17ROCPRIM_400000_NS6detail17trampoline_kernelINS0_14default_configENS1_20scan_config_selectorIfEEZZNS1_9scan_implILNS1_25lookback_scan_determinismE0ELb0ELb0ES3_PKfPffZZZN2at6native31launch_logcumsumexp_cuda_kernelERKNSB_10TensorBaseESF_lENKUlvE_clEvENKUlvE0_clEvEUlffE_fEEDaPvRmT3_T4_T5_mT6_P12ihipStream_tbENKUlT_T0_E_clISt17integral_constantIbLb0EESV_IbLb1EEEEDaSR_SS_EUlSR_E_NS1_11comp_targetILNS1_3genE5ELNS1_11target_archE942ELNS1_3gpuE9ELNS1_3repE0EEENS1_30default_config_static_selectorELNS0_4arch9wavefront6targetE0EEEvT1_, .Lfunc_end158-_ZN7rocprim17ROCPRIM_400000_NS6detail17trampoline_kernelINS0_14default_configENS1_20scan_config_selectorIfEEZZNS1_9scan_implILNS1_25lookback_scan_determinismE0ELb0ELb0ES3_PKfPffZZZN2at6native31launch_logcumsumexp_cuda_kernelERKNSB_10TensorBaseESF_lENKUlvE_clEvENKUlvE0_clEvEUlffE_fEEDaPvRmT3_T4_T5_mT6_P12ihipStream_tbENKUlT_T0_E_clISt17integral_constantIbLb0EESV_IbLb1EEEEDaSR_SS_EUlSR_E_NS1_11comp_targetILNS1_3genE5ELNS1_11target_archE942ELNS1_3gpuE9ELNS1_3repE0EEENS1_30default_config_static_selectorELNS0_4arch9wavefront6targetE0EEEvT1_
                                        ; -- End function
	.section	.AMDGPU.csdata,"",@progbits
; Kernel info:
; codeLenInByte = 0
; NumSgprs: 0
; NumVgprs: 0
; ScratchSize: 0
; MemoryBound: 0
; FloatMode: 240
; IeeeMode: 1
; LDSByteSize: 0 bytes/workgroup (compile time only)
; SGPRBlocks: 0
; VGPRBlocks: 0
; NumSGPRsForWavesPerEU: 1
; NumVGPRsForWavesPerEU: 1
; Occupancy: 16
; WaveLimiterHint : 0
; COMPUTE_PGM_RSRC2:SCRATCH_EN: 0
; COMPUTE_PGM_RSRC2:USER_SGPR: 15
; COMPUTE_PGM_RSRC2:TRAP_HANDLER: 0
; COMPUTE_PGM_RSRC2:TGID_X_EN: 1
; COMPUTE_PGM_RSRC2:TGID_Y_EN: 0
; COMPUTE_PGM_RSRC2:TGID_Z_EN: 0
; COMPUTE_PGM_RSRC2:TIDIG_COMP_CNT: 0
	.section	.text._ZN7rocprim17ROCPRIM_400000_NS6detail17trampoline_kernelINS0_14default_configENS1_20scan_config_selectorIfEEZZNS1_9scan_implILNS1_25lookback_scan_determinismE0ELb0ELb0ES3_PKfPffZZZN2at6native31launch_logcumsumexp_cuda_kernelERKNSB_10TensorBaseESF_lENKUlvE_clEvENKUlvE0_clEvEUlffE_fEEDaPvRmT3_T4_T5_mT6_P12ihipStream_tbENKUlT_T0_E_clISt17integral_constantIbLb0EESV_IbLb1EEEEDaSR_SS_EUlSR_E_NS1_11comp_targetILNS1_3genE4ELNS1_11target_archE910ELNS1_3gpuE8ELNS1_3repE0EEENS1_30default_config_static_selectorELNS0_4arch9wavefront6targetE0EEEvT1_,"axG",@progbits,_ZN7rocprim17ROCPRIM_400000_NS6detail17trampoline_kernelINS0_14default_configENS1_20scan_config_selectorIfEEZZNS1_9scan_implILNS1_25lookback_scan_determinismE0ELb0ELb0ES3_PKfPffZZZN2at6native31launch_logcumsumexp_cuda_kernelERKNSB_10TensorBaseESF_lENKUlvE_clEvENKUlvE0_clEvEUlffE_fEEDaPvRmT3_T4_T5_mT6_P12ihipStream_tbENKUlT_T0_E_clISt17integral_constantIbLb0EESV_IbLb1EEEEDaSR_SS_EUlSR_E_NS1_11comp_targetILNS1_3genE4ELNS1_11target_archE910ELNS1_3gpuE8ELNS1_3repE0EEENS1_30default_config_static_selectorELNS0_4arch9wavefront6targetE0EEEvT1_,comdat
	.globl	_ZN7rocprim17ROCPRIM_400000_NS6detail17trampoline_kernelINS0_14default_configENS1_20scan_config_selectorIfEEZZNS1_9scan_implILNS1_25lookback_scan_determinismE0ELb0ELb0ES3_PKfPffZZZN2at6native31launch_logcumsumexp_cuda_kernelERKNSB_10TensorBaseESF_lENKUlvE_clEvENKUlvE0_clEvEUlffE_fEEDaPvRmT3_T4_T5_mT6_P12ihipStream_tbENKUlT_T0_E_clISt17integral_constantIbLb0EESV_IbLb1EEEEDaSR_SS_EUlSR_E_NS1_11comp_targetILNS1_3genE4ELNS1_11target_archE910ELNS1_3gpuE8ELNS1_3repE0EEENS1_30default_config_static_selectorELNS0_4arch9wavefront6targetE0EEEvT1_ ; -- Begin function _ZN7rocprim17ROCPRIM_400000_NS6detail17trampoline_kernelINS0_14default_configENS1_20scan_config_selectorIfEEZZNS1_9scan_implILNS1_25lookback_scan_determinismE0ELb0ELb0ES3_PKfPffZZZN2at6native31launch_logcumsumexp_cuda_kernelERKNSB_10TensorBaseESF_lENKUlvE_clEvENKUlvE0_clEvEUlffE_fEEDaPvRmT3_T4_T5_mT6_P12ihipStream_tbENKUlT_T0_E_clISt17integral_constantIbLb0EESV_IbLb1EEEEDaSR_SS_EUlSR_E_NS1_11comp_targetILNS1_3genE4ELNS1_11target_archE910ELNS1_3gpuE8ELNS1_3repE0EEENS1_30default_config_static_selectorELNS0_4arch9wavefront6targetE0EEEvT1_
	.p2align	8
	.type	_ZN7rocprim17ROCPRIM_400000_NS6detail17trampoline_kernelINS0_14default_configENS1_20scan_config_selectorIfEEZZNS1_9scan_implILNS1_25lookback_scan_determinismE0ELb0ELb0ES3_PKfPffZZZN2at6native31launch_logcumsumexp_cuda_kernelERKNSB_10TensorBaseESF_lENKUlvE_clEvENKUlvE0_clEvEUlffE_fEEDaPvRmT3_T4_T5_mT6_P12ihipStream_tbENKUlT_T0_E_clISt17integral_constantIbLb0EESV_IbLb1EEEEDaSR_SS_EUlSR_E_NS1_11comp_targetILNS1_3genE4ELNS1_11target_archE910ELNS1_3gpuE8ELNS1_3repE0EEENS1_30default_config_static_selectorELNS0_4arch9wavefront6targetE0EEEvT1_,@function
_ZN7rocprim17ROCPRIM_400000_NS6detail17trampoline_kernelINS0_14default_configENS1_20scan_config_selectorIfEEZZNS1_9scan_implILNS1_25lookback_scan_determinismE0ELb0ELb0ES3_PKfPffZZZN2at6native31launch_logcumsumexp_cuda_kernelERKNSB_10TensorBaseESF_lENKUlvE_clEvENKUlvE0_clEvEUlffE_fEEDaPvRmT3_T4_T5_mT6_P12ihipStream_tbENKUlT_T0_E_clISt17integral_constantIbLb0EESV_IbLb1EEEEDaSR_SS_EUlSR_E_NS1_11comp_targetILNS1_3genE4ELNS1_11target_archE910ELNS1_3gpuE8ELNS1_3repE0EEENS1_30default_config_static_selectorELNS0_4arch9wavefront6targetE0EEEvT1_: ; @_ZN7rocprim17ROCPRIM_400000_NS6detail17trampoline_kernelINS0_14default_configENS1_20scan_config_selectorIfEEZZNS1_9scan_implILNS1_25lookback_scan_determinismE0ELb0ELb0ES3_PKfPffZZZN2at6native31launch_logcumsumexp_cuda_kernelERKNSB_10TensorBaseESF_lENKUlvE_clEvENKUlvE0_clEvEUlffE_fEEDaPvRmT3_T4_T5_mT6_P12ihipStream_tbENKUlT_T0_E_clISt17integral_constantIbLb0EESV_IbLb1EEEEDaSR_SS_EUlSR_E_NS1_11comp_targetILNS1_3genE4ELNS1_11target_archE910ELNS1_3gpuE8ELNS1_3repE0EEENS1_30default_config_static_selectorELNS0_4arch9wavefront6targetE0EEEvT1_
; %bb.0:
	.section	.rodata,"a",@progbits
	.p2align	6, 0x0
	.amdhsa_kernel _ZN7rocprim17ROCPRIM_400000_NS6detail17trampoline_kernelINS0_14default_configENS1_20scan_config_selectorIfEEZZNS1_9scan_implILNS1_25lookback_scan_determinismE0ELb0ELb0ES3_PKfPffZZZN2at6native31launch_logcumsumexp_cuda_kernelERKNSB_10TensorBaseESF_lENKUlvE_clEvENKUlvE0_clEvEUlffE_fEEDaPvRmT3_T4_T5_mT6_P12ihipStream_tbENKUlT_T0_E_clISt17integral_constantIbLb0EESV_IbLb1EEEEDaSR_SS_EUlSR_E_NS1_11comp_targetILNS1_3genE4ELNS1_11target_archE910ELNS1_3gpuE8ELNS1_3repE0EEENS1_30default_config_static_selectorELNS0_4arch9wavefront6targetE0EEEvT1_
		.amdhsa_group_segment_fixed_size 0
		.amdhsa_private_segment_fixed_size 0
		.amdhsa_kernarg_size 96
		.amdhsa_user_sgpr_count 15
		.amdhsa_user_sgpr_dispatch_ptr 0
		.amdhsa_user_sgpr_queue_ptr 0
		.amdhsa_user_sgpr_kernarg_segment_ptr 1
		.amdhsa_user_sgpr_dispatch_id 0
		.amdhsa_user_sgpr_private_segment_size 0
		.amdhsa_wavefront_size32 1
		.amdhsa_uses_dynamic_stack 0
		.amdhsa_enable_private_segment 0
		.amdhsa_system_sgpr_workgroup_id_x 1
		.amdhsa_system_sgpr_workgroup_id_y 0
		.amdhsa_system_sgpr_workgroup_id_z 0
		.amdhsa_system_sgpr_workgroup_info 0
		.amdhsa_system_vgpr_workitem_id 0
		.amdhsa_next_free_vgpr 1
		.amdhsa_next_free_sgpr 1
		.amdhsa_reserve_vcc 0
		.amdhsa_float_round_mode_32 0
		.amdhsa_float_round_mode_16_64 0
		.amdhsa_float_denorm_mode_32 3
		.amdhsa_float_denorm_mode_16_64 3
		.amdhsa_dx10_clamp 1
		.amdhsa_ieee_mode 1
		.amdhsa_fp16_overflow 0
		.amdhsa_workgroup_processor_mode 1
		.amdhsa_memory_ordered 1
		.amdhsa_forward_progress 0
		.amdhsa_shared_vgpr_count 0
		.amdhsa_exception_fp_ieee_invalid_op 0
		.amdhsa_exception_fp_denorm_src 0
		.amdhsa_exception_fp_ieee_div_zero 0
		.amdhsa_exception_fp_ieee_overflow 0
		.amdhsa_exception_fp_ieee_underflow 0
		.amdhsa_exception_fp_ieee_inexact 0
		.amdhsa_exception_int_div_zero 0
	.end_amdhsa_kernel
	.section	.text._ZN7rocprim17ROCPRIM_400000_NS6detail17trampoline_kernelINS0_14default_configENS1_20scan_config_selectorIfEEZZNS1_9scan_implILNS1_25lookback_scan_determinismE0ELb0ELb0ES3_PKfPffZZZN2at6native31launch_logcumsumexp_cuda_kernelERKNSB_10TensorBaseESF_lENKUlvE_clEvENKUlvE0_clEvEUlffE_fEEDaPvRmT3_T4_T5_mT6_P12ihipStream_tbENKUlT_T0_E_clISt17integral_constantIbLb0EESV_IbLb1EEEEDaSR_SS_EUlSR_E_NS1_11comp_targetILNS1_3genE4ELNS1_11target_archE910ELNS1_3gpuE8ELNS1_3repE0EEENS1_30default_config_static_selectorELNS0_4arch9wavefront6targetE0EEEvT1_,"axG",@progbits,_ZN7rocprim17ROCPRIM_400000_NS6detail17trampoline_kernelINS0_14default_configENS1_20scan_config_selectorIfEEZZNS1_9scan_implILNS1_25lookback_scan_determinismE0ELb0ELb0ES3_PKfPffZZZN2at6native31launch_logcumsumexp_cuda_kernelERKNSB_10TensorBaseESF_lENKUlvE_clEvENKUlvE0_clEvEUlffE_fEEDaPvRmT3_T4_T5_mT6_P12ihipStream_tbENKUlT_T0_E_clISt17integral_constantIbLb0EESV_IbLb1EEEEDaSR_SS_EUlSR_E_NS1_11comp_targetILNS1_3genE4ELNS1_11target_archE910ELNS1_3gpuE8ELNS1_3repE0EEENS1_30default_config_static_selectorELNS0_4arch9wavefront6targetE0EEEvT1_,comdat
.Lfunc_end159:
	.size	_ZN7rocprim17ROCPRIM_400000_NS6detail17trampoline_kernelINS0_14default_configENS1_20scan_config_selectorIfEEZZNS1_9scan_implILNS1_25lookback_scan_determinismE0ELb0ELb0ES3_PKfPffZZZN2at6native31launch_logcumsumexp_cuda_kernelERKNSB_10TensorBaseESF_lENKUlvE_clEvENKUlvE0_clEvEUlffE_fEEDaPvRmT3_T4_T5_mT6_P12ihipStream_tbENKUlT_T0_E_clISt17integral_constantIbLb0EESV_IbLb1EEEEDaSR_SS_EUlSR_E_NS1_11comp_targetILNS1_3genE4ELNS1_11target_archE910ELNS1_3gpuE8ELNS1_3repE0EEENS1_30default_config_static_selectorELNS0_4arch9wavefront6targetE0EEEvT1_, .Lfunc_end159-_ZN7rocprim17ROCPRIM_400000_NS6detail17trampoline_kernelINS0_14default_configENS1_20scan_config_selectorIfEEZZNS1_9scan_implILNS1_25lookback_scan_determinismE0ELb0ELb0ES3_PKfPffZZZN2at6native31launch_logcumsumexp_cuda_kernelERKNSB_10TensorBaseESF_lENKUlvE_clEvENKUlvE0_clEvEUlffE_fEEDaPvRmT3_T4_T5_mT6_P12ihipStream_tbENKUlT_T0_E_clISt17integral_constantIbLb0EESV_IbLb1EEEEDaSR_SS_EUlSR_E_NS1_11comp_targetILNS1_3genE4ELNS1_11target_archE910ELNS1_3gpuE8ELNS1_3repE0EEENS1_30default_config_static_selectorELNS0_4arch9wavefront6targetE0EEEvT1_
                                        ; -- End function
	.section	.AMDGPU.csdata,"",@progbits
; Kernel info:
; codeLenInByte = 0
; NumSgprs: 0
; NumVgprs: 0
; ScratchSize: 0
; MemoryBound: 0
; FloatMode: 240
; IeeeMode: 1
; LDSByteSize: 0 bytes/workgroup (compile time only)
; SGPRBlocks: 0
; VGPRBlocks: 0
; NumSGPRsForWavesPerEU: 1
; NumVGPRsForWavesPerEU: 1
; Occupancy: 16
; WaveLimiterHint : 0
; COMPUTE_PGM_RSRC2:SCRATCH_EN: 0
; COMPUTE_PGM_RSRC2:USER_SGPR: 15
; COMPUTE_PGM_RSRC2:TRAP_HANDLER: 0
; COMPUTE_PGM_RSRC2:TGID_X_EN: 1
; COMPUTE_PGM_RSRC2:TGID_Y_EN: 0
; COMPUTE_PGM_RSRC2:TGID_Z_EN: 0
; COMPUTE_PGM_RSRC2:TIDIG_COMP_CNT: 0
	.section	.text._ZN7rocprim17ROCPRIM_400000_NS6detail17trampoline_kernelINS0_14default_configENS1_20scan_config_selectorIfEEZZNS1_9scan_implILNS1_25lookback_scan_determinismE0ELb0ELb0ES3_PKfPffZZZN2at6native31launch_logcumsumexp_cuda_kernelERKNSB_10TensorBaseESF_lENKUlvE_clEvENKUlvE0_clEvEUlffE_fEEDaPvRmT3_T4_T5_mT6_P12ihipStream_tbENKUlT_T0_E_clISt17integral_constantIbLb0EESV_IbLb1EEEEDaSR_SS_EUlSR_E_NS1_11comp_targetILNS1_3genE3ELNS1_11target_archE908ELNS1_3gpuE7ELNS1_3repE0EEENS1_30default_config_static_selectorELNS0_4arch9wavefront6targetE0EEEvT1_,"axG",@progbits,_ZN7rocprim17ROCPRIM_400000_NS6detail17trampoline_kernelINS0_14default_configENS1_20scan_config_selectorIfEEZZNS1_9scan_implILNS1_25lookback_scan_determinismE0ELb0ELb0ES3_PKfPffZZZN2at6native31launch_logcumsumexp_cuda_kernelERKNSB_10TensorBaseESF_lENKUlvE_clEvENKUlvE0_clEvEUlffE_fEEDaPvRmT3_T4_T5_mT6_P12ihipStream_tbENKUlT_T0_E_clISt17integral_constantIbLb0EESV_IbLb1EEEEDaSR_SS_EUlSR_E_NS1_11comp_targetILNS1_3genE3ELNS1_11target_archE908ELNS1_3gpuE7ELNS1_3repE0EEENS1_30default_config_static_selectorELNS0_4arch9wavefront6targetE0EEEvT1_,comdat
	.globl	_ZN7rocprim17ROCPRIM_400000_NS6detail17trampoline_kernelINS0_14default_configENS1_20scan_config_selectorIfEEZZNS1_9scan_implILNS1_25lookback_scan_determinismE0ELb0ELb0ES3_PKfPffZZZN2at6native31launch_logcumsumexp_cuda_kernelERKNSB_10TensorBaseESF_lENKUlvE_clEvENKUlvE0_clEvEUlffE_fEEDaPvRmT3_T4_T5_mT6_P12ihipStream_tbENKUlT_T0_E_clISt17integral_constantIbLb0EESV_IbLb1EEEEDaSR_SS_EUlSR_E_NS1_11comp_targetILNS1_3genE3ELNS1_11target_archE908ELNS1_3gpuE7ELNS1_3repE0EEENS1_30default_config_static_selectorELNS0_4arch9wavefront6targetE0EEEvT1_ ; -- Begin function _ZN7rocprim17ROCPRIM_400000_NS6detail17trampoline_kernelINS0_14default_configENS1_20scan_config_selectorIfEEZZNS1_9scan_implILNS1_25lookback_scan_determinismE0ELb0ELb0ES3_PKfPffZZZN2at6native31launch_logcumsumexp_cuda_kernelERKNSB_10TensorBaseESF_lENKUlvE_clEvENKUlvE0_clEvEUlffE_fEEDaPvRmT3_T4_T5_mT6_P12ihipStream_tbENKUlT_T0_E_clISt17integral_constantIbLb0EESV_IbLb1EEEEDaSR_SS_EUlSR_E_NS1_11comp_targetILNS1_3genE3ELNS1_11target_archE908ELNS1_3gpuE7ELNS1_3repE0EEENS1_30default_config_static_selectorELNS0_4arch9wavefront6targetE0EEEvT1_
	.p2align	8
	.type	_ZN7rocprim17ROCPRIM_400000_NS6detail17trampoline_kernelINS0_14default_configENS1_20scan_config_selectorIfEEZZNS1_9scan_implILNS1_25lookback_scan_determinismE0ELb0ELb0ES3_PKfPffZZZN2at6native31launch_logcumsumexp_cuda_kernelERKNSB_10TensorBaseESF_lENKUlvE_clEvENKUlvE0_clEvEUlffE_fEEDaPvRmT3_T4_T5_mT6_P12ihipStream_tbENKUlT_T0_E_clISt17integral_constantIbLb0EESV_IbLb1EEEEDaSR_SS_EUlSR_E_NS1_11comp_targetILNS1_3genE3ELNS1_11target_archE908ELNS1_3gpuE7ELNS1_3repE0EEENS1_30default_config_static_selectorELNS0_4arch9wavefront6targetE0EEEvT1_,@function
_ZN7rocprim17ROCPRIM_400000_NS6detail17trampoline_kernelINS0_14default_configENS1_20scan_config_selectorIfEEZZNS1_9scan_implILNS1_25lookback_scan_determinismE0ELb0ELb0ES3_PKfPffZZZN2at6native31launch_logcumsumexp_cuda_kernelERKNSB_10TensorBaseESF_lENKUlvE_clEvENKUlvE0_clEvEUlffE_fEEDaPvRmT3_T4_T5_mT6_P12ihipStream_tbENKUlT_T0_E_clISt17integral_constantIbLb0EESV_IbLb1EEEEDaSR_SS_EUlSR_E_NS1_11comp_targetILNS1_3genE3ELNS1_11target_archE908ELNS1_3gpuE7ELNS1_3repE0EEENS1_30default_config_static_selectorELNS0_4arch9wavefront6targetE0EEEvT1_: ; @_ZN7rocprim17ROCPRIM_400000_NS6detail17trampoline_kernelINS0_14default_configENS1_20scan_config_selectorIfEEZZNS1_9scan_implILNS1_25lookback_scan_determinismE0ELb0ELb0ES3_PKfPffZZZN2at6native31launch_logcumsumexp_cuda_kernelERKNSB_10TensorBaseESF_lENKUlvE_clEvENKUlvE0_clEvEUlffE_fEEDaPvRmT3_T4_T5_mT6_P12ihipStream_tbENKUlT_T0_E_clISt17integral_constantIbLb0EESV_IbLb1EEEEDaSR_SS_EUlSR_E_NS1_11comp_targetILNS1_3genE3ELNS1_11target_archE908ELNS1_3gpuE7ELNS1_3repE0EEENS1_30default_config_static_selectorELNS0_4arch9wavefront6targetE0EEEvT1_
; %bb.0:
	.section	.rodata,"a",@progbits
	.p2align	6, 0x0
	.amdhsa_kernel _ZN7rocprim17ROCPRIM_400000_NS6detail17trampoline_kernelINS0_14default_configENS1_20scan_config_selectorIfEEZZNS1_9scan_implILNS1_25lookback_scan_determinismE0ELb0ELb0ES3_PKfPffZZZN2at6native31launch_logcumsumexp_cuda_kernelERKNSB_10TensorBaseESF_lENKUlvE_clEvENKUlvE0_clEvEUlffE_fEEDaPvRmT3_T4_T5_mT6_P12ihipStream_tbENKUlT_T0_E_clISt17integral_constantIbLb0EESV_IbLb1EEEEDaSR_SS_EUlSR_E_NS1_11comp_targetILNS1_3genE3ELNS1_11target_archE908ELNS1_3gpuE7ELNS1_3repE0EEENS1_30default_config_static_selectorELNS0_4arch9wavefront6targetE0EEEvT1_
		.amdhsa_group_segment_fixed_size 0
		.amdhsa_private_segment_fixed_size 0
		.amdhsa_kernarg_size 96
		.amdhsa_user_sgpr_count 15
		.amdhsa_user_sgpr_dispatch_ptr 0
		.amdhsa_user_sgpr_queue_ptr 0
		.amdhsa_user_sgpr_kernarg_segment_ptr 1
		.amdhsa_user_sgpr_dispatch_id 0
		.amdhsa_user_sgpr_private_segment_size 0
		.amdhsa_wavefront_size32 1
		.amdhsa_uses_dynamic_stack 0
		.amdhsa_enable_private_segment 0
		.amdhsa_system_sgpr_workgroup_id_x 1
		.amdhsa_system_sgpr_workgroup_id_y 0
		.amdhsa_system_sgpr_workgroup_id_z 0
		.amdhsa_system_sgpr_workgroup_info 0
		.amdhsa_system_vgpr_workitem_id 0
		.amdhsa_next_free_vgpr 1
		.amdhsa_next_free_sgpr 1
		.amdhsa_reserve_vcc 0
		.amdhsa_float_round_mode_32 0
		.amdhsa_float_round_mode_16_64 0
		.amdhsa_float_denorm_mode_32 3
		.amdhsa_float_denorm_mode_16_64 3
		.amdhsa_dx10_clamp 1
		.amdhsa_ieee_mode 1
		.amdhsa_fp16_overflow 0
		.amdhsa_workgroup_processor_mode 1
		.amdhsa_memory_ordered 1
		.amdhsa_forward_progress 0
		.amdhsa_shared_vgpr_count 0
		.amdhsa_exception_fp_ieee_invalid_op 0
		.amdhsa_exception_fp_denorm_src 0
		.amdhsa_exception_fp_ieee_div_zero 0
		.amdhsa_exception_fp_ieee_overflow 0
		.amdhsa_exception_fp_ieee_underflow 0
		.amdhsa_exception_fp_ieee_inexact 0
		.amdhsa_exception_int_div_zero 0
	.end_amdhsa_kernel
	.section	.text._ZN7rocprim17ROCPRIM_400000_NS6detail17trampoline_kernelINS0_14default_configENS1_20scan_config_selectorIfEEZZNS1_9scan_implILNS1_25lookback_scan_determinismE0ELb0ELb0ES3_PKfPffZZZN2at6native31launch_logcumsumexp_cuda_kernelERKNSB_10TensorBaseESF_lENKUlvE_clEvENKUlvE0_clEvEUlffE_fEEDaPvRmT3_T4_T5_mT6_P12ihipStream_tbENKUlT_T0_E_clISt17integral_constantIbLb0EESV_IbLb1EEEEDaSR_SS_EUlSR_E_NS1_11comp_targetILNS1_3genE3ELNS1_11target_archE908ELNS1_3gpuE7ELNS1_3repE0EEENS1_30default_config_static_selectorELNS0_4arch9wavefront6targetE0EEEvT1_,"axG",@progbits,_ZN7rocprim17ROCPRIM_400000_NS6detail17trampoline_kernelINS0_14default_configENS1_20scan_config_selectorIfEEZZNS1_9scan_implILNS1_25lookback_scan_determinismE0ELb0ELb0ES3_PKfPffZZZN2at6native31launch_logcumsumexp_cuda_kernelERKNSB_10TensorBaseESF_lENKUlvE_clEvENKUlvE0_clEvEUlffE_fEEDaPvRmT3_T4_T5_mT6_P12ihipStream_tbENKUlT_T0_E_clISt17integral_constantIbLb0EESV_IbLb1EEEEDaSR_SS_EUlSR_E_NS1_11comp_targetILNS1_3genE3ELNS1_11target_archE908ELNS1_3gpuE7ELNS1_3repE0EEENS1_30default_config_static_selectorELNS0_4arch9wavefront6targetE0EEEvT1_,comdat
.Lfunc_end160:
	.size	_ZN7rocprim17ROCPRIM_400000_NS6detail17trampoline_kernelINS0_14default_configENS1_20scan_config_selectorIfEEZZNS1_9scan_implILNS1_25lookback_scan_determinismE0ELb0ELb0ES3_PKfPffZZZN2at6native31launch_logcumsumexp_cuda_kernelERKNSB_10TensorBaseESF_lENKUlvE_clEvENKUlvE0_clEvEUlffE_fEEDaPvRmT3_T4_T5_mT6_P12ihipStream_tbENKUlT_T0_E_clISt17integral_constantIbLb0EESV_IbLb1EEEEDaSR_SS_EUlSR_E_NS1_11comp_targetILNS1_3genE3ELNS1_11target_archE908ELNS1_3gpuE7ELNS1_3repE0EEENS1_30default_config_static_selectorELNS0_4arch9wavefront6targetE0EEEvT1_, .Lfunc_end160-_ZN7rocprim17ROCPRIM_400000_NS6detail17trampoline_kernelINS0_14default_configENS1_20scan_config_selectorIfEEZZNS1_9scan_implILNS1_25lookback_scan_determinismE0ELb0ELb0ES3_PKfPffZZZN2at6native31launch_logcumsumexp_cuda_kernelERKNSB_10TensorBaseESF_lENKUlvE_clEvENKUlvE0_clEvEUlffE_fEEDaPvRmT3_T4_T5_mT6_P12ihipStream_tbENKUlT_T0_E_clISt17integral_constantIbLb0EESV_IbLb1EEEEDaSR_SS_EUlSR_E_NS1_11comp_targetILNS1_3genE3ELNS1_11target_archE908ELNS1_3gpuE7ELNS1_3repE0EEENS1_30default_config_static_selectorELNS0_4arch9wavefront6targetE0EEEvT1_
                                        ; -- End function
	.section	.AMDGPU.csdata,"",@progbits
; Kernel info:
; codeLenInByte = 0
; NumSgprs: 0
; NumVgprs: 0
; ScratchSize: 0
; MemoryBound: 0
; FloatMode: 240
; IeeeMode: 1
; LDSByteSize: 0 bytes/workgroup (compile time only)
; SGPRBlocks: 0
; VGPRBlocks: 0
; NumSGPRsForWavesPerEU: 1
; NumVGPRsForWavesPerEU: 1
; Occupancy: 16
; WaveLimiterHint : 0
; COMPUTE_PGM_RSRC2:SCRATCH_EN: 0
; COMPUTE_PGM_RSRC2:USER_SGPR: 15
; COMPUTE_PGM_RSRC2:TRAP_HANDLER: 0
; COMPUTE_PGM_RSRC2:TGID_X_EN: 1
; COMPUTE_PGM_RSRC2:TGID_Y_EN: 0
; COMPUTE_PGM_RSRC2:TGID_Z_EN: 0
; COMPUTE_PGM_RSRC2:TIDIG_COMP_CNT: 0
	.section	.text._ZN7rocprim17ROCPRIM_400000_NS6detail17trampoline_kernelINS0_14default_configENS1_20scan_config_selectorIfEEZZNS1_9scan_implILNS1_25lookback_scan_determinismE0ELb0ELb0ES3_PKfPffZZZN2at6native31launch_logcumsumexp_cuda_kernelERKNSB_10TensorBaseESF_lENKUlvE_clEvENKUlvE0_clEvEUlffE_fEEDaPvRmT3_T4_T5_mT6_P12ihipStream_tbENKUlT_T0_E_clISt17integral_constantIbLb0EESV_IbLb1EEEEDaSR_SS_EUlSR_E_NS1_11comp_targetILNS1_3genE2ELNS1_11target_archE906ELNS1_3gpuE6ELNS1_3repE0EEENS1_30default_config_static_selectorELNS0_4arch9wavefront6targetE0EEEvT1_,"axG",@progbits,_ZN7rocprim17ROCPRIM_400000_NS6detail17trampoline_kernelINS0_14default_configENS1_20scan_config_selectorIfEEZZNS1_9scan_implILNS1_25lookback_scan_determinismE0ELb0ELb0ES3_PKfPffZZZN2at6native31launch_logcumsumexp_cuda_kernelERKNSB_10TensorBaseESF_lENKUlvE_clEvENKUlvE0_clEvEUlffE_fEEDaPvRmT3_T4_T5_mT6_P12ihipStream_tbENKUlT_T0_E_clISt17integral_constantIbLb0EESV_IbLb1EEEEDaSR_SS_EUlSR_E_NS1_11comp_targetILNS1_3genE2ELNS1_11target_archE906ELNS1_3gpuE6ELNS1_3repE0EEENS1_30default_config_static_selectorELNS0_4arch9wavefront6targetE0EEEvT1_,comdat
	.globl	_ZN7rocprim17ROCPRIM_400000_NS6detail17trampoline_kernelINS0_14default_configENS1_20scan_config_selectorIfEEZZNS1_9scan_implILNS1_25lookback_scan_determinismE0ELb0ELb0ES3_PKfPffZZZN2at6native31launch_logcumsumexp_cuda_kernelERKNSB_10TensorBaseESF_lENKUlvE_clEvENKUlvE0_clEvEUlffE_fEEDaPvRmT3_T4_T5_mT6_P12ihipStream_tbENKUlT_T0_E_clISt17integral_constantIbLb0EESV_IbLb1EEEEDaSR_SS_EUlSR_E_NS1_11comp_targetILNS1_3genE2ELNS1_11target_archE906ELNS1_3gpuE6ELNS1_3repE0EEENS1_30default_config_static_selectorELNS0_4arch9wavefront6targetE0EEEvT1_ ; -- Begin function _ZN7rocprim17ROCPRIM_400000_NS6detail17trampoline_kernelINS0_14default_configENS1_20scan_config_selectorIfEEZZNS1_9scan_implILNS1_25lookback_scan_determinismE0ELb0ELb0ES3_PKfPffZZZN2at6native31launch_logcumsumexp_cuda_kernelERKNSB_10TensorBaseESF_lENKUlvE_clEvENKUlvE0_clEvEUlffE_fEEDaPvRmT3_T4_T5_mT6_P12ihipStream_tbENKUlT_T0_E_clISt17integral_constantIbLb0EESV_IbLb1EEEEDaSR_SS_EUlSR_E_NS1_11comp_targetILNS1_3genE2ELNS1_11target_archE906ELNS1_3gpuE6ELNS1_3repE0EEENS1_30default_config_static_selectorELNS0_4arch9wavefront6targetE0EEEvT1_
	.p2align	8
	.type	_ZN7rocprim17ROCPRIM_400000_NS6detail17trampoline_kernelINS0_14default_configENS1_20scan_config_selectorIfEEZZNS1_9scan_implILNS1_25lookback_scan_determinismE0ELb0ELb0ES3_PKfPffZZZN2at6native31launch_logcumsumexp_cuda_kernelERKNSB_10TensorBaseESF_lENKUlvE_clEvENKUlvE0_clEvEUlffE_fEEDaPvRmT3_T4_T5_mT6_P12ihipStream_tbENKUlT_T0_E_clISt17integral_constantIbLb0EESV_IbLb1EEEEDaSR_SS_EUlSR_E_NS1_11comp_targetILNS1_3genE2ELNS1_11target_archE906ELNS1_3gpuE6ELNS1_3repE0EEENS1_30default_config_static_selectorELNS0_4arch9wavefront6targetE0EEEvT1_,@function
_ZN7rocprim17ROCPRIM_400000_NS6detail17trampoline_kernelINS0_14default_configENS1_20scan_config_selectorIfEEZZNS1_9scan_implILNS1_25lookback_scan_determinismE0ELb0ELb0ES3_PKfPffZZZN2at6native31launch_logcumsumexp_cuda_kernelERKNSB_10TensorBaseESF_lENKUlvE_clEvENKUlvE0_clEvEUlffE_fEEDaPvRmT3_T4_T5_mT6_P12ihipStream_tbENKUlT_T0_E_clISt17integral_constantIbLb0EESV_IbLb1EEEEDaSR_SS_EUlSR_E_NS1_11comp_targetILNS1_3genE2ELNS1_11target_archE906ELNS1_3gpuE6ELNS1_3repE0EEENS1_30default_config_static_selectorELNS0_4arch9wavefront6targetE0EEEvT1_: ; @_ZN7rocprim17ROCPRIM_400000_NS6detail17trampoline_kernelINS0_14default_configENS1_20scan_config_selectorIfEEZZNS1_9scan_implILNS1_25lookback_scan_determinismE0ELb0ELb0ES3_PKfPffZZZN2at6native31launch_logcumsumexp_cuda_kernelERKNSB_10TensorBaseESF_lENKUlvE_clEvENKUlvE0_clEvEUlffE_fEEDaPvRmT3_T4_T5_mT6_P12ihipStream_tbENKUlT_T0_E_clISt17integral_constantIbLb0EESV_IbLb1EEEEDaSR_SS_EUlSR_E_NS1_11comp_targetILNS1_3genE2ELNS1_11target_archE906ELNS1_3gpuE6ELNS1_3repE0EEENS1_30default_config_static_selectorELNS0_4arch9wavefront6targetE0EEEvT1_
; %bb.0:
	.section	.rodata,"a",@progbits
	.p2align	6, 0x0
	.amdhsa_kernel _ZN7rocprim17ROCPRIM_400000_NS6detail17trampoline_kernelINS0_14default_configENS1_20scan_config_selectorIfEEZZNS1_9scan_implILNS1_25lookback_scan_determinismE0ELb0ELb0ES3_PKfPffZZZN2at6native31launch_logcumsumexp_cuda_kernelERKNSB_10TensorBaseESF_lENKUlvE_clEvENKUlvE0_clEvEUlffE_fEEDaPvRmT3_T4_T5_mT6_P12ihipStream_tbENKUlT_T0_E_clISt17integral_constantIbLb0EESV_IbLb1EEEEDaSR_SS_EUlSR_E_NS1_11comp_targetILNS1_3genE2ELNS1_11target_archE906ELNS1_3gpuE6ELNS1_3repE0EEENS1_30default_config_static_selectorELNS0_4arch9wavefront6targetE0EEEvT1_
		.amdhsa_group_segment_fixed_size 0
		.amdhsa_private_segment_fixed_size 0
		.amdhsa_kernarg_size 96
		.amdhsa_user_sgpr_count 15
		.amdhsa_user_sgpr_dispatch_ptr 0
		.amdhsa_user_sgpr_queue_ptr 0
		.amdhsa_user_sgpr_kernarg_segment_ptr 1
		.amdhsa_user_sgpr_dispatch_id 0
		.amdhsa_user_sgpr_private_segment_size 0
		.amdhsa_wavefront_size32 1
		.amdhsa_uses_dynamic_stack 0
		.amdhsa_enable_private_segment 0
		.amdhsa_system_sgpr_workgroup_id_x 1
		.amdhsa_system_sgpr_workgroup_id_y 0
		.amdhsa_system_sgpr_workgroup_id_z 0
		.amdhsa_system_sgpr_workgroup_info 0
		.amdhsa_system_vgpr_workitem_id 0
		.amdhsa_next_free_vgpr 1
		.amdhsa_next_free_sgpr 1
		.amdhsa_reserve_vcc 0
		.amdhsa_float_round_mode_32 0
		.amdhsa_float_round_mode_16_64 0
		.amdhsa_float_denorm_mode_32 3
		.amdhsa_float_denorm_mode_16_64 3
		.amdhsa_dx10_clamp 1
		.amdhsa_ieee_mode 1
		.amdhsa_fp16_overflow 0
		.amdhsa_workgroup_processor_mode 1
		.amdhsa_memory_ordered 1
		.amdhsa_forward_progress 0
		.amdhsa_shared_vgpr_count 0
		.amdhsa_exception_fp_ieee_invalid_op 0
		.amdhsa_exception_fp_denorm_src 0
		.amdhsa_exception_fp_ieee_div_zero 0
		.amdhsa_exception_fp_ieee_overflow 0
		.amdhsa_exception_fp_ieee_underflow 0
		.amdhsa_exception_fp_ieee_inexact 0
		.amdhsa_exception_int_div_zero 0
	.end_amdhsa_kernel
	.section	.text._ZN7rocprim17ROCPRIM_400000_NS6detail17trampoline_kernelINS0_14default_configENS1_20scan_config_selectorIfEEZZNS1_9scan_implILNS1_25lookback_scan_determinismE0ELb0ELb0ES3_PKfPffZZZN2at6native31launch_logcumsumexp_cuda_kernelERKNSB_10TensorBaseESF_lENKUlvE_clEvENKUlvE0_clEvEUlffE_fEEDaPvRmT3_T4_T5_mT6_P12ihipStream_tbENKUlT_T0_E_clISt17integral_constantIbLb0EESV_IbLb1EEEEDaSR_SS_EUlSR_E_NS1_11comp_targetILNS1_3genE2ELNS1_11target_archE906ELNS1_3gpuE6ELNS1_3repE0EEENS1_30default_config_static_selectorELNS0_4arch9wavefront6targetE0EEEvT1_,"axG",@progbits,_ZN7rocprim17ROCPRIM_400000_NS6detail17trampoline_kernelINS0_14default_configENS1_20scan_config_selectorIfEEZZNS1_9scan_implILNS1_25lookback_scan_determinismE0ELb0ELb0ES3_PKfPffZZZN2at6native31launch_logcumsumexp_cuda_kernelERKNSB_10TensorBaseESF_lENKUlvE_clEvENKUlvE0_clEvEUlffE_fEEDaPvRmT3_T4_T5_mT6_P12ihipStream_tbENKUlT_T0_E_clISt17integral_constantIbLb0EESV_IbLb1EEEEDaSR_SS_EUlSR_E_NS1_11comp_targetILNS1_3genE2ELNS1_11target_archE906ELNS1_3gpuE6ELNS1_3repE0EEENS1_30default_config_static_selectorELNS0_4arch9wavefront6targetE0EEEvT1_,comdat
.Lfunc_end161:
	.size	_ZN7rocprim17ROCPRIM_400000_NS6detail17trampoline_kernelINS0_14default_configENS1_20scan_config_selectorIfEEZZNS1_9scan_implILNS1_25lookback_scan_determinismE0ELb0ELb0ES3_PKfPffZZZN2at6native31launch_logcumsumexp_cuda_kernelERKNSB_10TensorBaseESF_lENKUlvE_clEvENKUlvE0_clEvEUlffE_fEEDaPvRmT3_T4_T5_mT6_P12ihipStream_tbENKUlT_T0_E_clISt17integral_constantIbLb0EESV_IbLb1EEEEDaSR_SS_EUlSR_E_NS1_11comp_targetILNS1_3genE2ELNS1_11target_archE906ELNS1_3gpuE6ELNS1_3repE0EEENS1_30default_config_static_selectorELNS0_4arch9wavefront6targetE0EEEvT1_, .Lfunc_end161-_ZN7rocprim17ROCPRIM_400000_NS6detail17trampoline_kernelINS0_14default_configENS1_20scan_config_selectorIfEEZZNS1_9scan_implILNS1_25lookback_scan_determinismE0ELb0ELb0ES3_PKfPffZZZN2at6native31launch_logcumsumexp_cuda_kernelERKNSB_10TensorBaseESF_lENKUlvE_clEvENKUlvE0_clEvEUlffE_fEEDaPvRmT3_T4_T5_mT6_P12ihipStream_tbENKUlT_T0_E_clISt17integral_constantIbLb0EESV_IbLb1EEEEDaSR_SS_EUlSR_E_NS1_11comp_targetILNS1_3genE2ELNS1_11target_archE906ELNS1_3gpuE6ELNS1_3repE0EEENS1_30default_config_static_selectorELNS0_4arch9wavefront6targetE0EEEvT1_
                                        ; -- End function
	.section	.AMDGPU.csdata,"",@progbits
; Kernel info:
; codeLenInByte = 0
; NumSgprs: 0
; NumVgprs: 0
; ScratchSize: 0
; MemoryBound: 0
; FloatMode: 240
; IeeeMode: 1
; LDSByteSize: 0 bytes/workgroup (compile time only)
; SGPRBlocks: 0
; VGPRBlocks: 0
; NumSGPRsForWavesPerEU: 1
; NumVGPRsForWavesPerEU: 1
; Occupancy: 16
; WaveLimiterHint : 0
; COMPUTE_PGM_RSRC2:SCRATCH_EN: 0
; COMPUTE_PGM_RSRC2:USER_SGPR: 15
; COMPUTE_PGM_RSRC2:TRAP_HANDLER: 0
; COMPUTE_PGM_RSRC2:TGID_X_EN: 1
; COMPUTE_PGM_RSRC2:TGID_Y_EN: 0
; COMPUTE_PGM_RSRC2:TGID_Z_EN: 0
; COMPUTE_PGM_RSRC2:TIDIG_COMP_CNT: 0
	.section	.text._ZN7rocprim17ROCPRIM_400000_NS6detail17trampoline_kernelINS0_14default_configENS1_20scan_config_selectorIfEEZZNS1_9scan_implILNS1_25lookback_scan_determinismE0ELb0ELb0ES3_PKfPffZZZN2at6native31launch_logcumsumexp_cuda_kernelERKNSB_10TensorBaseESF_lENKUlvE_clEvENKUlvE0_clEvEUlffE_fEEDaPvRmT3_T4_T5_mT6_P12ihipStream_tbENKUlT_T0_E_clISt17integral_constantIbLb0EESV_IbLb1EEEEDaSR_SS_EUlSR_E_NS1_11comp_targetILNS1_3genE10ELNS1_11target_archE1201ELNS1_3gpuE5ELNS1_3repE0EEENS1_30default_config_static_selectorELNS0_4arch9wavefront6targetE0EEEvT1_,"axG",@progbits,_ZN7rocprim17ROCPRIM_400000_NS6detail17trampoline_kernelINS0_14default_configENS1_20scan_config_selectorIfEEZZNS1_9scan_implILNS1_25lookback_scan_determinismE0ELb0ELb0ES3_PKfPffZZZN2at6native31launch_logcumsumexp_cuda_kernelERKNSB_10TensorBaseESF_lENKUlvE_clEvENKUlvE0_clEvEUlffE_fEEDaPvRmT3_T4_T5_mT6_P12ihipStream_tbENKUlT_T0_E_clISt17integral_constantIbLb0EESV_IbLb1EEEEDaSR_SS_EUlSR_E_NS1_11comp_targetILNS1_3genE10ELNS1_11target_archE1201ELNS1_3gpuE5ELNS1_3repE0EEENS1_30default_config_static_selectorELNS0_4arch9wavefront6targetE0EEEvT1_,comdat
	.globl	_ZN7rocprim17ROCPRIM_400000_NS6detail17trampoline_kernelINS0_14default_configENS1_20scan_config_selectorIfEEZZNS1_9scan_implILNS1_25lookback_scan_determinismE0ELb0ELb0ES3_PKfPffZZZN2at6native31launch_logcumsumexp_cuda_kernelERKNSB_10TensorBaseESF_lENKUlvE_clEvENKUlvE0_clEvEUlffE_fEEDaPvRmT3_T4_T5_mT6_P12ihipStream_tbENKUlT_T0_E_clISt17integral_constantIbLb0EESV_IbLb1EEEEDaSR_SS_EUlSR_E_NS1_11comp_targetILNS1_3genE10ELNS1_11target_archE1201ELNS1_3gpuE5ELNS1_3repE0EEENS1_30default_config_static_selectorELNS0_4arch9wavefront6targetE0EEEvT1_ ; -- Begin function _ZN7rocprim17ROCPRIM_400000_NS6detail17trampoline_kernelINS0_14default_configENS1_20scan_config_selectorIfEEZZNS1_9scan_implILNS1_25lookback_scan_determinismE0ELb0ELb0ES3_PKfPffZZZN2at6native31launch_logcumsumexp_cuda_kernelERKNSB_10TensorBaseESF_lENKUlvE_clEvENKUlvE0_clEvEUlffE_fEEDaPvRmT3_T4_T5_mT6_P12ihipStream_tbENKUlT_T0_E_clISt17integral_constantIbLb0EESV_IbLb1EEEEDaSR_SS_EUlSR_E_NS1_11comp_targetILNS1_3genE10ELNS1_11target_archE1201ELNS1_3gpuE5ELNS1_3repE0EEENS1_30default_config_static_selectorELNS0_4arch9wavefront6targetE0EEEvT1_
	.p2align	8
	.type	_ZN7rocprim17ROCPRIM_400000_NS6detail17trampoline_kernelINS0_14default_configENS1_20scan_config_selectorIfEEZZNS1_9scan_implILNS1_25lookback_scan_determinismE0ELb0ELb0ES3_PKfPffZZZN2at6native31launch_logcumsumexp_cuda_kernelERKNSB_10TensorBaseESF_lENKUlvE_clEvENKUlvE0_clEvEUlffE_fEEDaPvRmT3_T4_T5_mT6_P12ihipStream_tbENKUlT_T0_E_clISt17integral_constantIbLb0EESV_IbLb1EEEEDaSR_SS_EUlSR_E_NS1_11comp_targetILNS1_3genE10ELNS1_11target_archE1201ELNS1_3gpuE5ELNS1_3repE0EEENS1_30default_config_static_selectorELNS0_4arch9wavefront6targetE0EEEvT1_,@function
_ZN7rocprim17ROCPRIM_400000_NS6detail17trampoline_kernelINS0_14default_configENS1_20scan_config_selectorIfEEZZNS1_9scan_implILNS1_25lookback_scan_determinismE0ELb0ELb0ES3_PKfPffZZZN2at6native31launch_logcumsumexp_cuda_kernelERKNSB_10TensorBaseESF_lENKUlvE_clEvENKUlvE0_clEvEUlffE_fEEDaPvRmT3_T4_T5_mT6_P12ihipStream_tbENKUlT_T0_E_clISt17integral_constantIbLb0EESV_IbLb1EEEEDaSR_SS_EUlSR_E_NS1_11comp_targetILNS1_3genE10ELNS1_11target_archE1201ELNS1_3gpuE5ELNS1_3repE0EEENS1_30default_config_static_selectorELNS0_4arch9wavefront6targetE0EEEvT1_: ; @_ZN7rocprim17ROCPRIM_400000_NS6detail17trampoline_kernelINS0_14default_configENS1_20scan_config_selectorIfEEZZNS1_9scan_implILNS1_25lookback_scan_determinismE0ELb0ELb0ES3_PKfPffZZZN2at6native31launch_logcumsumexp_cuda_kernelERKNSB_10TensorBaseESF_lENKUlvE_clEvENKUlvE0_clEvEUlffE_fEEDaPvRmT3_T4_T5_mT6_P12ihipStream_tbENKUlT_T0_E_clISt17integral_constantIbLb0EESV_IbLb1EEEEDaSR_SS_EUlSR_E_NS1_11comp_targetILNS1_3genE10ELNS1_11target_archE1201ELNS1_3gpuE5ELNS1_3repE0EEENS1_30default_config_static_selectorELNS0_4arch9wavefront6targetE0EEEvT1_
; %bb.0:
	.section	.rodata,"a",@progbits
	.p2align	6, 0x0
	.amdhsa_kernel _ZN7rocprim17ROCPRIM_400000_NS6detail17trampoline_kernelINS0_14default_configENS1_20scan_config_selectorIfEEZZNS1_9scan_implILNS1_25lookback_scan_determinismE0ELb0ELb0ES3_PKfPffZZZN2at6native31launch_logcumsumexp_cuda_kernelERKNSB_10TensorBaseESF_lENKUlvE_clEvENKUlvE0_clEvEUlffE_fEEDaPvRmT3_T4_T5_mT6_P12ihipStream_tbENKUlT_T0_E_clISt17integral_constantIbLb0EESV_IbLb1EEEEDaSR_SS_EUlSR_E_NS1_11comp_targetILNS1_3genE10ELNS1_11target_archE1201ELNS1_3gpuE5ELNS1_3repE0EEENS1_30default_config_static_selectorELNS0_4arch9wavefront6targetE0EEEvT1_
		.amdhsa_group_segment_fixed_size 0
		.amdhsa_private_segment_fixed_size 0
		.amdhsa_kernarg_size 96
		.amdhsa_user_sgpr_count 15
		.amdhsa_user_sgpr_dispatch_ptr 0
		.amdhsa_user_sgpr_queue_ptr 0
		.amdhsa_user_sgpr_kernarg_segment_ptr 1
		.amdhsa_user_sgpr_dispatch_id 0
		.amdhsa_user_sgpr_private_segment_size 0
		.amdhsa_wavefront_size32 1
		.amdhsa_uses_dynamic_stack 0
		.amdhsa_enable_private_segment 0
		.amdhsa_system_sgpr_workgroup_id_x 1
		.amdhsa_system_sgpr_workgroup_id_y 0
		.amdhsa_system_sgpr_workgroup_id_z 0
		.amdhsa_system_sgpr_workgroup_info 0
		.amdhsa_system_vgpr_workitem_id 0
		.amdhsa_next_free_vgpr 1
		.amdhsa_next_free_sgpr 1
		.amdhsa_reserve_vcc 0
		.amdhsa_float_round_mode_32 0
		.amdhsa_float_round_mode_16_64 0
		.amdhsa_float_denorm_mode_32 3
		.amdhsa_float_denorm_mode_16_64 3
		.amdhsa_dx10_clamp 1
		.amdhsa_ieee_mode 1
		.amdhsa_fp16_overflow 0
		.amdhsa_workgroup_processor_mode 1
		.amdhsa_memory_ordered 1
		.amdhsa_forward_progress 0
		.amdhsa_shared_vgpr_count 0
		.amdhsa_exception_fp_ieee_invalid_op 0
		.amdhsa_exception_fp_denorm_src 0
		.amdhsa_exception_fp_ieee_div_zero 0
		.amdhsa_exception_fp_ieee_overflow 0
		.amdhsa_exception_fp_ieee_underflow 0
		.amdhsa_exception_fp_ieee_inexact 0
		.amdhsa_exception_int_div_zero 0
	.end_amdhsa_kernel
	.section	.text._ZN7rocprim17ROCPRIM_400000_NS6detail17trampoline_kernelINS0_14default_configENS1_20scan_config_selectorIfEEZZNS1_9scan_implILNS1_25lookback_scan_determinismE0ELb0ELb0ES3_PKfPffZZZN2at6native31launch_logcumsumexp_cuda_kernelERKNSB_10TensorBaseESF_lENKUlvE_clEvENKUlvE0_clEvEUlffE_fEEDaPvRmT3_T4_T5_mT6_P12ihipStream_tbENKUlT_T0_E_clISt17integral_constantIbLb0EESV_IbLb1EEEEDaSR_SS_EUlSR_E_NS1_11comp_targetILNS1_3genE10ELNS1_11target_archE1201ELNS1_3gpuE5ELNS1_3repE0EEENS1_30default_config_static_selectorELNS0_4arch9wavefront6targetE0EEEvT1_,"axG",@progbits,_ZN7rocprim17ROCPRIM_400000_NS6detail17trampoline_kernelINS0_14default_configENS1_20scan_config_selectorIfEEZZNS1_9scan_implILNS1_25lookback_scan_determinismE0ELb0ELb0ES3_PKfPffZZZN2at6native31launch_logcumsumexp_cuda_kernelERKNSB_10TensorBaseESF_lENKUlvE_clEvENKUlvE0_clEvEUlffE_fEEDaPvRmT3_T4_T5_mT6_P12ihipStream_tbENKUlT_T0_E_clISt17integral_constantIbLb0EESV_IbLb1EEEEDaSR_SS_EUlSR_E_NS1_11comp_targetILNS1_3genE10ELNS1_11target_archE1201ELNS1_3gpuE5ELNS1_3repE0EEENS1_30default_config_static_selectorELNS0_4arch9wavefront6targetE0EEEvT1_,comdat
.Lfunc_end162:
	.size	_ZN7rocprim17ROCPRIM_400000_NS6detail17trampoline_kernelINS0_14default_configENS1_20scan_config_selectorIfEEZZNS1_9scan_implILNS1_25lookback_scan_determinismE0ELb0ELb0ES3_PKfPffZZZN2at6native31launch_logcumsumexp_cuda_kernelERKNSB_10TensorBaseESF_lENKUlvE_clEvENKUlvE0_clEvEUlffE_fEEDaPvRmT3_T4_T5_mT6_P12ihipStream_tbENKUlT_T0_E_clISt17integral_constantIbLb0EESV_IbLb1EEEEDaSR_SS_EUlSR_E_NS1_11comp_targetILNS1_3genE10ELNS1_11target_archE1201ELNS1_3gpuE5ELNS1_3repE0EEENS1_30default_config_static_selectorELNS0_4arch9wavefront6targetE0EEEvT1_, .Lfunc_end162-_ZN7rocprim17ROCPRIM_400000_NS6detail17trampoline_kernelINS0_14default_configENS1_20scan_config_selectorIfEEZZNS1_9scan_implILNS1_25lookback_scan_determinismE0ELb0ELb0ES3_PKfPffZZZN2at6native31launch_logcumsumexp_cuda_kernelERKNSB_10TensorBaseESF_lENKUlvE_clEvENKUlvE0_clEvEUlffE_fEEDaPvRmT3_T4_T5_mT6_P12ihipStream_tbENKUlT_T0_E_clISt17integral_constantIbLb0EESV_IbLb1EEEEDaSR_SS_EUlSR_E_NS1_11comp_targetILNS1_3genE10ELNS1_11target_archE1201ELNS1_3gpuE5ELNS1_3repE0EEENS1_30default_config_static_selectorELNS0_4arch9wavefront6targetE0EEEvT1_
                                        ; -- End function
	.section	.AMDGPU.csdata,"",@progbits
; Kernel info:
; codeLenInByte = 0
; NumSgprs: 0
; NumVgprs: 0
; ScratchSize: 0
; MemoryBound: 0
; FloatMode: 240
; IeeeMode: 1
; LDSByteSize: 0 bytes/workgroup (compile time only)
; SGPRBlocks: 0
; VGPRBlocks: 0
; NumSGPRsForWavesPerEU: 1
; NumVGPRsForWavesPerEU: 1
; Occupancy: 16
; WaveLimiterHint : 0
; COMPUTE_PGM_RSRC2:SCRATCH_EN: 0
; COMPUTE_PGM_RSRC2:USER_SGPR: 15
; COMPUTE_PGM_RSRC2:TRAP_HANDLER: 0
; COMPUTE_PGM_RSRC2:TGID_X_EN: 1
; COMPUTE_PGM_RSRC2:TGID_Y_EN: 0
; COMPUTE_PGM_RSRC2:TGID_Z_EN: 0
; COMPUTE_PGM_RSRC2:TIDIG_COMP_CNT: 0
	.section	.text._ZN7rocprim17ROCPRIM_400000_NS6detail17trampoline_kernelINS0_14default_configENS1_20scan_config_selectorIfEEZZNS1_9scan_implILNS1_25lookback_scan_determinismE0ELb0ELb0ES3_PKfPffZZZN2at6native31launch_logcumsumexp_cuda_kernelERKNSB_10TensorBaseESF_lENKUlvE_clEvENKUlvE0_clEvEUlffE_fEEDaPvRmT3_T4_T5_mT6_P12ihipStream_tbENKUlT_T0_E_clISt17integral_constantIbLb0EESV_IbLb1EEEEDaSR_SS_EUlSR_E_NS1_11comp_targetILNS1_3genE10ELNS1_11target_archE1200ELNS1_3gpuE4ELNS1_3repE0EEENS1_30default_config_static_selectorELNS0_4arch9wavefront6targetE0EEEvT1_,"axG",@progbits,_ZN7rocprim17ROCPRIM_400000_NS6detail17trampoline_kernelINS0_14default_configENS1_20scan_config_selectorIfEEZZNS1_9scan_implILNS1_25lookback_scan_determinismE0ELb0ELb0ES3_PKfPffZZZN2at6native31launch_logcumsumexp_cuda_kernelERKNSB_10TensorBaseESF_lENKUlvE_clEvENKUlvE0_clEvEUlffE_fEEDaPvRmT3_T4_T5_mT6_P12ihipStream_tbENKUlT_T0_E_clISt17integral_constantIbLb0EESV_IbLb1EEEEDaSR_SS_EUlSR_E_NS1_11comp_targetILNS1_3genE10ELNS1_11target_archE1200ELNS1_3gpuE4ELNS1_3repE0EEENS1_30default_config_static_selectorELNS0_4arch9wavefront6targetE0EEEvT1_,comdat
	.globl	_ZN7rocprim17ROCPRIM_400000_NS6detail17trampoline_kernelINS0_14default_configENS1_20scan_config_selectorIfEEZZNS1_9scan_implILNS1_25lookback_scan_determinismE0ELb0ELb0ES3_PKfPffZZZN2at6native31launch_logcumsumexp_cuda_kernelERKNSB_10TensorBaseESF_lENKUlvE_clEvENKUlvE0_clEvEUlffE_fEEDaPvRmT3_T4_T5_mT6_P12ihipStream_tbENKUlT_T0_E_clISt17integral_constantIbLb0EESV_IbLb1EEEEDaSR_SS_EUlSR_E_NS1_11comp_targetILNS1_3genE10ELNS1_11target_archE1200ELNS1_3gpuE4ELNS1_3repE0EEENS1_30default_config_static_selectorELNS0_4arch9wavefront6targetE0EEEvT1_ ; -- Begin function _ZN7rocprim17ROCPRIM_400000_NS6detail17trampoline_kernelINS0_14default_configENS1_20scan_config_selectorIfEEZZNS1_9scan_implILNS1_25lookback_scan_determinismE0ELb0ELb0ES3_PKfPffZZZN2at6native31launch_logcumsumexp_cuda_kernelERKNSB_10TensorBaseESF_lENKUlvE_clEvENKUlvE0_clEvEUlffE_fEEDaPvRmT3_T4_T5_mT6_P12ihipStream_tbENKUlT_T0_E_clISt17integral_constantIbLb0EESV_IbLb1EEEEDaSR_SS_EUlSR_E_NS1_11comp_targetILNS1_3genE10ELNS1_11target_archE1200ELNS1_3gpuE4ELNS1_3repE0EEENS1_30default_config_static_selectorELNS0_4arch9wavefront6targetE0EEEvT1_
	.p2align	8
	.type	_ZN7rocprim17ROCPRIM_400000_NS6detail17trampoline_kernelINS0_14default_configENS1_20scan_config_selectorIfEEZZNS1_9scan_implILNS1_25lookback_scan_determinismE0ELb0ELb0ES3_PKfPffZZZN2at6native31launch_logcumsumexp_cuda_kernelERKNSB_10TensorBaseESF_lENKUlvE_clEvENKUlvE0_clEvEUlffE_fEEDaPvRmT3_T4_T5_mT6_P12ihipStream_tbENKUlT_T0_E_clISt17integral_constantIbLb0EESV_IbLb1EEEEDaSR_SS_EUlSR_E_NS1_11comp_targetILNS1_3genE10ELNS1_11target_archE1200ELNS1_3gpuE4ELNS1_3repE0EEENS1_30default_config_static_selectorELNS0_4arch9wavefront6targetE0EEEvT1_,@function
_ZN7rocprim17ROCPRIM_400000_NS6detail17trampoline_kernelINS0_14default_configENS1_20scan_config_selectorIfEEZZNS1_9scan_implILNS1_25lookback_scan_determinismE0ELb0ELb0ES3_PKfPffZZZN2at6native31launch_logcumsumexp_cuda_kernelERKNSB_10TensorBaseESF_lENKUlvE_clEvENKUlvE0_clEvEUlffE_fEEDaPvRmT3_T4_T5_mT6_P12ihipStream_tbENKUlT_T0_E_clISt17integral_constantIbLb0EESV_IbLb1EEEEDaSR_SS_EUlSR_E_NS1_11comp_targetILNS1_3genE10ELNS1_11target_archE1200ELNS1_3gpuE4ELNS1_3repE0EEENS1_30default_config_static_selectorELNS0_4arch9wavefront6targetE0EEEvT1_: ; @_ZN7rocprim17ROCPRIM_400000_NS6detail17trampoline_kernelINS0_14default_configENS1_20scan_config_selectorIfEEZZNS1_9scan_implILNS1_25lookback_scan_determinismE0ELb0ELb0ES3_PKfPffZZZN2at6native31launch_logcumsumexp_cuda_kernelERKNSB_10TensorBaseESF_lENKUlvE_clEvENKUlvE0_clEvEUlffE_fEEDaPvRmT3_T4_T5_mT6_P12ihipStream_tbENKUlT_T0_E_clISt17integral_constantIbLb0EESV_IbLb1EEEEDaSR_SS_EUlSR_E_NS1_11comp_targetILNS1_3genE10ELNS1_11target_archE1200ELNS1_3gpuE4ELNS1_3repE0EEENS1_30default_config_static_selectorELNS0_4arch9wavefront6targetE0EEEvT1_
; %bb.0:
	.section	.rodata,"a",@progbits
	.p2align	6, 0x0
	.amdhsa_kernel _ZN7rocprim17ROCPRIM_400000_NS6detail17trampoline_kernelINS0_14default_configENS1_20scan_config_selectorIfEEZZNS1_9scan_implILNS1_25lookback_scan_determinismE0ELb0ELb0ES3_PKfPffZZZN2at6native31launch_logcumsumexp_cuda_kernelERKNSB_10TensorBaseESF_lENKUlvE_clEvENKUlvE0_clEvEUlffE_fEEDaPvRmT3_T4_T5_mT6_P12ihipStream_tbENKUlT_T0_E_clISt17integral_constantIbLb0EESV_IbLb1EEEEDaSR_SS_EUlSR_E_NS1_11comp_targetILNS1_3genE10ELNS1_11target_archE1200ELNS1_3gpuE4ELNS1_3repE0EEENS1_30default_config_static_selectorELNS0_4arch9wavefront6targetE0EEEvT1_
		.amdhsa_group_segment_fixed_size 0
		.amdhsa_private_segment_fixed_size 0
		.amdhsa_kernarg_size 96
		.amdhsa_user_sgpr_count 15
		.amdhsa_user_sgpr_dispatch_ptr 0
		.amdhsa_user_sgpr_queue_ptr 0
		.amdhsa_user_sgpr_kernarg_segment_ptr 1
		.amdhsa_user_sgpr_dispatch_id 0
		.amdhsa_user_sgpr_private_segment_size 0
		.amdhsa_wavefront_size32 1
		.amdhsa_uses_dynamic_stack 0
		.amdhsa_enable_private_segment 0
		.amdhsa_system_sgpr_workgroup_id_x 1
		.amdhsa_system_sgpr_workgroup_id_y 0
		.amdhsa_system_sgpr_workgroup_id_z 0
		.amdhsa_system_sgpr_workgroup_info 0
		.amdhsa_system_vgpr_workitem_id 0
		.amdhsa_next_free_vgpr 1
		.amdhsa_next_free_sgpr 1
		.amdhsa_reserve_vcc 0
		.amdhsa_float_round_mode_32 0
		.amdhsa_float_round_mode_16_64 0
		.amdhsa_float_denorm_mode_32 3
		.amdhsa_float_denorm_mode_16_64 3
		.amdhsa_dx10_clamp 1
		.amdhsa_ieee_mode 1
		.amdhsa_fp16_overflow 0
		.amdhsa_workgroup_processor_mode 1
		.amdhsa_memory_ordered 1
		.amdhsa_forward_progress 0
		.amdhsa_shared_vgpr_count 0
		.amdhsa_exception_fp_ieee_invalid_op 0
		.amdhsa_exception_fp_denorm_src 0
		.amdhsa_exception_fp_ieee_div_zero 0
		.amdhsa_exception_fp_ieee_overflow 0
		.amdhsa_exception_fp_ieee_underflow 0
		.amdhsa_exception_fp_ieee_inexact 0
		.amdhsa_exception_int_div_zero 0
	.end_amdhsa_kernel
	.section	.text._ZN7rocprim17ROCPRIM_400000_NS6detail17trampoline_kernelINS0_14default_configENS1_20scan_config_selectorIfEEZZNS1_9scan_implILNS1_25lookback_scan_determinismE0ELb0ELb0ES3_PKfPffZZZN2at6native31launch_logcumsumexp_cuda_kernelERKNSB_10TensorBaseESF_lENKUlvE_clEvENKUlvE0_clEvEUlffE_fEEDaPvRmT3_T4_T5_mT6_P12ihipStream_tbENKUlT_T0_E_clISt17integral_constantIbLb0EESV_IbLb1EEEEDaSR_SS_EUlSR_E_NS1_11comp_targetILNS1_3genE10ELNS1_11target_archE1200ELNS1_3gpuE4ELNS1_3repE0EEENS1_30default_config_static_selectorELNS0_4arch9wavefront6targetE0EEEvT1_,"axG",@progbits,_ZN7rocprim17ROCPRIM_400000_NS6detail17trampoline_kernelINS0_14default_configENS1_20scan_config_selectorIfEEZZNS1_9scan_implILNS1_25lookback_scan_determinismE0ELb0ELb0ES3_PKfPffZZZN2at6native31launch_logcumsumexp_cuda_kernelERKNSB_10TensorBaseESF_lENKUlvE_clEvENKUlvE0_clEvEUlffE_fEEDaPvRmT3_T4_T5_mT6_P12ihipStream_tbENKUlT_T0_E_clISt17integral_constantIbLb0EESV_IbLb1EEEEDaSR_SS_EUlSR_E_NS1_11comp_targetILNS1_3genE10ELNS1_11target_archE1200ELNS1_3gpuE4ELNS1_3repE0EEENS1_30default_config_static_selectorELNS0_4arch9wavefront6targetE0EEEvT1_,comdat
.Lfunc_end163:
	.size	_ZN7rocprim17ROCPRIM_400000_NS6detail17trampoline_kernelINS0_14default_configENS1_20scan_config_selectorIfEEZZNS1_9scan_implILNS1_25lookback_scan_determinismE0ELb0ELb0ES3_PKfPffZZZN2at6native31launch_logcumsumexp_cuda_kernelERKNSB_10TensorBaseESF_lENKUlvE_clEvENKUlvE0_clEvEUlffE_fEEDaPvRmT3_T4_T5_mT6_P12ihipStream_tbENKUlT_T0_E_clISt17integral_constantIbLb0EESV_IbLb1EEEEDaSR_SS_EUlSR_E_NS1_11comp_targetILNS1_3genE10ELNS1_11target_archE1200ELNS1_3gpuE4ELNS1_3repE0EEENS1_30default_config_static_selectorELNS0_4arch9wavefront6targetE0EEEvT1_, .Lfunc_end163-_ZN7rocprim17ROCPRIM_400000_NS6detail17trampoline_kernelINS0_14default_configENS1_20scan_config_selectorIfEEZZNS1_9scan_implILNS1_25lookback_scan_determinismE0ELb0ELb0ES3_PKfPffZZZN2at6native31launch_logcumsumexp_cuda_kernelERKNSB_10TensorBaseESF_lENKUlvE_clEvENKUlvE0_clEvEUlffE_fEEDaPvRmT3_T4_T5_mT6_P12ihipStream_tbENKUlT_T0_E_clISt17integral_constantIbLb0EESV_IbLb1EEEEDaSR_SS_EUlSR_E_NS1_11comp_targetILNS1_3genE10ELNS1_11target_archE1200ELNS1_3gpuE4ELNS1_3repE0EEENS1_30default_config_static_selectorELNS0_4arch9wavefront6targetE0EEEvT1_
                                        ; -- End function
	.section	.AMDGPU.csdata,"",@progbits
; Kernel info:
; codeLenInByte = 0
; NumSgprs: 0
; NumVgprs: 0
; ScratchSize: 0
; MemoryBound: 0
; FloatMode: 240
; IeeeMode: 1
; LDSByteSize: 0 bytes/workgroup (compile time only)
; SGPRBlocks: 0
; VGPRBlocks: 0
; NumSGPRsForWavesPerEU: 1
; NumVGPRsForWavesPerEU: 1
; Occupancy: 16
; WaveLimiterHint : 0
; COMPUTE_PGM_RSRC2:SCRATCH_EN: 0
; COMPUTE_PGM_RSRC2:USER_SGPR: 15
; COMPUTE_PGM_RSRC2:TRAP_HANDLER: 0
; COMPUTE_PGM_RSRC2:TGID_X_EN: 1
; COMPUTE_PGM_RSRC2:TGID_Y_EN: 0
; COMPUTE_PGM_RSRC2:TGID_Z_EN: 0
; COMPUTE_PGM_RSRC2:TIDIG_COMP_CNT: 0
	.section	.text._ZN7rocprim17ROCPRIM_400000_NS6detail17trampoline_kernelINS0_14default_configENS1_20scan_config_selectorIfEEZZNS1_9scan_implILNS1_25lookback_scan_determinismE0ELb0ELb0ES3_PKfPffZZZN2at6native31launch_logcumsumexp_cuda_kernelERKNSB_10TensorBaseESF_lENKUlvE_clEvENKUlvE0_clEvEUlffE_fEEDaPvRmT3_T4_T5_mT6_P12ihipStream_tbENKUlT_T0_E_clISt17integral_constantIbLb0EESV_IbLb1EEEEDaSR_SS_EUlSR_E_NS1_11comp_targetILNS1_3genE9ELNS1_11target_archE1100ELNS1_3gpuE3ELNS1_3repE0EEENS1_30default_config_static_selectorELNS0_4arch9wavefront6targetE0EEEvT1_,"axG",@progbits,_ZN7rocprim17ROCPRIM_400000_NS6detail17trampoline_kernelINS0_14default_configENS1_20scan_config_selectorIfEEZZNS1_9scan_implILNS1_25lookback_scan_determinismE0ELb0ELb0ES3_PKfPffZZZN2at6native31launch_logcumsumexp_cuda_kernelERKNSB_10TensorBaseESF_lENKUlvE_clEvENKUlvE0_clEvEUlffE_fEEDaPvRmT3_T4_T5_mT6_P12ihipStream_tbENKUlT_T0_E_clISt17integral_constantIbLb0EESV_IbLb1EEEEDaSR_SS_EUlSR_E_NS1_11comp_targetILNS1_3genE9ELNS1_11target_archE1100ELNS1_3gpuE3ELNS1_3repE0EEENS1_30default_config_static_selectorELNS0_4arch9wavefront6targetE0EEEvT1_,comdat
	.globl	_ZN7rocprim17ROCPRIM_400000_NS6detail17trampoline_kernelINS0_14default_configENS1_20scan_config_selectorIfEEZZNS1_9scan_implILNS1_25lookback_scan_determinismE0ELb0ELb0ES3_PKfPffZZZN2at6native31launch_logcumsumexp_cuda_kernelERKNSB_10TensorBaseESF_lENKUlvE_clEvENKUlvE0_clEvEUlffE_fEEDaPvRmT3_T4_T5_mT6_P12ihipStream_tbENKUlT_T0_E_clISt17integral_constantIbLb0EESV_IbLb1EEEEDaSR_SS_EUlSR_E_NS1_11comp_targetILNS1_3genE9ELNS1_11target_archE1100ELNS1_3gpuE3ELNS1_3repE0EEENS1_30default_config_static_selectorELNS0_4arch9wavefront6targetE0EEEvT1_ ; -- Begin function _ZN7rocprim17ROCPRIM_400000_NS6detail17trampoline_kernelINS0_14default_configENS1_20scan_config_selectorIfEEZZNS1_9scan_implILNS1_25lookback_scan_determinismE0ELb0ELb0ES3_PKfPffZZZN2at6native31launch_logcumsumexp_cuda_kernelERKNSB_10TensorBaseESF_lENKUlvE_clEvENKUlvE0_clEvEUlffE_fEEDaPvRmT3_T4_T5_mT6_P12ihipStream_tbENKUlT_T0_E_clISt17integral_constantIbLb0EESV_IbLb1EEEEDaSR_SS_EUlSR_E_NS1_11comp_targetILNS1_3genE9ELNS1_11target_archE1100ELNS1_3gpuE3ELNS1_3repE0EEENS1_30default_config_static_selectorELNS0_4arch9wavefront6targetE0EEEvT1_
	.p2align	8
	.type	_ZN7rocprim17ROCPRIM_400000_NS6detail17trampoline_kernelINS0_14default_configENS1_20scan_config_selectorIfEEZZNS1_9scan_implILNS1_25lookback_scan_determinismE0ELb0ELb0ES3_PKfPffZZZN2at6native31launch_logcumsumexp_cuda_kernelERKNSB_10TensorBaseESF_lENKUlvE_clEvENKUlvE0_clEvEUlffE_fEEDaPvRmT3_T4_T5_mT6_P12ihipStream_tbENKUlT_T0_E_clISt17integral_constantIbLb0EESV_IbLb1EEEEDaSR_SS_EUlSR_E_NS1_11comp_targetILNS1_3genE9ELNS1_11target_archE1100ELNS1_3gpuE3ELNS1_3repE0EEENS1_30default_config_static_selectorELNS0_4arch9wavefront6targetE0EEEvT1_,@function
_ZN7rocprim17ROCPRIM_400000_NS6detail17trampoline_kernelINS0_14default_configENS1_20scan_config_selectorIfEEZZNS1_9scan_implILNS1_25lookback_scan_determinismE0ELb0ELb0ES3_PKfPffZZZN2at6native31launch_logcumsumexp_cuda_kernelERKNSB_10TensorBaseESF_lENKUlvE_clEvENKUlvE0_clEvEUlffE_fEEDaPvRmT3_T4_T5_mT6_P12ihipStream_tbENKUlT_T0_E_clISt17integral_constantIbLb0EESV_IbLb1EEEEDaSR_SS_EUlSR_E_NS1_11comp_targetILNS1_3genE9ELNS1_11target_archE1100ELNS1_3gpuE3ELNS1_3repE0EEENS1_30default_config_static_selectorELNS0_4arch9wavefront6targetE0EEEvT1_: ; @_ZN7rocprim17ROCPRIM_400000_NS6detail17trampoline_kernelINS0_14default_configENS1_20scan_config_selectorIfEEZZNS1_9scan_implILNS1_25lookback_scan_determinismE0ELb0ELb0ES3_PKfPffZZZN2at6native31launch_logcumsumexp_cuda_kernelERKNSB_10TensorBaseESF_lENKUlvE_clEvENKUlvE0_clEvEUlffE_fEEDaPvRmT3_T4_T5_mT6_P12ihipStream_tbENKUlT_T0_E_clISt17integral_constantIbLb0EESV_IbLb1EEEEDaSR_SS_EUlSR_E_NS1_11comp_targetILNS1_3genE9ELNS1_11target_archE1100ELNS1_3gpuE3ELNS1_3repE0EEENS1_30default_config_static_selectorELNS0_4arch9wavefront6targetE0EEEvT1_
; %bb.0:
	s_load_b64 s[10:11], s[0:1], 0x28
	v_cmp_ne_u32_e64 s2, 0, v0
	v_cmp_eq_u32_e64 s3, 0, v0
	s_delay_alu instid0(VALU_DEP_1)
	s_and_saveexec_b32 s4, s3
	s_cbranch_execz .LBB164_4
; %bb.1:
	s_mov_b32 s6, exec_lo
	s_mov_b32 s5, exec_lo
	v_mbcnt_lo_u32_b32 v1, s6, 0
                                        ; implicit-def: $vgpr2
	s_delay_alu instid0(VALU_DEP_1)
	v_cmpx_eq_u32_e32 0, v1
	s_cbranch_execz .LBB164_3
; %bb.2:
	s_load_b64 s[8:9], s[0:1], 0x58
	s_bcnt1_i32_b32 s6, s6
	s_delay_alu instid0(SALU_CYCLE_1)
	v_dual_mov_b32 v2, 0 :: v_dual_mov_b32 v3, s6
	s_waitcnt lgkmcnt(0)
	global_atomic_add_u32 v2, v2, v3, s[8:9] glc
.LBB164_3:
	s_or_b32 exec_lo, exec_lo, s5
	s_waitcnt vmcnt(0)
	v_readfirstlane_b32 s5, v2
	s_delay_alu instid0(VALU_DEP_1)
	v_dual_mov_b32 v2, 0 :: v_dual_add_nc_u32 v1, s5, v1
	ds_store_b32 v2, v1
.LBB164_4:
	s_or_b32 exec_lo, exec_lo, s4
	v_dual_mov_b32 v1, 0 :: v_dual_lshlrev_b32 v16, 2, v0
	s_clause 0x2
	s_load_b256 s[20:27], s[0:1], 0x0
	s_load_b32 s4, s[0:1], 0x30
	s_load_b256 s[12:19], s[0:1], 0x38
	s_waitcnt lgkmcnt(0)
	s_barrier
	buffer_gl0_inv
	ds_load_b32 v1, v1
	s_mov_b32 s5, 0
	v_lshrrev_b32_e32 v17, 3, v0
	v_or_b32_e32 v15, 0x100, v0
	v_or_b32_e32 v13, 0x200, v0
	;; [unrolled: 1-line block ×3, first 2 shown]
	s_waitcnt lgkmcnt(0)
	s_barrier
	buffer_gl0_inv
	s_lshl_b64 s[22:23], s[22:23], 2
	s_delay_alu instid0(SALU_CYCLE_1)
	s_add_u32 s1, s20, s22
	s_addc_u32 s6, s21, s23
	s_add_i32 s4, s4, -1
	v_readfirstlane_b32 s28, v1
	s_lshl_b32 s7, s4, 10
	v_cmp_ne_u32_e64 s0, s4, v1
	s_delay_alu instid0(VALU_DEP_2) | instskip(SKIP_3) | instid1(SALU_CYCLE_1)
	s_lshl_b32 s4, s28, 10
	s_sub_u32 s26, s26, s7
	s_subb_u32 s27, s27, 0
	s_lshl_b64 s[20:21], s[4:5], 2
	s_add_u32 s4, s1, s20
	s_addc_u32 s5, s6, s21
	s_and_b32 vcc_lo, exec_lo, s0
	s_mov_b32 s6, -1
	s_cbranch_vccz .LBB164_6
; %bb.5:
	s_clause 0x3
	global_load_b32 v1, v16, s[4:5]
	global_load_b32 v2, v16, s[4:5] offset:1024
	global_load_b32 v3, v16, s[4:5] offset:2048
	;; [unrolled: 1-line block ×3, first 2 shown]
	v_lshrrev_b32_e32 v5, 3, v15
	v_lshrrev_b32_e32 v6, 3, v13
	;; [unrolled: 1-line block ×3, first 2 shown]
	v_and_b32_e32 v8, 28, v17
	s_mov_b32 s6, 0
	v_and_b32_e32 v5, 60, v5
	v_and_b32_e32 v6, 0x5c, v6
	;; [unrolled: 1-line block ×3, first 2 shown]
	v_add_nc_u32_e32 v8, v8, v16
	s_delay_alu instid0(VALU_DEP_4) | instskip(NEXT) | instid1(VALU_DEP_4)
	v_add_nc_u32_e32 v5, v5, v16
	v_add_nc_u32_e32 v6, v6, v16
	s_delay_alu instid0(VALU_DEP_4)
	v_add_nc_u32_e32 v7, v7, v16
	s_waitcnt vmcnt(3)
	ds_store_b32 v8, v1
	s_waitcnt vmcnt(2)
	ds_store_b32 v5, v2 offset:1024
	s_waitcnt vmcnt(1)
	ds_store_b32 v6, v3 offset:2048
	;; [unrolled: 2-line block ×3, first 2 shown]
	s_waitcnt lgkmcnt(0)
	s_barrier
.LBB164_6:
	v_cmp_gt_u32_e64 s1, s26, v0
	s_and_not1_b32 vcc_lo, exec_lo, s6
	s_cbranch_vccnz .LBB164_13
; %bb.7:
	v_mov_b32_e32 v1, 0
	global_load_b32 v1, v1, s[4:5]
	s_waitcnt vmcnt(0)
	v_mov_b32_e32 v3, v1
	v_mov_b32_e32 v2, v1
	;; [unrolled: 1-line block ×3, first 2 shown]
	s_and_saveexec_b32 s6, s1
	s_cbranch_execnz .LBB164_237
; %bb.8:
	s_or_b32 exec_lo, exec_lo, s6
	s_delay_alu instid0(SALU_CYCLE_1)
	s_mov_b32 s1, exec_lo
	v_cmpx_gt_u32_e64 s26, v15
	s_cbranch_execnz .LBB164_238
.LBB164_9:
	s_or_b32 exec_lo, exec_lo, s1
	s_delay_alu instid0(SALU_CYCLE_1)
	s_mov_b32 s1, exec_lo
	v_cmpx_gt_u32_e64 s26, v13
	s_cbranch_execnz .LBB164_239
.LBB164_10:
	s_or_b32 exec_lo, exec_lo, s1
	s_delay_alu instid0(SALU_CYCLE_1)
	s_mov_b32 s1, exec_lo
	v_cmpx_gt_u32_e64 s26, v14
	s_cbranch_execz .LBB164_12
.LBB164_11:
	global_load_b32 v2, v16, s[4:5] offset:3072
.LBB164_12:
	s_or_b32 exec_lo, exec_lo, s1
	v_lshrrev_b32_e32 v5, 3, v15
	v_lshrrev_b32_e32 v6, 3, v13
	v_lshrrev_b32_e32 v7, 3, v14
	v_and_b32_e32 v8, 28, v17
	s_delay_alu instid0(VALU_DEP_4) | instskip(NEXT) | instid1(VALU_DEP_4)
	v_and_b32_e32 v5, 60, v5
	v_and_b32_e32 v6, 0x7c, v6
	s_delay_alu instid0(VALU_DEP_4) | instskip(NEXT) | instid1(VALU_DEP_4)
	v_and_b32_e32 v7, 0x7c, v7
	v_add_nc_u32_e32 v8, v8, v16
	s_delay_alu instid0(VALU_DEP_4) | instskip(NEXT) | instid1(VALU_DEP_4)
	v_add_nc_u32_e32 v5, v5, v16
	v_add_nc_u32_e32 v6, v6, v16
	s_delay_alu instid0(VALU_DEP_4)
	v_add_nc_u32_e32 v7, v7, v16
	s_waitcnt vmcnt(0)
	ds_store_b32 v8, v4
	ds_store_b32 v5, v1 offset:1024
	ds_store_b32 v6, v3 offset:2048
	;; [unrolled: 1-line block ×3, first 2 shown]
	s_waitcnt lgkmcnt(0)
	s_barrier
.LBB164_13:
	v_add_lshl_u32 v3, v17, v16, 2
	buffer_gl0_inv
	s_cmp_lg_u32 s28, 0
	ds_load_2addr_b32 v[1:2], v3 offset1:1
	ds_load_2addr_b32 v[7:8], v3 offset0:2 offset1:3
	s_waitcnt lgkmcnt(0)
	s_barrier
	buffer_gl0_inv
	v_cmp_u_f32_e64 s1, v2, v2
	v_max_f32_e32 v18, v2, v2
	s_cbranch_scc0 .LBB164_150
; %bb.14:
	v_max_f32_e32 v21, v1, v1
	v_cmp_u_f32_e64 s6, v1, v1
	v_mov_b32_e32 v22, v1
	s_delay_alu instid0(VALU_DEP_3) | instskip(SKIP_1) | instid1(VALU_DEP_2)
	v_min_f32_e32 v3, v21, v18
	v_max_f32_e32 v4, v21, v18
	v_cndmask_b32_e64 v3, v3, v1, s6
	s_delay_alu instid0(VALU_DEP_2) | instskip(NEXT) | instid1(VALU_DEP_2)
	v_cndmask_b32_e64 v5, v4, v1, s6
	v_cndmask_b32_e64 v4, v3, v2, s1
	s_delay_alu instid0(VALU_DEP_2) | instskip(NEXT) | instid1(VALU_DEP_2)
	v_cndmask_b32_e64 v3, v5, v2, s1
	v_cmp_class_f32_e64 s4, v4, 0x1f8
	s_delay_alu instid0(VALU_DEP_2) | instskip(NEXT) | instid1(VALU_DEP_2)
	v_cmp_neq_f32_e32 vcc_lo, v4, v3
	s_or_b32 s5, vcc_lo, s4
	s_delay_alu instid0(SALU_CYCLE_1)
	s_and_saveexec_b32 s4, s5
	s_cbranch_execz .LBB164_16
; %bb.15:
	v_sub_f32_e32 v4, v4, v3
	s_mov_b32 s5, 0x3e9b6dac
	s_delay_alu instid0(VALU_DEP_1) | instskip(NEXT) | instid1(VALU_DEP_1)
	v_mul_f32_e32 v5, 0x3fb8aa3b, v4
	v_fma_f32 v6, 0x3fb8aa3b, v4, -v5
	v_rndne_f32_e32 v9, v5
	s_delay_alu instid0(VALU_DEP_1) | instskip(SKIP_1) | instid1(VALU_DEP_4)
	v_sub_f32_e32 v5, v5, v9
	v_cmp_ngt_f32_e32 vcc_lo, 0xc2ce8ed0, v4
	v_fmamk_f32 v6, v4, 0x32a5705f, v6
	s_delay_alu instid0(VALU_DEP_1) | instskip(SKIP_1) | instid1(VALU_DEP_2)
	v_add_f32_e32 v5, v5, v6
	v_cvt_i32_f32_e32 v6, v9
	v_exp_f32_e32 v5, v5
	s_waitcnt_depctr 0xfff
	v_ldexp_f32 v5, v5, v6
	s_delay_alu instid0(VALU_DEP_1) | instskip(SKIP_1) | instid1(VALU_DEP_2)
	v_cndmask_b32_e32 v5, 0, v5, vcc_lo
	v_cmp_nlt_f32_e32 vcc_lo, 0x42b17218, v4
	v_cndmask_b32_e32 v6, 0x7f800000, v5, vcc_lo
	s_delay_alu instid0(VALU_DEP_1) | instskip(NEXT) | instid1(VALU_DEP_1)
	v_add_f32_e32 v9, 1.0, v6
	v_cvt_f64_f32_e32 v[4:5], v9
	s_delay_alu instid0(VALU_DEP_1) | instskip(SKIP_1) | instid1(VALU_DEP_1)
	v_frexp_exp_i32_f64_e32 v4, v[4:5]
	v_frexp_mant_f32_e32 v5, v9
	v_cmp_gt_f32_e32 vcc_lo, 0x3f2aaaab, v5
	v_add_f32_e32 v5, -1.0, v9
	s_delay_alu instid0(VALU_DEP_1) | instskip(NEXT) | instid1(VALU_DEP_1)
	v_sub_f32_e32 v11, v5, v9
	v_add_f32_e32 v11, 1.0, v11
	v_sub_f32_e32 v5, v6, v5
	s_delay_alu instid0(VALU_DEP_1) | instskip(SKIP_2) | instid1(VALU_DEP_2)
	v_add_f32_e32 v5, v5, v11
	v_subrev_co_ci_u32_e32 v4, vcc_lo, 0, v4, vcc_lo
	v_cmp_eq_f32_e32 vcc_lo, 0x7f800000, v6
	v_sub_nc_u32_e32 v10, 0, v4
	v_cvt_f32_i32_e32 v4, v4
	s_delay_alu instid0(VALU_DEP_2) | instskip(SKIP_1) | instid1(VALU_DEP_2)
	v_ldexp_f32 v9, v9, v10
	v_ldexp_f32 v5, v5, v10
	v_add_f32_e32 v12, 1.0, v9
	s_delay_alu instid0(VALU_DEP_1) | instskip(NEXT) | instid1(VALU_DEP_1)
	v_dual_add_f32 v10, -1.0, v9 :: v_dual_add_f32 v11, -1.0, v12
	v_add_f32_e32 v19, 1.0, v10
	s_delay_alu instid0(VALU_DEP_2) | instskip(NEXT) | instid1(VALU_DEP_2)
	v_sub_f32_e32 v11, v9, v11
	v_sub_f32_e32 v9, v9, v19
	s_delay_alu instid0(VALU_DEP_2) | instskip(NEXT) | instid1(VALU_DEP_1)
	v_add_f32_e32 v11, v5, v11
	v_add_f32_e32 v19, v12, v11
	s_delay_alu instid0(VALU_DEP_3) | instskip(NEXT) | instid1(VALU_DEP_2)
	v_add_f32_e32 v5, v5, v9
	v_rcp_f32_e32 v9, v19
	s_delay_alu instid0(VALU_DEP_1) | instskip(SKIP_1) | instid1(VALU_DEP_2)
	v_add_f32_e32 v20, v10, v5
	v_sub_f32_e32 v12, v12, v19
	v_sub_f32_e32 v10, v10, v20
	s_waitcnt_depctr 0xfff
	v_dual_add_f32 v11, v11, v12 :: v_dual_mul_f32 v22, v20, v9
	v_add_f32_e32 v5, v5, v10
	s_delay_alu instid0(VALU_DEP_2) | instskip(NEXT) | instid1(VALU_DEP_1)
	v_mul_f32_e32 v23, v19, v22
	v_fma_f32 v12, v22, v19, -v23
	s_delay_alu instid0(VALU_DEP_1) | instskip(NEXT) | instid1(VALU_DEP_1)
	v_fmac_f32_e32 v12, v22, v11
	v_add_f32_e32 v24, v23, v12
	s_delay_alu instid0(VALU_DEP_1) | instskip(SKIP_1) | instid1(VALU_DEP_2)
	v_sub_f32_e32 v25, v20, v24
	v_sub_f32_e32 v10, v24, v23
	;; [unrolled: 1-line block ×3, first 2 shown]
	s_delay_alu instid0(VALU_DEP_2) | instskip(NEXT) | instid1(VALU_DEP_2)
	v_sub_f32_e32 v10, v10, v12
	v_sub_f32_e32 v20, v20, v24
	s_delay_alu instid0(VALU_DEP_1) | instskip(NEXT) | instid1(VALU_DEP_1)
	v_add_f32_e32 v5, v5, v20
	v_add_f32_e32 v5, v10, v5
	s_delay_alu instid0(VALU_DEP_1) | instskip(NEXT) | instid1(VALU_DEP_1)
	v_add_f32_e32 v10, v25, v5
	v_sub_f32_e32 v24, v25, v10
	v_mul_f32_e32 v12, v9, v10
	s_delay_alu instid0(VALU_DEP_2) | instskip(NEXT) | instid1(VALU_DEP_2)
	v_add_f32_e32 v5, v5, v24
	v_mul_f32_e32 v20, v19, v12
	s_delay_alu instid0(VALU_DEP_1) | instskip(NEXT) | instid1(VALU_DEP_1)
	v_fma_f32 v19, v12, v19, -v20
	v_fmac_f32_e32 v19, v12, v11
	s_delay_alu instid0(VALU_DEP_1) | instskip(NEXT) | instid1(VALU_DEP_1)
	v_add_f32_e32 v11, v20, v19
	v_dual_sub_f32 v23, v10, v11 :: v_dual_sub_f32 v20, v11, v20
	s_delay_alu instid0(VALU_DEP_1) | instskip(NEXT) | instid1(VALU_DEP_1)
	v_sub_f32_e32 v10, v10, v23
	v_sub_f32_e32 v10, v10, v11
	s_delay_alu instid0(VALU_DEP_1) | instskip(NEXT) | instid1(VALU_DEP_4)
	v_dual_add_f32 v5, v5, v10 :: v_dual_add_f32 v10, v22, v12
	v_sub_f32_e32 v11, v20, v19
	s_delay_alu instid0(VALU_DEP_1) | instskip(NEXT) | instid1(VALU_DEP_3)
	v_add_f32_e32 v5, v11, v5
	v_sub_f32_e32 v11, v10, v22
	s_delay_alu instid0(VALU_DEP_2) | instskip(NEXT) | instid1(VALU_DEP_2)
	v_add_f32_e32 v5, v23, v5
	v_sub_f32_e32 v11, v12, v11
	s_delay_alu instid0(VALU_DEP_2) | instskip(NEXT) | instid1(VALU_DEP_1)
	v_mul_f32_e32 v5, v9, v5
	v_add_f32_e32 v5, v11, v5
	s_delay_alu instid0(VALU_DEP_1) | instskip(NEXT) | instid1(VALU_DEP_1)
	v_add_f32_e32 v9, v10, v5
	v_mul_f32_e32 v11, v9, v9
	s_delay_alu instid0(VALU_DEP_1) | instskip(SKIP_2) | instid1(VALU_DEP_3)
	v_fmaak_f32 v12, s5, v11, 0x3ecc95a3
	v_mul_f32_e32 v19, v9, v11
	v_cmp_gt_f32_e64 s5, 0x33800000, |v6|
	v_fmaak_f32 v11, v11, v12, 0x3f2aaada
	v_ldexp_f32 v12, v9, 1
	v_sub_f32_e32 v9, v9, v10
	s_delay_alu instid0(VALU_DEP_4) | instskip(NEXT) | instid1(VALU_DEP_3)
	s_or_b32 vcc_lo, vcc_lo, s5
	v_mul_f32_e32 v11, v19, v11
	v_mul_f32_e32 v19, 0x3f317218, v4
	s_delay_alu instid0(VALU_DEP_2) | instskip(NEXT) | instid1(VALU_DEP_1)
	v_dual_sub_f32 v5, v5, v9 :: v_dual_add_f32 v10, v12, v11
	v_ldexp_f32 v5, v5, 1
	s_delay_alu instid0(VALU_DEP_2) | instskip(NEXT) | instid1(VALU_DEP_4)
	v_sub_f32_e32 v9, v10, v12
	v_fma_f32 v12, 0x3f317218, v4, -v19
	s_delay_alu instid0(VALU_DEP_1) | instskip(NEXT) | instid1(VALU_DEP_1)
	v_dual_sub_f32 v9, v11, v9 :: v_dual_fmamk_f32 v4, v4, 0xb102e308, v12
	v_add_f32_e32 v5, v5, v9
	s_delay_alu instid0(VALU_DEP_2) | instskip(NEXT) | instid1(VALU_DEP_2)
	v_add_f32_e32 v9, v19, v4
	v_add_f32_e32 v11, v10, v5
	s_delay_alu instid0(VALU_DEP_2) | instskip(NEXT) | instid1(VALU_DEP_2)
	v_sub_f32_e32 v19, v9, v19
	v_add_f32_e32 v12, v9, v11
	v_sub_f32_e32 v10, v11, v10
	s_delay_alu instid0(VALU_DEP_3) | instskip(NEXT) | instid1(VALU_DEP_2)
	v_sub_f32_e32 v4, v4, v19
	v_dual_sub_f32 v20, v12, v9 :: v_dual_sub_f32 v5, v5, v10
	s_delay_alu instid0(VALU_DEP_1) | instskip(NEXT) | instid1(VALU_DEP_2)
	v_sub_f32_e32 v22, v12, v20
	v_dual_sub_f32 v10, v11, v20 :: v_dual_add_f32 v11, v4, v5
	s_delay_alu instid0(VALU_DEP_2) | instskip(NEXT) | instid1(VALU_DEP_1)
	v_sub_f32_e32 v9, v9, v22
	v_dual_add_f32 v9, v10, v9 :: v_dual_sub_f32 v10, v11, v4
	s_delay_alu instid0(VALU_DEP_1) | instskip(NEXT) | instid1(VALU_DEP_2)
	v_add_f32_e32 v9, v11, v9
	v_sub_f32_e32 v11, v11, v10
	v_sub_f32_e32 v5, v5, v10
	s_delay_alu instid0(VALU_DEP_3) | instskip(NEXT) | instid1(VALU_DEP_3)
	v_add_f32_e32 v19, v12, v9
	v_sub_f32_e32 v4, v4, v11
	s_delay_alu instid0(VALU_DEP_2) | instskip(NEXT) | instid1(VALU_DEP_2)
	v_sub_f32_e32 v10, v19, v12
	v_add_f32_e32 v4, v5, v4
	s_delay_alu instid0(VALU_DEP_2) | instskip(NEXT) | instid1(VALU_DEP_1)
	v_sub_f32_e32 v5, v9, v10
	v_add_f32_e32 v4, v4, v5
	s_delay_alu instid0(VALU_DEP_1) | instskip(NEXT) | instid1(VALU_DEP_1)
	v_add_f32_e32 v4, v19, v4
	v_cndmask_b32_e32 v4, v4, v6, vcc_lo
	s_delay_alu instid0(VALU_DEP_1)
	v_add_f32_e32 v22, v3, v4
.LBB164_16:
	s_or_b32 exec_lo, exec_lo, s4
	s_delay_alu instid0(VALU_DEP_1) | instskip(SKIP_3) | instid1(VALU_DEP_2)
	v_max_f32_e32 v3, v22, v22
	v_cmp_u_f32_e32 vcc_lo, v22, v22
	v_max_f32_e32 v19, v7, v7
	v_cmp_u_f32_e64 s4, v7, v7
	v_min_f32_e32 v4, v3, v19
	s_delay_alu instid0(VALU_DEP_1) | instskip(NEXT) | instid1(VALU_DEP_1)
	v_dual_cndmask_b32 v4, v4, v22 :: v_dual_max_f32 v3, v3, v19
	v_cndmask_b32_e64 v4, v4, v7, s4
	s_delay_alu instid0(VALU_DEP_2) | instskip(NEXT) | instid1(VALU_DEP_2)
	v_cndmask_b32_e32 v3, v3, v22, vcc_lo
	v_cmp_class_f32_e64 s5, v4, 0x1f8
	s_delay_alu instid0(VALU_DEP_2) | instskip(NEXT) | instid1(VALU_DEP_1)
	v_cndmask_b32_e64 v3, v3, v7, s4
	v_cmp_neq_f32_e32 vcc_lo, v4, v3
	s_delay_alu instid0(VALU_DEP_3) | instskip(NEXT) | instid1(SALU_CYCLE_1)
	s_or_b32 s7, vcc_lo, s5
	s_and_saveexec_b32 s5, s7
	s_cbranch_execz .LBB164_18
; %bb.17:
	v_sub_f32_e32 v4, v4, v3
	s_mov_b32 s7, 0x3e9b6dac
	s_delay_alu instid0(VALU_DEP_1) | instskip(NEXT) | instid1(VALU_DEP_1)
	v_mul_f32_e32 v5, 0x3fb8aa3b, v4
	v_fma_f32 v6, 0x3fb8aa3b, v4, -v5
	v_rndne_f32_e32 v9, v5
	s_delay_alu instid0(VALU_DEP_1) | instskip(SKIP_1) | instid1(VALU_DEP_4)
	v_sub_f32_e32 v5, v5, v9
	v_cmp_ngt_f32_e32 vcc_lo, 0xc2ce8ed0, v4
	v_fmamk_f32 v6, v4, 0x32a5705f, v6
	s_delay_alu instid0(VALU_DEP_1) | instskip(SKIP_1) | instid1(VALU_DEP_2)
	v_add_f32_e32 v5, v5, v6
	v_cvt_i32_f32_e32 v6, v9
	v_exp_f32_e32 v5, v5
	s_waitcnt_depctr 0xfff
	v_ldexp_f32 v5, v5, v6
	s_delay_alu instid0(VALU_DEP_1) | instskip(SKIP_1) | instid1(VALU_DEP_2)
	v_cndmask_b32_e32 v5, 0, v5, vcc_lo
	v_cmp_nlt_f32_e32 vcc_lo, 0x42b17218, v4
	v_cndmask_b32_e32 v6, 0x7f800000, v5, vcc_lo
	s_delay_alu instid0(VALU_DEP_1) | instskip(NEXT) | instid1(VALU_DEP_1)
	v_add_f32_e32 v9, 1.0, v6
	v_cvt_f64_f32_e32 v[4:5], v9
	s_delay_alu instid0(VALU_DEP_1) | instskip(SKIP_1) | instid1(VALU_DEP_1)
	v_frexp_exp_i32_f64_e32 v4, v[4:5]
	v_frexp_mant_f32_e32 v5, v9
	v_cmp_gt_f32_e32 vcc_lo, 0x3f2aaaab, v5
	v_add_f32_e32 v5, -1.0, v9
	s_delay_alu instid0(VALU_DEP_1) | instskip(NEXT) | instid1(VALU_DEP_1)
	v_sub_f32_e32 v11, v5, v9
	v_add_f32_e32 v11, 1.0, v11
	v_sub_f32_e32 v5, v6, v5
	s_delay_alu instid0(VALU_DEP_1) | instskip(SKIP_2) | instid1(VALU_DEP_2)
	v_add_f32_e32 v5, v5, v11
	v_subrev_co_ci_u32_e32 v4, vcc_lo, 0, v4, vcc_lo
	v_cmp_eq_f32_e32 vcc_lo, 0x7f800000, v6
	v_sub_nc_u32_e32 v10, 0, v4
	v_cvt_f32_i32_e32 v4, v4
	s_delay_alu instid0(VALU_DEP_2) | instskip(SKIP_1) | instid1(VALU_DEP_2)
	v_ldexp_f32 v9, v9, v10
	v_ldexp_f32 v5, v5, v10
	v_add_f32_e32 v12, 1.0, v9
	s_delay_alu instid0(VALU_DEP_1) | instskip(NEXT) | instid1(VALU_DEP_1)
	v_dual_add_f32 v10, -1.0, v9 :: v_dual_add_f32 v11, -1.0, v12
	v_dual_add_f32 v20, 1.0, v10 :: v_dual_sub_f32 v11, v9, v11
	s_delay_alu instid0(VALU_DEP_1) | instskip(NEXT) | instid1(VALU_DEP_2)
	v_sub_f32_e32 v9, v9, v20
	v_add_f32_e32 v11, v5, v11
	s_delay_alu instid0(VALU_DEP_1) | instskip(NEXT) | instid1(VALU_DEP_1)
	v_dual_add_f32 v5, v5, v9 :: v_dual_add_f32 v20, v12, v11
	v_add_f32_e32 v22, v10, v5
	s_delay_alu instid0(VALU_DEP_2) | instskip(SKIP_1) | instid1(VALU_DEP_1)
	v_rcp_f32_e32 v9, v20
	v_sub_f32_e32 v12, v12, v20
	v_dual_sub_f32 v10, v10, v22 :: v_dual_add_f32 v11, v11, v12
	s_delay_alu instid0(VALU_DEP_1) | instskip(SKIP_2) | instid1(VALU_DEP_1)
	v_add_f32_e32 v5, v5, v10
	s_waitcnt_depctr 0xfff
	v_mul_f32_e32 v23, v22, v9
	v_mul_f32_e32 v24, v20, v23
	s_delay_alu instid0(VALU_DEP_1) | instskip(NEXT) | instid1(VALU_DEP_1)
	v_fma_f32 v12, v23, v20, -v24
	v_fmac_f32_e32 v12, v23, v11
	s_delay_alu instid0(VALU_DEP_1) | instskip(NEXT) | instid1(VALU_DEP_1)
	v_add_f32_e32 v25, v24, v12
	v_sub_f32_e32 v26, v22, v25
	v_sub_f32_e32 v10, v25, v24
	s_delay_alu instid0(VALU_DEP_2) | instskip(NEXT) | instid1(VALU_DEP_2)
	v_sub_f32_e32 v22, v22, v26
	v_sub_f32_e32 v10, v10, v12
	s_delay_alu instid0(VALU_DEP_2) | instskip(NEXT) | instid1(VALU_DEP_1)
	v_sub_f32_e32 v22, v22, v25
	v_add_f32_e32 v5, v5, v22
	s_delay_alu instid0(VALU_DEP_1) | instskip(NEXT) | instid1(VALU_DEP_1)
	v_add_f32_e32 v5, v10, v5
	v_add_f32_e32 v10, v26, v5
	s_delay_alu instid0(VALU_DEP_1) | instskip(NEXT) | instid1(VALU_DEP_1)
	v_mul_f32_e32 v12, v9, v10
	v_dual_sub_f32 v25, v26, v10 :: v_dual_mul_f32 v22, v20, v12
	s_delay_alu instid0(VALU_DEP_1) | instskip(NEXT) | instid1(VALU_DEP_2)
	v_add_f32_e32 v5, v5, v25
	v_fma_f32 v20, v12, v20, -v22
	s_delay_alu instid0(VALU_DEP_1) | instskip(NEXT) | instid1(VALU_DEP_1)
	v_fmac_f32_e32 v20, v12, v11
	v_add_f32_e32 v11, v22, v20
	s_delay_alu instid0(VALU_DEP_1) | instskip(NEXT) | instid1(VALU_DEP_1)
	v_sub_f32_e32 v24, v10, v11
	v_sub_f32_e32 v10, v10, v24
	s_delay_alu instid0(VALU_DEP_1) | instskip(NEXT) | instid1(VALU_DEP_1)
	v_sub_f32_e32 v10, v10, v11
	v_dual_add_f32 v5, v5, v10 :: v_dual_add_f32 v10, v23, v12
	v_sub_f32_e32 v22, v11, v22
	s_delay_alu instid0(VALU_DEP_1) | instskip(NEXT) | instid1(VALU_DEP_1)
	v_sub_f32_e32 v11, v22, v20
	v_add_f32_e32 v5, v11, v5
	s_delay_alu instid0(VALU_DEP_4) | instskip(NEXT) | instid1(VALU_DEP_2)
	v_sub_f32_e32 v11, v10, v23
	v_add_f32_e32 v5, v24, v5
	s_delay_alu instid0(VALU_DEP_2) | instskip(NEXT) | instid1(VALU_DEP_2)
	v_sub_f32_e32 v11, v12, v11
	v_mul_f32_e32 v5, v9, v5
	s_delay_alu instid0(VALU_DEP_1) | instskip(NEXT) | instid1(VALU_DEP_1)
	v_add_f32_e32 v5, v11, v5
	v_add_f32_e32 v9, v10, v5
	s_delay_alu instid0(VALU_DEP_1) | instskip(NEXT) | instid1(VALU_DEP_1)
	v_mul_f32_e32 v11, v9, v9
	v_fmaak_f32 v12, s7, v11, 0x3ecc95a3
	v_mul_f32_e32 v20, v9, v11
	v_cmp_gt_f32_e64 s7, 0x33800000, |v6|
	s_delay_alu instid0(VALU_DEP_3) | instskip(SKIP_2) | instid1(VALU_DEP_4)
	v_fmaak_f32 v11, v11, v12, 0x3f2aaada
	v_ldexp_f32 v12, v9, 1
	v_sub_f32_e32 v9, v9, v10
	s_or_b32 vcc_lo, vcc_lo, s7
	s_delay_alu instid0(VALU_DEP_3) | instskip(NEXT) | instid1(VALU_DEP_1)
	v_dual_mul_f32 v11, v20, v11 :: v_dual_mul_f32 v20, 0x3f317218, v4
	v_dual_sub_f32 v5, v5, v9 :: v_dual_add_f32 v10, v12, v11
	s_delay_alu instid0(VALU_DEP_1) | instskip(NEXT) | instid1(VALU_DEP_2)
	v_ldexp_f32 v5, v5, 1
	v_sub_f32_e32 v9, v10, v12
	s_delay_alu instid0(VALU_DEP_4) | instskip(NEXT) | instid1(VALU_DEP_1)
	v_fma_f32 v12, 0x3f317218, v4, -v20
	v_dual_sub_f32 v9, v11, v9 :: v_dual_fmamk_f32 v4, v4, 0xb102e308, v12
	s_delay_alu instid0(VALU_DEP_1) | instskip(NEXT) | instid1(VALU_DEP_2)
	v_add_f32_e32 v5, v5, v9
	v_add_f32_e32 v9, v20, v4
	s_delay_alu instid0(VALU_DEP_1) | instskip(NEXT) | instid1(VALU_DEP_1)
	v_dual_add_f32 v11, v10, v5 :: v_dual_sub_f32 v20, v9, v20
	v_sub_f32_e32 v10, v11, v10
	s_delay_alu instid0(VALU_DEP_1) | instskip(SKIP_1) | instid1(VALU_DEP_1)
	v_dual_sub_f32 v4, v4, v20 :: v_dual_sub_f32 v5, v5, v10
	v_add_f32_e32 v12, v9, v11
	v_sub_f32_e32 v22, v12, v9
	s_delay_alu instid0(VALU_DEP_1) | instskip(SKIP_1) | instid1(VALU_DEP_1)
	v_dual_sub_f32 v10, v11, v22 :: v_dual_add_f32 v11, v4, v5
	v_sub_f32_e32 v23, v12, v22
	v_sub_f32_e32 v9, v9, v23
	s_delay_alu instid0(VALU_DEP_1) | instskip(NEXT) | instid1(VALU_DEP_1)
	v_dual_add_f32 v9, v10, v9 :: v_dual_sub_f32 v10, v11, v4
	v_add_f32_e32 v9, v11, v9
	s_delay_alu instid0(VALU_DEP_2) | instskip(NEXT) | instid1(VALU_DEP_2)
	v_sub_f32_e32 v11, v11, v10
	v_dual_sub_f32 v5, v5, v10 :: v_dual_add_f32 v20, v12, v9
	s_delay_alu instid0(VALU_DEP_2) | instskip(NEXT) | instid1(VALU_DEP_2)
	v_sub_f32_e32 v4, v4, v11
	v_sub_f32_e32 v10, v20, v12
	s_delay_alu instid0(VALU_DEP_2) | instskip(NEXT) | instid1(VALU_DEP_2)
	v_add_f32_e32 v4, v5, v4
	v_sub_f32_e32 v5, v9, v10
	s_delay_alu instid0(VALU_DEP_1) | instskip(NEXT) | instid1(VALU_DEP_1)
	v_add_f32_e32 v4, v4, v5
	v_add_f32_e32 v4, v20, v4
	s_delay_alu instid0(VALU_DEP_1) | instskip(NEXT) | instid1(VALU_DEP_1)
	v_cndmask_b32_e32 v4, v4, v6, vcc_lo
	v_add_f32_e32 v22, v3, v4
.LBB164_18:
	s_or_b32 exec_lo, exec_lo, s5
	s_delay_alu instid0(VALU_DEP_1) | instskip(SKIP_2) | instid1(VALU_DEP_3)
	v_dual_max_f32 v20, v8, v8 :: v_dual_max_f32 v3, v22, v22
	v_cmp_u_f32_e32 vcc_lo, v22, v22
	v_cmp_u_f32_e64 s5, v8, v8
	v_min_f32_e32 v4, v3, v20
	s_delay_alu instid0(VALU_DEP_1) | instskip(NEXT) | instid1(VALU_DEP_1)
	v_dual_max_f32 v3, v3, v20 :: v_dual_cndmask_b32 v4, v4, v22
	v_cndmask_b32_e32 v3, v3, v22, vcc_lo
	s_delay_alu instid0(VALU_DEP_2) | instskip(NEXT) | instid1(VALU_DEP_2)
	v_cndmask_b32_e64 v4, v4, v8, s5
	v_cndmask_b32_e64 v3, v3, v8, s5
	s_delay_alu instid0(VALU_DEP_2) | instskip(NEXT) | instid1(VALU_DEP_2)
	v_cmp_class_f32_e64 s7, v4, 0x1f8
	v_cmp_neq_f32_e32 vcc_lo, v4, v3
	s_delay_alu instid0(VALU_DEP_2) | instskip(NEXT) | instid1(SALU_CYCLE_1)
	s_or_b32 s8, vcc_lo, s7
	s_and_saveexec_b32 s7, s8
	s_cbranch_execz .LBB164_20
; %bb.19:
	v_sub_f32_e32 v4, v4, v3
	s_mov_b32 s8, 0x3e9b6dac
	s_delay_alu instid0(VALU_DEP_1) | instskip(NEXT) | instid1(VALU_DEP_1)
	v_mul_f32_e32 v5, 0x3fb8aa3b, v4
	v_fma_f32 v6, 0x3fb8aa3b, v4, -v5
	v_rndne_f32_e32 v9, v5
	s_delay_alu instid0(VALU_DEP_1) | instskip(SKIP_1) | instid1(VALU_DEP_4)
	v_sub_f32_e32 v5, v5, v9
	v_cmp_ngt_f32_e32 vcc_lo, 0xc2ce8ed0, v4
	v_fmamk_f32 v6, v4, 0x32a5705f, v6
	s_delay_alu instid0(VALU_DEP_1) | instskip(SKIP_1) | instid1(VALU_DEP_2)
	v_add_f32_e32 v5, v5, v6
	v_cvt_i32_f32_e32 v6, v9
	v_exp_f32_e32 v5, v5
	s_waitcnt_depctr 0xfff
	v_ldexp_f32 v5, v5, v6
	s_delay_alu instid0(VALU_DEP_1) | instskip(SKIP_1) | instid1(VALU_DEP_2)
	v_cndmask_b32_e32 v5, 0, v5, vcc_lo
	v_cmp_nlt_f32_e32 vcc_lo, 0x42b17218, v4
	v_cndmask_b32_e32 v6, 0x7f800000, v5, vcc_lo
	s_delay_alu instid0(VALU_DEP_1) | instskip(NEXT) | instid1(VALU_DEP_1)
	v_add_f32_e32 v9, 1.0, v6
	v_cvt_f64_f32_e32 v[4:5], v9
	s_delay_alu instid0(VALU_DEP_1) | instskip(SKIP_1) | instid1(VALU_DEP_1)
	v_frexp_exp_i32_f64_e32 v4, v[4:5]
	v_frexp_mant_f32_e32 v5, v9
	v_cmp_gt_f32_e32 vcc_lo, 0x3f2aaaab, v5
	v_add_f32_e32 v5, -1.0, v9
	s_delay_alu instid0(VALU_DEP_1) | instskip(NEXT) | instid1(VALU_DEP_1)
	v_sub_f32_e32 v11, v5, v9
	v_add_f32_e32 v11, 1.0, v11
	v_sub_f32_e32 v5, v6, v5
	s_delay_alu instid0(VALU_DEP_1) | instskip(SKIP_2) | instid1(VALU_DEP_2)
	v_add_f32_e32 v5, v5, v11
	v_subrev_co_ci_u32_e32 v4, vcc_lo, 0, v4, vcc_lo
	v_cmp_eq_f32_e32 vcc_lo, 0x7f800000, v6
	v_sub_nc_u32_e32 v10, 0, v4
	v_cvt_f32_i32_e32 v4, v4
	s_delay_alu instid0(VALU_DEP_2) | instskip(SKIP_1) | instid1(VALU_DEP_2)
	v_ldexp_f32 v9, v9, v10
	v_ldexp_f32 v5, v5, v10
	v_add_f32_e32 v12, 1.0, v9
	s_delay_alu instid0(VALU_DEP_1) | instskip(NEXT) | instid1(VALU_DEP_1)
	v_dual_add_f32 v10, -1.0, v9 :: v_dual_add_f32 v11, -1.0, v12
	v_dual_add_f32 v22, 1.0, v10 :: v_dual_sub_f32 v11, v9, v11
	s_delay_alu instid0(VALU_DEP_1) | instskip(NEXT) | instid1(VALU_DEP_2)
	v_sub_f32_e32 v9, v9, v22
	v_add_f32_e32 v11, v5, v11
	s_delay_alu instid0(VALU_DEP_1) | instskip(NEXT) | instid1(VALU_DEP_1)
	v_add_f32_e32 v22, v12, v11
	v_sub_f32_e32 v12, v12, v22
	s_delay_alu instid0(VALU_DEP_1) | instskip(SKIP_2) | instid1(VALU_DEP_1)
	v_add_f32_e32 v11, v11, v12
	v_add_f32_e32 v5, v5, v9
	v_rcp_f32_e32 v9, v22
	v_add_f32_e32 v23, v10, v5
	s_waitcnt_depctr 0xfff
	v_mul_f32_e32 v24, v23, v9
	s_delay_alu instid0(VALU_DEP_1) | instskip(NEXT) | instid1(VALU_DEP_1)
	v_mul_f32_e32 v25, v22, v24
	v_fma_f32 v12, v24, v22, -v25
	s_delay_alu instid0(VALU_DEP_1) | instskip(NEXT) | instid1(VALU_DEP_1)
	v_fmac_f32_e32 v12, v24, v11
	v_add_f32_e32 v26, v25, v12
	s_delay_alu instid0(VALU_DEP_1) | instskip(NEXT) | instid1(VALU_DEP_1)
	v_dual_sub_f32 v10, v10, v23 :: v_dual_sub_f32 v27, v23, v26
	v_dual_add_f32 v5, v5, v10 :: v_dual_sub_f32 v10, v26, v25
	s_delay_alu instid0(VALU_DEP_1) | instskip(NEXT) | instid1(VALU_DEP_1)
	v_dual_sub_f32 v23, v23, v27 :: v_dual_sub_f32 v10, v10, v12
	v_sub_f32_e32 v23, v23, v26
	s_delay_alu instid0(VALU_DEP_1) | instskip(NEXT) | instid1(VALU_DEP_1)
	v_add_f32_e32 v5, v5, v23
	v_add_f32_e32 v5, v10, v5
	s_delay_alu instid0(VALU_DEP_1) | instskip(NEXT) | instid1(VALU_DEP_1)
	v_add_f32_e32 v10, v27, v5
	v_mul_f32_e32 v12, v9, v10
	s_delay_alu instid0(VALU_DEP_1) | instskip(NEXT) | instid1(VALU_DEP_1)
	v_dual_sub_f32 v26, v27, v10 :: v_dual_mul_f32 v23, v22, v12
	v_add_f32_e32 v5, v5, v26
	s_delay_alu instid0(VALU_DEP_2) | instskip(NEXT) | instid1(VALU_DEP_1)
	v_fma_f32 v22, v12, v22, -v23
	v_fmac_f32_e32 v22, v12, v11
	s_delay_alu instid0(VALU_DEP_1) | instskip(NEXT) | instid1(VALU_DEP_1)
	v_add_f32_e32 v11, v23, v22
	v_sub_f32_e32 v25, v10, v11
	s_delay_alu instid0(VALU_DEP_1) | instskip(NEXT) | instid1(VALU_DEP_1)
	v_dual_sub_f32 v23, v11, v23 :: v_dual_sub_f32 v10, v10, v25
	v_dual_sub_f32 v10, v10, v11 :: v_dual_sub_f32 v11, v23, v22
	s_delay_alu instid0(VALU_DEP_1) | instskip(NEXT) | instid1(VALU_DEP_1)
	v_dual_add_f32 v5, v5, v10 :: v_dual_add_f32 v10, v24, v12
	v_add_f32_e32 v5, v11, v5
	s_delay_alu instid0(VALU_DEP_2) | instskip(NEXT) | instid1(VALU_DEP_2)
	v_sub_f32_e32 v11, v10, v24
	v_add_f32_e32 v5, v25, v5
	s_delay_alu instid0(VALU_DEP_2) | instskip(NEXT) | instid1(VALU_DEP_2)
	v_sub_f32_e32 v11, v12, v11
	v_mul_f32_e32 v5, v9, v5
	s_delay_alu instid0(VALU_DEP_1) | instskip(NEXT) | instid1(VALU_DEP_1)
	v_add_f32_e32 v5, v11, v5
	v_add_f32_e32 v9, v10, v5
	s_delay_alu instid0(VALU_DEP_1) | instskip(NEXT) | instid1(VALU_DEP_1)
	v_mul_f32_e32 v11, v9, v9
	v_fmaak_f32 v12, s8, v11, 0x3ecc95a3
	v_cmp_gt_f32_e64 s8, 0x33800000, |v6|
	v_mul_f32_e32 v22, v9, v11
	s_delay_alu instid0(VALU_DEP_2) | instskip(NEXT) | instid1(VALU_DEP_3)
	s_or_b32 vcc_lo, vcc_lo, s8
	v_fmaak_f32 v11, v11, v12, 0x3f2aaada
	v_ldexp_f32 v12, v9, 1
	v_sub_f32_e32 v9, v9, v10
	s_delay_alu instid0(VALU_DEP_3) | instskip(NEXT) | instid1(VALU_DEP_1)
	v_dual_mul_f32 v11, v22, v11 :: v_dual_mul_f32 v22, 0x3f317218, v4
	v_dual_sub_f32 v5, v5, v9 :: v_dual_add_f32 v10, v12, v11
	s_delay_alu instid0(VALU_DEP_1) | instskip(NEXT) | instid1(VALU_DEP_2)
	v_ldexp_f32 v5, v5, 1
	v_sub_f32_e32 v9, v10, v12
	s_delay_alu instid0(VALU_DEP_4) | instskip(NEXT) | instid1(VALU_DEP_1)
	v_fma_f32 v12, 0x3f317218, v4, -v22
	v_dual_sub_f32 v9, v11, v9 :: v_dual_fmamk_f32 v4, v4, 0xb102e308, v12
	s_delay_alu instid0(VALU_DEP_1) | instskip(NEXT) | instid1(VALU_DEP_2)
	v_add_f32_e32 v5, v5, v9
	v_add_f32_e32 v9, v22, v4
	s_delay_alu instid0(VALU_DEP_1) | instskip(NEXT) | instid1(VALU_DEP_1)
	v_dual_add_f32 v11, v10, v5 :: v_dual_sub_f32 v22, v9, v22
	v_add_f32_e32 v12, v9, v11
	v_sub_f32_e32 v10, v11, v10
	s_delay_alu instid0(VALU_DEP_3) | instskip(NEXT) | instid1(VALU_DEP_3)
	v_sub_f32_e32 v4, v4, v22
	v_sub_f32_e32 v23, v12, v9
	s_delay_alu instid0(VALU_DEP_1) | instskip(NEXT) | instid1(VALU_DEP_1)
	v_dual_sub_f32 v5, v5, v10 :: v_dual_sub_f32 v24, v12, v23
	v_dual_sub_f32 v10, v11, v23 :: v_dual_add_f32 v11, v4, v5
	s_delay_alu instid0(VALU_DEP_2) | instskip(NEXT) | instid1(VALU_DEP_1)
	v_sub_f32_e32 v9, v9, v24
	v_dual_add_f32 v9, v10, v9 :: v_dual_sub_f32 v10, v11, v4
	s_delay_alu instid0(VALU_DEP_1) | instskip(NEXT) | instid1(VALU_DEP_2)
	v_add_f32_e32 v9, v11, v9
	v_sub_f32_e32 v11, v11, v10
	s_delay_alu instid0(VALU_DEP_2) | instskip(NEXT) | instid1(VALU_DEP_2)
	v_dual_sub_f32 v5, v5, v10 :: v_dual_add_f32 v22, v12, v9
	v_sub_f32_e32 v4, v4, v11
	s_delay_alu instid0(VALU_DEP_2) | instskip(NEXT) | instid1(VALU_DEP_2)
	v_sub_f32_e32 v10, v22, v12
	v_add_f32_e32 v4, v5, v4
	s_delay_alu instid0(VALU_DEP_2) | instskip(NEXT) | instid1(VALU_DEP_1)
	v_sub_f32_e32 v5, v9, v10
	v_add_f32_e32 v4, v4, v5
	s_delay_alu instid0(VALU_DEP_1) | instskip(NEXT) | instid1(VALU_DEP_1)
	v_add_f32_e32 v4, v22, v4
	v_cndmask_b32_e32 v4, v4, v6, vcc_lo
	s_delay_alu instid0(VALU_DEP_1)
	v_add_f32_e32 v22, v3, v4
.LBB164_20:
	s_or_b32 exec_lo, exec_lo, s7
	v_lshrrev_b32_e32 v3, 5, v0
	v_cmp_gt_u32_e32 vcc_lo, 32, v0
	s_delay_alu instid0(VALU_DEP_2)
	v_add_lshl_u32 v3, v3, v0, 2
	ds_store_b32 v3, v22
	s_waitcnt lgkmcnt(0)
	s_barrier
	buffer_gl0_inv
	s_and_saveexec_b32 s9, vcc_lo
	s_cbranch_execz .LBB164_72
; %bb.21:
	v_and_b32_e32 v3, 0xfc, v0
	s_delay_alu instid0(VALU_DEP_1)
	v_lshl_or_b32 v5, v0, 5, v3
	ds_load_2addr_b32 v[3:4], v5 offset1:1
	s_waitcnt lgkmcnt(0)
	v_dual_max_f32 v9, v4, v4 :: v_dual_max_f32 v6, v3, v3
	v_cmp_u_f32_e64 s7, v3, v3
	v_cmp_u_f32_e64 s8, v4, v4
	s_delay_alu instid0(VALU_DEP_3) | instskip(SKIP_1) | instid1(VALU_DEP_2)
	v_min_f32_e32 v10, v6, v9
	v_max_f32_e32 v9, v6, v9
	v_cndmask_b32_e64 v10, v10, v3, s7
	s_delay_alu instid0(VALU_DEP_2) | instskip(NEXT) | instid1(VALU_DEP_2)
	v_cndmask_b32_e64 v11, v9, v3, s7
	v_cndmask_b32_e64 v9, v10, v4, s8
	v_mov_b32_e32 v10, v3
	s_delay_alu instid0(VALU_DEP_3) | instskip(NEXT) | instid1(VALU_DEP_3)
	v_cndmask_b32_e64 v4, v11, v4, s8
	v_cmp_class_f32_e64 s29, v9, 0x1f8
	s_delay_alu instid0(VALU_DEP_2) | instskip(NEXT) | instid1(VALU_DEP_1)
	v_cmp_neq_f32_e64 s8, v9, v4
	s_or_b32 s8, s8, s29
	s_delay_alu instid0(SALU_CYCLE_1)
	s_and_saveexec_b32 s29, s8
	s_cbranch_execz .LBB164_23
; %bb.22:
	v_sub_f32_e32 v9, v9, v4
	s_delay_alu instid0(VALU_DEP_1) | instskip(NEXT) | instid1(VALU_DEP_1)
	v_mul_f32_e32 v10, 0x3fb8aa3b, v9
	v_fma_f32 v11, 0x3fb8aa3b, v9, -v10
	v_rndne_f32_e32 v12, v10
	s_delay_alu instid0(VALU_DEP_1) | instskip(NEXT) | instid1(VALU_DEP_1)
	v_dual_fmamk_f32 v11, v9, 0x32a5705f, v11 :: v_dual_sub_f32 v10, v10, v12
	v_add_f32_e32 v10, v10, v11
	v_cvt_i32_f32_e32 v11, v12
	v_cmp_ngt_f32_e64 s8, 0xc2ce8ed0, v9
	s_delay_alu instid0(VALU_DEP_3) | instskip(SKIP_2) | instid1(VALU_DEP_1)
	v_exp_f32_e32 v10, v10
	s_waitcnt_depctr 0xfff
	v_ldexp_f32 v10, v10, v11
	v_cndmask_b32_e64 v10, 0, v10, s8
	v_cmp_nlt_f32_e64 s8, 0x42b17218, v9
	s_delay_alu instid0(VALU_DEP_1) | instskip(NEXT) | instid1(VALU_DEP_1)
	v_cndmask_b32_e64 v11, 0x7f800000, v10, s8
	v_add_f32_e32 v12, 1.0, v11
	v_cmp_gt_f32_e64 s30, 0x33800000, |v11|
	s_delay_alu instid0(VALU_DEP_2) | instskip(NEXT) | instid1(VALU_DEP_1)
	v_cvt_f64_f32_e32 v[9:10], v12
	v_frexp_exp_i32_f64_e32 v9, v[9:10]
	v_frexp_mant_f32_e32 v10, v12
	s_delay_alu instid0(VALU_DEP_1) | instskip(SKIP_1) | instid1(VALU_DEP_1)
	v_cmp_gt_f32_e64 s8, 0x3f2aaaab, v10
	v_add_f32_e32 v10, -1.0, v12
	v_sub_f32_e32 v24, v10, v12
	s_delay_alu instid0(VALU_DEP_1) | instskip(NEXT) | instid1(VALU_DEP_4)
	v_add_f32_e32 v24, 1.0, v24
	v_subrev_co_ci_u32_e64 v9, s8, 0, v9, s8
	s_mov_b32 s8, 0x3e9b6dac
	s_delay_alu instid0(VALU_DEP_1) | instskip(SKIP_1) | instid1(VALU_DEP_2)
	v_sub_nc_u32_e32 v23, 0, v9
	v_cvt_f32_i32_e32 v9, v9
	v_ldexp_f32 v12, v12, v23
	s_delay_alu instid0(VALU_DEP_1) | instskip(NEXT) | instid1(VALU_DEP_1)
	v_dual_sub_f32 v10, v11, v10 :: v_dual_add_f32 v25, 1.0, v12
	v_add_f32_e32 v10, v10, v24
	s_delay_alu instid0(VALU_DEP_2) | instskip(NEXT) | instid1(VALU_DEP_2)
	v_add_f32_e32 v24, -1.0, v25
	v_ldexp_f32 v10, v10, v23
	v_add_f32_e32 v23, -1.0, v12
	s_delay_alu instid0(VALU_DEP_3) | instskip(NEXT) | instid1(VALU_DEP_2)
	v_sub_f32_e32 v24, v12, v24
	v_add_f32_e32 v26, 1.0, v23
	s_delay_alu instid0(VALU_DEP_2) | instskip(NEXT) | instid1(VALU_DEP_2)
	v_add_f32_e32 v24, v10, v24
	v_sub_f32_e32 v12, v12, v26
	s_delay_alu instid0(VALU_DEP_2) | instskip(NEXT) | instid1(VALU_DEP_2)
	v_add_f32_e32 v26, v25, v24
	v_add_f32_e32 v10, v10, v12
	s_delay_alu instid0(VALU_DEP_2) | instskip(SKIP_1) | instid1(VALU_DEP_1)
	v_rcp_f32_e32 v12, v26
	v_sub_f32_e32 v25, v25, v26
	v_dual_add_f32 v27, v23, v10 :: v_dual_add_f32 v24, v24, v25
	s_delay_alu instid0(VALU_DEP_1) | instskip(SKIP_3) | instid1(VALU_DEP_2)
	v_sub_f32_e32 v23, v23, v27
	s_waitcnt_depctr 0xfff
	v_mul_f32_e32 v28, v27, v12
	v_add_f32_e32 v10, v10, v23
	v_mul_f32_e32 v29, v26, v28
	s_delay_alu instid0(VALU_DEP_1) | instskip(NEXT) | instid1(VALU_DEP_1)
	v_fma_f32 v25, v28, v26, -v29
	v_fmac_f32_e32 v25, v28, v24
	s_delay_alu instid0(VALU_DEP_1) | instskip(NEXT) | instid1(VALU_DEP_1)
	v_add_f32_e32 v30, v29, v25
	v_sub_f32_e32 v31, v27, v30
	v_sub_f32_e32 v23, v30, v29
	s_delay_alu instid0(VALU_DEP_2) | instskip(NEXT) | instid1(VALU_DEP_2)
	v_sub_f32_e32 v27, v27, v31
	v_sub_f32_e32 v23, v23, v25
	s_delay_alu instid0(VALU_DEP_2) | instskip(NEXT) | instid1(VALU_DEP_1)
	v_sub_f32_e32 v27, v27, v30
	v_add_f32_e32 v10, v10, v27
	s_delay_alu instid0(VALU_DEP_1) | instskip(NEXT) | instid1(VALU_DEP_1)
	v_add_f32_e32 v10, v23, v10
	v_add_f32_e32 v23, v31, v10
	s_delay_alu instid0(VALU_DEP_1) | instskip(NEXT) | instid1(VALU_DEP_1)
	v_mul_f32_e32 v25, v12, v23
	v_dual_sub_f32 v30, v31, v23 :: v_dual_mul_f32 v27, v26, v25
	s_delay_alu instid0(VALU_DEP_1) | instskip(NEXT) | instid1(VALU_DEP_1)
	v_fma_f32 v26, v25, v26, -v27
	v_fmac_f32_e32 v26, v25, v24
	s_delay_alu instid0(VALU_DEP_1) | instskip(NEXT) | instid1(VALU_DEP_1)
	v_add_f32_e32 v24, v27, v26
	v_sub_f32_e32 v29, v23, v24
	v_dual_sub_f32 v27, v24, v27 :: v_dual_add_f32 v10, v10, v30
	s_delay_alu instid0(VALU_DEP_2) | instskip(NEXT) | instid1(VALU_DEP_1)
	v_sub_f32_e32 v23, v23, v29
	v_sub_f32_e32 v23, v23, v24
	s_delay_alu instid0(VALU_DEP_1) | instskip(NEXT) | instid1(VALU_DEP_4)
	v_dual_add_f32 v10, v10, v23 :: v_dual_add_f32 v23, v28, v25
	v_sub_f32_e32 v24, v27, v26
	s_delay_alu instid0(VALU_DEP_1) | instskip(NEXT) | instid1(VALU_DEP_3)
	v_add_f32_e32 v10, v24, v10
	v_sub_f32_e32 v24, v23, v28
	s_delay_alu instid0(VALU_DEP_2) | instskip(NEXT) | instid1(VALU_DEP_2)
	v_add_f32_e32 v10, v29, v10
	v_sub_f32_e32 v24, v25, v24
	s_delay_alu instid0(VALU_DEP_2) | instskip(NEXT) | instid1(VALU_DEP_1)
	v_mul_f32_e32 v10, v12, v10
	v_add_f32_e32 v10, v24, v10
	s_delay_alu instid0(VALU_DEP_1) | instskip(NEXT) | instid1(VALU_DEP_1)
	v_add_f32_e32 v12, v23, v10
	v_mul_f32_e32 v24, v12, v12
	s_delay_alu instid0(VALU_DEP_1) | instskip(SKIP_2) | instid1(VALU_DEP_3)
	v_fmaak_f32 v25, s8, v24, 0x3ecc95a3
	v_mul_f32_e32 v26, v12, v24
	v_cmp_eq_f32_e64 s8, 0x7f800000, v11
	v_fmaak_f32 v24, v24, v25, 0x3f2aaada
	v_ldexp_f32 v25, v12, 1
	v_sub_f32_e32 v12, v12, v23
	s_delay_alu instid0(VALU_DEP_4) | instskip(NEXT) | instid1(VALU_DEP_3)
	s_or_b32 s8, s8, s30
	v_mul_f32_e32 v24, v26, v24
	v_mul_f32_e32 v26, 0x3f317218, v9
	s_delay_alu instid0(VALU_DEP_3) | instskip(NEXT) | instid1(VALU_DEP_3)
	v_sub_f32_e32 v10, v10, v12
	v_add_f32_e32 v23, v25, v24
	s_delay_alu instid0(VALU_DEP_2) | instskip(NEXT) | instid1(VALU_DEP_2)
	v_ldexp_f32 v10, v10, 1
	v_sub_f32_e32 v12, v23, v25
	v_fma_f32 v25, 0x3f317218, v9, -v26
	s_delay_alu instid0(VALU_DEP_1) | instskip(NEXT) | instid1(VALU_DEP_1)
	v_dual_sub_f32 v12, v24, v12 :: v_dual_fmamk_f32 v9, v9, 0xb102e308, v25
	v_add_f32_e32 v10, v10, v12
	s_delay_alu instid0(VALU_DEP_2) | instskip(NEXT) | instid1(VALU_DEP_2)
	v_add_f32_e32 v12, v26, v9
	v_add_f32_e32 v24, v23, v10
	s_delay_alu instid0(VALU_DEP_2) | instskip(NEXT) | instid1(VALU_DEP_2)
	v_sub_f32_e32 v26, v12, v26
	v_add_f32_e32 v25, v12, v24
	v_sub_f32_e32 v23, v24, v23
	s_delay_alu instid0(VALU_DEP_3) | instskip(NEXT) | instid1(VALU_DEP_2)
	v_sub_f32_e32 v9, v9, v26
	v_dual_sub_f32 v27, v25, v12 :: v_dual_sub_f32 v10, v10, v23
	s_delay_alu instid0(VALU_DEP_1) | instskip(NEXT) | instid1(VALU_DEP_2)
	v_sub_f32_e32 v28, v25, v27
	v_dual_sub_f32 v23, v24, v27 :: v_dual_add_f32 v24, v9, v10
	s_delay_alu instid0(VALU_DEP_2) | instskip(NEXT) | instid1(VALU_DEP_1)
	v_sub_f32_e32 v12, v12, v28
	v_dual_add_f32 v12, v23, v12 :: v_dual_sub_f32 v23, v24, v9
	s_delay_alu instid0(VALU_DEP_1) | instskip(NEXT) | instid1(VALU_DEP_2)
	v_add_f32_e32 v12, v24, v12
	v_sub_f32_e32 v24, v24, v23
	v_sub_f32_e32 v10, v10, v23
	s_delay_alu instid0(VALU_DEP_3) | instskip(NEXT) | instid1(VALU_DEP_3)
	v_add_f32_e32 v26, v25, v12
	v_sub_f32_e32 v9, v9, v24
	s_delay_alu instid0(VALU_DEP_2) | instskip(NEXT) | instid1(VALU_DEP_1)
	v_sub_f32_e32 v23, v26, v25
	v_dual_add_f32 v9, v10, v9 :: v_dual_sub_f32 v10, v12, v23
	s_delay_alu instid0(VALU_DEP_1) | instskip(NEXT) | instid1(VALU_DEP_1)
	v_add_f32_e32 v9, v9, v10
	v_add_f32_e32 v9, v26, v9
	s_delay_alu instid0(VALU_DEP_1) | instskip(NEXT) | instid1(VALU_DEP_1)
	v_cndmask_b32_e64 v9, v9, v11, s8
	v_add_f32_e32 v10, v4, v9
.LBB164_23:
	s_or_b32 exec_lo, exec_lo, s29
	ds_load_b32 v4, v5 offset:8
	v_max_f32_e32 v9, v10, v10
	v_cmp_u_f32_e64 s8, v10, v10
	s_waitcnt lgkmcnt(0)
	v_max_f32_e32 v11, v4, v4
	s_delay_alu instid0(VALU_DEP_1) | instskip(SKIP_1) | instid1(VALU_DEP_2)
	v_min_f32_e32 v12, v9, v11
	v_max_f32_e32 v9, v9, v11
	v_cndmask_b32_e64 v11, v12, v10, s8
	s_delay_alu instid0(VALU_DEP_2) | instskip(SKIP_1) | instid1(VALU_DEP_1)
	v_cndmask_b32_e64 v12, v9, v10, s8
	v_cmp_u_f32_e64 s8, v4, v4
	v_cndmask_b32_e64 v9, v11, v4, s8
	s_delay_alu instid0(VALU_DEP_3) | instskip(NEXT) | instid1(VALU_DEP_2)
	v_cndmask_b32_e64 v4, v12, v4, s8
	v_cmp_class_f32_e64 s29, v9, 0x1f8
	s_delay_alu instid0(VALU_DEP_2) | instskip(NEXT) | instid1(VALU_DEP_1)
	v_cmp_neq_f32_e64 s8, v9, v4
	s_or_b32 s8, s8, s29
	s_delay_alu instid0(SALU_CYCLE_1)
	s_and_saveexec_b32 s29, s8
	s_cbranch_execz .LBB164_25
; %bb.24:
	v_sub_f32_e32 v9, v9, v4
	s_delay_alu instid0(VALU_DEP_1) | instskip(NEXT) | instid1(VALU_DEP_1)
	v_mul_f32_e32 v10, 0x3fb8aa3b, v9
	v_fma_f32 v11, 0x3fb8aa3b, v9, -v10
	v_rndne_f32_e32 v12, v10
	s_delay_alu instid0(VALU_DEP_1) | instskip(NEXT) | instid1(VALU_DEP_1)
	v_dual_fmamk_f32 v11, v9, 0x32a5705f, v11 :: v_dual_sub_f32 v10, v10, v12
	v_add_f32_e32 v10, v10, v11
	v_cvt_i32_f32_e32 v11, v12
	v_cmp_ngt_f32_e64 s8, 0xc2ce8ed0, v9
	s_delay_alu instid0(VALU_DEP_3) | instskip(SKIP_2) | instid1(VALU_DEP_1)
	v_exp_f32_e32 v10, v10
	s_waitcnt_depctr 0xfff
	v_ldexp_f32 v10, v10, v11
	v_cndmask_b32_e64 v10, 0, v10, s8
	v_cmp_nlt_f32_e64 s8, 0x42b17218, v9
	s_delay_alu instid0(VALU_DEP_1) | instskip(NEXT) | instid1(VALU_DEP_1)
	v_cndmask_b32_e64 v11, 0x7f800000, v10, s8
	v_add_f32_e32 v12, 1.0, v11
	v_cmp_gt_f32_e64 s30, 0x33800000, |v11|
	s_delay_alu instid0(VALU_DEP_2) | instskip(NEXT) | instid1(VALU_DEP_1)
	v_cvt_f64_f32_e32 v[9:10], v12
	v_frexp_exp_i32_f64_e32 v9, v[9:10]
	v_frexp_mant_f32_e32 v10, v12
	s_delay_alu instid0(VALU_DEP_1) | instskip(SKIP_1) | instid1(VALU_DEP_1)
	v_cmp_gt_f32_e64 s8, 0x3f2aaaab, v10
	v_add_f32_e32 v10, -1.0, v12
	v_sub_f32_e32 v24, v10, v12
	s_delay_alu instid0(VALU_DEP_1) | instskip(NEXT) | instid1(VALU_DEP_4)
	v_add_f32_e32 v24, 1.0, v24
	v_subrev_co_ci_u32_e64 v9, s8, 0, v9, s8
	s_mov_b32 s8, 0x3e9b6dac
	s_delay_alu instid0(VALU_DEP_1) | instskip(SKIP_1) | instid1(VALU_DEP_2)
	v_sub_nc_u32_e32 v23, 0, v9
	v_cvt_f32_i32_e32 v9, v9
	v_ldexp_f32 v12, v12, v23
	s_delay_alu instid0(VALU_DEP_1) | instskip(NEXT) | instid1(VALU_DEP_1)
	v_dual_sub_f32 v10, v11, v10 :: v_dual_add_f32 v25, 1.0, v12
	v_add_f32_e32 v10, v10, v24
	s_delay_alu instid0(VALU_DEP_2) | instskip(NEXT) | instid1(VALU_DEP_2)
	v_add_f32_e32 v24, -1.0, v25
	v_ldexp_f32 v10, v10, v23
	v_add_f32_e32 v23, -1.0, v12
	s_delay_alu instid0(VALU_DEP_3) | instskip(NEXT) | instid1(VALU_DEP_2)
	v_sub_f32_e32 v24, v12, v24
	v_add_f32_e32 v26, 1.0, v23
	s_delay_alu instid0(VALU_DEP_2) | instskip(NEXT) | instid1(VALU_DEP_2)
	v_add_f32_e32 v24, v10, v24
	v_sub_f32_e32 v12, v12, v26
	s_delay_alu instid0(VALU_DEP_2) | instskip(NEXT) | instid1(VALU_DEP_2)
	v_add_f32_e32 v26, v25, v24
	v_add_f32_e32 v10, v10, v12
	s_delay_alu instid0(VALU_DEP_2) | instskip(SKIP_1) | instid1(VALU_DEP_1)
	v_rcp_f32_e32 v12, v26
	v_sub_f32_e32 v25, v25, v26
	v_dual_add_f32 v27, v23, v10 :: v_dual_add_f32 v24, v24, v25
	s_delay_alu instid0(VALU_DEP_1) | instskip(SKIP_3) | instid1(VALU_DEP_2)
	v_sub_f32_e32 v23, v23, v27
	s_waitcnt_depctr 0xfff
	v_mul_f32_e32 v28, v27, v12
	v_add_f32_e32 v10, v10, v23
	v_mul_f32_e32 v29, v26, v28
	s_delay_alu instid0(VALU_DEP_1) | instskip(NEXT) | instid1(VALU_DEP_1)
	v_fma_f32 v25, v28, v26, -v29
	v_fmac_f32_e32 v25, v28, v24
	s_delay_alu instid0(VALU_DEP_1) | instskip(NEXT) | instid1(VALU_DEP_1)
	v_add_f32_e32 v30, v29, v25
	v_sub_f32_e32 v31, v27, v30
	v_sub_f32_e32 v23, v30, v29
	s_delay_alu instid0(VALU_DEP_2) | instskip(NEXT) | instid1(VALU_DEP_2)
	v_sub_f32_e32 v27, v27, v31
	v_sub_f32_e32 v23, v23, v25
	s_delay_alu instid0(VALU_DEP_2) | instskip(NEXT) | instid1(VALU_DEP_1)
	v_sub_f32_e32 v27, v27, v30
	v_add_f32_e32 v10, v10, v27
	s_delay_alu instid0(VALU_DEP_1) | instskip(NEXT) | instid1(VALU_DEP_1)
	v_add_f32_e32 v10, v23, v10
	v_add_f32_e32 v23, v31, v10
	s_delay_alu instid0(VALU_DEP_1) | instskip(NEXT) | instid1(VALU_DEP_1)
	v_mul_f32_e32 v25, v12, v23
	v_dual_sub_f32 v30, v31, v23 :: v_dual_mul_f32 v27, v26, v25
	s_delay_alu instid0(VALU_DEP_1) | instskip(NEXT) | instid1(VALU_DEP_1)
	v_fma_f32 v26, v25, v26, -v27
	v_fmac_f32_e32 v26, v25, v24
	s_delay_alu instid0(VALU_DEP_1) | instskip(NEXT) | instid1(VALU_DEP_1)
	v_add_f32_e32 v24, v27, v26
	v_sub_f32_e32 v29, v23, v24
	v_dual_sub_f32 v27, v24, v27 :: v_dual_add_f32 v10, v10, v30
	s_delay_alu instid0(VALU_DEP_2) | instskip(NEXT) | instid1(VALU_DEP_1)
	v_sub_f32_e32 v23, v23, v29
	v_sub_f32_e32 v23, v23, v24
	s_delay_alu instid0(VALU_DEP_1) | instskip(NEXT) | instid1(VALU_DEP_4)
	v_dual_add_f32 v10, v10, v23 :: v_dual_add_f32 v23, v28, v25
	v_sub_f32_e32 v24, v27, v26
	s_delay_alu instid0(VALU_DEP_1) | instskip(NEXT) | instid1(VALU_DEP_3)
	v_add_f32_e32 v10, v24, v10
	v_sub_f32_e32 v24, v23, v28
	s_delay_alu instid0(VALU_DEP_2) | instskip(NEXT) | instid1(VALU_DEP_2)
	v_add_f32_e32 v10, v29, v10
	v_sub_f32_e32 v24, v25, v24
	s_delay_alu instid0(VALU_DEP_2) | instskip(NEXT) | instid1(VALU_DEP_1)
	v_mul_f32_e32 v10, v12, v10
	v_add_f32_e32 v10, v24, v10
	s_delay_alu instid0(VALU_DEP_1) | instskip(NEXT) | instid1(VALU_DEP_1)
	v_add_f32_e32 v12, v23, v10
	v_mul_f32_e32 v24, v12, v12
	s_delay_alu instid0(VALU_DEP_1) | instskip(SKIP_2) | instid1(VALU_DEP_3)
	v_fmaak_f32 v25, s8, v24, 0x3ecc95a3
	v_mul_f32_e32 v26, v12, v24
	v_cmp_eq_f32_e64 s8, 0x7f800000, v11
	v_fmaak_f32 v24, v24, v25, 0x3f2aaada
	v_ldexp_f32 v25, v12, 1
	v_sub_f32_e32 v12, v12, v23
	s_delay_alu instid0(VALU_DEP_4) | instskip(NEXT) | instid1(VALU_DEP_3)
	s_or_b32 s8, s8, s30
	v_mul_f32_e32 v24, v26, v24
	v_mul_f32_e32 v26, 0x3f317218, v9
	s_delay_alu instid0(VALU_DEP_3) | instskip(NEXT) | instid1(VALU_DEP_3)
	v_sub_f32_e32 v10, v10, v12
	v_add_f32_e32 v23, v25, v24
	s_delay_alu instid0(VALU_DEP_2) | instskip(NEXT) | instid1(VALU_DEP_2)
	v_ldexp_f32 v10, v10, 1
	v_sub_f32_e32 v12, v23, v25
	v_fma_f32 v25, 0x3f317218, v9, -v26
	s_delay_alu instid0(VALU_DEP_1) | instskip(NEXT) | instid1(VALU_DEP_1)
	v_dual_sub_f32 v12, v24, v12 :: v_dual_fmamk_f32 v9, v9, 0xb102e308, v25
	v_add_f32_e32 v10, v10, v12
	s_delay_alu instid0(VALU_DEP_2) | instskip(NEXT) | instid1(VALU_DEP_2)
	v_add_f32_e32 v12, v26, v9
	v_add_f32_e32 v24, v23, v10
	s_delay_alu instid0(VALU_DEP_2) | instskip(NEXT) | instid1(VALU_DEP_2)
	v_sub_f32_e32 v26, v12, v26
	v_add_f32_e32 v25, v12, v24
	v_sub_f32_e32 v23, v24, v23
	s_delay_alu instid0(VALU_DEP_3) | instskip(NEXT) | instid1(VALU_DEP_2)
	v_sub_f32_e32 v9, v9, v26
	v_dual_sub_f32 v27, v25, v12 :: v_dual_sub_f32 v10, v10, v23
	s_delay_alu instid0(VALU_DEP_1) | instskip(NEXT) | instid1(VALU_DEP_2)
	v_sub_f32_e32 v28, v25, v27
	v_dual_sub_f32 v23, v24, v27 :: v_dual_add_f32 v24, v9, v10
	s_delay_alu instid0(VALU_DEP_2) | instskip(NEXT) | instid1(VALU_DEP_1)
	v_sub_f32_e32 v12, v12, v28
	v_dual_add_f32 v12, v23, v12 :: v_dual_sub_f32 v23, v24, v9
	s_delay_alu instid0(VALU_DEP_1) | instskip(NEXT) | instid1(VALU_DEP_2)
	v_add_f32_e32 v12, v24, v12
	v_sub_f32_e32 v24, v24, v23
	v_sub_f32_e32 v10, v10, v23
	s_delay_alu instid0(VALU_DEP_3) | instskip(NEXT) | instid1(VALU_DEP_3)
	v_add_f32_e32 v26, v25, v12
	v_sub_f32_e32 v9, v9, v24
	s_delay_alu instid0(VALU_DEP_2) | instskip(NEXT) | instid1(VALU_DEP_1)
	v_sub_f32_e32 v23, v26, v25
	v_dual_add_f32 v9, v10, v9 :: v_dual_sub_f32 v10, v12, v23
	s_delay_alu instid0(VALU_DEP_1) | instskip(NEXT) | instid1(VALU_DEP_1)
	v_add_f32_e32 v9, v9, v10
	v_add_f32_e32 v9, v26, v9
	s_delay_alu instid0(VALU_DEP_1) | instskip(NEXT) | instid1(VALU_DEP_1)
	v_cndmask_b32_e64 v9, v9, v11, s8
	v_add_f32_e32 v10, v4, v9
.LBB164_25:
	s_or_b32 exec_lo, exec_lo, s29
	ds_load_b32 v4, v5 offset:12
	v_max_f32_e32 v9, v10, v10
	v_cmp_u_f32_e64 s8, v10, v10
	s_waitcnt lgkmcnt(0)
	v_max_f32_e32 v11, v4, v4
	s_delay_alu instid0(VALU_DEP_1) | instskip(SKIP_1) | instid1(VALU_DEP_2)
	v_min_f32_e32 v12, v9, v11
	v_max_f32_e32 v9, v9, v11
	v_cndmask_b32_e64 v11, v12, v10, s8
	s_delay_alu instid0(VALU_DEP_2) | instskip(SKIP_1) | instid1(VALU_DEP_1)
	v_cndmask_b32_e64 v12, v9, v10, s8
	v_cmp_u_f32_e64 s8, v4, v4
	v_cndmask_b32_e64 v9, v11, v4, s8
	s_delay_alu instid0(VALU_DEP_3) | instskip(NEXT) | instid1(VALU_DEP_2)
	v_cndmask_b32_e64 v4, v12, v4, s8
	v_cmp_class_f32_e64 s29, v9, 0x1f8
	s_delay_alu instid0(VALU_DEP_2) | instskip(NEXT) | instid1(VALU_DEP_1)
	v_cmp_neq_f32_e64 s8, v9, v4
	s_or_b32 s8, s8, s29
	s_delay_alu instid0(SALU_CYCLE_1)
	s_and_saveexec_b32 s29, s8
	s_cbranch_execz .LBB164_27
; %bb.26:
	v_sub_f32_e32 v9, v9, v4
	s_delay_alu instid0(VALU_DEP_1) | instskip(NEXT) | instid1(VALU_DEP_1)
	v_mul_f32_e32 v10, 0x3fb8aa3b, v9
	v_fma_f32 v11, 0x3fb8aa3b, v9, -v10
	v_rndne_f32_e32 v12, v10
	s_delay_alu instid0(VALU_DEP_1) | instskip(NEXT) | instid1(VALU_DEP_1)
	v_dual_fmamk_f32 v11, v9, 0x32a5705f, v11 :: v_dual_sub_f32 v10, v10, v12
	v_add_f32_e32 v10, v10, v11
	v_cvt_i32_f32_e32 v11, v12
	v_cmp_ngt_f32_e64 s8, 0xc2ce8ed0, v9
	s_delay_alu instid0(VALU_DEP_3) | instskip(SKIP_2) | instid1(VALU_DEP_1)
	v_exp_f32_e32 v10, v10
	s_waitcnt_depctr 0xfff
	v_ldexp_f32 v10, v10, v11
	v_cndmask_b32_e64 v10, 0, v10, s8
	v_cmp_nlt_f32_e64 s8, 0x42b17218, v9
	s_delay_alu instid0(VALU_DEP_1) | instskip(NEXT) | instid1(VALU_DEP_1)
	v_cndmask_b32_e64 v11, 0x7f800000, v10, s8
	v_add_f32_e32 v12, 1.0, v11
	v_cmp_gt_f32_e64 s30, 0x33800000, |v11|
	s_delay_alu instid0(VALU_DEP_2) | instskip(NEXT) | instid1(VALU_DEP_1)
	v_cvt_f64_f32_e32 v[9:10], v12
	v_frexp_exp_i32_f64_e32 v9, v[9:10]
	v_frexp_mant_f32_e32 v10, v12
	s_delay_alu instid0(VALU_DEP_1) | instskip(SKIP_1) | instid1(VALU_DEP_1)
	v_cmp_gt_f32_e64 s8, 0x3f2aaaab, v10
	v_add_f32_e32 v10, -1.0, v12
	v_sub_f32_e32 v24, v10, v12
	s_delay_alu instid0(VALU_DEP_1) | instskip(NEXT) | instid1(VALU_DEP_4)
	v_add_f32_e32 v24, 1.0, v24
	v_subrev_co_ci_u32_e64 v9, s8, 0, v9, s8
	s_mov_b32 s8, 0x3e9b6dac
	s_delay_alu instid0(VALU_DEP_1) | instskip(SKIP_1) | instid1(VALU_DEP_2)
	v_sub_nc_u32_e32 v23, 0, v9
	v_cvt_f32_i32_e32 v9, v9
	v_ldexp_f32 v12, v12, v23
	s_delay_alu instid0(VALU_DEP_1) | instskip(NEXT) | instid1(VALU_DEP_1)
	v_dual_sub_f32 v10, v11, v10 :: v_dual_add_f32 v25, 1.0, v12
	v_add_f32_e32 v10, v10, v24
	s_delay_alu instid0(VALU_DEP_2) | instskip(NEXT) | instid1(VALU_DEP_2)
	v_add_f32_e32 v24, -1.0, v25
	v_ldexp_f32 v10, v10, v23
	v_add_f32_e32 v23, -1.0, v12
	s_delay_alu instid0(VALU_DEP_3) | instskip(NEXT) | instid1(VALU_DEP_2)
	v_sub_f32_e32 v24, v12, v24
	v_add_f32_e32 v26, 1.0, v23
	s_delay_alu instid0(VALU_DEP_2) | instskip(NEXT) | instid1(VALU_DEP_2)
	v_add_f32_e32 v24, v10, v24
	v_sub_f32_e32 v12, v12, v26
	s_delay_alu instid0(VALU_DEP_2) | instskip(NEXT) | instid1(VALU_DEP_2)
	v_add_f32_e32 v26, v25, v24
	v_add_f32_e32 v10, v10, v12
	s_delay_alu instid0(VALU_DEP_2) | instskip(SKIP_1) | instid1(VALU_DEP_1)
	v_rcp_f32_e32 v12, v26
	v_sub_f32_e32 v25, v25, v26
	v_dual_add_f32 v27, v23, v10 :: v_dual_add_f32 v24, v24, v25
	s_delay_alu instid0(VALU_DEP_1) | instskip(SKIP_3) | instid1(VALU_DEP_2)
	v_sub_f32_e32 v23, v23, v27
	s_waitcnt_depctr 0xfff
	v_mul_f32_e32 v28, v27, v12
	v_add_f32_e32 v10, v10, v23
	v_mul_f32_e32 v29, v26, v28
	s_delay_alu instid0(VALU_DEP_1) | instskip(NEXT) | instid1(VALU_DEP_1)
	v_fma_f32 v25, v28, v26, -v29
	v_fmac_f32_e32 v25, v28, v24
	s_delay_alu instid0(VALU_DEP_1) | instskip(NEXT) | instid1(VALU_DEP_1)
	v_add_f32_e32 v30, v29, v25
	v_sub_f32_e32 v31, v27, v30
	v_sub_f32_e32 v23, v30, v29
	s_delay_alu instid0(VALU_DEP_2) | instskip(NEXT) | instid1(VALU_DEP_2)
	v_sub_f32_e32 v27, v27, v31
	v_sub_f32_e32 v23, v23, v25
	s_delay_alu instid0(VALU_DEP_2) | instskip(NEXT) | instid1(VALU_DEP_1)
	v_sub_f32_e32 v27, v27, v30
	v_add_f32_e32 v10, v10, v27
	s_delay_alu instid0(VALU_DEP_1) | instskip(NEXT) | instid1(VALU_DEP_1)
	v_add_f32_e32 v10, v23, v10
	v_add_f32_e32 v23, v31, v10
	s_delay_alu instid0(VALU_DEP_1) | instskip(NEXT) | instid1(VALU_DEP_1)
	v_mul_f32_e32 v25, v12, v23
	v_dual_sub_f32 v30, v31, v23 :: v_dual_mul_f32 v27, v26, v25
	s_delay_alu instid0(VALU_DEP_1) | instskip(NEXT) | instid1(VALU_DEP_1)
	v_fma_f32 v26, v25, v26, -v27
	v_fmac_f32_e32 v26, v25, v24
	s_delay_alu instid0(VALU_DEP_1) | instskip(NEXT) | instid1(VALU_DEP_1)
	v_add_f32_e32 v24, v27, v26
	v_sub_f32_e32 v29, v23, v24
	v_dual_sub_f32 v27, v24, v27 :: v_dual_add_f32 v10, v10, v30
	s_delay_alu instid0(VALU_DEP_2) | instskip(NEXT) | instid1(VALU_DEP_1)
	v_sub_f32_e32 v23, v23, v29
	v_sub_f32_e32 v23, v23, v24
	s_delay_alu instid0(VALU_DEP_1) | instskip(NEXT) | instid1(VALU_DEP_4)
	v_dual_add_f32 v10, v10, v23 :: v_dual_add_f32 v23, v28, v25
	v_sub_f32_e32 v24, v27, v26
	s_delay_alu instid0(VALU_DEP_1) | instskip(NEXT) | instid1(VALU_DEP_3)
	v_add_f32_e32 v10, v24, v10
	v_sub_f32_e32 v24, v23, v28
	s_delay_alu instid0(VALU_DEP_2) | instskip(NEXT) | instid1(VALU_DEP_2)
	v_add_f32_e32 v10, v29, v10
	v_sub_f32_e32 v24, v25, v24
	s_delay_alu instid0(VALU_DEP_2) | instskip(NEXT) | instid1(VALU_DEP_1)
	v_mul_f32_e32 v10, v12, v10
	v_add_f32_e32 v10, v24, v10
	s_delay_alu instid0(VALU_DEP_1) | instskip(NEXT) | instid1(VALU_DEP_1)
	v_add_f32_e32 v12, v23, v10
	v_mul_f32_e32 v24, v12, v12
	s_delay_alu instid0(VALU_DEP_1) | instskip(SKIP_2) | instid1(VALU_DEP_3)
	v_fmaak_f32 v25, s8, v24, 0x3ecc95a3
	v_mul_f32_e32 v26, v12, v24
	v_cmp_eq_f32_e64 s8, 0x7f800000, v11
	v_fmaak_f32 v24, v24, v25, 0x3f2aaada
	v_ldexp_f32 v25, v12, 1
	v_sub_f32_e32 v12, v12, v23
	s_delay_alu instid0(VALU_DEP_4) | instskip(NEXT) | instid1(VALU_DEP_3)
	s_or_b32 s8, s8, s30
	v_mul_f32_e32 v24, v26, v24
	v_mul_f32_e32 v26, 0x3f317218, v9
	s_delay_alu instid0(VALU_DEP_3) | instskip(NEXT) | instid1(VALU_DEP_3)
	v_sub_f32_e32 v10, v10, v12
	v_add_f32_e32 v23, v25, v24
	s_delay_alu instid0(VALU_DEP_2) | instskip(NEXT) | instid1(VALU_DEP_2)
	v_ldexp_f32 v10, v10, 1
	v_sub_f32_e32 v12, v23, v25
	v_fma_f32 v25, 0x3f317218, v9, -v26
	s_delay_alu instid0(VALU_DEP_1) | instskip(NEXT) | instid1(VALU_DEP_1)
	v_dual_sub_f32 v12, v24, v12 :: v_dual_fmamk_f32 v9, v9, 0xb102e308, v25
	v_add_f32_e32 v10, v10, v12
	s_delay_alu instid0(VALU_DEP_2) | instskip(NEXT) | instid1(VALU_DEP_2)
	v_add_f32_e32 v12, v26, v9
	v_add_f32_e32 v24, v23, v10
	s_delay_alu instid0(VALU_DEP_2) | instskip(NEXT) | instid1(VALU_DEP_2)
	v_sub_f32_e32 v26, v12, v26
	v_add_f32_e32 v25, v12, v24
	v_sub_f32_e32 v23, v24, v23
	s_delay_alu instid0(VALU_DEP_3) | instskip(NEXT) | instid1(VALU_DEP_2)
	v_sub_f32_e32 v9, v9, v26
	v_dual_sub_f32 v27, v25, v12 :: v_dual_sub_f32 v10, v10, v23
	s_delay_alu instid0(VALU_DEP_1) | instskip(NEXT) | instid1(VALU_DEP_2)
	v_sub_f32_e32 v28, v25, v27
	v_dual_sub_f32 v23, v24, v27 :: v_dual_add_f32 v24, v9, v10
	s_delay_alu instid0(VALU_DEP_2) | instskip(NEXT) | instid1(VALU_DEP_1)
	v_sub_f32_e32 v12, v12, v28
	v_dual_add_f32 v12, v23, v12 :: v_dual_sub_f32 v23, v24, v9
	s_delay_alu instid0(VALU_DEP_1) | instskip(NEXT) | instid1(VALU_DEP_2)
	v_add_f32_e32 v12, v24, v12
	v_sub_f32_e32 v24, v24, v23
	v_sub_f32_e32 v10, v10, v23
	s_delay_alu instid0(VALU_DEP_3) | instskip(NEXT) | instid1(VALU_DEP_3)
	v_add_f32_e32 v26, v25, v12
	v_sub_f32_e32 v9, v9, v24
	s_delay_alu instid0(VALU_DEP_2) | instskip(NEXT) | instid1(VALU_DEP_1)
	v_sub_f32_e32 v23, v26, v25
	v_dual_add_f32 v9, v10, v9 :: v_dual_sub_f32 v10, v12, v23
	s_delay_alu instid0(VALU_DEP_1) | instskip(NEXT) | instid1(VALU_DEP_1)
	v_add_f32_e32 v9, v9, v10
	v_add_f32_e32 v9, v26, v9
	s_delay_alu instid0(VALU_DEP_1) | instskip(NEXT) | instid1(VALU_DEP_1)
	v_cndmask_b32_e64 v9, v9, v11, s8
	v_add_f32_e32 v10, v4, v9
.LBB164_27:
	s_or_b32 exec_lo, exec_lo, s29
	ds_load_b32 v4, v5 offset:16
	v_max_f32_e32 v9, v10, v10
	v_cmp_u_f32_e64 s8, v10, v10
	s_waitcnt lgkmcnt(0)
	v_max_f32_e32 v11, v4, v4
	s_delay_alu instid0(VALU_DEP_1) | instskip(SKIP_1) | instid1(VALU_DEP_2)
	v_min_f32_e32 v12, v9, v11
	v_max_f32_e32 v9, v9, v11
	v_cndmask_b32_e64 v11, v12, v10, s8
	s_delay_alu instid0(VALU_DEP_2) | instskip(SKIP_1) | instid1(VALU_DEP_1)
	v_cndmask_b32_e64 v12, v9, v10, s8
	v_cmp_u_f32_e64 s8, v4, v4
	v_cndmask_b32_e64 v9, v11, v4, s8
	s_delay_alu instid0(VALU_DEP_3) | instskip(NEXT) | instid1(VALU_DEP_2)
	v_cndmask_b32_e64 v4, v12, v4, s8
	v_cmp_class_f32_e64 s29, v9, 0x1f8
	s_delay_alu instid0(VALU_DEP_2) | instskip(NEXT) | instid1(VALU_DEP_1)
	v_cmp_neq_f32_e64 s8, v9, v4
	s_or_b32 s8, s8, s29
	s_delay_alu instid0(SALU_CYCLE_1)
	s_and_saveexec_b32 s29, s8
	s_cbranch_execz .LBB164_29
; %bb.28:
	v_sub_f32_e32 v9, v9, v4
	s_delay_alu instid0(VALU_DEP_1) | instskip(NEXT) | instid1(VALU_DEP_1)
	v_mul_f32_e32 v10, 0x3fb8aa3b, v9
	v_fma_f32 v11, 0x3fb8aa3b, v9, -v10
	v_rndne_f32_e32 v12, v10
	s_delay_alu instid0(VALU_DEP_1) | instskip(NEXT) | instid1(VALU_DEP_1)
	v_dual_fmamk_f32 v11, v9, 0x32a5705f, v11 :: v_dual_sub_f32 v10, v10, v12
	v_add_f32_e32 v10, v10, v11
	v_cvt_i32_f32_e32 v11, v12
	v_cmp_ngt_f32_e64 s8, 0xc2ce8ed0, v9
	s_delay_alu instid0(VALU_DEP_3) | instskip(SKIP_2) | instid1(VALU_DEP_1)
	v_exp_f32_e32 v10, v10
	s_waitcnt_depctr 0xfff
	v_ldexp_f32 v10, v10, v11
	v_cndmask_b32_e64 v10, 0, v10, s8
	v_cmp_nlt_f32_e64 s8, 0x42b17218, v9
	s_delay_alu instid0(VALU_DEP_1) | instskip(NEXT) | instid1(VALU_DEP_1)
	v_cndmask_b32_e64 v11, 0x7f800000, v10, s8
	v_add_f32_e32 v12, 1.0, v11
	v_cmp_gt_f32_e64 s30, 0x33800000, |v11|
	s_delay_alu instid0(VALU_DEP_2) | instskip(NEXT) | instid1(VALU_DEP_1)
	v_cvt_f64_f32_e32 v[9:10], v12
	v_frexp_exp_i32_f64_e32 v9, v[9:10]
	v_frexp_mant_f32_e32 v10, v12
	s_delay_alu instid0(VALU_DEP_1) | instskip(SKIP_1) | instid1(VALU_DEP_1)
	v_cmp_gt_f32_e64 s8, 0x3f2aaaab, v10
	v_add_f32_e32 v10, -1.0, v12
	v_sub_f32_e32 v24, v10, v12
	s_delay_alu instid0(VALU_DEP_1) | instskip(NEXT) | instid1(VALU_DEP_4)
	v_add_f32_e32 v24, 1.0, v24
	v_subrev_co_ci_u32_e64 v9, s8, 0, v9, s8
	s_mov_b32 s8, 0x3e9b6dac
	s_delay_alu instid0(VALU_DEP_1) | instskip(SKIP_1) | instid1(VALU_DEP_2)
	v_sub_nc_u32_e32 v23, 0, v9
	v_cvt_f32_i32_e32 v9, v9
	v_ldexp_f32 v12, v12, v23
	s_delay_alu instid0(VALU_DEP_1) | instskip(NEXT) | instid1(VALU_DEP_1)
	v_dual_sub_f32 v10, v11, v10 :: v_dual_add_f32 v25, 1.0, v12
	v_add_f32_e32 v10, v10, v24
	s_delay_alu instid0(VALU_DEP_2) | instskip(NEXT) | instid1(VALU_DEP_2)
	v_add_f32_e32 v24, -1.0, v25
	v_ldexp_f32 v10, v10, v23
	v_add_f32_e32 v23, -1.0, v12
	s_delay_alu instid0(VALU_DEP_3) | instskip(NEXT) | instid1(VALU_DEP_2)
	v_sub_f32_e32 v24, v12, v24
	v_add_f32_e32 v26, 1.0, v23
	s_delay_alu instid0(VALU_DEP_2) | instskip(NEXT) | instid1(VALU_DEP_2)
	v_add_f32_e32 v24, v10, v24
	v_sub_f32_e32 v12, v12, v26
	s_delay_alu instid0(VALU_DEP_2) | instskip(NEXT) | instid1(VALU_DEP_2)
	v_add_f32_e32 v26, v25, v24
	v_add_f32_e32 v10, v10, v12
	s_delay_alu instid0(VALU_DEP_2) | instskip(SKIP_1) | instid1(VALU_DEP_1)
	v_rcp_f32_e32 v12, v26
	v_sub_f32_e32 v25, v25, v26
	v_dual_add_f32 v27, v23, v10 :: v_dual_add_f32 v24, v24, v25
	s_delay_alu instid0(VALU_DEP_1) | instskip(SKIP_3) | instid1(VALU_DEP_2)
	v_sub_f32_e32 v23, v23, v27
	s_waitcnt_depctr 0xfff
	v_mul_f32_e32 v28, v27, v12
	v_add_f32_e32 v10, v10, v23
	v_mul_f32_e32 v29, v26, v28
	s_delay_alu instid0(VALU_DEP_1) | instskip(NEXT) | instid1(VALU_DEP_1)
	v_fma_f32 v25, v28, v26, -v29
	v_fmac_f32_e32 v25, v28, v24
	s_delay_alu instid0(VALU_DEP_1) | instskip(NEXT) | instid1(VALU_DEP_1)
	v_add_f32_e32 v30, v29, v25
	v_sub_f32_e32 v31, v27, v30
	v_sub_f32_e32 v23, v30, v29
	s_delay_alu instid0(VALU_DEP_2) | instskip(NEXT) | instid1(VALU_DEP_2)
	v_sub_f32_e32 v27, v27, v31
	v_sub_f32_e32 v23, v23, v25
	s_delay_alu instid0(VALU_DEP_2) | instskip(NEXT) | instid1(VALU_DEP_1)
	v_sub_f32_e32 v27, v27, v30
	v_add_f32_e32 v10, v10, v27
	s_delay_alu instid0(VALU_DEP_1) | instskip(NEXT) | instid1(VALU_DEP_1)
	v_add_f32_e32 v10, v23, v10
	v_add_f32_e32 v23, v31, v10
	s_delay_alu instid0(VALU_DEP_1) | instskip(NEXT) | instid1(VALU_DEP_1)
	v_mul_f32_e32 v25, v12, v23
	v_dual_sub_f32 v30, v31, v23 :: v_dual_mul_f32 v27, v26, v25
	s_delay_alu instid0(VALU_DEP_1) | instskip(NEXT) | instid1(VALU_DEP_1)
	v_fma_f32 v26, v25, v26, -v27
	v_fmac_f32_e32 v26, v25, v24
	s_delay_alu instid0(VALU_DEP_1) | instskip(NEXT) | instid1(VALU_DEP_1)
	v_add_f32_e32 v24, v27, v26
	v_sub_f32_e32 v29, v23, v24
	v_dual_sub_f32 v27, v24, v27 :: v_dual_add_f32 v10, v10, v30
	s_delay_alu instid0(VALU_DEP_2) | instskip(NEXT) | instid1(VALU_DEP_1)
	v_sub_f32_e32 v23, v23, v29
	v_sub_f32_e32 v23, v23, v24
	s_delay_alu instid0(VALU_DEP_1) | instskip(NEXT) | instid1(VALU_DEP_4)
	v_dual_add_f32 v10, v10, v23 :: v_dual_add_f32 v23, v28, v25
	v_sub_f32_e32 v24, v27, v26
	s_delay_alu instid0(VALU_DEP_1) | instskip(NEXT) | instid1(VALU_DEP_3)
	v_add_f32_e32 v10, v24, v10
	v_sub_f32_e32 v24, v23, v28
	s_delay_alu instid0(VALU_DEP_2) | instskip(NEXT) | instid1(VALU_DEP_2)
	v_add_f32_e32 v10, v29, v10
	v_sub_f32_e32 v24, v25, v24
	s_delay_alu instid0(VALU_DEP_2) | instskip(NEXT) | instid1(VALU_DEP_1)
	v_mul_f32_e32 v10, v12, v10
	v_add_f32_e32 v10, v24, v10
	s_delay_alu instid0(VALU_DEP_1) | instskip(NEXT) | instid1(VALU_DEP_1)
	v_add_f32_e32 v12, v23, v10
	v_mul_f32_e32 v24, v12, v12
	s_delay_alu instid0(VALU_DEP_1) | instskip(SKIP_2) | instid1(VALU_DEP_3)
	v_fmaak_f32 v25, s8, v24, 0x3ecc95a3
	v_mul_f32_e32 v26, v12, v24
	v_cmp_eq_f32_e64 s8, 0x7f800000, v11
	v_fmaak_f32 v24, v24, v25, 0x3f2aaada
	v_ldexp_f32 v25, v12, 1
	v_sub_f32_e32 v12, v12, v23
	s_delay_alu instid0(VALU_DEP_4) | instskip(NEXT) | instid1(VALU_DEP_3)
	s_or_b32 s8, s8, s30
	v_mul_f32_e32 v24, v26, v24
	v_mul_f32_e32 v26, 0x3f317218, v9
	s_delay_alu instid0(VALU_DEP_3) | instskip(NEXT) | instid1(VALU_DEP_3)
	v_sub_f32_e32 v10, v10, v12
	v_add_f32_e32 v23, v25, v24
	s_delay_alu instid0(VALU_DEP_2) | instskip(NEXT) | instid1(VALU_DEP_2)
	v_ldexp_f32 v10, v10, 1
	v_sub_f32_e32 v12, v23, v25
	v_fma_f32 v25, 0x3f317218, v9, -v26
	s_delay_alu instid0(VALU_DEP_1) | instskip(NEXT) | instid1(VALU_DEP_1)
	v_dual_sub_f32 v12, v24, v12 :: v_dual_fmamk_f32 v9, v9, 0xb102e308, v25
	v_add_f32_e32 v10, v10, v12
	s_delay_alu instid0(VALU_DEP_2) | instskip(NEXT) | instid1(VALU_DEP_2)
	v_add_f32_e32 v12, v26, v9
	v_add_f32_e32 v24, v23, v10
	s_delay_alu instid0(VALU_DEP_2) | instskip(NEXT) | instid1(VALU_DEP_2)
	v_sub_f32_e32 v26, v12, v26
	v_add_f32_e32 v25, v12, v24
	v_sub_f32_e32 v23, v24, v23
	s_delay_alu instid0(VALU_DEP_3) | instskip(NEXT) | instid1(VALU_DEP_2)
	v_sub_f32_e32 v9, v9, v26
	v_dual_sub_f32 v27, v25, v12 :: v_dual_sub_f32 v10, v10, v23
	s_delay_alu instid0(VALU_DEP_1) | instskip(NEXT) | instid1(VALU_DEP_2)
	v_sub_f32_e32 v28, v25, v27
	v_dual_sub_f32 v23, v24, v27 :: v_dual_add_f32 v24, v9, v10
	s_delay_alu instid0(VALU_DEP_2) | instskip(NEXT) | instid1(VALU_DEP_1)
	v_sub_f32_e32 v12, v12, v28
	v_dual_add_f32 v12, v23, v12 :: v_dual_sub_f32 v23, v24, v9
	s_delay_alu instid0(VALU_DEP_1) | instskip(NEXT) | instid1(VALU_DEP_2)
	v_add_f32_e32 v12, v24, v12
	v_sub_f32_e32 v24, v24, v23
	v_sub_f32_e32 v10, v10, v23
	s_delay_alu instid0(VALU_DEP_3) | instskip(NEXT) | instid1(VALU_DEP_3)
	v_add_f32_e32 v26, v25, v12
	v_sub_f32_e32 v9, v9, v24
	s_delay_alu instid0(VALU_DEP_2) | instskip(NEXT) | instid1(VALU_DEP_1)
	v_sub_f32_e32 v23, v26, v25
	v_dual_add_f32 v9, v10, v9 :: v_dual_sub_f32 v10, v12, v23
	s_delay_alu instid0(VALU_DEP_1) | instskip(NEXT) | instid1(VALU_DEP_1)
	v_add_f32_e32 v9, v9, v10
	v_add_f32_e32 v9, v26, v9
	s_delay_alu instid0(VALU_DEP_1) | instskip(NEXT) | instid1(VALU_DEP_1)
	v_cndmask_b32_e64 v9, v9, v11, s8
	v_add_f32_e32 v10, v4, v9
.LBB164_29:
	s_or_b32 exec_lo, exec_lo, s29
	ds_load_b32 v4, v5 offset:20
	v_max_f32_e32 v9, v10, v10
	v_cmp_u_f32_e64 s8, v10, v10
	s_waitcnt lgkmcnt(0)
	v_max_f32_e32 v11, v4, v4
	s_delay_alu instid0(VALU_DEP_1) | instskip(SKIP_1) | instid1(VALU_DEP_2)
	v_min_f32_e32 v12, v9, v11
	v_max_f32_e32 v9, v9, v11
	v_cndmask_b32_e64 v11, v12, v10, s8
	s_delay_alu instid0(VALU_DEP_2) | instskip(SKIP_1) | instid1(VALU_DEP_1)
	v_cndmask_b32_e64 v12, v9, v10, s8
	v_cmp_u_f32_e64 s8, v4, v4
	v_cndmask_b32_e64 v9, v11, v4, s8
	s_delay_alu instid0(VALU_DEP_3) | instskip(NEXT) | instid1(VALU_DEP_2)
	v_cndmask_b32_e64 v4, v12, v4, s8
	v_cmp_class_f32_e64 s29, v9, 0x1f8
	s_delay_alu instid0(VALU_DEP_2) | instskip(NEXT) | instid1(VALU_DEP_1)
	v_cmp_neq_f32_e64 s8, v9, v4
	s_or_b32 s8, s8, s29
	s_delay_alu instid0(SALU_CYCLE_1)
	s_and_saveexec_b32 s29, s8
	s_cbranch_execz .LBB164_31
; %bb.30:
	v_sub_f32_e32 v9, v9, v4
	s_delay_alu instid0(VALU_DEP_1) | instskip(NEXT) | instid1(VALU_DEP_1)
	v_mul_f32_e32 v10, 0x3fb8aa3b, v9
	v_fma_f32 v11, 0x3fb8aa3b, v9, -v10
	v_rndne_f32_e32 v12, v10
	s_delay_alu instid0(VALU_DEP_1) | instskip(NEXT) | instid1(VALU_DEP_1)
	v_dual_fmamk_f32 v11, v9, 0x32a5705f, v11 :: v_dual_sub_f32 v10, v10, v12
	v_add_f32_e32 v10, v10, v11
	v_cvt_i32_f32_e32 v11, v12
	v_cmp_ngt_f32_e64 s8, 0xc2ce8ed0, v9
	s_delay_alu instid0(VALU_DEP_3) | instskip(SKIP_2) | instid1(VALU_DEP_1)
	v_exp_f32_e32 v10, v10
	s_waitcnt_depctr 0xfff
	v_ldexp_f32 v10, v10, v11
	v_cndmask_b32_e64 v10, 0, v10, s8
	v_cmp_nlt_f32_e64 s8, 0x42b17218, v9
	s_delay_alu instid0(VALU_DEP_1) | instskip(NEXT) | instid1(VALU_DEP_1)
	v_cndmask_b32_e64 v11, 0x7f800000, v10, s8
	v_add_f32_e32 v12, 1.0, v11
	v_cmp_gt_f32_e64 s30, 0x33800000, |v11|
	s_delay_alu instid0(VALU_DEP_2) | instskip(NEXT) | instid1(VALU_DEP_1)
	v_cvt_f64_f32_e32 v[9:10], v12
	v_frexp_exp_i32_f64_e32 v9, v[9:10]
	v_frexp_mant_f32_e32 v10, v12
	s_delay_alu instid0(VALU_DEP_1) | instskip(SKIP_1) | instid1(VALU_DEP_1)
	v_cmp_gt_f32_e64 s8, 0x3f2aaaab, v10
	v_add_f32_e32 v10, -1.0, v12
	v_sub_f32_e32 v24, v10, v12
	s_delay_alu instid0(VALU_DEP_1) | instskip(NEXT) | instid1(VALU_DEP_4)
	v_add_f32_e32 v24, 1.0, v24
	v_subrev_co_ci_u32_e64 v9, s8, 0, v9, s8
	s_mov_b32 s8, 0x3e9b6dac
	s_delay_alu instid0(VALU_DEP_1) | instskip(SKIP_1) | instid1(VALU_DEP_2)
	v_sub_nc_u32_e32 v23, 0, v9
	v_cvt_f32_i32_e32 v9, v9
	v_ldexp_f32 v12, v12, v23
	s_delay_alu instid0(VALU_DEP_1) | instskip(NEXT) | instid1(VALU_DEP_1)
	v_dual_sub_f32 v10, v11, v10 :: v_dual_add_f32 v25, 1.0, v12
	v_add_f32_e32 v10, v10, v24
	s_delay_alu instid0(VALU_DEP_2) | instskip(NEXT) | instid1(VALU_DEP_2)
	v_add_f32_e32 v24, -1.0, v25
	v_ldexp_f32 v10, v10, v23
	v_add_f32_e32 v23, -1.0, v12
	s_delay_alu instid0(VALU_DEP_3) | instskip(NEXT) | instid1(VALU_DEP_2)
	v_sub_f32_e32 v24, v12, v24
	v_add_f32_e32 v26, 1.0, v23
	s_delay_alu instid0(VALU_DEP_2) | instskip(NEXT) | instid1(VALU_DEP_2)
	v_add_f32_e32 v24, v10, v24
	v_sub_f32_e32 v12, v12, v26
	s_delay_alu instid0(VALU_DEP_2) | instskip(NEXT) | instid1(VALU_DEP_2)
	v_add_f32_e32 v26, v25, v24
	v_add_f32_e32 v10, v10, v12
	s_delay_alu instid0(VALU_DEP_2) | instskip(SKIP_1) | instid1(VALU_DEP_1)
	v_rcp_f32_e32 v12, v26
	v_sub_f32_e32 v25, v25, v26
	v_dual_add_f32 v27, v23, v10 :: v_dual_add_f32 v24, v24, v25
	s_delay_alu instid0(VALU_DEP_1) | instskip(SKIP_3) | instid1(VALU_DEP_2)
	v_sub_f32_e32 v23, v23, v27
	s_waitcnt_depctr 0xfff
	v_mul_f32_e32 v28, v27, v12
	v_add_f32_e32 v10, v10, v23
	v_mul_f32_e32 v29, v26, v28
	s_delay_alu instid0(VALU_DEP_1) | instskip(NEXT) | instid1(VALU_DEP_1)
	v_fma_f32 v25, v28, v26, -v29
	v_fmac_f32_e32 v25, v28, v24
	s_delay_alu instid0(VALU_DEP_1) | instskip(NEXT) | instid1(VALU_DEP_1)
	v_add_f32_e32 v30, v29, v25
	v_sub_f32_e32 v31, v27, v30
	v_sub_f32_e32 v23, v30, v29
	s_delay_alu instid0(VALU_DEP_2) | instskip(NEXT) | instid1(VALU_DEP_2)
	v_sub_f32_e32 v27, v27, v31
	v_sub_f32_e32 v23, v23, v25
	s_delay_alu instid0(VALU_DEP_2) | instskip(NEXT) | instid1(VALU_DEP_1)
	v_sub_f32_e32 v27, v27, v30
	v_add_f32_e32 v10, v10, v27
	s_delay_alu instid0(VALU_DEP_1) | instskip(NEXT) | instid1(VALU_DEP_1)
	v_add_f32_e32 v10, v23, v10
	v_add_f32_e32 v23, v31, v10
	s_delay_alu instid0(VALU_DEP_1) | instskip(NEXT) | instid1(VALU_DEP_1)
	v_mul_f32_e32 v25, v12, v23
	v_dual_sub_f32 v30, v31, v23 :: v_dual_mul_f32 v27, v26, v25
	s_delay_alu instid0(VALU_DEP_1) | instskip(NEXT) | instid1(VALU_DEP_1)
	v_fma_f32 v26, v25, v26, -v27
	v_fmac_f32_e32 v26, v25, v24
	s_delay_alu instid0(VALU_DEP_1) | instskip(NEXT) | instid1(VALU_DEP_1)
	v_add_f32_e32 v24, v27, v26
	v_sub_f32_e32 v29, v23, v24
	v_dual_sub_f32 v27, v24, v27 :: v_dual_add_f32 v10, v10, v30
	s_delay_alu instid0(VALU_DEP_2) | instskip(NEXT) | instid1(VALU_DEP_1)
	v_sub_f32_e32 v23, v23, v29
	v_sub_f32_e32 v23, v23, v24
	s_delay_alu instid0(VALU_DEP_1) | instskip(NEXT) | instid1(VALU_DEP_4)
	v_dual_add_f32 v10, v10, v23 :: v_dual_add_f32 v23, v28, v25
	v_sub_f32_e32 v24, v27, v26
	s_delay_alu instid0(VALU_DEP_1) | instskip(NEXT) | instid1(VALU_DEP_3)
	v_add_f32_e32 v10, v24, v10
	v_sub_f32_e32 v24, v23, v28
	s_delay_alu instid0(VALU_DEP_2) | instskip(NEXT) | instid1(VALU_DEP_2)
	v_add_f32_e32 v10, v29, v10
	v_sub_f32_e32 v24, v25, v24
	s_delay_alu instid0(VALU_DEP_2) | instskip(NEXT) | instid1(VALU_DEP_1)
	v_mul_f32_e32 v10, v12, v10
	v_add_f32_e32 v10, v24, v10
	s_delay_alu instid0(VALU_DEP_1) | instskip(NEXT) | instid1(VALU_DEP_1)
	v_add_f32_e32 v12, v23, v10
	v_mul_f32_e32 v24, v12, v12
	s_delay_alu instid0(VALU_DEP_1) | instskip(SKIP_2) | instid1(VALU_DEP_3)
	v_fmaak_f32 v25, s8, v24, 0x3ecc95a3
	v_mul_f32_e32 v26, v12, v24
	v_cmp_eq_f32_e64 s8, 0x7f800000, v11
	v_fmaak_f32 v24, v24, v25, 0x3f2aaada
	v_ldexp_f32 v25, v12, 1
	v_sub_f32_e32 v12, v12, v23
	s_delay_alu instid0(VALU_DEP_4) | instskip(NEXT) | instid1(VALU_DEP_3)
	s_or_b32 s8, s8, s30
	v_mul_f32_e32 v24, v26, v24
	v_mul_f32_e32 v26, 0x3f317218, v9
	s_delay_alu instid0(VALU_DEP_3) | instskip(NEXT) | instid1(VALU_DEP_3)
	v_sub_f32_e32 v10, v10, v12
	v_add_f32_e32 v23, v25, v24
	s_delay_alu instid0(VALU_DEP_2) | instskip(NEXT) | instid1(VALU_DEP_2)
	v_ldexp_f32 v10, v10, 1
	v_sub_f32_e32 v12, v23, v25
	v_fma_f32 v25, 0x3f317218, v9, -v26
	s_delay_alu instid0(VALU_DEP_1) | instskip(NEXT) | instid1(VALU_DEP_1)
	v_dual_sub_f32 v12, v24, v12 :: v_dual_fmamk_f32 v9, v9, 0xb102e308, v25
	v_add_f32_e32 v10, v10, v12
	s_delay_alu instid0(VALU_DEP_2) | instskip(NEXT) | instid1(VALU_DEP_2)
	v_add_f32_e32 v12, v26, v9
	v_add_f32_e32 v24, v23, v10
	s_delay_alu instid0(VALU_DEP_2) | instskip(NEXT) | instid1(VALU_DEP_2)
	v_sub_f32_e32 v26, v12, v26
	v_add_f32_e32 v25, v12, v24
	v_sub_f32_e32 v23, v24, v23
	s_delay_alu instid0(VALU_DEP_3) | instskip(NEXT) | instid1(VALU_DEP_2)
	v_sub_f32_e32 v9, v9, v26
	v_dual_sub_f32 v27, v25, v12 :: v_dual_sub_f32 v10, v10, v23
	s_delay_alu instid0(VALU_DEP_1) | instskip(NEXT) | instid1(VALU_DEP_2)
	v_sub_f32_e32 v28, v25, v27
	v_dual_sub_f32 v23, v24, v27 :: v_dual_add_f32 v24, v9, v10
	s_delay_alu instid0(VALU_DEP_2) | instskip(NEXT) | instid1(VALU_DEP_1)
	v_sub_f32_e32 v12, v12, v28
	v_dual_add_f32 v12, v23, v12 :: v_dual_sub_f32 v23, v24, v9
	s_delay_alu instid0(VALU_DEP_1) | instskip(NEXT) | instid1(VALU_DEP_2)
	v_add_f32_e32 v12, v24, v12
	v_sub_f32_e32 v24, v24, v23
	v_sub_f32_e32 v10, v10, v23
	s_delay_alu instid0(VALU_DEP_3) | instskip(NEXT) | instid1(VALU_DEP_3)
	v_add_f32_e32 v26, v25, v12
	v_sub_f32_e32 v9, v9, v24
	s_delay_alu instid0(VALU_DEP_2) | instskip(NEXT) | instid1(VALU_DEP_1)
	v_sub_f32_e32 v23, v26, v25
	v_dual_add_f32 v9, v10, v9 :: v_dual_sub_f32 v10, v12, v23
	s_delay_alu instid0(VALU_DEP_1) | instskip(NEXT) | instid1(VALU_DEP_1)
	v_add_f32_e32 v9, v9, v10
	v_add_f32_e32 v9, v26, v9
	s_delay_alu instid0(VALU_DEP_1) | instskip(NEXT) | instid1(VALU_DEP_1)
	v_cndmask_b32_e64 v9, v9, v11, s8
	v_add_f32_e32 v10, v4, v9
.LBB164_31:
	s_or_b32 exec_lo, exec_lo, s29
	ds_load_b32 v4, v5 offset:24
	v_max_f32_e32 v9, v10, v10
	v_cmp_u_f32_e64 s8, v10, v10
	s_waitcnt lgkmcnt(0)
	v_max_f32_e32 v11, v4, v4
	s_delay_alu instid0(VALU_DEP_1) | instskip(SKIP_1) | instid1(VALU_DEP_2)
	v_min_f32_e32 v12, v9, v11
	v_max_f32_e32 v9, v9, v11
	v_cndmask_b32_e64 v11, v12, v10, s8
	s_delay_alu instid0(VALU_DEP_2) | instskip(SKIP_1) | instid1(VALU_DEP_1)
	v_cndmask_b32_e64 v12, v9, v10, s8
	v_cmp_u_f32_e64 s8, v4, v4
	v_cndmask_b32_e64 v9, v11, v4, s8
	s_delay_alu instid0(VALU_DEP_3) | instskip(NEXT) | instid1(VALU_DEP_2)
	v_cndmask_b32_e64 v4, v12, v4, s8
	v_cmp_class_f32_e64 s29, v9, 0x1f8
	s_delay_alu instid0(VALU_DEP_2) | instskip(NEXT) | instid1(VALU_DEP_1)
	v_cmp_neq_f32_e64 s8, v9, v4
	s_or_b32 s8, s8, s29
	s_delay_alu instid0(SALU_CYCLE_1)
	s_and_saveexec_b32 s29, s8
	s_cbranch_execz .LBB164_33
; %bb.32:
	v_sub_f32_e32 v9, v9, v4
	s_delay_alu instid0(VALU_DEP_1) | instskip(NEXT) | instid1(VALU_DEP_1)
	v_mul_f32_e32 v10, 0x3fb8aa3b, v9
	v_fma_f32 v11, 0x3fb8aa3b, v9, -v10
	v_rndne_f32_e32 v12, v10
	s_delay_alu instid0(VALU_DEP_1) | instskip(NEXT) | instid1(VALU_DEP_1)
	v_dual_fmamk_f32 v11, v9, 0x32a5705f, v11 :: v_dual_sub_f32 v10, v10, v12
	v_add_f32_e32 v10, v10, v11
	v_cvt_i32_f32_e32 v11, v12
	v_cmp_ngt_f32_e64 s8, 0xc2ce8ed0, v9
	s_delay_alu instid0(VALU_DEP_3) | instskip(SKIP_2) | instid1(VALU_DEP_1)
	v_exp_f32_e32 v10, v10
	s_waitcnt_depctr 0xfff
	v_ldexp_f32 v10, v10, v11
	v_cndmask_b32_e64 v10, 0, v10, s8
	v_cmp_nlt_f32_e64 s8, 0x42b17218, v9
	s_delay_alu instid0(VALU_DEP_1) | instskip(NEXT) | instid1(VALU_DEP_1)
	v_cndmask_b32_e64 v11, 0x7f800000, v10, s8
	v_add_f32_e32 v12, 1.0, v11
	v_cmp_gt_f32_e64 s30, 0x33800000, |v11|
	s_delay_alu instid0(VALU_DEP_2) | instskip(NEXT) | instid1(VALU_DEP_1)
	v_cvt_f64_f32_e32 v[9:10], v12
	v_frexp_exp_i32_f64_e32 v9, v[9:10]
	v_frexp_mant_f32_e32 v10, v12
	s_delay_alu instid0(VALU_DEP_1) | instskip(SKIP_1) | instid1(VALU_DEP_1)
	v_cmp_gt_f32_e64 s8, 0x3f2aaaab, v10
	v_add_f32_e32 v10, -1.0, v12
	v_sub_f32_e32 v24, v10, v12
	s_delay_alu instid0(VALU_DEP_1) | instskip(NEXT) | instid1(VALU_DEP_4)
	v_add_f32_e32 v24, 1.0, v24
	v_subrev_co_ci_u32_e64 v9, s8, 0, v9, s8
	s_mov_b32 s8, 0x3e9b6dac
	s_delay_alu instid0(VALU_DEP_1) | instskip(SKIP_1) | instid1(VALU_DEP_2)
	v_sub_nc_u32_e32 v23, 0, v9
	v_cvt_f32_i32_e32 v9, v9
	v_ldexp_f32 v12, v12, v23
	s_delay_alu instid0(VALU_DEP_1) | instskip(NEXT) | instid1(VALU_DEP_1)
	v_dual_sub_f32 v10, v11, v10 :: v_dual_add_f32 v25, 1.0, v12
	v_add_f32_e32 v10, v10, v24
	s_delay_alu instid0(VALU_DEP_2) | instskip(NEXT) | instid1(VALU_DEP_2)
	v_add_f32_e32 v24, -1.0, v25
	v_ldexp_f32 v10, v10, v23
	v_add_f32_e32 v23, -1.0, v12
	s_delay_alu instid0(VALU_DEP_3) | instskip(NEXT) | instid1(VALU_DEP_2)
	v_sub_f32_e32 v24, v12, v24
	v_add_f32_e32 v26, 1.0, v23
	s_delay_alu instid0(VALU_DEP_2) | instskip(NEXT) | instid1(VALU_DEP_2)
	v_add_f32_e32 v24, v10, v24
	v_sub_f32_e32 v12, v12, v26
	s_delay_alu instid0(VALU_DEP_2) | instskip(NEXT) | instid1(VALU_DEP_2)
	v_add_f32_e32 v26, v25, v24
	v_add_f32_e32 v10, v10, v12
	s_delay_alu instid0(VALU_DEP_2) | instskip(SKIP_1) | instid1(VALU_DEP_1)
	v_rcp_f32_e32 v12, v26
	v_sub_f32_e32 v25, v25, v26
	v_dual_add_f32 v27, v23, v10 :: v_dual_add_f32 v24, v24, v25
	s_delay_alu instid0(VALU_DEP_1) | instskip(SKIP_3) | instid1(VALU_DEP_2)
	v_sub_f32_e32 v23, v23, v27
	s_waitcnt_depctr 0xfff
	v_mul_f32_e32 v28, v27, v12
	v_add_f32_e32 v10, v10, v23
	v_mul_f32_e32 v29, v26, v28
	s_delay_alu instid0(VALU_DEP_1) | instskip(NEXT) | instid1(VALU_DEP_1)
	v_fma_f32 v25, v28, v26, -v29
	v_fmac_f32_e32 v25, v28, v24
	s_delay_alu instid0(VALU_DEP_1) | instskip(NEXT) | instid1(VALU_DEP_1)
	v_add_f32_e32 v30, v29, v25
	v_sub_f32_e32 v31, v27, v30
	v_sub_f32_e32 v23, v30, v29
	s_delay_alu instid0(VALU_DEP_2) | instskip(NEXT) | instid1(VALU_DEP_2)
	v_sub_f32_e32 v27, v27, v31
	v_sub_f32_e32 v23, v23, v25
	s_delay_alu instid0(VALU_DEP_2) | instskip(NEXT) | instid1(VALU_DEP_1)
	v_sub_f32_e32 v27, v27, v30
	v_add_f32_e32 v10, v10, v27
	s_delay_alu instid0(VALU_DEP_1) | instskip(NEXT) | instid1(VALU_DEP_1)
	v_add_f32_e32 v10, v23, v10
	v_add_f32_e32 v23, v31, v10
	s_delay_alu instid0(VALU_DEP_1) | instskip(NEXT) | instid1(VALU_DEP_1)
	v_mul_f32_e32 v25, v12, v23
	v_dual_sub_f32 v30, v31, v23 :: v_dual_mul_f32 v27, v26, v25
	s_delay_alu instid0(VALU_DEP_1) | instskip(NEXT) | instid1(VALU_DEP_1)
	v_fma_f32 v26, v25, v26, -v27
	v_fmac_f32_e32 v26, v25, v24
	s_delay_alu instid0(VALU_DEP_1) | instskip(NEXT) | instid1(VALU_DEP_1)
	v_add_f32_e32 v24, v27, v26
	v_sub_f32_e32 v29, v23, v24
	v_dual_sub_f32 v27, v24, v27 :: v_dual_add_f32 v10, v10, v30
	s_delay_alu instid0(VALU_DEP_2) | instskip(NEXT) | instid1(VALU_DEP_1)
	v_sub_f32_e32 v23, v23, v29
	v_sub_f32_e32 v23, v23, v24
	s_delay_alu instid0(VALU_DEP_1) | instskip(NEXT) | instid1(VALU_DEP_4)
	v_dual_add_f32 v10, v10, v23 :: v_dual_add_f32 v23, v28, v25
	v_sub_f32_e32 v24, v27, v26
	s_delay_alu instid0(VALU_DEP_1) | instskip(NEXT) | instid1(VALU_DEP_3)
	v_add_f32_e32 v10, v24, v10
	v_sub_f32_e32 v24, v23, v28
	s_delay_alu instid0(VALU_DEP_2) | instskip(NEXT) | instid1(VALU_DEP_2)
	v_add_f32_e32 v10, v29, v10
	v_sub_f32_e32 v24, v25, v24
	s_delay_alu instid0(VALU_DEP_2) | instskip(NEXT) | instid1(VALU_DEP_1)
	v_mul_f32_e32 v10, v12, v10
	v_add_f32_e32 v10, v24, v10
	s_delay_alu instid0(VALU_DEP_1) | instskip(NEXT) | instid1(VALU_DEP_1)
	v_add_f32_e32 v12, v23, v10
	v_mul_f32_e32 v24, v12, v12
	s_delay_alu instid0(VALU_DEP_1) | instskip(SKIP_2) | instid1(VALU_DEP_3)
	v_fmaak_f32 v25, s8, v24, 0x3ecc95a3
	v_mul_f32_e32 v26, v12, v24
	v_cmp_eq_f32_e64 s8, 0x7f800000, v11
	v_fmaak_f32 v24, v24, v25, 0x3f2aaada
	v_ldexp_f32 v25, v12, 1
	v_sub_f32_e32 v12, v12, v23
	s_delay_alu instid0(VALU_DEP_4) | instskip(NEXT) | instid1(VALU_DEP_3)
	s_or_b32 s8, s8, s30
	v_mul_f32_e32 v24, v26, v24
	v_mul_f32_e32 v26, 0x3f317218, v9
	s_delay_alu instid0(VALU_DEP_3) | instskip(NEXT) | instid1(VALU_DEP_3)
	v_sub_f32_e32 v10, v10, v12
	v_add_f32_e32 v23, v25, v24
	s_delay_alu instid0(VALU_DEP_2) | instskip(NEXT) | instid1(VALU_DEP_2)
	v_ldexp_f32 v10, v10, 1
	v_sub_f32_e32 v12, v23, v25
	v_fma_f32 v25, 0x3f317218, v9, -v26
	s_delay_alu instid0(VALU_DEP_1) | instskip(NEXT) | instid1(VALU_DEP_1)
	v_dual_sub_f32 v12, v24, v12 :: v_dual_fmamk_f32 v9, v9, 0xb102e308, v25
	v_add_f32_e32 v10, v10, v12
	s_delay_alu instid0(VALU_DEP_2) | instskip(NEXT) | instid1(VALU_DEP_2)
	v_add_f32_e32 v12, v26, v9
	v_add_f32_e32 v24, v23, v10
	s_delay_alu instid0(VALU_DEP_2) | instskip(NEXT) | instid1(VALU_DEP_2)
	v_sub_f32_e32 v26, v12, v26
	v_add_f32_e32 v25, v12, v24
	v_sub_f32_e32 v23, v24, v23
	s_delay_alu instid0(VALU_DEP_3) | instskip(NEXT) | instid1(VALU_DEP_2)
	v_sub_f32_e32 v9, v9, v26
	v_dual_sub_f32 v27, v25, v12 :: v_dual_sub_f32 v10, v10, v23
	s_delay_alu instid0(VALU_DEP_1) | instskip(NEXT) | instid1(VALU_DEP_2)
	v_sub_f32_e32 v28, v25, v27
	v_dual_sub_f32 v23, v24, v27 :: v_dual_add_f32 v24, v9, v10
	s_delay_alu instid0(VALU_DEP_2) | instskip(NEXT) | instid1(VALU_DEP_1)
	v_sub_f32_e32 v12, v12, v28
	v_dual_add_f32 v12, v23, v12 :: v_dual_sub_f32 v23, v24, v9
	s_delay_alu instid0(VALU_DEP_1) | instskip(NEXT) | instid1(VALU_DEP_2)
	v_add_f32_e32 v12, v24, v12
	v_sub_f32_e32 v24, v24, v23
	v_sub_f32_e32 v10, v10, v23
	s_delay_alu instid0(VALU_DEP_3) | instskip(NEXT) | instid1(VALU_DEP_3)
	v_add_f32_e32 v26, v25, v12
	v_sub_f32_e32 v9, v9, v24
	s_delay_alu instid0(VALU_DEP_2) | instskip(NEXT) | instid1(VALU_DEP_1)
	v_sub_f32_e32 v23, v26, v25
	v_dual_add_f32 v9, v10, v9 :: v_dual_sub_f32 v10, v12, v23
	s_delay_alu instid0(VALU_DEP_1) | instskip(NEXT) | instid1(VALU_DEP_1)
	v_add_f32_e32 v9, v9, v10
	v_add_f32_e32 v9, v26, v9
	s_delay_alu instid0(VALU_DEP_1) | instskip(NEXT) | instid1(VALU_DEP_1)
	v_cndmask_b32_e64 v9, v9, v11, s8
	v_add_f32_e32 v10, v4, v9
.LBB164_33:
	s_or_b32 exec_lo, exec_lo, s29
	ds_load_b32 v4, v5 offset:28
	v_max_f32_e32 v9, v10, v10
	v_cmp_u_f32_e64 s8, v10, v10
	s_waitcnt lgkmcnt(0)
	v_max_f32_e32 v11, v4, v4
	s_delay_alu instid0(VALU_DEP_1) | instskip(SKIP_1) | instid1(VALU_DEP_2)
	v_min_f32_e32 v12, v9, v11
	v_max_f32_e32 v9, v9, v11
	v_cndmask_b32_e64 v11, v12, v10, s8
	s_delay_alu instid0(VALU_DEP_2) | instskip(SKIP_1) | instid1(VALU_DEP_1)
	v_cndmask_b32_e64 v12, v9, v10, s8
	v_cmp_u_f32_e64 s8, v4, v4
	v_cndmask_b32_e64 v9, v11, v4, s8
	s_delay_alu instid0(VALU_DEP_3) | instskip(NEXT) | instid1(VALU_DEP_2)
	v_cndmask_b32_e64 v4, v12, v4, s8
	v_cmp_class_f32_e64 s29, v9, 0x1f8
	s_delay_alu instid0(VALU_DEP_2) | instskip(NEXT) | instid1(VALU_DEP_1)
	v_cmp_neq_f32_e64 s8, v9, v4
	s_or_b32 s8, s8, s29
	s_delay_alu instid0(SALU_CYCLE_1)
	s_and_saveexec_b32 s29, s8
	s_cbranch_execz .LBB164_35
; %bb.34:
	v_sub_f32_e32 v9, v9, v4
	s_delay_alu instid0(VALU_DEP_1) | instskip(NEXT) | instid1(VALU_DEP_1)
	v_mul_f32_e32 v10, 0x3fb8aa3b, v9
	v_fma_f32 v11, 0x3fb8aa3b, v9, -v10
	v_rndne_f32_e32 v12, v10
	s_delay_alu instid0(VALU_DEP_1) | instskip(NEXT) | instid1(VALU_DEP_1)
	v_dual_fmamk_f32 v11, v9, 0x32a5705f, v11 :: v_dual_sub_f32 v10, v10, v12
	v_add_f32_e32 v10, v10, v11
	v_cvt_i32_f32_e32 v11, v12
	v_cmp_ngt_f32_e64 s8, 0xc2ce8ed0, v9
	s_delay_alu instid0(VALU_DEP_3) | instskip(SKIP_2) | instid1(VALU_DEP_1)
	v_exp_f32_e32 v10, v10
	s_waitcnt_depctr 0xfff
	v_ldexp_f32 v10, v10, v11
	v_cndmask_b32_e64 v10, 0, v10, s8
	v_cmp_nlt_f32_e64 s8, 0x42b17218, v9
	s_delay_alu instid0(VALU_DEP_1) | instskip(NEXT) | instid1(VALU_DEP_1)
	v_cndmask_b32_e64 v11, 0x7f800000, v10, s8
	v_add_f32_e32 v12, 1.0, v11
	v_cmp_gt_f32_e64 s30, 0x33800000, |v11|
	s_delay_alu instid0(VALU_DEP_2) | instskip(NEXT) | instid1(VALU_DEP_1)
	v_cvt_f64_f32_e32 v[9:10], v12
	v_frexp_exp_i32_f64_e32 v9, v[9:10]
	v_frexp_mant_f32_e32 v10, v12
	s_delay_alu instid0(VALU_DEP_1) | instskip(SKIP_1) | instid1(VALU_DEP_1)
	v_cmp_gt_f32_e64 s8, 0x3f2aaaab, v10
	v_add_f32_e32 v10, -1.0, v12
	v_sub_f32_e32 v24, v10, v12
	s_delay_alu instid0(VALU_DEP_1) | instskip(NEXT) | instid1(VALU_DEP_4)
	v_add_f32_e32 v24, 1.0, v24
	v_subrev_co_ci_u32_e64 v9, s8, 0, v9, s8
	s_mov_b32 s8, 0x3e9b6dac
	s_delay_alu instid0(VALU_DEP_1) | instskip(SKIP_1) | instid1(VALU_DEP_2)
	v_sub_nc_u32_e32 v23, 0, v9
	v_cvt_f32_i32_e32 v9, v9
	v_ldexp_f32 v12, v12, v23
	s_delay_alu instid0(VALU_DEP_1) | instskip(NEXT) | instid1(VALU_DEP_1)
	v_dual_sub_f32 v10, v11, v10 :: v_dual_add_f32 v25, 1.0, v12
	v_add_f32_e32 v10, v10, v24
	s_delay_alu instid0(VALU_DEP_2) | instskip(NEXT) | instid1(VALU_DEP_2)
	v_add_f32_e32 v24, -1.0, v25
	v_ldexp_f32 v10, v10, v23
	v_add_f32_e32 v23, -1.0, v12
	s_delay_alu instid0(VALU_DEP_3) | instskip(NEXT) | instid1(VALU_DEP_2)
	v_sub_f32_e32 v24, v12, v24
	v_add_f32_e32 v26, 1.0, v23
	s_delay_alu instid0(VALU_DEP_2) | instskip(NEXT) | instid1(VALU_DEP_2)
	v_add_f32_e32 v24, v10, v24
	v_sub_f32_e32 v12, v12, v26
	s_delay_alu instid0(VALU_DEP_2) | instskip(NEXT) | instid1(VALU_DEP_2)
	v_add_f32_e32 v26, v25, v24
	v_add_f32_e32 v10, v10, v12
	s_delay_alu instid0(VALU_DEP_2) | instskip(SKIP_1) | instid1(VALU_DEP_1)
	v_rcp_f32_e32 v12, v26
	v_sub_f32_e32 v25, v25, v26
	v_dual_add_f32 v27, v23, v10 :: v_dual_add_f32 v24, v24, v25
	s_delay_alu instid0(VALU_DEP_1) | instskip(SKIP_3) | instid1(VALU_DEP_2)
	v_sub_f32_e32 v23, v23, v27
	s_waitcnt_depctr 0xfff
	v_mul_f32_e32 v28, v27, v12
	v_add_f32_e32 v10, v10, v23
	v_mul_f32_e32 v29, v26, v28
	s_delay_alu instid0(VALU_DEP_1) | instskip(NEXT) | instid1(VALU_DEP_1)
	v_fma_f32 v25, v28, v26, -v29
	v_fmac_f32_e32 v25, v28, v24
	s_delay_alu instid0(VALU_DEP_1) | instskip(NEXT) | instid1(VALU_DEP_1)
	v_add_f32_e32 v30, v29, v25
	v_sub_f32_e32 v31, v27, v30
	v_sub_f32_e32 v23, v30, v29
	s_delay_alu instid0(VALU_DEP_2) | instskip(NEXT) | instid1(VALU_DEP_2)
	v_sub_f32_e32 v27, v27, v31
	v_sub_f32_e32 v23, v23, v25
	s_delay_alu instid0(VALU_DEP_2) | instskip(NEXT) | instid1(VALU_DEP_1)
	v_sub_f32_e32 v27, v27, v30
	v_add_f32_e32 v10, v10, v27
	s_delay_alu instid0(VALU_DEP_1) | instskip(NEXT) | instid1(VALU_DEP_1)
	v_add_f32_e32 v10, v23, v10
	v_add_f32_e32 v23, v31, v10
	s_delay_alu instid0(VALU_DEP_1) | instskip(NEXT) | instid1(VALU_DEP_1)
	v_mul_f32_e32 v25, v12, v23
	v_dual_sub_f32 v30, v31, v23 :: v_dual_mul_f32 v27, v26, v25
	s_delay_alu instid0(VALU_DEP_1) | instskip(NEXT) | instid1(VALU_DEP_1)
	v_fma_f32 v26, v25, v26, -v27
	v_fmac_f32_e32 v26, v25, v24
	s_delay_alu instid0(VALU_DEP_1) | instskip(NEXT) | instid1(VALU_DEP_1)
	v_add_f32_e32 v24, v27, v26
	v_sub_f32_e32 v29, v23, v24
	v_dual_sub_f32 v27, v24, v27 :: v_dual_add_f32 v10, v10, v30
	s_delay_alu instid0(VALU_DEP_2) | instskip(NEXT) | instid1(VALU_DEP_1)
	v_sub_f32_e32 v23, v23, v29
	v_sub_f32_e32 v23, v23, v24
	s_delay_alu instid0(VALU_DEP_1) | instskip(NEXT) | instid1(VALU_DEP_4)
	v_dual_add_f32 v10, v10, v23 :: v_dual_add_f32 v23, v28, v25
	v_sub_f32_e32 v24, v27, v26
	s_delay_alu instid0(VALU_DEP_1) | instskip(NEXT) | instid1(VALU_DEP_3)
	v_add_f32_e32 v10, v24, v10
	v_sub_f32_e32 v24, v23, v28
	s_delay_alu instid0(VALU_DEP_2) | instskip(NEXT) | instid1(VALU_DEP_2)
	v_add_f32_e32 v10, v29, v10
	v_sub_f32_e32 v24, v25, v24
	s_delay_alu instid0(VALU_DEP_2) | instskip(NEXT) | instid1(VALU_DEP_1)
	v_mul_f32_e32 v10, v12, v10
	v_add_f32_e32 v10, v24, v10
	s_delay_alu instid0(VALU_DEP_1) | instskip(NEXT) | instid1(VALU_DEP_1)
	v_add_f32_e32 v12, v23, v10
	v_mul_f32_e32 v24, v12, v12
	s_delay_alu instid0(VALU_DEP_1) | instskip(SKIP_2) | instid1(VALU_DEP_3)
	v_fmaak_f32 v25, s8, v24, 0x3ecc95a3
	v_mul_f32_e32 v26, v12, v24
	v_cmp_eq_f32_e64 s8, 0x7f800000, v11
	v_fmaak_f32 v24, v24, v25, 0x3f2aaada
	v_ldexp_f32 v25, v12, 1
	v_sub_f32_e32 v12, v12, v23
	s_delay_alu instid0(VALU_DEP_4) | instskip(NEXT) | instid1(VALU_DEP_3)
	s_or_b32 s8, s8, s30
	v_mul_f32_e32 v24, v26, v24
	v_mul_f32_e32 v26, 0x3f317218, v9
	s_delay_alu instid0(VALU_DEP_3) | instskip(NEXT) | instid1(VALU_DEP_3)
	v_sub_f32_e32 v10, v10, v12
	v_add_f32_e32 v23, v25, v24
	s_delay_alu instid0(VALU_DEP_2) | instskip(NEXT) | instid1(VALU_DEP_2)
	v_ldexp_f32 v10, v10, 1
	v_sub_f32_e32 v12, v23, v25
	v_fma_f32 v25, 0x3f317218, v9, -v26
	s_delay_alu instid0(VALU_DEP_1) | instskip(NEXT) | instid1(VALU_DEP_1)
	v_dual_sub_f32 v12, v24, v12 :: v_dual_fmamk_f32 v9, v9, 0xb102e308, v25
	v_add_f32_e32 v10, v10, v12
	s_delay_alu instid0(VALU_DEP_2) | instskip(NEXT) | instid1(VALU_DEP_2)
	v_add_f32_e32 v12, v26, v9
	v_add_f32_e32 v24, v23, v10
	s_delay_alu instid0(VALU_DEP_2) | instskip(NEXT) | instid1(VALU_DEP_2)
	v_sub_f32_e32 v26, v12, v26
	v_add_f32_e32 v25, v12, v24
	v_sub_f32_e32 v23, v24, v23
	s_delay_alu instid0(VALU_DEP_3) | instskip(NEXT) | instid1(VALU_DEP_2)
	v_sub_f32_e32 v9, v9, v26
	v_dual_sub_f32 v27, v25, v12 :: v_dual_sub_f32 v10, v10, v23
	s_delay_alu instid0(VALU_DEP_1) | instskip(NEXT) | instid1(VALU_DEP_2)
	v_sub_f32_e32 v28, v25, v27
	v_dual_sub_f32 v23, v24, v27 :: v_dual_add_f32 v24, v9, v10
	s_delay_alu instid0(VALU_DEP_2) | instskip(NEXT) | instid1(VALU_DEP_1)
	v_sub_f32_e32 v12, v12, v28
	v_dual_add_f32 v12, v23, v12 :: v_dual_sub_f32 v23, v24, v9
	s_delay_alu instid0(VALU_DEP_1) | instskip(NEXT) | instid1(VALU_DEP_2)
	v_add_f32_e32 v12, v24, v12
	v_sub_f32_e32 v24, v24, v23
	v_sub_f32_e32 v10, v10, v23
	s_delay_alu instid0(VALU_DEP_3) | instskip(NEXT) | instid1(VALU_DEP_3)
	v_add_f32_e32 v26, v25, v12
	v_sub_f32_e32 v9, v9, v24
	s_delay_alu instid0(VALU_DEP_2) | instskip(NEXT) | instid1(VALU_DEP_1)
	v_sub_f32_e32 v23, v26, v25
	v_dual_add_f32 v9, v10, v9 :: v_dual_sub_f32 v10, v12, v23
	s_delay_alu instid0(VALU_DEP_1) | instskip(NEXT) | instid1(VALU_DEP_1)
	v_add_f32_e32 v9, v9, v10
	v_add_f32_e32 v9, v26, v9
	s_delay_alu instid0(VALU_DEP_1) | instskip(NEXT) | instid1(VALU_DEP_1)
	v_cndmask_b32_e64 v9, v9, v11, s8
	v_add_f32_e32 v10, v4, v9
.LBB164_35:
	s_or_b32 exec_lo, exec_lo, s29
	v_mbcnt_lo_u32_b32 v4, -1, 0
	s_delay_alu instid0(VALU_DEP_2) | instskip(SKIP_1) | instid1(VALU_DEP_2)
	v_mov_b32_dpp v11, v10 row_shr:1 row_mask:0xf bank_mask:0xf
	s_mov_b32 s29, exec_lo
	v_and_b32_e32 v9, 15, v4
	s_delay_alu instid0(VALU_DEP_1)
	v_cmpx_ne_u32_e32 0, v9
	s_xor_b32 s29, exec_lo, s29
	s_cbranch_execz .LBB164_39
; %bb.36:
	v_dual_max_f32 v12, v10, v10 :: v_dual_max_f32 v23, v11, v11
	v_cmp_u_f32_e64 s8, v11, v11
	s_delay_alu instid0(VALU_DEP_2) | instskip(SKIP_1) | instid1(VALU_DEP_2)
	v_min_f32_e32 v24, v23, v12
	v_max_f32_e32 v12, v23, v12
	v_cndmask_b32_e64 v23, v24, v11, s8
	s_delay_alu instid0(VALU_DEP_2) | instskip(SKIP_1) | instid1(VALU_DEP_1)
	v_cndmask_b32_e64 v24, v12, v11, s8
	v_cmp_u_f32_e64 s8, v10, v10
	v_cndmask_b32_e64 v12, v23, v10, s8
	s_delay_alu instid0(VALU_DEP_3) | instskip(NEXT) | instid1(VALU_DEP_2)
	v_cndmask_b32_e64 v10, v24, v10, s8
	v_cmp_class_f32_e64 s30, v12, 0x1f8
	s_delay_alu instid0(VALU_DEP_2) | instskip(NEXT) | instid1(VALU_DEP_1)
	v_cmp_neq_f32_e64 s8, v12, v10
	s_or_b32 s8, s8, s30
	s_delay_alu instid0(SALU_CYCLE_1)
	s_and_saveexec_b32 s30, s8
	s_cbranch_execz .LBB164_38
; %bb.37:
	v_sub_f32_e32 v11, v12, v10
	s_delay_alu instid0(VALU_DEP_1) | instskip(SKIP_1) | instid1(VALU_DEP_2)
	v_mul_f32_e32 v12, 0x3fb8aa3b, v11
	v_cmp_ngt_f32_e64 s8, 0xc2ce8ed0, v11
	v_fma_f32 v23, 0x3fb8aa3b, v11, -v12
	v_rndne_f32_e32 v24, v12
	s_delay_alu instid0(VALU_DEP_1) | instskip(NEXT) | instid1(VALU_DEP_1)
	v_dual_fmamk_f32 v23, v11, 0x32a5705f, v23 :: v_dual_sub_f32 v12, v12, v24
	v_add_f32_e32 v12, v12, v23
	v_cvt_i32_f32_e32 v23, v24
	s_delay_alu instid0(VALU_DEP_2) | instskip(SKIP_2) | instid1(VALU_DEP_1)
	v_exp_f32_e32 v12, v12
	s_waitcnt_depctr 0xfff
	v_ldexp_f32 v12, v12, v23
	v_cndmask_b32_e64 v12, 0, v12, s8
	v_cmp_nlt_f32_e64 s8, 0x42b17218, v11
	s_delay_alu instid0(VALU_DEP_1) | instskip(NEXT) | instid1(VALU_DEP_1)
	v_cndmask_b32_e64 v23, 0x7f800000, v12, s8
	v_add_f32_e32 v24, 1.0, v23
	v_cmp_gt_f32_e64 s31, 0x33800000, |v23|
	s_delay_alu instid0(VALU_DEP_2) | instskip(NEXT) | instid1(VALU_DEP_1)
	v_cvt_f64_f32_e32 v[11:12], v24
	v_frexp_exp_i32_f64_e32 v11, v[11:12]
	v_frexp_mant_f32_e32 v12, v24
	s_delay_alu instid0(VALU_DEP_1) | instskip(SKIP_1) | instid1(VALU_DEP_1)
	v_cmp_gt_f32_e64 s8, 0x3f2aaaab, v12
	v_add_f32_e32 v12, -1.0, v24
	v_sub_f32_e32 v26, v12, v24
	v_sub_f32_e32 v12, v23, v12
	s_delay_alu instid0(VALU_DEP_2) | instskip(SKIP_2) | instid1(VALU_DEP_1)
	v_add_f32_e32 v26, 1.0, v26
	v_subrev_co_ci_u32_e64 v11, s8, 0, v11, s8
	s_mov_b32 s8, 0x3e9b6dac
	v_sub_nc_u32_e32 v25, 0, v11
	v_cvt_f32_i32_e32 v11, v11
	s_delay_alu instid0(VALU_DEP_2) | instskip(NEXT) | instid1(VALU_DEP_1)
	v_ldexp_f32 v24, v24, v25
	v_dual_add_f32 v27, 1.0, v24 :: v_dual_add_f32 v12, v12, v26
	s_delay_alu instid0(VALU_DEP_1) | instskip(NEXT) | instid1(VALU_DEP_2)
	v_add_f32_e32 v26, -1.0, v27
	v_ldexp_f32 v12, v12, v25
	s_delay_alu instid0(VALU_DEP_2) | instskip(NEXT) | instid1(VALU_DEP_1)
	v_dual_add_f32 v25, -1.0, v24 :: v_dual_sub_f32 v26, v24, v26
	v_add_f32_e32 v28, 1.0, v25
	s_delay_alu instid0(VALU_DEP_2) | instskip(NEXT) | instid1(VALU_DEP_2)
	v_add_f32_e32 v26, v12, v26
	v_sub_f32_e32 v24, v24, v28
	s_delay_alu instid0(VALU_DEP_2) | instskip(NEXT) | instid1(VALU_DEP_2)
	v_add_f32_e32 v28, v27, v26
	v_add_f32_e32 v12, v12, v24
	s_delay_alu instid0(VALU_DEP_2) | instskip(SKIP_1) | instid1(VALU_DEP_1)
	v_rcp_f32_e32 v24, v28
	v_sub_f32_e32 v27, v27, v28
	v_dual_add_f32 v29, v25, v12 :: v_dual_add_f32 v26, v26, v27
	s_delay_alu instid0(VALU_DEP_1) | instskip(SKIP_3) | instid1(VALU_DEP_2)
	v_sub_f32_e32 v25, v25, v29
	s_waitcnt_depctr 0xfff
	v_mul_f32_e32 v30, v29, v24
	v_add_f32_e32 v12, v12, v25
	v_mul_f32_e32 v31, v28, v30
	s_delay_alu instid0(VALU_DEP_1) | instskip(NEXT) | instid1(VALU_DEP_1)
	v_fma_f32 v27, v30, v28, -v31
	v_fmac_f32_e32 v27, v30, v26
	s_delay_alu instid0(VALU_DEP_1) | instskip(NEXT) | instid1(VALU_DEP_1)
	v_add_f32_e32 v32, v31, v27
	v_sub_f32_e32 v33, v29, v32
	v_sub_f32_e32 v25, v32, v31
	s_delay_alu instid0(VALU_DEP_2) | instskip(NEXT) | instid1(VALU_DEP_2)
	v_sub_f32_e32 v29, v29, v33
	v_sub_f32_e32 v25, v25, v27
	s_delay_alu instid0(VALU_DEP_2) | instskip(NEXT) | instid1(VALU_DEP_1)
	v_sub_f32_e32 v29, v29, v32
	v_add_f32_e32 v12, v12, v29
	s_delay_alu instid0(VALU_DEP_1) | instskip(NEXT) | instid1(VALU_DEP_1)
	v_add_f32_e32 v12, v25, v12
	v_add_f32_e32 v25, v33, v12
	s_delay_alu instid0(VALU_DEP_1) | instskip(NEXT) | instid1(VALU_DEP_1)
	v_mul_f32_e32 v27, v24, v25
	v_dual_sub_f32 v32, v33, v25 :: v_dual_mul_f32 v29, v28, v27
	s_delay_alu instid0(VALU_DEP_1) | instskip(NEXT) | instid1(VALU_DEP_2)
	v_add_f32_e32 v12, v12, v32
	v_fma_f32 v28, v27, v28, -v29
	s_delay_alu instid0(VALU_DEP_1) | instskip(NEXT) | instid1(VALU_DEP_1)
	v_fmac_f32_e32 v28, v27, v26
	v_add_f32_e32 v26, v29, v28
	s_delay_alu instid0(VALU_DEP_1) | instskip(SKIP_1) | instid1(VALU_DEP_2)
	v_sub_f32_e32 v31, v25, v26
	v_sub_f32_e32 v29, v26, v29
	;; [unrolled: 1-line block ×3, first 2 shown]
	s_delay_alu instid0(VALU_DEP_1) | instskip(NEXT) | instid1(VALU_DEP_1)
	v_sub_f32_e32 v25, v25, v26
	v_dual_add_f32 v12, v12, v25 :: v_dual_add_f32 v25, v30, v27
	s_delay_alu instid0(VALU_DEP_4) | instskip(NEXT) | instid1(VALU_DEP_1)
	v_sub_f32_e32 v26, v29, v28
	v_add_f32_e32 v12, v26, v12
	s_delay_alu instid0(VALU_DEP_3) | instskip(NEXT) | instid1(VALU_DEP_2)
	v_sub_f32_e32 v26, v25, v30
	v_add_f32_e32 v12, v31, v12
	s_delay_alu instid0(VALU_DEP_2) | instskip(NEXT) | instid1(VALU_DEP_2)
	v_sub_f32_e32 v26, v27, v26
	v_mul_f32_e32 v12, v24, v12
	s_delay_alu instid0(VALU_DEP_1) | instskip(NEXT) | instid1(VALU_DEP_1)
	v_add_f32_e32 v12, v26, v12
	v_add_f32_e32 v24, v25, v12
	s_delay_alu instid0(VALU_DEP_1) | instskip(NEXT) | instid1(VALU_DEP_1)
	v_mul_f32_e32 v26, v24, v24
	v_fmaak_f32 v27, s8, v26, 0x3ecc95a3
	v_mul_f32_e32 v28, v24, v26
	v_cmp_eq_f32_e64 s8, 0x7f800000, v23
	s_delay_alu instid0(VALU_DEP_3) | instskip(SKIP_2) | instid1(VALU_DEP_4)
	v_fmaak_f32 v26, v26, v27, 0x3f2aaada
	v_ldexp_f32 v27, v24, 1
	v_sub_f32_e32 v24, v24, v25
	s_or_b32 s8, s8, s31
	s_delay_alu instid0(VALU_DEP_3) | instskip(SKIP_1) | instid1(VALU_DEP_2)
	v_mul_f32_e32 v26, v28, v26
	v_mul_f32_e32 v28, 0x3f317218, v11
	v_dual_sub_f32 v12, v12, v24 :: v_dual_add_f32 v25, v27, v26
	s_delay_alu instid0(VALU_DEP_1) | instskip(NEXT) | instid1(VALU_DEP_2)
	v_ldexp_f32 v12, v12, 1
	v_sub_f32_e32 v24, v25, v27
	s_delay_alu instid0(VALU_DEP_4) | instskip(NEXT) | instid1(VALU_DEP_1)
	v_fma_f32 v27, 0x3f317218, v11, -v28
	v_dual_sub_f32 v24, v26, v24 :: v_dual_fmamk_f32 v11, v11, 0xb102e308, v27
	s_delay_alu instid0(VALU_DEP_1) | instskip(NEXT) | instid1(VALU_DEP_2)
	v_add_f32_e32 v12, v12, v24
	v_add_f32_e32 v24, v28, v11
	s_delay_alu instid0(VALU_DEP_2) | instskip(NEXT) | instid1(VALU_DEP_2)
	v_add_f32_e32 v26, v25, v12
	v_sub_f32_e32 v28, v24, v28
	s_delay_alu instid0(VALU_DEP_2) | instskip(SKIP_1) | instid1(VALU_DEP_3)
	v_add_f32_e32 v27, v24, v26
	v_sub_f32_e32 v25, v26, v25
	v_sub_f32_e32 v11, v11, v28
	s_delay_alu instid0(VALU_DEP_2) | instskip(NEXT) | instid1(VALU_DEP_1)
	v_dual_sub_f32 v29, v27, v24 :: v_dual_sub_f32 v12, v12, v25
	v_sub_f32_e32 v30, v27, v29
	s_delay_alu instid0(VALU_DEP_2) | instskip(NEXT) | instid1(VALU_DEP_2)
	v_dual_sub_f32 v25, v26, v29 :: v_dual_add_f32 v26, v11, v12
	v_sub_f32_e32 v24, v24, v30
	s_delay_alu instid0(VALU_DEP_1) | instskip(NEXT) | instid1(VALU_DEP_1)
	v_dual_add_f32 v24, v25, v24 :: v_dual_sub_f32 v25, v26, v11
	v_add_f32_e32 v24, v26, v24
	s_delay_alu instid0(VALU_DEP_2) | instskip(SKIP_1) | instid1(VALU_DEP_3)
	v_sub_f32_e32 v26, v26, v25
	v_sub_f32_e32 v12, v12, v25
	v_add_f32_e32 v28, v27, v24
	s_delay_alu instid0(VALU_DEP_3) | instskip(NEXT) | instid1(VALU_DEP_2)
	v_sub_f32_e32 v11, v11, v26
	v_sub_f32_e32 v25, v28, v27
	s_delay_alu instid0(VALU_DEP_2) | instskip(NEXT) | instid1(VALU_DEP_2)
	v_add_f32_e32 v11, v12, v11
	v_sub_f32_e32 v12, v24, v25
	s_delay_alu instid0(VALU_DEP_1) | instskip(NEXT) | instid1(VALU_DEP_1)
	v_add_f32_e32 v11, v11, v12
	v_add_f32_e32 v11, v28, v11
	s_delay_alu instid0(VALU_DEP_1) | instskip(NEXT) | instid1(VALU_DEP_1)
	v_cndmask_b32_e64 v11, v11, v23, s8
	v_add_f32_e32 v11, v10, v11
.LBB164_38:
	s_or_b32 exec_lo, exec_lo, s30
	s_delay_alu instid0(VALU_DEP_1)
	v_mov_b32_e32 v10, v11
.LBB164_39:
	s_or_b32 exec_lo, exec_lo, s29
	s_delay_alu instid0(VALU_DEP_1)
	v_mov_b32_dpp v11, v10 row_shr:2 row_mask:0xf bank_mask:0xf
	s_mov_b32 s29, exec_lo
	v_cmpx_lt_u32_e32 1, v9
	s_cbranch_execz .LBB164_43
; %bb.40:
	s_delay_alu instid0(VALU_DEP_2) | instskip(SKIP_1) | instid1(VALU_DEP_2)
	v_dual_max_f32 v12, v10, v10 :: v_dual_max_f32 v23, v11, v11
	v_cmp_u_f32_e64 s8, v11, v11
	v_min_f32_e32 v24, v23, v12
	v_max_f32_e32 v12, v23, v12
	s_delay_alu instid0(VALU_DEP_2) | instskip(NEXT) | instid1(VALU_DEP_2)
	v_cndmask_b32_e64 v23, v24, v11, s8
	v_cndmask_b32_e64 v24, v12, v11, s8
	v_cmp_u_f32_e64 s8, v10, v10
	s_delay_alu instid0(VALU_DEP_1) | instskip(NEXT) | instid1(VALU_DEP_3)
	v_cndmask_b32_e64 v12, v23, v10, s8
	v_cndmask_b32_e64 v10, v24, v10, s8
	s_delay_alu instid0(VALU_DEP_2) | instskip(NEXT) | instid1(VALU_DEP_2)
	v_cmp_class_f32_e64 s30, v12, 0x1f8
	v_cmp_neq_f32_e64 s8, v12, v10
	s_delay_alu instid0(VALU_DEP_1) | instskip(NEXT) | instid1(SALU_CYCLE_1)
	s_or_b32 s8, s8, s30
	s_and_saveexec_b32 s30, s8
	s_cbranch_execz .LBB164_42
; %bb.41:
	v_sub_f32_e32 v11, v12, v10
	s_delay_alu instid0(VALU_DEP_1) | instskip(SKIP_1) | instid1(VALU_DEP_2)
	v_mul_f32_e32 v12, 0x3fb8aa3b, v11
	v_cmp_ngt_f32_e64 s8, 0xc2ce8ed0, v11
	v_fma_f32 v23, 0x3fb8aa3b, v11, -v12
	v_rndne_f32_e32 v24, v12
	s_delay_alu instid0(VALU_DEP_1) | instskip(NEXT) | instid1(VALU_DEP_1)
	v_dual_fmamk_f32 v23, v11, 0x32a5705f, v23 :: v_dual_sub_f32 v12, v12, v24
	v_add_f32_e32 v12, v12, v23
	v_cvt_i32_f32_e32 v23, v24
	s_delay_alu instid0(VALU_DEP_2) | instskip(SKIP_2) | instid1(VALU_DEP_1)
	v_exp_f32_e32 v12, v12
	s_waitcnt_depctr 0xfff
	v_ldexp_f32 v12, v12, v23
	v_cndmask_b32_e64 v12, 0, v12, s8
	v_cmp_nlt_f32_e64 s8, 0x42b17218, v11
	s_delay_alu instid0(VALU_DEP_1) | instskip(NEXT) | instid1(VALU_DEP_1)
	v_cndmask_b32_e64 v23, 0x7f800000, v12, s8
	v_add_f32_e32 v24, 1.0, v23
	v_cmp_gt_f32_e64 s31, 0x33800000, |v23|
	s_delay_alu instid0(VALU_DEP_2) | instskip(NEXT) | instid1(VALU_DEP_1)
	v_cvt_f64_f32_e32 v[11:12], v24
	v_frexp_exp_i32_f64_e32 v11, v[11:12]
	v_frexp_mant_f32_e32 v12, v24
	s_delay_alu instid0(VALU_DEP_1) | instskip(SKIP_1) | instid1(VALU_DEP_1)
	v_cmp_gt_f32_e64 s8, 0x3f2aaaab, v12
	v_add_f32_e32 v12, -1.0, v24
	v_sub_f32_e32 v26, v12, v24
	v_sub_f32_e32 v12, v23, v12
	s_delay_alu instid0(VALU_DEP_2) | instskip(SKIP_2) | instid1(VALU_DEP_1)
	v_add_f32_e32 v26, 1.0, v26
	v_subrev_co_ci_u32_e64 v11, s8, 0, v11, s8
	s_mov_b32 s8, 0x3e9b6dac
	v_sub_nc_u32_e32 v25, 0, v11
	v_cvt_f32_i32_e32 v11, v11
	s_delay_alu instid0(VALU_DEP_2) | instskip(NEXT) | instid1(VALU_DEP_1)
	v_ldexp_f32 v24, v24, v25
	v_dual_add_f32 v27, 1.0, v24 :: v_dual_add_f32 v12, v12, v26
	s_delay_alu instid0(VALU_DEP_1) | instskip(NEXT) | instid1(VALU_DEP_2)
	v_add_f32_e32 v26, -1.0, v27
	v_ldexp_f32 v12, v12, v25
	s_delay_alu instid0(VALU_DEP_2) | instskip(NEXT) | instid1(VALU_DEP_1)
	v_dual_add_f32 v25, -1.0, v24 :: v_dual_sub_f32 v26, v24, v26
	v_add_f32_e32 v28, 1.0, v25
	s_delay_alu instid0(VALU_DEP_2) | instskip(NEXT) | instid1(VALU_DEP_2)
	v_add_f32_e32 v26, v12, v26
	v_sub_f32_e32 v24, v24, v28
	s_delay_alu instid0(VALU_DEP_2) | instskip(NEXT) | instid1(VALU_DEP_2)
	v_add_f32_e32 v28, v27, v26
	v_add_f32_e32 v12, v12, v24
	s_delay_alu instid0(VALU_DEP_2) | instskip(SKIP_1) | instid1(VALU_DEP_1)
	v_rcp_f32_e32 v24, v28
	v_sub_f32_e32 v27, v27, v28
	v_dual_add_f32 v29, v25, v12 :: v_dual_add_f32 v26, v26, v27
	s_delay_alu instid0(VALU_DEP_1) | instskip(SKIP_3) | instid1(VALU_DEP_2)
	v_sub_f32_e32 v25, v25, v29
	s_waitcnt_depctr 0xfff
	v_mul_f32_e32 v30, v29, v24
	v_add_f32_e32 v12, v12, v25
	v_mul_f32_e32 v31, v28, v30
	s_delay_alu instid0(VALU_DEP_1) | instskip(NEXT) | instid1(VALU_DEP_1)
	v_fma_f32 v27, v30, v28, -v31
	v_fmac_f32_e32 v27, v30, v26
	s_delay_alu instid0(VALU_DEP_1) | instskip(NEXT) | instid1(VALU_DEP_1)
	v_add_f32_e32 v32, v31, v27
	v_sub_f32_e32 v33, v29, v32
	v_sub_f32_e32 v25, v32, v31
	s_delay_alu instid0(VALU_DEP_2) | instskip(NEXT) | instid1(VALU_DEP_2)
	v_sub_f32_e32 v29, v29, v33
	v_sub_f32_e32 v25, v25, v27
	s_delay_alu instid0(VALU_DEP_2) | instskip(NEXT) | instid1(VALU_DEP_1)
	v_sub_f32_e32 v29, v29, v32
	v_add_f32_e32 v12, v12, v29
	s_delay_alu instid0(VALU_DEP_1) | instskip(NEXT) | instid1(VALU_DEP_1)
	v_add_f32_e32 v12, v25, v12
	v_add_f32_e32 v25, v33, v12
	s_delay_alu instid0(VALU_DEP_1) | instskip(NEXT) | instid1(VALU_DEP_1)
	v_mul_f32_e32 v27, v24, v25
	v_dual_sub_f32 v32, v33, v25 :: v_dual_mul_f32 v29, v28, v27
	s_delay_alu instid0(VALU_DEP_1) | instskip(NEXT) | instid1(VALU_DEP_2)
	v_add_f32_e32 v12, v12, v32
	v_fma_f32 v28, v27, v28, -v29
	s_delay_alu instid0(VALU_DEP_1) | instskip(NEXT) | instid1(VALU_DEP_1)
	v_fmac_f32_e32 v28, v27, v26
	v_add_f32_e32 v26, v29, v28
	s_delay_alu instid0(VALU_DEP_1) | instskip(SKIP_1) | instid1(VALU_DEP_2)
	v_sub_f32_e32 v31, v25, v26
	v_sub_f32_e32 v29, v26, v29
	;; [unrolled: 1-line block ×3, first 2 shown]
	s_delay_alu instid0(VALU_DEP_1) | instskip(NEXT) | instid1(VALU_DEP_1)
	v_sub_f32_e32 v25, v25, v26
	v_dual_add_f32 v12, v12, v25 :: v_dual_add_f32 v25, v30, v27
	s_delay_alu instid0(VALU_DEP_4) | instskip(NEXT) | instid1(VALU_DEP_1)
	v_sub_f32_e32 v26, v29, v28
	v_add_f32_e32 v12, v26, v12
	s_delay_alu instid0(VALU_DEP_3) | instskip(NEXT) | instid1(VALU_DEP_2)
	v_sub_f32_e32 v26, v25, v30
	v_add_f32_e32 v12, v31, v12
	s_delay_alu instid0(VALU_DEP_2) | instskip(NEXT) | instid1(VALU_DEP_2)
	v_sub_f32_e32 v26, v27, v26
	v_mul_f32_e32 v12, v24, v12
	s_delay_alu instid0(VALU_DEP_1) | instskip(NEXT) | instid1(VALU_DEP_1)
	v_add_f32_e32 v12, v26, v12
	v_add_f32_e32 v24, v25, v12
	s_delay_alu instid0(VALU_DEP_1) | instskip(NEXT) | instid1(VALU_DEP_1)
	v_mul_f32_e32 v26, v24, v24
	v_fmaak_f32 v27, s8, v26, 0x3ecc95a3
	v_mul_f32_e32 v28, v24, v26
	v_cmp_eq_f32_e64 s8, 0x7f800000, v23
	s_delay_alu instid0(VALU_DEP_3) | instskip(SKIP_2) | instid1(VALU_DEP_4)
	v_fmaak_f32 v26, v26, v27, 0x3f2aaada
	v_ldexp_f32 v27, v24, 1
	v_sub_f32_e32 v24, v24, v25
	s_or_b32 s8, s8, s31
	s_delay_alu instid0(VALU_DEP_3) | instskip(SKIP_1) | instid1(VALU_DEP_2)
	v_mul_f32_e32 v26, v28, v26
	v_mul_f32_e32 v28, 0x3f317218, v11
	v_dual_sub_f32 v12, v12, v24 :: v_dual_add_f32 v25, v27, v26
	s_delay_alu instid0(VALU_DEP_1) | instskip(NEXT) | instid1(VALU_DEP_2)
	v_ldexp_f32 v12, v12, 1
	v_sub_f32_e32 v24, v25, v27
	s_delay_alu instid0(VALU_DEP_4) | instskip(NEXT) | instid1(VALU_DEP_1)
	v_fma_f32 v27, 0x3f317218, v11, -v28
	v_dual_sub_f32 v24, v26, v24 :: v_dual_fmamk_f32 v11, v11, 0xb102e308, v27
	s_delay_alu instid0(VALU_DEP_1) | instskip(NEXT) | instid1(VALU_DEP_2)
	v_add_f32_e32 v12, v12, v24
	v_add_f32_e32 v24, v28, v11
	s_delay_alu instid0(VALU_DEP_2) | instskip(NEXT) | instid1(VALU_DEP_2)
	v_add_f32_e32 v26, v25, v12
	v_sub_f32_e32 v28, v24, v28
	s_delay_alu instid0(VALU_DEP_2) | instskip(SKIP_1) | instid1(VALU_DEP_3)
	v_add_f32_e32 v27, v24, v26
	v_sub_f32_e32 v25, v26, v25
	v_sub_f32_e32 v11, v11, v28
	s_delay_alu instid0(VALU_DEP_2) | instskip(NEXT) | instid1(VALU_DEP_1)
	v_dual_sub_f32 v29, v27, v24 :: v_dual_sub_f32 v12, v12, v25
	v_sub_f32_e32 v30, v27, v29
	s_delay_alu instid0(VALU_DEP_2) | instskip(NEXT) | instid1(VALU_DEP_2)
	v_dual_sub_f32 v25, v26, v29 :: v_dual_add_f32 v26, v11, v12
	v_sub_f32_e32 v24, v24, v30
	s_delay_alu instid0(VALU_DEP_1) | instskip(NEXT) | instid1(VALU_DEP_1)
	v_dual_add_f32 v24, v25, v24 :: v_dual_sub_f32 v25, v26, v11
	v_add_f32_e32 v24, v26, v24
	s_delay_alu instid0(VALU_DEP_2) | instskip(SKIP_1) | instid1(VALU_DEP_3)
	v_sub_f32_e32 v26, v26, v25
	v_sub_f32_e32 v12, v12, v25
	v_add_f32_e32 v28, v27, v24
	s_delay_alu instid0(VALU_DEP_3) | instskip(NEXT) | instid1(VALU_DEP_2)
	v_sub_f32_e32 v11, v11, v26
	v_sub_f32_e32 v25, v28, v27
	s_delay_alu instid0(VALU_DEP_2) | instskip(NEXT) | instid1(VALU_DEP_2)
	v_add_f32_e32 v11, v12, v11
	v_sub_f32_e32 v12, v24, v25
	s_delay_alu instid0(VALU_DEP_1) | instskip(NEXT) | instid1(VALU_DEP_1)
	v_add_f32_e32 v11, v11, v12
	v_add_f32_e32 v11, v28, v11
	s_delay_alu instid0(VALU_DEP_1) | instskip(NEXT) | instid1(VALU_DEP_1)
	v_cndmask_b32_e64 v11, v11, v23, s8
	v_add_f32_e32 v11, v10, v11
.LBB164_42:
	s_or_b32 exec_lo, exec_lo, s30
	s_delay_alu instid0(VALU_DEP_1)
	v_mov_b32_e32 v10, v11
.LBB164_43:
	s_or_b32 exec_lo, exec_lo, s29
	s_delay_alu instid0(VALU_DEP_1)
	v_mov_b32_dpp v11, v10 row_shr:4 row_mask:0xf bank_mask:0xf
	s_mov_b32 s29, exec_lo
	v_cmpx_lt_u32_e32 3, v9
	s_cbranch_execz .LBB164_47
; %bb.44:
	s_delay_alu instid0(VALU_DEP_2) | instskip(SKIP_1) | instid1(VALU_DEP_2)
	v_dual_max_f32 v12, v10, v10 :: v_dual_max_f32 v23, v11, v11
	v_cmp_u_f32_e64 s8, v11, v11
	v_min_f32_e32 v24, v23, v12
	v_max_f32_e32 v12, v23, v12
	s_delay_alu instid0(VALU_DEP_2) | instskip(NEXT) | instid1(VALU_DEP_2)
	v_cndmask_b32_e64 v23, v24, v11, s8
	v_cndmask_b32_e64 v24, v12, v11, s8
	v_cmp_u_f32_e64 s8, v10, v10
	s_delay_alu instid0(VALU_DEP_1) | instskip(NEXT) | instid1(VALU_DEP_3)
	v_cndmask_b32_e64 v12, v23, v10, s8
	v_cndmask_b32_e64 v10, v24, v10, s8
	s_delay_alu instid0(VALU_DEP_2) | instskip(NEXT) | instid1(VALU_DEP_2)
	v_cmp_class_f32_e64 s30, v12, 0x1f8
	v_cmp_neq_f32_e64 s8, v12, v10
	s_delay_alu instid0(VALU_DEP_1) | instskip(NEXT) | instid1(SALU_CYCLE_1)
	s_or_b32 s8, s8, s30
	s_and_saveexec_b32 s30, s8
	s_cbranch_execz .LBB164_46
; %bb.45:
	v_sub_f32_e32 v11, v12, v10
	s_delay_alu instid0(VALU_DEP_1) | instskip(SKIP_1) | instid1(VALU_DEP_2)
	v_mul_f32_e32 v12, 0x3fb8aa3b, v11
	v_cmp_ngt_f32_e64 s8, 0xc2ce8ed0, v11
	v_fma_f32 v23, 0x3fb8aa3b, v11, -v12
	v_rndne_f32_e32 v24, v12
	s_delay_alu instid0(VALU_DEP_1) | instskip(NEXT) | instid1(VALU_DEP_1)
	v_dual_fmamk_f32 v23, v11, 0x32a5705f, v23 :: v_dual_sub_f32 v12, v12, v24
	v_add_f32_e32 v12, v12, v23
	v_cvt_i32_f32_e32 v23, v24
	s_delay_alu instid0(VALU_DEP_2) | instskip(SKIP_2) | instid1(VALU_DEP_1)
	v_exp_f32_e32 v12, v12
	s_waitcnt_depctr 0xfff
	v_ldexp_f32 v12, v12, v23
	v_cndmask_b32_e64 v12, 0, v12, s8
	v_cmp_nlt_f32_e64 s8, 0x42b17218, v11
	s_delay_alu instid0(VALU_DEP_1) | instskip(NEXT) | instid1(VALU_DEP_1)
	v_cndmask_b32_e64 v23, 0x7f800000, v12, s8
	v_add_f32_e32 v24, 1.0, v23
	v_cmp_gt_f32_e64 s31, 0x33800000, |v23|
	s_delay_alu instid0(VALU_DEP_2) | instskip(NEXT) | instid1(VALU_DEP_1)
	v_cvt_f64_f32_e32 v[11:12], v24
	v_frexp_exp_i32_f64_e32 v11, v[11:12]
	v_frexp_mant_f32_e32 v12, v24
	s_delay_alu instid0(VALU_DEP_1) | instskip(SKIP_1) | instid1(VALU_DEP_1)
	v_cmp_gt_f32_e64 s8, 0x3f2aaaab, v12
	v_add_f32_e32 v12, -1.0, v24
	v_sub_f32_e32 v26, v12, v24
	v_sub_f32_e32 v12, v23, v12
	s_delay_alu instid0(VALU_DEP_2) | instskip(SKIP_2) | instid1(VALU_DEP_1)
	v_add_f32_e32 v26, 1.0, v26
	v_subrev_co_ci_u32_e64 v11, s8, 0, v11, s8
	s_mov_b32 s8, 0x3e9b6dac
	v_sub_nc_u32_e32 v25, 0, v11
	v_cvt_f32_i32_e32 v11, v11
	s_delay_alu instid0(VALU_DEP_2) | instskip(NEXT) | instid1(VALU_DEP_1)
	v_ldexp_f32 v24, v24, v25
	v_dual_add_f32 v27, 1.0, v24 :: v_dual_add_f32 v12, v12, v26
	s_delay_alu instid0(VALU_DEP_1) | instskip(NEXT) | instid1(VALU_DEP_2)
	v_add_f32_e32 v26, -1.0, v27
	v_ldexp_f32 v12, v12, v25
	s_delay_alu instid0(VALU_DEP_2) | instskip(NEXT) | instid1(VALU_DEP_1)
	v_dual_add_f32 v25, -1.0, v24 :: v_dual_sub_f32 v26, v24, v26
	v_add_f32_e32 v28, 1.0, v25
	s_delay_alu instid0(VALU_DEP_2) | instskip(NEXT) | instid1(VALU_DEP_2)
	v_add_f32_e32 v26, v12, v26
	v_sub_f32_e32 v24, v24, v28
	s_delay_alu instid0(VALU_DEP_2) | instskip(NEXT) | instid1(VALU_DEP_2)
	v_add_f32_e32 v28, v27, v26
	v_add_f32_e32 v12, v12, v24
	s_delay_alu instid0(VALU_DEP_2) | instskip(SKIP_1) | instid1(VALU_DEP_1)
	v_rcp_f32_e32 v24, v28
	v_sub_f32_e32 v27, v27, v28
	v_dual_add_f32 v29, v25, v12 :: v_dual_add_f32 v26, v26, v27
	s_delay_alu instid0(VALU_DEP_1) | instskip(SKIP_3) | instid1(VALU_DEP_2)
	v_sub_f32_e32 v25, v25, v29
	s_waitcnt_depctr 0xfff
	v_mul_f32_e32 v30, v29, v24
	v_add_f32_e32 v12, v12, v25
	v_mul_f32_e32 v31, v28, v30
	s_delay_alu instid0(VALU_DEP_1) | instskip(NEXT) | instid1(VALU_DEP_1)
	v_fma_f32 v27, v30, v28, -v31
	v_fmac_f32_e32 v27, v30, v26
	s_delay_alu instid0(VALU_DEP_1) | instskip(NEXT) | instid1(VALU_DEP_1)
	v_add_f32_e32 v32, v31, v27
	v_sub_f32_e32 v33, v29, v32
	v_sub_f32_e32 v25, v32, v31
	s_delay_alu instid0(VALU_DEP_2) | instskip(NEXT) | instid1(VALU_DEP_2)
	v_sub_f32_e32 v29, v29, v33
	v_sub_f32_e32 v25, v25, v27
	s_delay_alu instid0(VALU_DEP_2) | instskip(NEXT) | instid1(VALU_DEP_1)
	v_sub_f32_e32 v29, v29, v32
	v_add_f32_e32 v12, v12, v29
	s_delay_alu instid0(VALU_DEP_1) | instskip(NEXT) | instid1(VALU_DEP_1)
	v_add_f32_e32 v12, v25, v12
	v_add_f32_e32 v25, v33, v12
	s_delay_alu instid0(VALU_DEP_1) | instskip(NEXT) | instid1(VALU_DEP_1)
	v_mul_f32_e32 v27, v24, v25
	v_dual_sub_f32 v32, v33, v25 :: v_dual_mul_f32 v29, v28, v27
	s_delay_alu instid0(VALU_DEP_1) | instskip(NEXT) | instid1(VALU_DEP_2)
	v_add_f32_e32 v12, v12, v32
	v_fma_f32 v28, v27, v28, -v29
	s_delay_alu instid0(VALU_DEP_1) | instskip(NEXT) | instid1(VALU_DEP_1)
	v_fmac_f32_e32 v28, v27, v26
	v_add_f32_e32 v26, v29, v28
	s_delay_alu instid0(VALU_DEP_1) | instskip(SKIP_1) | instid1(VALU_DEP_2)
	v_sub_f32_e32 v31, v25, v26
	v_sub_f32_e32 v29, v26, v29
	;; [unrolled: 1-line block ×3, first 2 shown]
	s_delay_alu instid0(VALU_DEP_1) | instskip(NEXT) | instid1(VALU_DEP_1)
	v_sub_f32_e32 v25, v25, v26
	v_dual_add_f32 v12, v12, v25 :: v_dual_add_f32 v25, v30, v27
	s_delay_alu instid0(VALU_DEP_4) | instskip(NEXT) | instid1(VALU_DEP_1)
	v_sub_f32_e32 v26, v29, v28
	v_add_f32_e32 v12, v26, v12
	s_delay_alu instid0(VALU_DEP_3) | instskip(NEXT) | instid1(VALU_DEP_2)
	v_sub_f32_e32 v26, v25, v30
	v_add_f32_e32 v12, v31, v12
	s_delay_alu instid0(VALU_DEP_2) | instskip(NEXT) | instid1(VALU_DEP_2)
	v_sub_f32_e32 v26, v27, v26
	v_mul_f32_e32 v12, v24, v12
	s_delay_alu instid0(VALU_DEP_1) | instskip(NEXT) | instid1(VALU_DEP_1)
	v_add_f32_e32 v12, v26, v12
	v_add_f32_e32 v24, v25, v12
	s_delay_alu instid0(VALU_DEP_1) | instskip(NEXT) | instid1(VALU_DEP_1)
	v_mul_f32_e32 v26, v24, v24
	v_fmaak_f32 v27, s8, v26, 0x3ecc95a3
	v_mul_f32_e32 v28, v24, v26
	v_cmp_eq_f32_e64 s8, 0x7f800000, v23
	s_delay_alu instid0(VALU_DEP_3) | instskip(SKIP_2) | instid1(VALU_DEP_4)
	v_fmaak_f32 v26, v26, v27, 0x3f2aaada
	v_ldexp_f32 v27, v24, 1
	v_sub_f32_e32 v24, v24, v25
	s_or_b32 s8, s8, s31
	s_delay_alu instid0(VALU_DEP_3) | instskip(SKIP_1) | instid1(VALU_DEP_2)
	v_mul_f32_e32 v26, v28, v26
	v_mul_f32_e32 v28, 0x3f317218, v11
	v_dual_sub_f32 v12, v12, v24 :: v_dual_add_f32 v25, v27, v26
	s_delay_alu instid0(VALU_DEP_1) | instskip(NEXT) | instid1(VALU_DEP_2)
	v_ldexp_f32 v12, v12, 1
	v_sub_f32_e32 v24, v25, v27
	s_delay_alu instid0(VALU_DEP_4) | instskip(NEXT) | instid1(VALU_DEP_1)
	v_fma_f32 v27, 0x3f317218, v11, -v28
	v_dual_sub_f32 v24, v26, v24 :: v_dual_fmamk_f32 v11, v11, 0xb102e308, v27
	s_delay_alu instid0(VALU_DEP_1) | instskip(NEXT) | instid1(VALU_DEP_2)
	v_add_f32_e32 v12, v12, v24
	v_add_f32_e32 v24, v28, v11
	s_delay_alu instid0(VALU_DEP_2) | instskip(NEXT) | instid1(VALU_DEP_2)
	v_add_f32_e32 v26, v25, v12
	v_sub_f32_e32 v28, v24, v28
	s_delay_alu instid0(VALU_DEP_2) | instskip(SKIP_1) | instid1(VALU_DEP_3)
	v_add_f32_e32 v27, v24, v26
	v_sub_f32_e32 v25, v26, v25
	v_sub_f32_e32 v11, v11, v28
	s_delay_alu instid0(VALU_DEP_2) | instskip(NEXT) | instid1(VALU_DEP_1)
	v_dual_sub_f32 v29, v27, v24 :: v_dual_sub_f32 v12, v12, v25
	v_sub_f32_e32 v30, v27, v29
	s_delay_alu instid0(VALU_DEP_2) | instskip(NEXT) | instid1(VALU_DEP_2)
	v_dual_sub_f32 v25, v26, v29 :: v_dual_add_f32 v26, v11, v12
	v_sub_f32_e32 v24, v24, v30
	s_delay_alu instid0(VALU_DEP_1) | instskip(NEXT) | instid1(VALU_DEP_1)
	v_dual_add_f32 v24, v25, v24 :: v_dual_sub_f32 v25, v26, v11
	v_add_f32_e32 v24, v26, v24
	s_delay_alu instid0(VALU_DEP_2) | instskip(SKIP_1) | instid1(VALU_DEP_3)
	v_sub_f32_e32 v26, v26, v25
	v_sub_f32_e32 v12, v12, v25
	v_add_f32_e32 v28, v27, v24
	s_delay_alu instid0(VALU_DEP_3) | instskip(NEXT) | instid1(VALU_DEP_2)
	v_sub_f32_e32 v11, v11, v26
	v_sub_f32_e32 v25, v28, v27
	s_delay_alu instid0(VALU_DEP_2) | instskip(NEXT) | instid1(VALU_DEP_2)
	v_add_f32_e32 v11, v12, v11
	v_sub_f32_e32 v12, v24, v25
	s_delay_alu instid0(VALU_DEP_1) | instskip(NEXT) | instid1(VALU_DEP_1)
	v_add_f32_e32 v11, v11, v12
	v_add_f32_e32 v11, v28, v11
	s_delay_alu instid0(VALU_DEP_1) | instskip(NEXT) | instid1(VALU_DEP_1)
	v_cndmask_b32_e64 v11, v11, v23, s8
	v_add_f32_e32 v11, v10, v11
.LBB164_46:
	s_or_b32 exec_lo, exec_lo, s30
	s_delay_alu instid0(VALU_DEP_1)
	v_mov_b32_e32 v10, v11
.LBB164_47:
	s_or_b32 exec_lo, exec_lo, s29
	s_delay_alu instid0(VALU_DEP_1)
	v_mov_b32_dpp v11, v10 row_shr:8 row_mask:0xf bank_mask:0xf
	s_mov_b32 s29, exec_lo
	v_cmpx_lt_u32_e32 7, v9
	s_cbranch_execz .LBB164_51
; %bb.48:
	s_delay_alu instid0(VALU_DEP_2) | instskip(SKIP_1) | instid1(VALU_DEP_2)
	v_dual_max_f32 v9, v10, v10 :: v_dual_max_f32 v12, v11, v11
	v_cmp_u_f32_e64 s8, v11, v11
	v_min_f32_e32 v23, v12, v9
	v_max_f32_e32 v9, v12, v9
	s_delay_alu instid0(VALU_DEP_2) | instskip(NEXT) | instid1(VALU_DEP_2)
	v_cndmask_b32_e64 v12, v23, v11, s8
	v_cndmask_b32_e64 v9, v9, v11, s8
	v_cmp_u_f32_e64 s8, v10, v10
	s_delay_alu instid0(VALU_DEP_1) | instskip(NEXT) | instid1(VALU_DEP_3)
	v_cndmask_b32_e64 v12, v12, v10, s8
	v_cndmask_b32_e64 v9, v9, v10, s8
	s_delay_alu instid0(VALU_DEP_2) | instskip(NEXT) | instid1(VALU_DEP_2)
	v_cmp_class_f32_e64 s30, v12, 0x1f8
	v_cmp_neq_f32_e64 s8, v12, v9
	s_delay_alu instid0(VALU_DEP_1) | instskip(NEXT) | instid1(SALU_CYCLE_1)
	s_or_b32 s8, s8, s30
	s_and_saveexec_b32 s30, s8
	s_cbranch_execz .LBB164_50
; %bb.49:
	v_sub_f32_e32 v10, v12, v9
	s_delay_alu instid0(VALU_DEP_1) | instskip(NEXT) | instid1(VALU_DEP_1)
	v_mul_f32_e32 v11, 0x3fb8aa3b, v10
	v_fma_f32 v12, 0x3fb8aa3b, v10, -v11
	v_rndne_f32_e32 v23, v11
	s_delay_alu instid0(VALU_DEP_1) | instskip(SKIP_1) | instid1(VALU_DEP_2)
	v_dual_sub_f32 v11, v11, v23 :: v_dual_fmamk_f32 v12, v10, 0x32a5705f, v12
	v_cmp_ngt_f32_e64 s8, 0xc2ce8ed0, v10
	v_add_f32_e32 v11, v11, v12
	v_cvt_i32_f32_e32 v12, v23
	s_delay_alu instid0(VALU_DEP_2) | instskip(SKIP_2) | instid1(VALU_DEP_1)
	v_exp_f32_e32 v11, v11
	s_waitcnt_depctr 0xfff
	v_ldexp_f32 v11, v11, v12
	v_cndmask_b32_e64 v11, 0, v11, s8
	v_cmp_nlt_f32_e64 s8, 0x42b17218, v10
	s_delay_alu instid0(VALU_DEP_1) | instskip(NEXT) | instid1(VALU_DEP_1)
	v_cndmask_b32_e64 v12, 0x7f800000, v11, s8
	v_add_f32_e32 v23, 1.0, v12
	v_cmp_gt_f32_e64 s31, 0x33800000, |v12|
	s_delay_alu instid0(VALU_DEP_2) | instskip(NEXT) | instid1(VALU_DEP_1)
	v_cvt_f64_f32_e32 v[10:11], v23
	v_frexp_exp_i32_f64_e32 v10, v[10:11]
	v_frexp_mant_f32_e32 v11, v23
	s_delay_alu instid0(VALU_DEP_1) | instskip(SKIP_1) | instid1(VALU_DEP_1)
	v_cmp_gt_f32_e64 s8, 0x3f2aaaab, v11
	v_add_f32_e32 v11, -1.0, v23
	v_sub_f32_e32 v25, v11, v23
	v_sub_f32_e32 v11, v12, v11
	s_delay_alu instid0(VALU_DEP_4) | instskip(SKIP_1) | instid1(VALU_DEP_1)
	v_subrev_co_ci_u32_e64 v10, s8, 0, v10, s8
	s_mov_b32 s8, 0x3e9b6dac
	v_sub_nc_u32_e32 v24, 0, v10
	v_cvt_f32_i32_e32 v10, v10
	s_delay_alu instid0(VALU_DEP_2) | instskip(NEXT) | instid1(VALU_DEP_1)
	v_ldexp_f32 v23, v23, v24
	v_dual_add_f32 v26, 1.0, v23 :: v_dual_add_f32 v25, 1.0, v25
	s_delay_alu instid0(VALU_DEP_1) | instskip(NEXT) | instid1(VALU_DEP_2)
	v_add_f32_e32 v11, v11, v25
	v_add_f32_e32 v25, -1.0, v26
	s_delay_alu instid0(VALU_DEP_2) | instskip(NEXT) | instid1(VALU_DEP_2)
	v_ldexp_f32 v11, v11, v24
	v_dual_add_f32 v24, -1.0, v23 :: v_dual_sub_f32 v25, v23, v25
	s_delay_alu instid0(VALU_DEP_1) | instskip(NEXT) | instid1(VALU_DEP_2)
	v_add_f32_e32 v27, 1.0, v24
	v_add_f32_e32 v25, v11, v25
	s_delay_alu instid0(VALU_DEP_2) | instskip(NEXT) | instid1(VALU_DEP_2)
	v_sub_f32_e32 v23, v23, v27
	v_add_f32_e32 v27, v26, v25
	s_delay_alu instid0(VALU_DEP_2) | instskip(NEXT) | instid1(VALU_DEP_2)
	v_add_f32_e32 v11, v11, v23
	v_rcp_f32_e32 v23, v27
	v_sub_f32_e32 v26, v26, v27
	s_delay_alu instid0(VALU_DEP_1) | instskip(NEXT) | instid1(VALU_DEP_1)
	v_dual_add_f32 v28, v24, v11 :: v_dual_add_f32 v25, v25, v26
	v_sub_f32_e32 v24, v24, v28
	s_waitcnt_depctr 0xfff
	v_mul_f32_e32 v29, v28, v23
	v_add_f32_e32 v11, v11, v24
	s_delay_alu instid0(VALU_DEP_2) | instskip(NEXT) | instid1(VALU_DEP_1)
	v_mul_f32_e32 v30, v27, v29
	v_fma_f32 v26, v29, v27, -v30
	s_delay_alu instid0(VALU_DEP_1) | instskip(NEXT) | instid1(VALU_DEP_1)
	v_fmac_f32_e32 v26, v29, v25
	v_add_f32_e32 v31, v30, v26
	s_delay_alu instid0(VALU_DEP_1) | instskip(SKIP_1) | instid1(VALU_DEP_2)
	v_sub_f32_e32 v32, v28, v31
	v_sub_f32_e32 v24, v31, v30
	;; [unrolled: 1-line block ×3, first 2 shown]
	s_delay_alu instid0(VALU_DEP_2) | instskip(NEXT) | instid1(VALU_DEP_2)
	v_sub_f32_e32 v24, v24, v26
	v_sub_f32_e32 v28, v28, v31
	s_delay_alu instid0(VALU_DEP_1) | instskip(NEXT) | instid1(VALU_DEP_1)
	v_add_f32_e32 v11, v11, v28
	v_add_f32_e32 v11, v24, v11
	s_delay_alu instid0(VALU_DEP_1) | instskip(NEXT) | instid1(VALU_DEP_1)
	v_add_f32_e32 v24, v32, v11
	v_mul_f32_e32 v26, v23, v24
	s_delay_alu instid0(VALU_DEP_1) | instskip(NEXT) | instid1(VALU_DEP_1)
	v_dual_sub_f32 v31, v32, v24 :: v_dual_mul_f32 v28, v27, v26
	v_add_f32_e32 v11, v11, v31
	s_delay_alu instid0(VALU_DEP_2) | instskip(NEXT) | instid1(VALU_DEP_1)
	v_fma_f32 v27, v26, v27, -v28
	v_fmac_f32_e32 v27, v26, v25
	s_delay_alu instid0(VALU_DEP_1) | instskip(NEXT) | instid1(VALU_DEP_1)
	v_add_f32_e32 v25, v28, v27
	v_sub_f32_e32 v30, v24, v25
	v_sub_f32_e32 v28, v25, v28
	s_delay_alu instid0(VALU_DEP_2) | instskip(NEXT) | instid1(VALU_DEP_1)
	v_sub_f32_e32 v24, v24, v30
	v_sub_f32_e32 v24, v24, v25
	s_delay_alu instid0(VALU_DEP_3) | instskip(NEXT) | instid1(VALU_DEP_2)
	v_sub_f32_e32 v25, v28, v27
	v_dual_add_f32 v11, v11, v24 :: v_dual_add_f32 v24, v29, v26
	s_delay_alu instid0(VALU_DEP_1) | instskip(NEXT) | instid1(VALU_DEP_2)
	v_add_f32_e32 v11, v25, v11
	v_sub_f32_e32 v25, v24, v29
	s_delay_alu instid0(VALU_DEP_2) | instskip(NEXT) | instid1(VALU_DEP_2)
	v_add_f32_e32 v11, v30, v11
	v_sub_f32_e32 v25, v26, v25
	s_delay_alu instid0(VALU_DEP_2) | instskip(NEXT) | instid1(VALU_DEP_1)
	v_mul_f32_e32 v11, v23, v11
	v_add_f32_e32 v11, v25, v11
	s_delay_alu instid0(VALU_DEP_1) | instskip(NEXT) | instid1(VALU_DEP_1)
	v_add_f32_e32 v23, v24, v11
	v_mul_f32_e32 v25, v23, v23
	s_delay_alu instid0(VALU_DEP_1) | instskip(SKIP_2) | instid1(VALU_DEP_3)
	v_fmaak_f32 v26, s8, v25, 0x3ecc95a3
	v_mul_f32_e32 v27, v23, v25
	v_cmp_eq_f32_e64 s8, 0x7f800000, v12
	v_fmaak_f32 v25, v25, v26, 0x3f2aaada
	v_ldexp_f32 v26, v23, 1
	v_sub_f32_e32 v23, v23, v24
	s_delay_alu instid0(VALU_DEP_4) | instskip(NEXT) | instid1(VALU_DEP_3)
	s_or_b32 s8, s8, s31
	v_mul_f32_e32 v25, v27, v25
	v_mul_f32_e32 v27, 0x3f317218, v10
	s_delay_alu instid0(VALU_DEP_2) | instskip(NEXT) | instid1(VALU_DEP_1)
	v_dual_sub_f32 v11, v11, v23 :: v_dual_add_f32 v24, v26, v25
	v_ldexp_f32 v11, v11, 1
	s_delay_alu instid0(VALU_DEP_2) | instskip(NEXT) | instid1(VALU_DEP_4)
	v_sub_f32_e32 v23, v24, v26
	v_fma_f32 v26, 0x3f317218, v10, -v27
	s_delay_alu instid0(VALU_DEP_1) | instskip(NEXT) | instid1(VALU_DEP_1)
	v_dual_sub_f32 v23, v25, v23 :: v_dual_fmamk_f32 v10, v10, 0xb102e308, v26
	v_add_f32_e32 v11, v11, v23
	s_delay_alu instid0(VALU_DEP_2) | instskip(NEXT) | instid1(VALU_DEP_2)
	v_add_f32_e32 v23, v27, v10
	v_add_f32_e32 v25, v24, v11
	s_delay_alu instid0(VALU_DEP_2) | instskip(NEXT) | instid1(VALU_DEP_2)
	v_sub_f32_e32 v27, v23, v27
	v_add_f32_e32 v26, v23, v25
	v_sub_f32_e32 v24, v25, v24
	s_delay_alu instid0(VALU_DEP_3) | instskip(NEXT) | instid1(VALU_DEP_2)
	v_sub_f32_e32 v10, v10, v27
	v_dual_sub_f32 v28, v26, v23 :: v_dual_sub_f32 v11, v11, v24
	s_delay_alu instid0(VALU_DEP_1) | instskip(NEXT) | instid1(VALU_DEP_2)
	v_sub_f32_e32 v29, v26, v28
	v_dual_sub_f32 v24, v25, v28 :: v_dual_add_f32 v25, v10, v11
	s_delay_alu instid0(VALU_DEP_2) | instskip(NEXT) | instid1(VALU_DEP_1)
	v_sub_f32_e32 v23, v23, v29
	v_dual_add_f32 v23, v24, v23 :: v_dual_sub_f32 v24, v25, v10
	s_delay_alu instid0(VALU_DEP_1) | instskip(NEXT) | instid1(VALU_DEP_2)
	v_add_f32_e32 v23, v25, v23
	v_sub_f32_e32 v25, v25, v24
	v_sub_f32_e32 v11, v11, v24
	s_delay_alu instid0(VALU_DEP_3) | instskip(NEXT) | instid1(VALU_DEP_3)
	v_add_f32_e32 v27, v26, v23
	v_sub_f32_e32 v10, v10, v25
	s_delay_alu instid0(VALU_DEP_2) | instskip(NEXT) | instid1(VALU_DEP_2)
	v_sub_f32_e32 v24, v27, v26
	v_add_f32_e32 v10, v11, v10
	s_delay_alu instid0(VALU_DEP_2) | instskip(NEXT) | instid1(VALU_DEP_1)
	v_sub_f32_e32 v11, v23, v24
	v_add_f32_e32 v10, v10, v11
	s_delay_alu instid0(VALU_DEP_1) | instskip(NEXT) | instid1(VALU_DEP_1)
	v_add_f32_e32 v10, v27, v10
	v_cndmask_b32_e64 v10, v10, v12, s8
	s_delay_alu instid0(VALU_DEP_1)
	v_add_f32_e32 v11, v9, v10
.LBB164_50:
	s_or_b32 exec_lo, exec_lo, s30
	s_delay_alu instid0(VALU_DEP_1)
	v_mov_b32_e32 v10, v11
.LBB164_51:
	s_or_b32 exec_lo, exec_lo, s29
	ds_swizzle_b32 v11, v10 offset:swizzle(BROADCAST,32,15)
	v_and_b32_e32 v9, 16, v4
	s_mov_b32 s29, exec_lo
	s_delay_alu instid0(VALU_DEP_1)
	v_cmpx_ne_u32_e32 0, v9
	s_cbranch_execz .LBB164_55
; %bb.52:
	s_waitcnt lgkmcnt(0)
	v_dual_max_f32 v9, v10, v10 :: v_dual_max_f32 v12, v11, v11
	v_cmp_u_f32_e64 s8, v11, v11
	s_delay_alu instid0(VALU_DEP_2) | instskip(SKIP_1) | instid1(VALU_DEP_2)
	v_min_f32_e32 v23, v12, v9
	v_max_f32_e32 v9, v12, v9
	v_cndmask_b32_e64 v12, v23, v11, s8
	s_delay_alu instid0(VALU_DEP_2) | instskip(SKIP_1) | instid1(VALU_DEP_1)
	v_cndmask_b32_e64 v9, v9, v11, s8
	v_cmp_u_f32_e64 s8, v10, v10
	v_cndmask_b32_e64 v12, v12, v10, s8
	s_delay_alu instid0(VALU_DEP_3) | instskip(NEXT) | instid1(VALU_DEP_2)
	v_cndmask_b32_e64 v9, v9, v10, s8
	v_cmp_class_f32_e64 s30, v12, 0x1f8
	s_delay_alu instid0(VALU_DEP_2) | instskip(NEXT) | instid1(VALU_DEP_1)
	v_cmp_neq_f32_e64 s8, v12, v9
	s_or_b32 s8, s8, s30
	s_delay_alu instid0(SALU_CYCLE_1)
	s_and_saveexec_b32 s30, s8
	s_cbranch_execz .LBB164_54
; %bb.53:
	v_sub_f32_e32 v10, v12, v9
	s_delay_alu instid0(VALU_DEP_1) | instskip(NEXT) | instid1(VALU_DEP_1)
	v_mul_f32_e32 v11, 0x3fb8aa3b, v10
	v_fma_f32 v12, 0x3fb8aa3b, v10, -v11
	v_rndne_f32_e32 v23, v11
	s_delay_alu instid0(VALU_DEP_1) | instskip(SKIP_1) | instid1(VALU_DEP_2)
	v_dual_sub_f32 v11, v11, v23 :: v_dual_fmamk_f32 v12, v10, 0x32a5705f, v12
	v_cmp_ngt_f32_e64 s8, 0xc2ce8ed0, v10
	v_add_f32_e32 v11, v11, v12
	v_cvt_i32_f32_e32 v12, v23
	s_delay_alu instid0(VALU_DEP_2) | instskip(SKIP_2) | instid1(VALU_DEP_1)
	v_exp_f32_e32 v11, v11
	s_waitcnt_depctr 0xfff
	v_ldexp_f32 v11, v11, v12
	v_cndmask_b32_e64 v11, 0, v11, s8
	v_cmp_nlt_f32_e64 s8, 0x42b17218, v10
	s_delay_alu instid0(VALU_DEP_1) | instskip(NEXT) | instid1(VALU_DEP_1)
	v_cndmask_b32_e64 v12, 0x7f800000, v11, s8
	v_add_f32_e32 v23, 1.0, v12
	v_cmp_gt_f32_e64 s31, 0x33800000, |v12|
	s_delay_alu instid0(VALU_DEP_2) | instskip(NEXT) | instid1(VALU_DEP_1)
	v_cvt_f64_f32_e32 v[10:11], v23
	v_frexp_exp_i32_f64_e32 v10, v[10:11]
	v_frexp_mant_f32_e32 v11, v23
	s_delay_alu instid0(VALU_DEP_1) | instskip(SKIP_1) | instid1(VALU_DEP_1)
	v_cmp_gt_f32_e64 s8, 0x3f2aaaab, v11
	v_add_f32_e32 v11, -1.0, v23
	v_sub_f32_e32 v25, v11, v23
	v_sub_f32_e32 v11, v12, v11
	s_delay_alu instid0(VALU_DEP_4) | instskip(SKIP_1) | instid1(VALU_DEP_1)
	v_subrev_co_ci_u32_e64 v10, s8, 0, v10, s8
	s_mov_b32 s8, 0x3e9b6dac
	v_sub_nc_u32_e32 v24, 0, v10
	v_cvt_f32_i32_e32 v10, v10
	s_delay_alu instid0(VALU_DEP_2) | instskip(NEXT) | instid1(VALU_DEP_1)
	v_ldexp_f32 v23, v23, v24
	v_dual_add_f32 v26, 1.0, v23 :: v_dual_add_f32 v25, 1.0, v25
	s_delay_alu instid0(VALU_DEP_1) | instskip(NEXT) | instid1(VALU_DEP_2)
	v_add_f32_e32 v11, v11, v25
	v_add_f32_e32 v25, -1.0, v26
	s_delay_alu instid0(VALU_DEP_2) | instskip(NEXT) | instid1(VALU_DEP_2)
	v_ldexp_f32 v11, v11, v24
	v_dual_add_f32 v24, -1.0, v23 :: v_dual_sub_f32 v25, v23, v25
	s_delay_alu instid0(VALU_DEP_1) | instskip(NEXT) | instid1(VALU_DEP_2)
	v_add_f32_e32 v27, 1.0, v24
	v_add_f32_e32 v25, v11, v25
	s_delay_alu instid0(VALU_DEP_2) | instskip(NEXT) | instid1(VALU_DEP_2)
	v_sub_f32_e32 v23, v23, v27
	v_add_f32_e32 v27, v26, v25
	s_delay_alu instid0(VALU_DEP_2) | instskip(NEXT) | instid1(VALU_DEP_2)
	v_add_f32_e32 v11, v11, v23
	v_rcp_f32_e32 v23, v27
	v_sub_f32_e32 v26, v26, v27
	s_delay_alu instid0(VALU_DEP_1) | instskip(NEXT) | instid1(VALU_DEP_1)
	v_dual_add_f32 v28, v24, v11 :: v_dual_add_f32 v25, v25, v26
	v_sub_f32_e32 v24, v24, v28
	s_waitcnt_depctr 0xfff
	v_mul_f32_e32 v29, v28, v23
	v_add_f32_e32 v11, v11, v24
	s_delay_alu instid0(VALU_DEP_2) | instskip(NEXT) | instid1(VALU_DEP_1)
	v_mul_f32_e32 v30, v27, v29
	v_fma_f32 v26, v29, v27, -v30
	s_delay_alu instid0(VALU_DEP_1) | instskip(NEXT) | instid1(VALU_DEP_1)
	v_fmac_f32_e32 v26, v29, v25
	v_add_f32_e32 v31, v30, v26
	s_delay_alu instid0(VALU_DEP_1) | instskip(SKIP_1) | instid1(VALU_DEP_2)
	v_sub_f32_e32 v32, v28, v31
	v_sub_f32_e32 v24, v31, v30
	;; [unrolled: 1-line block ×3, first 2 shown]
	s_delay_alu instid0(VALU_DEP_2) | instskip(NEXT) | instid1(VALU_DEP_2)
	v_sub_f32_e32 v24, v24, v26
	v_sub_f32_e32 v28, v28, v31
	s_delay_alu instid0(VALU_DEP_1) | instskip(NEXT) | instid1(VALU_DEP_1)
	v_add_f32_e32 v11, v11, v28
	v_add_f32_e32 v11, v24, v11
	s_delay_alu instid0(VALU_DEP_1) | instskip(NEXT) | instid1(VALU_DEP_1)
	v_add_f32_e32 v24, v32, v11
	v_mul_f32_e32 v26, v23, v24
	s_delay_alu instid0(VALU_DEP_1) | instskip(NEXT) | instid1(VALU_DEP_1)
	v_dual_sub_f32 v31, v32, v24 :: v_dual_mul_f32 v28, v27, v26
	v_add_f32_e32 v11, v11, v31
	s_delay_alu instid0(VALU_DEP_2) | instskip(NEXT) | instid1(VALU_DEP_1)
	v_fma_f32 v27, v26, v27, -v28
	v_fmac_f32_e32 v27, v26, v25
	s_delay_alu instid0(VALU_DEP_1) | instskip(NEXT) | instid1(VALU_DEP_1)
	v_add_f32_e32 v25, v28, v27
	v_sub_f32_e32 v30, v24, v25
	v_sub_f32_e32 v28, v25, v28
	s_delay_alu instid0(VALU_DEP_2) | instskip(NEXT) | instid1(VALU_DEP_1)
	v_sub_f32_e32 v24, v24, v30
	v_sub_f32_e32 v24, v24, v25
	s_delay_alu instid0(VALU_DEP_3) | instskip(NEXT) | instid1(VALU_DEP_2)
	v_sub_f32_e32 v25, v28, v27
	v_dual_add_f32 v11, v11, v24 :: v_dual_add_f32 v24, v29, v26
	s_delay_alu instid0(VALU_DEP_1) | instskip(NEXT) | instid1(VALU_DEP_2)
	v_add_f32_e32 v11, v25, v11
	v_sub_f32_e32 v25, v24, v29
	s_delay_alu instid0(VALU_DEP_2) | instskip(NEXT) | instid1(VALU_DEP_2)
	v_add_f32_e32 v11, v30, v11
	v_sub_f32_e32 v25, v26, v25
	s_delay_alu instid0(VALU_DEP_2) | instskip(NEXT) | instid1(VALU_DEP_1)
	v_mul_f32_e32 v11, v23, v11
	v_add_f32_e32 v11, v25, v11
	s_delay_alu instid0(VALU_DEP_1) | instskip(NEXT) | instid1(VALU_DEP_1)
	v_add_f32_e32 v23, v24, v11
	v_mul_f32_e32 v25, v23, v23
	s_delay_alu instid0(VALU_DEP_1) | instskip(SKIP_2) | instid1(VALU_DEP_3)
	v_fmaak_f32 v26, s8, v25, 0x3ecc95a3
	v_mul_f32_e32 v27, v23, v25
	v_cmp_eq_f32_e64 s8, 0x7f800000, v12
	v_fmaak_f32 v25, v25, v26, 0x3f2aaada
	v_ldexp_f32 v26, v23, 1
	v_sub_f32_e32 v23, v23, v24
	s_delay_alu instid0(VALU_DEP_4) | instskip(NEXT) | instid1(VALU_DEP_3)
	s_or_b32 s8, s8, s31
	v_mul_f32_e32 v25, v27, v25
	v_mul_f32_e32 v27, 0x3f317218, v10
	s_delay_alu instid0(VALU_DEP_2) | instskip(NEXT) | instid1(VALU_DEP_1)
	v_dual_sub_f32 v11, v11, v23 :: v_dual_add_f32 v24, v26, v25
	v_ldexp_f32 v11, v11, 1
	s_delay_alu instid0(VALU_DEP_2) | instskip(NEXT) | instid1(VALU_DEP_4)
	v_sub_f32_e32 v23, v24, v26
	v_fma_f32 v26, 0x3f317218, v10, -v27
	s_delay_alu instid0(VALU_DEP_1) | instskip(NEXT) | instid1(VALU_DEP_1)
	v_dual_sub_f32 v23, v25, v23 :: v_dual_fmamk_f32 v10, v10, 0xb102e308, v26
	v_add_f32_e32 v11, v11, v23
	s_delay_alu instid0(VALU_DEP_2) | instskip(NEXT) | instid1(VALU_DEP_2)
	v_add_f32_e32 v23, v27, v10
	v_add_f32_e32 v25, v24, v11
	s_delay_alu instid0(VALU_DEP_2) | instskip(NEXT) | instid1(VALU_DEP_2)
	v_sub_f32_e32 v27, v23, v27
	v_add_f32_e32 v26, v23, v25
	v_sub_f32_e32 v24, v25, v24
	s_delay_alu instid0(VALU_DEP_3) | instskip(NEXT) | instid1(VALU_DEP_2)
	v_sub_f32_e32 v10, v10, v27
	v_dual_sub_f32 v28, v26, v23 :: v_dual_sub_f32 v11, v11, v24
	s_delay_alu instid0(VALU_DEP_1) | instskip(NEXT) | instid1(VALU_DEP_2)
	v_sub_f32_e32 v29, v26, v28
	v_dual_sub_f32 v24, v25, v28 :: v_dual_add_f32 v25, v10, v11
	s_delay_alu instid0(VALU_DEP_2) | instskip(NEXT) | instid1(VALU_DEP_1)
	v_sub_f32_e32 v23, v23, v29
	v_dual_add_f32 v23, v24, v23 :: v_dual_sub_f32 v24, v25, v10
	s_delay_alu instid0(VALU_DEP_1) | instskip(NEXT) | instid1(VALU_DEP_2)
	v_add_f32_e32 v23, v25, v23
	v_sub_f32_e32 v25, v25, v24
	v_sub_f32_e32 v11, v11, v24
	s_delay_alu instid0(VALU_DEP_3) | instskip(NEXT) | instid1(VALU_DEP_3)
	v_add_f32_e32 v27, v26, v23
	v_sub_f32_e32 v10, v10, v25
	s_delay_alu instid0(VALU_DEP_2) | instskip(NEXT) | instid1(VALU_DEP_2)
	v_sub_f32_e32 v24, v27, v26
	v_add_f32_e32 v10, v11, v10
	s_delay_alu instid0(VALU_DEP_2) | instskip(NEXT) | instid1(VALU_DEP_1)
	v_sub_f32_e32 v11, v23, v24
	v_add_f32_e32 v10, v10, v11
	s_delay_alu instid0(VALU_DEP_1) | instskip(NEXT) | instid1(VALU_DEP_1)
	v_add_f32_e32 v10, v27, v10
	v_cndmask_b32_e64 v10, v10, v12, s8
	s_delay_alu instid0(VALU_DEP_1)
	v_add_f32_e32 v11, v9, v10
.LBB164_54:
	s_or_b32 exec_lo, exec_lo, s30
	s_delay_alu instid0(VALU_DEP_1)
	v_mov_b32_e32 v10, v11
.LBB164_55:
	s_or_b32 exec_lo, exec_lo, s29
	v_add_nc_u32_e32 v9, -1, v4
	s_delay_alu instid0(VALU_DEP_1) | instskip(NEXT) | instid1(VALU_DEP_1)
	v_cmp_gt_i32_e64 s8, 0, v9
	v_cndmask_b32_e64 v4, v9, v4, s8
	s_delay_alu instid0(VALU_DEP_1) | instskip(SKIP_4) | instid1(VALU_DEP_2)
	v_lshlrev_b32_e32 v4, 2, v4
	ds_bpermute_b32 v4, v4, v10
	s_waitcnt lgkmcnt(0)
	v_max_f32_e32 v9, v4, v4
	v_cmp_u_f32_e64 s8, v4, v4
	v_min_f32_e32 v10, v9, v6
	v_max_f32_e32 v6, v9, v6
	s_delay_alu instid0(VALU_DEP_2) | instskip(NEXT) | instid1(VALU_DEP_2)
	v_cndmask_b32_e64 v9, v10, v4, s8
	v_cndmask_b32_e64 v10, v6, v4, s8
	s_delay_alu instid0(VALU_DEP_2) | instskip(NEXT) | instid1(VALU_DEP_2)
	v_cndmask_b32_e64 v6, v9, v3, s7
	v_cndmask_b32_e64 v3, v10, v3, s7
	s_delay_alu instid0(VALU_DEP_2) | instskip(NEXT) | instid1(VALU_DEP_2)
	v_cmp_class_f32_e64 s8, v6, 0x1f8
	v_cmp_neq_f32_e64 s7, v6, v3
	s_delay_alu instid0(VALU_DEP_1) | instskip(NEXT) | instid1(SALU_CYCLE_1)
	s_or_b32 s7, s7, s8
	s_and_saveexec_b32 s8, s7
	s_cbranch_execz .LBB164_57
; %bb.56:
	v_sub_f32_e32 v4, v6, v3
	s_delay_alu instid0(VALU_DEP_1) | instskip(SKIP_1) | instid1(VALU_DEP_2)
	v_mul_f32_e32 v6, 0x3fb8aa3b, v4
	v_cmp_ngt_f32_e64 s7, 0xc2ce8ed0, v4
	v_fma_f32 v9, 0x3fb8aa3b, v4, -v6
	v_rndne_f32_e32 v10, v6
	s_delay_alu instid0(VALU_DEP_1) | instskip(NEXT) | instid1(VALU_DEP_1)
	v_dual_fmamk_f32 v9, v4, 0x32a5705f, v9 :: v_dual_sub_f32 v6, v6, v10
	v_add_f32_e32 v6, v6, v9
	v_cvt_i32_f32_e32 v9, v10
	s_delay_alu instid0(VALU_DEP_2) | instskip(SKIP_2) | instid1(VALU_DEP_1)
	v_exp_f32_e32 v6, v6
	s_waitcnt_depctr 0xfff
	v_ldexp_f32 v6, v6, v9
	v_cndmask_b32_e64 v6, 0, v6, s7
	v_cmp_nlt_f32_e64 s7, 0x42b17218, v4
	s_delay_alu instid0(VALU_DEP_1) | instskip(NEXT) | instid1(VALU_DEP_1)
	v_cndmask_b32_e64 v4, 0x7f800000, v6, s7
	v_add_f32_e32 v6, 1.0, v4
	v_cmp_gt_f32_e64 s29, 0x33800000, |v4|
	s_delay_alu instid0(VALU_DEP_2) | instskip(NEXT) | instid1(VALU_DEP_1)
	v_cvt_f64_f32_e32 v[9:10], v6
	v_frexp_exp_i32_f64_e32 v9, v[9:10]
	v_frexp_mant_f32_e32 v10, v6
	s_delay_alu instid0(VALU_DEP_1) | instskip(SKIP_1) | instid1(VALU_DEP_1)
	v_cmp_gt_f32_e64 s7, 0x3f2aaaab, v10
	v_add_f32_e32 v10, -1.0, v6
	v_sub_f32_e32 v12, v10, v6
	v_sub_f32_e32 v10, v4, v10
	s_delay_alu instid0(VALU_DEP_4) | instskip(SKIP_1) | instid1(VALU_DEP_1)
	v_subrev_co_ci_u32_e64 v9, s7, 0, v9, s7
	s_mov_b32 s7, 0x3e9b6dac
	v_sub_nc_u32_e32 v11, 0, v9
	v_cvt_f32_i32_e32 v9, v9
	s_delay_alu instid0(VALU_DEP_2) | instskip(NEXT) | instid1(VALU_DEP_1)
	v_ldexp_f32 v6, v6, v11
	v_dual_add_f32 v12, 1.0, v12 :: v_dual_add_f32 v23, 1.0, v6
	s_delay_alu instid0(VALU_DEP_1) | instskip(NEXT) | instid1(VALU_DEP_2)
	v_add_f32_e32 v10, v10, v12
	v_add_f32_e32 v12, -1.0, v23
	s_delay_alu instid0(VALU_DEP_2) | instskip(NEXT) | instid1(VALU_DEP_2)
	v_ldexp_f32 v10, v10, v11
	v_dual_add_f32 v11, -1.0, v6 :: v_dual_sub_f32 v12, v6, v12
	s_delay_alu instid0(VALU_DEP_1) | instskip(NEXT) | instid1(VALU_DEP_2)
	v_add_f32_e32 v24, 1.0, v11
	v_add_f32_e32 v12, v10, v12
	s_delay_alu instid0(VALU_DEP_2) | instskip(NEXT) | instid1(VALU_DEP_2)
	v_sub_f32_e32 v6, v6, v24
	v_add_f32_e32 v24, v23, v12
	s_delay_alu instid0(VALU_DEP_2) | instskip(NEXT) | instid1(VALU_DEP_2)
	v_add_f32_e32 v6, v10, v6
	v_rcp_f32_e32 v10, v24
	v_sub_f32_e32 v23, v23, v24
	s_delay_alu instid0(VALU_DEP_1) | instskip(SKIP_2) | instid1(VALU_DEP_1)
	v_dual_add_f32 v25, v11, v6 :: v_dual_add_f32 v12, v12, v23
	s_waitcnt_depctr 0xfff
	v_dual_sub_f32 v11, v11, v25 :: v_dual_mul_f32 v26, v25, v10
	v_dual_add_f32 v6, v6, v11 :: v_dual_mul_f32 v27, v24, v26
	s_delay_alu instid0(VALU_DEP_1) | instskip(NEXT) | instid1(VALU_DEP_1)
	v_fma_f32 v23, v26, v24, -v27
	v_fmac_f32_e32 v23, v26, v12
	s_delay_alu instid0(VALU_DEP_1) | instskip(NEXT) | instid1(VALU_DEP_1)
	v_add_f32_e32 v28, v27, v23
	v_sub_f32_e32 v29, v25, v28
	v_sub_f32_e32 v11, v28, v27
	s_delay_alu instid0(VALU_DEP_2) | instskip(NEXT) | instid1(VALU_DEP_2)
	v_sub_f32_e32 v25, v25, v29
	v_sub_f32_e32 v11, v11, v23
	s_delay_alu instid0(VALU_DEP_2) | instskip(NEXT) | instid1(VALU_DEP_1)
	v_sub_f32_e32 v25, v25, v28
	v_add_f32_e32 v6, v6, v25
	s_delay_alu instid0(VALU_DEP_1) | instskip(NEXT) | instid1(VALU_DEP_1)
	v_add_f32_e32 v6, v11, v6
	v_add_f32_e32 v11, v29, v6
	s_delay_alu instid0(VALU_DEP_1) | instskip(SKIP_1) | instid1(VALU_DEP_1)
	v_mul_f32_e32 v23, v10, v11
	v_sub_f32_e32 v28, v29, v11
	v_dual_mul_f32 v25, v24, v23 :: v_dual_add_f32 v6, v6, v28
	s_delay_alu instid0(VALU_DEP_1) | instskip(NEXT) | instid1(VALU_DEP_1)
	v_fma_f32 v24, v23, v24, -v25
	v_fmac_f32_e32 v24, v23, v12
	s_delay_alu instid0(VALU_DEP_1) | instskip(NEXT) | instid1(VALU_DEP_1)
	v_add_f32_e32 v12, v25, v24
	v_sub_f32_e32 v27, v11, v12
	v_sub_f32_e32 v25, v12, v25
	s_delay_alu instid0(VALU_DEP_2) | instskip(NEXT) | instid1(VALU_DEP_1)
	v_sub_f32_e32 v11, v11, v27
	v_sub_f32_e32 v11, v11, v12
	s_delay_alu instid0(VALU_DEP_3) | instskip(NEXT) | instid1(VALU_DEP_2)
	v_sub_f32_e32 v12, v25, v24
	v_add_f32_e32 v6, v6, v11
	s_delay_alu instid0(VALU_DEP_1) | instskip(NEXT) | instid1(VALU_DEP_1)
	v_dual_add_f32 v11, v26, v23 :: v_dual_add_f32 v6, v12, v6
	v_sub_f32_e32 v12, v11, v26
	s_delay_alu instid0(VALU_DEP_2) | instskip(NEXT) | instid1(VALU_DEP_2)
	v_add_f32_e32 v6, v27, v6
	v_sub_f32_e32 v12, v23, v12
	s_delay_alu instid0(VALU_DEP_2) | instskip(NEXT) | instid1(VALU_DEP_1)
	v_mul_f32_e32 v6, v10, v6
	v_add_f32_e32 v6, v12, v6
	s_delay_alu instid0(VALU_DEP_1) | instskip(NEXT) | instid1(VALU_DEP_1)
	v_add_f32_e32 v10, v11, v6
	v_mul_f32_e32 v12, v10, v10
	s_delay_alu instid0(VALU_DEP_1) | instskip(SKIP_2) | instid1(VALU_DEP_3)
	v_fmaak_f32 v23, s7, v12, 0x3ecc95a3
	v_mul_f32_e32 v24, v10, v12
	v_cmp_eq_f32_e64 s7, 0x7f800000, v4
	v_fmaak_f32 v12, v12, v23, 0x3f2aaada
	v_ldexp_f32 v23, v10, 1
	v_sub_f32_e32 v10, v10, v11
	s_delay_alu instid0(VALU_DEP_4) | instskip(NEXT) | instid1(VALU_DEP_3)
	s_or_b32 s7, s7, s29
	v_mul_f32_e32 v12, v24, v12
	v_mul_f32_e32 v24, 0x3f317218, v9
	s_delay_alu instid0(VALU_DEP_2) | instskip(NEXT) | instid1(VALU_DEP_1)
	v_dual_sub_f32 v6, v6, v10 :: v_dual_add_f32 v11, v23, v12
	v_ldexp_f32 v6, v6, 1
	s_delay_alu instid0(VALU_DEP_2) | instskip(NEXT) | instid1(VALU_DEP_4)
	v_sub_f32_e32 v10, v11, v23
	v_fma_f32 v23, 0x3f317218, v9, -v24
	s_delay_alu instid0(VALU_DEP_1) | instskip(NEXT) | instid1(VALU_DEP_1)
	v_dual_sub_f32 v10, v12, v10 :: v_dual_fmamk_f32 v9, v9, 0xb102e308, v23
	v_add_f32_e32 v6, v6, v10
	s_delay_alu instid0(VALU_DEP_2) | instskip(NEXT) | instid1(VALU_DEP_2)
	v_add_f32_e32 v10, v24, v9
	v_add_f32_e32 v12, v11, v6
	s_delay_alu instid0(VALU_DEP_2) | instskip(NEXT) | instid1(VALU_DEP_2)
	v_sub_f32_e32 v24, v10, v24
	v_add_f32_e32 v23, v10, v12
	v_sub_f32_e32 v11, v12, v11
	s_delay_alu instid0(VALU_DEP_3) | instskip(NEXT) | instid1(VALU_DEP_2)
	v_sub_f32_e32 v9, v9, v24
	v_dual_sub_f32 v25, v23, v10 :: v_dual_sub_f32 v6, v6, v11
	s_delay_alu instid0(VALU_DEP_1) | instskip(NEXT) | instid1(VALU_DEP_2)
	v_sub_f32_e32 v26, v23, v25
	v_dual_sub_f32 v11, v12, v25 :: v_dual_add_f32 v12, v9, v6
	s_delay_alu instid0(VALU_DEP_2) | instskip(NEXT) | instid1(VALU_DEP_1)
	v_sub_f32_e32 v10, v10, v26
	v_dual_add_f32 v10, v11, v10 :: v_dual_sub_f32 v11, v12, v9
	s_delay_alu instid0(VALU_DEP_1) | instskip(NEXT) | instid1(VALU_DEP_2)
	v_add_f32_e32 v10, v12, v10
	v_sub_f32_e32 v12, v12, v11
	v_sub_f32_e32 v6, v6, v11
	s_delay_alu instid0(VALU_DEP_2) | instskip(NEXT) | instid1(VALU_DEP_1)
	v_dual_add_f32 v24, v23, v10 :: v_dual_sub_f32 v9, v9, v12
	v_dual_sub_f32 v11, v24, v23 :: v_dual_add_f32 v6, v6, v9
	s_delay_alu instid0(VALU_DEP_1) | instskip(NEXT) | instid1(VALU_DEP_1)
	v_sub_f32_e32 v9, v10, v11
	v_add_f32_e32 v6, v6, v9
	s_delay_alu instid0(VALU_DEP_1) | instskip(NEXT) | instid1(VALU_DEP_1)
	v_add_f32_e32 v6, v24, v6
	v_cndmask_b32_e64 v4, v6, v4, s7
	s_delay_alu instid0(VALU_DEP_1)
	v_add_f32_e32 v4, v3, v4
.LBB164_57:
	s_or_b32 exec_lo, exec_lo, s8
	s_delay_alu instid0(VALU_DEP_1)
	v_cndmask_b32_e64 v3, v4, v22, s3
	; wave barrier
	ds_store_b32 v5, v3
	; wave barrier
	ds_load_b32 v4, v5 offset:4
	v_max_f32_e32 v6, v3, v3
	v_cmp_u_f32_e64 s7, v3, v3
	s_waitcnt lgkmcnt(0)
	v_max_f32_e32 v9, v4, v4
	s_delay_alu instid0(VALU_DEP_1) | instskip(SKIP_1) | instid1(VALU_DEP_2)
	v_min_f32_e32 v10, v6, v9
	v_max_f32_e32 v6, v6, v9
	v_cndmask_b32_e64 v9, v10, v3, s7
	s_delay_alu instid0(VALU_DEP_2) | instskip(SKIP_1) | instid1(VALU_DEP_1)
	v_cndmask_b32_e64 v10, v6, v3, s7
	v_cmp_u_f32_e64 s7, v4, v4
	v_cndmask_b32_e64 v6, v9, v4, s7
	s_delay_alu instid0(VALU_DEP_3) | instskip(NEXT) | instid1(VALU_DEP_2)
	v_cndmask_b32_e64 v4, v10, v4, s7
	v_cmp_class_f32_e64 s8, v6, 0x1f8
	s_delay_alu instid0(VALU_DEP_2) | instskip(NEXT) | instid1(VALU_DEP_1)
	v_cmp_neq_f32_e64 s7, v6, v4
	s_or_b32 s7, s7, s8
	s_delay_alu instid0(SALU_CYCLE_1)
	s_and_saveexec_b32 s8, s7
	s_cbranch_execz .LBB164_59
; %bb.58:
	v_sub_f32_e32 v3, v6, v4
	s_delay_alu instid0(VALU_DEP_1) | instskip(SKIP_1) | instid1(VALU_DEP_2)
	v_mul_f32_e32 v6, 0x3fb8aa3b, v3
	v_cmp_ngt_f32_e64 s7, 0xc2ce8ed0, v3
	v_fma_f32 v9, 0x3fb8aa3b, v3, -v6
	v_rndne_f32_e32 v10, v6
	s_delay_alu instid0(VALU_DEP_1) | instskip(NEXT) | instid1(VALU_DEP_1)
	v_dual_fmamk_f32 v9, v3, 0x32a5705f, v9 :: v_dual_sub_f32 v6, v6, v10
	v_add_f32_e32 v6, v6, v9
	v_cvt_i32_f32_e32 v9, v10
	s_delay_alu instid0(VALU_DEP_2) | instskip(SKIP_2) | instid1(VALU_DEP_1)
	v_exp_f32_e32 v6, v6
	s_waitcnt_depctr 0xfff
	v_ldexp_f32 v6, v6, v9
	v_cndmask_b32_e64 v6, 0, v6, s7
	v_cmp_nlt_f32_e64 s7, 0x42b17218, v3
	s_delay_alu instid0(VALU_DEP_1) | instskip(NEXT) | instid1(VALU_DEP_1)
	v_cndmask_b32_e64 v3, 0x7f800000, v6, s7
	v_add_f32_e32 v6, 1.0, v3
	v_cmp_gt_f32_e64 s29, 0x33800000, |v3|
	s_delay_alu instid0(VALU_DEP_2) | instskip(NEXT) | instid1(VALU_DEP_1)
	v_cvt_f64_f32_e32 v[9:10], v6
	v_frexp_exp_i32_f64_e32 v9, v[9:10]
	v_frexp_mant_f32_e32 v10, v6
	s_delay_alu instid0(VALU_DEP_1) | instskip(SKIP_1) | instid1(VALU_DEP_1)
	v_cmp_gt_f32_e64 s7, 0x3f2aaaab, v10
	v_add_f32_e32 v10, -1.0, v6
	v_sub_f32_e32 v12, v10, v6
	v_sub_f32_e32 v10, v3, v10
	s_delay_alu instid0(VALU_DEP_4) | instskip(SKIP_1) | instid1(VALU_DEP_1)
	v_subrev_co_ci_u32_e64 v9, s7, 0, v9, s7
	s_mov_b32 s7, 0x3e9b6dac
	v_sub_nc_u32_e32 v11, 0, v9
	v_cvt_f32_i32_e32 v9, v9
	s_delay_alu instid0(VALU_DEP_2) | instskip(NEXT) | instid1(VALU_DEP_1)
	v_ldexp_f32 v6, v6, v11
	v_dual_add_f32 v12, 1.0, v12 :: v_dual_add_f32 v23, 1.0, v6
	s_delay_alu instid0(VALU_DEP_1) | instskip(NEXT) | instid1(VALU_DEP_1)
	v_add_f32_e32 v10, v10, v12
	v_ldexp_f32 v10, v10, v11
	s_delay_alu instid0(VALU_DEP_3) | instskip(NEXT) | instid1(VALU_DEP_1)
	v_dual_add_f32 v11, -1.0, v6 :: v_dual_add_f32 v12, -1.0, v23
	v_add_f32_e32 v24, 1.0, v11
	s_delay_alu instid0(VALU_DEP_2) | instskip(NEXT) | instid1(VALU_DEP_2)
	v_sub_f32_e32 v12, v6, v12
	v_sub_f32_e32 v6, v6, v24
	s_delay_alu instid0(VALU_DEP_1) | instskip(NEXT) | instid1(VALU_DEP_1)
	v_add_f32_e32 v6, v10, v6
	v_add_f32_e32 v25, v11, v6
	s_delay_alu instid0(VALU_DEP_1) | instskip(NEXT) | instid1(VALU_DEP_1)
	v_dual_sub_f32 v11, v11, v25 :: v_dual_add_f32 v12, v10, v12
	v_add_f32_e32 v6, v6, v11
	s_delay_alu instid0(VALU_DEP_2) | instskip(NEXT) | instid1(VALU_DEP_1)
	v_add_f32_e32 v24, v23, v12
	v_rcp_f32_e32 v10, v24
	v_sub_f32_e32 v23, v23, v24
	s_delay_alu instid0(VALU_DEP_1) | instskip(SKIP_2) | instid1(VALU_DEP_1)
	v_add_f32_e32 v12, v12, v23
	s_waitcnt_depctr 0xfff
	v_mul_f32_e32 v26, v25, v10
	v_mul_f32_e32 v27, v24, v26
	s_delay_alu instid0(VALU_DEP_1) | instskip(NEXT) | instid1(VALU_DEP_1)
	v_fma_f32 v23, v26, v24, -v27
	v_fmac_f32_e32 v23, v26, v12
	s_delay_alu instid0(VALU_DEP_1) | instskip(NEXT) | instid1(VALU_DEP_1)
	v_add_f32_e32 v28, v27, v23
	v_sub_f32_e32 v29, v25, v28
	v_sub_f32_e32 v11, v28, v27
	s_delay_alu instid0(VALU_DEP_2) | instskip(NEXT) | instid1(VALU_DEP_2)
	v_sub_f32_e32 v25, v25, v29
	v_sub_f32_e32 v11, v11, v23
	s_delay_alu instid0(VALU_DEP_2) | instskip(NEXT) | instid1(VALU_DEP_1)
	v_sub_f32_e32 v25, v25, v28
	v_add_f32_e32 v6, v6, v25
	s_delay_alu instid0(VALU_DEP_1) | instskip(NEXT) | instid1(VALU_DEP_1)
	v_add_f32_e32 v6, v11, v6
	v_add_f32_e32 v11, v29, v6
	s_delay_alu instid0(VALU_DEP_1) | instskip(NEXT) | instid1(VALU_DEP_1)
	v_mul_f32_e32 v23, v10, v11
	v_mul_f32_e32 v25, v24, v23
	s_delay_alu instid0(VALU_DEP_1) | instskip(NEXT) | instid1(VALU_DEP_1)
	v_fma_f32 v24, v23, v24, -v25
	v_fmac_f32_e32 v24, v23, v12
	s_delay_alu instid0(VALU_DEP_1) | instskip(NEXT) | instid1(VALU_DEP_1)
	v_add_f32_e32 v12, v25, v24
	v_dual_sub_f32 v28, v29, v11 :: v_dual_sub_f32 v27, v11, v12
	v_sub_f32_e32 v25, v12, v25
	s_delay_alu instid0(VALU_DEP_2) | instskip(NEXT) | instid1(VALU_DEP_1)
	v_sub_f32_e32 v11, v11, v27
	v_sub_f32_e32 v11, v11, v12
	s_delay_alu instid0(VALU_DEP_4) | instskip(NEXT) | instid1(VALU_DEP_4)
	v_add_f32_e32 v6, v6, v28
	v_sub_f32_e32 v12, v25, v24
	s_delay_alu instid0(VALU_DEP_2) | instskip(NEXT) | instid1(VALU_DEP_1)
	v_add_f32_e32 v6, v6, v11
	v_dual_add_f32 v11, v26, v23 :: v_dual_add_f32 v6, v12, v6
	s_delay_alu instid0(VALU_DEP_1) | instskip(NEXT) | instid1(VALU_DEP_2)
	v_sub_f32_e32 v12, v11, v26
	v_add_f32_e32 v6, v27, v6
	s_delay_alu instid0(VALU_DEP_2) | instskip(NEXT) | instid1(VALU_DEP_2)
	v_sub_f32_e32 v12, v23, v12
	v_mul_f32_e32 v6, v10, v6
	s_delay_alu instid0(VALU_DEP_1) | instskip(NEXT) | instid1(VALU_DEP_1)
	v_add_f32_e32 v6, v12, v6
	v_add_f32_e32 v10, v11, v6
	s_delay_alu instid0(VALU_DEP_1) | instskip(NEXT) | instid1(VALU_DEP_1)
	v_mul_f32_e32 v12, v10, v10
	v_fmaak_f32 v23, s7, v12, 0x3ecc95a3
	v_mul_f32_e32 v24, v10, v12
	v_cmp_eq_f32_e64 s7, 0x7f800000, v3
	s_delay_alu instid0(VALU_DEP_3) | instskip(SKIP_2) | instid1(VALU_DEP_4)
	v_fmaak_f32 v12, v12, v23, 0x3f2aaada
	v_ldexp_f32 v23, v10, 1
	v_sub_f32_e32 v10, v10, v11
	s_or_b32 s7, s7, s29
	s_delay_alu instid0(VALU_DEP_3) | instskip(SKIP_1) | instid1(VALU_DEP_2)
	v_mul_f32_e32 v12, v24, v12
	v_mul_f32_e32 v24, 0x3f317218, v9
	v_dual_sub_f32 v6, v6, v10 :: v_dual_add_f32 v11, v23, v12
	s_delay_alu instid0(VALU_DEP_1) | instskip(NEXT) | instid1(VALU_DEP_2)
	v_ldexp_f32 v6, v6, 1
	v_sub_f32_e32 v10, v11, v23
	s_delay_alu instid0(VALU_DEP_4) | instskip(NEXT) | instid1(VALU_DEP_1)
	v_fma_f32 v23, 0x3f317218, v9, -v24
	v_dual_sub_f32 v10, v12, v10 :: v_dual_fmamk_f32 v9, v9, 0xb102e308, v23
	s_delay_alu instid0(VALU_DEP_1) | instskip(NEXT) | instid1(VALU_DEP_2)
	v_add_f32_e32 v6, v6, v10
	v_add_f32_e32 v10, v24, v9
	s_delay_alu instid0(VALU_DEP_2) | instskip(NEXT) | instid1(VALU_DEP_2)
	v_add_f32_e32 v12, v11, v6
	v_sub_f32_e32 v24, v10, v24
	s_delay_alu instid0(VALU_DEP_2) | instskip(SKIP_1) | instid1(VALU_DEP_3)
	v_add_f32_e32 v23, v10, v12
	v_sub_f32_e32 v11, v12, v11
	v_sub_f32_e32 v9, v9, v24
	s_delay_alu instid0(VALU_DEP_2) | instskip(NEXT) | instid1(VALU_DEP_1)
	v_dual_sub_f32 v25, v23, v10 :: v_dual_sub_f32 v6, v6, v11
	v_sub_f32_e32 v26, v23, v25
	s_delay_alu instid0(VALU_DEP_2) | instskip(NEXT) | instid1(VALU_DEP_2)
	v_dual_sub_f32 v11, v12, v25 :: v_dual_add_f32 v12, v9, v6
	v_sub_f32_e32 v10, v10, v26
	s_delay_alu instid0(VALU_DEP_1) | instskip(NEXT) | instid1(VALU_DEP_1)
	v_dual_add_f32 v10, v11, v10 :: v_dual_sub_f32 v11, v12, v9
	v_add_f32_e32 v10, v12, v10
	s_delay_alu instid0(VALU_DEP_2) | instskip(SKIP_1) | instid1(VALU_DEP_2)
	v_sub_f32_e32 v12, v12, v11
	v_sub_f32_e32 v6, v6, v11
	v_dual_add_f32 v24, v23, v10 :: v_dual_sub_f32 v9, v9, v12
	s_delay_alu instid0(VALU_DEP_1) | instskip(NEXT) | instid1(VALU_DEP_1)
	v_dual_sub_f32 v11, v24, v23 :: v_dual_add_f32 v6, v6, v9
	v_sub_f32_e32 v9, v10, v11
	s_delay_alu instid0(VALU_DEP_1) | instskip(NEXT) | instid1(VALU_DEP_1)
	v_add_f32_e32 v6, v6, v9
	v_add_f32_e32 v6, v24, v6
	s_delay_alu instid0(VALU_DEP_1) | instskip(NEXT) | instid1(VALU_DEP_1)
	v_cndmask_b32_e64 v3, v6, v3, s7
	v_add_f32_e32 v3, v4, v3
.LBB164_59:
	s_or_b32 exec_lo, exec_lo, s8
	ds_load_b32 v4, v5 offset:8
	v_max_f32_e32 v6, v3, v3
	v_cmp_u_f32_e64 s7, v3, v3
	ds_store_b32 v5, v3 offset:4
	s_waitcnt lgkmcnt(1)
	v_max_f32_e32 v9, v4, v4
	s_delay_alu instid0(VALU_DEP_1) | instskip(SKIP_1) | instid1(VALU_DEP_2)
	v_min_f32_e32 v10, v6, v9
	v_max_f32_e32 v6, v6, v9
	v_cndmask_b32_e64 v9, v10, v3, s7
	s_delay_alu instid0(VALU_DEP_2) | instskip(SKIP_1) | instid1(VALU_DEP_1)
	v_cndmask_b32_e64 v10, v6, v3, s7
	v_cmp_u_f32_e64 s7, v4, v4
	v_cndmask_b32_e64 v6, v9, v4, s7
	s_delay_alu instid0(VALU_DEP_3) | instskip(NEXT) | instid1(VALU_DEP_2)
	v_cndmask_b32_e64 v4, v10, v4, s7
	v_cmp_class_f32_e64 s8, v6, 0x1f8
	s_delay_alu instid0(VALU_DEP_2) | instskip(NEXT) | instid1(VALU_DEP_1)
	v_cmp_neq_f32_e64 s7, v6, v4
	s_or_b32 s7, s7, s8
	s_delay_alu instid0(SALU_CYCLE_1)
	s_and_saveexec_b32 s8, s7
	s_cbranch_execz .LBB164_61
; %bb.60:
	v_sub_f32_e32 v3, v6, v4
	s_delay_alu instid0(VALU_DEP_1) | instskip(SKIP_1) | instid1(VALU_DEP_2)
	v_mul_f32_e32 v6, 0x3fb8aa3b, v3
	v_cmp_ngt_f32_e64 s7, 0xc2ce8ed0, v3
	v_fma_f32 v9, 0x3fb8aa3b, v3, -v6
	v_rndne_f32_e32 v10, v6
	s_delay_alu instid0(VALU_DEP_1) | instskip(NEXT) | instid1(VALU_DEP_1)
	v_dual_fmamk_f32 v9, v3, 0x32a5705f, v9 :: v_dual_sub_f32 v6, v6, v10
	v_add_f32_e32 v6, v6, v9
	v_cvt_i32_f32_e32 v9, v10
	s_delay_alu instid0(VALU_DEP_2) | instskip(SKIP_2) | instid1(VALU_DEP_1)
	v_exp_f32_e32 v6, v6
	s_waitcnt_depctr 0xfff
	v_ldexp_f32 v6, v6, v9
	v_cndmask_b32_e64 v6, 0, v6, s7
	v_cmp_nlt_f32_e64 s7, 0x42b17218, v3
	s_delay_alu instid0(VALU_DEP_1) | instskip(NEXT) | instid1(VALU_DEP_1)
	v_cndmask_b32_e64 v3, 0x7f800000, v6, s7
	v_add_f32_e32 v6, 1.0, v3
	v_cmp_gt_f32_e64 s29, 0x33800000, |v3|
	s_delay_alu instid0(VALU_DEP_2) | instskip(NEXT) | instid1(VALU_DEP_1)
	v_cvt_f64_f32_e32 v[9:10], v6
	v_frexp_exp_i32_f64_e32 v9, v[9:10]
	v_frexp_mant_f32_e32 v10, v6
	s_delay_alu instid0(VALU_DEP_1) | instskip(SKIP_1) | instid1(VALU_DEP_1)
	v_cmp_gt_f32_e64 s7, 0x3f2aaaab, v10
	v_add_f32_e32 v10, -1.0, v6
	v_sub_f32_e32 v12, v10, v6
	v_sub_f32_e32 v10, v3, v10
	s_delay_alu instid0(VALU_DEP_4) | instskip(SKIP_1) | instid1(VALU_DEP_1)
	v_subrev_co_ci_u32_e64 v9, s7, 0, v9, s7
	s_mov_b32 s7, 0x3e9b6dac
	v_sub_nc_u32_e32 v11, 0, v9
	v_cvt_f32_i32_e32 v9, v9
	s_delay_alu instid0(VALU_DEP_2) | instskip(NEXT) | instid1(VALU_DEP_1)
	v_ldexp_f32 v6, v6, v11
	v_dual_add_f32 v12, 1.0, v12 :: v_dual_add_f32 v23, 1.0, v6
	s_delay_alu instid0(VALU_DEP_1) | instskip(NEXT) | instid1(VALU_DEP_1)
	v_add_f32_e32 v10, v10, v12
	v_ldexp_f32 v10, v10, v11
	s_delay_alu instid0(VALU_DEP_3) | instskip(NEXT) | instid1(VALU_DEP_1)
	v_dual_add_f32 v11, -1.0, v6 :: v_dual_add_f32 v12, -1.0, v23
	v_add_f32_e32 v24, 1.0, v11
	s_delay_alu instid0(VALU_DEP_2) | instskip(NEXT) | instid1(VALU_DEP_2)
	v_sub_f32_e32 v12, v6, v12
	v_sub_f32_e32 v6, v6, v24
	s_delay_alu instid0(VALU_DEP_1) | instskip(NEXT) | instid1(VALU_DEP_1)
	v_add_f32_e32 v6, v10, v6
	v_add_f32_e32 v25, v11, v6
	s_delay_alu instid0(VALU_DEP_1) | instskip(NEXT) | instid1(VALU_DEP_1)
	v_dual_sub_f32 v11, v11, v25 :: v_dual_add_f32 v12, v10, v12
	v_add_f32_e32 v6, v6, v11
	s_delay_alu instid0(VALU_DEP_2) | instskip(NEXT) | instid1(VALU_DEP_1)
	v_add_f32_e32 v24, v23, v12
	v_rcp_f32_e32 v10, v24
	v_sub_f32_e32 v23, v23, v24
	s_delay_alu instid0(VALU_DEP_1) | instskip(SKIP_2) | instid1(VALU_DEP_1)
	v_add_f32_e32 v12, v12, v23
	s_waitcnt_depctr 0xfff
	v_mul_f32_e32 v26, v25, v10
	v_mul_f32_e32 v27, v24, v26
	s_delay_alu instid0(VALU_DEP_1) | instskip(NEXT) | instid1(VALU_DEP_1)
	v_fma_f32 v23, v26, v24, -v27
	v_fmac_f32_e32 v23, v26, v12
	s_delay_alu instid0(VALU_DEP_1) | instskip(NEXT) | instid1(VALU_DEP_1)
	v_add_f32_e32 v28, v27, v23
	v_sub_f32_e32 v29, v25, v28
	v_sub_f32_e32 v11, v28, v27
	s_delay_alu instid0(VALU_DEP_2) | instskip(NEXT) | instid1(VALU_DEP_2)
	v_sub_f32_e32 v25, v25, v29
	v_sub_f32_e32 v11, v11, v23
	s_delay_alu instid0(VALU_DEP_2) | instskip(NEXT) | instid1(VALU_DEP_1)
	v_sub_f32_e32 v25, v25, v28
	v_add_f32_e32 v6, v6, v25
	s_delay_alu instid0(VALU_DEP_1) | instskip(NEXT) | instid1(VALU_DEP_1)
	v_add_f32_e32 v6, v11, v6
	v_add_f32_e32 v11, v29, v6
	s_delay_alu instid0(VALU_DEP_1) | instskip(NEXT) | instid1(VALU_DEP_1)
	v_mul_f32_e32 v23, v10, v11
	v_mul_f32_e32 v25, v24, v23
	s_delay_alu instid0(VALU_DEP_1) | instskip(NEXT) | instid1(VALU_DEP_1)
	v_fma_f32 v24, v23, v24, -v25
	v_fmac_f32_e32 v24, v23, v12
	s_delay_alu instid0(VALU_DEP_1) | instskip(NEXT) | instid1(VALU_DEP_1)
	v_add_f32_e32 v12, v25, v24
	v_dual_sub_f32 v28, v29, v11 :: v_dual_sub_f32 v27, v11, v12
	v_sub_f32_e32 v25, v12, v25
	s_delay_alu instid0(VALU_DEP_2) | instskip(NEXT) | instid1(VALU_DEP_1)
	v_sub_f32_e32 v11, v11, v27
	v_sub_f32_e32 v11, v11, v12
	s_delay_alu instid0(VALU_DEP_4) | instskip(NEXT) | instid1(VALU_DEP_4)
	v_add_f32_e32 v6, v6, v28
	v_sub_f32_e32 v12, v25, v24
	s_delay_alu instid0(VALU_DEP_2) | instskip(NEXT) | instid1(VALU_DEP_1)
	v_add_f32_e32 v6, v6, v11
	v_dual_add_f32 v11, v26, v23 :: v_dual_add_f32 v6, v12, v6
	s_delay_alu instid0(VALU_DEP_1) | instskip(NEXT) | instid1(VALU_DEP_2)
	v_sub_f32_e32 v12, v11, v26
	v_add_f32_e32 v6, v27, v6
	s_delay_alu instid0(VALU_DEP_2) | instskip(NEXT) | instid1(VALU_DEP_2)
	v_sub_f32_e32 v12, v23, v12
	v_mul_f32_e32 v6, v10, v6
	s_delay_alu instid0(VALU_DEP_1) | instskip(NEXT) | instid1(VALU_DEP_1)
	v_add_f32_e32 v6, v12, v6
	v_add_f32_e32 v10, v11, v6
	s_delay_alu instid0(VALU_DEP_1) | instskip(NEXT) | instid1(VALU_DEP_1)
	v_mul_f32_e32 v12, v10, v10
	v_fmaak_f32 v23, s7, v12, 0x3ecc95a3
	v_mul_f32_e32 v24, v10, v12
	v_cmp_eq_f32_e64 s7, 0x7f800000, v3
	s_delay_alu instid0(VALU_DEP_3) | instskip(SKIP_2) | instid1(VALU_DEP_4)
	v_fmaak_f32 v12, v12, v23, 0x3f2aaada
	v_ldexp_f32 v23, v10, 1
	v_sub_f32_e32 v10, v10, v11
	s_or_b32 s7, s7, s29
	s_delay_alu instid0(VALU_DEP_3) | instskip(SKIP_1) | instid1(VALU_DEP_2)
	v_mul_f32_e32 v12, v24, v12
	v_mul_f32_e32 v24, 0x3f317218, v9
	v_dual_sub_f32 v6, v6, v10 :: v_dual_add_f32 v11, v23, v12
	s_delay_alu instid0(VALU_DEP_1) | instskip(NEXT) | instid1(VALU_DEP_2)
	v_ldexp_f32 v6, v6, 1
	v_sub_f32_e32 v10, v11, v23
	s_delay_alu instid0(VALU_DEP_4) | instskip(NEXT) | instid1(VALU_DEP_1)
	v_fma_f32 v23, 0x3f317218, v9, -v24
	v_dual_sub_f32 v10, v12, v10 :: v_dual_fmamk_f32 v9, v9, 0xb102e308, v23
	s_delay_alu instid0(VALU_DEP_1) | instskip(NEXT) | instid1(VALU_DEP_2)
	v_add_f32_e32 v6, v6, v10
	v_add_f32_e32 v10, v24, v9
	s_delay_alu instid0(VALU_DEP_2) | instskip(NEXT) | instid1(VALU_DEP_2)
	v_add_f32_e32 v12, v11, v6
	v_sub_f32_e32 v24, v10, v24
	s_delay_alu instid0(VALU_DEP_2) | instskip(SKIP_1) | instid1(VALU_DEP_3)
	v_add_f32_e32 v23, v10, v12
	v_sub_f32_e32 v11, v12, v11
	v_sub_f32_e32 v9, v9, v24
	s_delay_alu instid0(VALU_DEP_2) | instskip(NEXT) | instid1(VALU_DEP_1)
	v_dual_sub_f32 v25, v23, v10 :: v_dual_sub_f32 v6, v6, v11
	v_sub_f32_e32 v26, v23, v25
	s_delay_alu instid0(VALU_DEP_2) | instskip(NEXT) | instid1(VALU_DEP_2)
	v_dual_sub_f32 v11, v12, v25 :: v_dual_add_f32 v12, v9, v6
	v_sub_f32_e32 v10, v10, v26
	s_delay_alu instid0(VALU_DEP_1) | instskip(NEXT) | instid1(VALU_DEP_1)
	v_dual_add_f32 v10, v11, v10 :: v_dual_sub_f32 v11, v12, v9
	v_add_f32_e32 v10, v12, v10
	s_delay_alu instid0(VALU_DEP_2) | instskip(SKIP_1) | instid1(VALU_DEP_2)
	v_sub_f32_e32 v12, v12, v11
	v_sub_f32_e32 v6, v6, v11
	v_dual_add_f32 v24, v23, v10 :: v_dual_sub_f32 v9, v9, v12
	s_delay_alu instid0(VALU_DEP_1) | instskip(NEXT) | instid1(VALU_DEP_1)
	v_dual_sub_f32 v11, v24, v23 :: v_dual_add_f32 v6, v6, v9
	v_sub_f32_e32 v9, v10, v11
	s_delay_alu instid0(VALU_DEP_1) | instskip(NEXT) | instid1(VALU_DEP_1)
	v_add_f32_e32 v6, v6, v9
	v_add_f32_e32 v6, v24, v6
	s_delay_alu instid0(VALU_DEP_1) | instskip(NEXT) | instid1(VALU_DEP_1)
	v_cndmask_b32_e64 v3, v6, v3, s7
	v_add_f32_e32 v3, v4, v3
.LBB164_61:
	s_or_b32 exec_lo, exec_lo, s8
	ds_load_b32 v4, v5 offset:12
	v_max_f32_e32 v6, v3, v3
	v_cmp_u_f32_e64 s7, v3, v3
	ds_store_b32 v5, v3 offset:8
	s_waitcnt lgkmcnt(1)
	v_max_f32_e32 v9, v4, v4
	s_delay_alu instid0(VALU_DEP_1) | instskip(SKIP_1) | instid1(VALU_DEP_2)
	v_min_f32_e32 v10, v6, v9
	v_max_f32_e32 v6, v6, v9
	v_cndmask_b32_e64 v9, v10, v3, s7
	s_delay_alu instid0(VALU_DEP_2) | instskip(SKIP_1) | instid1(VALU_DEP_1)
	v_cndmask_b32_e64 v10, v6, v3, s7
	v_cmp_u_f32_e64 s7, v4, v4
	v_cndmask_b32_e64 v6, v9, v4, s7
	s_delay_alu instid0(VALU_DEP_3) | instskip(NEXT) | instid1(VALU_DEP_2)
	v_cndmask_b32_e64 v4, v10, v4, s7
	v_cmp_class_f32_e64 s8, v6, 0x1f8
	s_delay_alu instid0(VALU_DEP_2) | instskip(NEXT) | instid1(VALU_DEP_1)
	v_cmp_neq_f32_e64 s7, v6, v4
	s_or_b32 s7, s7, s8
	s_delay_alu instid0(SALU_CYCLE_1)
	s_and_saveexec_b32 s8, s7
	s_cbranch_execz .LBB164_63
; %bb.62:
	v_sub_f32_e32 v3, v6, v4
	s_delay_alu instid0(VALU_DEP_1) | instskip(SKIP_1) | instid1(VALU_DEP_2)
	v_mul_f32_e32 v6, 0x3fb8aa3b, v3
	v_cmp_ngt_f32_e64 s7, 0xc2ce8ed0, v3
	v_fma_f32 v9, 0x3fb8aa3b, v3, -v6
	v_rndne_f32_e32 v10, v6
	s_delay_alu instid0(VALU_DEP_1) | instskip(NEXT) | instid1(VALU_DEP_1)
	v_dual_fmamk_f32 v9, v3, 0x32a5705f, v9 :: v_dual_sub_f32 v6, v6, v10
	v_add_f32_e32 v6, v6, v9
	v_cvt_i32_f32_e32 v9, v10
	s_delay_alu instid0(VALU_DEP_2) | instskip(SKIP_2) | instid1(VALU_DEP_1)
	v_exp_f32_e32 v6, v6
	s_waitcnt_depctr 0xfff
	v_ldexp_f32 v6, v6, v9
	v_cndmask_b32_e64 v6, 0, v6, s7
	v_cmp_nlt_f32_e64 s7, 0x42b17218, v3
	s_delay_alu instid0(VALU_DEP_1) | instskip(NEXT) | instid1(VALU_DEP_1)
	v_cndmask_b32_e64 v3, 0x7f800000, v6, s7
	v_add_f32_e32 v6, 1.0, v3
	v_cmp_gt_f32_e64 s29, 0x33800000, |v3|
	s_delay_alu instid0(VALU_DEP_2) | instskip(NEXT) | instid1(VALU_DEP_1)
	v_cvt_f64_f32_e32 v[9:10], v6
	v_frexp_exp_i32_f64_e32 v9, v[9:10]
	v_frexp_mant_f32_e32 v10, v6
	s_delay_alu instid0(VALU_DEP_1) | instskip(SKIP_1) | instid1(VALU_DEP_1)
	v_cmp_gt_f32_e64 s7, 0x3f2aaaab, v10
	v_add_f32_e32 v10, -1.0, v6
	v_sub_f32_e32 v12, v10, v6
	v_sub_f32_e32 v10, v3, v10
	s_delay_alu instid0(VALU_DEP_4) | instskip(SKIP_1) | instid1(VALU_DEP_1)
	v_subrev_co_ci_u32_e64 v9, s7, 0, v9, s7
	s_mov_b32 s7, 0x3e9b6dac
	v_sub_nc_u32_e32 v11, 0, v9
	v_cvt_f32_i32_e32 v9, v9
	s_delay_alu instid0(VALU_DEP_2) | instskip(NEXT) | instid1(VALU_DEP_1)
	v_ldexp_f32 v6, v6, v11
	v_dual_add_f32 v12, 1.0, v12 :: v_dual_add_f32 v23, 1.0, v6
	s_delay_alu instid0(VALU_DEP_1) | instskip(NEXT) | instid1(VALU_DEP_1)
	v_add_f32_e32 v10, v10, v12
	v_ldexp_f32 v10, v10, v11
	s_delay_alu instid0(VALU_DEP_3) | instskip(NEXT) | instid1(VALU_DEP_1)
	v_dual_add_f32 v11, -1.0, v6 :: v_dual_add_f32 v12, -1.0, v23
	v_add_f32_e32 v24, 1.0, v11
	s_delay_alu instid0(VALU_DEP_2) | instskip(NEXT) | instid1(VALU_DEP_2)
	v_sub_f32_e32 v12, v6, v12
	v_sub_f32_e32 v6, v6, v24
	s_delay_alu instid0(VALU_DEP_1) | instskip(NEXT) | instid1(VALU_DEP_1)
	v_add_f32_e32 v6, v10, v6
	v_add_f32_e32 v25, v11, v6
	s_delay_alu instid0(VALU_DEP_1) | instskip(NEXT) | instid1(VALU_DEP_1)
	v_dual_sub_f32 v11, v11, v25 :: v_dual_add_f32 v12, v10, v12
	v_add_f32_e32 v6, v6, v11
	s_delay_alu instid0(VALU_DEP_2) | instskip(NEXT) | instid1(VALU_DEP_1)
	v_add_f32_e32 v24, v23, v12
	v_rcp_f32_e32 v10, v24
	v_sub_f32_e32 v23, v23, v24
	s_delay_alu instid0(VALU_DEP_1) | instskip(SKIP_2) | instid1(VALU_DEP_1)
	v_add_f32_e32 v12, v12, v23
	s_waitcnt_depctr 0xfff
	v_mul_f32_e32 v26, v25, v10
	v_mul_f32_e32 v27, v24, v26
	s_delay_alu instid0(VALU_DEP_1) | instskip(NEXT) | instid1(VALU_DEP_1)
	v_fma_f32 v23, v26, v24, -v27
	v_fmac_f32_e32 v23, v26, v12
	s_delay_alu instid0(VALU_DEP_1) | instskip(NEXT) | instid1(VALU_DEP_1)
	v_add_f32_e32 v28, v27, v23
	v_sub_f32_e32 v29, v25, v28
	v_sub_f32_e32 v11, v28, v27
	s_delay_alu instid0(VALU_DEP_2) | instskip(NEXT) | instid1(VALU_DEP_2)
	v_sub_f32_e32 v25, v25, v29
	v_sub_f32_e32 v11, v11, v23
	s_delay_alu instid0(VALU_DEP_2) | instskip(NEXT) | instid1(VALU_DEP_1)
	v_sub_f32_e32 v25, v25, v28
	v_add_f32_e32 v6, v6, v25
	s_delay_alu instid0(VALU_DEP_1) | instskip(NEXT) | instid1(VALU_DEP_1)
	v_add_f32_e32 v6, v11, v6
	v_add_f32_e32 v11, v29, v6
	s_delay_alu instid0(VALU_DEP_1) | instskip(NEXT) | instid1(VALU_DEP_1)
	v_mul_f32_e32 v23, v10, v11
	v_mul_f32_e32 v25, v24, v23
	s_delay_alu instid0(VALU_DEP_1) | instskip(NEXT) | instid1(VALU_DEP_1)
	v_fma_f32 v24, v23, v24, -v25
	v_fmac_f32_e32 v24, v23, v12
	s_delay_alu instid0(VALU_DEP_1) | instskip(NEXT) | instid1(VALU_DEP_1)
	v_add_f32_e32 v12, v25, v24
	v_dual_sub_f32 v28, v29, v11 :: v_dual_sub_f32 v27, v11, v12
	v_sub_f32_e32 v25, v12, v25
	s_delay_alu instid0(VALU_DEP_2) | instskip(NEXT) | instid1(VALU_DEP_1)
	v_sub_f32_e32 v11, v11, v27
	v_sub_f32_e32 v11, v11, v12
	s_delay_alu instid0(VALU_DEP_4) | instskip(NEXT) | instid1(VALU_DEP_4)
	v_add_f32_e32 v6, v6, v28
	v_sub_f32_e32 v12, v25, v24
	s_delay_alu instid0(VALU_DEP_2) | instskip(NEXT) | instid1(VALU_DEP_1)
	v_add_f32_e32 v6, v6, v11
	v_dual_add_f32 v11, v26, v23 :: v_dual_add_f32 v6, v12, v6
	s_delay_alu instid0(VALU_DEP_1) | instskip(NEXT) | instid1(VALU_DEP_2)
	v_sub_f32_e32 v12, v11, v26
	v_add_f32_e32 v6, v27, v6
	s_delay_alu instid0(VALU_DEP_2) | instskip(NEXT) | instid1(VALU_DEP_2)
	v_sub_f32_e32 v12, v23, v12
	v_mul_f32_e32 v6, v10, v6
	s_delay_alu instid0(VALU_DEP_1) | instskip(NEXT) | instid1(VALU_DEP_1)
	v_add_f32_e32 v6, v12, v6
	v_add_f32_e32 v10, v11, v6
	s_delay_alu instid0(VALU_DEP_1) | instskip(NEXT) | instid1(VALU_DEP_1)
	v_mul_f32_e32 v12, v10, v10
	v_fmaak_f32 v23, s7, v12, 0x3ecc95a3
	v_mul_f32_e32 v24, v10, v12
	v_cmp_eq_f32_e64 s7, 0x7f800000, v3
	s_delay_alu instid0(VALU_DEP_3) | instskip(SKIP_2) | instid1(VALU_DEP_4)
	v_fmaak_f32 v12, v12, v23, 0x3f2aaada
	v_ldexp_f32 v23, v10, 1
	v_sub_f32_e32 v10, v10, v11
	s_or_b32 s7, s7, s29
	s_delay_alu instid0(VALU_DEP_3) | instskip(SKIP_1) | instid1(VALU_DEP_2)
	v_mul_f32_e32 v12, v24, v12
	v_mul_f32_e32 v24, 0x3f317218, v9
	v_dual_sub_f32 v6, v6, v10 :: v_dual_add_f32 v11, v23, v12
	s_delay_alu instid0(VALU_DEP_1) | instskip(NEXT) | instid1(VALU_DEP_2)
	v_ldexp_f32 v6, v6, 1
	v_sub_f32_e32 v10, v11, v23
	s_delay_alu instid0(VALU_DEP_4) | instskip(NEXT) | instid1(VALU_DEP_1)
	v_fma_f32 v23, 0x3f317218, v9, -v24
	v_dual_sub_f32 v10, v12, v10 :: v_dual_fmamk_f32 v9, v9, 0xb102e308, v23
	s_delay_alu instid0(VALU_DEP_1) | instskip(NEXT) | instid1(VALU_DEP_2)
	v_add_f32_e32 v6, v6, v10
	v_add_f32_e32 v10, v24, v9
	s_delay_alu instid0(VALU_DEP_2) | instskip(NEXT) | instid1(VALU_DEP_2)
	v_add_f32_e32 v12, v11, v6
	v_sub_f32_e32 v24, v10, v24
	s_delay_alu instid0(VALU_DEP_2) | instskip(SKIP_1) | instid1(VALU_DEP_3)
	v_add_f32_e32 v23, v10, v12
	v_sub_f32_e32 v11, v12, v11
	v_sub_f32_e32 v9, v9, v24
	s_delay_alu instid0(VALU_DEP_2) | instskip(NEXT) | instid1(VALU_DEP_1)
	v_dual_sub_f32 v25, v23, v10 :: v_dual_sub_f32 v6, v6, v11
	v_sub_f32_e32 v26, v23, v25
	s_delay_alu instid0(VALU_DEP_2) | instskip(NEXT) | instid1(VALU_DEP_2)
	v_dual_sub_f32 v11, v12, v25 :: v_dual_add_f32 v12, v9, v6
	v_sub_f32_e32 v10, v10, v26
	s_delay_alu instid0(VALU_DEP_1) | instskip(NEXT) | instid1(VALU_DEP_1)
	v_dual_add_f32 v10, v11, v10 :: v_dual_sub_f32 v11, v12, v9
	v_add_f32_e32 v10, v12, v10
	s_delay_alu instid0(VALU_DEP_2) | instskip(SKIP_1) | instid1(VALU_DEP_2)
	v_sub_f32_e32 v12, v12, v11
	v_sub_f32_e32 v6, v6, v11
	v_dual_add_f32 v24, v23, v10 :: v_dual_sub_f32 v9, v9, v12
	s_delay_alu instid0(VALU_DEP_1) | instskip(NEXT) | instid1(VALU_DEP_1)
	v_dual_sub_f32 v11, v24, v23 :: v_dual_add_f32 v6, v6, v9
	v_sub_f32_e32 v9, v10, v11
	s_delay_alu instid0(VALU_DEP_1) | instskip(NEXT) | instid1(VALU_DEP_1)
	v_add_f32_e32 v6, v6, v9
	v_add_f32_e32 v6, v24, v6
	s_delay_alu instid0(VALU_DEP_1) | instskip(NEXT) | instid1(VALU_DEP_1)
	v_cndmask_b32_e64 v3, v6, v3, s7
	v_add_f32_e32 v3, v4, v3
.LBB164_63:
	s_or_b32 exec_lo, exec_lo, s8
	ds_load_b32 v4, v5 offset:16
	v_max_f32_e32 v6, v3, v3
	v_cmp_u_f32_e64 s7, v3, v3
	ds_store_b32 v5, v3 offset:12
	s_waitcnt lgkmcnt(1)
	v_max_f32_e32 v9, v4, v4
	s_delay_alu instid0(VALU_DEP_1) | instskip(SKIP_1) | instid1(VALU_DEP_2)
	v_min_f32_e32 v10, v6, v9
	v_max_f32_e32 v6, v6, v9
	v_cndmask_b32_e64 v9, v10, v3, s7
	s_delay_alu instid0(VALU_DEP_2) | instskip(SKIP_1) | instid1(VALU_DEP_1)
	v_cndmask_b32_e64 v10, v6, v3, s7
	v_cmp_u_f32_e64 s7, v4, v4
	v_cndmask_b32_e64 v6, v9, v4, s7
	s_delay_alu instid0(VALU_DEP_3) | instskip(NEXT) | instid1(VALU_DEP_2)
	v_cndmask_b32_e64 v4, v10, v4, s7
	v_cmp_class_f32_e64 s8, v6, 0x1f8
	s_delay_alu instid0(VALU_DEP_2) | instskip(NEXT) | instid1(VALU_DEP_1)
	v_cmp_neq_f32_e64 s7, v6, v4
	s_or_b32 s7, s7, s8
	s_delay_alu instid0(SALU_CYCLE_1)
	s_and_saveexec_b32 s8, s7
	s_cbranch_execz .LBB164_65
; %bb.64:
	v_sub_f32_e32 v3, v6, v4
	s_delay_alu instid0(VALU_DEP_1) | instskip(SKIP_1) | instid1(VALU_DEP_2)
	v_mul_f32_e32 v6, 0x3fb8aa3b, v3
	v_cmp_ngt_f32_e64 s7, 0xc2ce8ed0, v3
	v_fma_f32 v9, 0x3fb8aa3b, v3, -v6
	v_rndne_f32_e32 v10, v6
	s_delay_alu instid0(VALU_DEP_1) | instskip(NEXT) | instid1(VALU_DEP_1)
	v_dual_fmamk_f32 v9, v3, 0x32a5705f, v9 :: v_dual_sub_f32 v6, v6, v10
	v_add_f32_e32 v6, v6, v9
	v_cvt_i32_f32_e32 v9, v10
	s_delay_alu instid0(VALU_DEP_2) | instskip(SKIP_2) | instid1(VALU_DEP_1)
	v_exp_f32_e32 v6, v6
	s_waitcnt_depctr 0xfff
	v_ldexp_f32 v6, v6, v9
	v_cndmask_b32_e64 v6, 0, v6, s7
	v_cmp_nlt_f32_e64 s7, 0x42b17218, v3
	s_delay_alu instid0(VALU_DEP_1) | instskip(NEXT) | instid1(VALU_DEP_1)
	v_cndmask_b32_e64 v3, 0x7f800000, v6, s7
	v_add_f32_e32 v6, 1.0, v3
	v_cmp_gt_f32_e64 s29, 0x33800000, |v3|
	s_delay_alu instid0(VALU_DEP_2) | instskip(NEXT) | instid1(VALU_DEP_1)
	v_cvt_f64_f32_e32 v[9:10], v6
	v_frexp_exp_i32_f64_e32 v9, v[9:10]
	v_frexp_mant_f32_e32 v10, v6
	s_delay_alu instid0(VALU_DEP_1) | instskip(SKIP_1) | instid1(VALU_DEP_1)
	v_cmp_gt_f32_e64 s7, 0x3f2aaaab, v10
	v_add_f32_e32 v10, -1.0, v6
	v_sub_f32_e32 v12, v10, v6
	v_sub_f32_e32 v10, v3, v10
	s_delay_alu instid0(VALU_DEP_4) | instskip(SKIP_1) | instid1(VALU_DEP_1)
	v_subrev_co_ci_u32_e64 v9, s7, 0, v9, s7
	s_mov_b32 s7, 0x3e9b6dac
	v_sub_nc_u32_e32 v11, 0, v9
	v_cvt_f32_i32_e32 v9, v9
	s_delay_alu instid0(VALU_DEP_2) | instskip(NEXT) | instid1(VALU_DEP_1)
	v_ldexp_f32 v6, v6, v11
	v_dual_add_f32 v12, 1.0, v12 :: v_dual_add_f32 v23, 1.0, v6
	s_delay_alu instid0(VALU_DEP_1) | instskip(NEXT) | instid1(VALU_DEP_1)
	v_add_f32_e32 v10, v10, v12
	v_ldexp_f32 v10, v10, v11
	s_delay_alu instid0(VALU_DEP_3) | instskip(NEXT) | instid1(VALU_DEP_1)
	v_dual_add_f32 v11, -1.0, v6 :: v_dual_add_f32 v12, -1.0, v23
	v_add_f32_e32 v24, 1.0, v11
	s_delay_alu instid0(VALU_DEP_2) | instskip(NEXT) | instid1(VALU_DEP_2)
	v_sub_f32_e32 v12, v6, v12
	v_sub_f32_e32 v6, v6, v24
	s_delay_alu instid0(VALU_DEP_1) | instskip(NEXT) | instid1(VALU_DEP_1)
	v_add_f32_e32 v6, v10, v6
	v_add_f32_e32 v25, v11, v6
	s_delay_alu instid0(VALU_DEP_1) | instskip(NEXT) | instid1(VALU_DEP_1)
	v_dual_sub_f32 v11, v11, v25 :: v_dual_add_f32 v12, v10, v12
	v_add_f32_e32 v6, v6, v11
	s_delay_alu instid0(VALU_DEP_2) | instskip(NEXT) | instid1(VALU_DEP_1)
	v_add_f32_e32 v24, v23, v12
	v_rcp_f32_e32 v10, v24
	v_sub_f32_e32 v23, v23, v24
	s_delay_alu instid0(VALU_DEP_1) | instskip(SKIP_2) | instid1(VALU_DEP_1)
	v_add_f32_e32 v12, v12, v23
	s_waitcnt_depctr 0xfff
	v_mul_f32_e32 v26, v25, v10
	v_mul_f32_e32 v27, v24, v26
	s_delay_alu instid0(VALU_DEP_1) | instskip(NEXT) | instid1(VALU_DEP_1)
	v_fma_f32 v23, v26, v24, -v27
	v_fmac_f32_e32 v23, v26, v12
	s_delay_alu instid0(VALU_DEP_1) | instskip(NEXT) | instid1(VALU_DEP_1)
	v_add_f32_e32 v28, v27, v23
	v_sub_f32_e32 v29, v25, v28
	v_sub_f32_e32 v11, v28, v27
	s_delay_alu instid0(VALU_DEP_2) | instskip(NEXT) | instid1(VALU_DEP_2)
	v_sub_f32_e32 v25, v25, v29
	v_sub_f32_e32 v11, v11, v23
	s_delay_alu instid0(VALU_DEP_2) | instskip(NEXT) | instid1(VALU_DEP_1)
	v_sub_f32_e32 v25, v25, v28
	v_add_f32_e32 v6, v6, v25
	s_delay_alu instid0(VALU_DEP_1) | instskip(NEXT) | instid1(VALU_DEP_1)
	v_add_f32_e32 v6, v11, v6
	v_add_f32_e32 v11, v29, v6
	s_delay_alu instid0(VALU_DEP_1) | instskip(NEXT) | instid1(VALU_DEP_1)
	v_mul_f32_e32 v23, v10, v11
	v_mul_f32_e32 v25, v24, v23
	s_delay_alu instid0(VALU_DEP_1) | instskip(NEXT) | instid1(VALU_DEP_1)
	v_fma_f32 v24, v23, v24, -v25
	v_fmac_f32_e32 v24, v23, v12
	s_delay_alu instid0(VALU_DEP_1) | instskip(NEXT) | instid1(VALU_DEP_1)
	v_add_f32_e32 v12, v25, v24
	v_dual_sub_f32 v28, v29, v11 :: v_dual_sub_f32 v27, v11, v12
	v_sub_f32_e32 v25, v12, v25
	s_delay_alu instid0(VALU_DEP_2) | instskip(NEXT) | instid1(VALU_DEP_1)
	v_sub_f32_e32 v11, v11, v27
	v_sub_f32_e32 v11, v11, v12
	s_delay_alu instid0(VALU_DEP_4) | instskip(NEXT) | instid1(VALU_DEP_4)
	v_add_f32_e32 v6, v6, v28
	v_sub_f32_e32 v12, v25, v24
	s_delay_alu instid0(VALU_DEP_2) | instskip(NEXT) | instid1(VALU_DEP_1)
	v_add_f32_e32 v6, v6, v11
	v_dual_add_f32 v11, v26, v23 :: v_dual_add_f32 v6, v12, v6
	s_delay_alu instid0(VALU_DEP_1) | instskip(NEXT) | instid1(VALU_DEP_2)
	v_sub_f32_e32 v12, v11, v26
	v_add_f32_e32 v6, v27, v6
	s_delay_alu instid0(VALU_DEP_2) | instskip(NEXT) | instid1(VALU_DEP_2)
	v_sub_f32_e32 v12, v23, v12
	v_mul_f32_e32 v6, v10, v6
	s_delay_alu instid0(VALU_DEP_1) | instskip(NEXT) | instid1(VALU_DEP_1)
	v_add_f32_e32 v6, v12, v6
	v_add_f32_e32 v10, v11, v6
	s_delay_alu instid0(VALU_DEP_1) | instskip(NEXT) | instid1(VALU_DEP_1)
	v_mul_f32_e32 v12, v10, v10
	v_fmaak_f32 v23, s7, v12, 0x3ecc95a3
	v_mul_f32_e32 v24, v10, v12
	v_cmp_eq_f32_e64 s7, 0x7f800000, v3
	s_delay_alu instid0(VALU_DEP_3) | instskip(SKIP_2) | instid1(VALU_DEP_4)
	v_fmaak_f32 v12, v12, v23, 0x3f2aaada
	v_ldexp_f32 v23, v10, 1
	v_sub_f32_e32 v10, v10, v11
	s_or_b32 s7, s7, s29
	s_delay_alu instid0(VALU_DEP_3) | instskip(SKIP_1) | instid1(VALU_DEP_2)
	v_mul_f32_e32 v12, v24, v12
	v_mul_f32_e32 v24, 0x3f317218, v9
	v_dual_sub_f32 v6, v6, v10 :: v_dual_add_f32 v11, v23, v12
	s_delay_alu instid0(VALU_DEP_1) | instskip(NEXT) | instid1(VALU_DEP_2)
	v_ldexp_f32 v6, v6, 1
	v_sub_f32_e32 v10, v11, v23
	s_delay_alu instid0(VALU_DEP_4) | instskip(NEXT) | instid1(VALU_DEP_1)
	v_fma_f32 v23, 0x3f317218, v9, -v24
	v_dual_sub_f32 v10, v12, v10 :: v_dual_fmamk_f32 v9, v9, 0xb102e308, v23
	s_delay_alu instid0(VALU_DEP_1) | instskip(NEXT) | instid1(VALU_DEP_2)
	v_add_f32_e32 v6, v6, v10
	v_add_f32_e32 v10, v24, v9
	s_delay_alu instid0(VALU_DEP_2) | instskip(NEXT) | instid1(VALU_DEP_2)
	v_add_f32_e32 v12, v11, v6
	v_sub_f32_e32 v24, v10, v24
	s_delay_alu instid0(VALU_DEP_2) | instskip(SKIP_1) | instid1(VALU_DEP_3)
	v_add_f32_e32 v23, v10, v12
	v_sub_f32_e32 v11, v12, v11
	v_sub_f32_e32 v9, v9, v24
	s_delay_alu instid0(VALU_DEP_2) | instskip(NEXT) | instid1(VALU_DEP_1)
	v_dual_sub_f32 v25, v23, v10 :: v_dual_sub_f32 v6, v6, v11
	v_sub_f32_e32 v26, v23, v25
	s_delay_alu instid0(VALU_DEP_2) | instskip(NEXT) | instid1(VALU_DEP_2)
	v_dual_sub_f32 v11, v12, v25 :: v_dual_add_f32 v12, v9, v6
	v_sub_f32_e32 v10, v10, v26
	s_delay_alu instid0(VALU_DEP_1) | instskip(NEXT) | instid1(VALU_DEP_1)
	v_dual_add_f32 v10, v11, v10 :: v_dual_sub_f32 v11, v12, v9
	v_add_f32_e32 v10, v12, v10
	s_delay_alu instid0(VALU_DEP_2) | instskip(SKIP_1) | instid1(VALU_DEP_2)
	v_sub_f32_e32 v12, v12, v11
	v_sub_f32_e32 v6, v6, v11
	v_dual_add_f32 v24, v23, v10 :: v_dual_sub_f32 v9, v9, v12
	s_delay_alu instid0(VALU_DEP_1) | instskip(NEXT) | instid1(VALU_DEP_1)
	v_dual_sub_f32 v11, v24, v23 :: v_dual_add_f32 v6, v6, v9
	v_sub_f32_e32 v9, v10, v11
	s_delay_alu instid0(VALU_DEP_1) | instskip(NEXT) | instid1(VALU_DEP_1)
	v_add_f32_e32 v6, v6, v9
	v_add_f32_e32 v6, v24, v6
	s_delay_alu instid0(VALU_DEP_1) | instskip(NEXT) | instid1(VALU_DEP_1)
	v_cndmask_b32_e64 v3, v6, v3, s7
	v_add_f32_e32 v3, v4, v3
.LBB164_65:
	s_or_b32 exec_lo, exec_lo, s8
	ds_load_b32 v4, v5 offset:20
	v_max_f32_e32 v6, v3, v3
	v_cmp_u_f32_e64 s7, v3, v3
	ds_store_b32 v5, v3 offset:16
	s_waitcnt lgkmcnt(1)
	v_max_f32_e32 v9, v4, v4
	s_delay_alu instid0(VALU_DEP_1) | instskip(SKIP_1) | instid1(VALU_DEP_2)
	v_min_f32_e32 v10, v6, v9
	v_max_f32_e32 v6, v6, v9
	v_cndmask_b32_e64 v9, v10, v3, s7
	s_delay_alu instid0(VALU_DEP_2) | instskip(SKIP_1) | instid1(VALU_DEP_1)
	v_cndmask_b32_e64 v10, v6, v3, s7
	v_cmp_u_f32_e64 s7, v4, v4
	v_cndmask_b32_e64 v6, v9, v4, s7
	s_delay_alu instid0(VALU_DEP_3) | instskip(NEXT) | instid1(VALU_DEP_2)
	v_cndmask_b32_e64 v4, v10, v4, s7
	v_cmp_class_f32_e64 s8, v6, 0x1f8
	s_delay_alu instid0(VALU_DEP_2) | instskip(NEXT) | instid1(VALU_DEP_1)
	v_cmp_neq_f32_e64 s7, v6, v4
	s_or_b32 s7, s7, s8
	s_delay_alu instid0(SALU_CYCLE_1)
	s_and_saveexec_b32 s8, s7
	s_cbranch_execz .LBB164_67
; %bb.66:
	v_sub_f32_e32 v3, v6, v4
	s_delay_alu instid0(VALU_DEP_1) | instskip(SKIP_1) | instid1(VALU_DEP_2)
	v_mul_f32_e32 v6, 0x3fb8aa3b, v3
	v_cmp_ngt_f32_e64 s7, 0xc2ce8ed0, v3
	v_fma_f32 v9, 0x3fb8aa3b, v3, -v6
	v_rndne_f32_e32 v10, v6
	s_delay_alu instid0(VALU_DEP_1) | instskip(NEXT) | instid1(VALU_DEP_1)
	v_dual_fmamk_f32 v9, v3, 0x32a5705f, v9 :: v_dual_sub_f32 v6, v6, v10
	v_add_f32_e32 v6, v6, v9
	v_cvt_i32_f32_e32 v9, v10
	s_delay_alu instid0(VALU_DEP_2) | instskip(SKIP_2) | instid1(VALU_DEP_1)
	v_exp_f32_e32 v6, v6
	s_waitcnt_depctr 0xfff
	v_ldexp_f32 v6, v6, v9
	v_cndmask_b32_e64 v6, 0, v6, s7
	v_cmp_nlt_f32_e64 s7, 0x42b17218, v3
	s_delay_alu instid0(VALU_DEP_1) | instskip(NEXT) | instid1(VALU_DEP_1)
	v_cndmask_b32_e64 v3, 0x7f800000, v6, s7
	v_add_f32_e32 v6, 1.0, v3
	v_cmp_gt_f32_e64 s29, 0x33800000, |v3|
	s_delay_alu instid0(VALU_DEP_2) | instskip(NEXT) | instid1(VALU_DEP_1)
	v_cvt_f64_f32_e32 v[9:10], v6
	v_frexp_exp_i32_f64_e32 v9, v[9:10]
	v_frexp_mant_f32_e32 v10, v6
	s_delay_alu instid0(VALU_DEP_1) | instskip(SKIP_1) | instid1(VALU_DEP_1)
	v_cmp_gt_f32_e64 s7, 0x3f2aaaab, v10
	v_add_f32_e32 v10, -1.0, v6
	v_sub_f32_e32 v12, v10, v6
	v_sub_f32_e32 v10, v3, v10
	s_delay_alu instid0(VALU_DEP_4) | instskip(SKIP_1) | instid1(VALU_DEP_1)
	v_subrev_co_ci_u32_e64 v9, s7, 0, v9, s7
	s_mov_b32 s7, 0x3e9b6dac
	v_sub_nc_u32_e32 v11, 0, v9
	v_cvt_f32_i32_e32 v9, v9
	s_delay_alu instid0(VALU_DEP_2) | instskip(NEXT) | instid1(VALU_DEP_1)
	v_ldexp_f32 v6, v6, v11
	v_dual_add_f32 v12, 1.0, v12 :: v_dual_add_f32 v23, 1.0, v6
	s_delay_alu instid0(VALU_DEP_1) | instskip(NEXT) | instid1(VALU_DEP_1)
	v_add_f32_e32 v10, v10, v12
	v_ldexp_f32 v10, v10, v11
	s_delay_alu instid0(VALU_DEP_3) | instskip(NEXT) | instid1(VALU_DEP_1)
	v_dual_add_f32 v11, -1.0, v6 :: v_dual_add_f32 v12, -1.0, v23
	v_add_f32_e32 v24, 1.0, v11
	s_delay_alu instid0(VALU_DEP_2) | instskip(NEXT) | instid1(VALU_DEP_2)
	v_sub_f32_e32 v12, v6, v12
	v_sub_f32_e32 v6, v6, v24
	s_delay_alu instid0(VALU_DEP_1) | instskip(NEXT) | instid1(VALU_DEP_1)
	v_add_f32_e32 v6, v10, v6
	v_add_f32_e32 v25, v11, v6
	s_delay_alu instid0(VALU_DEP_1) | instskip(NEXT) | instid1(VALU_DEP_1)
	v_dual_sub_f32 v11, v11, v25 :: v_dual_add_f32 v12, v10, v12
	v_add_f32_e32 v6, v6, v11
	s_delay_alu instid0(VALU_DEP_2) | instskip(NEXT) | instid1(VALU_DEP_1)
	v_add_f32_e32 v24, v23, v12
	v_rcp_f32_e32 v10, v24
	v_sub_f32_e32 v23, v23, v24
	s_delay_alu instid0(VALU_DEP_1) | instskip(SKIP_2) | instid1(VALU_DEP_1)
	v_add_f32_e32 v12, v12, v23
	s_waitcnt_depctr 0xfff
	v_mul_f32_e32 v26, v25, v10
	v_mul_f32_e32 v27, v24, v26
	s_delay_alu instid0(VALU_DEP_1) | instskip(NEXT) | instid1(VALU_DEP_1)
	v_fma_f32 v23, v26, v24, -v27
	v_fmac_f32_e32 v23, v26, v12
	s_delay_alu instid0(VALU_DEP_1) | instskip(NEXT) | instid1(VALU_DEP_1)
	v_add_f32_e32 v28, v27, v23
	v_sub_f32_e32 v29, v25, v28
	v_sub_f32_e32 v11, v28, v27
	s_delay_alu instid0(VALU_DEP_2) | instskip(NEXT) | instid1(VALU_DEP_2)
	v_sub_f32_e32 v25, v25, v29
	v_sub_f32_e32 v11, v11, v23
	s_delay_alu instid0(VALU_DEP_2) | instskip(NEXT) | instid1(VALU_DEP_1)
	v_sub_f32_e32 v25, v25, v28
	v_add_f32_e32 v6, v6, v25
	s_delay_alu instid0(VALU_DEP_1) | instskip(NEXT) | instid1(VALU_DEP_1)
	v_add_f32_e32 v6, v11, v6
	v_add_f32_e32 v11, v29, v6
	s_delay_alu instid0(VALU_DEP_1) | instskip(NEXT) | instid1(VALU_DEP_1)
	v_mul_f32_e32 v23, v10, v11
	v_mul_f32_e32 v25, v24, v23
	s_delay_alu instid0(VALU_DEP_1) | instskip(NEXT) | instid1(VALU_DEP_1)
	v_fma_f32 v24, v23, v24, -v25
	v_fmac_f32_e32 v24, v23, v12
	s_delay_alu instid0(VALU_DEP_1) | instskip(NEXT) | instid1(VALU_DEP_1)
	v_add_f32_e32 v12, v25, v24
	v_dual_sub_f32 v28, v29, v11 :: v_dual_sub_f32 v27, v11, v12
	v_sub_f32_e32 v25, v12, v25
	s_delay_alu instid0(VALU_DEP_2) | instskip(NEXT) | instid1(VALU_DEP_1)
	v_sub_f32_e32 v11, v11, v27
	v_sub_f32_e32 v11, v11, v12
	s_delay_alu instid0(VALU_DEP_4) | instskip(NEXT) | instid1(VALU_DEP_4)
	v_add_f32_e32 v6, v6, v28
	v_sub_f32_e32 v12, v25, v24
	s_delay_alu instid0(VALU_DEP_2) | instskip(NEXT) | instid1(VALU_DEP_1)
	v_add_f32_e32 v6, v6, v11
	v_dual_add_f32 v11, v26, v23 :: v_dual_add_f32 v6, v12, v6
	s_delay_alu instid0(VALU_DEP_1) | instskip(NEXT) | instid1(VALU_DEP_2)
	v_sub_f32_e32 v12, v11, v26
	v_add_f32_e32 v6, v27, v6
	s_delay_alu instid0(VALU_DEP_2) | instskip(NEXT) | instid1(VALU_DEP_2)
	v_sub_f32_e32 v12, v23, v12
	v_mul_f32_e32 v6, v10, v6
	s_delay_alu instid0(VALU_DEP_1) | instskip(NEXT) | instid1(VALU_DEP_1)
	v_add_f32_e32 v6, v12, v6
	v_add_f32_e32 v10, v11, v6
	s_delay_alu instid0(VALU_DEP_1) | instskip(NEXT) | instid1(VALU_DEP_1)
	v_mul_f32_e32 v12, v10, v10
	v_fmaak_f32 v23, s7, v12, 0x3ecc95a3
	v_mul_f32_e32 v24, v10, v12
	v_cmp_eq_f32_e64 s7, 0x7f800000, v3
	s_delay_alu instid0(VALU_DEP_3) | instskip(SKIP_2) | instid1(VALU_DEP_4)
	v_fmaak_f32 v12, v12, v23, 0x3f2aaada
	v_ldexp_f32 v23, v10, 1
	v_sub_f32_e32 v10, v10, v11
	s_or_b32 s7, s7, s29
	s_delay_alu instid0(VALU_DEP_3) | instskip(SKIP_1) | instid1(VALU_DEP_2)
	v_mul_f32_e32 v12, v24, v12
	v_mul_f32_e32 v24, 0x3f317218, v9
	v_dual_sub_f32 v6, v6, v10 :: v_dual_add_f32 v11, v23, v12
	s_delay_alu instid0(VALU_DEP_1) | instskip(NEXT) | instid1(VALU_DEP_2)
	v_ldexp_f32 v6, v6, 1
	v_sub_f32_e32 v10, v11, v23
	s_delay_alu instid0(VALU_DEP_4) | instskip(NEXT) | instid1(VALU_DEP_1)
	v_fma_f32 v23, 0x3f317218, v9, -v24
	v_dual_sub_f32 v10, v12, v10 :: v_dual_fmamk_f32 v9, v9, 0xb102e308, v23
	s_delay_alu instid0(VALU_DEP_1) | instskip(NEXT) | instid1(VALU_DEP_2)
	v_add_f32_e32 v6, v6, v10
	v_add_f32_e32 v10, v24, v9
	s_delay_alu instid0(VALU_DEP_2) | instskip(NEXT) | instid1(VALU_DEP_2)
	v_add_f32_e32 v12, v11, v6
	v_sub_f32_e32 v24, v10, v24
	s_delay_alu instid0(VALU_DEP_2) | instskip(SKIP_1) | instid1(VALU_DEP_3)
	v_add_f32_e32 v23, v10, v12
	v_sub_f32_e32 v11, v12, v11
	v_sub_f32_e32 v9, v9, v24
	s_delay_alu instid0(VALU_DEP_2) | instskip(NEXT) | instid1(VALU_DEP_1)
	v_dual_sub_f32 v25, v23, v10 :: v_dual_sub_f32 v6, v6, v11
	v_sub_f32_e32 v26, v23, v25
	s_delay_alu instid0(VALU_DEP_2) | instskip(NEXT) | instid1(VALU_DEP_2)
	v_dual_sub_f32 v11, v12, v25 :: v_dual_add_f32 v12, v9, v6
	v_sub_f32_e32 v10, v10, v26
	s_delay_alu instid0(VALU_DEP_1) | instskip(NEXT) | instid1(VALU_DEP_1)
	v_dual_add_f32 v10, v11, v10 :: v_dual_sub_f32 v11, v12, v9
	v_add_f32_e32 v10, v12, v10
	s_delay_alu instid0(VALU_DEP_2) | instskip(SKIP_1) | instid1(VALU_DEP_2)
	v_sub_f32_e32 v12, v12, v11
	v_sub_f32_e32 v6, v6, v11
	v_dual_add_f32 v24, v23, v10 :: v_dual_sub_f32 v9, v9, v12
	s_delay_alu instid0(VALU_DEP_1) | instskip(NEXT) | instid1(VALU_DEP_1)
	v_dual_sub_f32 v11, v24, v23 :: v_dual_add_f32 v6, v6, v9
	v_sub_f32_e32 v9, v10, v11
	s_delay_alu instid0(VALU_DEP_1) | instskip(NEXT) | instid1(VALU_DEP_1)
	v_add_f32_e32 v6, v6, v9
	v_add_f32_e32 v6, v24, v6
	s_delay_alu instid0(VALU_DEP_1) | instskip(NEXT) | instid1(VALU_DEP_1)
	v_cndmask_b32_e64 v3, v6, v3, s7
	v_add_f32_e32 v3, v4, v3
.LBB164_67:
	s_or_b32 exec_lo, exec_lo, s8
	ds_load_b32 v4, v5 offset:24
	v_max_f32_e32 v6, v3, v3
	v_cmp_u_f32_e64 s7, v3, v3
	ds_store_b32 v5, v3 offset:20
	s_waitcnt lgkmcnt(1)
	v_max_f32_e32 v9, v4, v4
	s_delay_alu instid0(VALU_DEP_1) | instskip(SKIP_1) | instid1(VALU_DEP_2)
	v_min_f32_e32 v10, v6, v9
	v_max_f32_e32 v6, v6, v9
	v_cndmask_b32_e64 v9, v10, v3, s7
	s_delay_alu instid0(VALU_DEP_2) | instskip(SKIP_1) | instid1(VALU_DEP_1)
	v_cndmask_b32_e64 v10, v6, v3, s7
	v_cmp_u_f32_e64 s7, v4, v4
	v_cndmask_b32_e64 v6, v9, v4, s7
	s_delay_alu instid0(VALU_DEP_3) | instskip(NEXT) | instid1(VALU_DEP_2)
	v_cndmask_b32_e64 v4, v10, v4, s7
	v_cmp_class_f32_e64 s8, v6, 0x1f8
	s_delay_alu instid0(VALU_DEP_2) | instskip(NEXT) | instid1(VALU_DEP_1)
	v_cmp_neq_f32_e64 s7, v6, v4
	s_or_b32 s7, s7, s8
	s_delay_alu instid0(SALU_CYCLE_1)
	s_and_saveexec_b32 s8, s7
	s_cbranch_execz .LBB164_69
; %bb.68:
	v_sub_f32_e32 v3, v6, v4
	s_delay_alu instid0(VALU_DEP_1) | instskip(SKIP_1) | instid1(VALU_DEP_2)
	v_mul_f32_e32 v6, 0x3fb8aa3b, v3
	v_cmp_ngt_f32_e64 s7, 0xc2ce8ed0, v3
	v_fma_f32 v9, 0x3fb8aa3b, v3, -v6
	v_rndne_f32_e32 v10, v6
	s_delay_alu instid0(VALU_DEP_1) | instskip(NEXT) | instid1(VALU_DEP_1)
	v_dual_fmamk_f32 v9, v3, 0x32a5705f, v9 :: v_dual_sub_f32 v6, v6, v10
	v_add_f32_e32 v6, v6, v9
	v_cvt_i32_f32_e32 v9, v10
	s_delay_alu instid0(VALU_DEP_2) | instskip(SKIP_2) | instid1(VALU_DEP_1)
	v_exp_f32_e32 v6, v6
	s_waitcnt_depctr 0xfff
	v_ldexp_f32 v6, v6, v9
	v_cndmask_b32_e64 v6, 0, v6, s7
	v_cmp_nlt_f32_e64 s7, 0x42b17218, v3
	s_delay_alu instid0(VALU_DEP_1) | instskip(NEXT) | instid1(VALU_DEP_1)
	v_cndmask_b32_e64 v3, 0x7f800000, v6, s7
	v_add_f32_e32 v6, 1.0, v3
	v_cmp_gt_f32_e64 s29, 0x33800000, |v3|
	s_delay_alu instid0(VALU_DEP_2) | instskip(NEXT) | instid1(VALU_DEP_1)
	v_cvt_f64_f32_e32 v[9:10], v6
	v_frexp_exp_i32_f64_e32 v9, v[9:10]
	v_frexp_mant_f32_e32 v10, v6
	s_delay_alu instid0(VALU_DEP_1) | instskip(SKIP_1) | instid1(VALU_DEP_1)
	v_cmp_gt_f32_e64 s7, 0x3f2aaaab, v10
	v_add_f32_e32 v10, -1.0, v6
	v_sub_f32_e32 v12, v10, v6
	v_sub_f32_e32 v10, v3, v10
	s_delay_alu instid0(VALU_DEP_4) | instskip(SKIP_1) | instid1(VALU_DEP_1)
	v_subrev_co_ci_u32_e64 v9, s7, 0, v9, s7
	s_mov_b32 s7, 0x3e9b6dac
	v_sub_nc_u32_e32 v11, 0, v9
	v_cvt_f32_i32_e32 v9, v9
	s_delay_alu instid0(VALU_DEP_2) | instskip(NEXT) | instid1(VALU_DEP_1)
	v_ldexp_f32 v6, v6, v11
	v_dual_add_f32 v12, 1.0, v12 :: v_dual_add_f32 v23, 1.0, v6
	s_delay_alu instid0(VALU_DEP_1) | instskip(NEXT) | instid1(VALU_DEP_1)
	v_add_f32_e32 v10, v10, v12
	v_ldexp_f32 v10, v10, v11
	s_delay_alu instid0(VALU_DEP_3) | instskip(NEXT) | instid1(VALU_DEP_1)
	v_dual_add_f32 v11, -1.0, v6 :: v_dual_add_f32 v12, -1.0, v23
	v_add_f32_e32 v24, 1.0, v11
	s_delay_alu instid0(VALU_DEP_2) | instskip(NEXT) | instid1(VALU_DEP_2)
	v_sub_f32_e32 v12, v6, v12
	v_sub_f32_e32 v6, v6, v24
	s_delay_alu instid0(VALU_DEP_1) | instskip(NEXT) | instid1(VALU_DEP_1)
	v_add_f32_e32 v6, v10, v6
	v_add_f32_e32 v25, v11, v6
	s_delay_alu instid0(VALU_DEP_1) | instskip(NEXT) | instid1(VALU_DEP_1)
	v_dual_sub_f32 v11, v11, v25 :: v_dual_add_f32 v12, v10, v12
	v_add_f32_e32 v6, v6, v11
	s_delay_alu instid0(VALU_DEP_2) | instskip(NEXT) | instid1(VALU_DEP_1)
	v_add_f32_e32 v24, v23, v12
	v_rcp_f32_e32 v10, v24
	v_sub_f32_e32 v23, v23, v24
	s_delay_alu instid0(VALU_DEP_1) | instskip(SKIP_2) | instid1(VALU_DEP_1)
	v_add_f32_e32 v12, v12, v23
	s_waitcnt_depctr 0xfff
	v_mul_f32_e32 v26, v25, v10
	v_mul_f32_e32 v27, v24, v26
	s_delay_alu instid0(VALU_DEP_1) | instskip(NEXT) | instid1(VALU_DEP_1)
	v_fma_f32 v23, v26, v24, -v27
	v_fmac_f32_e32 v23, v26, v12
	s_delay_alu instid0(VALU_DEP_1) | instskip(NEXT) | instid1(VALU_DEP_1)
	v_add_f32_e32 v28, v27, v23
	v_sub_f32_e32 v29, v25, v28
	v_sub_f32_e32 v11, v28, v27
	s_delay_alu instid0(VALU_DEP_2) | instskip(NEXT) | instid1(VALU_DEP_2)
	v_sub_f32_e32 v25, v25, v29
	v_sub_f32_e32 v11, v11, v23
	s_delay_alu instid0(VALU_DEP_2) | instskip(NEXT) | instid1(VALU_DEP_1)
	v_sub_f32_e32 v25, v25, v28
	v_add_f32_e32 v6, v6, v25
	s_delay_alu instid0(VALU_DEP_1) | instskip(NEXT) | instid1(VALU_DEP_1)
	v_add_f32_e32 v6, v11, v6
	v_add_f32_e32 v11, v29, v6
	s_delay_alu instid0(VALU_DEP_1) | instskip(NEXT) | instid1(VALU_DEP_1)
	v_mul_f32_e32 v23, v10, v11
	v_mul_f32_e32 v25, v24, v23
	s_delay_alu instid0(VALU_DEP_1) | instskip(NEXT) | instid1(VALU_DEP_1)
	v_fma_f32 v24, v23, v24, -v25
	v_fmac_f32_e32 v24, v23, v12
	s_delay_alu instid0(VALU_DEP_1) | instskip(NEXT) | instid1(VALU_DEP_1)
	v_add_f32_e32 v12, v25, v24
	v_dual_sub_f32 v28, v29, v11 :: v_dual_sub_f32 v27, v11, v12
	v_sub_f32_e32 v25, v12, v25
	s_delay_alu instid0(VALU_DEP_2) | instskip(NEXT) | instid1(VALU_DEP_1)
	v_sub_f32_e32 v11, v11, v27
	v_sub_f32_e32 v11, v11, v12
	s_delay_alu instid0(VALU_DEP_4) | instskip(NEXT) | instid1(VALU_DEP_4)
	v_add_f32_e32 v6, v6, v28
	v_sub_f32_e32 v12, v25, v24
	s_delay_alu instid0(VALU_DEP_2) | instskip(NEXT) | instid1(VALU_DEP_1)
	v_add_f32_e32 v6, v6, v11
	v_dual_add_f32 v11, v26, v23 :: v_dual_add_f32 v6, v12, v6
	s_delay_alu instid0(VALU_DEP_1) | instskip(NEXT) | instid1(VALU_DEP_2)
	v_sub_f32_e32 v12, v11, v26
	v_add_f32_e32 v6, v27, v6
	s_delay_alu instid0(VALU_DEP_2) | instskip(NEXT) | instid1(VALU_DEP_2)
	v_sub_f32_e32 v12, v23, v12
	v_mul_f32_e32 v6, v10, v6
	s_delay_alu instid0(VALU_DEP_1) | instskip(NEXT) | instid1(VALU_DEP_1)
	v_add_f32_e32 v6, v12, v6
	v_add_f32_e32 v10, v11, v6
	s_delay_alu instid0(VALU_DEP_1) | instskip(NEXT) | instid1(VALU_DEP_1)
	v_mul_f32_e32 v12, v10, v10
	v_fmaak_f32 v23, s7, v12, 0x3ecc95a3
	v_mul_f32_e32 v24, v10, v12
	v_cmp_eq_f32_e64 s7, 0x7f800000, v3
	s_delay_alu instid0(VALU_DEP_3) | instskip(SKIP_2) | instid1(VALU_DEP_4)
	v_fmaak_f32 v12, v12, v23, 0x3f2aaada
	v_ldexp_f32 v23, v10, 1
	v_sub_f32_e32 v10, v10, v11
	s_or_b32 s7, s7, s29
	s_delay_alu instid0(VALU_DEP_3) | instskip(SKIP_1) | instid1(VALU_DEP_2)
	v_mul_f32_e32 v12, v24, v12
	v_mul_f32_e32 v24, 0x3f317218, v9
	v_dual_sub_f32 v6, v6, v10 :: v_dual_add_f32 v11, v23, v12
	s_delay_alu instid0(VALU_DEP_1) | instskip(NEXT) | instid1(VALU_DEP_2)
	v_ldexp_f32 v6, v6, 1
	v_sub_f32_e32 v10, v11, v23
	s_delay_alu instid0(VALU_DEP_4) | instskip(NEXT) | instid1(VALU_DEP_1)
	v_fma_f32 v23, 0x3f317218, v9, -v24
	v_dual_sub_f32 v10, v12, v10 :: v_dual_fmamk_f32 v9, v9, 0xb102e308, v23
	s_delay_alu instid0(VALU_DEP_1) | instskip(NEXT) | instid1(VALU_DEP_2)
	v_add_f32_e32 v6, v6, v10
	v_add_f32_e32 v10, v24, v9
	s_delay_alu instid0(VALU_DEP_2) | instskip(NEXT) | instid1(VALU_DEP_2)
	v_add_f32_e32 v12, v11, v6
	v_sub_f32_e32 v24, v10, v24
	s_delay_alu instid0(VALU_DEP_2) | instskip(SKIP_1) | instid1(VALU_DEP_3)
	v_add_f32_e32 v23, v10, v12
	v_sub_f32_e32 v11, v12, v11
	v_sub_f32_e32 v9, v9, v24
	s_delay_alu instid0(VALU_DEP_2) | instskip(NEXT) | instid1(VALU_DEP_1)
	v_dual_sub_f32 v25, v23, v10 :: v_dual_sub_f32 v6, v6, v11
	v_sub_f32_e32 v26, v23, v25
	s_delay_alu instid0(VALU_DEP_2) | instskip(NEXT) | instid1(VALU_DEP_2)
	v_dual_sub_f32 v11, v12, v25 :: v_dual_add_f32 v12, v9, v6
	v_sub_f32_e32 v10, v10, v26
	s_delay_alu instid0(VALU_DEP_1) | instskip(NEXT) | instid1(VALU_DEP_1)
	v_dual_add_f32 v10, v11, v10 :: v_dual_sub_f32 v11, v12, v9
	v_add_f32_e32 v10, v12, v10
	s_delay_alu instid0(VALU_DEP_2) | instskip(SKIP_1) | instid1(VALU_DEP_2)
	v_sub_f32_e32 v12, v12, v11
	v_sub_f32_e32 v6, v6, v11
	v_dual_add_f32 v24, v23, v10 :: v_dual_sub_f32 v9, v9, v12
	s_delay_alu instid0(VALU_DEP_1) | instskip(NEXT) | instid1(VALU_DEP_1)
	v_dual_sub_f32 v11, v24, v23 :: v_dual_add_f32 v6, v6, v9
	v_sub_f32_e32 v9, v10, v11
	s_delay_alu instid0(VALU_DEP_1) | instskip(NEXT) | instid1(VALU_DEP_1)
	v_add_f32_e32 v6, v6, v9
	v_add_f32_e32 v6, v24, v6
	s_delay_alu instid0(VALU_DEP_1) | instskip(NEXT) | instid1(VALU_DEP_1)
	v_cndmask_b32_e64 v3, v6, v3, s7
	v_add_f32_e32 v3, v4, v3
.LBB164_69:
	s_or_b32 exec_lo, exec_lo, s8
	ds_load_b32 v4, v5 offset:28
	v_max_f32_e32 v6, v3, v3
	v_cmp_u_f32_e64 s7, v3, v3
	ds_store_b32 v5, v3 offset:24
	s_waitcnt lgkmcnt(1)
	v_max_f32_e32 v9, v4, v4
	s_delay_alu instid0(VALU_DEP_1) | instskip(SKIP_1) | instid1(VALU_DEP_2)
	v_min_f32_e32 v10, v6, v9
	v_max_f32_e32 v6, v6, v9
	v_cndmask_b32_e64 v9, v10, v3, s7
	s_delay_alu instid0(VALU_DEP_2) | instskip(SKIP_1) | instid1(VALU_DEP_1)
	v_cndmask_b32_e64 v10, v6, v3, s7
	v_cmp_u_f32_e64 s7, v4, v4
	v_cndmask_b32_e64 v6, v9, v4, s7
	s_delay_alu instid0(VALU_DEP_3) | instskip(NEXT) | instid1(VALU_DEP_2)
	v_cndmask_b32_e64 v4, v10, v4, s7
	v_cmp_class_f32_e64 s8, v6, 0x1f8
	s_delay_alu instid0(VALU_DEP_2) | instskip(NEXT) | instid1(VALU_DEP_1)
	v_cmp_neq_f32_e64 s7, v6, v4
	s_or_b32 s7, s7, s8
	s_delay_alu instid0(SALU_CYCLE_1)
	s_and_saveexec_b32 s8, s7
	s_cbranch_execz .LBB164_71
; %bb.70:
	v_sub_f32_e32 v3, v6, v4
	s_delay_alu instid0(VALU_DEP_1) | instskip(SKIP_1) | instid1(VALU_DEP_2)
	v_mul_f32_e32 v6, 0x3fb8aa3b, v3
	v_cmp_ngt_f32_e64 s7, 0xc2ce8ed0, v3
	v_fma_f32 v9, 0x3fb8aa3b, v3, -v6
	v_rndne_f32_e32 v10, v6
	s_delay_alu instid0(VALU_DEP_1) | instskip(NEXT) | instid1(VALU_DEP_1)
	v_dual_fmamk_f32 v9, v3, 0x32a5705f, v9 :: v_dual_sub_f32 v6, v6, v10
	v_add_f32_e32 v6, v6, v9
	v_cvt_i32_f32_e32 v9, v10
	s_delay_alu instid0(VALU_DEP_2) | instskip(SKIP_2) | instid1(VALU_DEP_1)
	v_exp_f32_e32 v6, v6
	s_waitcnt_depctr 0xfff
	v_ldexp_f32 v6, v6, v9
	v_cndmask_b32_e64 v6, 0, v6, s7
	v_cmp_nlt_f32_e64 s7, 0x42b17218, v3
	s_delay_alu instid0(VALU_DEP_1) | instskip(NEXT) | instid1(VALU_DEP_1)
	v_cndmask_b32_e64 v3, 0x7f800000, v6, s7
	v_add_f32_e32 v6, 1.0, v3
	v_cmp_gt_f32_e64 s29, 0x33800000, |v3|
	s_delay_alu instid0(VALU_DEP_2) | instskip(NEXT) | instid1(VALU_DEP_1)
	v_cvt_f64_f32_e32 v[9:10], v6
	v_frexp_exp_i32_f64_e32 v9, v[9:10]
	v_frexp_mant_f32_e32 v10, v6
	s_delay_alu instid0(VALU_DEP_1) | instskip(SKIP_1) | instid1(VALU_DEP_1)
	v_cmp_gt_f32_e64 s7, 0x3f2aaaab, v10
	v_add_f32_e32 v10, -1.0, v6
	v_sub_f32_e32 v12, v10, v6
	v_sub_f32_e32 v10, v3, v10
	s_delay_alu instid0(VALU_DEP_4) | instskip(SKIP_1) | instid1(VALU_DEP_1)
	v_subrev_co_ci_u32_e64 v9, s7, 0, v9, s7
	s_mov_b32 s7, 0x3e9b6dac
	v_sub_nc_u32_e32 v11, 0, v9
	v_cvt_f32_i32_e32 v9, v9
	s_delay_alu instid0(VALU_DEP_2) | instskip(NEXT) | instid1(VALU_DEP_1)
	v_ldexp_f32 v6, v6, v11
	v_dual_add_f32 v12, 1.0, v12 :: v_dual_add_f32 v23, 1.0, v6
	s_delay_alu instid0(VALU_DEP_1) | instskip(NEXT) | instid1(VALU_DEP_1)
	v_add_f32_e32 v10, v10, v12
	v_ldexp_f32 v10, v10, v11
	s_delay_alu instid0(VALU_DEP_3) | instskip(NEXT) | instid1(VALU_DEP_1)
	v_dual_add_f32 v11, -1.0, v6 :: v_dual_add_f32 v12, -1.0, v23
	v_add_f32_e32 v24, 1.0, v11
	s_delay_alu instid0(VALU_DEP_2) | instskip(NEXT) | instid1(VALU_DEP_2)
	v_sub_f32_e32 v12, v6, v12
	v_sub_f32_e32 v6, v6, v24
	s_delay_alu instid0(VALU_DEP_1) | instskip(NEXT) | instid1(VALU_DEP_1)
	v_add_f32_e32 v6, v10, v6
	v_add_f32_e32 v25, v11, v6
	s_delay_alu instid0(VALU_DEP_1) | instskip(NEXT) | instid1(VALU_DEP_1)
	v_dual_sub_f32 v11, v11, v25 :: v_dual_add_f32 v12, v10, v12
	v_add_f32_e32 v6, v6, v11
	s_delay_alu instid0(VALU_DEP_2) | instskip(NEXT) | instid1(VALU_DEP_1)
	v_add_f32_e32 v24, v23, v12
	v_rcp_f32_e32 v10, v24
	v_sub_f32_e32 v23, v23, v24
	s_delay_alu instid0(VALU_DEP_1) | instskip(SKIP_2) | instid1(VALU_DEP_1)
	v_add_f32_e32 v12, v12, v23
	s_waitcnt_depctr 0xfff
	v_mul_f32_e32 v26, v25, v10
	v_mul_f32_e32 v27, v24, v26
	s_delay_alu instid0(VALU_DEP_1) | instskip(NEXT) | instid1(VALU_DEP_1)
	v_fma_f32 v23, v26, v24, -v27
	v_fmac_f32_e32 v23, v26, v12
	s_delay_alu instid0(VALU_DEP_1) | instskip(NEXT) | instid1(VALU_DEP_1)
	v_add_f32_e32 v28, v27, v23
	v_sub_f32_e32 v29, v25, v28
	v_sub_f32_e32 v11, v28, v27
	s_delay_alu instid0(VALU_DEP_2) | instskip(NEXT) | instid1(VALU_DEP_2)
	v_sub_f32_e32 v25, v25, v29
	v_sub_f32_e32 v11, v11, v23
	s_delay_alu instid0(VALU_DEP_2) | instskip(NEXT) | instid1(VALU_DEP_1)
	v_sub_f32_e32 v25, v25, v28
	v_add_f32_e32 v6, v6, v25
	s_delay_alu instid0(VALU_DEP_1) | instskip(NEXT) | instid1(VALU_DEP_1)
	v_add_f32_e32 v6, v11, v6
	v_add_f32_e32 v11, v29, v6
	s_delay_alu instid0(VALU_DEP_1) | instskip(NEXT) | instid1(VALU_DEP_1)
	v_mul_f32_e32 v23, v10, v11
	v_mul_f32_e32 v25, v24, v23
	s_delay_alu instid0(VALU_DEP_1) | instskip(NEXT) | instid1(VALU_DEP_1)
	v_fma_f32 v24, v23, v24, -v25
	v_fmac_f32_e32 v24, v23, v12
	s_delay_alu instid0(VALU_DEP_1) | instskip(NEXT) | instid1(VALU_DEP_1)
	v_add_f32_e32 v12, v25, v24
	v_dual_sub_f32 v28, v29, v11 :: v_dual_sub_f32 v27, v11, v12
	v_sub_f32_e32 v25, v12, v25
	s_delay_alu instid0(VALU_DEP_2) | instskip(NEXT) | instid1(VALU_DEP_1)
	v_sub_f32_e32 v11, v11, v27
	v_sub_f32_e32 v11, v11, v12
	s_delay_alu instid0(VALU_DEP_4) | instskip(NEXT) | instid1(VALU_DEP_4)
	v_add_f32_e32 v6, v6, v28
	v_sub_f32_e32 v12, v25, v24
	s_delay_alu instid0(VALU_DEP_2) | instskip(NEXT) | instid1(VALU_DEP_1)
	v_add_f32_e32 v6, v6, v11
	v_dual_add_f32 v11, v26, v23 :: v_dual_add_f32 v6, v12, v6
	s_delay_alu instid0(VALU_DEP_1) | instskip(NEXT) | instid1(VALU_DEP_2)
	v_sub_f32_e32 v12, v11, v26
	v_add_f32_e32 v6, v27, v6
	s_delay_alu instid0(VALU_DEP_2) | instskip(NEXT) | instid1(VALU_DEP_2)
	v_sub_f32_e32 v12, v23, v12
	v_mul_f32_e32 v6, v10, v6
	s_delay_alu instid0(VALU_DEP_1) | instskip(NEXT) | instid1(VALU_DEP_1)
	v_add_f32_e32 v6, v12, v6
	v_add_f32_e32 v10, v11, v6
	s_delay_alu instid0(VALU_DEP_1) | instskip(NEXT) | instid1(VALU_DEP_1)
	v_mul_f32_e32 v12, v10, v10
	v_fmaak_f32 v23, s7, v12, 0x3ecc95a3
	v_mul_f32_e32 v24, v10, v12
	v_cmp_eq_f32_e64 s7, 0x7f800000, v3
	s_delay_alu instid0(VALU_DEP_3) | instskip(SKIP_2) | instid1(VALU_DEP_4)
	v_fmaak_f32 v12, v12, v23, 0x3f2aaada
	v_ldexp_f32 v23, v10, 1
	v_sub_f32_e32 v10, v10, v11
	s_or_b32 s7, s7, s29
	s_delay_alu instid0(VALU_DEP_3) | instskip(SKIP_1) | instid1(VALU_DEP_2)
	v_mul_f32_e32 v12, v24, v12
	v_mul_f32_e32 v24, 0x3f317218, v9
	v_dual_sub_f32 v6, v6, v10 :: v_dual_add_f32 v11, v23, v12
	s_delay_alu instid0(VALU_DEP_1) | instskip(NEXT) | instid1(VALU_DEP_2)
	v_ldexp_f32 v6, v6, 1
	v_sub_f32_e32 v10, v11, v23
	s_delay_alu instid0(VALU_DEP_4) | instskip(NEXT) | instid1(VALU_DEP_1)
	v_fma_f32 v23, 0x3f317218, v9, -v24
	v_dual_sub_f32 v10, v12, v10 :: v_dual_fmamk_f32 v9, v9, 0xb102e308, v23
	s_delay_alu instid0(VALU_DEP_1) | instskip(NEXT) | instid1(VALU_DEP_2)
	v_add_f32_e32 v6, v6, v10
	v_add_f32_e32 v10, v24, v9
	s_delay_alu instid0(VALU_DEP_2) | instskip(NEXT) | instid1(VALU_DEP_2)
	v_add_f32_e32 v12, v11, v6
	v_sub_f32_e32 v24, v10, v24
	s_delay_alu instid0(VALU_DEP_2) | instskip(SKIP_1) | instid1(VALU_DEP_3)
	v_add_f32_e32 v23, v10, v12
	v_sub_f32_e32 v11, v12, v11
	v_sub_f32_e32 v9, v9, v24
	s_delay_alu instid0(VALU_DEP_2) | instskip(NEXT) | instid1(VALU_DEP_1)
	v_dual_sub_f32 v25, v23, v10 :: v_dual_sub_f32 v6, v6, v11
	v_sub_f32_e32 v26, v23, v25
	s_delay_alu instid0(VALU_DEP_2) | instskip(NEXT) | instid1(VALU_DEP_2)
	v_dual_sub_f32 v11, v12, v25 :: v_dual_add_f32 v12, v9, v6
	v_sub_f32_e32 v10, v10, v26
	s_delay_alu instid0(VALU_DEP_1) | instskip(NEXT) | instid1(VALU_DEP_1)
	v_dual_add_f32 v10, v11, v10 :: v_dual_sub_f32 v11, v12, v9
	v_add_f32_e32 v10, v12, v10
	s_delay_alu instid0(VALU_DEP_2) | instskip(SKIP_1) | instid1(VALU_DEP_2)
	v_sub_f32_e32 v12, v12, v11
	v_sub_f32_e32 v6, v6, v11
	v_dual_add_f32 v24, v23, v10 :: v_dual_sub_f32 v9, v9, v12
	s_delay_alu instid0(VALU_DEP_1) | instskip(NEXT) | instid1(VALU_DEP_1)
	v_dual_sub_f32 v11, v24, v23 :: v_dual_add_f32 v6, v6, v9
	v_sub_f32_e32 v9, v10, v11
	s_delay_alu instid0(VALU_DEP_1) | instskip(NEXT) | instid1(VALU_DEP_1)
	v_add_f32_e32 v6, v6, v9
	v_add_f32_e32 v6, v24, v6
	s_delay_alu instid0(VALU_DEP_1) | instskip(NEXT) | instid1(VALU_DEP_1)
	v_cndmask_b32_e64 v3, v6, v3, s7
	v_add_f32_e32 v3, v4, v3
.LBB164_71:
	s_or_b32 exec_lo, exec_lo, s8
	ds_store_b32 v5, v3 offset:28
.LBB164_72:
	s_or_b32 exec_lo, exec_lo, s9
	s_waitcnt lgkmcnt(0)
	s_barrier
	buffer_gl0_inv
	s_and_saveexec_b32 s7, s2
	s_cbranch_execz .LBB164_74
; %bb.73:
	v_add_nc_u32_e32 v3, -1, v0
	s_delay_alu instid0(VALU_DEP_1) | instskip(NEXT) | instid1(VALU_DEP_1)
	v_lshrrev_b32_e32 v4, 5, v3
	v_add_lshl_u32 v3, v4, v3, 2
	ds_load_b32 v22, v3
.LBB164_74:
	s_or_b32 exec_lo, exec_lo, s7
	s_and_saveexec_b32 s29, vcc_lo
	s_cbranch_execz .LBB164_137
; %bb.75:
	v_mov_b32_e32 v6, 0
	v_mbcnt_lo_u32_b32 v23, -1, 0
	s_mov_b32 s9, 0
	ds_load_b32 v3, v6 offset:1048
	v_cmp_eq_u32_e64 s7, 0, v23
	s_delay_alu instid0(VALU_DEP_1)
	s_and_saveexec_b32 s30, s7
	s_cbranch_execz .LBB164_77
; %bb.76:
	s_add_i32 s8, s28, 32
	v_mov_b32_e32 v4, 1
	s_lshl_b64 s[8:9], s[8:9], 3
	s_delay_alu instid0(SALU_CYCLE_1)
	s_add_u32 s8, s10, s8
	s_addc_u32 s9, s11, s9
	s_waitcnt lgkmcnt(0)
	global_store_b64 v6, v[3:4], s[8:9]
.LBB164_77:
	s_or_b32 exec_lo, exec_lo, s30
	v_xad_u32 v4, v23, -1, s28
	s_mov_b32 s8, exec_lo
	s_delay_alu instid0(VALU_DEP_1) | instskip(NEXT) | instid1(VALU_DEP_1)
	v_add_nc_u32_e32 v5, 32, v4
	v_lshlrev_b64 v[5:6], 3, v[5:6]
	s_delay_alu instid0(VALU_DEP_1) | instskip(NEXT) | instid1(VALU_DEP_2)
	v_add_co_u32 v5, vcc_lo, s10, v5
	v_add_co_ci_u32_e32 v6, vcc_lo, s11, v6, vcc_lo
	global_load_b64 v[9:10], v[5:6], off glc
	s_waitcnt vmcnt(0)
	v_and_b32_e32 v11, 0xff, v10
	s_delay_alu instid0(VALU_DEP_1)
	v_cmpx_eq_u16_e32 0, v11
	s_cbranch_execz .LBB164_81
; %bb.78:
	s_mov_b32 s9, 0
.LBB164_79:                             ; =>This Inner Loop Header: Depth=1
	global_load_b64 v[9:10], v[5:6], off glc
	s_waitcnt vmcnt(0)
	v_and_b32_e32 v11, 0xff, v10
	s_delay_alu instid0(VALU_DEP_1) | instskip(SKIP_1) | instid1(SALU_CYCLE_1)
	v_cmp_ne_u16_e32 vcc_lo, 0, v11
	s_or_b32 s9, vcc_lo, s9
	s_and_not1_b32 exec_lo, exec_lo, s9
	s_cbranch_execnz .LBB164_79
; %bb.80:
	s_or_b32 exec_lo, exec_lo, s9
.LBB164_81:
	s_delay_alu instid0(SALU_CYCLE_1)
	s_or_b32 exec_lo, exec_lo, s8
	v_cmp_ne_u32_e32 vcc_lo, 31, v23
	v_dual_mov_b32 v12, v9 :: v_dual_and_b32 v11, 0xff, v10
	v_lshlrev_b32_e64 v24, v23, -1
	s_mov_b32 s8, exec_lo
	v_add_co_ci_u32_e32 v5, vcc_lo, 0, v23, vcc_lo
	s_delay_alu instid0(VALU_DEP_3) | instskip(NEXT) | instid1(VALU_DEP_2)
	v_cmp_eq_u16_e32 vcc_lo, 2, v11
	v_lshlrev_b32_e32 v6, 2, v5
	v_and_or_b32 v5, vcc_lo, v24, 0x80000000
	ds_bpermute_b32 v11, v6, v9
	v_ctz_i32_b32_e32 v5, v5
	s_delay_alu instid0(VALU_DEP_1)
	v_cmpx_lt_u32_e64 v23, v5
	s_cbranch_execz .LBB164_85
; %bb.82:
	s_waitcnt lgkmcnt(0)
	v_dual_max_f32 v12, v9, v9 :: v_dual_max_f32 v25, v11, v11
	v_cmp_u_f32_e32 vcc_lo, v11, v11
	s_delay_alu instid0(VALU_DEP_2) | instskip(NEXT) | instid1(VALU_DEP_1)
	v_min_f32_e32 v26, v25, v12
	v_dual_max_f32 v12, v25, v12 :: v_dual_cndmask_b32 v25, v26, v11
	s_delay_alu instid0(VALU_DEP_1) | instskip(SKIP_1) | instid1(VALU_DEP_3)
	v_cndmask_b32_e32 v26, v12, v11, vcc_lo
	v_cmp_u_f32_e32 vcc_lo, v9, v9
	v_cndmask_b32_e32 v12, v25, v9, vcc_lo
	s_delay_alu instid0(VALU_DEP_3) | instskip(NEXT) | instid1(VALU_DEP_2)
	v_cndmask_b32_e32 v9, v26, v9, vcc_lo
	v_cmp_class_f32_e64 s9, v12, 0x1f8
	s_delay_alu instid0(VALU_DEP_2) | instskip(NEXT) | instid1(VALU_DEP_2)
	v_cmp_neq_f32_e32 vcc_lo, v12, v9
	s_or_b32 s30, vcc_lo, s9
	s_delay_alu instid0(SALU_CYCLE_1)
	s_and_saveexec_b32 s9, s30
	s_cbranch_execz .LBB164_84
; %bb.83:
	v_sub_f32_e32 v11, v12, v9
	s_mov_b32 s30, 0x3e9b6dac
	s_delay_alu instid0(VALU_DEP_1) | instskip(SKIP_1) | instid1(VALU_DEP_2)
	v_mul_f32_e32 v12, 0x3fb8aa3b, v11
	v_cmp_ngt_f32_e32 vcc_lo, 0xc2ce8ed0, v11
	v_fma_f32 v25, 0x3fb8aa3b, v11, -v12
	v_rndne_f32_e32 v26, v12
	s_delay_alu instid0(VALU_DEP_1) | instskip(NEXT) | instid1(VALU_DEP_1)
	v_dual_fmamk_f32 v25, v11, 0x32a5705f, v25 :: v_dual_sub_f32 v12, v12, v26
	v_add_f32_e32 v12, v12, v25
	v_cvt_i32_f32_e32 v25, v26
	s_delay_alu instid0(VALU_DEP_2) | instskip(SKIP_2) | instid1(VALU_DEP_1)
	v_exp_f32_e32 v12, v12
	s_waitcnt_depctr 0xfff
	v_ldexp_f32 v12, v12, v25
	v_cndmask_b32_e32 v12, 0, v12, vcc_lo
	v_cmp_nlt_f32_e32 vcc_lo, 0x42b17218, v11
	s_delay_alu instid0(VALU_DEP_2) | instskip(NEXT) | instid1(VALU_DEP_1)
	v_cndmask_b32_e32 v25, 0x7f800000, v12, vcc_lo
	v_add_f32_e32 v26, 1.0, v25
	s_delay_alu instid0(VALU_DEP_1) | instskip(NEXT) | instid1(VALU_DEP_1)
	v_cvt_f64_f32_e32 v[11:12], v26
	v_frexp_exp_i32_f64_e32 v11, v[11:12]
	v_frexp_mant_f32_e32 v12, v26
	s_delay_alu instid0(VALU_DEP_1) | instskip(SKIP_1) | instid1(VALU_DEP_1)
	v_cmp_gt_f32_e32 vcc_lo, 0x3f2aaaab, v12
	v_add_f32_e32 v12, -1.0, v26
	v_sub_f32_e32 v28, v12, v26
	v_sub_f32_e32 v12, v25, v12
	v_subrev_co_ci_u32_e32 v11, vcc_lo, 0, v11, vcc_lo
	v_cmp_eq_f32_e32 vcc_lo, 0x7f800000, v25
	s_delay_alu instid0(VALU_DEP_2) | instskip(SKIP_1) | instid1(VALU_DEP_2)
	v_sub_nc_u32_e32 v27, 0, v11
	v_cvt_f32_i32_e32 v11, v11
	v_ldexp_f32 v26, v26, v27
	s_delay_alu instid0(VALU_DEP_1) | instskip(NEXT) | instid1(VALU_DEP_1)
	v_dual_add_f32 v29, 1.0, v26 :: v_dual_add_f32 v28, 1.0, v28
	v_add_f32_e32 v12, v12, v28
	s_delay_alu instid0(VALU_DEP_2) | instskip(NEXT) | instid1(VALU_DEP_2)
	v_add_f32_e32 v28, -1.0, v29
	v_ldexp_f32 v12, v12, v27
	s_delay_alu instid0(VALU_DEP_2) | instskip(NEXT) | instid1(VALU_DEP_1)
	v_dual_add_f32 v27, -1.0, v26 :: v_dual_sub_f32 v28, v26, v28
	v_add_f32_e32 v30, 1.0, v27
	s_delay_alu instid0(VALU_DEP_2) | instskip(NEXT) | instid1(VALU_DEP_2)
	v_add_f32_e32 v28, v12, v28
	v_sub_f32_e32 v26, v26, v30
	s_delay_alu instid0(VALU_DEP_2) | instskip(NEXT) | instid1(VALU_DEP_2)
	v_add_f32_e32 v30, v29, v28
	v_add_f32_e32 v12, v12, v26
	s_delay_alu instid0(VALU_DEP_2) | instskip(SKIP_1) | instid1(VALU_DEP_1)
	v_rcp_f32_e32 v26, v30
	v_sub_f32_e32 v29, v29, v30
	v_dual_add_f32 v31, v27, v12 :: v_dual_add_f32 v28, v28, v29
	s_delay_alu instid0(VALU_DEP_1) | instskip(SKIP_2) | instid1(VALU_DEP_1)
	v_sub_f32_e32 v27, v27, v31
	s_waitcnt_depctr 0xfff
	v_mul_f32_e32 v32, v31, v26
	v_dual_add_f32 v12, v12, v27 :: v_dual_mul_f32 v33, v30, v32
	s_delay_alu instid0(VALU_DEP_1) | instskip(NEXT) | instid1(VALU_DEP_1)
	v_fma_f32 v29, v32, v30, -v33
	v_fmac_f32_e32 v29, v32, v28
	s_delay_alu instid0(VALU_DEP_1) | instskip(NEXT) | instid1(VALU_DEP_1)
	v_add_f32_e32 v34, v33, v29
	v_sub_f32_e32 v35, v31, v34
	v_sub_f32_e32 v27, v34, v33
	s_delay_alu instid0(VALU_DEP_2) | instskip(NEXT) | instid1(VALU_DEP_2)
	v_sub_f32_e32 v31, v31, v35
	v_sub_f32_e32 v27, v27, v29
	s_delay_alu instid0(VALU_DEP_2) | instskip(NEXT) | instid1(VALU_DEP_1)
	v_sub_f32_e32 v31, v31, v34
	v_add_f32_e32 v12, v12, v31
	s_delay_alu instid0(VALU_DEP_1) | instskip(NEXT) | instid1(VALU_DEP_1)
	v_add_f32_e32 v12, v27, v12
	v_add_f32_e32 v27, v35, v12
	s_delay_alu instid0(VALU_DEP_1) | instskip(NEXT) | instid1(VALU_DEP_1)
	v_mul_f32_e32 v29, v26, v27
	v_dual_sub_f32 v34, v35, v27 :: v_dual_mul_f32 v31, v30, v29
	s_delay_alu instid0(VALU_DEP_1) | instskip(NEXT) | instid1(VALU_DEP_2)
	v_add_f32_e32 v12, v12, v34
	v_fma_f32 v30, v29, v30, -v31
	s_delay_alu instid0(VALU_DEP_1) | instskip(NEXT) | instid1(VALU_DEP_1)
	v_fmac_f32_e32 v30, v29, v28
	v_add_f32_e32 v28, v31, v30
	s_delay_alu instid0(VALU_DEP_1) | instskip(SKIP_1) | instid1(VALU_DEP_2)
	v_sub_f32_e32 v33, v27, v28
	v_sub_f32_e32 v31, v28, v31
	;; [unrolled: 1-line block ×3, first 2 shown]
	s_delay_alu instid0(VALU_DEP_1) | instskip(NEXT) | instid1(VALU_DEP_3)
	v_sub_f32_e32 v27, v27, v28
	v_sub_f32_e32 v28, v31, v30
	s_delay_alu instid0(VALU_DEP_2) | instskip(SKIP_1) | instid1(VALU_DEP_2)
	v_add_f32_e32 v12, v12, v27
	v_add_f32_e32 v27, v32, v29
	;; [unrolled: 1-line block ×3, first 2 shown]
	s_delay_alu instid0(VALU_DEP_2) | instskip(NEXT) | instid1(VALU_DEP_2)
	v_sub_f32_e32 v28, v27, v32
	v_add_f32_e32 v12, v33, v12
	s_delay_alu instid0(VALU_DEP_2) | instskip(NEXT) | instid1(VALU_DEP_2)
	v_sub_f32_e32 v28, v29, v28
	v_mul_f32_e32 v12, v26, v12
	s_delay_alu instid0(VALU_DEP_1) | instskip(NEXT) | instid1(VALU_DEP_1)
	v_add_f32_e32 v12, v28, v12
	v_add_f32_e32 v26, v27, v12
	s_delay_alu instid0(VALU_DEP_1) | instskip(NEXT) | instid1(VALU_DEP_1)
	v_mul_f32_e32 v28, v26, v26
	v_fmaak_f32 v29, s30, v28, 0x3ecc95a3
	v_mul_f32_e32 v30, v26, v28
	v_cmp_gt_f32_e64 s30, 0x33800000, |v25|
	s_delay_alu instid0(VALU_DEP_3) | instskip(SKIP_2) | instid1(VALU_DEP_4)
	v_fmaak_f32 v28, v28, v29, 0x3f2aaada
	v_ldexp_f32 v29, v26, 1
	v_sub_f32_e32 v26, v26, v27
	s_or_b32 vcc_lo, vcc_lo, s30
	s_delay_alu instid0(VALU_DEP_3) | instskip(SKIP_1) | instid1(VALU_DEP_2)
	v_mul_f32_e32 v28, v30, v28
	v_mul_f32_e32 v30, 0x3f317218, v11
	v_dual_sub_f32 v12, v12, v26 :: v_dual_add_f32 v27, v29, v28
	s_delay_alu instid0(VALU_DEP_1) | instskip(NEXT) | instid1(VALU_DEP_2)
	v_ldexp_f32 v12, v12, 1
	v_sub_f32_e32 v26, v27, v29
	s_delay_alu instid0(VALU_DEP_4) | instskip(NEXT) | instid1(VALU_DEP_1)
	v_fma_f32 v29, 0x3f317218, v11, -v30
	v_dual_sub_f32 v26, v28, v26 :: v_dual_fmamk_f32 v11, v11, 0xb102e308, v29
	s_delay_alu instid0(VALU_DEP_1) | instskip(NEXT) | instid1(VALU_DEP_2)
	v_add_f32_e32 v12, v12, v26
	v_add_f32_e32 v26, v30, v11
	s_delay_alu instid0(VALU_DEP_2) | instskip(NEXT) | instid1(VALU_DEP_2)
	v_add_f32_e32 v28, v27, v12
	v_sub_f32_e32 v30, v26, v30
	s_delay_alu instid0(VALU_DEP_2) | instskip(SKIP_1) | instid1(VALU_DEP_3)
	v_add_f32_e32 v29, v26, v28
	v_sub_f32_e32 v27, v28, v27
	v_sub_f32_e32 v11, v11, v30
	s_delay_alu instid0(VALU_DEP_2) | instskip(NEXT) | instid1(VALU_DEP_1)
	v_dual_sub_f32 v31, v29, v26 :: v_dual_sub_f32 v12, v12, v27
	v_sub_f32_e32 v32, v29, v31
	s_delay_alu instid0(VALU_DEP_2) | instskip(NEXT) | instid1(VALU_DEP_2)
	v_dual_sub_f32 v27, v28, v31 :: v_dual_add_f32 v28, v11, v12
	v_sub_f32_e32 v26, v26, v32
	s_delay_alu instid0(VALU_DEP_1) | instskip(NEXT) | instid1(VALU_DEP_1)
	v_dual_add_f32 v26, v27, v26 :: v_dual_sub_f32 v27, v28, v11
	v_add_f32_e32 v26, v28, v26
	s_delay_alu instid0(VALU_DEP_2) | instskip(SKIP_1) | instid1(VALU_DEP_2)
	v_sub_f32_e32 v28, v28, v27
	v_sub_f32_e32 v12, v12, v27
	v_dual_add_f32 v30, v29, v26 :: v_dual_sub_f32 v11, v11, v28
	s_delay_alu instid0(VALU_DEP_1) | instskip(NEXT) | instid1(VALU_DEP_2)
	v_sub_f32_e32 v27, v30, v29
	v_add_f32_e32 v11, v12, v11
	s_delay_alu instid0(VALU_DEP_2) | instskip(NEXT) | instid1(VALU_DEP_1)
	v_sub_f32_e32 v12, v26, v27
	v_add_f32_e32 v11, v11, v12
	s_delay_alu instid0(VALU_DEP_1) | instskip(NEXT) | instid1(VALU_DEP_1)
	v_add_f32_e32 v11, v30, v11
	v_cndmask_b32_e32 v11, v11, v25, vcc_lo
	s_delay_alu instid0(VALU_DEP_1)
	v_add_f32_e32 v11, v9, v11
.LBB164_84:
	s_or_b32 exec_lo, exec_lo, s9
	s_delay_alu instid0(VALU_DEP_1)
	v_mov_b32_e32 v9, v11
	v_mov_b32_e32 v12, v11
.LBB164_85:
	s_or_b32 exec_lo, exec_lo, s8
	v_cmp_gt_u32_e32 vcc_lo, 30, v23
	v_add_nc_u32_e32 v26, 2, v23
	s_mov_b32 s8, exec_lo
	s_waitcnt lgkmcnt(0)
	v_cndmask_b32_e64 v11, 0, 1, vcc_lo
	s_delay_alu instid0(VALU_DEP_1) | instskip(NEXT) | instid1(VALU_DEP_1)
	v_lshlrev_b32_e32 v11, 1, v11
	v_add_lshl_u32 v25, v11, v23, 2
	ds_bpermute_b32 v11, v25, v9
	v_cmpx_le_u32_e64 v26, v5
	s_cbranch_execz .LBB164_89
; %bb.86:
	v_max_f32_e32 v9, v12, v12
	s_waitcnt lgkmcnt(0)
	v_max_f32_e32 v27, v11, v11
	v_cmp_u_f32_e32 vcc_lo, v11, v11
	s_delay_alu instid0(VALU_DEP_2) | instskip(SKIP_1) | instid1(VALU_DEP_1)
	v_min_f32_e32 v28, v27, v9
	v_max_f32_e32 v9, v27, v9
	v_cndmask_b32_e32 v9, v9, v11, vcc_lo
	s_delay_alu instid0(VALU_DEP_3) | instskip(SKIP_1) | instid1(VALU_DEP_2)
	v_cndmask_b32_e32 v27, v28, v11, vcc_lo
	v_cmp_u_f32_e32 vcc_lo, v12, v12
	v_cndmask_b32_e32 v27, v27, v12, vcc_lo
	s_delay_alu instid0(VALU_DEP_4) | instskip(NEXT) | instid1(VALU_DEP_2)
	v_cndmask_b32_e32 v9, v9, v12, vcc_lo
	v_cmp_class_f32_e64 s9, v27, 0x1f8
	s_delay_alu instid0(VALU_DEP_2) | instskip(NEXT) | instid1(VALU_DEP_2)
	v_cmp_neq_f32_e32 vcc_lo, v27, v9
	s_or_b32 s30, vcc_lo, s9
	s_delay_alu instid0(SALU_CYCLE_1)
	s_and_saveexec_b32 s9, s30
	s_cbranch_execz .LBB164_88
; %bb.87:
	v_sub_f32_e32 v11, v27, v9
	s_mov_b32 s30, 0x3e9b6dac
	s_delay_alu instid0(VALU_DEP_1) | instskip(NEXT) | instid1(VALU_DEP_1)
	v_mul_f32_e32 v12, 0x3fb8aa3b, v11
	v_fma_f32 v27, 0x3fb8aa3b, v11, -v12
	v_rndne_f32_e32 v28, v12
	s_delay_alu instid0(VALU_DEP_1) | instskip(SKIP_1) | instid1(VALU_DEP_4)
	v_sub_f32_e32 v12, v12, v28
	v_cmp_ngt_f32_e32 vcc_lo, 0xc2ce8ed0, v11
	v_fmamk_f32 v27, v11, 0x32a5705f, v27
	s_delay_alu instid0(VALU_DEP_1) | instskip(SKIP_1) | instid1(VALU_DEP_2)
	v_add_f32_e32 v12, v12, v27
	v_cvt_i32_f32_e32 v27, v28
	v_exp_f32_e32 v12, v12
	s_waitcnt_depctr 0xfff
	v_ldexp_f32 v12, v12, v27
	s_delay_alu instid0(VALU_DEP_1) | instskip(SKIP_1) | instid1(VALU_DEP_2)
	v_cndmask_b32_e32 v12, 0, v12, vcc_lo
	v_cmp_nlt_f32_e32 vcc_lo, 0x42b17218, v11
	v_cndmask_b32_e32 v27, 0x7f800000, v12, vcc_lo
	s_delay_alu instid0(VALU_DEP_1) | instskip(NEXT) | instid1(VALU_DEP_1)
	v_add_f32_e32 v28, 1.0, v27
	v_cvt_f64_f32_e32 v[11:12], v28
	s_delay_alu instid0(VALU_DEP_1) | instskip(SKIP_1) | instid1(VALU_DEP_1)
	v_frexp_exp_i32_f64_e32 v11, v[11:12]
	v_frexp_mant_f32_e32 v12, v28
	v_cmp_gt_f32_e32 vcc_lo, 0x3f2aaaab, v12
	v_add_f32_e32 v12, -1.0, v28
	s_delay_alu instid0(VALU_DEP_1) | instskip(NEXT) | instid1(VALU_DEP_1)
	v_sub_f32_e32 v30, v12, v28
	v_add_f32_e32 v30, 1.0, v30
	v_sub_f32_e32 v12, v27, v12
	v_subrev_co_ci_u32_e32 v11, vcc_lo, 0, v11, vcc_lo
	v_cmp_eq_f32_e32 vcc_lo, 0x7f800000, v27
	s_delay_alu instid0(VALU_DEP_2) | instskip(SKIP_1) | instid1(VALU_DEP_2)
	v_sub_nc_u32_e32 v29, 0, v11
	v_cvt_f32_i32_e32 v11, v11
	v_ldexp_f32 v28, v28, v29
	s_delay_alu instid0(VALU_DEP_1) | instskip(NEXT) | instid1(VALU_DEP_1)
	v_dual_add_f32 v31, 1.0, v28 :: v_dual_add_f32 v12, v12, v30
	v_add_f32_e32 v30, -1.0, v31
	s_delay_alu instid0(VALU_DEP_2) | instskip(NEXT) | instid1(VALU_DEP_2)
	v_ldexp_f32 v12, v12, v29
	v_dual_add_f32 v29, -1.0, v28 :: v_dual_sub_f32 v30, v28, v30
	s_delay_alu instid0(VALU_DEP_1) | instskip(NEXT) | instid1(VALU_DEP_2)
	v_add_f32_e32 v32, 1.0, v29
	v_add_f32_e32 v30, v12, v30
	s_delay_alu instid0(VALU_DEP_2) | instskip(NEXT) | instid1(VALU_DEP_2)
	v_sub_f32_e32 v28, v28, v32
	v_add_f32_e32 v32, v31, v30
	s_delay_alu instid0(VALU_DEP_2) | instskip(NEXT) | instid1(VALU_DEP_2)
	v_add_f32_e32 v12, v12, v28
	v_rcp_f32_e32 v28, v32
	v_sub_f32_e32 v31, v31, v32
	s_delay_alu instid0(VALU_DEP_1) | instskip(NEXT) | instid1(VALU_DEP_1)
	v_dual_add_f32 v33, v29, v12 :: v_dual_add_f32 v30, v30, v31
	v_sub_f32_e32 v29, v29, v33
	s_waitcnt_depctr 0xfff
	v_mul_f32_e32 v34, v33, v28
	v_add_f32_e32 v12, v12, v29
	s_delay_alu instid0(VALU_DEP_2) | instskip(NEXT) | instid1(VALU_DEP_1)
	v_mul_f32_e32 v35, v32, v34
	v_fma_f32 v31, v34, v32, -v35
	s_delay_alu instid0(VALU_DEP_1) | instskip(NEXT) | instid1(VALU_DEP_1)
	v_fmac_f32_e32 v31, v34, v30
	v_add_f32_e32 v36, v35, v31
	s_delay_alu instid0(VALU_DEP_1) | instskip(SKIP_1) | instid1(VALU_DEP_2)
	v_sub_f32_e32 v37, v33, v36
	v_sub_f32_e32 v29, v36, v35
	;; [unrolled: 1-line block ×3, first 2 shown]
	s_delay_alu instid0(VALU_DEP_2) | instskip(NEXT) | instid1(VALU_DEP_2)
	v_sub_f32_e32 v29, v29, v31
	v_sub_f32_e32 v33, v33, v36
	s_delay_alu instid0(VALU_DEP_1) | instskip(NEXT) | instid1(VALU_DEP_1)
	v_add_f32_e32 v12, v12, v33
	v_add_f32_e32 v12, v29, v12
	s_delay_alu instid0(VALU_DEP_1) | instskip(NEXT) | instid1(VALU_DEP_1)
	v_add_f32_e32 v29, v37, v12
	v_mul_f32_e32 v31, v28, v29
	s_delay_alu instid0(VALU_DEP_1) | instskip(NEXT) | instid1(VALU_DEP_1)
	v_dual_sub_f32 v36, v37, v29 :: v_dual_mul_f32 v33, v32, v31
	v_add_f32_e32 v12, v12, v36
	s_delay_alu instid0(VALU_DEP_2) | instskip(NEXT) | instid1(VALU_DEP_1)
	v_fma_f32 v32, v31, v32, -v33
	v_fmac_f32_e32 v32, v31, v30
	s_delay_alu instid0(VALU_DEP_1) | instskip(NEXT) | instid1(VALU_DEP_1)
	v_add_f32_e32 v30, v33, v32
	v_sub_f32_e32 v35, v29, v30
	v_sub_f32_e32 v33, v30, v33
	s_delay_alu instid0(VALU_DEP_2) | instskip(NEXT) | instid1(VALU_DEP_1)
	v_sub_f32_e32 v29, v29, v35
	v_sub_f32_e32 v29, v29, v30
	s_delay_alu instid0(VALU_DEP_1) | instskip(NEXT) | instid1(VALU_DEP_4)
	v_dual_add_f32 v12, v12, v29 :: v_dual_add_f32 v29, v34, v31
	v_sub_f32_e32 v30, v33, v32
	s_delay_alu instid0(VALU_DEP_1) | instskip(NEXT) | instid1(VALU_DEP_3)
	v_add_f32_e32 v12, v30, v12
	v_sub_f32_e32 v30, v29, v34
	s_delay_alu instid0(VALU_DEP_2) | instskip(NEXT) | instid1(VALU_DEP_2)
	v_add_f32_e32 v12, v35, v12
	v_sub_f32_e32 v30, v31, v30
	s_delay_alu instid0(VALU_DEP_2) | instskip(NEXT) | instid1(VALU_DEP_1)
	v_mul_f32_e32 v12, v28, v12
	v_add_f32_e32 v12, v30, v12
	s_delay_alu instid0(VALU_DEP_1) | instskip(NEXT) | instid1(VALU_DEP_1)
	v_add_f32_e32 v28, v29, v12
	v_mul_f32_e32 v30, v28, v28
	s_delay_alu instid0(VALU_DEP_1) | instskip(SKIP_2) | instid1(VALU_DEP_3)
	v_fmaak_f32 v31, s30, v30, 0x3ecc95a3
	v_mul_f32_e32 v32, v28, v30
	v_cmp_gt_f32_e64 s30, 0x33800000, |v27|
	v_fmaak_f32 v30, v30, v31, 0x3f2aaada
	v_ldexp_f32 v31, v28, 1
	v_sub_f32_e32 v28, v28, v29
	s_delay_alu instid0(VALU_DEP_4) | instskip(NEXT) | instid1(VALU_DEP_3)
	s_or_b32 vcc_lo, vcc_lo, s30
	v_mul_f32_e32 v30, v32, v30
	v_mul_f32_e32 v32, 0x3f317218, v11
	s_delay_alu instid0(VALU_DEP_2) | instskip(NEXT) | instid1(VALU_DEP_1)
	v_dual_sub_f32 v12, v12, v28 :: v_dual_add_f32 v29, v31, v30
	v_ldexp_f32 v12, v12, 1
	s_delay_alu instid0(VALU_DEP_2) | instskip(NEXT) | instid1(VALU_DEP_4)
	v_sub_f32_e32 v28, v29, v31
	v_fma_f32 v31, 0x3f317218, v11, -v32
	s_delay_alu instid0(VALU_DEP_1) | instskip(NEXT) | instid1(VALU_DEP_1)
	v_dual_sub_f32 v28, v30, v28 :: v_dual_fmamk_f32 v11, v11, 0xb102e308, v31
	v_add_f32_e32 v12, v12, v28
	s_delay_alu instid0(VALU_DEP_2) | instskip(NEXT) | instid1(VALU_DEP_2)
	v_add_f32_e32 v28, v32, v11
	v_add_f32_e32 v30, v29, v12
	s_delay_alu instid0(VALU_DEP_2) | instskip(NEXT) | instid1(VALU_DEP_2)
	v_sub_f32_e32 v32, v28, v32
	v_add_f32_e32 v31, v28, v30
	v_sub_f32_e32 v29, v30, v29
	s_delay_alu instid0(VALU_DEP_3) | instskip(NEXT) | instid1(VALU_DEP_2)
	v_sub_f32_e32 v11, v11, v32
	v_dual_sub_f32 v33, v31, v28 :: v_dual_sub_f32 v12, v12, v29
	s_delay_alu instid0(VALU_DEP_1) | instskip(NEXT) | instid1(VALU_DEP_2)
	v_sub_f32_e32 v34, v31, v33
	v_dual_sub_f32 v29, v30, v33 :: v_dual_add_f32 v30, v11, v12
	s_delay_alu instid0(VALU_DEP_2) | instskip(NEXT) | instid1(VALU_DEP_1)
	v_sub_f32_e32 v28, v28, v34
	v_dual_add_f32 v28, v29, v28 :: v_dual_sub_f32 v29, v30, v11
	s_delay_alu instid0(VALU_DEP_1) | instskip(NEXT) | instid1(VALU_DEP_2)
	v_add_f32_e32 v28, v30, v28
	v_sub_f32_e32 v30, v30, v29
	v_sub_f32_e32 v12, v12, v29
	s_delay_alu instid0(VALU_DEP_3) | instskip(NEXT) | instid1(VALU_DEP_3)
	v_add_f32_e32 v32, v31, v28
	v_sub_f32_e32 v11, v11, v30
	s_delay_alu instid0(VALU_DEP_2) | instskip(NEXT) | instid1(VALU_DEP_2)
	v_sub_f32_e32 v29, v32, v31
	v_add_f32_e32 v11, v12, v11
	s_delay_alu instid0(VALU_DEP_2) | instskip(NEXT) | instid1(VALU_DEP_1)
	v_sub_f32_e32 v12, v28, v29
	v_add_f32_e32 v11, v11, v12
	s_delay_alu instid0(VALU_DEP_1) | instskip(NEXT) | instid1(VALU_DEP_1)
	v_add_f32_e32 v11, v32, v11
	v_cndmask_b32_e32 v11, v11, v27, vcc_lo
	s_delay_alu instid0(VALU_DEP_1)
	v_add_f32_e32 v11, v9, v11
.LBB164_88:
	s_or_b32 exec_lo, exec_lo, s9
	s_delay_alu instid0(VALU_DEP_1)
	v_mov_b32_e32 v9, v11
	v_mov_b32_e32 v12, v11
.LBB164_89:
	s_or_b32 exec_lo, exec_lo, s8
	v_cmp_gt_u32_e32 vcc_lo, 28, v23
	v_add_nc_u32_e32 v28, 4, v23
	s_mov_b32 s8, exec_lo
	s_waitcnt lgkmcnt(0)
	v_cndmask_b32_e64 v11, 0, 1, vcc_lo
	s_delay_alu instid0(VALU_DEP_1) | instskip(NEXT) | instid1(VALU_DEP_1)
	v_lshlrev_b32_e32 v11, 2, v11
	v_add_lshl_u32 v27, v11, v23, 2
	ds_bpermute_b32 v11, v27, v9
	v_cmpx_le_u32_e64 v28, v5
	s_cbranch_execz .LBB164_93
; %bb.90:
	v_max_f32_e32 v9, v12, v12
	s_waitcnt lgkmcnt(0)
	v_max_f32_e32 v29, v11, v11
	v_cmp_u_f32_e32 vcc_lo, v11, v11
	s_delay_alu instid0(VALU_DEP_2) | instskip(SKIP_1) | instid1(VALU_DEP_2)
	v_min_f32_e32 v30, v29, v9
	v_max_f32_e32 v9, v29, v9
	v_cndmask_b32_e32 v29, v30, v11, vcc_lo
	s_delay_alu instid0(VALU_DEP_2) | instskip(SKIP_1) | instid1(VALU_DEP_3)
	v_cndmask_b32_e32 v9, v9, v11, vcc_lo
	v_cmp_u_f32_e32 vcc_lo, v12, v12
	v_cndmask_b32_e32 v29, v29, v12, vcc_lo
	s_delay_alu instid0(VALU_DEP_3) | instskip(NEXT) | instid1(VALU_DEP_2)
	v_cndmask_b32_e32 v9, v9, v12, vcc_lo
	v_cmp_class_f32_e64 s9, v29, 0x1f8
	s_delay_alu instid0(VALU_DEP_2) | instskip(NEXT) | instid1(VALU_DEP_2)
	v_cmp_neq_f32_e32 vcc_lo, v29, v9
	s_or_b32 s30, vcc_lo, s9
	s_delay_alu instid0(SALU_CYCLE_1)
	s_and_saveexec_b32 s9, s30
	s_cbranch_execz .LBB164_92
; %bb.91:
	v_sub_f32_e32 v11, v29, v9
	s_mov_b32 s30, 0x3e9b6dac
	s_delay_alu instid0(VALU_DEP_1) | instskip(NEXT) | instid1(VALU_DEP_1)
	v_mul_f32_e32 v12, 0x3fb8aa3b, v11
	v_fma_f32 v29, 0x3fb8aa3b, v11, -v12
	v_rndne_f32_e32 v30, v12
	s_delay_alu instid0(VALU_DEP_1) | instskip(SKIP_1) | instid1(VALU_DEP_4)
	v_sub_f32_e32 v12, v12, v30
	v_cmp_ngt_f32_e32 vcc_lo, 0xc2ce8ed0, v11
	v_fmamk_f32 v29, v11, 0x32a5705f, v29
	s_delay_alu instid0(VALU_DEP_1) | instskip(SKIP_1) | instid1(VALU_DEP_2)
	v_add_f32_e32 v12, v12, v29
	v_cvt_i32_f32_e32 v29, v30
	v_exp_f32_e32 v12, v12
	s_waitcnt_depctr 0xfff
	v_ldexp_f32 v12, v12, v29
	s_delay_alu instid0(VALU_DEP_1) | instskip(SKIP_1) | instid1(VALU_DEP_2)
	v_cndmask_b32_e32 v12, 0, v12, vcc_lo
	v_cmp_nlt_f32_e32 vcc_lo, 0x42b17218, v11
	v_cndmask_b32_e32 v29, 0x7f800000, v12, vcc_lo
	s_delay_alu instid0(VALU_DEP_1) | instskip(NEXT) | instid1(VALU_DEP_1)
	v_add_f32_e32 v30, 1.0, v29
	v_cvt_f64_f32_e32 v[11:12], v30
	s_delay_alu instid0(VALU_DEP_1) | instskip(SKIP_1) | instid1(VALU_DEP_1)
	v_frexp_exp_i32_f64_e32 v11, v[11:12]
	v_frexp_mant_f32_e32 v12, v30
	v_cmp_gt_f32_e32 vcc_lo, 0x3f2aaaab, v12
	v_add_f32_e32 v12, -1.0, v30
	s_delay_alu instid0(VALU_DEP_1) | instskip(SKIP_3) | instid1(VALU_DEP_2)
	v_sub_f32_e32 v32, v12, v30
	v_sub_f32_e32 v12, v29, v12
	v_subrev_co_ci_u32_e32 v11, vcc_lo, 0, v11, vcc_lo
	v_cmp_eq_f32_e32 vcc_lo, 0x7f800000, v29
	v_sub_nc_u32_e32 v31, 0, v11
	v_cvt_f32_i32_e32 v11, v11
	s_delay_alu instid0(VALU_DEP_2) | instskip(NEXT) | instid1(VALU_DEP_1)
	v_ldexp_f32 v30, v30, v31
	v_dual_add_f32 v33, 1.0, v30 :: v_dual_add_f32 v32, 1.0, v32
	s_delay_alu instid0(VALU_DEP_1) | instskip(NEXT) | instid1(VALU_DEP_2)
	v_add_f32_e32 v12, v12, v32
	v_add_f32_e32 v32, -1.0, v33
	s_delay_alu instid0(VALU_DEP_2) | instskip(NEXT) | instid1(VALU_DEP_2)
	v_ldexp_f32 v12, v12, v31
	v_dual_add_f32 v31, -1.0, v30 :: v_dual_sub_f32 v32, v30, v32
	s_delay_alu instid0(VALU_DEP_1) | instskip(NEXT) | instid1(VALU_DEP_2)
	v_add_f32_e32 v34, 1.0, v31
	v_add_f32_e32 v32, v12, v32
	s_delay_alu instid0(VALU_DEP_2) | instskip(NEXT) | instid1(VALU_DEP_2)
	v_sub_f32_e32 v30, v30, v34
	v_add_f32_e32 v34, v33, v32
	s_delay_alu instid0(VALU_DEP_2) | instskip(NEXT) | instid1(VALU_DEP_2)
	v_add_f32_e32 v12, v12, v30
	v_rcp_f32_e32 v30, v34
	v_sub_f32_e32 v33, v33, v34
	s_delay_alu instid0(VALU_DEP_1) | instskip(NEXT) | instid1(VALU_DEP_1)
	v_dual_add_f32 v35, v31, v12 :: v_dual_add_f32 v32, v32, v33
	v_sub_f32_e32 v31, v31, v35
	s_waitcnt_depctr 0xfff
	v_mul_f32_e32 v36, v35, v30
	s_delay_alu instid0(VALU_DEP_1) | instskip(NEXT) | instid1(VALU_DEP_1)
	v_dual_add_f32 v12, v12, v31 :: v_dual_mul_f32 v37, v34, v36
	v_fma_f32 v33, v36, v34, -v37
	s_delay_alu instid0(VALU_DEP_1) | instskip(NEXT) | instid1(VALU_DEP_1)
	v_fmac_f32_e32 v33, v36, v32
	v_add_f32_e32 v38, v37, v33
	s_delay_alu instid0(VALU_DEP_1) | instskip(SKIP_1) | instid1(VALU_DEP_2)
	v_sub_f32_e32 v39, v35, v38
	v_sub_f32_e32 v31, v38, v37
	v_sub_f32_e32 v35, v35, v39
	s_delay_alu instid0(VALU_DEP_2) | instskip(NEXT) | instid1(VALU_DEP_2)
	v_sub_f32_e32 v31, v31, v33
	v_sub_f32_e32 v35, v35, v38
	s_delay_alu instid0(VALU_DEP_1) | instskip(NEXT) | instid1(VALU_DEP_1)
	v_add_f32_e32 v12, v12, v35
	v_add_f32_e32 v12, v31, v12
	s_delay_alu instid0(VALU_DEP_1) | instskip(NEXT) | instid1(VALU_DEP_1)
	v_add_f32_e32 v31, v39, v12
	v_mul_f32_e32 v33, v30, v31
	s_delay_alu instid0(VALU_DEP_1) | instskip(NEXT) | instid1(VALU_DEP_1)
	v_dual_sub_f32 v38, v39, v31 :: v_dual_mul_f32 v35, v34, v33
	v_add_f32_e32 v12, v12, v38
	s_delay_alu instid0(VALU_DEP_2) | instskip(NEXT) | instid1(VALU_DEP_1)
	v_fma_f32 v34, v33, v34, -v35
	v_fmac_f32_e32 v34, v33, v32
	s_delay_alu instid0(VALU_DEP_1) | instskip(NEXT) | instid1(VALU_DEP_1)
	v_add_f32_e32 v32, v35, v34
	v_sub_f32_e32 v37, v31, v32
	v_sub_f32_e32 v35, v32, v35
	s_delay_alu instid0(VALU_DEP_2) | instskip(NEXT) | instid1(VALU_DEP_1)
	v_sub_f32_e32 v31, v31, v37
	v_sub_f32_e32 v31, v31, v32
	s_delay_alu instid0(VALU_DEP_3) | instskip(NEXT) | instid1(VALU_DEP_2)
	v_sub_f32_e32 v32, v35, v34
	v_add_f32_e32 v12, v12, v31
	v_add_f32_e32 v31, v36, v33
	s_delay_alu instid0(VALU_DEP_2) | instskip(NEXT) | instid1(VALU_DEP_2)
	v_add_f32_e32 v12, v32, v12
	v_sub_f32_e32 v32, v31, v36
	s_delay_alu instid0(VALU_DEP_2) | instskip(NEXT) | instid1(VALU_DEP_2)
	v_add_f32_e32 v12, v37, v12
	v_sub_f32_e32 v32, v33, v32
	s_delay_alu instid0(VALU_DEP_2) | instskip(NEXT) | instid1(VALU_DEP_1)
	v_mul_f32_e32 v12, v30, v12
	v_add_f32_e32 v12, v32, v12
	s_delay_alu instid0(VALU_DEP_1) | instskip(NEXT) | instid1(VALU_DEP_1)
	v_add_f32_e32 v30, v31, v12
	v_mul_f32_e32 v32, v30, v30
	s_delay_alu instid0(VALU_DEP_1) | instskip(SKIP_2) | instid1(VALU_DEP_3)
	v_fmaak_f32 v33, s30, v32, 0x3ecc95a3
	v_mul_f32_e32 v34, v30, v32
	v_cmp_gt_f32_e64 s30, 0x33800000, |v29|
	v_fmaak_f32 v32, v32, v33, 0x3f2aaada
	v_ldexp_f32 v33, v30, 1
	v_sub_f32_e32 v30, v30, v31
	s_delay_alu instid0(VALU_DEP_4) | instskip(NEXT) | instid1(VALU_DEP_3)
	s_or_b32 vcc_lo, vcc_lo, s30
	v_mul_f32_e32 v32, v34, v32
	v_mul_f32_e32 v34, 0x3f317218, v11
	s_delay_alu instid0(VALU_DEP_2) | instskip(NEXT) | instid1(VALU_DEP_1)
	v_dual_sub_f32 v12, v12, v30 :: v_dual_add_f32 v31, v33, v32
	v_ldexp_f32 v12, v12, 1
	s_delay_alu instid0(VALU_DEP_2) | instskip(NEXT) | instid1(VALU_DEP_4)
	v_sub_f32_e32 v30, v31, v33
	v_fma_f32 v33, 0x3f317218, v11, -v34
	s_delay_alu instid0(VALU_DEP_1) | instskip(NEXT) | instid1(VALU_DEP_1)
	v_dual_sub_f32 v30, v32, v30 :: v_dual_fmamk_f32 v11, v11, 0xb102e308, v33
	v_add_f32_e32 v12, v12, v30
	s_delay_alu instid0(VALU_DEP_2) | instskip(NEXT) | instid1(VALU_DEP_2)
	v_add_f32_e32 v30, v34, v11
	v_add_f32_e32 v32, v31, v12
	s_delay_alu instid0(VALU_DEP_2) | instskip(NEXT) | instid1(VALU_DEP_2)
	v_sub_f32_e32 v34, v30, v34
	v_add_f32_e32 v33, v30, v32
	v_sub_f32_e32 v31, v32, v31
	s_delay_alu instid0(VALU_DEP_3) | instskip(NEXT) | instid1(VALU_DEP_2)
	v_sub_f32_e32 v11, v11, v34
	v_dual_sub_f32 v35, v33, v30 :: v_dual_sub_f32 v12, v12, v31
	s_delay_alu instid0(VALU_DEP_1) | instskip(NEXT) | instid1(VALU_DEP_2)
	v_sub_f32_e32 v36, v33, v35
	v_dual_sub_f32 v31, v32, v35 :: v_dual_add_f32 v32, v11, v12
	s_delay_alu instid0(VALU_DEP_2) | instskip(NEXT) | instid1(VALU_DEP_1)
	v_sub_f32_e32 v30, v30, v36
	v_dual_add_f32 v30, v31, v30 :: v_dual_sub_f32 v31, v32, v11
	s_delay_alu instid0(VALU_DEP_1) | instskip(NEXT) | instid1(VALU_DEP_2)
	v_add_f32_e32 v30, v32, v30
	v_sub_f32_e32 v32, v32, v31
	v_sub_f32_e32 v12, v12, v31
	s_delay_alu instid0(VALU_DEP_2) | instskip(NEXT) | instid1(VALU_DEP_1)
	v_dual_add_f32 v34, v33, v30 :: v_dual_sub_f32 v11, v11, v32
	v_sub_f32_e32 v31, v34, v33
	s_delay_alu instid0(VALU_DEP_2) | instskip(NEXT) | instid1(VALU_DEP_2)
	v_add_f32_e32 v11, v12, v11
	v_sub_f32_e32 v12, v30, v31
	s_delay_alu instid0(VALU_DEP_1) | instskip(NEXT) | instid1(VALU_DEP_1)
	v_add_f32_e32 v11, v11, v12
	v_add_f32_e32 v11, v34, v11
	s_delay_alu instid0(VALU_DEP_1) | instskip(NEXT) | instid1(VALU_DEP_1)
	v_cndmask_b32_e32 v11, v11, v29, vcc_lo
	v_add_f32_e32 v11, v9, v11
.LBB164_92:
	s_or_b32 exec_lo, exec_lo, s9
	s_delay_alu instid0(VALU_DEP_1)
	v_mov_b32_e32 v9, v11
	v_mov_b32_e32 v12, v11
.LBB164_93:
	s_or_b32 exec_lo, exec_lo, s8
	v_cmp_gt_u32_e32 vcc_lo, 24, v23
	v_add_nc_u32_e32 v30, 8, v23
	s_mov_b32 s8, exec_lo
	s_waitcnt lgkmcnt(0)
	v_cndmask_b32_e64 v11, 0, 1, vcc_lo
	s_delay_alu instid0(VALU_DEP_1) | instskip(NEXT) | instid1(VALU_DEP_1)
	v_lshlrev_b32_e32 v11, 3, v11
	v_add_lshl_u32 v29, v11, v23, 2
	ds_bpermute_b32 v11, v29, v9
	v_cmpx_le_u32_e64 v30, v5
	s_cbranch_execz .LBB164_97
; %bb.94:
	v_max_f32_e32 v9, v12, v12
	s_waitcnt lgkmcnt(0)
	v_max_f32_e32 v31, v11, v11
	v_cmp_u_f32_e32 vcc_lo, v11, v11
	s_delay_alu instid0(VALU_DEP_2) | instskip(SKIP_1) | instid1(VALU_DEP_1)
	v_min_f32_e32 v32, v31, v9
	v_max_f32_e32 v9, v31, v9
	v_cndmask_b32_e32 v9, v9, v11, vcc_lo
	s_delay_alu instid0(VALU_DEP_3) | instskip(SKIP_1) | instid1(VALU_DEP_2)
	v_cndmask_b32_e32 v31, v32, v11, vcc_lo
	v_cmp_u_f32_e32 vcc_lo, v12, v12
	v_cndmask_b32_e32 v31, v31, v12, vcc_lo
	s_delay_alu instid0(VALU_DEP_4) | instskip(NEXT) | instid1(VALU_DEP_2)
	v_cndmask_b32_e32 v9, v9, v12, vcc_lo
	v_cmp_class_f32_e64 s9, v31, 0x1f8
	s_delay_alu instid0(VALU_DEP_2) | instskip(NEXT) | instid1(VALU_DEP_2)
	v_cmp_neq_f32_e32 vcc_lo, v31, v9
	s_or_b32 s30, vcc_lo, s9
	s_delay_alu instid0(SALU_CYCLE_1)
	s_and_saveexec_b32 s9, s30
	s_cbranch_execz .LBB164_96
; %bb.95:
	v_sub_f32_e32 v11, v31, v9
	s_mov_b32 s30, 0x3e9b6dac
	s_delay_alu instid0(VALU_DEP_1) | instskip(NEXT) | instid1(VALU_DEP_1)
	v_mul_f32_e32 v12, 0x3fb8aa3b, v11
	v_fma_f32 v31, 0x3fb8aa3b, v11, -v12
	v_rndne_f32_e32 v32, v12
	s_delay_alu instid0(VALU_DEP_1) | instskip(SKIP_1) | instid1(VALU_DEP_4)
	v_sub_f32_e32 v12, v12, v32
	v_cmp_ngt_f32_e32 vcc_lo, 0xc2ce8ed0, v11
	v_fmamk_f32 v31, v11, 0x32a5705f, v31
	s_delay_alu instid0(VALU_DEP_1) | instskip(SKIP_1) | instid1(VALU_DEP_2)
	v_add_f32_e32 v12, v12, v31
	v_cvt_i32_f32_e32 v31, v32
	v_exp_f32_e32 v12, v12
	s_waitcnt_depctr 0xfff
	v_ldexp_f32 v12, v12, v31
	s_delay_alu instid0(VALU_DEP_1) | instskip(SKIP_1) | instid1(VALU_DEP_2)
	v_cndmask_b32_e32 v12, 0, v12, vcc_lo
	v_cmp_nlt_f32_e32 vcc_lo, 0x42b17218, v11
	v_cndmask_b32_e32 v31, 0x7f800000, v12, vcc_lo
	s_delay_alu instid0(VALU_DEP_1) | instskip(NEXT) | instid1(VALU_DEP_1)
	v_add_f32_e32 v32, 1.0, v31
	v_cvt_f64_f32_e32 v[11:12], v32
	s_delay_alu instid0(VALU_DEP_1) | instskip(SKIP_1) | instid1(VALU_DEP_1)
	v_frexp_exp_i32_f64_e32 v11, v[11:12]
	v_frexp_mant_f32_e32 v12, v32
	v_cmp_gt_f32_e32 vcc_lo, 0x3f2aaaab, v12
	v_add_f32_e32 v12, -1.0, v32
	s_delay_alu instid0(VALU_DEP_1) | instskip(NEXT) | instid1(VALU_DEP_1)
	v_sub_f32_e32 v34, v12, v32
	v_add_f32_e32 v34, 1.0, v34
	v_sub_f32_e32 v12, v31, v12
	v_subrev_co_ci_u32_e32 v11, vcc_lo, 0, v11, vcc_lo
	v_cmp_eq_f32_e32 vcc_lo, 0x7f800000, v31
	s_delay_alu instid0(VALU_DEP_2) | instskip(SKIP_1) | instid1(VALU_DEP_2)
	v_sub_nc_u32_e32 v33, 0, v11
	v_cvt_f32_i32_e32 v11, v11
	v_ldexp_f32 v32, v32, v33
	s_delay_alu instid0(VALU_DEP_1) | instskip(NEXT) | instid1(VALU_DEP_1)
	v_dual_add_f32 v35, 1.0, v32 :: v_dual_add_f32 v12, v12, v34
	v_add_f32_e32 v34, -1.0, v35
	s_delay_alu instid0(VALU_DEP_2) | instskip(NEXT) | instid1(VALU_DEP_2)
	v_ldexp_f32 v12, v12, v33
	v_dual_add_f32 v33, -1.0, v32 :: v_dual_sub_f32 v34, v32, v34
	s_delay_alu instid0(VALU_DEP_1) | instskip(NEXT) | instid1(VALU_DEP_2)
	v_add_f32_e32 v36, 1.0, v33
	v_add_f32_e32 v34, v12, v34
	s_delay_alu instid0(VALU_DEP_2) | instskip(NEXT) | instid1(VALU_DEP_2)
	v_sub_f32_e32 v32, v32, v36
	v_add_f32_e32 v36, v35, v34
	s_delay_alu instid0(VALU_DEP_2) | instskip(NEXT) | instid1(VALU_DEP_2)
	v_add_f32_e32 v12, v12, v32
	v_rcp_f32_e32 v32, v36
	v_sub_f32_e32 v35, v35, v36
	s_delay_alu instid0(VALU_DEP_1) | instskip(NEXT) | instid1(VALU_DEP_1)
	v_dual_add_f32 v37, v33, v12 :: v_dual_add_f32 v34, v34, v35
	v_sub_f32_e32 v33, v33, v37
	s_waitcnt_depctr 0xfff
	v_mul_f32_e32 v38, v37, v32
	v_add_f32_e32 v12, v12, v33
	s_delay_alu instid0(VALU_DEP_2) | instskip(NEXT) | instid1(VALU_DEP_1)
	v_mul_f32_e32 v39, v36, v38
	v_fma_f32 v35, v38, v36, -v39
	s_delay_alu instid0(VALU_DEP_1) | instskip(NEXT) | instid1(VALU_DEP_1)
	v_fmac_f32_e32 v35, v38, v34
	v_add_f32_e32 v40, v39, v35
	s_delay_alu instid0(VALU_DEP_1) | instskip(SKIP_1) | instid1(VALU_DEP_2)
	v_sub_f32_e32 v41, v37, v40
	v_sub_f32_e32 v33, v40, v39
	;; [unrolled: 1-line block ×3, first 2 shown]
	s_delay_alu instid0(VALU_DEP_2) | instskip(NEXT) | instid1(VALU_DEP_2)
	v_sub_f32_e32 v33, v33, v35
	v_sub_f32_e32 v37, v37, v40
	s_delay_alu instid0(VALU_DEP_1) | instskip(NEXT) | instid1(VALU_DEP_1)
	v_add_f32_e32 v12, v12, v37
	v_add_f32_e32 v12, v33, v12
	s_delay_alu instid0(VALU_DEP_1) | instskip(NEXT) | instid1(VALU_DEP_1)
	v_add_f32_e32 v33, v41, v12
	v_mul_f32_e32 v35, v32, v33
	s_delay_alu instid0(VALU_DEP_1) | instskip(NEXT) | instid1(VALU_DEP_1)
	v_dual_sub_f32 v40, v41, v33 :: v_dual_mul_f32 v37, v36, v35
	v_add_f32_e32 v12, v12, v40
	s_delay_alu instid0(VALU_DEP_2) | instskip(NEXT) | instid1(VALU_DEP_1)
	v_fma_f32 v36, v35, v36, -v37
	v_fmac_f32_e32 v36, v35, v34
	s_delay_alu instid0(VALU_DEP_1) | instskip(NEXT) | instid1(VALU_DEP_1)
	v_add_f32_e32 v34, v37, v36
	v_sub_f32_e32 v39, v33, v34
	v_sub_f32_e32 v37, v34, v37
	s_delay_alu instid0(VALU_DEP_2) | instskip(NEXT) | instid1(VALU_DEP_1)
	v_sub_f32_e32 v33, v33, v39
	v_sub_f32_e32 v33, v33, v34
	s_delay_alu instid0(VALU_DEP_1) | instskip(NEXT) | instid1(VALU_DEP_4)
	v_dual_add_f32 v12, v12, v33 :: v_dual_add_f32 v33, v38, v35
	v_sub_f32_e32 v34, v37, v36
	s_delay_alu instid0(VALU_DEP_1) | instskip(NEXT) | instid1(VALU_DEP_3)
	v_add_f32_e32 v12, v34, v12
	v_sub_f32_e32 v34, v33, v38
	s_delay_alu instid0(VALU_DEP_2) | instskip(NEXT) | instid1(VALU_DEP_2)
	v_add_f32_e32 v12, v39, v12
	v_sub_f32_e32 v34, v35, v34
	s_delay_alu instid0(VALU_DEP_2) | instskip(NEXT) | instid1(VALU_DEP_1)
	v_mul_f32_e32 v12, v32, v12
	v_add_f32_e32 v12, v34, v12
	s_delay_alu instid0(VALU_DEP_1) | instskip(NEXT) | instid1(VALU_DEP_1)
	v_add_f32_e32 v32, v33, v12
	v_mul_f32_e32 v34, v32, v32
	s_delay_alu instid0(VALU_DEP_1) | instskip(SKIP_2) | instid1(VALU_DEP_3)
	v_fmaak_f32 v35, s30, v34, 0x3ecc95a3
	v_mul_f32_e32 v36, v32, v34
	v_cmp_gt_f32_e64 s30, 0x33800000, |v31|
	v_fmaak_f32 v34, v34, v35, 0x3f2aaada
	v_ldexp_f32 v35, v32, 1
	v_sub_f32_e32 v32, v32, v33
	s_delay_alu instid0(VALU_DEP_4) | instskip(NEXT) | instid1(VALU_DEP_3)
	s_or_b32 vcc_lo, vcc_lo, s30
	v_mul_f32_e32 v34, v36, v34
	v_mul_f32_e32 v36, 0x3f317218, v11
	s_delay_alu instid0(VALU_DEP_2) | instskip(NEXT) | instid1(VALU_DEP_1)
	v_dual_sub_f32 v12, v12, v32 :: v_dual_add_f32 v33, v35, v34
	v_ldexp_f32 v12, v12, 1
	s_delay_alu instid0(VALU_DEP_2) | instskip(NEXT) | instid1(VALU_DEP_4)
	v_sub_f32_e32 v32, v33, v35
	v_fma_f32 v35, 0x3f317218, v11, -v36
	s_delay_alu instid0(VALU_DEP_1) | instskip(NEXT) | instid1(VALU_DEP_1)
	v_dual_sub_f32 v32, v34, v32 :: v_dual_fmamk_f32 v11, v11, 0xb102e308, v35
	v_add_f32_e32 v12, v12, v32
	s_delay_alu instid0(VALU_DEP_2) | instskip(NEXT) | instid1(VALU_DEP_2)
	v_add_f32_e32 v32, v36, v11
	v_add_f32_e32 v34, v33, v12
	s_delay_alu instid0(VALU_DEP_2) | instskip(NEXT) | instid1(VALU_DEP_2)
	v_sub_f32_e32 v36, v32, v36
	v_add_f32_e32 v35, v32, v34
	v_sub_f32_e32 v33, v34, v33
	s_delay_alu instid0(VALU_DEP_3) | instskip(NEXT) | instid1(VALU_DEP_2)
	v_sub_f32_e32 v11, v11, v36
	v_dual_sub_f32 v37, v35, v32 :: v_dual_sub_f32 v12, v12, v33
	s_delay_alu instid0(VALU_DEP_1) | instskip(NEXT) | instid1(VALU_DEP_2)
	v_sub_f32_e32 v38, v35, v37
	v_dual_sub_f32 v33, v34, v37 :: v_dual_add_f32 v34, v11, v12
	s_delay_alu instid0(VALU_DEP_2) | instskip(NEXT) | instid1(VALU_DEP_1)
	v_sub_f32_e32 v32, v32, v38
	v_dual_add_f32 v32, v33, v32 :: v_dual_sub_f32 v33, v34, v11
	s_delay_alu instid0(VALU_DEP_1) | instskip(NEXT) | instid1(VALU_DEP_2)
	v_add_f32_e32 v32, v34, v32
	v_sub_f32_e32 v34, v34, v33
	v_sub_f32_e32 v12, v12, v33
	s_delay_alu instid0(VALU_DEP_3) | instskip(NEXT) | instid1(VALU_DEP_3)
	v_add_f32_e32 v36, v35, v32
	v_sub_f32_e32 v11, v11, v34
	s_delay_alu instid0(VALU_DEP_2) | instskip(NEXT) | instid1(VALU_DEP_2)
	v_sub_f32_e32 v33, v36, v35
	v_add_f32_e32 v11, v12, v11
	s_delay_alu instid0(VALU_DEP_2) | instskip(NEXT) | instid1(VALU_DEP_1)
	v_sub_f32_e32 v12, v32, v33
	v_add_f32_e32 v11, v11, v12
	s_delay_alu instid0(VALU_DEP_1) | instskip(NEXT) | instid1(VALU_DEP_1)
	v_add_f32_e32 v11, v36, v11
	v_cndmask_b32_e32 v11, v11, v31, vcc_lo
	s_delay_alu instid0(VALU_DEP_1)
	v_add_f32_e32 v11, v9, v11
.LBB164_96:
	s_or_b32 exec_lo, exec_lo, s9
	s_delay_alu instid0(VALU_DEP_1)
	v_mov_b32_e32 v9, v11
	v_mov_b32_e32 v12, v11
.LBB164_97:
	s_or_b32 exec_lo, exec_lo, s8
	v_cmp_gt_u32_e32 vcc_lo, 16, v23
	v_add_nc_u32_e32 v33, 16, v23
	s_mov_b32 s8, exec_lo
	s_waitcnt lgkmcnt(0)
	v_cndmask_b32_e64 v11, 0, 1, vcc_lo
	s_delay_alu instid0(VALU_DEP_1) | instskip(NEXT) | instid1(VALU_DEP_1)
	v_lshlrev_b32_e32 v11, 4, v11
	v_add_lshl_u32 v32, v11, v23, 2
	ds_bpermute_b32 v9, v32, v9
	v_cmpx_le_u32_e64 v33, v5
	s_cbranch_execz .LBB164_101
; %bb.98:
	v_max_f32_e32 v5, v12, v12
	s_waitcnt lgkmcnt(0)
	v_max_f32_e32 v11, v9, v9
	v_cmp_u_f32_e32 vcc_lo, v9, v9
	s_delay_alu instid0(VALU_DEP_2) | instskip(SKIP_1) | instid1(VALU_DEP_2)
	v_min_f32_e32 v31, v11, v5
	v_max_f32_e32 v5, v11, v5
	v_cndmask_b32_e32 v11, v31, v9, vcc_lo
	s_delay_alu instid0(VALU_DEP_2) | instskip(SKIP_1) | instid1(VALU_DEP_3)
	v_cndmask_b32_e32 v5, v5, v9, vcc_lo
	v_cmp_u_f32_e32 vcc_lo, v12, v12
	v_cndmask_b32_e32 v11, v11, v12, vcc_lo
	s_delay_alu instid0(VALU_DEP_3) | instskip(NEXT) | instid1(VALU_DEP_2)
	v_cndmask_b32_e32 v5, v5, v12, vcc_lo
	v_cmp_class_f32_e64 s9, v11, 0x1f8
	s_delay_alu instid0(VALU_DEP_2) | instskip(NEXT) | instid1(VALU_DEP_2)
	v_cmp_neq_f32_e32 vcc_lo, v11, v5
	s_or_b32 s30, vcc_lo, s9
	s_delay_alu instid0(SALU_CYCLE_1)
	s_and_saveexec_b32 s9, s30
	s_cbranch_execz .LBB164_100
; %bb.99:
	v_sub_f32_e32 v9, v11, v5
	s_mov_b32 s30, 0x3e9b6dac
	s_delay_alu instid0(VALU_DEP_1) | instskip(SKIP_1) | instid1(VALU_DEP_2)
	v_mul_f32_e32 v11, 0x3fb8aa3b, v9
	v_cmp_ngt_f32_e32 vcc_lo, 0xc2ce8ed0, v9
	v_fma_f32 v12, 0x3fb8aa3b, v9, -v11
	v_rndne_f32_e32 v31, v11
	s_delay_alu instid0(VALU_DEP_1) | instskip(NEXT) | instid1(VALU_DEP_1)
	v_dual_fmamk_f32 v12, v9, 0x32a5705f, v12 :: v_dual_sub_f32 v11, v11, v31
	v_add_f32_e32 v11, v11, v12
	v_cvt_i32_f32_e32 v12, v31
	s_delay_alu instid0(VALU_DEP_2) | instskip(SKIP_2) | instid1(VALU_DEP_1)
	v_exp_f32_e32 v11, v11
	s_waitcnt_depctr 0xfff
	v_ldexp_f32 v11, v11, v12
	v_cndmask_b32_e32 v11, 0, v11, vcc_lo
	v_cmp_nlt_f32_e32 vcc_lo, 0x42b17218, v9
	s_delay_alu instid0(VALU_DEP_2) | instskip(NEXT) | instid1(VALU_DEP_1)
	v_cndmask_b32_e32 v9, 0x7f800000, v11, vcc_lo
	v_add_f32_e32 v31, 1.0, v9
	s_delay_alu instid0(VALU_DEP_1) | instskip(NEXT) | instid1(VALU_DEP_1)
	v_cvt_f64_f32_e32 v[11:12], v31
	v_frexp_exp_i32_f64_e32 v11, v[11:12]
	v_frexp_mant_f32_e32 v12, v31
	s_delay_alu instid0(VALU_DEP_1) | instskip(SKIP_1) | instid1(VALU_DEP_1)
	v_cmp_gt_f32_e32 vcc_lo, 0x3f2aaaab, v12
	v_add_f32_e32 v12, -1.0, v31
	v_dual_sub_f32 v35, v12, v31 :: v_dual_sub_f32 v12, v9, v12
	s_delay_alu instid0(VALU_DEP_1) | instskip(NEXT) | instid1(VALU_DEP_1)
	v_add_f32_e32 v35, 1.0, v35
	v_add_f32_e32 v12, v12, v35
	v_subrev_co_ci_u32_e32 v11, vcc_lo, 0, v11, vcc_lo
	s_delay_alu instid0(VALU_DEP_1) | instskip(SKIP_1) | instid1(VALU_DEP_2)
	v_sub_nc_u32_e32 v34, 0, v11
	v_cvt_f32_i32_e32 v11, v11
	v_ldexp_f32 v31, v31, v34
	v_ldexp_f32 v12, v12, v34
	s_delay_alu instid0(VALU_DEP_2) | instskip(NEXT) | instid1(VALU_DEP_1)
	v_add_f32_e32 v36, 1.0, v31
	v_dual_add_f32 v34, -1.0, v31 :: v_dual_add_f32 v35, -1.0, v36
	s_delay_alu instid0(VALU_DEP_1) | instskip(NEXT) | instid1(VALU_DEP_2)
	v_add_f32_e32 v37, 1.0, v34
	v_sub_f32_e32 v35, v31, v35
	s_delay_alu instid0(VALU_DEP_2) | instskip(NEXT) | instid1(VALU_DEP_2)
	v_sub_f32_e32 v31, v31, v37
	v_add_f32_e32 v35, v12, v35
	s_delay_alu instid0(VALU_DEP_2) | instskip(NEXT) | instid1(VALU_DEP_1)
	v_add_f32_e32 v12, v12, v31
	v_dual_add_f32 v37, v36, v35 :: v_dual_add_f32 v38, v34, v12
	s_delay_alu instid0(VALU_DEP_1) | instskip(SKIP_2) | instid1(VALU_DEP_3)
	v_rcp_f32_e32 v31, v37
	v_sub_f32_e32 v36, v36, v37
	v_cmp_eq_f32_e32 vcc_lo, 0x7f800000, v9
	v_sub_f32_e32 v34, v34, v38
	s_delay_alu instid0(VALU_DEP_1) | instskip(SKIP_2) | instid1(VALU_DEP_1)
	v_dual_add_f32 v12, v12, v34 :: v_dual_add_f32 v35, v35, v36
	s_waitcnt_depctr 0xfff
	v_mul_f32_e32 v39, v38, v31
	v_mul_f32_e32 v40, v37, v39
	s_delay_alu instid0(VALU_DEP_1) | instskip(NEXT) | instid1(VALU_DEP_1)
	v_fma_f32 v36, v39, v37, -v40
	v_fmac_f32_e32 v36, v39, v35
	s_delay_alu instid0(VALU_DEP_1) | instskip(NEXT) | instid1(VALU_DEP_1)
	v_add_f32_e32 v41, v40, v36
	v_sub_f32_e32 v42, v38, v41
	v_sub_f32_e32 v34, v41, v40
	s_delay_alu instid0(VALU_DEP_2) | instskip(NEXT) | instid1(VALU_DEP_1)
	v_sub_f32_e32 v38, v38, v42
	v_sub_f32_e32 v38, v38, v41
	s_delay_alu instid0(VALU_DEP_1) | instskip(NEXT) | instid1(VALU_DEP_4)
	v_add_f32_e32 v12, v12, v38
	v_sub_f32_e32 v34, v34, v36
	s_delay_alu instid0(VALU_DEP_1) | instskip(NEXT) | instid1(VALU_DEP_1)
	v_add_f32_e32 v12, v34, v12
	v_add_f32_e32 v34, v42, v12
	s_delay_alu instid0(VALU_DEP_1) | instskip(NEXT) | instid1(VALU_DEP_1)
	v_mul_f32_e32 v36, v31, v34
	v_dual_sub_f32 v41, v42, v34 :: v_dual_mul_f32 v38, v37, v36
	s_delay_alu instid0(VALU_DEP_1) | instskip(NEXT) | instid1(VALU_DEP_2)
	v_add_f32_e32 v12, v12, v41
	v_fma_f32 v37, v36, v37, -v38
	s_delay_alu instid0(VALU_DEP_1) | instskip(NEXT) | instid1(VALU_DEP_1)
	v_fmac_f32_e32 v37, v36, v35
	v_add_f32_e32 v35, v38, v37
	s_delay_alu instid0(VALU_DEP_1) | instskip(NEXT) | instid1(VALU_DEP_1)
	v_sub_f32_e32 v40, v34, v35
	v_sub_f32_e32 v34, v34, v40
	s_delay_alu instid0(VALU_DEP_1) | instskip(NEXT) | instid1(VALU_DEP_1)
	v_sub_f32_e32 v34, v34, v35
	v_add_f32_e32 v12, v12, v34
	v_add_f32_e32 v34, v39, v36
	v_sub_f32_e32 v38, v35, v38
	s_delay_alu instid0(VALU_DEP_1) | instskip(NEXT) | instid1(VALU_DEP_1)
	v_sub_f32_e32 v35, v38, v37
	v_dual_add_f32 v12, v35, v12 :: v_dual_sub_f32 v35, v34, v39
	s_delay_alu instid0(VALU_DEP_1) | instskip(NEXT) | instid1(VALU_DEP_1)
	v_add_f32_e32 v12, v40, v12
	v_dual_sub_f32 v35, v36, v35 :: v_dual_mul_f32 v12, v31, v12
	s_delay_alu instid0(VALU_DEP_1) | instskip(NEXT) | instid1(VALU_DEP_1)
	v_add_f32_e32 v12, v35, v12
	v_add_f32_e32 v31, v34, v12
	s_delay_alu instid0(VALU_DEP_1) | instskip(NEXT) | instid1(VALU_DEP_1)
	v_mul_f32_e32 v35, v31, v31
	v_fmaak_f32 v36, s30, v35, 0x3ecc95a3
	v_mul_f32_e32 v37, v31, v35
	v_cmp_gt_f32_e64 s30, 0x33800000, |v9|
	s_delay_alu instid0(VALU_DEP_3) | instskip(SKIP_1) | instid1(VALU_DEP_3)
	v_fmaak_f32 v35, v35, v36, 0x3f2aaada
	v_ldexp_f32 v36, v31, 1
	s_or_b32 vcc_lo, vcc_lo, s30
	s_delay_alu instid0(VALU_DEP_2) | instskip(SKIP_1) | instid1(VALU_DEP_2)
	v_mul_f32_e32 v35, v37, v35
	v_mul_f32_e32 v37, 0x3f317218, v11
	v_dual_sub_f32 v31, v31, v34 :: v_dual_add_f32 v34, v36, v35
	s_delay_alu instid0(VALU_DEP_1) | instskip(NEXT) | instid1(VALU_DEP_3)
	v_dual_sub_f32 v12, v12, v31 :: v_dual_sub_f32 v31, v34, v36
	v_fma_f32 v36, 0x3f317218, v11, -v37
	s_delay_alu instid0(VALU_DEP_2) | instskip(NEXT) | instid1(VALU_DEP_3)
	v_ldexp_f32 v12, v12, 1
	v_sub_f32_e32 v31, v35, v31
	s_delay_alu instid0(VALU_DEP_1) | instskip(NEXT) | instid1(VALU_DEP_1)
	v_dual_fmamk_f32 v11, v11, 0xb102e308, v36 :: v_dual_add_f32 v12, v12, v31
	v_add_f32_e32 v31, v37, v11
	s_delay_alu instid0(VALU_DEP_1) | instskip(NEXT) | instid1(VALU_DEP_1)
	v_sub_f32_e32 v37, v31, v37
	v_sub_f32_e32 v11, v11, v37
	s_delay_alu instid0(VALU_DEP_4) | instskip(NEXT) | instid1(VALU_DEP_1)
	v_add_f32_e32 v35, v34, v12
	v_add_f32_e32 v36, v31, v35
	s_delay_alu instid0(VALU_DEP_1) | instskip(SKIP_1) | instid1(VALU_DEP_2)
	v_sub_f32_e32 v38, v36, v31
	v_sub_f32_e32 v34, v35, v34
	;; [unrolled: 1-line block ×3, first 2 shown]
	s_delay_alu instid0(VALU_DEP_2) | instskip(SKIP_1) | instid1(VALU_DEP_3)
	v_sub_f32_e32 v12, v12, v34
	v_sub_f32_e32 v34, v35, v38
	;; [unrolled: 1-line block ×3, first 2 shown]
	s_delay_alu instid0(VALU_DEP_3) | instskip(NEXT) | instid1(VALU_DEP_2)
	v_add_f32_e32 v35, v11, v12
	v_add_f32_e32 v31, v34, v31
	s_delay_alu instid0(VALU_DEP_2) | instskip(NEXT) | instid1(VALU_DEP_2)
	v_sub_f32_e32 v34, v35, v11
	v_add_f32_e32 v31, v35, v31
	s_delay_alu instid0(VALU_DEP_2) | instskip(SKIP_1) | instid1(VALU_DEP_3)
	v_sub_f32_e32 v35, v35, v34
	v_sub_f32_e32 v12, v12, v34
	v_add_f32_e32 v37, v36, v31
	s_delay_alu instid0(VALU_DEP_1) | instskip(NEXT) | instid1(VALU_DEP_1)
	v_dual_sub_f32 v11, v11, v35 :: v_dual_sub_f32 v34, v37, v36
	v_dual_add_f32 v11, v12, v11 :: v_dual_sub_f32 v12, v31, v34
	s_delay_alu instid0(VALU_DEP_1) | instskip(NEXT) | instid1(VALU_DEP_1)
	v_add_f32_e32 v11, v11, v12
	v_add_f32_e32 v11, v37, v11
	s_delay_alu instid0(VALU_DEP_1) | instskip(NEXT) | instid1(VALU_DEP_1)
	v_cndmask_b32_e32 v9, v11, v9, vcc_lo
	v_add_f32_e32 v9, v5, v9
.LBB164_100:
	s_or_b32 exec_lo, exec_lo, s9
	s_delay_alu instid0(VALU_DEP_1)
	v_mov_b32_e32 v12, v9
.LBB164_101:
	s_or_b32 exec_lo, exec_lo, s8
	v_mov_b32_e32 v5, 0
	s_mov_b32 s8, 0x3e9b6dac
	s_branch .LBB164_103
.LBB164_102:                            ;   in Loop: Header=BB164_103 Depth=1
	s_or_b32 exec_lo, exec_lo, s9
	v_subrev_nc_u32_e32 v4, 32, v4
.LBB164_103:                            ; =>This Loop Header: Depth=1
                                        ;     Child Loop BB164_106 Depth 2
	s_waitcnt lgkmcnt(0)
	v_and_b32_e32 v9, 0xff, v10
	v_mov_b32_e32 v31, v12
	s_delay_alu instid0(VALU_DEP_2) | instskip(SKIP_2) | instid1(VALU_DEP_1)
	v_cmp_ne_u16_e32 vcc_lo, 2, v9
	v_cndmask_b32_e64 v9, 0, 1, vcc_lo
	;;#ASMSTART
	;;#ASMEND
	v_cmp_ne_u32_e32 vcc_lo, 0, v9
	s_cmp_lg_u32 vcc_lo, exec_lo
	s_cbranch_scc1 .LBB164_130
; %bb.104:                              ;   in Loop: Header=BB164_103 Depth=1
	v_lshlrev_b64 v[9:10], 3, v[4:5]
	s_mov_b32 s9, exec_lo
	s_delay_alu instid0(VALU_DEP_1) | instskip(NEXT) | instid1(VALU_DEP_2)
	v_add_co_u32 v11, vcc_lo, s10, v9
	v_add_co_ci_u32_e32 v12, vcc_lo, s11, v10, vcc_lo
	global_load_b64 v[9:10], v[11:12], off glc
	s_waitcnt vmcnt(0)
	v_and_b32_e32 v34, 0xff, v10
	s_delay_alu instid0(VALU_DEP_1)
	v_cmpx_eq_u16_e32 0, v34
	s_cbranch_execz .LBB164_108
; %bb.105:                              ;   in Loop: Header=BB164_103 Depth=1
	s_mov_b32 s30, 0
.LBB164_106:                            ;   Parent Loop BB164_103 Depth=1
                                        ; =>  This Inner Loop Header: Depth=2
	global_load_b64 v[9:10], v[11:12], off glc
	s_waitcnt vmcnt(0)
	v_and_b32_e32 v34, 0xff, v10
	s_delay_alu instid0(VALU_DEP_1) | instskip(SKIP_1) | instid1(SALU_CYCLE_1)
	v_cmp_ne_u16_e32 vcc_lo, 0, v34
	s_or_b32 s30, vcc_lo, s30
	s_and_not1_b32 exec_lo, exec_lo, s30
	s_cbranch_execnz .LBB164_106
; %bb.107:                              ;   in Loop: Header=BB164_103 Depth=1
	s_or_b32 exec_lo, exec_lo, s30
.LBB164_108:                            ;   in Loop: Header=BB164_103 Depth=1
	s_delay_alu instid0(SALU_CYCLE_1)
	s_or_b32 exec_lo, exec_lo, s9
	v_dual_mov_b32 v12, v9 :: v_dual_and_b32 v11, 0xff, v10
	ds_bpermute_b32 v34, v6, v9
	s_mov_b32 s9, exec_lo
	v_cmp_eq_u16_e32 vcc_lo, 2, v11
	v_and_or_b32 v11, vcc_lo, v24, 0x80000000
	s_delay_alu instid0(VALU_DEP_1) | instskip(NEXT) | instid1(VALU_DEP_1)
	v_ctz_i32_b32_e32 v11, v11
	v_cmpx_lt_u32_e64 v23, v11
	s_cbranch_execz .LBB164_112
; %bb.109:                              ;   in Loop: Header=BB164_103 Depth=1
	s_waitcnt lgkmcnt(0)
	v_dual_max_f32 v12, v9, v9 :: v_dual_max_f32 v35, v34, v34
	v_cmp_u_f32_e32 vcc_lo, v34, v34
	s_delay_alu instid0(VALU_DEP_2) | instskip(NEXT) | instid1(VALU_DEP_1)
	v_min_f32_e32 v36, v35, v12
	v_dual_max_f32 v12, v35, v12 :: v_dual_cndmask_b32 v35, v36, v34
	s_delay_alu instid0(VALU_DEP_1) | instskip(SKIP_1) | instid1(VALU_DEP_3)
	v_cndmask_b32_e32 v36, v12, v34, vcc_lo
	v_cmp_u_f32_e32 vcc_lo, v9, v9
	v_cndmask_b32_e32 v12, v35, v9, vcc_lo
	s_delay_alu instid0(VALU_DEP_3) | instskip(NEXT) | instid1(VALU_DEP_2)
	v_cndmask_b32_e32 v9, v36, v9, vcc_lo
	v_cmp_class_f32_e64 s30, v12, 0x1f8
	s_delay_alu instid0(VALU_DEP_2) | instskip(NEXT) | instid1(VALU_DEP_2)
	v_cmp_neq_f32_e32 vcc_lo, v12, v9
	s_or_b32 s31, vcc_lo, s30
	s_delay_alu instid0(SALU_CYCLE_1)
	s_and_saveexec_b32 s30, s31
	s_cbranch_execz .LBB164_111
; %bb.110:                              ;   in Loop: Header=BB164_103 Depth=1
	v_sub_f32_e32 v12, v12, v9
	s_delay_alu instid0(VALU_DEP_1) | instskip(SKIP_1) | instid1(VALU_DEP_2)
	v_mul_f32_e32 v34, 0x3fb8aa3b, v12
	v_cmp_ngt_f32_e32 vcc_lo, 0xc2ce8ed0, v12
	v_fma_f32 v35, 0x3fb8aa3b, v12, -v34
	v_rndne_f32_e32 v36, v34
	s_delay_alu instid0(VALU_DEP_2) | instskip(NEXT) | instid1(VALU_DEP_2)
	v_fmac_f32_e32 v35, 0x32a5705f, v12
	v_sub_f32_e32 v34, v34, v36
	s_delay_alu instid0(VALU_DEP_1) | instskip(SKIP_1) | instid1(VALU_DEP_2)
	v_add_f32_e32 v34, v34, v35
	v_cvt_i32_f32_e32 v35, v36
	v_exp_f32_e32 v34, v34
	s_waitcnt_depctr 0xfff
	v_ldexp_f32 v34, v34, v35
	s_delay_alu instid0(VALU_DEP_1) | instskip(SKIP_1) | instid1(VALU_DEP_2)
	v_cndmask_b32_e32 v34, 0, v34, vcc_lo
	v_cmp_nlt_f32_e32 vcc_lo, 0x42b17218, v12
	v_cndmask_b32_e32 v12, 0x7f800000, v34, vcc_lo
	s_delay_alu instid0(VALU_DEP_1) | instskip(NEXT) | instid1(VALU_DEP_1)
	v_add_f32_e32 v36, 1.0, v12
	v_cvt_f64_f32_e32 v[34:35], v36
	s_delay_alu instid0(VALU_DEP_1) | instskip(SKIP_1) | instid1(VALU_DEP_1)
	v_frexp_exp_i32_f64_e32 v34, v[34:35]
	v_frexp_mant_f32_e32 v35, v36
	v_cmp_gt_f32_e32 vcc_lo, 0x3f2aaaab, v35
	v_add_f32_e32 v35, -1.0, v36
	s_delay_alu instid0(VALU_DEP_1) | instskip(NEXT) | instid1(VALU_DEP_1)
	v_dual_sub_f32 v38, v35, v36 :: v_dual_sub_f32 v35, v12, v35
	v_add_f32_e32 v38, 1.0, v38
	s_delay_alu instid0(VALU_DEP_1) | instskip(SKIP_1) | instid1(VALU_DEP_1)
	v_add_f32_e32 v35, v35, v38
	v_subrev_co_ci_u32_e32 v34, vcc_lo, 0, v34, vcc_lo
	v_sub_nc_u32_e32 v37, 0, v34
	v_cvt_f32_i32_e32 v34, v34
	s_delay_alu instid0(VALU_DEP_2) | instskip(SKIP_1) | instid1(VALU_DEP_2)
	v_ldexp_f32 v36, v36, v37
	v_ldexp_f32 v35, v35, v37
	v_add_f32_e32 v39, 1.0, v36
	v_add_f32_e32 v37, -1.0, v36
	v_cmp_eq_f32_e32 vcc_lo, 0x7f800000, v12
	v_cmp_gt_f32_e64 s31, 0x33800000, |v12|
	s_delay_alu instid0(VALU_DEP_4) | instskip(NEXT) | instid1(VALU_DEP_4)
	v_add_f32_e32 v38, -1.0, v39
	v_add_f32_e32 v40, 1.0, v37
	s_delay_alu instid0(VALU_DEP_3) | instskip(NEXT) | instid1(VALU_DEP_2)
	s_or_b32 vcc_lo, vcc_lo, s31
	v_sub_f32_e32 v38, v36, v38
	s_delay_alu instid0(VALU_DEP_2) | instskip(NEXT) | instid1(VALU_DEP_2)
	v_sub_f32_e32 v36, v36, v40
	v_add_f32_e32 v38, v35, v38
	s_delay_alu instid0(VALU_DEP_2) | instskip(NEXT) | instid1(VALU_DEP_1)
	v_add_f32_e32 v35, v35, v36
	v_add_f32_e32 v41, v37, v35
	s_delay_alu instid0(VALU_DEP_1) | instskip(NEXT) | instid1(VALU_DEP_1)
	v_dual_sub_f32 v37, v37, v41 :: v_dual_add_f32 v40, v39, v38
	v_add_f32_e32 v35, v35, v37
	s_delay_alu instid0(VALU_DEP_2) | instskip(SKIP_1) | instid1(VALU_DEP_1)
	v_rcp_f32_e32 v36, v40
	v_sub_f32_e32 v39, v39, v40
	v_add_f32_e32 v38, v38, v39
	s_waitcnt_depctr 0xfff
	v_mul_f32_e32 v42, v41, v36
	s_delay_alu instid0(VALU_DEP_1) | instskip(NEXT) | instid1(VALU_DEP_1)
	v_mul_f32_e32 v43, v40, v42
	v_fma_f32 v39, v42, v40, -v43
	s_delay_alu instid0(VALU_DEP_1) | instskip(NEXT) | instid1(VALU_DEP_1)
	v_fmac_f32_e32 v39, v42, v38
	v_add_f32_e32 v44, v43, v39
	s_delay_alu instid0(VALU_DEP_1) | instskip(SKIP_1) | instid1(VALU_DEP_2)
	v_sub_f32_e32 v45, v41, v44
	v_sub_f32_e32 v37, v44, v43
	;; [unrolled: 1-line block ×3, first 2 shown]
	s_delay_alu instid0(VALU_DEP_1) | instskip(NEXT) | instid1(VALU_DEP_3)
	v_sub_f32_e32 v41, v41, v44
	v_sub_f32_e32 v37, v37, v39
	s_delay_alu instid0(VALU_DEP_2) | instskip(NEXT) | instid1(VALU_DEP_1)
	v_add_f32_e32 v35, v35, v41
	v_add_f32_e32 v35, v37, v35
	s_delay_alu instid0(VALU_DEP_1) | instskip(NEXT) | instid1(VALU_DEP_1)
	v_add_f32_e32 v37, v45, v35
	v_mul_f32_e32 v39, v36, v37
	s_delay_alu instid0(VALU_DEP_1) | instskip(NEXT) | instid1(VALU_DEP_1)
	v_dual_sub_f32 v44, v45, v37 :: v_dual_mul_f32 v41, v40, v39
	v_add_f32_e32 v35, v35, v44
	s_delay_alu instid0(VALU_DEP_2) | instskip(NEXT) | instid1(VALU_DEP_1)
	v_fma_f32 v40, v39, v40, -v41
	v_fmac_f32_e32 v40, v39, v38
	s_delay_alu instid0(VALU_DEP_1) | instskip(NEXT) | instid1(VALU_DEP_1)
	v_add_f32_e32 v38, v41, v40
	v_sub_f32_e32 v43, v37, v38
	s_delay_alu instid0(VALU_DEP_1) | instskip(NEXT) | instid1(VALU_DEP_1)
	v_sub_f32_e32 v37, v37, v43
	v_sub_f32_e32 v37, v37, v38
	s_delay_alu instid0(VALU_DEP_1) | instskip(SKIP_2) | instid1(VALU_DEP_1)
	v_add_f32_e32 v35, v35, v37
	v_add_f32_e32 v37, v42, v39
	v_sub_f32_e32 v41, v38, v41
	v_sub_f32_e32 v38, v41, v40
	s_delay_alu instid0(VALU_DEP_1) | instskip(NEXT) | instid1(VALU_DEP_1)
	v_dual_add_f32 v35, v38, v35 :: v_dual_sub_f32 v38, v37, v42
	v_add_f32_e32 v35, v43, v35
	s_delay_alu instid0(VALU_DEP_1) | instskip(NEXT) | instid1(VALU_DEP_1)
	v_dual_sub_f32 v38, v39, v38 :: v_dual_mul_f32 v35, v36, v35
	v_add_f32_e32 v35, v38, v35
	s_delay_alu instid0(VALU_DEP_1) | instskip(NEXT) | instid1(VALU_DEP_1)
	v_add_f32_e32 v36, v37, v35
	v_mul_f32_e32 v38, v36, v36
	s_delay_alu instid0(VALU_DEP_1) | instskip(SKIP_1) | instid1(VALU_DEP_2)
	v_fmaak_f32 v39, s8, v38, 0x3ecc95a3
	v_mul_f32_e32 v40, v36, v38
	v_fmaak_f32 v38, v38, v39, 0x3f2aaada
	v_ldexp_f32 v39, v36, 1
	s_delay_alu instid0(VALU_DEP_2) | instskip(SKIP_1) | instid1(VALU_DEP_2)
	v_mul_f32_e32 v38, v40, v38
	v_mul_f32_e32 v40, 0x3f317218, v34
	v_dual_sub_f32 v36, v36, v37 :: v_dual_add_f32 v37, v39, v38
	s_delay_alu instid0(VALU_DEP_1) | instskip(NEXT) | instid1(VALU_DEP_3)
	v_dual_sub_f32 v35, v35, v36 :: v_dual_sub_f32 v36, v37, v39
	v_fma_f32 v39, 0x3f317218, v34, -v40
	s_delay_alu instid0(VALU_DEP_2) | instskip(NEXT) | instid1(VALU_DEP_2)
	v_ldexp_f32 v35, v35, 1
	v_dual_sub_f32 v36, v38, v36 :: v_dual_fmac_f32 v39, 0xb102e308, v34
	s_delay_alu instid0(VALU_DEP_1) | instskip(NEXT) | instid1(VALU_DEP_1)
	v_dual_add_f32 v34, v35, v36 :: v_dual_add_f32 v35, v40, v39
	v_add_f32_e32 v36, v37, v34
	s_delay_alu instid0(VALU_DEP_1) | instskip(NEXT) | instid1(VALU_DEP_1)
	v_add_f32_e32 v38, v35, v36
	v_sub_f32_e32 v41, v38, v35
	s_delay_alu instid0(VALU_DEP_1) | instskip(SKIP_1) | instid1(VALU_DEP_1)
	v_sub_f32_e32 v42, v38, v41
	v_sub_f32_e32 v37, v36, v37
	;; [unrolled: 1-line block ×4, first 2 shown]
	s_delay_alu instid0(VALU_DEP_1) | instskip(NEXT) | instid1(VALU_DEP_1)
	v_dual_sub_f32 v36, v36, v41 :: v_dual_sub_f32 v39, v39, v40
	v_add_f32_e32 v37, v39, v34
	v_sub_f32_e32 v35, v35, v42
	s_delay_alu instid0(VALU_DEP_1) | instskip(NEXT) | instid1(VALU_DEP_3)
	v_add_f32_e32 v35, v36, v35
	v_sub_f32_e32 v36, v37, v39
	s_delay_alu instid0(VALU_DEP_1) | instskip(NEXT) | instid1(VALU_DEP_1)
	v_dual_sub_f32 v34, v34, v36 :: v_dual_add_f32 v35, v37, v35
	v_dual_sub_f32 v37, v37, v36 :: v_dual_add_f32 v40, v38, v35
	s_delay_alu instid0(VALU_DEP_1) | instskip(NEXT) | instid1(VALU_DEP_1)
	v_dual_sub_f32 v36, v40, v38 :: v_dual_sub_f32 v37, v39, v37
	v_dual_sub_f32 v35, v35, v36 :: v_dual_add_f32 v34, v34, v37
	s_delay_alu instid0(VALU_DEP_1) | instskip(NEXT) | instid1(VALU_DEP_1)
	v_add_f32_e32 v34, v34, v35
	v_add_f32_e32 v34, v40, v34
	s_delay_alu instid0(VALU_DEP_1) | instskip(NEXT) | instid1(VALU_DEP_1)
	v_cndmask_b32_e32 v12, v34, v12, vcc_lo
	v_add_f32_e32 v34, v9, v12
.LBB164_111:                            ;   in Loop: Header=BB164_103 Depth=1
	s_or_b32 exec_lo, exec_lo, s30
	s_delay_alu instid0(VALU_DEP_1)
	v_mov_b32_e32 v9, v34
	v_mov_b32_e32 v12, v34
.LBB164_112:                            ;   in Loop: Header=BB164_103 Depth=1
	s_or_b32 exec_lo, exec_lo, s9
	s_waitcnt lgkmcnt(0)
	ds_bpermute_b32 v34, v25, v9
	s_mov_b32 s9, exec_lo
	v_cmpx_le_u32_e64 v26, v11
	s_cbranch_execz .LBB164_116
; %bb.113:                              ;   in Loop: Header=BB164_103 Depth=1
	v_max_f32_e32 v9, v12, v12
	s_waitcnt lgkmcnt(0)
	v_max_f32_e32 v35, v34, v34
	v_cmp_u_f32_e32 vcc_lo, v34, v34
	s_delay_alu instid0(VALU_DEP_2) | instskip(SKIP_1) | instid1(VALU_DEP_1)
	v_min_f32_e32 v36, v35, v9
	v_max_f32_e32 v9, v35, v9
	v_cndmask_b32_e32 v9, v9, v34, vcc_lo
	s_delay_alu instid0(VALU_DEP_3) | instskip(SKIP_1) | instid1(VALU_DEP_2)
	v_cndmask_b32_e32 v35, v36, v34, vcc_lo
	v_cmp_u_f32_e32 vcc_lo, v12, v12
	v_cndmask_b32_e32 v35, v35, v12, vcc_lo
	s_delay_alu instid0(VALU_DEP_4) | instskip(NEXT) | instid1(VALU_DEP_2)
	v_cndmask_b32_e32 v9, v9, v12, vcc_lo
	v_cmp_class_f32_e64 s30, v35, 0x1f8
	s_delay_alu instid0(VALU_DEP_2) | instskip(NEXT) | instid1(VALU_DEP_2)
	v_cmp_neq_f32_e32 vcc_lo, v35, v9
	s_or_b32 s31, vcc_lo, s30
	s_delay_alu instid0(SALU_CYCLE_1)
	s_and_saveexec_b32 s30, s31
	s_cbranch_execz .LBB164_115
; %bb.114:                              ;   in Loop: Header=BB164_103 Depth=1
	v_sub_f32_e32 v12, v35, v9
	s_delay_alu instid0(VALU_DEP_1) | instskip(SKIP_1) | instid1(VALU_DEP_2)
	v_mul_f32_e32 v34, 0x3fb8aa3b, v12
	v_cmp_ngt_f32_e32 vcc_lo, 0xc2ce8ed0, v12
	v_fma_f32 v35, 0x3fb8aa3b, v12, -v34
	v_rndne_f32_e32 v36, v34
	s_delay_alu instid0(VALU_DEP_2) | instskip(NEXT) | instid1(VALU_DEP_2)
	v_fmac_f32_e32 v35, 0x32a5705f, v12
	v_sub_f32_e32 v34, v34, v36
	s_delay_alu instid0(VALU_DEP_1) | instskip(SKIP_1) | instid1(VALU_DEP_2)
	v_add_f32_e32 v34, v34, v35
	v_cvt_i32_f32_e32 v35, v36
	v_exp_f32_e32 v34, v34
	s_waitcnt_depctr 0xfff
	v_ldexp_f32 v34, v34, v35
	s_delay_alu instid0(VALU_DEP_1) | instskip(SKIP_1) | instid1(VALU_DEP_2)
	v_cndmask_b32_e32 v34, 0, v34, vcc_lo
	v_cmp_nlt_f32_e32 vcc_lo, 0x42b17218, v12
	v_cndmask_b32_e32 v12, 0x7f800000, v34, vcc_lo
	s_delay_alu instid0(VALU_DEP_1) | instskip(NEXT) | instid1(VALU_DEP_1)
	v_add_f32_e32 v36, 1.0, v12
	v_cvt_f64_f32_e32 v[34:35], v36
	s_delay_alu instid0(VALU_DEP_1) | instskip(SKIP_1) | instid1(VALU_DEP_1)
	v_frexp_exp_i32_f64_e32 v34, v[34:35]
	v_frexp_mant_f32_e32 v35, v36
	v_cmp_gt_f32_e32 vcc_lo, 0x3f2aaaab, v35
	v_add_f32_e32 v35, -1.0, v36
	s_delay_alu instid0(VALU_DEP_1) | instskip(NEXT) | instid1(VALU_DEP_1)
	v_dual_sub_f32 v38, v35, v36 :: v_dual_sub_f32 v35, v12, v35
	v_add_f32_e32 v38, 1.0, v38
	s_delay_alu instid0(VALU_DEP_1) | instskip(SKIP_1) | instid1(VALU_DEP_1)
	v_add_f32_e32 v35, v35, v38
	v_subrev_co_ci_u32_e32 v34, vcc_lo, 0, v34, vcc_lo
	v_sub_nc_u32_e32 v37, 0, v34
	v_cvt_f32_i32_e32 v34, v34
	s_delay_alu instid0(VALU_DEP_2) | instskip(SKIP_1) | instid1(VALU_DEP_2)
	v_ldexp_f32 v36, v36, v37
	v_ldexp_f32 v35, v35, v37
	v_add_f32_e32 v39, 1.0, v36
	v_add_f32_e32 v37, -1.0, v36
	v_cmp_eq_f32_e32 vcc_lo, 0x7f800000, v12
	v_cmp_gt_f32_e64 s31, 0x33800000, |v12|
	s_delay_alu instid0(VALU_DEP_4) | instskip(NEXT) | instid1(VALU_DEP_4)
	v_add_f32_e32 v38, -1.0, v39
	v_add_f32_e32 v40, 1.0, v37
	s_delay_alu instid0(VALU_DEP_3) | instskip(NEXT) | instid1(VALU_DEP_2)
	s_or_b32 vcc_lo, vcc_lo, s31
	v_sub_f32_e32 v38, v36, v38
	s_delay_alu instid0(VALU_DEP_2) | instskip(NEXT) | instid1(VALU_DEP_2)
	v_sub_f32_e32 v36, v36, v40
	v_add_f32_e32 v38, v35, v38
	s_delay_alu instid0(VALU_DEP_2) | instskip(NEXT) | instid1(VALU_DEP_1)
	v_add_f32_e32 v35, v35, v36
	v_add_f32_e32 v41, v37, v35
	s_delay_alu instid0(VALU_DEP_1) | instskip(NEXT) | instid1(VALU_DEP_1)
	v_dual_sub_f32 v37, v37, v41 :: v_dual_add_f32 v40, v39, v38
	v_add_f32_e32 v35, v35, v37
	s_delay_alu instid0(VALU_DEP_2) | instskip(SKIP_1) | instid1(VALU_DEP_1)
	v_rcp_f32_e32 v36, v40
	v_sub_f32_e32 v39, v39, v40
	v_add_f32_e32 v38, v38, v39
	s_waitcnt_depctr 0xfff
	v_mul_f32_e32 v42, v41, v36
	s_delay_alu instid0(VALU_DEP_1) | instskip(NEXT) | instid1(VALU_DEP_1)
	v_mul_f32_e32 v43, v40, v42
	v_fma_f32 v39, v42, v40, -v43
	s_delay_alu instid0(VALU_DEP_1) | instskip(NEXT) | instid1(VALU_DEP_1)
	v_fmac_f32_e32 v39, v42, v38
	v_add_f32_e32 v44, v43, v39
	s_delay_alu instid0(VALU_DEP_1) | instskip(SKIP_1) | instid1(VALU_DEP_2)
	v_sub_f32_e32 v45, v41, v44
	v_sub_f32_e32 v37, v44, v43
	;; [unrolled: 1-line block ×3, first 2 shown]
	s_delay_alu instid0(VALU_DEP_1) | instskip(NEXT) | instid1(VALU_DEP_3)
	v_sub_f32_e32 v41, v41, v44
	v_sub_f32_e32 v37, v37, v39
	s_delay_alu instid0(VALU_DEP_2) | instskip(NEXT) | instid1(VALU_DEP_1)
	v_add_f32_e32 v35, v35, v41
	v_add_f32_e32 v35, v37, v35
	s_delay_alu instid0(VALU_DEP_1) | instskip(NEXT) | instid1(VALU_DEP_1)
	v_add_f32_e32 v37, v45, v35
	v_mul_f32_e32 v39, v36, v37
	s_delay_alu instid0(VALU_DEP_1) | instskip(NEXT) | instid1(VALU_DEP_1)
	v_dual_sub_f32 v44, v45, v37 :: v_dual_mul_f32 v41, v40, v39
	v_add_f32_e32 v35, v35, v44
	s_delay_alu instid0(VALU_DEP_2) | instskip(NEXT) | instid1(VALU_DEP_1)
	v_fma_f32 v40, v39, v40, -v41
	v_fmac_f32_e32 v40, v39, v38
	s_delay_alu instid0(VALU_DEP_1) | instskip(NEXT) | instid1(VALU_DEP_1)
	v_add_f32_e32 v38, v41, v40
	v_sub_f32_e32 v43, v37, v38
	s_delay_alu instid0(VALU_DEP_1) | instskip(NEXT) | instid1(VALU_DEP_1)
	v_sub_f32_e32 v37, v37, v43
	v_sub_f32_e32 v37, v37, v38
	s_delay_alu instid0(VALU_DEP_1) | instskip(SKIP_2) | instid1(VALU_DEP_1)
	v_add_f32_e32 v35, v35, v37
	v_add_f32_e32 v37, v42, v39
	v_sub_f32_e32 v41, v38, v41
	v_sub_f32_e32 v38, v41, v40
	s_delay_alu instid0(VALU_DEP_1) | instskip(NEXT) | instid1(VALU_DEP_1)
	v_dual_add_f32 v35, v38, v35 :: v_dual_sub_f32 v38, v37, v42
	v_add_f32_e32 v35, v43, v35
	s_delay_alu instid0(VALU_DEP_1) | instskip(NEXT) | instid1(VALU_DEP_1)
	v_dual_sub_f32 v38, v39, v38 :: v_dual_mul_f32 v35, v36, v35
	v_add_f32_e32 v35, v38, v35
	s_delay_alu instid0(VALU_DEP_1) | instskip(NEXT) | instid1(VALU_DEP_1)
	v_add_f32_e32 v36, v37, v35
	v_mul_f32_e32 v38, v36, v36
	s_delay_alu instid0(VALU_DEP_1) | instskip(SKIP_1) | instid1(VALU_DEP_2)
	v_fmaak_f32 v39, s8, v38, 0x3ecc95a3
	v_mul_f32_e32 v40, v36, v38
	v_fmaak_f32 v38, v38, v39, 0x3f2aaada
	v_ldexp_f32 v39, v36, 1
	s_delay_alu instid0(VALU_DEP_2) | instskip(SKIP_1) | instid1(VALU_DEP_2)
	v_mul_f32_e32 v38, v40, v38
	v_mul_f32_e32 v40, 0x3f317218, v34
	v_dual_sub_f32 v36, v36, v37 :: v_dual_add_f32 v37, v39, v38
	s_delay_alu instid0(VALU_DEP_1) | instskip(NEXT) | instid1(VALU_DEP_3)
	v_dual_sub_f32 v35, v35, v36 :: v_dual_sub_f32 v36, v37, v39
	v_fma_f32 v39, 0x3f317218, v34, -v40
	s_delay_alu instid0(VALU_DEP_2) | instskip(NEXT) | instid1(VALU_DEP_2)
	v_ldexp_f32 v35, v35, 1
	v_dual_sub_f32 v36, v38, v36 :: v_dual_fmac_f32 v39, 0xb102e308, v34
	s_delay_alu instid0(VALU_DEP_1) | instskip(NEXT) | instid1(VALU_DEP_1)
	v_dual_add_f32 v34, v35, v36 :: v_dual_add_f32 v35, v40, v39
	v_add_f32_e32 v36, v37, v34
	s_delay_alu instid0(VALU_DEP_1) | instskip(NEXT) | instid1(VALU_DEP_1)
	v_add_f32_e32 v38, v35, v36
	v_sub_f32_e32 v41, v38, v35
	s_delay_alu instid0(VALU_DEP_1) | instskip(SKIP_1) | instid1(VALU_DEP_1)
	v_sub_f32_e32 v42, v38, v41
	v_sub_f32_e32 v37, v36, v37
	;; [unrolled: 1-line block ×4, first 2 shown]
	s_delay_alu instid0(VALU_DEP_1) | instskip(NEXT) | instid1(VALU_DEP_1)
	v_dual_sub_f32 v36, v36, v41 :: v_dual_sub_f32 v39, v39, v40
	v_add_f32_e32 v37, v39, v34
	v_sub_f32_e32 v35, v35, v42
	s_delay_alu instid0(VALU_DEP_1) | instskip(NEXT) | instid1(VALU_DEP_3)
	v_add_f32_e32 v35, v36, v35
	v_sub_f32_e32 v36, v37, v39
	s_delay_alu instid0(VALU_DEP_1) | instskip(NEXT) | instid1(VALU_DEP_1)
	v_dual_sub_f32 v34, v34, v36 :: v_dual_add_f32 v35, v37, v35
	v_dual_sub_f32 v37, v37, v36 :: v_dual_add_f32 v40, v38, v35
	s_delay_alu instid0(VALU_DEP_1) | instskip(NEXT) | instid1(VALU_DEP_1)
	v_dual_sub_f32 v36, v40, v38 :: v_dual_sub_f32 v37, v39, v37
	v_dual_sub_f32 v35, v35, v36 :: v_dual_add_f32 v34, v34, v37
	s_delay_alu instid0(VALU_DEP_1) | instskip(NEXT) | instid1(VALU_DEP_1)
	v_add_f32_e32 v34, v34, v35
	v_add_f32_e32 v34, v40, v34
	s_delay_alu instid0(VALU_DEP_1) | instskip(NEXT) | instid1(VALU_DEP_1)
	v_cndmask_b32_e32 v12, v34, v12, vcc_lo
	v_add_f32_e32 v34, v9, v12
.LBB164_115:                            ;   in Loop: Header=BB164_103 Depth=1
	s_or_b32 exec_lo, exec_lo, s30
	s_delay_alu instid0(VALU_DEP_1)
	v_mov_b32_e32 v9, v34
	v_mov_b32_e32 v12, v34
.LBB164_116:                            ;   in Loop: Header=BB164_103 Depth=1
	s_or_b32 exec_lo, exec_lo, s9
	s_waitcnt lgkmcnt(0)
	ds_bpermute_b32 v34, v27, v9
	s_mov_b32 s9, exec_lo
	v_cmpx_le_u32_e64 v28, v11
	s_cbranch_execz .LBB164_120
; %bb.117:                              ;   in Loop: Header=BB164_103 Depth=1
	v_max_f32_e32 v9, v12, v12
	s_waitcnt lgkmcnt(0)
	v_max_f32_e32 v35, v34, v34
	v_cmp_u_f32_e32 vcc_lo, v34, v34
	s_delay_alu instid0(VALU_DEP_2) | instskip(SKIP_1) | instid1(VALU_DEP_1)
	v_min_f32_e32 v36, v35, v9
	v_max_f32_e32 v9, v35, v9
	v_cndmask_b32_e32 v9, v9, v34, vcc_lo
	s_delay_alu instid0(VALU_DEP_3) | instskip(SKIP_1) | instid1(VALU_DEP_2)
	v_cndmask_b32_e32 v35, v36, v34, vcc_lo
	v_cmp_u_f32_e32 vcc_lo, v12, v12
	v_cndmask_b32_e32 v35, v35, v12, vcc_lo
	s_delay_alu instid0(VALU_DEP_4) | instskip(NEXT) | instid1(VALU_DEP_2)
	v_cndmask_b32_e32 v9, v9, v12, vcc_lo
	v_cmp_class_f32_e64 s30, v35, 0x1f8
	s_delay_alu instid0(VALU_DEP_2) | instskip(NEXT) | instid1(VALU_DEP_2)
	v_cmp_neq_f32_e32 vcc_lo, v35, v9
	s_or_b32 s31, vcc_lo, s30
	s_delay_alu instid0(SALU_CYCLE_1)
	s_and_saveexec_b32 s30, s31
	s_cbranch_execz .LBB164_119
; %bb.118:                              ;   in Loop: Header=BB164_103 Depth=1
	v_sub_f32_e32 v12, v35, v9
	s_delay_alu instid0(VALU_DEP_1) | instskip(SKIP_1) | instid1(VALU_DEP_2)
	v_mul_f32_e32 v34, 0x3fb8aa3b, v12
	v_cmp_ngt_f32_e32 vcc_lo, 0xc2ce8ed0, v12
	v_fma_f32 v35, 0x3fb8aa3b, v12, -v34
	v_rndne_f32_e32 v36, v34
	s_delay_alu instid0(VALU_DEP_2) | instskip(NEXT) | instid1(VALU_DEP_2)
	v_fmac_f32_e32 v35, 0x32a5705f, v12
	v_sub_f32_e32 v34, v34, v36
	s_delay_alu instid0(VALU_DEP_1) | instskip(SKIP_1) | instid1(VALU_DEP_2)
	v_add_f32_e32 v34, v34, v35
	v_cvt_i32_f32_e32 v35, v36
	v_exp_f32_e32 v34, v34
	s_waitcnt_depctr 0xfff
	v_ldexp_f32 v34, v34, v35
	s_delay_alu instid0(VALU_DEP_1) | instskip(SKIP_1) | instid1(VALU_DEP_2)
	v_cndmask_b32_e32 v34, 0, v34, vcc_lo
	v_cmp_nlt_f32_e32 vcc_lo, 0x42b17218, v12
	v_cndmask_b32_e32 v12, 0x7f800000, v34, vcc_lo
	s_delay_alu instid0(VALU_DEP_1) | instskip(NEXT) | instid1(VALU_DEP_1)
	v_add_f32_e32 v36, 1.0, v12
	v_cvt_f64_f32_e32 v[34:35], v36
	s_delay_alu instid0(VALU_DEP_1) | instskip(SKIP_1) | instid1(VALU_DEP_1)
	v_frexp_exp_i32_f64_e32 v34, v[34:35]
	v_frexp_mant_f32_e32 v35, v36
	v_cmp_gt_f32_e32 vcc_lo, 0x3f2aaaab, v35
	v_add_f32_e32 v35, -1.0, v36
	s_delay_alu instid0(VALU_DEP_1) | instskip(NEXT) | instid1(VALU_DEP_1)
	v_dual_sub_f32 v38, v35, v36 :: v_dual_sub_f32 v35, v12, v35
	v_add_f32_e32 v38, 1.0, v38
	s_delay_alu instid0(VALU_DEP_1) | instskip(SKIP_1) | instid1(VALU_DEP_1)
	v_add_f32_e32 v35, v35, v38
	v_subrev_co_ci_u32_e32 v34, vcc_lo, 0, v34, vcc_lo
	v_sub_nc_u32_e32 v37, 0, v34
	v_cvt_f32_i32_e32 v34, v34
	s_delay_alu instid0(VALU_DEP_2) | instskip(SKIP_1) | instid1(VALU_DEP_2)
	v_ldexp_f32 v36, v36, v37
	v_ldexp_f32 v35, v35, v37
	v_add_f32_e32 v39, 1.0, v36
	v_add_f32_e32 v37, -1.0, v36
	v_cmp_eq_f32_e32 vcc_lo, 0x7f800000, v12
	v_cmp_gt_f32_e64 s31, 0x33800000, |v12|
	s_delay_alu instid0(VALU_DEP_4) | instskip(NEXT) | instid1(VALU_DEP_4)
	v_add_f32_e32 v38, -1.0, v39
	v_add_f32_e32 v40, 1.0, v37
	s_delay_alu instid0(VALU_DEP_3) | instskip(NEXT) | instid1(VALU_DEP_2)
	s_or_b32 vcc_lo, vcc_lo, s31
	v_sub_f32_e32 v38, v36, v38
	s_delay_alu instid0(VALU_DEP_2) | instskip(NEXT) | instid1(VALU_DEP_2)
	v_sub_f32_e32 v36, v36, v40
	v_add_f32_e32 v38, v35, v38
	s_delay_alu instid0(VALU_DEP_2) | instskip(NEXT) | instid1(VALU_DEP_1)
	v_add_f32_e32 v35, v35, v36
	v_add_f32_e32 v41, v37, v35
	s_delay_alu instid0(VALU_DEP_1) | instskip(NEXT) | instid1(VALU_DEP_1)
	v_dual_sub_f32 v37, v37, v41 :: v_dual_add_f32 v40, v39, v38
	v_add_f32_e32 v35, v35, v37
	s_delay_alu instid0(VALU_DEP_2) | instskip(SKIP_1) | instid1(VALU_DEP_1)
	v_rcp_f32_e32 v36, v40
	v_sub_f32_e32 v39, v39, v40
	v_add_f32_e32 v38, v38, v39
	s_waitcnt_depctr 0xfff
	v_mul_f32_e32 v42, v41, v36
	s_delay_alu instid0(VALU_DEP_1) | instskip(NEXT) | instid1(VALU_DEP_1)
	v_mul_f32_e32 v43, v40, v42
	v_fma_f32 v39, v42, v40, -v43
	s_delay_alu instid0(VALU_DEP_1) | instskip(NEXT) | instid1(VALU_DEP_1)
	v_fmac_f32_e32 v39, v42, v38
	v_add_f32_e32 v44, v43, v39
	s_delay_alu instid0(VALU_DEP_1) | instskip(SKIP_1) | instid1(VALU_DEP_2)
	v_sub_f32_e32 v45, v41, v44
	v_sub_f32_e32 v37, v44, v43
	;; [unrolled: 1-line block ×3, first 2 shown]
	s_delay_alu instid0(VALU_DEP_1) | instskip(NEXT) | instid1(VALU_DEP_3)
	v_sub_f32_e32 v41, v41, v44
	v_sub_f32_e32 v37, v37, v39
	s_delay_alu instid0(VALU_DEP_2) | instskip(NEXT) | instid1(VALU_DEP_1)
	v_add_f32_e32 v35, v35, v41
	v_add_f32_e32 v35, v37, v35
	s_delay_alu instid0(VALU_DEP_1) | instskip(NEXT) | instid1(VALU_DEP_1)
	v_add_f32_e32 v37, v45, v35
	v_mul_f32_e32 v39, v36, v37
	s_delay_alu instid0(VALU_DEP_1) | instskip(NEXT) | instid1(VALU_DEP_1)
	v_dual_sub_f32 v44, v45, v37 :: v_dual_mul_f32 v41, v40, v39
	v_add_f32_e32 v35, v35, v44
	s_delay_alu instid0(VALU_DEP_2) | instskip(NEXT) | instid1(VALU_DEP_1)
	v_fma_f32 v40, v39, v40, -v41
	v_fmac_f32_e32 v40, v39, v38
	s_delay_alu instid0(VALU_DEP_1) | instskip(NEXT) | instid1(VALU_DEP_1)
	v_add_f32_e32 v38, v41, v40
	v_sub_f32_e32 v43, v37, v38
	s_delay_alu instid0(VALU_DEP_1) | instskip(NEXT) | instid1(VALU_DEP_1)
	v_sub_f32_e32 v37, v37, v43
	v_sub_f32_e32 v37, v37, v38
	s_delay_alu instid0(VALU_DEP_1) | instskip(SKIP_2) | instid1(VALU_DEP_1)
	v_add_f32_e32 v35, v35, v37
	v_add_f32_e32 v37, v42, v39
	v_sub_f32_e32 v41, v38, v41
	v_sub_f32_e32 v38, v41, v40
	s_delay_alu instid0(VALU_DEP_1) | instskip(NEXT) | instid1(VALU_DEP_1)
	v_dual_add_f32 v35, v38, v35 :: v_dual_sub_f32 v38, v37, v42
	v_add_f32_e32 v35, v43, v35
	s_delay_alu instid0(VALU_DEP_1) | instskip(NEXT) | instid1(VALU_DEP_1)
	v_dual_sub_f32 v38, v39, v38 :: v_dual_mul_f32 v35, v36, v35
	v_add_f32_e32 v35, v38, v35
	s_delay_alu instid0(VALU_DEP_1) | instskip(NEXT) | instid1(VALU_DEP_1)
	v_add_f32_e32 v36, v37, v35
	v_mul_f32_e32 v38, v36, v36
	s_delay_alu instid0(VALU_DEP_1) | instskip(SKIP_1) | instid1(VALU_DEP_2)
	v_fmaak_f32 v39, s8, v38, 0x3ecc95a3
	v_mul_f32_e32 v40, v36, v38
	v_fmaak_f32 v38, v38, v39, 0x3f2aaada
	v_ldexp_f32 v39, v36, 1
	s_delay_alu instid0(VALU_DEP_2) | instskip(SKIP_1) | instid1(VALU_DEP_2)
	v_mul_f32_e32 v38, v40, v38
	v_mul_f32_e32 v40, 0x3f317218, v34
	v_dual_sub_f32 v36, v36, v37 :: v_dual_add_f32 v37, v39, v38
	s_delay_alu instid0(VALU_DEP_1) | instskip(NEXT) | instid1(VALU_DEP_3)
	v_dual_sub_f32 v35, v35, v36 :: v_dual_sub_f32 v36, v37, v39
	v_fma_f32 v39, 0x3f317218, v34, -v40
	s_delay_alu instid0(VALU_DEP_2) | instskip(NEXT) | instid1(VALU_DEP_2)
	v_ldexp_f32 v35, v35, 1
	v_dual_sub_f32 v36, v38, v36 :: v_dual_fmac_f32 v39, 0xb102e308, v34
	s_delay_alu instid0(VALU_DEP_1) | instskip(NEXT) | instid1(VALU_DEP_1)
	v_dual_add_f32 v34, v35, v36 :: v_dual_add_f32 v35, v40, v39
	v_add_f32_e32 v36, v37, v34
	s_delay_alu instid0(VALU_DEP_1) | instskip(NEXT) | instid1(VALU_DEP_1)
	v_add_f32_e32 v38, v35, v36
	v_sub_f32_e32 v41, v38, v35
	s_delay_alu instid0(VALU_DEP_1) | instskip(SKIP_1) | instid1(VALU_DEP_1)
	v_sub_f32_e32 v42, v38, v41
	v_sub_f32_e32 v37, v36, v37
	;; [unrolled: 1-line block ×4, first 2 shown]
	s_delay_alu instid0(VALU_DEP_1) | instskip(NEXT) | instid1(VALU_DEP_1)
	v_dual_sub_f32 v36, v36, v41 :: v_dual_sub_f32 v39, v39, v40
	v_add_f32_e32 v37, v39, v34
	v_sub_f32_e32 v35, v35, v42
	s_delay_alu instid0(VALU_DEP_1) | instskip(NEXT) | instid1(VALU_DEP_3)
	v_add_f32_e32 v35, v36, v35
	v_sub_f32_e32 v36, v37, v39
	s_delay_alu instid0(VALU_DEP_1) | instskip(NEXT) | instid1(VALU_DEP_1)
	v_dual_sub_f32 v34, v34, v36 :: v_dual_add_f32 v35, v37, v35
	v_dual_sub_f32 v37, v37, v36 :: v_dual_add_f32 v40, v38, v35
	s_delay_alu instid0(VALU_DEP_1) | instskip(NEXT) | instid1(VALU_DEP_1)
	v_dual_sub_f32 v36, v40, v38 :: v_dual_sub_f32 v37, v39, v37
	v_dual_sub_f32 v35, v35, v36 :: v_dual_add_f32 v34, v34, v37
	s_delay_alu instid0(VALU_DEP_1) | instskip(NEXT) | instid1(VALU_DEP_1)
	v_add_f32_e32 v34, v34, v35
	v_add_f32_e32 v34, v40, v34
	s_delay_alu instid0(VALU_DEP_1) | instskip(NEXT) | instid1(VALU_DEP_1)
	v_cndmask_b32_e32 v12, v34, v12, vcc_lo
	v_add_f32_e32 v34, v9, v12
.LBB164_119:                            ;   in Loop: Header=BB164_103 Depth=1
	s_or_b32 exec_lo, exec_lo, s30
	s_delay_alu instid0(VALU_DEP_1)
	v_mov_b32_e32 v9, v34
	v_mov_b32_e32 v12, v34
.LBB164_120:                            ;   in Loop: Header=BB164_103 Depth=1
	s_or_b32 exec_lo, exec_lo, s9
	s_waitcnt lgkmcnt(0)
	ds_bpermute_b32 v34, v29, v9
	s_mov_b32 s9, exec_lo
	v_cmpx_le_u32_e64 v30, v11
	s_cbranch_execz .LBB164_124
; %bb.121:                              ;   in Loop: Header=BB164_103 Depth=1
	v_max_f32_e32 v9, v12, v12
	s_waitcnt lgkmcnt(0)
	v_max_f32_e32 v35, v34, v34
	v_cmp_u_f32_e32 vcc_lo, v34, v34
	s_delay_alu instid0(VALU_DEP_2) | instskip(SKIP_1) | instid1(VALU_DEP_1)
	v_min_f32_e32 v36, v35, v9
	v_max_f32_e32 v9, v35, v9
	v_cndmask_b32_e32 v9, v9, v34, vcc_lo
	s_delay_alu instid0(VALU_DEP_3) | instskip(SKIP_1) | instid1(VALU_DEP_2)
	v_cndmask_b32_e32 v35, v36, v34, vcc_lo
	v_cmp_u_f32_e32 vcc_lo, v12, v12
	v_cndmask_b32_e32 v35, v35, v12, vcc_lo
	s_delay_alu instid0(VALU_DEP_4) | instskip(NEXT) | instid1(VALU_DEP_2)
	v_cndmask_b32_e32 v9, v9, v12, vcc_lo
	v_cmp_class_f32_e64 s30, v35, 0x1f8
	s_delay_alu instid0(VALU_DEP_2) | instskip(NEXT) | instid1(VALU_DEP_2)
	v_cmp_neq_f32_e32 vcc_lo, v35, v9
	s_or_b32 s31, vcc_lo, s30
	s_delay_alu instid0(SALU_CYCLE_1)
	s_and_saveexec_b32 s30, s31
	s_cbranch_execz .LBB164_123
; %bb.122:                              ;   in Loop: Header=BB164_103 Depth=1
	v_sub_f32_e32 v12, v35, v9
	s_delay_alu instid0(VALU_DEP_1) | instskip(SKIP_1) | instid1(VALU_DEP_2)
	v_mul_f32_e32 v34, 0x3fb8aa3b, v12
	v_cmp_ngt_f32_e32 vcc_lo, 0xc2ce8ed0, v12
	v_fma_f32 v35, 0x3fb8aa3b, v12, -v34
	v_rndne_f32_e32 v36, v34
	s_delay_alu instid0(VALU_DEP_2) | instskip(NEXT) | instid1(VALU_DEP_2)
	v_fmac_f32_e32 v35, 0x32a5705f, v12
	v_sub_f32_e32 v34, v34, v36
	s_delay_alu instid0(VALU_DEP_1) | instskip(SKIP_1) | instid1(VALU_DEP_2)
	v_add_f32_e32 v34, v34, v35
	v_cvt_i32_f32_e32 v35, v36
	v_exp_f32_e32 v34, v34
	s_waitcnt_depctr 0xfff
	v_ldexp_f32 v34, v34, v35
	s_delay_alu instid0(VALU_DEP_1) | instskip(SKIP_1) | instid1(VALU_DEP_2)
	v_cndmask_b32_e32 v34, 0, v34, vcc_lo
	v_cmp_nlt_f32_e32 vcc_lo, 0x42b17218, v12
	v_cndmask_b32_e32 v12, 0x7f800000, v34, vcc_lo
	s_delay_alu instid0(VALU_DEP_1) | instskip(NEXT) | instid1(VALU_DEP_1)
	v_add_f32_e32 v36, 1.0, v12
	v_cvt_f64_f32_e32 v[34:35], v36
	s_delay_alu instid0(VALU_DEP_1) | instskip(SKIP_1) | instid1(VALU_DEP_1)
	v_frexp_exp_i32_f64_e32 v34, v[34:35]
	v_frexp_mant_f32_e32 v35, v36
	v_cmp_gt_f32_e32 vcc_lo, 0x3f2aaaab, v35
	v_add_f32_e32 v35, -1.0, v36
	s_delay_alu instid0(VALU_DEP_1) | instskip(NEXT) | instid1(VALU_DEP_1)
	v_dual_sub_f32 v38, v35, v36 :: v_dual_sub_f32 v35, v12, v35
	v_add_f32_e32 v38, 1.0, v38
	s_delay_alu instid0(VALU_DEP_1) | instskip(SKIP_1) | instid1(VALU_DEP_1)
	v_add_f32_e32 v35, v35, v38
	v_subrev_co_ci_u32_e32 v34, vcc_lo, 0, v34, vcc_lo
	v_sub_nc_u32_e32 v37, 0, v34
	v_cvt_f32_i32_e32 v34, v34
	s_delay_alu instid0(VALU_DEP_2) | instskip(SKIP_1) | instid1(VALU_DEP_2)
	v_ldexp_f32 v36, v36, v37
	v_ldexp_f32 v35, v35, v37
	v_add_f32_e32 v39, 1.0, v36
	v_add_f32_e32 v37, -1.0, v36
	v_cmp_eq_f32_e32 vcc_lo, 0x7f800000, v12
	v_cmp_gt_f32_e64 s31, 0x33800000, |v12|
	s_delay_alu instid0(VALU_DEP_4) | instskip(NEXT) | instid1(VALU_DEP_4)
	v_add_f32_e32 v38, -1.0, v39
	v_add_f32_e32 v40, 1.0, v37
	s_delay_alu instid0(VALU_DEP_3) | instskip(NEXT) | instid1(VALU_DEP_2)
	s_or_b32 vcc_lo, vcc_lo, s31
	v_sub_f32_e32 v38, v36, v38
	s_delay_alu instid0(VALU_DEP_2) | instskip(NEXT) | instid1(VALU_DEP_2)
	v_sub_f32_e32 v36, v36, v40
	v_add_f32_e32 v38, v35, v38
	s_delay_alu instid0(VALU_DEP_2) | instskip(NEXT) | instid1(VALU_DEP_1)
	v_add_f32_e32 v35, v35, v36
	v_add_f32_e32 v41, v37, v35
	s_delay_alu instid0(VALU_DEP_1) | instskip(NEXT) | instid1(VALU_DEP_1)
	v_dual_sub_f32 v37, v37, v41 :: v_dual_add_f32 v40, v39, v38
	v_add_f32_e32 v35, v35, v37
	s_delay_alu instid0(VALU_DEP_2) | instskip(SKIP_1) | instid1(VALU_DEP_1)
	v_rcp_f32_e32 v36, v40
	v_sub_f32_e32 v39, v39, v40
	v_add_f32_e32 v38, v38, v39
	s_waitcnt_depctr 0xfff
	v_mul_f32_e32 v42, v41, v36
	s_delay_alu instid0(VALU_DEP_1) | instskip(NEXT) | instid1(VALU_DEP_1)
	v_mul_f32_e32 v43, v40, v42
	v_fma_f32 v39, v42, v40, -v43
	s_delay_alu instid0(VALU_DEP_1) | instskip(NEXT) | instid1(VALU_DEP_1)
	v_fmac_f32_e32 v39, v42, v38
	v_add_f32_e32 v44, v43, v39
	s_delay_alu instid0(VALU_DEP_1) | instskip(SKIP_1) | instid1(VALU_DEP_2)
	v_sub_f32_e32 v45, v41, v44
	v_sub_f32_e32 v37, v44, v43
	;; [unrolled: 1-line block ×3, first 2 shown]
	s_delay_alu instid0(VALU_DEP_1) | instskip(NEXT) | instid1(VALU_DEP_3)
	v_sub_f32_e32 v41, v41, v44
	v_sub_f32_e32 v37, v37, v39
	s_delay_alu instid0(VALU_DEP_2) | instskip(NEXT) | instid1(VALU_DEP_1)
	v_add_f32_e32 v35, v35, v41
	v_add_f32_e32 v35, v37, v35
	s_delay_alu instid0(VALU_DEP_1) | instskip(NEXT) | instid1(VALU_DEP_1)
	v_add_f32_e32 v37, v45, v35
	v_mul_f32_e32 v39, v36, v37
	s_delay_alu instid0(VALU_DEP_1) | instskip(NEXT) | instid1(VALU_DEP_1)
	v_dual_sub_f32 v44, v45, v37 :: v_dual_mul_f32 v41, v40, v39
	v_add_f32_e32 v35, v35, v44
	s_delay_alu instid0(VALU_DEP_2) | instskip(NEXT) | instid1(VALU_DEP_1)
	v_fma_f32 v40, v39, v40, -v41
	v_fmac_f32_e32 v40, v39, v38
	s_delay_alu instid0(VALU_DEP_1) | instskip(NEXT) | instid1(VALU_DEP_1)
	v_add_f32_e32 v38, v41, v40
	v_sub_f32_e32 v43, v37, v38
	s_delay_alu instid0(VALU_DEP_1) | instskip(NEXT) | instid1(VALU_DEP_1)
	v_sub_f32_e32 v37, v37, v43
	v_sub_f32_e32 v37, v37, v38
	s_delay_alu instid0(VALU_DEP_1) | instskip(SKIP_2) | instid1(VALU_DEP_1)
	v_add_f32_e32 v35, v35, v37
	v_add_f32_e32 v37, v42, v39
	v_sub_f32_e32 v41, v38, v41
	v_sub_f32_e32 v38, v41, v40
	s_delay_alu instid0(VALU_DEP_1) | instskip(NEXT) | instid1(VALU_DEP_1)
	v_dual_add_f32 v35, v38, v35 :: v_dual_sub_f32 v38, v37, v42
	v_add_f32_e32 v35, v43, v35
	s_delay_alu instid0(VALU_DEP_1) | instskip(NEXT) | instid1(VALU_DEP_1)
	v_dual_sub_f32 v38, v39, v38 :: v_dual_mul_f32 v35, v36, v35
	v_add_f32_e32 v35, v38, v35
	s_delay_alu instid0(VALU_DEP_1) | instskip(NEXT) | instid1(VALU_DEP_1)
	v_add_f32_e32 v36, v37, v35
	v_mul_f32_e32 v38, v36, v36
	s_delay_alu instid0(VALU_DEP_1) | instskip(SKIP_1) | instid1(VALU_DEP_2)
	v_fmaak_f32 v39, s8, v38, 0x3ecc95a3
	v_mul_f32_e32 v40, v36, v38
	v_fmaak_f32 v38, v38, v39, 0x3f2aaada
	v_ldexp_f32 v39, v36, 1
	s_delay_alu instid0(VALU_DEP_2) | instskip(SKIP_1) | instid1(VALU_DEP_2)
	v_mul_f32_e32 v38, v40, v38
	v_mul_f32_e32 v40, 0x3f317218, v34
	v_dual_sub_f32 v36, v36, v37 :: v_dual_add_f32 v37, v39, v38
	s_delay_alu instid0(VALU_DEP_1) | instskip(NEXT) | instid1(VALU_DEP_3)
	v_dual_sub_f32 v35, v35, v36 :: v_dual_sub_f32 v36, v37, v39
	v_fma_f32 v39, 0x3f317218, v34, -v40
	s_delay_alu instid0(VALU_DEP_2) | instskip(NEXT) | instid1(VALU_DEP_2)
	v_ldexp_f32 v35, v35, 1
	v_dual_sub_f32 v36, v38, v36 :: v_dual_fmac_f32 v39, 0xb102e308, v34
	s_delay_alu instid0(VALU_DEP_1) | instskip(NEXT) | instid1(VALU_DEP_1)
	v_dual_add_f32 v34, v35, v36 :: v_dual_add_f32 v35, v40, v39
	v_add_f32_e32 v36, v37, v34
	s_delay_alu instid0(VALU_DEP_1) | instskip(NEXT) | instid1(VALU_DEP_1)
	v_add_f32_e32 v38, v35, v36
	v_sub_f32_e32 v41, v38, v35
	s_delay_alu instid0(VALU_DEP_1) | instskip(SKIP_1) | instid1(VALU_DEP_1)
	v_sub_f32_e32 v42, v38, v41
	v_sub_f32_e32 v37, v36, v37
	;; [unrolled: 1-line block ×4, first 2 shown]
	s_delay_alu instid0(VALU_DEP_1) | instskip(NEXT) | instid1(VALU_DEP_1)
	v_dual_sub_f32 v36, v36, v41 :: v_dual_sub_f32 v39, v39, v40
	v_add_f32_e32 v37, v39, v34
	v_sub_f32_e32 v35, v35, v42
	s_delay_alu instid0(VALU_DEP_1) | instskip(NEXT) | instid1(VALU_DEP_3)
	v_add_f32_e32 v35, v36, v35
	v_sub_f32_e32 v36, v37, v39
	s_delay_alu instid0(VALU_DEP_1) | instskip(NEXT) | instid1(VALU_DEP_1)
	v_dual_sub_f32 v34, v34, v36 :: v_dual_add_f32 v35, v37, v35
	v_dual_sub_f32 v37, v37, v36 :: v_dual_add_f32 v40, v38, v35
	s_delay_alu instid0(VALU_DEP_1) | instskip(NEXT) | instid1(VALU_DEP_1)
	v_dual_sub_f32 v36, v40, v38 :: v_dual_sub_f32 v37, v39, v37
	v_dual_sub_f32 v35, v35, v36 :: v_dual_add_f32 v34, v34, v37
	s_delay_alu instid0(VALU_DEP_1) | instskip(NEXT) | instid1(VALU_DEP_1)
	v_add_f32_e32 v34, v34, v35
	v_add_f32_e32 v34, v40, v34
	s_delay_alu instid0(VALU_DEP_1) | instskip(NEXT) | instid1(VALU_DEP_1)
	v_cndmask_b32_e32 v12, v34, v12, vcc_lo
	v_add_f32_e32 v34, v9, v12
.LBB164_123:                            ;   in Loop: Header=BB164_103 Depth=1
	s_or_b32 exec_lo, exec_lo, s30
	s_delay_alu instid0(VALU_DEP_1)
	v_mov_b32_e32 v9, v34
	v_mov_b32_e32 v12, v34
.LBB164_124:                            ;   in Loop: Header=BB164_103 Depth=1
	s_or_b32 exec_lo, exec_lo, s9
	s_waitcnt lgkmcnt(0)
	ds_bpermute_b32 v34, v32, v9
	s_mov_b32 s9, exec_lo
	v_cmpx_le_u32_e64 v33, v11
	s_cbranch_execz .LBB164_128
; %bb.125:                              ;   in Loop: Header=BB164_103 Depth=1
	v_max_f32_e32 v9, v12, v12
	s_waitcnt lgkmcnt(0)
	v_max_f32_e32 v11, v34, v34
	v_cmp_u_f32_e32 vcc_lo, v34, v34
	s_delay_alu instid0(VALU_DEP_2) | instskip(SKIP_1) | instid1(VALU_DEP_2)
	v_min_f32_e32 v35, v11, v9
	v_max_f32_e32 v9, v11, v9
	v_cndmask_b32_e32 v11, v35, v34, vcc_lo
	s_delay_alu instid0(VALU_DEP_2) | instskip(SKIP_1) | instid1(VALU_DEP_3)
	v_cndmask_b32_e32 v9, v9, v34, vcc_lo
	v_cmp_u_f32_e32 vcc_lo, v12, v12
	v_cndmask_b32_e32 v11, v11, v12, vcc_lo
	s_delay_alu instid0(VALU_DEP_3) | instskip(NEXT) | instid1(VALU_DEP_2)
	v_cndmask_b32_e32 v9, v9, v12, vcc_lo
	v_cmp_class_f32_e64 s30, v11, 0x1f8
	s_delay_alu instid0(VALU_DEP_2) | instskip(NEXT) | instid1(VALU_DEP_2)
	v_cmp_neq_f32_e32 vcc_lo, v11, v9
	s_or_b32 s31, vcc_lo, s30
	s_delay_alu instid0(SALU_CYCLE_1)
	s_and_saveexec_b32 s30, s31
	s_cbranch_execz .LBB164_127
; %bb.126:                              ;   in Loop: Header=BB164_103 Depth=1
	v_sub_f32_e32 v11, v11, v9
	s_delay_alu instid0(VALU_DEP_1) | instskip(NEXT) | instid1(VALU_DEP_1)
	v_mul_f32_e32 v12, 0x3fb8aa3b, v11
	v_fma_f32 v34, 0x3fb8aa3b, v11, -v12
	v_rndne_f32_e32 v35, v12
	s_delay_alu instid0(VALU_DEP_1) | instskip(NEXT) | instid1(VALU_DEP_3)
	v_sub_f32_e32 v12, v12, v35
	v_fmac_f32_e32 v34, 0x32a5705f, v11
	v_cmp_ngt_f32_e32 vcc_lo, 0xc2ce8ed0, v11
	s_delay_alu instid0(VALU_DEP_2) | instskip(SKIP_1) | instid1(VALU_DEP_2)
	v_add_f32_e32 v12, v12, v34
	v_cvt_i32_f32_e32 v34, v35
	v_exp_f32_e32 v12, v12
	s_waitcnt_depctr 0xfff
	v_ldexp_f32 v12, v12, v34
	s_delay_alu instid0(VALU_DEP_1) | instskip(SKIP_1) | instid1(VALU_DEP_2)
	v_cndmask_b32_e32 v12, 0, v12, vcc_lo
	v_cmp_nlt_f32_e32 vcc_lo, 0x42b17218, v11
	v_cndmask_b32_e32 v34, 0x7f800000, v12, vcc_lo
	s_delay_alu instid0(VALU_DEP_1) | instskip(NEXT) | instid1(VALU_DEP_1)
	v_add_f32_e32 v35, 1.0, v34
	v_cvt_f64_f32_e32 v[11:12], v35
	s_delay_alu instid0(VALU_DEP_1) | instskip(SKIP_1) | instid1(VALU_DEP_1)
	v_frexp_exp_i32_f64_e32 v11, v[11:12]
	v_frexp_mant_f32_e32 v12, v35
	v_cmp_gt_f32_e32 vcc_lo, 0x3f2aaaab, v12
	v_add_f32_e32 v12, -1.0, v35
	s_delay_alu instid0(VALU_DEP_1) | instskip(SKIP_1) | instid1(VALU_DEP_2)
	v_sub_f32_e32 v37, v12, v35
	v_cmp_gt_f32_e64 s31, 0x33800000, |v34|
	v_add_f32_e32 v37, 1.0, v37
	v_subrev_co_ci_u32_e32 v11, vcc_lo, 0, v11, vcc_lo
	v_cmp_eq_f32_e32 vcc_lo, 0x7f800000, v34
	s_delay_alu instid0(VALU_DEP_2) | instskip(SKIP_2) | instid1(VALU_DEP_2)
	v_sub_nc_u32_e32 v36, 0, v11
	v_cvt_f32_i32_e32 v11, v11
	s_or_b32 vcc_lo, vcc_lo, s31
	v_ldexp_f32 v35, v35, v36
	v_sub_f32_e32 v12, v34, v12
	s_delay_alu instid0(VALU_DEP_1) | instskip(NEXT) | instid1(VALU_DEP_1)
	v_add_f32_e32 v12, v12, v37
	v_ldexp_f32 v12, v12, v36
	s_delay_alu instid0(VALU_DEP_4) | instskip(NEXT) | instid1(VALU_DEP_1)
	v_add_f32_e32 v38, 1.0, v35
	v_add_f32_e32 v37, -1.0, v38
	s_delay_alu instid0(VALU_DEP_1) | instskip(NEXT) | instid1(VALU_DEP_1)
	v_sub_f32_e32 v37, v35, v37
	v_dual_add_f32 v37, v12, v37 :: v_dual_add_f32 v36, -1.0, v35
	s_delay_alu instid0(VALU_DEP_1) | instskip(NEXT) | instid1(VALU_DEP_1)
	v_add_f32_e32 v39, 1.0, v36
	v_sub_f32_e32 v35, v35, v39
	s_delay_alu instid0(VALU_DEP_1) | instskip(NEXT) | instid1(VALU_DEP_1)
	v_dual_add_f32 v39, v38, v37 :: v_dual_add_f32 v12, v12, v35
	v_rcp_f32_e32 v35, v39
	v_sub_f32_e32 v38, v38, v39
	s_delay_alu instid0(VALU_DEP_1) | instskip(SKIP_3) | instid1(VALU_DEP_2)
	v_dual_add_f32 v37, v37, v38 :: v_dual_add_f32 v40, v36, v12
	s_waitcnt_depctr 0xfff
	v_mul_f32_e32 v41, v40, v35
	v_sub_f32_e32 v36, v36, v40
	v_mul_f32_e32 v42, v39, v41
	s_delay_alu instid0(VALU_DEP_1) | instskip(NEXT) | instid1(VALU_DEP_1)
	v_fma_f32 v38, v41, v39, -v42
	v_fmac_f32_e32 v38, v41, v37
	s_delay_alu instid0(VALU_DEP_1) | instskip(NEXT) | instid1(VALU_DEP_1)
	v_dual_add_f32 v43, v42, v38 :: v_dual_add_f32 v12, v12, v36
	v_sub_f32_e32 v44, v40, v43
	v_sub_f32_e32 v36, v43, v42
	s_delay_alu instid0(VALU_DEP_2) | instskip(NEXT) | instid1(VALU_DEP_2)
	v_sub_f32_e32 v40, v40, v44
	v_sub_f32_e32 v36, v36, v38
	s_delay_alu instid0(VALU_DEP_2) | instskip(NEXT) | instid1(VALU_DEP_1)
	v_sub_f32_e32 v40, v40, v43
	v_add_f32_e32 v12, v12, v40
	s_delay_alu instid0(VALU_DEP_1) | instskip(NEXT) | instid1(VALU_DEP_1)
	v_add_f32_e32 v12, v36, v12
	v_add_f32_e32 v36, v44, v12
	s_delay_alu instid0(VALU_DEP_1) | instskip(NEXT) | instid1(VALU_DEP_1)
	v_mul_f32_e32 v38, v35, v36
	v_dual_sub_f32 v43, v44, v36 :: v_dual_mul_f32 v40, v39, v38
	s_delay_alu instid0(VALU_DEP_1) | instskip(NEXT) | instid1(VALU_DEP_2)
	v_add_f32_e32 v12, v12, v43
	v_fma_f32 v39, v38, v39, -v40
	s_delay_alu instid0(VALU_DEP_1) | instskip(NEXT) | instid1(VALU_DEP_1)
	v_fmac_f32_e32 v39, v38, v37
	v_add_f32_e32 v37, v40, v39
	s_delay_alu instid0(VALU_DEP_1) | instskip(SKIP_1) | instid1(VALU_DEP_2)
	v_sub_f32_e32 v42, v36, v37
	v_sub_f32_e32 v40, v37, v40
	;; [unrolled: 1-line block ×3, first 2 shown]
	s_delay_alu instid0(VALU_DEP_1) | instskip(NEXT) | instid1(VALU_DEP_3)
	v_sub_f32_e32 v36, v36, v37
	v_sub_f32_e32 v37, v40, v39
	s_delay_alu instid0(VALU_DEP_2) | instskip(SKIP_1) | instid1(VALU_DEP_1)
	v_add_f32_e32 v12, v12, v36
	v_add_f32_e32 v36, v41, v38
	v_dual_add_f32 v12, v37, v12 :: v_dual_sub_f32 v37, v36, v41
	s_delay_alu instid0(VALU_DEP_1) | instskip(NEXT) | instid1(VALU_DEP_1)
	v_add_f32_e32 v12, v42, v12
	v_dual_sub_f32 v37, v38, v37 :: v_dual_mul_f32 v12, v35, v12
	s_delay_alu instid0(VALU_DEP_1) | instskip(NEXT) | instid1(VALU_DEP_1)
	v_add_f32_e32 v12, v37, v12
	v_add_f32_e32 v35, v36, v12
	s_delay_alu instid0(VALU_DEP_1) | instskip(NEXT) | instid1(VALU_DEP_1)
	v_mul_f32_e32 v37, v35, v35
	v_fmaak_f32 v38, s8, v37, 0x3ecc95a3
	v_mul_f32_e32 v39, v35, v37
	s_delay_alu instid0(VALU_DEP_2) | instskip(SKIP_2) | instid1(VALU_DEP_3)
	v_fmaak_f32 v37, v37, v38, 0x3f2aaada
	v_ldexp_f32 v38, v35, 1
	v_sub_f32_e32 v35, v35, v36
	v_mul_f32_e32 v37, v39, v37
	v_mul_f32_e32 v39, 0x3f317218, v11
	s_delay_alu instid0(VALU_DEP_3) | instskip(NEXT) | instid1(VALU_DEP_3)
	v_sub_f32_e32 v12, v12, v35
	v_add_f32_e32 v36, v38, v37
	s_delay_alu instid0(VALU_DEP_2) | instskip(NEXT) | instid1(VALU_DEP_2)
	v_ldexp_f32 v12, v12, 1
	v_sub_f32_e32 v35, v36, v38
	v_fma_f32 v38, 0x3f317218, v11, -v39
	s_delay_alu instid0(VALU_DEP_2) | instskip(NEXT) | instid1(VALU_DEP_2)
	v_sub_f32_e32 v35, v37, v35
	v_fmac_f32_e32 v38, 0xb102e308, v11
	s_delay_alu instid0(VALU_DEP_1) | instskip(NEXT) | instid1(VALU_DEP_1)
	v_dual_add_f32 v11, v12, v35 :: v_dual_add_f32 v12, v39, v38
	v_sub_f32_e32 v39, v12, v39
	s_delay_alu instid0(VALU_DEP_2) | instskip(NEXT) | instid1(VALU_DEP_2)
	v_add_f32_e32 v35, v36, v11
	v_sub_f32_e32 v38, v38, v39
	s_delay_alu instid0(VALU_DEP_2) | instskip(NEXT) | instid1(VALU_DEP_1)
	v_dual_add_f32 v37, v12, v35 :: v_dual_sub_f32 v36, v35, v36
	v_sub_f32_e32 v40, v37, v12
	s_delay_alu instid0(VALU_DEP_2) | instskip(NEXT) | instid1(VALU_DEP_2)
	v_sub_f32_e32 v11, v11, v36
	v_sub_f32_e32 v41, v37, v40
	s_delay_alu instid0(VALU_DEP_2) | instskip(NEXT) | instid1(VALU_DEP_2)
	v_dual_sub_f32 v35, v35, v40 :: v_dual_add_f32 v36, v38, v11
	v_sub_f32_e32 v12, v12, v41
	s_delay_alu instid0(VALU_DEP_1) | instskip(NEXT) | instid1(VALU_DEP_1)
	v_dual_add_f32 v12, v35, v12 :: v_dual_sub_f32 v35, v36, v38
	v_add_f32_e32 v12, v36, v12
	s_delay_alu instid0(VALU_DEP_2) | instskip(SKIP_1) | instid1(VALU_DEP_3)
	v_sub_f32_e32 v36, v36, v35
	v_sub_f32_e32 v11, v11, v35
	v_add_f32_e32 v39, v37, v12
	s_delay_alu instid0(VALU_DEP_1) | instskip(NEXT) | instid1(VALU_DEP_1)
	v_dual_sub_f32 v36, v38, v36 :: v_dual_sub_f32 v35, v39, v37
	v_dual_add_f32 v11, v11, v36 :: v_dual_sub_f32 v12, v12, v35
	s_delay_alu instid0(VALU_DEP_1) | instskip(NEXT) | instid1(VALU_DEP_1)
	v_add_f32_e32 v11, v11, v12
	v_add_f32_e32 v11, v39, v11
	s_delay_alu instid0(VALU_DEP_1) | instskip(NEXT) | instid1(VALU_DEP_1)
	v_cndmask_b32_e32 v11, v11, v34, vcc_lo
	v_add_f32_e32 v34, v9, v11
.LBB164_127:                            ;   in Loop: Header=BB164_103 Depth=1
	s_or_b32 exec_lo, exec_lo, s30
	s_delay_alu instid0(VALU_DEP_1)
	v_mov_b32_e32 v12, v34
.LBB164_128:                            ;   in Loop: Header=BB164_103 Depth=1
	s_or_b32 exec_lo, exec_lo, s9
	v_max_f32_e32 v9, v31, v31
	s_delay_alu instid0(VALU_DEP_2) | instskip(SKIP_2) | instid1(VALU_DEP_2)
	v_max_f32_e32 v11, v12, v12
	v_cmp_u_f32_e32 vcc_lo, v12, v12
	s_waitcnt lgkmcnt(0)
	v_min_f32_e32 v34, v11, v9
	v_max_f32_e32 v9, v11, v9
	s_delay_alu instid0(VALU_DEP_1) | instskip(NEXT) | instid1(VALU_DEP_3)
	v_cndmask_b32_e32 v9, v9, v12, vcc_lo
	v_cndmask_b32_e32 v11, v34, v12, vcc_lo
	v_cmp_u_f32_e32 vcc_lo, v31, v31
	s_delay_alu instid0(VALU_DEP_2) | instskip(NEXT) | instid1(VALU_DEP_4)
	v_cndmask_b32_e32 v11, v11, v31, vcc_lo
	v_cndmask_b32_e32 v9, v9, v31, vcc_lo
	s_delay_alu instid0(VALU_DEP_2) | instskip(NEXT) | instid1(VALU_DEP_2)
	v_cmp_class_f32_e64 s9, v11, 0x1f8
	v_cmp_neq_f32_e32 vcc_lo, v11, v9
	s_delay_alu instid0(VALU_DEP_2) | instskip(NEXT) | instid1(SALU_CYCLE_1)
	s_or_b32 s9, vcc_lo, s9
	s_and_saveexec_b32 s30, s9
	s_delay_alu instid0(SALU_CYCLE_1)
	s_xor_b32 s9, exec_lo, s30
	s_cbranch_execz .LBB164_102
; %bb.129:                              ;   in Loop: Header=BB164_103 Depth=1
	v_sub_f32_e32 v11, v11, v9
	s_delay_alu instid0(VALU_DEP_1) | instskip(NEXT) | instid1(VALU_DEP_1)
	v_mul_f32_e32 v12, 0x3fb8aa3b, v11
	v_fma_f32 v34, 0x3fb8aa3b, v11, -v12
	v_rndne_f32_e32 v35, v12
	s_delay_alu instid0(VALU_DEP_1) | instskip(NEXT) | instid1(VALU_DEP_3)
	v_sub_f32_e32 v12, v12, v35
	v_fmac_f32_e32 v34, 0x32a5705f, v11
	v_cmp_ngt_f32_e32 vcc_lo, 0xc2ce8ed0, v11
	s_delay_alu instid0(VALU_DEP_2) | instskip(SKIP_1) | instid1(VALU_DEP_2)
	v_add_f32_e32 v12, v12, v34
	v_cvt_i32_f32_e32 v34, v35
	v_exp_f32_e32 v12, v12
	s_waitcnt_depctr 0xfff
	v_ldexp_f32 v12, v12, v34
	s_delay_alu instid0(VALU_DEP_1) | instskip(SKIP_1) | instid1(VALU_DEP_2)
	v_cndmask_b32_e32 v12, 0, v12, vcc_lo
	v_cmp_nlt_f32_e32 vcc_lo, 0x42b17218, v11
	v_cndmask_b32_e32 v34, 0x7f800000, v12, vcc_lo
	s_delay_alu instid0(VALU_DEP_1) | instskip(NEXT) | instid1(VALU_DEP_1)
	v_add_f32_e32 v35, 1.0, v34
	v_cvt_f64_f32_e32 v[11:12], v35
	s_delay_alu instid0(VALU_DEP_1) | instskip(SKIP_1) | instid1(VALU_DEP_1)
	v_frexp_exp_i32_f64_e32 v11, v[11:12]
	v_frexp_mant_f32_e32 v12, v35
	v_cmp_gt_f32_e32 vcc_lo, 0x3f2aaaab, v12
	v_add_f32_e32 v12, -1.0, v35
	s_delay_alu instid0(VALU_DEP_1) | instskip(SKIP_1) | instid1(VALU_DEP_2)
	v_sub_f32_e32 v37, v12, v35
	v_cmp_gt_f32_e64 s30, 0x33800000, |v34|
	v_add_f32_e32 v37, 1.0, v37
	v_subrev_co_ci_u32_e32 v11, vcc_lo, 0, v11, vcc_lo
	v_cmp_eq_f32_e32 vcc_lo, 0x7f800000, v34
	s_delay_alu instid0(VALU_DEP_2) | instskip(SKIP_2) | instid1(VALU_DEP_2)
	v_sub_nc_u32_e32 v36, 0, v11
	v_cvt_f32_i32_e32 v11, v11
	s_or_b32 vcc_lo, vcc_lo, s30
	v_ldexp_f32 v35, v35, v36
	v_sub_f32_e32 v12, v34, v12
	s_delay_alu instid0(VALU_DEP_1) | instskip(NEXT) | instid1(VALU_DEP_1)
	v_add_f32_e32 v12, v12, v37
	v_ldexp_f32 v12, v12, v36
	s_delay_alu instid0(VALU_DEP_4) | instskip(NEXT) | instid1(VALU_DEP_1)
	v_add_f32_e32 v38, 1.0, v35
	v_add_f32_e32 v37, -1.0, v38
	s_delay_alu instid0(VALU_DEP_1) | instskip(NEXT) | instid1(VALU_DEP_1)
	v_sub_f32_e32 v37, v35, v37
	v_dual_add_f32 v37, v12, v37 :: v_dual_add_f32 v36, -1.0, v35
	s_delay_alu instid0(VALU_DEP_1) | instskip(NEXT) | instid1(VALU_DEP_1)
	v_add_f32_e32 v39, 1.0, v36
	v_sub_f32_e32 v35, v35, v39
	s_delay_alu instid0(VALU_DEP_1) | instskip(NEXT) | instid1(VALU_DEP_1)
	v_dual_add_f32 v39, v38, v37 :: v_dual_add_f32 v12, v12, v35
	v_rcp_f32_e32 v35, v39
	v_sub_f32_e32 v38, v38, v39
	s_delay_alu instid0(VALU_DEP_1) | instskip(SKIP_3) | instid1(VALU_DEP_2)
	v_dual_add_f32 v37, v37, v38 :: v_dual_add_f32 v40, v36, v12
	s_waitcnt_depctr 0xfff
	v_mul_f32_e32 v41, v40, v35
	v_sub_f32_e32 v36, v36, v40
	v_mul_f32_e32 v42, v39, v41
	s_delay_alu instid0(VALU_DEP_1) | instskip(NEXT) | instid1(VALU_DEP_1)
	v_fma_f32 v38, v41, v39, -v42
	v_fmac_f32_e32 v38, v41, v37
	s_delay_alu instid0(VALU_DEP_1) | instskip(NEXT) | instid1(VALU_DEP_1)
	v_dual_add_f32 v43, v42, v38 :: v_dual_add_f32 v12, v12, v36
	v_sub_f32_e32 v44, v40, v43
	v_sub_f32_e32 v36, v43, v42
	s_delay_alu instid0(VALU_DEP_2) | instskip(NEXT) | instid1(VALU_DEP_2)
	v_sub_f32_e32 v40, v40, v44
	v_sub_f32_e32 v36, v36, v38
	s_delay_alu instid0(VALU_DEP_2) | instskip(NEXT) | instid1(VALU_DEP_1)
	v_sub_f32_e32 v40, v40, v43
	v_add_f32_e32 v12, v12, v40
	s_delay_alu instid0(VALU_DEP_1) | instskip(NEXT) | instid1(VALU_DEP_1)
	v_add_f32_e32 v12, v36, v12
	v_add_f32_e32 v36, v44, v12
	s_delay_alu instid0(VALU_DEP_1) | instskip(NEXT) | instid1(VALU_DEP_1)
	v_mul_f32_e32 v38, v35, v36
	v_dual_sub_f32 v43, v44, v36 :: v_dual_mul_f32 v40, v39, v38
	s_delay_alu instid0(VALU_DEP_1) | instskip(NEXT) | instid1(VALU_DEP_2)
	v_add_f32_e32 v12, v12, v43
	v_fma_f32 v39, v38, v39, -v40
	s_delay_alu instid0(VALU_DEP_1) | instskip(NEXT) | instid1(VALU_DEP_1)
	v_fmac_f32_e32 v39, v38, v37
	v_add_f32_e32 v37, v40, v39
	s_delay_alu instid0(VALU_DEP_1) | instskip(SKIP_1) | instid1(VALU_DEP_2)
	v_sub_f32_e32 v42, v36, v37
	v_sub_f32_e32 v40, v37, v40
	v_sub_f32_e32 v36, v36, v42
	s_delay_alu instid0(VALU_DEP_1) | instskip(NEXT) | instid1(VALU_DEP_3)
	v_sub_f32_e32 v36, v36, v37
	v_sub_f32_e32 v37, v40, v39
	s_delay_alu instid0(VALU_DEP_2) | instskip(SKIP_1) | instid1(VALU_DEP_1)
	v_add_f32_e32 v12, v12, v36
	v_add_f32_e32 v36, v41, v38
	v_dual_add_f32 v12, v37, v12 :: v_dual_sub_f32 v37, v36, v41
	s_delay_alu instid0(VALU_DEP_1) | instskip(NEXT) | instid1(VALU_DEP_1)
	v_add_f32_e32 v12, v42, v12
	v_dual_sub_f32 v37, v38, v37 :: v_dual_mul_f32 v12, v35, v12
	s_delay_alu instid0(VALU_DEP_1) | instskip(NEXT) | instid1(VALU_DEP_1)
	v_add_f32_e32 v12, v37, v12
	v_add_f32_e32 v35, v36, v12
	s_delay_alu instid0(VALU_DEP_1) | instskip(NEXT) | instid1(VALU_DEP_1)
	v_mul_f32_e32 v37, v35, v35
	v_fmaak_f32 v38, s8, v37, 0x3ecc95a3
	v_mul_f32_e32 v39, v35, v37
	s_delay_alu instid0(VALU_DEP_2) | instskip(SKIP_2) | instid1(VALU_DEP_3)
	v_fmaak_f32 v37, v37, v38, 0x3f2aaada
	v_ldexp_f32 v38, v35, 1
	v_sub_f32_e32 v35, v35, v36
	v_mul_f32_e32 v37, v39, v37
	v_mul_f32_e32 v39, 0x3f317218, v11
	s_delay_alu instid0(VALU_DEP_3) | instskip(NEXT) | instid1(VALU_DEP_3)
	v_sub_f32_e32 v12, v12, v35
	v_add_f32_e32 v36, v38, v37
	s_delay_alu instid0(VALU_DEP_2) | instskip(NEXT) | instid1(VALU_DEP_2)
	v_ldexp_f32 v12, v12, 1
	v_sub_f32_e32 v35, v36, v38
	v_fma_f32 v38, 0x3f317218, v11, -v39
	s_delay_alu instid0(VALU_DEP_2) | instskip(NEXT) | instid1(VALU_DEP_2)
	v_sub_f32_e32 v35, v37, v35
	v_fmac_f32_e32 v38, 0xb102e308, v11
	s_delay_alu instid0(VALU_DEP_1) | instskip(NEXT) | instid1(VALU_DEP_1)
	v_dual_add_f32 v11, v12, v35 :: v_dual_add_f32 v12, v39, v38
	v_sub_f32_e32 v39, v12, v39
	s_delay_alu instid0(VALU_DEP_2) | instskip(NEXT) | instid1(VALU_DEP_2)
	v_add_f32_e32 v35, v36, v11
	v_sub_f32_e32 v38, v38, v39
	s_delay_alu instid0(VALU_DEP_2) | instskip(NEXT) | instid1(VALU_DEP_1)
	v_dual_add_f32 v37, v12, v35 :: v_dual_sub_f32 v36, v35, v36
	v_sub_f32_e32 v40, v37, v12
	s_delay_alu instid0(VALU_DEP_2) | instskip(NEXT) | instid1(VALU_DEP_2)
	v_sub_f32_e32 v11, v11, v36
	v_sub_f32_e32 v41, v37, v40
	s_delay_alu instid0(VALU_DEP_2) | instskip(NEXT) | instid1(VALU_DEP_2)
	v_dual_sub_f32 v35, v35, v40 :: v_dual_add_f32 v36, v38, v11
	v_sub_f32_e32 v12, v12, v41
	s_delay_alu instid0(VALU_DEP_1) | instskip(NEXT) | instid1(VALU_DEP_1)
	v_dual_add_f32 v12, v35, v12 :: v_dual_sub_f32 v35, v36, v38
	v_add_f32_e32 v12, v36, v12
	s_delay_alu instid0(VALU_DEP_2) | instskip(SKIP_1) | instid1(VALU_DEP_3)
	v_sub_f32_e32 v36, v36, v35
	v_sub_f32_e32 v11, v11, v35
	v_add_f32_e32 v39, v37, v12
	s_delay_alu instid0(VALU_DEP_1) | instskip(NEXT) | instid1(VALU_DEP_1)
	v_dual_sub_f32 v36, v38, v36 :: v_dual_sub_f32 v35, v39, v37
	v_dual_add_f32 v11, v11, v36 :: v_dual_sub_f32 v12, v12, v35
	s_delay_alu instid0(VALU_DEP_1) | instskip(NEXT) | instid1(VALU_DEP_1)
	v_add_f32_e32 v11, v11, v12
	v_add_f32_e32 v11, v39, v11
	s_delay_alu instid0(VALU_DEP_1) | instskip(NEXT) | instid1(VALU_DEP_1)
	v_cndmask_b32_e32 v11, v11, v34, vcc_lo
	v_add_f32_e32 v12, v9, v11
	s_branch .LBB164_102
.LBB164_130:                            ;   in Loop: Header=BB164_103 Depth=1
                                        ; implicit-def: $vgpr12
                                        ; implicit-def: $vgpr10
	s_cbranch_execz .LBB164_103
; %bb.131:
	s_and_saveexec_b32 s8, s7
	s_cbranch_execz .LBB164_135
; %bb.132:
	v_max_f32_e32 v4, v3, v3
	v_max_f32_e32 v5, v31, v31
	v_cmp_u_f32_e32 vcc_lo, v31, v31
	s_delay_alu instid0(VALU_DEP_2) | instskip(NEXT) | instid1(VALU_DEP_1)
	v_min_f32_e32 v6, v5, v4
	v_dual_max_f32 v4, v5, v4 :: v_dual_cndmask_b32 v5, v6, v31
	s_delay_alu instid0(VALU_DEP_1) | instskip(SKIP_1) | instid1(VALU_DEP_3)
	v_cndmask_b32_e32 v4, v4, v31, vcc_lo
	v_cmp_u_f32_e32 vcc_lo, v3, v3
	v_cndmask_b32_e32 v5, v5, v3, vcc_lo
	s_delay_alu instid0(VALU_DEP_3) | instskip(NEXT) | instid1(VALU_DEP_2)
	v_dual_cndmask_b32 v4, v4, v3 :: v_dual_mov_b32 v3, v31
	v_cmp_class_f32_e64 s7, v5, 0x1f8
	s_delay_alu instid0(VALU_DEP_2) | instskip(NEXT) | instid1(VALU_DEP_2)
	v_cmp_neq_f32_e32 vcc_lo, v5, v4
	s_or_b32 s9, vcc_lo, s7
	s_delay_alu instid0(SALU_CYCLE_1)
	s_and_saveexec_b32 s7, s9
	s_cbranch_execz .LBB164_134
; %bb.133:
	v_sub_f32_e32 v3, v5, v4
	s_mov_b32 s9, 0x3e9b6dac
	s_delay_alu instid0(VALU_DEP_1) | instskip(SKIP_1) | instid1(VALU_DEP_2)
	v_mul_f32_e32 v5, 0x3fb8aa3b, v3
	v_cmp_ngt_f32_e32 vcc_lo, 0xc2ce8ed0, v3
	v_fma_f32 v6, 0x3fb8aa3b, v3, -v5
	v_rndne_f32_e32 v9, v5
	s_delay_alu instid0(VALU_DEP_1) | instskip(NEXT) | instid1(VALU_DEP_1)
	v_dual_fmamk_f32 v6, v3, 0x32a5705f, v6 :: v_dual_sub_f32 v5, v5, v9
	v_add_f32_e32 v5, v5, v6
	v_cvt_i32_f32_e32 v6, v9
	s_delay_alu instid0(VALU_DEP_2) | instskip(SKIP_2) | instid1(VALU_DEP_1)
	v_exp_f32_e32 v5, v5
	s_waitcnt_depctr 0xfff
	v_ldexp_f32 v5, v5, v6
	v_cndmask_b32_e32 v5, 0, v5, vcc_lo
	v_cmp_nlt_f32_e32 vcc_lo, 0x42b17218, v3
	s_delay_alu instid0(VALU_DEP_2) | instskip(NEXT) | instid1(VALU_DEP_1)
	v_cndmask_b32_e32 v3, 0x7f800000, v5, vcc_lo
	v_add_f32_e32 v9, 1.0, v3
	s_delay_alu instid0(VALU_DEP_1) | instskip(NEXT) | instid1(VALU_DEP_1)
	v_cvt_f64_f32_e32 v[5:6], v9
	v_frexp_exp_i32_f64_e32 v5, v[5:6]
	v_frexp_mant_f32_e32 v6, v9
	s_delay_alu instid0(VALU_DEP_1) | instskip(SKIP_1) | instid1(VALU_DEP_1)
	v_cmp_gt_f32_e32 vcc_lo, 0x3f2aaaab, v6
	v_add_f32_e32 v6, -1.0, v9
	v_dual_sub_f32 v11, v6, v9 :: v_dual_sub_f32 v6, v3, v6
	v_subrev_co_ci_u32_e32 v5, vcc_lo, 0, v5, vcc_lo
	s_delay_alu instid0(VALU_DEP_1) | instskip(SKIP_1) | instid1(VALU_DEP_2)
	v_sub_nc_u32_e32 v10, 0, v5
	v_cvt_f32_i32_e32 v5, v5
	v_ldexp_f32 v9, v9, v10
	s_delay_alu instid0(VALU_DEP_1) | instskip(NEXT) | instid1(VALU_DEP_1)
	v_dual_add_f32 v11, 1.0, v11 :: v_dual_add_f32 v12, 1.0, v9
	v_add_f32_e32 v6, v6, v11
	s_delay_alu instid0(VALU_DEP_1) | instskip(NEXT) | instid1(VALU_DEP_3)
	v_ldexp_f32 v6, v6, v10
	v_dual_add_f32 v10, -1.0, v9 :: v_dual_add_f32 v11, -1.0, v12
	s_delay_alu instid0(VALU_DEP_1) | instskip(NEXT) | instid1(VALU_DEP_2)
	v_add_f32_e32 v23, 1.0, v10
	v_sub_f32_e32 v11, v9, v11
	s_delay_alu instid0(VALU_DEP_2) | instskip(NEXT) | instid1(VALU_DEP_2)
	v_sub_f32_e32 v9, v9, v23
	v_add_f32_e32 v11, v6, v11
	s_delay_alu instid0(VALU_DEP_1) | instskip(NEXT) | instid1(VALU_DEP_1)
	v_dual_add_f32 v6, v6, v9 :: v_dual_add_f32 v23, v12, v11
	v_add_f32_e32 v24, v10, v6
	s_delay_alu instid0(VALU_DEP_2) | instskip(SKIP_2) | instid1(VALU_DEP_3)
	v_rcp_f32_e32 v9, v23
	v_sub_f32_e32 v12, v12, v23
	v_cmp_eq_f32_e32 vcc_lo, 0x7f800000, v3
	v_sub_f32_e32 v10, v10, v24
	s_delay_alu instid0(VALU_DEP_1) | instskip(SKIP_2) | instid1(VALU_DEP_1)
	v_dual_add_f32 v11, v11, v12 :: v_dual_add_f32 v6, v6, v10
	s_waitcnt_depctr 0xfff
	v_mul_f32_e32 v25, v24, v9
	v_mul_f32_e32 v26, v23, v25
	s_delay_alu instid0(VALU_DEP_1) | instskip(NEXT) | instid1(VALU_DEP_1)
	v_fma_f32 v12, v25, v23, -v26
	v_fmac_f32_e32 v12, v25, v11
	s_delay_alu instid0(VALU_DEP_1) | instskip(NEXT) | instid1(VALU_DEP_1)
	v_add_f32_e32 v27, v26, v12
	v_sub_f32_e32 v28, v24, v27
	v_sub_f32_e32 v10, v27, v26
	s_delay_alu instid0(VALU_DEP_2) | instskip(NEXT) | instid1(VALU_DEP_2)
	v_sub_f32_e32 v24, v24, v28
	v_sub_f32_e32 v10, v10, v12
	s_delay_alu instid0(VALU_DEP_2) | instskip(NEXT) | instid1(VALU_DEP_1)
	v_sub_f32_e32 v24, v24, v27
	v_add_f32_e32 v6, v6, v24
	s_delay_alu instid0(VALU_DEP_1) | instskip(NEXT) | instid1(VALU_DEP_1)
	v_add_f32_e32 v6, v10, v6
	v_add_f32_e32 v10, v28, v6
	s_delay_alu instid0(VALU_DEP_1) | instskip(NEXT) | instid1(VALU_DEP_1)
	v_mul_f32_e32 v12, v9, v10
	v_dual_sub_f32 v27, v28, v10 :: v_dual_mul_f32 v24, v23, v12
	s_delay_alu instid0(VALU_DEP_1) | instskip(NEXT) | instid1(VALU_DEP_1)
	v_fma_f32 v23, v12, v23, -v24
	v_fmac_f32_e32 v23, v12, v11
	s_delay_alu instid0(VALU_DEP_1) | instskip(NEXT) | instid1(VALU_DEP_4)
	v_add_f32_e32 v11, v24, v23
	v_add_f32_e32 v6, v6, v27
	s_delay_alu instid0(VALU_DEP_2) | instskip(SKIP_1) | instid1(VALU_DEP_2)
	v_sub_f32_e32 v26, v10, v11
	v_sub_f32_e32 v24, v11, v24
	;; [unrolled: 1-line block ×3, first 2 shown]
	s_delay_alu instid0(VALU_DEP_1) | instskip(NEXT) | instid1(VALU_DEP_1)
	v_sub_f32_e32 v10, v10, v11
	v_dual_sub_f32 v11, v24, v23 :: v_dual_add_f32 v6, v6, v10
	v_add_f32_e32 v10, v25, v12
	s_delay_alu instid0(VALU_DEP_1) | instskip(NEXT) | instid1(VALU_DEP_1)
	v_dual_add_f32 v6, v11, v6 :: v_dual_sub_f32 v11, v10, v25
	v_dual_add_f32 v6, v26, v6 :: v_dual_sub_f32 v11, v12, v11
	s_delay_alu instid0(VALU_DEP_1) | instskip(NEXT) | instid1(VALU_DEP_1)
	v_mul_f32_e32 v6, v9, v6
	v_add_f32_e32 v6, v11, v6
	s_delay_alu instid0(VALU_DEP_1) | instskip(NEXT) | instid1(VALU_DEP_1)
	v_add_f32_e32 v9, v10, v6
	v_mul_f32_e32 v11, v9, v9
	s_delay_alu instid0(VALU_DEP_1) | instskip(SKIP_2) | instid1(VALU_DEP_3)
	v_fmaak_f32 v12, s9, v11, 0x3ecc95a3
	v_mul_f32_e32 v23, v9, v11
	v_cmp_gt_f32_e64 s9, 0x33800000, |v3|
	v_fmaak_f32 v11, v11, v12, 0x3f2aaada
	v_ldexp_f32 v12, v9, 1
	s_delay_alu instid0(VALU_DEP_3) | instskip(NEXT) | instid1(VALU_DEP_2)
	s_or_b32 vcc_lo, vcc_lo, s9
	v_mul_f32_e32 v11, v23, v11
	v_sub_f32_e32 v9, v9, v10
	s_delay_alu instid0(VALU_DEP_2) | instskip(NEXT) | instid1(VALU_DEP_2)
	v_dual_mul_f32 v23, 0x3f317218, v5 :: v_dual_add_f32 v10, v12, v11
	v_sub_f32_e32 v6, v6, v9
	s_delay_alu instid0(VALU_DEP_2) | instskip(NEXT) | instid1(VALU_DEP_3)
	v_sub_f32_e32 v9, v10, v12
	v_fma_f32 v12, 0x3f317218, v5, -v23
	s_delay_alu instid0(VALU_DEP_3) | instskip(NEXT) | instid1(VALU_DEP_3)
	v_ldexp_f32 v6, v6, 1
	v_sub_f32_e32 v9, v11, v9
	s_delay_alu instid0(VALU_DEP_1) | instskip(NEXT) | instid1(VALU_DEP_1)
	v_dual_fmamk_f32 v5, v5, 0xb102e308, v12 :: v_dual_add_f32 v6, v6, v9
	v_add_f32_e32 v9, v23, v5
	s_delay_alu instid0(VALU_DEP_2) | instskip(NEXT) | instid1(VALU_DEP_2)
	v_add_f32_e32 v11, v10, v6
	v_sub_f32_e32 v23, v9, v23
	s_delay_alu instid0(VALU_DEP_2) | instskip(NEXT) | instid1(VALU_DEP_1)
	v_add_f32_e32 v12, v9, v11
	v_dual_sub_f32 v5, v5, v23 :: v_dual_sub_f32 v24, v12, v9
	s_delay_alu instid0(VALU_DEP_1) | instskip(NEXT) | instid1(VALU_DEP_1)
	v_sub_f32_e32 v25, v12, v24
	v_dual_sub_f32 v9, v9, v25 :: v_dual_sub_f32 v10, v11, v10
	s_delay_alu instid0(VALU_DEP_1) | instskip(NEXT) | instid1(VALU_DEP_1)
	v_sub_f32_e32 v6, v6, v10
	v_dual_sub_f32 v10, v11, v24 :: v_dual_add_f32 v11, v5, v6
	s_delay_alu instid0(VALU_DEP_1) | instskip(NEXT) | instid1(VALU_DEP_2)
	v_add_f32_e32 v9, v10, v9
	v_sub_f32_e32 v10, v11, v5
	s_delay_alu instid0(VALU_DEP_2) | instskip(NEXT) | instid1(VALU_DEP_2)
	v_add_f32_e32 v9, v11, v9
	v_sub_f32_e32 v11, v11, v10
	s_delay_alu instid0(VALU_DEP_1) | instskip(NEXT) | instid1(VALU_DEP_3)
	v_sub_f32_e32 v5, v5, v11
	v_dual_add_f32 v23, v12, v9 :: v_dual_sub_f32 v6, v6, v10
	s_delay_alu instid0(VALU_DEP_1) | instskip(NEXT) | instid1(VALU_DEP_1)
	v_dual_sub_f32 v10, v23, v12 :: v_dual_add_f32 v5, v6, v5
	v_sub_f32_e32 v6, v9, v10
	s_delay_alu instid0(VALU_DEP_1) | instskip(NEXT) | instid1(VALU_DEP_1)
	v_add_f32_e32 v5, v5, v6
	v_add_f32_e32 v5, v23, v5
	s_delay_alu instid0(VALU_DEP_1) | instskip(NEXT) | instid1(VALU_DEP_1)
	v_cndmask_b32_e32 v3, v5, v3, vcc_lo
	v_add_f32_e32 v3, v4, v3
.LBB164_134:
	s_or_b32 exec_lo, exec_lo, s7
	s_add_i32 s30, s28, 32
	s_mov_b32 s31, 0
	v_dual_mov_b32 v5, 0 :: v_dual_mov_b32 v4, 2
	s_lshl_b64 s[30:31], s[30:31], 3
	s_delay_alu instid0(SALU_CYCLE_1)
	s_add_u32 s30, s10, s30
	s_addc_u32 s31, s11, s31
	global_store_b64 v5, v[3:4], s[30:31]
.LBB164_135:
	s_or_b32 exec_lo, exec_lo, s8
	s_delay_alu instid0(SALU_CYCLE_1)
	s_and_b32 exec_lo, exec_lo, s3
	s_cbranch_execz .LBB164_137
; %bb.136:
	v_mov_b32_e32 v3, 0
	ds_store_b32 v3, v31
.LBB164_137:
	s_or_b32 exec_lo, exec_lo, s29
	v_dual_mov_b32 v3, 0 :: v_dual_mov_b32 v4, v1
	s_waitcnt lgkmcnt(0)
	s_waitcnt_vscnt null, 0x0
	s_barrier
	buffer_gl0_inv
	ds_load_b32 v3, v3
	s_and_saveexec_b32 s7, s2
	s_cbranch_execz .LBB164_141
; %bb.138:
	v_max_f32_e32 v4, v22, v22
	v_cmp_u_f32_e32 vcc_lo, v22, v22
	s_delay_alu instid0(VALU_DEP_2) | instskip(NEXT) | instid1(VALU_DEP_1)
	v_min_f32_e32 v5, v4, v21
	v_dual_max_f32 v4, v4, v21 :: v_dual_cndmask_b32 v5, v5, v22
	s_delay_alu instid0(VALU_DEP_1) | instskip(NEXT) | instid1(VALU_DEP_2)
	v_cndmask_b32_e32 v4, v4, v22, vcc_lo
	v_cndmask_b32_e64 v5, v5, v1, s6
	s_delay_alu instid0(VALU_DEP_2) | instskip(NEXT) | instid1(VALU_DEP_2)
	v_cndmask_b32_e64 v4, v4, v1, s6
	v_cmp_class_f32_e64 s6, v5, 0x1f8
	s_delay_alu instid0(VALU_DEP_2) | instskip(NEXT) | instid1(VALU_DEP_2)
	v_cmp_neq_f32_e32 vcc_lo, v5, v4
	s_or_b32 s8, vcc_lo, s6
	s_delay_alu instid0(SALU_CYCLE_1)
	s_and_saveexec_b32 s6, s8
	s_cbranch_execz .LBB164_140
; %bb.139:
	v_sub_f32_e32 v5, v5, v4
	s_mov_b32 s8, 0x3e9b6dac
	s_delay_alu instid0(VALU_DEP_1) | instskip(NEXT) | instid1(VALU_DEP_1)
	v_mul_f32_e32 v6, 0x3fb8aa3b, v5
	v_fma_f32 v9, 0x3fb8aa3b, v5, -v6
	v_rndne_f32_e32 v10, v6
	s_delay_alu instid0(VALU_DEP_1) | instskip(SKIP_1) | instid1(VALU_DEP_4)
	v_sub_f32_e32 v6, v6, v10
	v_cmp_ngt_f32_e32 vcc_lo, 0xc2ce8ed0, v5
	v_fmamk_f32 v9, v5, 0x32a5705f, v9
	s_delay_alu instid0(VALU_DEP_1) | instskip(SKIP_1) | instid1(VALU_DEP_2)
	v_add_f32_e32 v6, v6, v9
	v_cvt_i32_f32_e32 v9, v10
	v_exp_f32_e32 v6, v6
	s_waitcnt_depctr 0xfff
	v_ldexp_f32 v6, v6, v9
	s_delay_alu instid0(VALU_DEP_1) | instskip(SKIP_1) | instid1(VALU_DEP_2)
	v_cndmask_b32_e32 v6, 0, v6, vcc_lo
	v_cmp_nlt_f32_e32 vcc_lo, 0x42b17218, v5
	v_cndmask_b32_e32 v9, 0x7f800000, v6, vcc_lo
	s_delay_alu instid0(VALU_DEP_1) | instskip(NEXT) | instid1(VALU_DEP_1)
	v_add_f32_e32 v10, 1.0, v9
	v_cvt_f64_f32_e32 v[5:6], v10
	s_delay_alu instid0(VALU_DEP_1) | instskip(SKIP_1) | instid1(VALU_DEP_1)
	v_frexp_exp_i32_f64_e32 v5, v[5:6]
	v_frexp_mant_f32_e32 v6, v10
	v_cmp_gt_f32_e32 vcc_lo, 0x3f2aaaab, v6
	v_add_f32_e32 v6, -1.0, v10
	s_delay_alu instid0(VALU_DEP_1) | instskip(NEXT) | instid1(VALU_DEP_1)
	v_sub_f32_e32 v12, v6, v10
	v_add_f32_e32 v12, 1.0, v12
	v_sub_f32_e32 v6, v9, v6
	v_subrev_co_ci_u32_e32 v5, vcc_lo, 0, v5, vcc_lo
	v_cmp_eq_f32_e32 vcc_lo, 0x7f800000, v9
	s_delay_alu instid0(VALU_DEP_2) | instskip(SKIP_1) | instid1(VALU_DEP_2)
	v_sub_nc_u32_e32 v11, 0, v5
	v_cvt_f32_i32_e32 v5, v5
	v_ldexp_f32 v10, v10, v11
	s_delay_alu instid0(VALU_DEP_1) | instskip(NEXT) | instid1(VALU_DEP_1)
	v_dual_add_f32 v21, 1.0, v10 :: v_dual_add_f32 v6, v6, v12
	v_add_f32_e32 v12, -1.0, v21
	s_delay_alu instid0(VALU_DEP_2) | instskip(NEXT) | instid1(VALU_DEP_2)
	v_ldexp_f32 v6, v6, v11
	v_dual_add_f32 v11, -1.0, v10 :: v_dual_sub_f32 v12, v10, v12
	s_delay_alu instid0(VALU_DEP_1) | instskip(NEXT) | instid1(VALU_DEP_2)
	v_add_f32_e32 v22, 1.0, v11
	v_add_f32_e32 v12, v6, v12
	s_delay_alu instid0(VALU_DEP_2) | instskip(NEXT) | instid1(VALU_DEP_2)
	v_sub_f32_e32 v10, v10, v22
	v_add_f32_e32 v22, v21, v12
	s_delay_alu instid0(VALU_DEP_2) | instskip(NEXT) | instid1(VALU_DEP_2)
	v_add_f32_e32 v6, v6, v10
	v_rcp_f32_e32 v10, v22
	v_sub_f32_e32 v21, v21, v22
	s_delay_alu instid0(VALU_DEP_1) | instskip(NEXT) | instid1(VALU_DEP_1)
	v_dual_add_f32 v23, v11, v6 :: v_dual_add_f32 v12, v12, v21
	v_sub_f32_e32 v11, v11, v23
	s_waitcnt_depctr 0xfff
	v_mul_f32_e32 v24, v23, v10
	v_add_f32_e32 v6, v6, v11
	s_delay_alu instid0(VALU_DEP_2) | instskip(NEXT) | instid1(VALU_DEP_1)
	v_mul_f32_e32 v25, v22, v24
	v_fma_f32 v21, v24, v22, -v25
	s_delay_alu instid0(VALU_DEP_1) | instskip(NEXT) | instid1(VALU_DEP_1)
	v_fmac_f32_e32 v21, v24, v12
	v_add_f32_e32 v26, v25, v21
	s_delay_alu instid0(VALU_DEP_1) | instskip(SKIP_1) | instid1(VALU_DEP_2)
	v_sub_f32_e32 v27, v23, v26
	v_sub_f32_e32 v11, v26, v25
	;; [unrolled: 1-line block ×3, first 2 shown]
	s_delay_alu instid0(VALU_DEP_2) | instskip(NEXT) | instid1(VALU_DEP_2)
	v_sub_f32_e32 v11, v11, v21
	v_sub_f32_e32 v23, v23, v26
	s_delay_alu instid0(VALU_DEP_1) | instskip(NEXT) | instid1(VALU_DEP_1)
	v_add_f32_e32 v6, v6, v23
	v_add_f32_e32 v6, v11, v6
	s_delay_alu instid0(VALU_DEP_1) | instskip(NEXT) | instid1(VALU_DEP_1)
	v_add_f32_e32 v11, v27, v6
	v_mul_f32_e32 v21, v10, v11
	s_delay_alu instid0(VALU_DEP_1) | instskip(NEXT) | instid1(VALU_DEP_1)
	v_dual_sub_f32 v26, v27, v11 :: v_dual_mul_f32 v23, v22, v21
	v_add_f32_e32 v6, v6, v26
	s_delay_alu instid0(VALU_DEP_2) | instskip(NEXT) | instid1(VALU_DEP_1)
	v_fma_f32 v22, v21, v22, -v23
	v_fmac_f32_e32 v22, v21, v12
	s_delay_alu instid0(VALU_DEP_1) | instskip(NEXT) | instid1(VALU_DEP_1)
	v_add_f32_e32 v12, v23, v22
	v_sub_f32_e32 v25, v11, v12
	v_sub_f32_e32 v23, v12, v23
	s_delay_alu instid0(VALU_DEP_2) | instskip(NEXT) | instid1(VALU_DEP_1)
	v_sub_f32_e32 v11, v11, v25
	v_sub_f32_e32 v11, v11, v12
	s_delay_alu instid0(VALU_DEP_1) | instskip(NEXT) | instid1(VALU_DEP_4)
	v_dual_add_f32 v6, v6, v11 :: v_dual_add_f32 v11, v24, v21
	v_sub_f32_e32 v12, v23, v22
	s_delay_alu instid0(VALU_DEP_1) | instskip(NEXT) | instid1(VALU_DEP_3)
	v_add_f32_e32 v6, v12, v6
	v_sub_f32_e32 v12, v11, v24
	s_delay_alu instid0(VALU_DEP_2) | instskip(NEXT) | instid1(VALU_DEP_2)
	v_add_f32_e32 v6, v25, v6
	v_sub_f32_e32 v12, v21, v12
	s_delay_alu instid0(VALU_DEP_2) | instskip(NEXT) | instid1(VALU_DEP_1)
	v_mul_f32_e32 v6, v10, v6
	v_add_f32_e32 v6, v12, v6
	s_delay_alu instid0(VALU_DEP_1) | instskip(NEXT) | instid1(VALU_DEP_1)
	v_add_f32_e32 v10, v11, v6
	v_mul_f32_e32 v12, v10, v10
	s_delay_alu instid0(VALU_DEP_1) | instskip(SKIP_2) | instid1(VALU_DEP_3)
	v_fmaak_f32 v21, s8, v12, 0x3ecc95a3
	v_mul_f32_e32 v22, v10, v12
	v_cmp_gt_f32_e64 s8, 0x33800000, |v9|
	v_fmaak_f32 v12, v12, v21, 0x3f2aaada
	v_ldexp_f32 v21, v10, 1
	v_sub_f32_e32 v10, v10, v11
	s_delay_alu instid0(VALU_DEP_4) | instskip(NEXT) | instid1(VALU_DEP_3)
	s_or_b32 vcc_lo, vcc_lo, s8
	v_mul_f32_e32 v12, v22, v12
	v_mul_f32_e32 v22, 0x3f317218, v5
	s_delay_alu instid0(VALU_DEP_2) | instskip(NEXT) | instid1(VALU_DEP_1)
	v_dual_sub_f32 v6, v6, v10 :: v_dual_add_f32 v11, v21, v12
	v_ldexp_f32 v6, v6, 1
	s_delay_alu instid0(VALU_DEP_2) | instskip(NEXT) | instid1(VALU_DEP_4)
	v_sub_f32_e32 v10, v11, v21
	v_fma_f32 v21, 0x3f317218, v5, -v22
	s_delay_alu instid0(VALU_DEP_1) | instskip(NEXT) | instid1(VALU_DEP_1)
	v_dual_sub_f32 v10, v12, v10 :: v_dual_fmamk_f32 v5, v5, 0xb102e308, v21
	v_add_f32_e32 v6, v6, v10
	s_delay_alu instid0(VALU_DEP_2) | instskip(NEXT) | instid1(VALU_DEP_2)
	v_add_f32_e32 v10, v22, v5
	v_add_f32_e32 v12, v11, v6
	s_delay_alu instid0(VALU_DEP_2) | instskip(NEXT) | instid1(VALU_DEP_2)
	v_sub_f32_e32 v22, v10, v22
	v_add_f32_e32 v21, v10, v12
	v_sub_f32_e32 v11, v12, v11
	s_delay_alu instid0(VALU_DEP_3) | instskip(NEXT) | instid1(VALU_DEP_2)
	v_sub_f32_e32 v5, v5, v22
	v_dual_sub_f32 v23, v21, v10 :: v_dual_sub_f32 v6, v6, v11
	s_delay_alu instid0(VALU_DEP_1) | instskip(NEXT) | instid1(VALU_DEP_2)
	v_sub_f32_e32 v24, v21, v23
	v_dual_sub_f32 v11, v12, v23 :: v_dual_add_f32 v12, v5, v6
	s_delay_alu instid0(VALU_DEP_2) | instskip(NEXT) | instid1(VALU_DEP_1)
	v_sub_f32_e32 v10, v10, v24
	v_dual_add_f32 v10, v11, v10 :: v_dual_sub_f32 v11, v12, v5
	s_delay_alu instid0(VALU_DEP_1) | instskip(NEXT) | instid1(VALU_DEP_2)
	v_add_f32_e32 v10, v12, v10
	v_sub_f32_e32 v12, v12, v11
	v_sub_f32_e32 v6, v6, v11
	s_delay_alu instid0(VALU_DEP_3) | instskip(NEXT) | instid1(VALU_DEP_3)
	v_add_f32_e32 v22, v21, v10
	v_sub_f32_e32 v5, v5, v12
	s_delay_alu instid0(VALU_DEP_2) | instskip(NEXT) | instid1(VALU_DEP_2)
	v_sub_f32_e32 v11, v22, v21
	v_add_f32_e32 v5, v6, v5
	s_delay_alu instid0(VALU_DEP_2) | instskip(NEXT) | instid1(VALU_DEP_1)
	v_sub_f32_e32 v6, v10, v11
	v_add_f32_e32 v5, v5, v6
	s_delay_alu instid0(VALU_DEP_1) | instskip(NEXT) | instid1(VALU_DEP_1)
	v_add_f32_e32 v5, v22, v5
	v_cndmask_b32_e32 v5, v5, v9, vcc_lo
	s_delay_alu instid0(VALU_DEP_1)
	v_add_f32_e32 v22, v4, v5
.LBB164_140:
	s_or_b32 exec_lo, exec_lo, s6
	s_delay_alu instid0(VALU_DEP_1)
	v_mov_b32_e32 v4, v22
.LBB164_141:
	s_or_b32 exec_lo, exec_lo, s7
	s_waitcnt lgkmcnt(0)
	s_delay_alu instid0(VALU_DEP_1) | instskip(SKIP_1) | instid1(VALU_DEP_2)
	v_dual_max_f32 v5, v4, v4 :: v_dual_max_f32 v6, v3, v3
	v_cmp_u_f32_e32 vcc_lo, v3, v3
	v_min_f32_e32 v9, v6, v5
	s_delay_alu instid0(VALU_DEP_1) | instskip(NEXT) | instid1(VALU_DEP_1)
	v_dual_max_f32 v5, v6, v5 :: v_dual_cndmask_b32 v6, v9, v3
	v_cndmask_b32_e32 v9, v5, v3, vcc_lo
	v_cmp_u_f32_e32 vcc_lo, v4, v4
	s_delay_alu instid0(VALU_DEP_3) | instskip(NEXT) | instid1(VALU_DEP_3)
	v_cndmask_b32_e32 v5, v6, v4, vcc_lo
	v_cndmask_b32_e32 v4, v9, v4, vcc_lo
	s_delay_alu instid0(VALU_DEP_2) | instskip(NEXT) | instid1(VALU_DEP_2)
	v_cmp_class_f32_e64 s6, v5, 0x1f8
	v_cmp_neq_f32_e32 vcc_lo, v5, v4
	s_delay_alu instid0(VALU_DEP_2) | instskip(NEXT) | instid1(SALU_CYCLE_1)
	s_or_b32 s7, vcc_lo, s6
	s_and_saveexec_b32 s6, s7
	s_cbranch_execz .LBB164_143
; %bb.142:
	v_sub_f32_e32 v3, v5, v4
	s_mov_b32 s7, 0x3e9b6dac
	s_delay_alu instid0(VALU_DEP_1) | instskip(SKIP_1) | instid1(VALU_DEP_2)
	v_mul_f32_e32 v5, 0x3fb8aa3b, v3
	v_cmp_ngt_f32_e32 vcc_lo, 0xc2ce8ed0, v3
	v_fma_f32 v6, 0x3fb8aa3b, v3, -v5
	v_rndne_f32_e32 v9, v5
	s_delay_alu instid0(VALU_DEP_1) | instskip(NEXT) | instid1(VALU_DEP_1)
	v_dual_fmamk_f32 v6, v3, 0x32a5705f, v6 :: v_dual_sub_f32 v5, v5, v9
	v_add_f32_e32 v5, v5, v6
	v_cvt_i32_f32_e32 v6, v9
	s_delay_alu instid0(VALU_DEP_2) | instskip(SKIP_2) | instid1(VALU_DEP_1)
	v_exp_f32_e32 v5, v5
	s_waitcnt_depctr 0xfff
	v_ldexp_f32 v5, v5, v6
	v_cndmask_b32_e32 v5, 0, v5, vcc_lo
	v_cmp_nlt_f32_e32 vcc_lo, 0x42b17218, v3
	s_delay_alu instid0(VALU_DEP_2) | instskip(NEXT) | instid1(VALU_DEP_1)
	v_cndmask_b32_e32 v3, 0x7f800000, v5, vcc_lo
	v_add_f32_e32 v9, 1.0, v3
	s_delay_alu instid0(VALU_DEP_1) | instskip(NEXT) | instid1(VALU_DEP_1)
	v_cvt_f64_f32_e32 v[5:6], v9
	v_frexp_exp_i32_f64_e32 v5, v[5:6]
	v_frexp_mant_f32_e32 v6, v9
	s_delay_alu instid0(VALU_DEP_1) | instskip(SKIP_1) | instid1(VALU_DEP_1)
	v_cmp_gt_f32_e32 vcc_lo, 0x3f2aaaab, v6
	v_add_f32_e32 v6, -1.0, v9
	v_dual_sub_f32 v11, v6, v9 :: v_dual_sub_f32 v6, v3, v6
	v_subrev_co_ci_u32_e32 v5, vcc_lo, 0, v5, vcc_lo
	s_delay_alu instid0(VALU_DEP_1) | instskip(SKIP_1) | instid1(VALU_DEP_2)
	v_sub_nc_u32_e32 v10, 0, v5
	v_cvt_f32_i32_e32 v5, v5
	v_ldexp_f32 v9, v9, v10
	s_delay_alu instid0(VALU_DEP_1) | instskip(NEXT) | instid1(VALU_DEP_1)
	v_dual_add_f32 v11, 1.0, v11 :: v_dual_add_f32 v12, 1.0, v9
	v_add_f32_e32 v6, v6, v11
	s_delay_alu instid0(VALU_DEP_1) | instskip(NEXT) | instid1(VALU_DEP_3)
	v_ldexp_f32 v6, v6, v10
	v_dual_add_f32 v10, -1.0, v9 :: v_dual_add_f32 v11, -1.0, v12
	s_delay_alu instid0(VALU_DEP_1) | instskip(NEXT) | instid1(VALU_DEP_2)
	v_add_f32_e32 v21, 1.0, v10
	v_sub_f32_e32 v11, v9, v11
	s_delay_alu instid0(VALU_DEP_2) | instskip(NEXT) | instid1(VALU_DEP_2)
	v_sub_f32_e32 v9, v9, v21
	v_add_f32_e32 v11, v6, v11
	s_delay_alu instid0(VALU_DEP_2) | instskip(NEXT) | instid1(VALU_DEP_1)
	v_add_f32_e32 v6, v6, v9
	v_dual_add_f32 v22, v10, v6 :: v_dual_add_f32 v21, v12, v11
	v_cmp_eq_f32_e32 vcc_lo, 0x7f800000, v3
	s_delay_alu instid0(VALU_DEP_2) | instskip(NEXT) | instid1(VALU_DEP_3)
	v_sub_f32_e32 v10, v10, v22
	v_rcp_f32_e32 v9, v21
	v_sub_f32_e32 v12, v12, v21
	s_delay_alu instid0(VALU_DEP_1) | instskip(SKIP_2) | instid1(VALU_DEP_1)
	v_dual_add_f32 v6, v6, v10 :: v_dual_add_f32 v11, v11, v12
	s_waitcnt_depctr 0xfff
	v_mul_f32_e32 v23, v22, v9
	v_mul_f32_e32 v24, v21, v23
	s_delay_alu instid0(VALU_DEP_1) | instskip(NEXT) | instid1(VALU_DEP_1)
	v_fma_f32 v12, v23, v21, -v24
	v_fmac_f32_e32 v12, v23, v11
	s_delay_alu instid0(VALU_DEP_1) | instskip(NEXT) | instid1(VALU_DEP_1)
	v_add_f32_e32 v25, v24, v12
	v_sub_f32_e32 v26, v22, v25
	s_delay_alu instid0(VALU_DEP_1) | instskip(NEXT) | instid1(VALU_DEP_1)
	v_sub_f32_e32 v22, v22, v26
	v_sub_f32_e32 v22, v22, v25
	s_delay_alu instid0(VALU_DEP_1) | instskip(SKIP_1) | instid1(VALU_DEP_1)
	v_add_f32_e32 v6, v6, v22
	v_sub_f32_e32 v10, v25, v24
	v_sub_f32_e32 v10, v10, v12
	s_delay_alu instid0(VALU_DEP_1) | instskip(NEXT) | instid1(VALU_DEP_1)
	v_add_f32_e32 v6, v10, v6
	v_add_f32_e32 v10, v26, v6
	s_delay_alu instid0(VALU_DEP_1) | instskip(NEXT) | instid1(VALU_DEP_1)
	v_mul_f32_e32 v12, v9, v10
	v_dual_sub_f32 v25, v26, v10 :: v_dual_mul_f32 v22, v21, v12
	s_delay_alu instid0(VALU_DEP_1) | instskip(NEXT) | instid1(VALU_DEP_2)
	v_add_f32_e32 v6, v6, v25
	v_fma_f32 v21, v12, v21, -v22
	s_delay_alu instid0(VALU_DEP_1) | instskip(NEXT) | instid1(VALU_DEP_1)
	v_fmac_f32_e32 v21, v12, v11
	v_add_f32_e32 v11, v22, v21
	s_delay_alu instid0(VALU_DEP_1) | instskip(NEXT) | instid1(VALU_DEP_1)
	v_sub_f32_e32 v24, v10, v11
	v_sub_f32_e32 v10, v10, v24
	s_delay_alu instid0(VALU_DEP_1) | instskip(NEXT) | instid1(VALU_DEP_1)
	v_sub_f32_e32 v10, v10, v11
	v_add_f32_e32 v6, v6, v10
	v_add_f32_e32 v10, v23, v12
	v_sub_f32_e32 v22, v11, v22
	s_delay_alu instid0(VALU_DEP_1) | instskip(NEXT) | instid1(VALU_DEP_1)
	v_sub_f32_e32 v11, v22, v21
	v_dual_add_f32 v6, v11, v6 :: v_dual_sub_f32 v11, v10, v23
	s_delay_alu instid0(VALU_DEP_1) | instskip(NEXT) | instid1(VALU_DEP_1)
	v_add_f32_e32 v6, v24, v6
	v_dual_sub_f32 v11, v12, v11 :: v_dual_mul_f32 v6, v9, v6
	s_delay_alu instid0(VALU_DEP_1) | instskip(NEXT) | instid1(VALU_DEP_1)
	v_add_f32_e32 v6, v11, v6
	v_add_f32_e32 v9, v10, v6
	s_delay_alu instid0(VALU_DEP_1) | instskip(NEXT) | instid1(VALU_DEP_1)
	v_mul_f32_e32 v11, v9, v9
	v_fmaak_f32 v12, s7, v11, 0x3ecc95a3
	v_mul_f32_e32 v21, v9, v11
	v_cmp_gt_f32_e64 s7, 0x33800000, |v3|
	s_delay_alu instid0(VALU_DEP_3) | instskip(SKIP_2) | instid1(VALU_DEP_4)
	v_fmaak_f32 v11, v11, v12, 0x3f2aaada
	v_ldexp_f32 v12, v9, 1
	v_sub_f32_e32 v9, v9, v10
	s_or_b32 vcc_lo, vcc_lo, s7
	s_delay_alu instid0(VALU_DEP_3) | instskip(SKIP_1) | instid1(VALU_DEP_3)
	v_mul_f32_e32 v11, v21, v11
	v_mul_f32_e32 v21, 0x3f317218, v5
	v_sub_f32_e32 v6, v6, v9
	s_delay_alu instid0(VALU_DEP_3) | instskip(NEXT) | instid1(VALU_DEP_2)
	v_add_f32_e32 v10, v12, v11
	v_ldexp_f32 v6, v6, 1
	s_delay_alu instid0(VALU_DEP_2) | instskip(SKIP_1) | instid1(VALU_DEP_2)
	v_sub_f32_e32 v9, v10, v12
	v_fma_f32 v12, 0x3f317218, v5, -v21
	v_sub_f32_e32 v9, v11, v9
	s_delay_alu instid0(VALU_DEP_1) | instskip(NEXT) | instid1(VALU_DEP_1)
	v_dual_fmamk_f32 v5, v5, 0xb102e308, v12 :: v_dual_add_f32 v6, v6, v9
	v_add_f32_e32 v9, v21, v5
	s_delay_alu instid0(VALU_DEP_2) | instskip(NEXT) | instid1(VALU_DEP_1)
	v_add_f32_e32 v11, v10, v6
	v_add_f32_e32 v12, v9, v11
	s_delay_alu instid0(VALU_DEP_1) | instskip(SKIP_1) | instid1(VALU_DEP_2)
	v_sub_f32_e32 v22, v12, v9
	v_dual_sub_f32 v21, v9, v21 :: v_dual_sub_f32 v10, v11, v10
	v_sub_f32_e32 v23, v12, v22
	s_delay_alu instid0(VALU_DEP_1) | instskip(NEXT) | instid1(VALU_DEP_3)
	v_sub_f32_e32 v9, v9, v23
	v_dual_sub_f32 v5, v5, v21 :: v_dual_sub_f32 v6, v6, v10
	v_sub_f32_e32 v10, v11, v22
	s_delay_alu instid0(VALU_DEP_2) | instskip(NEXT) | instid1(VALU_DEP_2)
	v_add_f32_e32 v11, v5, v6
	v_add_f32_e32 v9, v10, v9
	s_delay_alu instid0(VALU_DEP_2) | instskip(NEXT) | instid1(VALU_DEP_2)
	v_sub_f32_e32 v10, v11, v5
	v_add_f32_e32 v9, v11, v9
	s_delay_alu instid0(VALU_DEP_1) | instskip(NEXT) | instid1(VALU_DEP_3)
	v_add_f32_e32 v21, v12, v9
	v_sub_f32_e32 v11, v11, v10
	s_delay_alu instid0(VALU_DEP_1) | instskip(NEXT) | instid1(VALU_DEP_1)
	v_dual_sub_f32 v5, v5, v11 :: v_dual_sub_f32 v6, v6, v10
	v_dual_sub_f32 v10, v21, v12 :: v_dual_add_f32 v5, v6, v5
	s_delay_alu instid0(VALU_DEP_1) | instskip(NEXT) | instid1(VALU_DEP_1)
	v_sub_f32_e32 v6, v9, v10
	v_add_f32_e32 v5, v5, v6
	s_delay_alu instid0(VALU_DEP_1) | instskip(NEXT) | instid1(VALU_DEP_1)
	v_add_f32_e32 v5, v21, v5
	v_cndmask_b32_e32 v3, v5, v3, vcc_lo
	s_delay_alu instid0(VALU_DEP_1)
	v_add_f32_e32 v3, v4, v3
.LBB164_143:
	s_or_b32 exec_lo, exec_lo, s6
	s_delay_alu instid0(VALU_DEP_1) | instskip(SKIP_1) | instid1(VALU_DEP_2)
	v_max_f32_e32 v4, v3, v3
	v_cmp_u_f32_e32 vcc_lo, v3, v3
	v_min_f32_e32 v5, v4, v18
	s_delay_alu instid0(VALU_DEP_1) | instskip(NEXT) | instid1(VALU_DEP_1)
	v_dual_max_f32 v4, v4, v18 :: v_dual_cndmask_b32 v5, v5, v3
	v_cndmask_b32_e32 v4, v4, v3, vcc_lo
	s_delay_alu instid0(VALU_DEP_2) | instskip(NEXT) | instid1(VALU_DEP_2)
	v_cndmask_b32_e64 v6, v5, v2, s1
	v_cndmask_b32_e64 v5, v4, v2, s1
	v_mov_b32_e32 v4, v3
	s_delay_alu instid0(VALU_DEP_3) | instskip(NEXT) | instid1(VALU_DEP_3)
	v_cmp_class_f32_e64 s1, v6, 0x1f8
	v_cmp_neq_f32_e32 vcc_lo, v6, v5
	s_delay_alu instid0(VALU_DEP_2) | instskip(NEXT) | instid1(SALU_CYCLE_1)
	s_or_b32 s6, vcc_lo, s1
	s_and_saveexec_b32 s1, s6
	s_cbranch_execz .LBB164_145
; %bb.144:
	v_sub_f32_e32 v4, v6, v5
	s_mov_b32 s6, 0x3e9b6dac
	s_delay_alu instid0(VALU_DEP_1) | instskip(SKIP_1) | instid1(VALU_DEP_2)
	v_mul_f32_e32 v6, 0x3fb8aa3b, v4
	v_cmp_ngt_f32_e32 vcc_lo, 0xc2ce8ed0, v4
	v_fma_f32 v9, 0x3fb8aa3b, v4, -v6
	v_rndne_f32_e32 v10, v6
	s_delay_alu instid0(VALU_DEP_1) | instskip(NEXT) | instid1(VALU_DEP_1)
	v_dual_fmamk_f32 v9, v4, 0x32a5705f, v9 :: v_dual_sub_f32 v6, v6, v10
	v_add_f32_e32 v6, v6, v9
	v_cvt_i32_f32_e32 v9, v10
	s_delay_alu instid0(VALU_DEP_2) | instskip(SKIP_2) | instid1(VALU_DEP_1)
	v_exp_f32_e32 v6, v6
	s_waitcnt_depctr 0xfff
	v_ldexp_f32 v6, v6, v9
	v_cndmask_b32_e32 v6, 0, v6, vcc_lo
	v_cmp_nlt_f32_e32 vcc_lo, 0x42b17218, v4
	s_delay_alu instid0(VALU_DEP_2) | instskip(NEXT) | instid1(VALU_DEP_1)
	v_cndmask_b32_e32 v4, 0x7f800000, v6, vcc_lo
	v_add_f32_e32 v6, 1.0, v4
	s_delay_alu instid0(VALU_DEP_1) | instskip(NEXT) | instid1(VALU_DEP_1)
	v_cvt_f64_f32_e32 v[9:10], v6
	v_frexp_exp_i32_f64_e32 v9, v[9:10]
	v_frexp_mant_f32_e32 v10, v6
	s_delay_alu instid0(VALU_DEP_1) | instskip(SKIP_1) | instid1(VALU_DEP_1)
	v_cmp_gt_f32_e32 vcc_lo, 0x3f2aaaab, v10
	v_add_f32_e32 v10, -1.0, v6
	v_sub_f32_e32 v12, v10, v6
	v_sub_f32_e32 v10, v4, v10
	v_subrev_co_ci_u32_e32 v9, vcc_lo, 0, v9, vcc_lo
	s_delay_alu instid0(VALU_DEP_1) | instskip(SKIP_1) | instid1(VALU_DEP_2)
	v_sub_nc_u32_e32 v11, 0, v9
	v_cvt_f32_i32_e32 v9, v9
	v_ldexp_f32 v6, v6, v11
	s_delay_alu instid0(VALU_DEP_1) | instskip(NEXT) | instid1(VALU_DEP_1)
	v_dual_add_f32 v12, 1.0, v12 :: v_dual_add_f32 v21, 1.0, v6
	v_add_f32_e32 v10, v10, v12
	s_delay_alu instid0(VALU_DEP_2) | instskip(NEXT) | instid1(VALU_DEP_2)
	v_add_f32_e32 v12, -1.0, v21
	v_ldexp_f32 v10, v10, v11
	s_delay_alu instid0(VALU_DEP_2) | instskip(NEXT) | instid1(VALU_DEP_1)
	v_dual_add_f32 v11, -1.0, v6 :: v_dual_sub_f32 v12, v6, v12
	v_add_f32_e32 v22, 1.0, v11
	s_delay_alu instid0(VALU_DEP_2) | instskip(NEXT) | instid1(VALU_DEP_2)
	v_add_f32_e32 v12, v10, v12
	v_sub_f32_e32 v6, v6, v22
	s_delay_alu instid0(VALU_DEP_2) | instskip(NEXT) | instid1(VALU_DEP_2)
	v_add_f32_e32 v22, v21, v12
	v_add_f32_e32 v6, v10, v6
	s_delay_alu instid0(VALU_DEP_2) | instskip(SKIP_1) | instid1(VALU_DEP_1)
	v_rcp_f32_e32 v10, v22
	v_sub_f32_e32 v21, v21, v22
	v_dual_add_f32 v23, v11, v6 :: v_dual_add_f32 v12, v12, v21
	s_delay_alu instid0(VALU_DEP_1) | instskip(SKIP_4) | instid1(VALU_DEP_2)
	v_sub_f32_e32 v11, v11, v23
	v_cmp_eq_f32_e32 vcc_lo, 0x7f800000, v4
	s_waitcnt_depctr 0xfff
	v_mul_f32_e32 v24, v23, v10
	v_add_f32_e32 v6, v6, v11
	v_mul_f32_e32 v25, v22, v24
	s_delay_alu instid0(VALU_DEP_1) | instskip(NEXT) | instid1(VALU_DEP_1)
	v_fma_f32 v21, v24, v22, -v25
	v_fmac_f32_e32 v21, v24, v12
	s_delay_alu instid0(VALU_DEP_1) | instskip(NEXT) | instid1(VALU_DEP_1)
	v_add_f32_e32 v26, v25, v21
	v_sub_f32_e32 v27, v23, v26
	v_sub_f32_e32 v11, v26, v25
	s_delay_alu instid0(VALU_DEP_2) | instskip(NEXT) | instid1(VALU_DEP_2)
	v_sub_f32_e32 v23, v23, v27
	v_sub_f32_e32 v11, v11, v21
	s_delay_alu instid0(VALU_DEP_2) | instskip(NEXT) | instid1(VALU_DEP_1)
	v_sub_f32_e32 v23, v23, v26
	v_add_f32_e32 v6, v6, v23
	s_delay_alu instid0(VALU_DEP_1) | instskip(NEXT) | instid1(VALU_DEP_1)
	v_add_f32_e32 v6, v11, v6
	v_add_f32_e32 v11, v27, v6
	s_delay_alu instid0(VALU_DEP_1) | instskip(NEXT) | instid1(VALU_DEP_1)
	v_mul_f32_e32 v21, v10, v11
	v_dual_sub_f32 v26, v27, v11 :: v_dual_mul_f32 v23, v22, v21
	s_delay_alu instid0(VALU_DEP_1) | instskip(NEXT) | instid1(VALU_DEP_2)
	v_add_f32_e32 v6, v6, v26
	v_fma_f32 v22, v21, v22, -v23
	s_delay_alu instid0(VALU_DEP_1) | instskip(NEXT) | instid1(VALU_DEP_1)
	v_fmac_f32_e32 v22, v21, v12
	v_add_f32_e32 v12, v23, v22
	s_delay_alu instid0(VALU_DEP_1) | instskip(SKIP_1) | instid1(VALU_DEP_2)
	v_sub_f32_e32 v25, v11, v12
	v_sub_f32_e32 v23, v12, v23
	;; [unrolled: 1-line block ×3, first 2 shown]
	s_delay_alu instid0(VALU_DEP_1) | instskip(NEXT) | instid1(VALU_DEP_3)
	v_sub_f32_e32 v11, v11, v12
	v_sub_f32_e32 v12, v23, v22
	s_delay_alu instid0(VALU_DEP_2) | instskip(NEXT) | instid1(VALU_DEP_1)
	v_dual_add_f32 v6, v6, v11 :: v_dual_add_f32 v11, v24, v21
	v_add_f32_e32 v6, v12, v6
	s_delay_alu instid0(VALU_DEP_2) | instskip(NEXT) | instid1(VALU_DEP_2)
	v_sub_f32_e32 v12, v11, v24
	v_add_f32_e32 v6, v25, v6
	s_delay_alu instid0(VALU_DEP_2) | instskip(NEXT) | instid1(VALU_DEP_2)
	v_sub_f32_e32 v12, v21, v12
	v_mul_f32_e32 v6, v10, v6
	s_delay_alu instid0(VALU_DEP_1) | instskip(NEXT) | instid1(VALU_DEP_1)
	v_add_f32_e32 v6, v12, v6
	v_add_f32_e32 v10, v11, v6
	s_delay_alu instid0(VALU_DEP_1) | instskip(NEXT) | instid1(VALU_DEP_1)
	v_mul_f32_e32 v12, v10, v10
	v_fmaak_f32 v21, s6, v12, 0x3ecc95a3
	v_mul_f32_e32 v22, v10, v12
	v_cmp_gt_f32_e64 s6, 0x33800000, |v4|
	s_delay_alu instid0(VALU_DEP_3) | instskip(SKIP_2) | instid1(VALU_DEP_4)
	v_fmaak_f32 v12, v12, v21, 0x3f2aaada
	v_ldexp_f32 v21, v10, 1
	v_sub_f32_e32 v10, v10, v11
	s_or_b32 vcc_lo, vcc_lo, s6
	s_delay_alu instid0(VALU_DEP_3) | instskip(SKIP_1) | instid1(VALU_DEP_2)
	v_mul_f32_e32 v12, v22, v12
	v_mul_f32_e32 v22, 0x3f317218, v9
	v_dual_sub_f32 v6, v6, v10 :: v_dual_add_f32 v11, v21, v12
	s_delay_alu instid0(VALU_DEP_1) | instskip(NEXT) | instid1(VALU_DEP_2)
	v_ldexp_f32 v6, v6, 1
	v_sub_f32_e32 v10, v11, v21
	s_delay_alu instid0(VALU_DEP_4) | instskip(NEXT) | instid1(VALU_DEP_1)
	v_fma_f32 v21, 0x3f317218, v9, -v22
	v_dual_sub_f32 v10, v12, v10 :: v_dual_fmamk_f32 v9, v9, 0xb102e308, v21
	s_delay_alu instid0(VALU_DEP_1) | instskip(NEXT) | instid1(VALU_DEP_2)
	v_add_f32_e32 v6, v6, v10
	v_add_f32_e32 v10, v22, v9
	s_delay_alu instid0(VALU_DEP_2) | instskip(NEXT) | instid1(VALU_DEP_2)
	v_add_f32_e32 v12, v11, v6
	v_sub_f32_e32 v22, v10, v22
	s_delay_alu instid0(VALU_DEP_2) | instskip(SKIP_1) | instid1(VALU_DEP_3)
	v_add_f32_e32 v21, v10, v12
	v_sub_f32_e32 v11, v12, v11
	v_sub_f32_e32 v9, v9, v22
	s_delay_alu instid0(VALU_DEP_2) | instskip(NEXT) | instid1(VALU_DEP_1)
	v_dual_sub_f32 v23, v21, v10 :: v_dual_sub_f32 v6, v6, v11
	v_sub_f32_e32 v24, v21, v23
	s_delay_alu instid0(VALU_DEP_2) | instskip(NEXT) | instid1(VALU_DEP_2)
	v_dual_sub_f32 v11, v12, v23 :: v_dual_add_f32 v12, v9, v6
	v_sub_f32_e32 v10, v10, v24
	s_delay_alu instid0(VALU_DEP_1) | instskip(NEXT) | instid1(VALU_DEP_1)
	v_dual_add_f32 v10, v11, v10 :: v_dual_sub_f32 v11, v12, v9
	v_add_f32_e32 v10, v12, v10
	s_delay_alu instid0(VALU_DEP_2) | instskip(SKIP_1) | instid1(VALU_DEP_3)
	v_sub_f32_e32 v12, v12, v11
	v_sub_f32_e32 v6, v6, v11
	v_add_f32_e32 v22, v21, v10
	s_delay_alu instid0(VALU_DEP_3) | instskip(NEXT) | instid1(VALU_DEP_2)
	v_sub_f32_e32 v9, v9, v12
	v_sub_f32_e32 v11, v22, v21
	s_delay_alu instid0(VALU_DEP_2) | instskip(NEXT) | instid1(VALU_DEP_2)
	v_add_f32_e32 v6, v6, v9
	v_sub_f32_e32 v9, v10, v11
	s_delay_alu instid0(VALU_DEP_1) | instskip(NEXT) | instid1(VALU_DEP_1)
	v_add_f32_e32 v6, v6, v9
	v_add_f32_e32 v6, v22, v6
	s_delay_alu instid0(VALU_DEP_1) | instskip(NEXT) | instid1(VALU_DEP_1)
	v_cndmask_b32_e32 v4, v6, v4, vcc_lo
	v_add_f32_e32 v4, v5, v4
.LBB164_145:
	s_or_b32 exec_lo, exec_lo, s1
	s_delay_alu instid0(VALU_DEP_1) | instskip(SKIP_1) | instid1(VALU_DEP_2)
	v_max_f32_e32 v5, v4, v4
	v_cmp_u_f32_e32 vcc_lo, v4, v4
	v_min_f32_e32 v6, v5, v19
	s_delay_alu instid0(VALU_DEP_1) | instskip(NEXT) | instid1(VALU_DEP_1)
	v_dual_max_f32 v5, v5, v19 :: v_dual_cndmask_b32 v6, v6, v4
	v_cndmask_b32_e32 v5, v5, v4, vcc_lo
	s_delay_alu instid0(VALU_DEP_2) | instskip(NEXT) | instid1(VALU_DEP_2)
	v_cndmask_b32_e64 v9, v6, v7, s4
	v_cndmask_b32_e64 v6, v5, v7, s4
	v_mov_b32_e32 v5, v4
	s_delay_alu instid0(VALU_DEP_3) | instskip(NEXT) | instid1(VALU_DEP_3)
	v_cmp_class_f32_e64 s1, v9, 0x1f8
	v_cmp_neq_f32_e32 vcc_lo, v9, v6
	s_delay_alu instid0(VALU_DEP_2) | instskip(NEXT) | instid1(SALU_CYCLE_1)
	s_or_b32 s4, vcc_lo, s1
	s_and_saveexec_b32 s1, s4
	s_cbranch_execz .LBB164_147
; %bb.146:
	v_sub_f32_e32 v5, v9, v6
	s_mov_b32 s4, 0x3e9b6dac
	s_delay_alu instid0(VALU_DEP_1) | instskip(SKIP_1) | instid1(VALU_DEP_2)
	v_mul_f32_e32 v9, 0x3fb8aa3b, v5
	v_cmp_ngt_f32_e32 vcc_lo, 0xc2ce8ed0, v5
	v_fma_f32 v10, 0x3fb8aa3b, v5, -v9
	v_rndne_f32_e32 v11, v9
	s_delay_alu instid0(VALU_DEP_2) | instskip(NEXT) | instid1(VALU_DEP_2)
	v_fmamk_f32 v10, v5, 0x32a5705f, v10
	v_sub_f32_e32 v9, v9, v11
	s_delay_alu instid0(VALU_DEP_1) | instskip(SKIP_1) | instid1(VALU_DEP_2)
	v_add_f32_e32 v9, v9, v10
	v_cvt_i32_f32_e32 v10, v11
	v_exp_f32_e32 v9, v9
	s_waitcnt_depctr 0xfff
	v_ldexp_f32 v9, v9, v10
	s_delay_alu instid0(VALU_DEP_1) | instskip(SKIP_1) | instid1(VALU_DEP_2)
	v_cndmask_b32_e32 v9, 0, v9, vcc_lo
	v_cmp_nlt_f32_e32 vcc_lo, 0x42b17218, v5
	v_cndmask_b32_e32 v5, 0x7f800000, v9, vcc_lo
	s_delay_alu instid0(VALU_DEP_1) | instskip(NEXT) | instid1(VALU_DEP_1)
	v_add_f32_e32 v11, 1.0, v5
	v_cvt_f64_f32_e32 v[9:10], v11
	s_delay_alu instid0(VALU_DEP_1) | instskip(SKIP_1) | instid1(VALU_DEP_1)
	v_frexp_exp_i32_f64_e32 v9, v[9:10]
	v_frexp_mant_f32_e32 v10, v11
	v_cmp_gt_f32_e32 vcc_lo, 0x3f2aaaab, v10
	v_add_f32_e32 v10, -1.0, v11
	s_delay_alu instid0(VALU_DEP_1) | instskip(NEXT) | instid1(VALU_DEP_1)
	v_dual_sub_f32 v19, v10, v11 :: v_dual_sub_f32 v10, v5, v10
	v_add_f32_e32 v19, 1.0, v19
	s_delay_alu instid0(VALU_DEP_1) | instskip(SKIP_1) | instid1(VALU_DEP_1)
	v_add_f32_e32 v10, v10, v19
	v_subrev_co_ci_u32_e32 v9, vcc_lo, 0, v9, vcc_lo
	v_sub_nc_u32_e32 v12, 0, v9
	v_cvt_f32_i32_e32 v9, v9
	s_delay_alu instid0(VALU_DEP_2) | instskip(SKIP_1) | instid1(VALU_DEP_2)
	v_ldexp_f32 v11, v11, v12
	v_ldexp_f32 v10, v10, v12
	v_add_f32_e32 v21, 1.0, v11
	v_add_f32_e32 v12, -1.0, v11
	v_cmp_eq_f32_e32 vcc_lo, 0x7f800000, v5
	s_delay_alu instid0(VALU_DEP_2) | instskip(NEXT) | instid1(VALU_DEP_1)
	v_dual_add_f32 v19, -1.0, v21 :: v_dual_add_f32 v22, 1.0, v12
	v_sub_f32_e32 v19, v11, v19
	s_delay_alu instid0(VALU_DEP_2) | instskip(NEXT) | instid1(VALU_DEP_2)
	v_sub_f32_e32 v11, v11, v22
	v_add_f32_e32 v19, v10, v19
	s_delay_alu instid0(VALU_DEP_2) | instskip(NEXT) | instid1(VALU_DEP_2)
	v_add_f32_e32 v10, v10, v11
	v_add_f32_e32 v22, v21, v19
	s_delay_alu instid0(VALU_DEP_1) | instskip(SKIP_1) | instid1(VALU_DEP_1)
	v_rcp_f32_e32 v11, v22
	v_sub_f32_e32 v21, v21, v22
	v_add_f32_e32 v19, v19, v21
	v_add_f32_e32 v23, v12, v10
	s_waitcnt_depctr 0xfff
	v_mul_f32_e32 v24, v23, v11
	s_delay_alu instid0(VALU_DEP_1) | instskip(NEXT) | instid1(VALU_DEP_1)
	v_dual_sub_f32 v12, v12, v23 :: v_dual_mul_f32 v25, v22, v24
	v_add_f32_e32 v10, v10, v12
	s_delay_alu instid0(VALU_DEP_2) | instskip(NEXT) | instid1(VALU_DEP_1)
	v_fma_f32 v21, v24, v22, -v25
	v_fmac_f32_e32 v21, v24, v19
	s_delay_alu instid0(VALU_DEP_1) | instskip(NEXT) | instid1(VALU_DEP_1)
	v_add_f32_e32 v26, v25, v21
	v_dual_sub_f32 v27, v23, v26 :: v_dual_sub_f32 v12, v26, v25
	s_delay_alu instid0(VALU_DEP_1) | instskip(NEXT) | instid1(VALU_DEP_1)
	v_dual_sub_f32 v23, v23, v27 :: v_dual_sub_f32 v12, v12, v21
	v_sub_f32_e32 v23, v23, v26
	s_delay_alu instid0(VALU_DEP_1) | instskip(NEXT) | instid1(VALU_DEP_1)
	v_add_f32_e32 v10, v10, v23
	v_add_f32_e32 v10, v12, v10
	s_delay_alu instid0(VALU_DEP_1) | instskip(NEXT) | instid1(VALU_DEP_1)
	v_add_f32_e32 v12, v27, v10
	v_mul_f32_e32 v21, v11, v12
	s_delay_alu instid0(VALU_DEP_1) | instskip(NEXT) | instid1(VALU_DEP_1)
	v_dual_sub_f32 v26, v27, v12 :: v_dual_mul_f32 v23, v22, v21
	v_add_f32_e32 v10, v10, v26
	s_delay_alu instid0(VALU_DEP_2) | instskip(NEXT) | instid1(VALU_DEP_1)
	v_fma_f32 v22, v21, v22, -v23
	v_fmac_f32_e32 v22, v21, v19
	s_delay_alu instid0(VALU_DEP_1) | instskip(NEXT) | instid1(VALU_DEP_1)
	v_add_f32_e32 v19, v23, v22
	v_sub_f32_e32 v25, v12, v19
	s_delay_alu instid0(VALU_DEP_1) | instskip(NEXT) | instid1(VALU_DEP_1)
	v_dual_sub_f32 v23, v19, v23 :: v_dual_sub_f32 v12, v12, v25
	v_dual_sub_f32 v12, v12, v19 :: v_dual_sub_f32 v19, v23, v22
	s_delay_alu instid0(VALU_DEP_1) | instskip(NEXT) | instid1(VALU_DEP_1)
	v_add_f32_e32 v10, v10, v12
	v_add_f32_e32 v10, v19, v10
	s_delay_alu instid0(VALU_DEP_1) | instskip(SKIP_1) | instid1(VALU_DEP_1)
	v_add_f32_e32 v10, v25, v10
	v_add_f32_e32 v12, v24, v21
	v_dual_mul_f32 v10, v11, v10 :: v_dual_sub_f32 v19, v12, v24
	s_delay_alu instid0(VALU_DEP_1) | instskip(NEXT) | instid1(VALU_DEP_1)
	v_sub_f32_e32 v19, v21, v19
	v_add_f32_e32 v10, v19, v10
	s_delay_alu instid0(VALU_DEP_1) | instskip(NEXT) | instid1(VALU_DEP_1)
	v_add_f32_e32 v11, v12, v10
	v_mul_f32_e32 v19, v11, v11
	s_delay_alu instid0(VALU_DEP_1) | instskip(SKIP_2) | instid1(VALU_DEP_3)
	v_fmaak_f32 v21, s4, v19, 0x3ecc95a3
	v_mul_f32_e32 v22, v11, v19
	v_cmp_gt_f32_e64 s4, 0x33800000, |v5|
	v_fmaak_f32 v19, v19, v21, 0x3f2aaada
	v_ldexp_f32 v21, v11, 1
	v_sub_f32_e32 v11, v11, v12
	s_delay_alu instid0(VALU_DEP_4) | instskip(NEXT) | instid1(VALU_DEP_3)
	s_or_b32 vcc_lo, vcc_lo, s4
	v_dual_mul_f32 v19, v22, v19 :: v_dual_mul_f32 v22, 0x3f317218, v9
	s_delay_alu instid0(VALU_DEP_2) | instskip(NEXT) | instid1(VALU_DEP_2)
	v_sub_f32_e32 v10, v10, v11
	v_add_f32_e32 v12, v21, v19
	s_delay_alu instid0(VALU_DEP_2) | instskip(NEXT) | instid1(VALU_DEP_2)
	v_ldexp_f32 v10, v10, 1
	v_sub_f32_e32 v11, v12, v21
	v_fma_f32 v21, 0x3f317218, v9, -v22
	s_delay_alu instid0(VALU_DEP_2) | instskip(NEXT) | instid1(VALU_DEP_1)
	v_sub_f32_e32 v11, v19, v11
	v_add_f32_e32 v10, v10, v11
	s_delay_alu instid0(VALU_DEP_1) | instskip(NEXT) | instid1(VALU_DEP_1)
	v_add_f32_e32 v19, v12, v10
	v_dual_fmamk_f32 v9, v9, 0xb102e308, v21 :: v_dual_sub_f32 v12, v19, v12
	s_delay_alu instid0(VALU_DEP_1) | instskip(NEXT) | instid1(VALU_DEP_1)
	v_add_f32_e32 v11, v22, v9
	v_dual_sub_f32 v10, v10, v12 :: v_dual_add_f32 v21, v11, v19
	s_delay_alu instid0(VALU_DEP_1) | instskip(NEXT) | instid1(VALU_DEP_1)
	v_sub_f32_e32 v23, v21, v11
	v_sub_f32_e32 v24, v21, v23
	;; [unrolled: 1-line block ×4, first 2 shown]
	s_delay_alu instid0(VALU_DEP_3) | instskip(NEXT) | instid1(VALU_DEP_2)
	v_sub_f32_e32 v11, v11, v24
	v_sub_f32_e32 v9, v9, v22
	s_delay_alu instid0(VALU_DEP_2) | instskip(NEXT) | instid1(VALU_DEP_2)
	v_add_f32_e32 v11, v12, v11
	v_add_f32_e32 v19, v9, v10
	s_delay_alu instid0(VALU_DEP_1) | instskip(NEXT) | instid1(VALU_DEP_3)
	v_sub_f32_e32 v12, v19, v9
	v_add_f32_e32 v11, v19, v11
	s_delay_alu instid0(VALU_DEP_1) | instskip(SKIP_1) | instid1(VALU_DEP_2)
	v_dual_sub_f32 v19, v19, v12 :: v_dual_add_f32 v22, v21, v11
	v_sub_f32_e32 v10, v10, v12
	v_dual_sub_f32 v12, v22, v21 :: v_dual_sub_f32 v9, v9, v19
	s_delay_alu instid0(VALU_DEP_1) | instskip(NEXT) | instid1(VALU_DEP_1)
	v_dual_add_f32 v9, v10, v9 :: v_dual_sub_f32 v10, v11, v12
	v_add_f32_e32 v9, v9, v10
	s_delay_alu instid0(VALU_DEP_1) | instskip(NEXT) | instid1(VALU_DEP_1)
	v_add_f32_e32 v9, v22, v9
	v_cndmask_b32_e32 v5, v9, v5, vcc_lo
	s_delay_alu instid0(VALU_DEP_1)
	v_add_f32_e32 v5, v6, v5
.LBB164_147:
	s_or_b32 exec_lo, exec_lo, s1
	s_delay_alu instid0(VALU_DEP_1) | instskip(SKIP_1) | instid1(VALU_DEP_2)
	v_max_f32_e32 v6, v5, v5
	v_cmp_u_f32_e32 vcc_lo, v5, v5
	v_min_f32_e32 v9, v6, v20
	s_delay_alu instid0(VALU_DEP_1) | instskip(NEXT) | instid1(VALU_DEP_1)
	v_dual_max_f32 v6, v6, v20 :: v_dual_cndmask_b32 v9, v9, v5
	v_cndmask_b32_e32 v6, v6, v5, vcc_lo
	s_delay_alu instid0(VALU_DEP_2) | instskip(NEXT) | instid1(VALU_DEP_2)
	v_cndmask_b32_e64 v10, v9, v8, s5
	v_cndmask_b32_e64 v9, v6, v8, s5
	v_mov_b32_e32 v6, v5
	s_delay_alu instid0(VALU_DEP_3) | instskip(NEXT) | instid1(VALU_DEP_3)
	v_cmp_class_f32_e64 s1, v10, 0x1f8
	v_cmp_neq_f32_e32 vcc_lo, v10, v9
	s_delay_alu instid0(VALU_DEP_2) | instskip(NEXT) | instid1(SALU_CYCLE_1)
	s_or_b32 s4, vcc_lo, s1
	s_and_saveexec_b32 s1, s4
	s_cbranch_execz .LBB164_149
; %bb.148:
	v_sub_f32_e32 v6, v10, v9
	s_mov_b32 s4, 0x3e9b6dac
	s_delay_alu instid0(VALU_DEP_1) | instskip(SKIP_1) | instid1(VALU_DEP_2)
	v_mul_f32_e32 v10, 0x3fb8aa3b, v6
	v_cmp_ngt_f32_e32 vcc_lo, 0xc2ce8ed0, v6
	v_fma_f32 v11, 0x3fb8aa3b, v6, -v10
	v_rndne_f32_e32 v12, v10
	s_delay_alu instid0(VALU_DEP_2) | instskip(NEXT) | instid1(VALU_DEP_2)
	v_fmamk_f32 v11, v6, 0x32a5705f, v11
	v_sub_f32_e32 v10, v10, v12
	s_delay_alu instid0(VALU_DEP_1) | instskip(SKIP_1) | instid1(VALU_DEP_2)
	v_add_f32_e32 v10, v10, v11
	v_cvt_i32_f32_e32 v11, v12
	v_exp_f32_e32 v10, v10
	s_waitcnt_depctr 0xfff
	v_ldexp_f32 v10, v10, v11
	s_delay_alu instid0(VALU_DEP_1) | instskip(SKIP_1) | instid1(VALU_DEP_2)
	v_cndmask_b32_e32 v10, 0, v10, vcc_lo
	v_cmp_nlt_f32_e32 vcc_lo, 0x42b17218, v6
	v_cndmask_b32_e32 v6, 0x7f800000, v10, vcc_lo
	s_delay_alu instid0(VALU_DEP_1) | instskip(NEXT) | instid1(VALU_DEP_1)
	v_add_f32_e32 v12, 1.0, v6
	v_cvt_f64_f32_e32 v[10:11], v12
	s_delay_alu instid0(VALU_DEP_1) | instskip(SKIP_1) | instid1(VALU_DEP_1)
	v_frexp_exp_i32_f64_e32 v10, v[10:11]
	v_frexp_mant_f32_e32 v11, v12
	v_cmp_gt_f32_e32 vcc_lo, 0x3f2aaaab, v11
	v_add_f32_e32 v11, -1.0, v12
	s_delay_alu instid0(VALU_DEP_1) | instskip(NEXT) | instid1(VALU_DEP_1)
	v_dual_sub_f32 v20, v11, v12 :: v_dual_sub_f32 v11, v6, v11
	v_add_f32_e32 v20, 1.0, v20
	s_delay_alu instid0(VALU_DEP_1) | instskip(SKIP_2) | instid1(VALU_DEP_2)
	v_add_f32_e32 v11, v11, v20
	v_subrev_co_ci_u32_e32 v10, vcc_lo, 0, v10, vcc_lo
	v_cmp_eq_f32_e32 vcc_lo, 0x7f800000, v6
	v_sub_nc_u32_e32 v19, 0, v10
	v_cvt_f32_i32_e32 v10, v10
	s_delay_alu instid0(VALU_DEP_2) | instskip(SKIP_1) | instid1(VALU_DEP_2)
	v_ldexp_f32 v12, v12, v19
	v_ldexp_f32 v11, v11, v19
	v_add_f32_e32 v21, 1.0, v12
	s_delay_alu instid0(VALU_DEP_1) | instskip(NEXT) | instid1(VALU_DEP_1)
	v_dual_add_f32 v19, -1.0, v12 :: v_dual_add_f32 v20, -1.0, v21
	v_add_f32_e32 v22, 1.0, v19
	s_delay_alu instid0(VALU_DEP_2) | instskip(NEXT) | instid1(VALU_DEP_2)
	v_sub_f32_e32 v20, v12, v20
	v_sub_f32_e32 v12, v12, v22
	s_delay_alu instid0(VALU_DEP_2) | instskip(NEXT) | instid1(VALU_DEP_2)
	v_add_f32_e32 v20, v11, v20
	v_add_f32_e32 v11, v11, v12
	s_delay_alu instid0(VALU_DEP_1) | instskip(NEXT) | instid1(VALU_DEP_1)
	v_add_f32_e32 v23, v19, v11
	v_dual_sub_f32 v19, v19, v23 :: v_dual_add_f32 v22, v21, v20
	s_delay_alu instid0(VALU_DEP_1) | instskip(NEXT) | instid1(VALU_DEP_2)
	v_add_f32_e32 v11, v11, v19
	v_rcp_f32_e32 v12, v22
	v_sub_f32_e32 v21, v21, v22
	s_delay_alu instid0(VALU_DEP_1) | instskip(SKIP_2) | instid1(VALU_DEP_1)
	v_add_f32_e32 v20, v20, v21
	s_waitcnt_depctr 0xfff
	v_mul_f32_e32 v24, v23, v12
	v_mul_f32_e32 v25, v22, v24
	s_delay_alu instid0(VALU_DEP_1) | instskip(NEXT) | instid1(VALU_DEP_1)
	v_fma_f32 v21, v24, v22, -v25
	v_fmac_f32_e32 v21, v24, v20
	s_delay_alu instid0(VALU_DEP_1) | instskip(NEXT) | instid1(VALU_DEP_1)
	v_add_f32_e32 v26, v25, v21
	v_sub_f32_e32 v27, v23, v26
	s_delay_alu instid0(VALU_DEP_1) | instskip(NEXT) | instid1(VALU_DEP_1)
	v_sub_f32_e32 v23, v23, v27
	v_sub_f32_e32 v23, v23, v26
	s_delay_alu instid0(VALU_DEP_1) | instskip(SKIP_1) | instid1(VALU_DEP_1)
	v_add_f32_e32 v11, v11, v23
	v_sub_f32_e32 v19, v26, v25
	v_sub_f32_e32 v19, v19, v21
	s_delay_alu instid0(VALU_DEP_1) | instskip(NEXT) | instid1(VALU_DEP_1)
	v_add_f32_e32 v11, v19, v11
	v_add_f32_e32 v19, v27, v11
	s_delay_alu instid0(VALU_DEP_1) | instskip(NEXT) | instid1(VALU_DEP_1)
	v_mul_f32_e32 v21, v12, v19
	v_dual_sub_f32 v26, v27, v19 :: v_dual_mul_f32 v23, v22, v21
	s_delay_alu instid0(VALU_DEP_1) | instskip(NEXT) | instid1(VALU_DEP_2)
	v_add_f32_e32 v11, v11, v26
	v_fma_f32 v22, v21, v22, -v23
	s_delay_alu instid0(VALU_DEP_1) | instskip(NEXT) | instid1(VALU_DEP_1)
	v_fmac_f32_e32 v22, v21, v20
	v_add_f32_e32 v20, v23, v22
	s_delay_alu instid0(VALU_DEP_1) | instskip(NEXT) | instid1(VALU_DEP_1)
	v_sub_f32_e32 v25, v19, v20
	v_sub_f32_e32 v19, v19, v25
	s_delay_alu instid0(VALU_DEP_1) | instskip(NEXT) | instid1(VALU_DEP_1)
	v_sub_f32_e32 v19, v19, v20
	v_add_f32_e32 v11, v11, v19
	v_add_f32_e32 v19, v24, v21
	v_sub_f32_e32 v23, v20, v23
	s_delay_alu instid0(VALU_DEP_1) | instskip(NEXT) | instid1(VALU_DEP_1)
	v_sub_f32_e32 v20, v23, v22
	v_dual_add_f32 v11, v20, v11 :: v_dual_sub_f32 v20, v19, v24
	s_delay_alu instid0(VALU_DEP_1) | instskip(NEXT) | instid1(VALU_DEP_1)
	v_add_f32_e32 v11, v25, v11
	v_dual_sub_f32 v20, v21, v20 :: v_dual_mul_f32 v11, v12, v11
	s_delay_alu instid0(VALU_DEP_1) | instskip(NEXT) | instid1(VALU_DEP_1)
	v_add_f32_e32 v11, v20, v11
	v_add_f32_e32 v12, v19, v11
	s_delay_alu instid0(VALU_DEP_1) | instskip(NEXT) | instid1(VALU_DEP_1)
	v_mul_f32_e32 v20, v12, v12
	v_fmaak_f32 v21, s4, v20, 0x3ecc95a3
	v_mul_f32_e32 v22, v12, v20
	v_cmp_gt_f32_e64 s4, 0x33800000, |v6|
	s_delay_alu instid0(VALU_DEP_3) | instskip(SKIP_1) | instid1(VALU_DEP_3)
	v_fmaak_f32 v20, v20, v21, 0x3f2aaada
	v_ldexp_f32 v21, v12, 1
	s_or_b32 vcc_lo, vcc_lo, s4
	s_delay_alu instid0(VALU_DEP_2) | instskip(SKIP_1) | instid1(VALU_DEP_2)
	v_mul_f32_e32 v20, v22, v20
	v_sub_f32_e32 v12, v12, v19
	v_dual_mul_f32 v22, 0x3f317218, v10 :: v_dual_add_f32 v19, v21, v20
	s_delay_alu instid0(VALU_DEP_2) | instskip(NEXT) | instid1(VALU_DEP_2)
	v_sub_f32_e32 v11, v11, v12
	v_sub_f32_e32 v12, v19, v21
	s_delay_alu instid0(VALU_DEP_3) | instskip(NEXT) | instid1(VALU_DEP_3)
	v_fma_f32 v21, 0x3f317218, v10, -v22
	v_ldexp_f32 v11, v11, 1
	s_delay_alu instid0(VALU_DEP_3) | instskip(NEXT) | instid1(VALU_DEP_1)
	v_sub_f32_e32 v12, v20, v12
	v_dual_fmamk_f32 v10, v10, 0xb102e308, v21 :: v_dual_add_f32 v11, v11, v12
	s_delay_alu instid0(VALU_DEP_1) | instskip(NEXT) | instid1(VALU_DEP_2)
	v_add_f32_e32 v12, v22, v10
	v_add_f32_e32 v20, v19, v11
	s_delay_alu instid0(VALU_DEP_2) | instskip(NEXT) | instid1(VALU_DEP_1)
	v_sub_f32_e32 v22, v12, v22
	v_dual_sub_f32 v10, v10, v22 :: v_dual_add_f32 v21, v12, v20
	s_delay_alu instid0(VALU_DEP_1) | instskip(SKIP_1) | instid1(VALU_DEP_2)
	v_sub_f32_e32 v23, v21, v12
	v_sub_f32_e32 v19, v20, v19
	;; [unrolled: 1-line block ×3, first 2 shown]
	s_delay_alu instid0(VALU_DEP_2) | instskip(SKIP_1) | instid1(VALU_DEP_3)
	v_sub_f32_e32 v11, v11, v19
	v_sub_f32_e32 v19, v20, v23
	;; [unrolled: 1-line block ×3, first 2 shown]
	s_delay_alu instid0(VALU_DEP_3) | instskip(NEXT) | instid1(VALU_DEP_1)
	v_add_f32_e32 v20, v10, v11
	v_dual_add_f32 v12, v19, v12 :: v_dual_sub_f32 v19, v20, v10
	s_delay_alu instid0(VALU_DEP_1) | instskip(NEXT) | instid1(VALU_DEP_1)
	v_dual_add_f32 v12, v20, v12 :: v_dual_sub_f32 v11, v11, v19
	v_add_f32_e32 v22, v21, v12
	s_delay_alu instid0(VALU_DEP_1) | instskip(NEXT) | instid1(VALU_DEP_1)
	v_dual_sub_f32 v20, v20, v19 :: v_dual_sub_f32 v19, v22, v21
	v_sub_f32_e32 v10, v10, v20
	s_delay_alu instid0(VALU_DEP_1) | instskip(NEXT) | instid1(VALU_DEP_1)
	v_dual_add_f32 v10, v11, v10 :: v_dual_sub_f32 v11, v12, v19
	v_add_f32_e32 v10, v10, v11
	s_delay_alu instid0(VALU_DEP_1) | instskip(NEXT) | instid1(VALU_DEP_1)
	v_add_f32_e32 v10, v22, v10
	v_cndmask_b32_e32 v6, v10, v6, vcc_lo
	s_delay_alu instid0(VALU_DEP_1)
	v_add_f32_e32 v6, v9, v6
.LBB164_149:
	s_or_b32 exec_lo, exec_lo, s1
	s_branch .LBB164_228
.LBB164_150:
                                        ; implicit-def: $vgpr3_vgpr4_vgpr5_vgpr6
	s_cbranch_execz .LBB164_228
; %bb.151:
	s_cmp_lg_u64 s[16:17], 0
	v_mov_b32_e32 v6, v4
	v_dual_mov_b32 v5, v3 :: v_dual_mov_b32 v4, v2
	v_mov_b32_e32 v3, v1
	s_cselect_b32 s1, -1, 0
	s_delay_alu instid0(SALU_CYCLE_1) | instskip(NEXT) | instid1(SALU_CYCLE_1)
	s_and_b32 s4, s3, s1
	s_and_saveexec_b32 s1, s4
	s_cbranch_execz .LBB164_155
; %bb.152:
	v_dual_mov_b32 v3, 0 :: v_dual_max_f32 v4, v1, v1
	global_load_b32 v3, v3, s[12:13]
	s_waitcnt vmcnt(0)
	v_max_f32_e32 v5, v3, v3
	v_cmp_u_f32_e32 vcc_lo, v3, v3
	s_delay_alu instid0(VALU_DEP_2) | instskip(NEXT) | instid1(VALU_DEP_1)
	v_min_f32_e32 v6, v5, v4
	v_dual_max_f32 v4, v5, v4 :: v_dual_cndmask_b32 v5, v6, v3
	s_delay_alu instid0(VALU_DEP_1) | instskip(SKIP_1) | instid1(VALU_DEP_3)
	v_cndmask_b32_e32 v6, v4, v3, vcc_lo
	v_cmp_u_f32_e32 vcc_lo, v1, v1
	v_cndmask_b32_e32 v4, v5, v1, vcc_lo
	s_delay_alu instid0(VALU_DEP_3) | instskip(NEXT) | instid1(VALU_DEP_2)
	v_cndmask_b32_e32 v1, v6, v1, vcc_lo
	v_cmp_class_f32_e64 s4, v4, 0x1f8
	s_delay_alu instid0(VALU_DEP_2) | instskip(NEXT) | instid1(VALU_DEP_2)
	v_cmp_neq_f32_e32 vcc_lo, v4, v1
	s_or_b32 s5, vcc_lo, s4
	s_delay_alu instid0(SALU_CYCLE_1)
	s_and_saveexec_b32 s4, s5
	s_cbranch_execz .LBB164_154
; %bb.153:
	v_sub_f32_e32 v3, v4, v1
	s_mov_b32 s5, 0x3e9b6dac
	s_delay_alu instid0(VALU_DEP_1) | instskip(SKIP_1) | instid1(VALU_DEP_2)
	v_mul_f32_e32 v4, 0x3fb8aa3b, v3
	v_cmp_ngt_f32_e32 vcc_lo, 0xc2ce8ed0, v3
	v_fma_f32 v5, 0x3fb8aa3b, v3, -v4
	v_rndne_f32_e32 v6, v4
	s_delay_alu instid0(VALU_DEP_1) | instskip(NEXT) | instid1(VALU_DEP_1)
	v_dual_fmamk_f32 v5, v3, 0x32a5705f, v5 :: v_dual_sub_f32 v4, v4, v6
	v_add_f32_e32 v4, v4, v5
	v_cvt_i32_f32_e32 v5, v6
	s_delay_alu instid0(VALU_DEP_2) | instskip(SKIP_2) | instid1(VALU_DEP_1)
	v_exp_f32_e32 v4, v4
	s_waitcnt_depctr 0xfff
	v_ldexp_f32 v4, v4, v5
	v_cndmask_b32_e32 v4, 0, v4, vcc_lo
	v_cmp_nlt_f32_e32 vcc_lo, 0x42b17218, v3
	s_delay_alu instid0(VALU_DEP_2) | instskip(NEXT) | instid1(VALU_DEP_1)
	v_cndmask_b32_e32 v5, 0x7f800000, v4, vcc_lo
	v_add_f32_e32 v6, 1.0, v5
	s_delay_alu instid0(VALU_DEP_1) | instskip(NEXT) | instid1(VALU_DEP_1)
	v_cvt_f64_f32_e32 v[3:4], v6
	v_frexp_exp_i32_f64_e32 v3, v[3:4]
	v_frexp_mant_f32_e32 v4, v6
	s_delay_alu instid0(VALU_DEP_1) | instskip(SKIP_1) | instid1(VALU_DEP_1)
	v_cmp_gt_f32_e32 vcc_lo, 0x3f2aaaab, v4
	v_add_f32_e32 v4, -1.0, v6
	v_sub_f32_e32 v10, v4, v6
	v_sub_f32_e32 v4, v5, v4
	s_delay_alu instid0(VALU_DEP_2) | instskip(NEXT) | instid1(VALU_DEP_1)
	v_add_f32_e32 v10, 1.0, v10
	v_add_f32_e32 v4, v4, v10
	v_subrev_co_ci_u32_e32 v3, vcc_lo, 0, v3, vcc_lo
	v_cmp_eq_f32_e32 vcc_lo, 0x7f800000, v5
	s_delay_alu instid0(VALU_DEP_2) | instskip(SKIP_1) | instid1(VALU_DEP_2)
	v_sub_nc_u32_e32 v9, 0, v3
	v_cvt_f32_i32_e32 v3, v3
	v_ldexp_f32 v6, v6, v9
	v_ldexp_f32 v4, v4, v9
	s_delay_alu instid0(VALU_DEP_2) | instskip(NEXT) | instid1(VALU_DEP_1)
	v_add_f32_e32 v11, 1.0, v6
	v_dual_add_f32 v9, -1.0, v6 :: v_dual_add_f32 v10, -1.0, v11
	s_delay_alu instid0(VALU_DEP_1) | instskip(NEXT) | instid1(VALU_DEP_2)
	v_add_f32_e32 v12, 1.0, v9
	v_sub_f32_e32 v10, v6, v10
	s_delay_alu instid0(VALU_DEP_2) | instskip(NEXT) | instid1(VALU_DEP_2)
	v_sub_f32_e32 v6, v6, v12
	v_add_f32_e32 v10, v4, v10
	s_delay_alu instid0(VALU_DEP_2) | instskip(NEXT) | instid1(VALU_DEP_1)
	v_add_f32_e32 v4, v4, v6
	v_dual_add_f32 v12, v11, v10 :: v_dual_add_f32 v19, v9, v4
	s_delay_alu instid0(VALU_DEP_1) | instskip(SKIP_1) | instid1(VALU_DEP_2)
	v_rcp_f32_e32 v6, v12
	v_sub_f32_e32 v11, v11, v12
	v_sub_f32_e32 v9, v9, v19
	s_delay_alu instid0(VALU_DEP_2) | instskip(NEXT) | instid1(VALU_DEP_2)
	v_add_f32_e32 v10, v10, v11
	v_add_f32_e32 v4, v4, v9
	s_waitcnt_depctr 0xfff
	v_mul_f32_e32 v20, v19, v6
	s_delay_alu instid0(VALU_DEP_1) | instskip(NEXT) | instid1(VALU_DEP_1)
	v_mul_f32_e32 v21, v12, v20
	v_fma_f32 v11, v20, v12, -v21
	s_delay_alu instid0(VALU_DEP_1) | instskip(NEXT) | instid1(VALU_DEP_1)
	v_fmac_f32_e32 v11, v20, v10
	v_add_f32_e32 v22, v21, v11
	s_delay_alu instid0(VALU_DEP_1) | instskip(SKIP_1) | instid1(VALU_DEP_2)
	v_sub_f32_e32 v23, v19, v22
	v_sub_f32_e32 v9, v22, v21
	;; [unrolled: 1-line block ×3, first 2 shown]
	s_delay_alu instid0(VALU_DEP_2) | instskip(NEXT) | instid1(VALU_DEP_2)
	v_sub_f32_e32 v9, v9, v11
	v_sub_f32_e32 v19, v19, v22
	s_delay_alu instid0(VALU_DEP_1) | instskip(NEXT) | instid1(VALU_DEP_1)
	v_add_f32_e32 v4, v4, v19
	v_add_f32_e32 v4, v9, v4
	s_delay_alu instid0(VALU_DEP_1) | instskip(NEXT) | instid1(VALU_DEP_1)
	v_add_f32_e32 v9, v23, v4
	v_mul_f32_e32 v11, v6, v9
	s_delay_alu instid0(VALU_DEP_1) | instskip(NEXT) | instid1(VALU_DEP_1)
	v_dual_sub_f32 v22, v23, v9 :: v_dual_mul_f32 v19, v12, v11
	v_fma_f32 v12, v11, v12, -v19
	s_delay_alu instid0(VALU_DEP_1) | instskip(NEXT) | instid1(VALU_DEP_1)
	v_fmac_f32_e32 v12, v11, v10
	v_add_f32_e32 v10, v19, v12
	s_delay_alu instid0(VALU_DEP_1) | instskip(SKIP_1) | instid1(VALU_DEP_2)
	v_sub_f32_e32 v21, v9, v10
	v_dual_sub_f32 v19, v10, v19 :: v_dual_add_f32 v4, v4, v22
	v_sub_f32_e32 v9, v9, v21
	s_delay_alu instid0(VALU_DEP_1) | instskip(NEXT) | instid1(VALU_DEP_1)
	v_sub_f32_e32 v9, v9, v10
	v_add_f32_e32 v4, v4, v9
	s_delay_alu instid0(VALU_DEP_4) | instskip(NEXT) | instid1(VALU_DEP_1)
	v_dual_add_f32 v9, v20, v11 :: v_dual_sub_f32 v10, v19, v12
	v_add_f32_e32 v4, v10, v4
	s_delay_alu instid0(VALU_DEP_2) | instskip(NEXT) | instid1(VALU_DEP_2)
	v_sub_f32_e32 v10, v9, v20
	v_add_f32_e32 v4, v21, v4
	s_delay_alu instid0(VALU_DEP_2) | instskip(NEXT) | instid1(VALU_DEP_2)
	v_sub_f32_e32 v10, v11, v10
	v_mul_f32_e32 v4, v6, v4
	s_delay_alu instid0(VALU_DEP_1) | instskip(NEXT) | instid1(VALU_DEP_1)
	v_add_f32_e32 v4, v10, v4
	v_add_f32_e32 v6, v9, v4
	s_delay_alu instid0(VALU_DEP_1) | instskip(NEXT) | instid1(VALU_DEP_1)
	v_mul_f32_e32 v10, v6, v6
	v_fmaak_f32 v11, s5, v10, 0x3ecc95a3
	v_mul_f32_e32 v12, v6, v10
	v_cmp_gt_f32_e64 s5, 0x33800000, |v5|
	s_delay_alu instid0(VALU_DEP_3) | instskip(SKIP_2) | instid1(VALU_DEP_4)
	v_fmaak_f32 v10, v10, v11, 0x3f2aaada
	v_ldexp_f32 v11, v6, 1
	v_sub_f32_e32 v6, v6, v9
	s_or_b32 vcc_lo, vcc_lo, s5
	s_delay_alu instid0(VALU_DEP_3) | instskip(SKIP_1) | instid1(VALU_DEP_3)
	v_mul_f32_e32 v10, v12, v10
	v_mul_f32_e32 v12, 0x3f317218, v3
	v_sub_f32_e32 v4, v4, v6
	s_delay_alu instid0(VALU_DEP_3) | instskip(NEXT) | instid1(VALU_DEP_2)
	v_add_f32_e32 v9, v11, v10
	v_ldexp_f32 v4, v4, 1
	s_delay_alu instid0(VALU_DEP_2) | instskip(SKIP_1) | instid1(VALU_DEP_1)
	v_sub_f32_e32 v6, v9, v11
	v_fma_f32 v11, 0x3f317218, v3, -v12
	v_dual_sub_f32 v6, v10, v6 :: v_dual_fmamk_f32 v3, v3, 0xb102e308, v11
	s_delay_alu instid0(VALU_DEP_1) | instskip(NEXT) | instid1(VALU_DEP_2)
	v_add_f32_e32 v4, v4, v6
	v_add_f32_e32 v6, v12, v3
	s_delay_alu instid0(VALU_DEP_2) | instskip(NEXT) | instid1(VALU_DEP_2)
	v_add_f32_e32 v10, v9, v4
	v_sub_f32_e32 v12, v6, v12
	s_delay_alu instid0(VALU_DEP_2) | instskip(SKIP_1) | instid1(VALU_DEP_3)
	v_add_f32_e32 v11, v6, v10
	v_sub_f32_e32 v9, v10, v9
	v_sub_f32_e32 v3, v3, v12
	s_delay_alu instid0(VALU_DEP_2) | instskip(NEXT) | instid1(VALU_DEP_1)
	v_dual_sub_f32 v19, v11, v6 :: v_dual_sub_f32 v4, v4, v9
	v_sub_f32_e32 v20, v11, v19
	s_delay_alu instid0(VALU_DEP_2) | instskip(NEXT) | instid1(VALU_DEP_2)
	v_dual_sub_f32 v9, v10, v19 :: v_dual_add_f32 v10, v3, v4
	v_sub_f32_e32 v6, v6, v20
	s_delay_alu instid0(VALU_DEP_1) | instskip(NEXT) | instid1(VALU_DEP_1)
	v_dual_add_f32 v6, v9, v6 :: v_dual_sub_f32 v9, v10, v3
	v_add_f32_e32 v6, v10, v6
	s_delay_alu instid0(VALU_DEP_2) | instskip(SKIP_1) | instid1(VALU_DEP_3)
	v_sub_f32_e32 v10, v10, v9
	v_sub_f32_e32 v4, v4, v9
	v_add_f32_e32 v12, v11, v6
	s_delay_alu instid0(VALU_DEP_3) | instskip(NEXT) | instid1(VALU_DEP_2)
	v_sub_f32_e32 v3, v3, v10
	v_sub_f32_e32 v9, v12, v11
	s_delay_alu instid0(VALU_DEP_1) | instskip(NEXT) | instid1(VALU_DEP_1)
	v_dual_add_f32 v3, v4, v3 :: v_dual_sub_f32 v4, v6, v9
	v_add_f32_e32 v3, v3, v4
	s_delay_alu instid0(VALU_DEP_1) | instskip(NEXT) | instid1(VALU_DEP_1)
	v_add_f32_e32 v3, v12, v3
	v_cndmask_b32_e32 v3, v3, v5, vcc_lo
	s_delay_alu instid0(VALU_DEP_1)
	v_add_f32_e32 v3, v1, v3
.LBB164_154:
	s_or_b32 exec_lo, exec_lo, s4
	s_delay_alu instid0(VALU_DEP_1)
	v_mov_b32_e32 v1, v3
.LBB164_155:
	s_or_b32 exec_lo, exec_lo, s1
	v_cmp_u_f32_e32 vcc_lo, v2, v2
	s_delay_alu instid0(VALU_DEP_2) | instskip(SKIP_1) | instid1(VALU_DEP_2)
	v_max_f32_e32 v19, v1, v1
	v_cmp_u_f32_e64 s5, v1, v1
	v_min_f32_e32 v11, v19, v18
	s_delay_alu instid0(VALU_DEP_1) | instskip(NEXT) | instid1(VALU_DEP_1)
	v_cndmask_b32_e64 v4, v11, v1, s5
	v_cndmask_b32_e32 v6, v4, v2, vcc_lo
	v_mov_b32_e32 v4, v1
	v_max_f32_e32 v12, v19, v18
	s_delay_alu instid0(VALU_DEP_3) | instskip(NEXT) | instid1(VALU_DEP_2)
	v_cmp_class_f32_e64 s4, v6, 0x1f8
	v_cndmask_b32_e64 v5, v12, v1, s5
	s_delay_alu instid0(VALU_DEP_1) | instskip(NEXT) | instid1(VALU_DEP_1)
	v_cndmask_b32_e32 v5, v5, v2, vcc_lo
	v_cmp_neq_f32_e64 s1, v6, v5
	s_delay_alu instid0(VALU_DEP_1) | instskip(NEXT) | instid1(SALU_CYCLE_1)
	s_or_b32 s1, s1, s4
	s_and_saveexec_b32 s4, s1
	s_cbranch_execz .LBB164_157
; %bb.156:
	v_sub_f32_e32 v4, v6, v5
	s_delay_alu instid0(VALU_DEP_1) | instskip(SKIP_1) | instid1(VALU_DEP_2)
	v_mul_f32_e32 v6, 0x3fb8aa3b, v4
	v_cmp_ngt_f32_e64 s1, 0xc2ce8ed0, v4
	v_fma_f32 v9, 0x3fb8aa3b, v4, -v6
	v_rndne_f32_e32 v10, v6
	s_delay_alu instid0(VALU_DEP_1) | instskip(NEXT) | instid1(VALU_DEP_1)
	v_dual_fmamk_f32 v9, v4, 0x32a5705f, v9 :: v_dual_sub_f32 v6, v6, v10
	v_add_f32_e32 v6, v6, v9
	v_cvt_i32_f32_e32 v9, v10
	s_delay_alu instid0(VALU_DEP_2) | instskip(SKIP_2) | instid1(VALU_DEP_1)
	v_exp_f32_e32 v6, v6
	s_waitcnt_depctr 0xfff
	v_ldexp_f32 v6, v6, v9
	v_cndmask_b32_e64 v6, 0, v6, s1
	v_cmp_nlt_f32_e64 s1, 0x42b17218, v4
	s_delay_alu instid0(VALU_DEP_1) | instskip(NEXT) | instid1(VALU_DEP_1)
	v_cndmask_b32_e64 v4, 0x7f800000, v6, s1
	v_add_f32_e32 v6, 1.0, v4
	v_cmp_gt_f32_e64 s6, 0x33800000, |v4|
	s_delay_alu instid0(VALU_DEP_2) | instskip(NEXT) | instid1(VALU_DEP_1)
	v_cvt_f64_f32_e32 v[9:10], v6
	v_frexp_exp_i32_f64_e32 v9, v[9:10]
	v_frexp_mant_f32_e32 v10, v6
	s_delay_alu instid0(VALU_DEP_1) | instskip(SKIP_1) | instid1(VALU_DEP_1)
	v_cmp_gt_f32_e64 s1, 0x3f2aaaab, v10
	v_add_f32_e32 v10, -1.0, v6
	v_sub_f32_e32 v21, v10, v6
	s_delay_alu instid0(VALU_DEP_1) | instskip(NEXT) | instid1(VALU_DEP_4)
	v_add_f32_e32 v21, 1.0, v21
	v_subrev_co_ci_u32_e64 v9, s1, 0, v9, s1
	s_mov_b32 s1, 0x3e9b6dac
	s_delay_alu instid0(VALU_DEP_1) | instskip(SKIP_1) | instid1(VALU_DEP_2)
	v_sub_nc_u32_e32 v20, 0, v9
	v_cvt_f32_i32_e32 v9, v9
	v_ldexp_f32 v6, v6, v20
	s_delay_alu instid0(VALU_DEP_1) | instskip(SKIP_1) | instid1(VALU_DEP_1)
	v_add_f32_e32 v22, 1.0, v6
	v_sub_f32_e32 v10, v4, v10
	v_dual_add_f32 v10, v10, v21 :: v_dual_add_f32 v21, -1.0, v22
	s_delay_alu instid0(VALU_DEP_1) | instskip(NEXT) | instid1(VALU_DEP_2)
	v_ldexp_f32 v10, v10, v20
	v_dual_add_f32 v20, -1.0, v6 :: v_dual_sub_f32 v21, v6, v21
	s_delay_alu instid0(VALU_DEP_1) | instskip(NEXT) | instid1(VALU_DEP_2)
	v_add_f32_e32 v23, 1.0, v20
	v_add_f32_e32 v21, v10, v21
	s_delay_alu instid0(VALU_DEP_2) | instskip(NEXT) | instid1(VALU_DEP_2)
	v_sub_f32_e32 v6, v6, v23
	v_add_f32_e32 v23, v22, v21
	s_delay_alu instid0(VALU_DEP_2) | instskip(NEXT) | instid1(VALU_DEP_2)
	v_add_f32_e32 v6, v10, v6
	v_rcp_f32_e32 v10, v23
	s_delay_alu instid0(VALU_DEP_1) | instskip(NEXT) | instid1(VALU_DEP_1)
	v_add_f32_e32 v24, v20, v6
	v_sub_f32_e32 v20, v20, v24
	s_waitcnt_depctr 0xfff
	v_dual_mul_f32 v25, v24, v10 :: v_dual_sub_f32 v22, v22, v23
	v_add_f32_e32 v6, v6, v20
	s_delay_alu instid0(VALU_DEP_2) | instskip(NEXT) | instid1(VALU_DEP_1)
	v_dual_mul_f32 v26, v23, v25 :: v_dual_add_f32 v21, v21, v22
	v_fma_f32 v22, v25, v23, -v26
	s_delay_alu instid0(VALU_DEP_1) | instskip(NEXT) | instid1(VALU_DEP_1)
	v_fmac_f32_e32 v22, v25, v21
	v_add_f32_e32 v27, v26, v22
	s_delay_alu instid0(VALU_DEP_1) | instskip(SKIP_1) | instid1(VALU_DEP_2)
	v_sub_f32_e32 v28, v24, v27
	v_sub_f32_e32 v20, v27, v26
	;; [unrolled: 1-line block ×3, first 2 shown]
	s_delay_alu instid0(VALU_DEP_2) | instskip(NEXT) | instid1(VALU_DEP_2)
	v_sub_f32_e32 v20, v20, v22
	v_sub_f32_e32 v24, v24, v27
	s_delay_alu instid0(VALU_DEP_1) | instskip(NEXT) | instid1(VALU_DEP_1)
	v_add_f32_e32 v6, v6, v24
	v_add_f32_e32 v6, v20, v6
	s_delay_alu instid0(VALU_DEP_1) | instskip(NEXT) | instid1(VALU_DEP_1)
	v_add_f32_e32 v20, v28, v6
	v_mul_f32_e32 v22, v10, v20
	s_delay_alu instid0(VALU_DEP_1) | instskip(NEXT) | instid1(VALU_DEP_1)
	v_dual_sub_f32 v27, v28, v20 :: v_dual_mul_f32 v24, v23, v22
	v_add_f32_e32 v6, v6, v27
	s_delay_alu instid0(VALU_DEP_2) | instskip(NEXT) | instid1(VALU_DEP_1)
	v_fma_f32 v23, v22, v23, -v24
	v_fmac_f32_e32 v23, v22, v21
	s_delay_alu instid0(VALU_DEP_1) | instskip(NEXT) | instid1(VALU_DEP_1)
	v_add_f32_e32 v21, v24, v23
	v_sub_f32_e32 v26, v20, v21
	v_sub_f32_e32 v24, v21, v24
	s_delay_alu instid0(VALU_DEP_2) | instskip(NEXT) | instid1(VALU_DEP_1)
	v_sub_f32_e32 v20, v20, v26
	v_sub_f32_e32 v20, v20, v21
	s_delay_alu instid0(VALU_DEP_1) | instskip(SKIP_1) | instid1(VALU_DEP_1)
	v_dual_sub_f32 v21, v24, v23 :: v_dual_add_f32 v6, v6, v20
	v_add_f32_e32 v20, v25, v22
	v_dual_add_f32 v6, v21, v6 :: v_dual_sub_f32 v21, v20, v25
	s_delay_alu instid0(VALU_DEP_1) | instskip(NEXT) | instid1(VALU_DEP_2)
	v_add_f32_e32 v6, v26, v6
	v_sub_f32_e32 v21, v22, v21
	s_delay_alu instid0(VALU_DEP_2) | instskip(NEXT) | instid1(VALU_DEP_1)
	v_mul_f32_e32 v6, v10, v6
	v_add_f32_e32 v6, v21, v6
	s_delay_alu instid0(VALU_DEP_1) | instskip(NEXT) | instid1(VALU_DEP_1)
	v_add_f32_e32 v10, v20, v6
	v_mul_f32_e32 v21, v10, v10
	s_delay_alu instid0(VALU_DEP_1) | instskip(SKIP_2) | instid1(VALU_DEP_3)
	v_fmaak_f32 v22, s1, v21, 0x3ecc95a3
	v_mul_f32_e32 v23, v10, v21
	v_cmp_eq_f32_e64 s1, 0x7f800000, v4
	v_fmaak_f32 v21, v21, v22, 0x3f2aaada
	v_ldexp_f32 v22, v10, 1
	v_sub_f32_e32 v10, v10, v20
	s_delay_alu instid0(VALU_DEP_4) | instskip(NEXT) | instid1(VALU_DEP_3)
	s_or_b32 s1, s1, s6
	v_mul_f32_e32 v21, v23, v21
	s_delay_alu instid0(VALU_DEP_2) | instskip(NEXT) | instid1(VALU_DEP_2)
	v_dual_mul_f32 v23, 0x3f317218, v9 :: v_dual_sub_f32 v6, v6, v10
	v_add_f32_e32 v20, v22, v21
	s_delay_alu instid0(VALU_DEP_2) | instskip(NEXT) | instid1(VALU_DEP_2)
	v_ldexp_f32 v6, v6, 1
	v_sub_f32_e32 v10, v20, v22
	s_delay_alu instid0(VALU_DEP_4) | instskip(NEXT) | instid1(VALU_DEP_2)
	v_fma_f32 v22, 0x3f317218, v9, -v23
	v_sub_f32_e32 v10, v21, v10
	s_delay_alu instid0(VALU_DEP_1) | instskip(NEXT) | instid1(VALU_DEP_1)
	v_dual_fmamk_f32 v9, v9, 0xb102e308, v22 :: v_dual_add_f32 v6, v6, v10
	v_dual_add_f32 v10, v23, v9 :: v_dual_add_f32 v21, v20, v6
	s_delay_alu instid0(VALU_DEP_1) | instskip(NEXT) | instid1(VALU_DEP_2)
	v_sub_f32_e32 v23, v10, v23
	v_add_f32_e32 v22, v10, v21
	v_sub_f32_e32 v20, v21, v20
	s_delay_alu instid0(VALU_DEP_2) | instskip(NEXT) | instid1(VALU_DEP_2)
	v_dual_sub_f32 v9, v9, v23 :: v_dual_sub_f32 v24, v22, v10
	v_sub_f32_e32 v6, v6, v20
	s_delay_alu instid0(VALU_DEP_2) | instskip(SKIP_1) | instid1(VALU_DEP_2)
	v_sub_f32_e32 v25, v22, v24
	v_sub_f32_e32 v20, v21, v24
	v_dual_add_f32 v21, v9, v6 :: v_dual_sub_f32 v10, v10, v25
	s_delay_alu instid0(VALU_DEP_1) | instskip(NEXT) | instid1(VALU_DEP_2)
	v_add_f32_e32 v10, v20, v10
	v_sub_f32_e32 v20, v21, v9
	s_delay_alu instid0(VALU_DEP_2) | instskip(NEXT) | instid1(VALU_DEP_2)
	v_add_f32_e32 v10, v21, v10
	v_sub_f32_e32 v21, v21, v20
	v_sub_f32_e32 v6, v6, v20
	s_delay_alu instid0(VALU_DEP_3) | instskip(NEXT) | instid1(VALU_DEP_1)
	v_add_f32_e32 v23, v22, v10
	v_dual_sub_f32 v9, v9, v21 :: v_dual_sub_f32 v20, v23, v22
	s_delay_alu instid0(VALU_DEP_1) | instskip(NEXT) | instid1(VALU_DEP_2)
	v_add_f32_e32 v6, v6, v9
	v_sub_f32_e32 v9, v10, v20
	s_delay_alu instid0(VALU_DEP_1) | instskip(NEXT) | instid1(VALU_DEP_1)
	v_add_f32_e32 v6, v6, v9
	v_add_f32_e32 v6, v23, v6
	s_delay_alu instid0(VALU_DEP_1) | instskip(NEXT) | instid1(VALU_DEP_1)
	v_cndmask_b32_e64 v4, v6, v4, s1
	v_add_f32_e32 v4, v5, v4
.LBB164_157:
	s_or_b32 exec_lo, exec_lo, s4
	v_max_f32_e32 v9, v7, v7
	s_delay_alu instid0(VALU_DEP_2) | instskip(SKIP_1) | instid1(VALU_DEP_2)
	v_max_f32_e32 v5, v4, v4
	v_cmp_u_f32_e64 s1, v4, v4
	v_min_f32_e32 v6, v5, v9
	v_max_f32_e32 v5, v5, v9
	s_delay_alu instid0(VALU_DEP_2) | instskip(NEXT) | instid1(VALU_DEP_2)
	v_cndmask_b32_e64 v6, v6, v4, s1
	v_cndmask_b32_e64 v5, v5, v4, s1
	v_cmp_u_f32_e64 s1, v7, v7
	s_delay_alu instid0(VALU_DEP_1) | instskip(NEXT) | instid1(VALU_DEP_3)
	v_cndmask_b32_e64 v6, v6, v7, s1
	v_cndmask_b32_e64 v5, v5, v7, s1
	s_delay_alu instid0(VALU_DEP_2) | instskip(NEXT) | instid1(VALU_DEP_2)
	v_cmp_class_f32_e64 s6, v6, 0x1f8
	v_cmp_neq_f32_e64 s4, v6, v5
	s_delay_alu instid0(VALU_DEP_1) | instskip(NEXT) | instid1(SALU_CYCLE_1)
	s_or_b32 s4, s4, s6
	s_and_saveexec_b32 s6, s4
	s_cbranch_execz .LBB164_159
; %bb.158:
	v_sub_f32_e32 v4, v6, v5
	s_delay_alu instid0(VALU_DEP_1) | instskip(SKIP_1) | instid1(VALU_DEP_2)
	v_mul_f32_e32 v6, 0x3fb8aa3b, v4
	v_cmp_ngt_f32_e64 s4, 0xc2ce8ed0, v4
	v_fma_f32 v10, 0x3fb8aa3b, v4, -v6
	v_rndne_f32_e32 v20, v6
	s_delay_alu instid0(VALU_DEP_2) | instskip(NEXT) | instid1(VALU_DEP_2)
	v_fmamk_f32 v10, v4, 0x32a5705f, v10
	v_sub_f32_e32 v6, v6, v20
	s_delay_alu instid0(VALU_DEP_1) | instskip(SKIP_1) | instid1(VALU_DEP_2)
	v_add_f32_e32 v6, v6, v10
	v_cvt_i32_f32_e32 v10, v20
	v_exp_f32_e32 v6, v6
	s_waitcnt_depctr 0xfff
	v_ldexp_f32 v6, v6, v10
	s_delay_alu instid0(VALU_DEP_1) | instskip(SKIP_1) | instid1(VALU_DEP_1)
	v_cndmask_b32_e64 v6, 0, v6, s4
	v_cmp_nlt_f32_e64 s4, 0x42b17218, v4
	v_cndmask_b32_e64 v4, 0x7f800000, v6, s4
	s_delay_alu instid0(VALU_DEP_1) | instskip(SKIP_1) | instid1(VALU_DEP_2)
	v_add_f32_e32 v6, 1.0, v4
	v_cmp_gt_f32_e64 s7, 0x33800000, |v4|
	v_cvt_f64_f32_e32 v[20:21], v6
	s_delay_alu instid0(VALU_DEP_1) | instskip(SKIP_1) | instid1(VALU_DEP_1)
	v_frexp_exp_i32_f64_e32 v10, v[20:21]
	v_frexp_mant_f32_e32 v20, v6
	v_cmp_gt_f32_e64 s4, 0x3f2aaaab, v20
	v_add_f32_e32 v20, -1.0, v6
	s_delay_alu instid0(VALU_DEP_1) | instskip(SKIP_1) | instid1(VALU_DEP_2)
	v_sub_f32_e32 v22, v20, v6
	v_sub_f32_e32 v20, v4, v20
	v_add_f32_e32 v22, 1.0, v22
	s_delay_alu instid0(VALU_DEP_1) | instskip(SKIP_2) | instid1(VALU_DEP_1)
	v_add_f32_e32 v20, v20, v22
	v_subrev_co_ci_u32_e64 v10, s4, 0, v10, s4
	s_mov_b32 s4, 0x3e9b6dac
	v_sub_nc_u32_e32 v21, 0, v10
	v_cvt_f32_i32_e32 v10, v10
	s_delay_alu instid0(VALU_DEP_2) | instskip(SKIP_1) | instid1(VALU_DEP_2)
	v_ldexp_f32 v6, v6, v21
	v_ldexp_f32 v20, v20, v21
	v_add_f32_e32 v23, 1.0, v6
	s_delay_alu instid0(VALU_DEP_1) | instskip(NEXT) | instid1(VALU_DEP_1)
	v_dual_add_f32 v21, -1.0, v6 :: v_dual_add_f32 v22, -1.0, v23
	v_add_f32_e32 v24, 1.0, v21
	s_delay_alu instid0(VALU_DEP_2) | instskip(NEXT) | instid1(VALU_DEP_2)
	v_sub_f32_e32 v22, v6, v22
	v_sub_f32_e32 v6, v6, v24
	s_delay_alu instid0(VALU_DEP_2) | instskip(NEXT) | instid1(VALU_DEP_2)
	v_add_f32_e32 v22, v20, v22
	v_add_f32_e32 v6, v20, v6
	s_delay_alu instid0(VALU_DEP_2) | instskip(NEXT) | instid1(VALU_DEP_2)
	v_add_f32_e32 v24, v23, v22
	v_add_f32_e32 v25, v21, v6
	s_delay_alu instid0(VALU_DEP_2) | instskip(SKIP_1) | instid1(VALU_DEP_1)
	v_rcp_f32_e32 v20, v24
	v_sub_f32_e32 v23, v23, v24
	v_dual_sub_f32 v21, v21, v25 :: v_dual_add_f32 v22, v22, v23
	s_delay_alu instid0(VALU_DEP_1) | instskip(SKIP_2) | instid1(VALU_DEP_1)
	v_add_f32_e32 v6, v6, v21
	s_waitcnt_depctr 0xfff
	v_mul_f32_e32 v26, v25, v20
	v_mul_f32_e32 v27, v24, v26
	s_delay_alu instid0(VALU_DEP_1) | instskip(NEXT) | instid1(VALU_DEP_1)
	v_fma_f32 v23, v26, v24, -v27
	v_fmac_f32_e32 v23, v26, v22
	s_delay_alu instid0(VALU_DEP_1) | instskip(NEXT) | instid1(VALU_DEP_1)
	v_add_f32_e32 v28, v27, v23
	v_sub_f32_e32 v29, v25, v28
	v_sub_f32_e32 v21, v28, v27
	s_delay_alu instid0(VALU_DEP_2) | instskip(NEXT) | instid1(VALU_DEP_2)
	v_sub_f32_e32 v25, v25, v29
	v_sub_f32_e32 v21, v21, v23
	s_delay_alu instid0(VALU_DEP_2) | instskip(NEXT) | instid1(VALU_DEP_1)
	v_sub_f32_e32 v25, v25, v28
	v_add_f32_e32 v6, v6, v25
	s_delay_alu instid0(VALU_DEP_1) | instskip(NEXT) | instid1(VALU_DEP_1)
	v_add_f32_e32 v6, v21, v6
	v_add_f32_e32 v21, v29, v6
	s_delay_alu instid0(VALU_DEP_1) | instskip(NEXT) | instid1(VALU_DEP_1)
	v_mul_f32_e32 v23, v20, v21
	v_dual_sub_f32 v28, v29, v21 :: v_dual_mul_f32 v25, v24, v23
	s_delay_alu instid0(VALU_DEP_1) | instskip(NEXT) | instid1(VALU_DEP_2)
	v_add_f32_e32 v6, v6, v28
	v_fma_f32 v24, v23, v24, -v25
	s_delay_alu instid0(VALU_DEP_1) | instskip(NEXT) | instid1(VALU_DEP_1)
	v_fmac_f32_e32 v24, v23, v22
	v_add_f32_e32 v22, v25, v24
	s_delay_alu instid0(VALU_DEP_1) | instskip(SKIP_1) | instid1(VALU_DEP_2)
	v_sub_f32_e32 v27, v21, v22
	v_sub_f32_e32 v25, v22, v25
	;; [unrolled: 1-line block ×3, first 2 shown]
	s_delay_alu instid0(VALU_DEP_1) | instskip(NEXT) | instid1(VALU_DEP_3)
	v_sub_f32_e32 v21, v21, v22
	v_sub_f32_e32 v22, v25, v24
	s_delay_alu instid0(VALU_DEP_2) | instskip(SKIP_1) | instid1(VALU_DEP_2)
	v_add_f32_e32 v6, v6, v21
	v_add_f32_e32 v21, v26, v23
	;; [unrolled: 1-line block ×3, first 2 shown]
	s_delay_alu instid0(VALU_DEP_2) | instskip(NEXT) | instid1(VALU_DEP_2)
	v_sub_f32_e32 v22, v21, v26
	v_add_f32_e32 v6, v27, v6
	s_delay_alu instid0(VALU_DEP_2) | instskip(NEXT) | instid1(VALU_DEP_2)
	v_sub_f32_e32 v22, v23, v22
	v_mul_f32_e32 v6, v20, v6
	s_delay_alu instid0(VALU_DEP_1) | instskip(NEXT) | instid1(VALU_DEP_1)
	v_add_f32_e32 v6, v22, v6
	v_add_f32_e32 v20, v21, v6
	s_delay_alu instid0(VALU_DEP_1) | instskip(NEXT) | instid1(VALU_DEP_1)
	v_mul_f32_e32 v22, v20, v20
	v_fmaak_f32 v23, s4, v22, 0x3ecc95a3
	v_mul_f32_e32 v24, v20, v22
	v_cmp_eq_f32_e64 s4, 0x7f800000, v4
	s_delay_alu instid0(VALU_DEP_3) | instskip(SKIP_2) | instid1(VALU_DEP_4)
	v_fmaak_f32 v22, v22, v23, 0x3f2aaada
	v_ldexp_f32 v23, v20, 1
	v_sub_f32_e32 v20, v20, v21
	s_or_b32 s4, s4, s7
	s_delay_alu instid0(VALU_DEP_3) | instskip(SKIP_1) | instid1(VALU_DEP_2)
	v_mul_f32_e32 v22, v24, v22
	v_mul_f32_e32 v24, 0x3f317218, v10
	v_dual_sub_f32 v6, v6, v20 :: v_dual_add_f32 v21, v23, v22
	s_delay_alu instid0(VALU_DEP_1) | instskip(NEXT) | instid1(VALU_DEP_2)
	v_ldexp_f32 v6, v6, 1
	v_sub_f32_e32 v20, v21, v23
	s_delay_alu instid0(VALU_DEP_4) | instskip(NEXT) | instid1(VALU_DEP_2)
	v_fma_f32 v23, 0x3f317218, v10, -v24
	v_sub_f32_e32 v20, v22, v20
	s_delay_alu instid0(VALU_DEP_2) | instskip(NEXT) | instid1(VALU_DEP_2)
	v_fmamk_f32 v10, v10, 0xb102e308, v23
	v_add_f32_e32 v6, v6, v20
	s_delay_alu instid0(VALU_DEP_2) | instskip(NEXT) | instid1(VALU_DEP_2)
	v_add_f32_e32 v20, v24, v10
	v_add_f32_e32 v22, v21, v6
	s_delay_alu instid0(VALU_DEP_2) | instskip(NEXT) | instid1(VALU_DEP_2)
	v_sub_f32_e32 v24, v20, v24
	v_add_f32_e32 v23, v20, v22
	v_sub_f32_e32 v21, v22, v21
	s_delay_alu instid0(VALU_DEP_3) | instskip(NEXT) | instid1(VALU_DEP_2)
	v_sub_f32_e32 v10, v10, v24
	v_dual_sub_f32 v25, v23, v20 :: v_dual_sub_f32 v6, v6, v21
	s_delay_alu instid0(VALU_DEP_1) | instskip(SKIP_1) | instid1(VALU_DEP_3)
	v_sub_f32_e32 v26, v23, v25
	v_sub_f32_e32 v21, v22, v25
	v_add_f32_e32 v22, v10, v6
	s_delay_alu instid0(VALU_DEP_3) | instskip(NEXT) | instid1(VALU_DEP_1)
	v_sub_f32_e32 v20, v20, v26
	v_dual_add_f32 v20, v21, v20 :: v_dual_sub_f32 v21, v22, v10
	s_delay_alu instid0(VALU_DEP_1) | instskip(NEXT) | instid1(VALU_DEP_2)
	v_add_f32_e32 v20, v22, v20
	v_sub_f32_e32 v22, v22, v21
	v_sub_f32_e32 v6, v6, v21
	s_delay_alu instid0(VALU_DEP_3) | instskip(NEXT) | instid1(VALU_DEP_1)
	v_add_f32_e32 v24, v23, v20
	v_dual_sub_f32 v10, v10, v22 :: v_dual_sub_f32 v21, v24, v23
	s_delay_alu instid0(VALU_DEP_1) | instskip(NEXT) | instid1(VALU_DEP_2)
	v_add_f32_e32 v6, v6, v10
	v_sub_f32_e32 v10, v20, v21
	s_delay_alu instid0(VALU_DEP_1) | instskip(NEXT) | instid1(VALU_DEP_1)
	v_add_f32_e32 v6, v6, v10
	v_add_f32_e32 v6, v24, v6
	s_delay_alu instid0(VALU_DEP_1) | instskip(NEXT) | instid1(VALU_DEP_1)
	v_cndmask_b32_e64 v4, v6, v4, s4
	v_add_f32_e32 v4, v5, v4
.LBB164_159:
	s_or_b32 exec_lo, exec_lo, s6
	v_max_f32_e32 v10, v8, v8
	s_delay_alu instid0(VALU_DEP_2) | instskip(SKIP_1) | instid1(VALU_DEP_2)
	v_max_f32_e32 v5, v4, v4
	v_cmp_u_f32_e64 s4, v4, v4
	v_min_f32_e32 v6, v5, v10
	v_max_f32_e32 v5, v5, v10
	s_delay_alu instid0(VALU_DEP_2) | instskip(NEXT) | instid1(VALU_DEP_2)
	v_cndmask_b32_e64 v6, v6, v4, s4
	v_cndmask_b32_e64 v5, v5, v4, s4
	v_cmp_u_f32_e64 s4, v8, v8
	s_delay_alu instid0(VALU_DEP_1) | instskip(NEXT) | instid1(VALU_DEP_3)
	v_cndmask_b32_e64 v6, v6, v8, s4
	v_cndmask_b32_e64 v5, v5, v8, s4
	s_delay_alu instid0(VALU_DEP_2) | instskip(NEXT) | instid1(VALU_DEP_2)
	v_cmp_class_f32_e64 s7, v6, 0x1f8
	v_cmp_neq_f32_e64 s6, v6, v5
	s_delay_alu instid0(VALU_DEP_1) | instskip(NEXT) | instid1(SALU_CYCLE_1)
	s_or_b32 s6, s6, s7
	s_and_saveexec_b32 s7, s6
	s_cbranch_execz .LBB164_161
; %bb.160:
	v_sub_f32_e32 v4, v6, v5
	s_delay_alu instid0(VALU_DEP_1) | instskip(SKIP_1) | instid1(VALU_DEP_2)
	v_mul_f32_e32 v6, 0x3fb8aa3b, v4
	v_cmp_ngt_f32_e64 s6, 0xc2ce8ed0, v4
	v_fma_f32 v20, 0x3fb8aa3b, v4, -v6
	v_rndne_f32_e32 v21, v6
	s_delay_alu instid0(VALU_DEP_2) | instskip(NEXT) | instid1(VALU_DEP_2)
	v_fmamk_f32 v20, v4, 0x32a5705f, v20
	v_sub_f32_e32 v6, v6, v21
	s_delay_alu instid0(VALU_DEP_1) | instskip(SKIP_1) | instid1(VALU_DEP_2)
	v_add_f32_e32 v6, v6, v20
	v_cvt_i32_f32_e32 v20, v21
	v_exp_f32_e32 v6, v6
	s_waitcnt_depctr 0xfff
	v_ldexp_f32 v6, v6, v20
	s_delay_alu instid0(VALU_DEP_1) | instskip(SKIP_1) | instid1(VALU_DEP_1)
	v_cndmask_b32_e64 v6, 0, v6, s6
	v_cmp_nlt_f32_e64 s6, 0x42b17218, v4
	v_cndmask_b32_e64 v4, 0x7f800000, v6, s6
	s_delay_alu instid0(VALU_DEP_1) | instskip(SKIP_1) | instid1(VALU_DEP_2)
	v_add_f32_e32 v6, 1.0, v4
	v_cmp_gt_f32_e64 s8, 0x33800000, |v4|
	v_cvt_f64_f32_e32 v[20:21], v6
	s_delay_alu instid0(VALU_DEP_1) | instskip(SKIP_1) | instid1(VALU_DEP_1)
	v_frexp_exp_i32_f64_e32 v20, v[20:21]
	v_frexp_mant_f32_e32 v21, v6
	v_cmp_gt_f32_e64 s6, 0x3f2aaaab, v21
	v_add_f32_e32 v21, -1.0, v6
	s_delay_alu instid0(VALU_DEP_1) | instskip(SKIP_1) | instid1(VALU_DEP_2)
	v_sub_f32_e32 v23, v21, v6
	v_sub_f32_e32 v21, v4, v21
	v_add_f32_e32 v23, 1.0, v23
	s_delay_alu instid0(VALU_DEP_1) | instskip(SKIP_2) | instid1(VALU_DEP_1)
	v_add_f32_e32 v21, v21, v23
	v_subrev_co_ci_u32_e64 v20, s6, 0, v20, s6
	s_mov_b32 s6, 0x3e9b6dac
	v_sub_nc_u32_e32 v22, 0, v20
	v_cvt_f32_i32_e32 v20, v20
	s_delay_alu instid0(VALU_DEP_2) | instskip(SKIP_1) | instid1(VALU_DEP_2)
	v_ldexp_f32 v6, v6, v22
	v_ldexp_f32 v21, v21, v22
	v_add_f32_e32 v24, 1.0, v6
	s_delay_alu instid0(VALU_DEP_1) | instskip(NEXT) | instid1(VALU_DEP_1)
	v_dual_add_f32 v22, -1.0, v6 :: v_dual_add_f32 v23, -1.0, v24
	v_add_f32_e32 v25, 1.0, v22
	s_delay_alu instid0(VALU_DEP_2) | instskip(NEXT) | instid1(VALU_DEP_1)
	v_sub_f32_e32 v23, v6, v23
	v_dual_sub_f32 v6, v6, v25 :: v_dual_add_f32 v23, v21, v23
	s_delay_alu instid0(VALU_DEP_1) | instskip(NEXT) | instid1(VALU_DEP_1)
	v_dual_add_f32 v6, v21, v6 :: v_dual_add_f32 v25, v24, v23
	v_rcp_f32_e32 v21, v25
	v_sub_f32_e32 v24, v24, v25
	s_delay_alu instid0(VALU_DEP_1) | instskip(NEXT) | instid1(VALU_DEP_1)
	v_dual_add_f32 v26, v22, v6 :: v_dual_add_f32 v23, v23, v24
	v_sub_f32_e32 v22, v22, v26
	s_waitcnt_depctr 0xfff
	v_mul_f32_e32 v27, v26, v21
	v_add_f32_e32 v6, v6, v22
	s_delay_alu instid0(VALU_DEP_2) | instskip(NEXT) | instid1(VALU_DEP_1)
	v_mul_f32_e32 v28, v25, v27
	v_fma_f32 v24, v27, v25, -v28
	s_delay_alu instid0(VALU_DEP_1) | instskip(NEXT) | instid1(VALU_DEP_1)
	v_fmac_f32_e32 v24, v27, v23
	v_add_f32_e32 v29, v28, v24
	s_delay_alu instid0(VALU_DEP_1) | instskip(SKIP_1) | instid1(VALU_DEP_2)
	v_sub_f32_e32 v30, v26, v29
	v_sub_f32_e32 v22, v29, v28
	v_sub_f32_e32 v26, v26, v30
	s_delay_alu instid0(VALU_DEP_2) | instskip(NEXT) | instid1(VALU_DEP_2)
	v_sub_f32_e32 v22, v22, v24
	v_sub_f32_e32 v26, v26, v29
	s_delay_alu instid0(VALU_DEP_1) | instskip(NEXT) | instid1(VALU_DEP_1)
	v_add_f32_e32 v6, v6, v26
	v_add_f32_e32 v6, v22, v6
	s_delay_alu instid0(VALU_DEP_1) | instskip(NEXT) | instid1(VALU_DEP_1)
	v_add_f32_e32 v22, v30, v6
	v_mul_f32_e32 v24, v21, v22
	s_delay_alu instid0(VALU_DEP_1) | instskip(NEXT) | instid1(VALU_DEP_1)
	v_mul_f32_e32 v26, v25, v24
	v_fma_f32 v25, v24, v25, -v26
	s_delay_alu instid0(VALU_DEP_1) | instskip(SKIP_1) | instid1(VALU_DEP_2)
	v_fmac_f32_e32 v25, v24, v23
	v_sub_f32_e32 v29, v30, v22
	v_add_f32_e32 v23, v26, v25
	s_delay_alu instid0(VALU_DEP_2) | instskip(NEXT) | instid1(VALU_DEP_2)
	v_add_f32_e32 v6, v6, v29
	v_sub_f32_e32 v28, v22, v23
	v_sub_f32_e32 v26, v23, v26
	s_delay_alu instid0(VALU_DEP_2) | instskip(NEXT) | instid1(VALU_DEP_1)
	v_sub_f32_e32 v22, v22, v28
	v_sub_f32_e32 v22, v22, v23
	s_delay_alu instid0(VALU_DEP_3) | instskip(NEXT) | instid1(VALU_DEP_2)
	v_sub_f32_e32 v23, v26, v25
	v_add_f32_e32 v6, v6, v22
	v_add_f32_e32 v22, v27, v24
	s_delay_alu instid0(VALU_DEP_1) | instskip(NEXT) | instid1(VALU_DEP_1)
	v_dual_add_f32 v6, v23, v6 :: v_dual_sub_f32 v23, v22, v27
	v_add_f32_e32 v6, v28, v6
	s_delay_alu instid0(VALU_DEP_1) | instskip(NEXT) | instid1(VALU_DEP_1)
	v_dual_sub_f32 v23, v24, v23 :: v_dual_mul_f32 v6, v21, v6
	v_add_f32_e32 v6, v23, v6
	s_delay_alu instid0(VALU_DEP_1) | instskip(NEXT) | instid1(VALU_DEP_1)
	v_add_f32_e32 v21, v22, v6
	v_mul_f32_e32 v23, v21, v21
	s_delay_alu instid0(VALU_DEP_1) | instskip(SKIP_2) | instid1(VALU_DEP_3)
	v_fmaak_f32 v24, s6, v23, 0x3ecc95a3
	v_mul_f32_e32 v25, v21, v23
	v_cmp_eq_f32_e64 s6, 0x7f800000, v4
	v_fmaak_f32 v23, v23, v24, 0x3f2aaada
	v_ldexp_f32 v24, v21, 1
	v_sub_f32_e32 v21, v21, v22
	s_delay_alu instid0(VALU_DEP_4) | instskip(NEXT) | instid1(VALU_DEP_3)
	s_or_b32 s6, s6, s8
	v_mul_f32_e32 v23, v25, v23
	s_delay_alu instid0(VALU_DEP_2) | instskip(NEXT) | instid1(VALU_DEP_2)
	v_dual_mul_f32 v25, 0x3f317218, v20 :: v_dual_sub_f32 v6, v6, v21
	v_add_f32_e32 v22, v24, v23
	s_delay_alu instid0(VALU_DEP_2) | instskip(NEXT) | instid1(VALU_DEP_2)
	v_ldexp_f32 v6, v6, 1
	v_sub_f32_e32 v21, v22, v24
	s_delay_alu instid0(VALU_DEP_4) | instskip(NEXT) | instid1(VALU_DEP_1)
	v_fma_f32 v24, 0x3f317218, v20, -v25
	v_dual_sub_f32 v21, v23, v21 :: v_dual_fmamk_f32 v20, v20, 0xb102e308, v24
	s_delay_alu instid0(VALU_DEP_1) | instskip(NEXT) | instid1(VALU_DEP_1)
	v_dual_add_f32 v6, v6, v21 :: v_dual_add_f32 v21, v25, v20
	v_add_f32_e32 v23, v22, v6
	s_delay_alu instid0(VALU_DEP_2) | instskip(NEXT) | instid1(VALU_DEP_2)
	v_sub_f32_e32 v25, v21, v25
	v_add_f32_e32 v24, v21, v23
	v_sub_f32_e32 v22, v23, v22
	s_delay_alu instid0(VALU_DEP_3) | instskip(NEXT) | instid1(VALU_DEP_3)
	v_sub_f32_e32 v20, v20, v25
	v_sub_f32_e32 v26, v24, v21
	s_delay_alu instid0(VALU_DEP_3) | instskip(NEXT) | instid1(VALU_DEP_2)
	v_sub_f32_e32 v6, v6, v22
	v_sub_f32_e32 v27, v24, v26
	;; [unrolled: 1-line block ×3, first 2 shown]
	s_delay_alu instid0(VALU_DEP_3) | instskip(NEXT) | instid1(VALU_DEP_3)
	v_add_f32_e32 v23, v20, v6
	v_sub_f32_e32 v21, v21, v27
	s_delay_alu instid0(VALU_DEP_1) | instskip(NEXT) | instid1(VALU_DEP_1)
	v_dual_add_f32 v21, v22, v21 :: v_dual_sub_f32 v22, v23, v20
	v_add_f32_e32 v21, v23, v21
	s_delay_alu instid0(VALU_DEP_2) | instskip(NEXT) | instid1(VALU_DEP_2)
	v_sub_f32_e32 v23, v23, v22
	v_dual_sub_f32 v6, v6, v22 :: v_dual_add_f32 v25, v24, v21
	s_delay_alu instid0(VALU_DEP_2) | instskip(NEXT) | instid1(VALU_DEP_2)
	v_sub_f32_e32 v20, v20, v23
	v_sub_f32_e32 v22, v25, v24
	s_delay_alu instid0(VALU_DEP_2) | instskip(NEXT) | instid1(VALU_DEP_2)
	v_add_f32_e32 v6, v6, v20
	v_sub_f32_e32 v20, v21, v22
	s_delay_alu instid0(VALU_DEP_1) | instskip(NEXT) | instid1(VALU_DEP_1)
	v_add_f32_e32 v6, v6, v20
	v_add_f32_e32 v6, v25, v6
	s_delay_alu instid0(VALU_DEP_1) | instskip(NEXT) | instid1(VALU_DEP_1)
	v_cndmask_b32_e64 v4, v6, v4, s6
	v_add_f32_e32 v4, v5, v4
.LBB164_161:
	s_or_b32 exec_lo, exec_lo, s7
	v_lshrrev_b32_e32 v5, 5, v0
	s_mov_b32 s8, exec_lo
	s_delay_alu instid0(VALU_DEP_1)
	v_add_lshl_u32 v5, v5, v0, 2
	ds_store_b32 v5, v4
	s_waitcnt lgkmcnt(0)
	s_barrier
	buffer_gl0_inv
	v_cmpx_gt_u32_e32 32, v0
	s_cbranch_execz .LBB164_213
; %bb.162:
	v_and_b32_e32 v5, 0xfc, v0
	s_delay_alu instid0(VALU_DEP_1)
	v_lshl_or_b32 v20, v0, 5, v5
	ds_load_2addr_b32 v[5:6], v20 offset1:1
	s_waitcnt lgkmcnt(0)
	v_dual_max_f32 v22, v6, v6 :: v_dual_max_f32 v21, v5, v5
	v_cmp_u_f32_e64 s6, v5, v5
	v_cmp_u_f32_e64 s7, v6, v6
	s_delay_alu instid0(VALU_DEP_3) | instskip(SKIP_1) | instid1(VALU_DEP_2)
	v_min_f32_e32 v23, v21, v22
	v_max_f32_e32 v22, v21, v22
	v_cndmask_b32_e64 v23, v23, v5, s6
	s_delay_alu instid0(VALU_DEP_2) | instskip(NEXT) | instid1(VALU_DEP_2)
	v_cndmask_b32_e64 v24, v22, v5, s6
	v_cndmask_b32_e64 v22, v23, v6, s7
	s_delay_alu instid0(VALU_DEP_2) | instskip(SKIP_1) | instid1(VALU_DEP_3)
	v_cndmask_b32_e64 v6, v24, v6, s7
	v_mov_b32_e32 v23, v5
	v_cmp_class_f32_e64 s9, v22, 0x1f8
	s_delay_alu instid0(VALU_DEP_3) | instskip(NEXT) | instid1(VALU_DEP_1)
	v_cmp_neq_f32_e64 s7, v22, v6
	s_or_b32 s7, s7, s9
	s_delay_alu instid0(SALU_CYCLE_1)
	s_and_saveexec_b32 s9, s7
	s_cbranch_execz .LBB164_164
; %bb.163:
	v_sub_f32_e32 v22, v22, v6
	s_delay_alu instid0(VALU_DEP_1) | instskip(NEXT) | instid1(VALU_DEP_1)
	v_mul_f32_e32 v23, 0x3fb8aa3b, v22
	v_fma_f32 v24, 0x3fb8aa3b, v22, -v23
	v_rndne_f32_e32 v25, v23
	s_delay_alu instid0(VALU_DEP_1) | instskip(SKIP_1) | instid1(VALU_DEP_2)
	v_dual_sub_f32 v23, v23, v25 :: v_dual_fmamk_f32 v24, v22, 0x32a5705f, v24
	v_cmp_ngt_f32_e64 s7, 0xc2ce8ed0, v22
	v_add_f32_e32 v23, v23, v24
	v_cvt_i32_f32_e32 v24, v25
	s_delay_alu instid0(VALU_DEP_2) | instskip(SKIP_2) | instid1(VALU_DEP_1)
	v_exp_f32_e32 v23, v23
	s_waitcnt_depctr 0xfff
	v_ldexp_f32 v23, v23, v24
	v_cndmask_b32_e64 v23, 0, v23, s7
	v_cmp_nlt_f32_e64 s7, 0x42b17218, v22
	s_delay_alu instid0(VALU_DEP_1) | instskip(NEXT) | instid1(VALU_DEP_1)
	v_cndmask_b32_e64 v24, 0x7f800000, v23, s7
	v_add_f32_e32 v25, 1.0, v24
	v_cmp_gt_f32_e64 s12, 0x33800000, |v24|
	s_delay_alu instid0(VALU_DEP_2) | instskip(NEXT) | instid1(VALU_DEP_1)
	v_cvt_f64_f32_e32 v[22:23], v25
	v_frexp_exp_i32_f64_e32 v22, v[22:23]
	v_frexp_mant_f32_e32 v23, v25
	s_delay_alu instid0(VALU_DEP_1) | instskip(SKIP_1) | instid1(VALU_DEP_1)
	v_cmp_gt_f32_e64 s7, 0x3f2aaaab, v23
	v_add_f32_e32 v23, -1.0, v25
	v_sub_f32_e32 v27, v23, v25
	v_sub_f32_e32 v23, v24, v23
	s_delay_alu instid0(VALU_DEP_4) | instskip(SKIP_1) | instid1(VALU_DEP_1)
	v_subrev_co_ci_u32_e64 v22, s7, 0, v22, s7
	s_mov_b32 s7, 0x3e9b6dac
	v_sub_nc_u32_e32 v26, 0, v22
	v_cvt_f32_i32_e32 v22, v22
	s_delay_alu instid0(VALU_DEP_2) | instskip(NEXT) | instid1(VALU_DEP_1)
	v_ldexp_f32 v25, v25, v26
	v_dual_add_f32 v28, 1.0, v25 :: v_dual_add_f32 v27, 1.0, v27
	s_delay_alu instid0(VALU_DEP_1) | instskip(NEXT) | instid1(VALU_DEP_2)
	v_add_f32_e32 v23, v23, v27
	v_add_f32_e32 v27, -1.0, v28
	s_delay_alu instid0(VALU_DEP_2) | instskip(NEXT) | instid1(VALU_DEP_2)
	v_ldexp_f32 v23, v23, v26
	v_dual_add_f32 v26, -1.0, v25 :: v_dual_sub_f32 v27, v25, v27
	s_delay_alu instid0(VALU_DEP_1) | instskip(NEXT) | instid1(VALU_DEP_2)
	v_add_f32_e32 v29, 1.0, v26
	v_add_f32_e32 v27, v23, v27
	s_delay_alu instid0(VALU_DEP_2) | instskip(NEXT) | instid1(VALU_DEP_2)
	v_sub_f32_e32 v25, v25, v29
	v_add_f32_e32 v29, v28, v27
	s_delay_alu instid0(VALU_DEP_2) | instskip(NEXT) | instid1(VALU_DEP_2)
	v_add_f32_e32 v23, v23, v25
	v_rcp_f32_e32 v25, v29
	v_sub_f32_e32 v28, v28, v29
	s_delay_alu instid0(VALU_DEP_1) | instskip(NEXT) | instid1(VALU_DEP_1)
	v_dual_add_f32 v30, v26, v23 :: v_dual_add_f32 v27, v27, v28
	v_sub_f32_e32 v26, v26, v30
	s_waitcnt_depctr 0xfff
	v_mul_f32_e32 v31, v30, v25
	s_delay_alu instid0(VALU_DEP_1) | instskip(NEXT) | instid1(VALU_DEP_1)
	v_dual_add_f32 v23, v23, v26 :: v_dual_mul_f32 v32, v29, v31
	v_fma_f32 v28, v31, v29, -v32
	s_delay_alu instid0(VALU_DEP_1) | instskip(NEXT) | instid1(VALU_DEP_1)
	v_fmac_f32_e32 v28, v31, v27
	v_add_f32_e32 v33, v32, v28
	s_delay_alu instid0(VALU_DEP_1) | instskip(SKIP_1) | instid1(VALU_DEP_2)
	v_sub_f32_e32 v34, v30, v33
	v_sub_f32_e32 v26, v33, v32
	;; [unrolled: 1-line block ×3, first 2 shown]
	s_delay_alu instid0(VALU_DEP_2) | instskip(NEXT) | instid1(VALU_DEP_2)
	v_sub_f32_e32 v26, v26, v28
	v_sub_f32_e32 v30, v30, v33
	s_delay_alu instid0(VALU_DEP_1) | instskip(NEXT) | instid1(VALU_DEP_1)
	v_add_f32_e32 v23, v23, v30
	v_add_f32_e32 v23, v26, v23
	s_delay_alu instid0(VALU_DEP_1) | instskip(NEXT) | instid1(VALU_DEP_1)
	v_add_f32_e32 v26, v34, v23
	v_mul_f32_e32 v28, v25, v26
	s_delay_alu instid0(VALU_DEP_1) | instskip(NEXT) | instid1(VALU_DEP_1)
	v_dual_sub_f32 v33, v34, v26 :: v_dual_mul_f32 v30, v29, v28
	v_add_f32_e32 v23, v23, v33
	s_delay_alu instid0(VALU_DEP_2) | instskip(NEXT) | instid1(VALU_DEP_1)
	v_fma_f32 v29, v28, v29, -v30
	v_fmac_f32_e32 v29, v28, v27
	s_delay_alu instid0(VALU_DEP_1) | instskip(NEXT) | instid1(VALU_DEP_1)
	v_add_f32_e32 v27, v30, v29
	v_sub_f32_e32 v32, v26, v27
	v_sub_f32_e32 v30, v27, v30
	s_delay_alu instid0(VALU_DEP_2) | instskip(NEXT) | instid1(VALU_DEP_1)
	v_sub_f32_e32 v26, v26, v32
	v_sub_f32_e32 v26, v26, v27
	s_delay_alu instid0(VALU_DEP_3) | instskip(NEXT) | instid1(VALU_DEP_2)
	v_sub_f32_e32 v27, v30, v29
	v_add_f32_e32 v23, v23, v26
	v_add_f32_e32 v26, v31, v28
	s_delay_alu instid0(VALU_DEP_2) | instskip(NEXT) | instid1(VALU_DEP_2)
	v_add_f32_e32 v23, v27, v23
	v_sub_f32_e32 v27, v26, v31
	s_delay_alu instid0(VALU_DEP_2) | instskip(NEXT) | instid1(VALU_DEP_2)
	v_add_f32_e32 v23, v32, v23
	v_sub_f32_e32 v27, v28, v27
	s_delay_alu instid0(VALU_DEP_2) | instskip(NEXT) | instid1(VALU_DEP_1)
	v_mul_f32_e32 v23, v25, v23
	v_add_f32_e32 v23, v27, v23
	s_delay_alu instid0(VALU_DEP_1) | instskip(NEXT) | instid1(VALU_DEP_1)
	v_add_f32_e32 v25, v26, v23
	v_mul_f32_e32 v27, v25, v25
	s_delay_alu instid0(VALU_DEP_1) | instskip(SKIP_2) | instid1(VALU_DEP_3)
	v_fmaak_f32 v28, s7, v27, 0x3ecc95a3
	v_mul_f32_e32 v29, v25, v27
	v_cmp_eq_f32_e64 s7, 0x7f800000, v24
	v_fmaak_f32 v27, v27, v28, 0x3f2aaada
	v_ldexp_f32 v28, v25, 1
	v_sub_f32_e32 v25, v25, v26
	s_delay_alu instid0(VALU_DEP_4) | instskip(NEXT) | instid1(VALU_DEP_3)
	s_or_b32 s7, s7, s12
	v_mul_f32_e32 v27, v29, v27
	v_mul_f32_e32 v29, 0x3f317218, v22
	s_delay_alu instid0(VALU_DEP_2) | instskip(NEXT) | instid1(VALU_DEP_1)
	v_dual_sub_f32 v23, v23, v25 :: v_dual_add_f32 v26, v28, v27
	v_ldexp_f32 v23, v23, 1
	s_delay_alu instid0(VALU_DEP_2) | instskip(NEXT) | instid1(VALU_DEP_4)
	v_sub_f32_e32 v25, v26, v28
	v_fma_f32 v28, 0x3f317218, v22, -v29
	s_delay_alu instid0(VALU_DEP_1) | instskip(NEXT) | instid1(VALU_DEP_1)
	v_dual_sub_f32 v25, v27, v25 :: v_dual_fmamk_f32 v22, v22, 0xb102e308, v28
	v_add_f32_e32 v23, v23, v25
	s_delay_alu instid0(VALU_DEP_2) | instskip(NEXT) | instid1(VALU_DEP_2)
	v_add_f32_e32 v25, v29, v22
	v_add_f32_e32 v27, v26, v23
	s_delay_alu instid0(VALU_DEP_2) | instskip(NEXT) | instid1(VALU_DEP_2)
	v_sub_f32_e32 v29, v25, v29
	v_add_f32_e32 v28, v25, v27
	v_sub_f32_e32 v26, v27, v26
	s_delay_alu instid0(VALU_DEP_3) | instskip(NEXT) | instid1(VALU_DEP_2)
	v_sub_f32_e32 v22, v22, v29
	v_dual_sub_f32 v30, v28, v25 :: v_dual_sub_f32 v23, v23, v26
	s_delay_alu instid0(VALU_DEP_1) | instskip(NEXT) | instid1(VALU_DEP_2)
	v_sub_f32_e32 v31, v28, v30
	v_dual_sub_f32 v26, v27, v30 :: v_dual_add_f32 v27, v22, v23
	s_delay_alu instid0(VALU_DEP_2) | instskip(NEXT) | instid1(VALU_DEP_1)
	v_sub_f32_e32 v25, v25, v31
	v_dual_add_f32 v25, v26, v25 :: v_dual_sub_f32 v26, v27, v22
	s_delay_alu instid0(VALU_DEP_1) | instskip(NEXT) | instid1(VALU_DEP_2)
	v_add_f32_e32 v25, v27, v25
	v_sub_f32_e32 v27, v27, v26
	v_sub_f32_e32 v23, v23, v26
	s_delay_alu instid0(VALU_DEP_2) | instskip(NEXT) | instid1(VALU_DEP_1)
	v_dual_add_f32 v29, v28, v25 :: v_dual_sub_f32 v22, v22, v27
	v_sub_f32_e32 v26, v29, v28
	s_delay_alu instid0(VALU_DEP_2) | instskip(NEXT) | instid1(VALU_DEP_2)
	v_add_f32_e32 v22, v23, v22
	v_sub_f32_e32 v23, v25, v26
	s_delay_alu instid0(VALU_DEP_1) | instskip(NEXT) | instid1(VALU_DEP_1)
	v_add_f32_e32 v22, v22, v23
	v_add_f32_e32 v22, v29, v22
	s_delay_alu instid0(VALU_DEP_1) | instskip(NEXT) | instid1(VALU_DEP_1)
	v_cndmask_b32_e64 v22, v22, v24, s7
	v_add_f32_e32 v23, v6, v22
.LBB164_164:
	s_or_b32 exec_lo, exec_lo, s9
	ds_load_b32 v6, v20 offset:8
	v_max_f32_e32 v22, v23, v23
	v_cmp_u_f32_e64 s7, v23, v23
	s_waitcnt lgkmcnt(0)
	v_max_f32_e32 v24, v6, v6
	s_delay_alu instid0(VALU_DEP_1) | instskip(SKIP_1) | instid1(VALU_DEP_2)
	v_min_f32_e32 v25, v22, v24
	v_max_f32_e32 v22, v22, v24
	v_cndmask_b32_e64 v24, v25, v23, s7
	s_delay_alu instid0(VALU_DEP_2) | instskip(SKIP_1) | instid1(VALU_DEP_1)
	v_cndmask_b32_e64 v25, v22, v23, s7
	v_cmp_u_f32_e64 s7, v6, v6
	v_cndmask_b32_e64 v22, v24, v6, s7
	s_delay_alu instid0(VALU_DEP_3) | instskip(NEXT) | instid1(VALU_DEP_2)
	v_cndmask_b32_e64 v6, v25, v6, s7
	v_cmp_class_f32_e64 s9, v22, 0x1f8
	s_delay_alu instid0(VALU_DEP_2) | instskip(NEXT) | instid1(VALU_DEP_1)
	v_cmp_neq_f32_e64 s7, v22, v6
	s_or_b32 s7, s7, s9
	s_delay_alu instid0(SALU_CYCLE_1)
	s_and_saveexec_b32 s9, s7
	s_cbranch_execz .LBB164_166
; %bb.165:
	v_sub_f32_e32 v22, v22, v6
	s_delay_alu instid0(VALU_DEP_1) | instskip(NEXT) | instid1(VALU_DEP_1)
	v_mul_f32_e32 v23, 0x3fb8aa3b, v22
	v_fma_f32 v24, 0x3fb8aa3b, v22, -v23
	v_rndne_f32_e32 v25, v23
	s_delay_alu instid0(VALU_DEP_1) | instskip(SKIP_1) | instid1(VALU_DEP_2)
	v_dual_sub_f32 v23, v23, v25 :: v_dual_fmamk_f32 v24, v22, 0x32a5705f, v24
	v_cmp_ngt_f32_e64 s7, 0xc2ce8ed0, v22
	v_add_f32_e32 v23, v23, v24
	v_cvt_i32_f32_e32 v24, v25
	s_delay_alu instid0(VALU_DEP_2) | instskip(SKIP_2) | instid1(VALU_DEP_1)
	v_exp_f32_e32 v23, v23
	s_waitcnt_depctr 0xfff
	v_ldexp_f32 v23, v23, v24
	v_cndmask_b32_e64 v23, 0, v23, s7
	v_cmp_nlt_f32_e64 s7, 0x42b17218, v22
	s_delay_alu instid0(VALU_DEP_1) | instskip(NEXT) | instid1(VALU_DEP_1)
	v_cndmask_b32_e64 v24, 0x7f800000, v23, s7
	v_add_f32_e32 v25, 1.0, v24
	v_cmp_gt_f32_e64 s12, 0x33800000, |v24|
	s_delay_alu instid0(VALU_DEP_2) | instskip(NEXT) | instid1(VALU_DEP_1)
	v_cvt_f64_f32_e32 v[22:23], v25
	v_frexp_exp_i32_f64_e32 v22, v[22:23]
	v_frexp_mant_f32_e32 v23, v25
	s_delay_alu instid0(VALU_DEP_1) | instskip(SKIP_1) | instid1(VALU_DEP_1)
	v_cmp_gt_f32_e64 s7, 0x3f2aaaab, v23
	v_add_f32_e32 v23, -1.0, v25
	v_sub_f32_e32 v27, v23, v25
	v_sub_f32_e32 v23, v24, v23
	s_delay_alu instid0(VALU_DEP_4) | instskip(SKIP_1) | instid1(VALU_DEP_1)
	v_subrev_co_ci_u32_e64 v22, s7, 0, v22, s7
	s_mov_b32 s7, 0x3e9b6dac
	v_sub_nc_u32_e32 v26, 0, v22
	v_cvt_f32_i32_e32 v22, v22
	s_delay_alu instid0(VALU_DEP_2) | instskip(NEXT) | instid1(VALU_DEP_1)
	v_ldexp_f32 v25, v25, v26
	v_dual_add_f32 v28, 1.0, v25 :: v_dual_add_f32 v27, 1.0, v27
	s_delay_alu instid0(VALU_DEP_1) | instskip(NEXT) | instid1(VALU_DEP_2)
	v_add_f32_e32 v23, v23, v27
	v_add_f32_e32 v27, -1.0, v28
	s_delay_alu instid0(VALU_DEP_2) | instskip(NEXT) | instid1(VALU_DEP_2)
	v_ldexp_f32 v23, v23, v26
	v_dual_add_f32 v26, -1.0, v25 :: v_dual_sub_f32 v27, v25, v27
	s_delay_alu instid0(VALU_DEP_1) | instskip(NEXT) | instid1(VALU_DEP_2)
	v_add_f32_e32 v29, 1.0, v26
	v_add_f32_e32 v27, v23, v27
	s_delay_alu instid0(VALU_DEP_2) | instskip(NEXT) | instid1(VALU_DEP_2)
	v_sub_f32_e32 v25, v25, v29
	v_add_f32_e32 v29, v28, v27
	s_delay_alu instid0(VALU_DEP_2) | instskip(NEXT) | instid1(VALU_DEP_2)
	v_add_f32_e32 v23, v23, v25
	v_rcp_f32_e32 v25, v29
	v_sub_f32_e32 v28, v28, v29
	s_delay_alu instid0(VALU_DEP_1) | instskip(NEXT) | instid1(VALU_DEP_1)
	v_dual_add_f32 v30, v26, v23 :: v_dual_add_f32 v27, v27, v28
	v_sub_f32_e32 v26, v26, v30
	s_waitcnt_depctr 0xfff
	v_mul_f32_e32 v31, v30, v25
	s_delay_alu instid0(VALU_DEP_1) | instskip(NEXT) | instid1(VALU_DEP_1)
	v_dual_add_f32 v23, v23, v26 :: v_dual_mul_f32 v32, v29, v31
	v_fma_f32 v28, v31, v29, -v32
	s_delay_alu instid0(VALU_DEP_1) | instskip(NEXT) | instid1(VALU_DEP_1)
	v_fmac_f32_e32 v28, v31, v27
	v_add_f32_e32 v33, v32, v28
	s_delay_alu instid0(VALU_DEP_1) | instskip(SKIP_1) | instid1(VALU_DEP_2)
	v_sub_f32_e32 v34, v30, v33
	v_sub_f32_e32 v26, v33, v32
	;; [unrolled: 1-line block ×3, first 2 shown]
	s_delay_alu instid0(VALU_DEP_2) | instskip(NEXT) | instid1(VALU_DEP_2)
	v_sub_f32_e32 v26, v26, v28
	v_sub_f32_e32 v30, v30, v33
	s_delay_alu instid0(VALU_DEP_1) | instskip(NEXT) | instid1(VALU_DEP_1)
	v_add_f32_e32 v23, v23, v30
	v_add_f32_e32 v23, v26, v23
	s_delay_alu instid0(VALU_DEP_1) | instskip(NEXT) | instid1(VALU_DEP_1)
	v_add_f32_e32 v26, v34, v23
	v_mul_f32_e32 v28, v25, v26
	s_delay_alu instid0(VALU_DEP_1) | instskip(NEXT) | instid1(VALU_DEP_1)
	v_dual_sub_f32 v33, v34, v26 :: v_dual_mul_f32 v30, v29, v28
	v_add_f32_e32 v23, v23, v33
	s_delay_alu instid0(VALU_DEP_2) | instskip(NEXT) | instid1(VALU_DEP_1)
	v_fma_f32 v29, v28, v29, -v30
	v_fmac_f32_e32 v29, v28, v27
	s_delay_alu instid0(VALU_DEP_1) | instskip(NEXT) | instid1(VALU_DEP_1)
	v_add_f32_e32 v27, v30, v29
	v_sub_f32_e32 v32, v26, v27
	v_sub_f32_e32 v30, v27, v30
	s_delay_alu instid0(VALU_DEP_2) | instskip(NEXT) | instid1(VALU_DEP_1)
	v_sub_f32_e32 v26, v26, v32
	v_sub_f32_e32 v26, v26, v27
	s_delay_alu instid0(VALU_DEP_3) | instskip(NEXT) | instid1(VALU_DEP_2)
	v_sub_f32_e32 v27, v30, v29
	v_add_f32_e32 v23, v23, v26
	v_add_f32_e32 v26, v31, v28
	s_delay_alu instid0(VALU_DEP_2) | instskip(NEXT) | instid1(VALU_DEP_2)
	v_add_f32_e32 v23, v27, v23
	v_sub_f32_e32 v27, v26, v31
	s_delay_alu instid0(VALU_DEP_2) | instskip(NEXT) | instid1(VALU_DEP_2)
	v_add_f32_e32 v23, v32, v23
	v_sub_f32_e32 v27, v28, v27
	s_delay_alu instid0(VALU_DEP_2) | instskip(NEXT) | instid1(VALU_DEP_1)
	v_mul_f32_e32 v23, v25, v23
	v_add_f32_e32 v23, v27, v23
	s_delay_alu instid0(VALU_DEP_1) | instskip(NEXT) | instid1(VALU_DEP_1)
	v_add_f32_e32 v25, v26, v23
	v_mul_f32_e32 v27, v25, v25
	s_delay_alu instid0(VALU_DEP_1) | instskip(SKIP_2) | instid1(VALU_DEP_3)
	v_fmaak_f32 v28, s7, v27, 0x3ecc95a3
	v_mul_f32_e32 v29, v25, v27
	v_cmp_eq_f32_e64 s7, 0x7f800000, v24
	v_fmaak_f32 v27, v27, v28, 0x3f2aaada
	v_ldexp_f32 v28, v25, 1
	v_sub_f32_e32 v25, v25, v26
	s_delay_alu instid0(VALU_DEP_4) | instskip(NEXT) | instid1(VALU_DEP_3)
	s_or_b32 s7, s7, s12
	v_mul_f32_e32 v27, v29, v27
	v_mul_f32_e32 v29, 0x3f317218, v22
	s_delay_alu instid0(VALU_DEP_2) | instskip(NEXT) | instid1(VALU_DEP_1)
	v_dual_sub_f32 v23, v23, v25 :: v_dual_add_f32 v26, v28, v27
	v_ldexp_f32 v23, v23, 1
	s_delay_alu instid0(VALU_DEP_2) | instskip(NEXT) | instid1(VALU_DEP_4)
	v_sub_f32_e32 v25, v26, v28
	v_fma_f32 v28, 0x3f317218, v22, -v29
	s_delay_alu instid0(VALU_DEP_1) | instskip(NEXT) | instid1(VALU_DEP_1)
	v_dual_sub_f32 v25, v27, v25 :: v_dual_fmamk_f32 v22, v22, 0xb102e308, v28
	v_add_f32_e32 v23, v23, v25
	s_delay_alu instid0(VALU_DEP_2) | instskip(NEXT) | instid1(VALU_DEP_2)
	v_add_f32_e32 v25, v29, v22
	v_add_f32_e32 v27, v26, v23
	s_delay_alu instid0(VALU_DEP_2) | instskip(NEXT) | instid1(VALU_DEP_2)
	v_sub_f32_e32 v29, v25, v29
	v_add_f32_e32 v28, v25, v27
	v_sub_f32_e32 v26, v27, v26
	s_delay_alu instid0(VALU_DEP_3) | instskip(NEXT) | instid1(VALU_DEP_2)
	v_sub_f32_e32 v22, v22, v29
	v_dual_sub_f32 v30, v28, v25 :: v_dual_sub_f32 v23, v23, v26
	s_delay_alu instid0(VALU_DEP_1) | instskip(NEXT) | instid1(VALU_DEP_2)
	v_sub_f32_e32 v31, v28, v30
	v_dual_sub_f32 v26, v27, v30 :: v_dual_add_f32 v27, v22, v23
	s_delay_alu instid0(VALU_DEP_2) | instskip(NEXT) | instid1(VALU_DEP_1)
	v_sub_f32_e32 v25, v25, v31
	v_dual_add_f32 v25, v26, v25 :: v_dual_sub_f32 v26, v27, v22
	s_delay_alu instid0(VALU_DEP_1) | instskip(NEXT) | instid1(VALU_DEP_2)
	v_add_f32_e32 v25, v27, v25
	v_sub_f32_e32 v27, v27, v26
	v_sub_f32_e32 v23, v23, v26
	s_delay_alu instid0(VALU_DEP_2) | instskip(NEXT) | instid1(VALU_DEP_1)
	v_dual_add_f32 v29, v28, v25 :: v_dual_sub_f32 v22, v22, v27
	v_sub_f32_e32 v26, v29, v28
	s_delay_alu instid0(VALU_DEP_2) | instskip(NEXT) | instid1(VALU_DEP_2)
	v_add_f32_e32 v22, v23, v22
	v_sub_f32_e32 v23, v25, v26
	s_delay_alu instid0(VALU_DEP_1) | instskip(NEXT) | instid1(VALU_DEP_1)
	v_add_f32_e32 v22, v22, v23
	v_add_f32_e32 v22, v29, v22
	s_delay_alu instid0(VALU_DEP_1) | instskip(NEXT) | instid1(VALU_DEP_1)
	v_cndmask_b32_e64 v22, v22, v24, s7
	v_add_f32_e32 v23, v6, v22
.LBB164_166:
	s_or_b32 exec_lo, exec_lo, s9
	ds_load_b32 v6, v20 offset:12
	v_max_f32_e32 v22, v23, v23
	v_cmp_u_f32_e64 s7, v23, v23
	s_waitcnt lgkmcnt(0)
	v_max_f32_e32 v24, v6, v6
	s_delay_alu instid0(VALU_DEP_1) | instskip(SKIP_1) | instid1(VALU_DEP_2)
	v_min_f32_e32 v25, v22, v24
	v_max_f32_e32 v22, v22, v24
	v_cndmask_b32_e64 v24, v25, v23, s7
	s_delay_alu instid0(VALU_DEP_2) | instskip(SKIP_1) | instid1(VALU_DEP_1)
	v_cndmask_b32_e64 v25, v22, v23, s7
	v_cmp_u_f32_e64 s7, v6, v6
	v_cndmask_b32_e64 v22, v24, v6, s7
	s_delay_alu instid0(VALU_DEP_3) | instskip(NEXT) | instid1(VALU_DEP_2)
	v_cndmask_b32_e64 v6, v25, v6, s7
	v_cmp_class_f32_e64 s9, v22, 0x1f8
	s_delay_alu instid0(VALU_DEP_2) | instskip(NEXT) | instid1(VALU_DEP_1)
	v_cmp_neq_f32_e64 s7, v22, v6
	s_or_b32 s7, s7, s9
	s_delay_alu instid0(SALU_CYCLE_1)
	s_and_saveexec_b32 s9, s7
	s_cbranch_execz .LBB164_168
; %bb.167:
	v_sub_f32_e32 v22, v22, v6
	s_delay_alu instid0(VALU_DEP_1) | instskip(NEXT) | instid1(VALU_DEP_1)
	v_mul_f32_e32 v23, 0x3fb8aa3b, v22
	v_fma_f32 v24, 0x3fb8aa3b, v22, -v23
	v_rndne_f32_e32 v25, v23
	s_delay_alu instid0(VALU_DEP_1) | instskip(SKIP_1) | instid1(VALU_DEP_2)
	v_dual_sub_f32 v23, v23, v25 :: v_dual_fmamk_f32 v24, v22, 0x32a5705f, v24
	v_cmp_ngt_f32_e64 s7, 0xc2ce8ed0, v22
	v_add_f32_e32 v23, v23, v24
	v_cvt_i32_f32_e32 v24, v25
	s_delay_alu instid0(VALU_DEP_2) | instskip(SKIP_2) | instid1(VALU_DEP_1)
	v_exp_f32_e32 v23, v23
	s_waitcnt_depctr 0xfff
	v_ldexp_f32 v23, v23, v24
	v_cndmask_b32_e64 v23, 0, v23, s7
	v_cmp_nlt_f32_e64 s7, 0x42b17218, v22
	s_delay_alu instid0(VALU_DEP_1) | instskip(NEXT) | instid1(VALU_DEP_1)
	v_cndmask_b32_e64 v24, 0x7f800000, v23, s7
	v_add_f32_e32 v25, 1.0, v24
	v_cmp_gt_f32_e64 s12, 0x33800000, |v24|
	s_delay_alu instid0(VALU_DEP_2) | instskip(NEXT) | instid1(VALU_DEP_1)
	v_cvt_f64_f32_e32 v[22:23], v25
	v_frexp_exp_i32_f64_e32 v22, v[22:23]
	v_frexp_mant_f32_e32 v23, v25
	s_delay_alu instid0(VALU_DEP_1) | instskip(SKIP_1) | instid1(VALU_DEP_1)
	v_cmp_gt_f32_e64 s7, 0x3f2aaaab, v23
	v_add_f32_e32 v23, -1.0, v25
	v_sub_f32_e32 v27, v23, v25
	v_sub_f32_e32 v23, v24, v23
	s_delay_alu instid0(VALU_DEP_4) | instskip(SKIP_1) | instid1(VALU_DEP_1)
	v_subrev_co_ci_u32_e64 v22, s7, 0, v22, s7
	s_mov_b32 s7, 0x3e9b6dac
	v_sub_nc_u32_e32 v26, 0, v22
	v_cvt_f32_i32_e32 v22, v22
	s_delay_alu instid0(VALU_DEP_2) | instskip(NEXT) | instid1(VALU_DEP_1)
	v_ldexp_f32 v25, v25, v26
	v_dual_add_f32 v28, 1.0, v25 :: v_dual_add_f32 v27, 1.0, v27
	s_delay_alu instid0(VALU_DEP_1) | instskip(NEXT) | instid1(VALU_DEP_2)
	v_add_f32_e32 v23, v23, v27
	v_add_f32_e32 v27, -1.0, v28
	s_delay_alu instid0(VALU_DEP_2) | instskip(NEXT) | instid1(VALU_DEP_2)
	v_ldexp_f32 v23, v23, v26
	v_dual_add_f32 v26, -1.0, v25 :: v_dual_sub_f32 v27, v25, v27
	s_delay_alu instid0(VALU_DEP_1) | instskip(NEXT) | instid1(VALU_DEP_2)
	v_add_f32_e32 v29, 1.0, v26
	v_add_f32_e32 v27, v23, v27
	s_delay_alu instid0(VALU_DEP_2) | instskip(NEXT) | instid1(VALU_DEP_2)
	v_sub_f32_e32 v25, v25, v29
	v_add_f32_e32 v29, v28, v27
	s_delay_alu instid0(VALU_DEP_2) | instskip(NEXT) | instid1(VALU_DEP_2)
	v_add_f32_e32 v23, v23, v25
	v_rcp_f32_e32 v25, v29
	v_sub_f32_e32 v28, v28, v29
	s_delay_alu instid0(VALU_DEP_1) | instskip(NEXT) | instid1(VALU_DEP_1)
	v_dual_add_f32 v30, v26, v23 :: v_dual_add_f32 v27, v27, v28
	v_sub_f32_e32 v26, v26, v30
	s_waitcnt_depctr 0xfff
	v_mul_f32_e32 v31, v30, v25
	s_delay_alu instid0(VALU_DEP_1) | instskip(NEXT) | instid1(VALU_DEP_1)
	v_dual_add_f32 v23, v23, v26 :: v_dual_mul_f32 v32, v29, v31
	v_fma_f32 v28, v31, v29, -v32
	s_delay_alu instid0(VALU_DEP_1) | instskip(NEXT) | instid1(VALU_DEP_1)
	v_fmac_f32_e32 v28, v31, v27
	v_add_f32_e32 v33, v32, v28
	s_delay_alu instid0(VALU_DEP_1) | instskip(SKIP_1) | instid1(VALU_DEP_2)
	v_sub_f32_e32 v34, v30, v33
	v_sub_f32_e32 v26, v33, v32
	;; [unrolled: 1-line block ×3, first 2 shown]
	s_delay_alu instid0(VALU_DEP_2) | instskip(NEXT) | instid1(VALU_DEP_2)
	v_sub_f32_e32 v26, v26, v28
	v_sub_f32_e32 v30, v30, v33
	s_delay_alu instid0(VALU_DEP_1) | instskip(NEXT) | instid1(VALU_DEP_1)
	v_add_f32_e32 v23, v23, v30
	v_add_f32_e32 v23, v26, v23
	s_delay_alu instid0(VALU_DEP_1) | instskip(NEXT) | instid1(VALU_DEP_1)
	v_add_f32_e32 v26, v34, v23
	v_mul_f32_e32 v28, v25, v26
	s_delay_alu instid0(VALU_DEP_1) | instskip(NEXT) | instid1(VALU_DEP_1)
	v_dual_sub_f32 v33, v34, v26 :: v_dual_mul_f32 v30, v29, v28
	v_add_f32_e32 v23, v23, v33
	s_delay_alu instid0(VALU_DEP_2) | instskip(NEXT) | instid1(VALU_DEP_1)
	v_fma_f32 v29, v28, v29, -v30
	v_fmac_f32_e32 v29, v28, v27
	s_delay_alu instid0(VALU_DEP_1) | instskip(NEXT) | instid1(VALU_DEP_1)
	v_add_f32_e32 v27, v30, v29
	v_sub_f32_e32 v32, v26, v27
	v_sub_f32_e32 v30, v27, v30
	s_delay_alu instid0(VALU_DEP_2) | instskip(NEXT) | instid1(VALU_DEP_1)
	v_sub_f32_e32 v26, v26, v32
	v_sub_f32_e32 v26, v26, v27
	s_delay_alu instid0(VALU_DEP_3) | instskip(NEXT) | instid1(VALU_DEP_2)
	v_sub_f32_e32 v27, v30, v29
	v_add_f32_e32 v23, v23, v26
	v_add_f32_e32 v26, v31, v28
	s_delay_alu instid0(VALU_DEP_2) | instskip(NEXT) | instid1(VALU_DEP_2)
	v_add_f32_e32 v23, v27, v23
	v_sub_f32_e32 v27, v26, v31
	s_delay_alu instid0(VALU_DEP_2) | instskip(NEXT) | instid1(VALU_DEP_2)
	v_add_f32_e32 v23, v32, v23
	v_sub_f32_e32 v27, v28, v27
	s_delay_alu instid0(VALU_DEP_2) | instskip(NEXT) | instid1(VALU_DEP_1)
	v_mul_f32_e32 v23, v25, v23
	v_add_f32_e32 v23, v27, v23
	s_delay_alu instid0(VALU_DEP_1) | instskip(NEXT) | instid1(VALU_DEP_1)
	v_add_f32_e32 v25, v26, v23
	v_mul_f32_e32 v27, v25, v25
	s_delay_alu instid0(VALU_DEP_1) | instskip(SKIP_2) | instid1(VALU_DEP_3)
	v_fmaak_f32 v28, s7, v27, 0x3ecc95a3
	v_mul_f32_e32 v29, v25, v27
	v_cmp_eq_f32_e64 s7, 0x7f800000, v24
	v_fmaak_f32 v27, v27, v28, 0x3f2aaada
	v_ldexp_f32 v28, v25, 1
	v_sub_f32_e32 v25, v25, v26
	s_delay_alu instid0(VALU_DEP_4) | instskip(NEXT) | instid1(VALU_DEP_3)
	s_or_b32 s7, s7, s12
	v_mul_f32_e32 v27, v29, v27
	v_mul_f32_e32 v29, 0x3f317218, v22
	s_delay_alu instid0(VALU_DEP_2) | instskip(NEXT) | instid1(VALU_DEP_1)
	v_dual_sub_f32 v23, v23, v25 :: v_dual_add_f32 v26, v28, v27
	v_ldexp_f32 v23, v23, 1
	s_delay_alu instid0(VALU_DEP_2) | instskip(NEXT) | instid1(VALU_DEP_4)
	v_sub_f32_e32 v25, v26, v28
	v_fma_f32 v28, 0x3f317218, v22, -v29
	s_delay_alu instid0(VALU_DEP_1) | instskip(NEXT) | instid1(VALU_DEP_1)
	v_dual_sub_f32 v25, v27, v25 :: v_dual_fmamk_f32 v22, v22, 0xb102e308, v28
	v_add_f32_e32 v23, v23, v25
	s_delay_alu instid0(VALU_DEP_2) | instskip(NEXT) | instid1(VALU_DEP_2)
	v_add_f32_e32 v25, v29, v22
	v_add_f32_e32 v27, v26, v23
	s_delay_alu instid0(VALU_DEP_2) | instskip(NEXT) | instid1(VALU_DEP_2)
	v_sub_f32_e32 v29, v25, v29
	v_add_f32_e32 v28, v25, v27
	v_sub_f32_e32 v26, v27, v26
	s_delay_alu instid0(VALU_DEP_3) | instskip(NEXT) | instid1(VALU_DEP_2)
	v_sub_f32_e32 v22, v22, v29
	v_dual_sub_f32 v30, v28, v25 :: v_dual_sub_f32 v23, v23, v26
	s_delay_alu instid0(VALU_DEP_1) | instskip(NEXT) | instid1(VALU_DEP_2)
	v_sub_f32_e32 v31, v28, v30
	v_dual_sub_f32 v26, v27, v30 :: v_dual_add_f32 v27, v22, v23
	s_delay_alu instid0(VALU_DEP_2) | instskip(NEXT) | instid1(VALU_DEP_1)
	v_sub_f32_e32 v25, v25, v31
	v_dual_add_f32 v25, v26, v25 :: v_dual_sub_f32 v26, v27, v22
	s_delay_alu instid0(VALU_DEP_1) | instskip(NEXT) | instid1(VALU_DEP_2)
	v_add_f32_e32 v25, v27, v25
	v_sub_f32_e32 v27, v27, v26
	v_sub_f32_e32 v23, v23, v26
	s_delay_alu instid0(VALU_DEP_2) | instskip(NEXT) | instid1(VALU_DEP_1)
	v_dual_add_f32 v29, v28, v25 :: v_dual_sub_f32 v22, v22, v27
	v_sub_f32_e32 v26, v29, v28
	s_delay_alu instid0(VALU_DEP_2) | instskip(NEXT) | instid1(VALU_DEP_2)
	v_add_f32_e32 v22, v23, v22
	v_sub_f32_e32 v23, v25, v26
	s_delay_alu instid0(VALU_DEP_1) | instskip(NEXT) | instid1(VALU_DEP_1)
	v_add_f32_e32 v22, v22, v23
	v_add_f32_e32 v22, v29, v22
	s_delay_alu instid0(VALU_DEP_1) | instskip(NEXT) | instid1(VALU_DEP_1)
	v_cndmask_b32_e64 v22, v22, v24, s7
	v_add_f32_e32 v23, v6, v22
.LBB164_168:
	s_or_b32 exec_lo, exec_lo, s9
	ds_load_b32 v6, v20 offset:16
	v_max_f32_e32 v22, v23, v23
	v_cmp_u_f32_e64 s7, v23, v23
	s_waitcnt lgkmcnt(0)
	v_max_f32_e32 v24, v6, v6
	s_delay_alu instid0(VALU_DEP_1) | instskip(SKIP_1) | instid1(VALU_DEP_2)
	v_min_f32_e32 v25, v22, v24
	v_max_f32_e32 v22, v22, v24
	v_cndmask_b32_e64 v24, v25, v23, s7
	s_delay_alu instid0(VALU_DEP_2) | instskip(SKIP_1) | instid1(VALU_DEP_1)
	v_cndmask_b32_e64 v25, v22, v23, s7
	v_cmp_u_f32_e64 s7, v6, v6
	v_cndmask_b32_e64 v22, v24, v6, s7
	s_delay_alu instid0(VALU_DEP_3) | instskip(NEXT) | instid1(VALU_DEP_2)
	v_cndmask_b32_e64 v6, v25, v6, s7
	v_cmp_class_f32_e64 s9, v22, 0x1f8
	s_delay_alu instid0(VALU_DEP_2) | instskip(NEXT) | instid1(VALU_DEP_1)
	v_cmp_neq_f32_e64 s7, v22, v6
	s_or_b32 s7, s7, s9
	s_delay_alu instid0(SALU_CYCLE_1)
	s_and_saveexec_b32 s9, s7
	s_cbranch_execz .LBB164_170
; %bb.169:
	v_sub_f32_e32 v22, v22, v6
	s_delay_alu instid0(VALU_DEP_1) | instskip(NEXT) | instid1(VALU_DEP_1)
	v_mul_f32_e32 v23, 0x3fb8aa3b, v22
	v_fma_f32 v24, 0x3fb8aa3b, v22, -v23
	v_rndne_f32_e32 v25, v23
	s_delay_alu instid0(VALU_DEP_1) | instskip(SKIP_1) | instid1(VALU_DEP_2)
	v_dual_sub_f32 v23, v23, v25 :: v_dual_fmamk_f32 v24, v22, 0x32a5705f, v24
	v_cmp_ngt_f32_e64 s7, 0xc2ce8ed0, v22
	v_add_f32_e32 v23, v23, v24
	v_cvt_i32_f32_e32 v24, v25
	s_delay_alu instid0(VALU_DEP_2) | instskip(SKIP_2) | instid1(VALU_DEP_1)
	v_exp_f32_e32 v23, v23
	s_waitcnt_depctr 0xfff
	v_ldexp_f32 v23, v23, v24
	v_cndmask_b32_e64 v23, 0, v23, s7
	v_cmp_nlt_f32_e64 s7, 0x42b17218, v22
	s_delay_alu instid0(VALU_DEP_1) | instskip(NEXT) | instid1(VALU_DEP_1)
	v_cndmask_b32_e64 v24, 0x7f800000, v23, s7
	v_add_f32_e32 v25, 1.0, v24
	v_cmp_gt_f32_e64 s12, 0x33800000, |v24|
	s_delay_alu instid0(VALU_DEP_2) | instskip(NEXT) | instid1(VALU_DEP_1)
	v_cvt_f64_f32_e32 v[22:23], v25
	v_frexp_exp_i32_f64_e32 v22, v[22:23]
	v_frexp_mant_f32_e32 v23, v25
	s_delay_alu instid0(VALU_DEP_1) | instskip(SKIP_1) | instid1(VALU_DEP_1)
	v_cmp_gt_f32_e64 s7, 0x3f2aaaab, v23
	v_add_f32_e32 v23, -1.0, v25
	v_sub_f32_e32 v27, v23, v25
	v_sub_f32_e32 v23, v24, v23
	s_delay_alu instid0(VALU_DEP_4) | instskip(SKIP_1) | instid1(VALU_DEP_1)
	v_subrev_co_ci_u32_e64 v22, s7, 0, v22, s7
	s_mov_b32 s7, 0x3e9b6dac
	v_sub_nc_u32_e32 v26, 0, v22
	v_cvt_f32_i32_e32 v22, v22
	s_delay_alu instid0(VALU_DEP_2) | instskip(NEXT) | instid1(VALU_DEP_1)
	v_ldexp_f32 v25, v25, v26
	v_dual_add_f32 v28, 1.0, v25 :: v_dual_add_f32 v27, 1.0, v27
	s_delay_alu instid0(VALU_DEP_1) | instskip(NEXT) | instid1(VALU_DEP_2)
	v_add_f32_e32 v23, v23, v27
	v_add_f32_e32 v27, -1.0, v28
	s_delay_alu instid0(VALU_DEP_2) | instskip(NEXT) | instid1(VALU_DEP_2)
	v_ldexp_f32 v23, v23, v26
	v_dual_add_f32 v26, -1.0, v25 :: v_dual_sub_f32 v27, v25, v27
	s_delay_alu instid0(VALU_DEP_1) | instskip(NEXT) | instid1(VALU_DEP_2)
	v_add_f32_e32 v29, 1.0, v26
	v_add_f32_e32 v27, v23, v27
	s_delay_alu instid0(VALU_DEP_2) | instskip(NEXT) | instid1(VALU_DEP_2)
	v_sub_f32_e32 v25, v25, v29
	v_add_f32_e32 v29, v28, v27
	s_delay_alu instid0(VALU_DEP_2) | instskip(NEXT) | instid1(VALU_DEP_2)
	v_add_f32_e32 v23, v23, v25
	v_rcp_f32_e32 v25, v29
	v_sub_f32_e32 v28, v28, v29
	s_delay_alu instid0(VALU_DEP_1) | instskip(NEXT) | instid1(VALU_DEP_1)
	v_dual_add_f32 v30, v26, v23 :: v_dual_add_f32 v27, v27, v28
	v_sub_f32_e32 v26, v26, v30
	s_waitcnt_depctr 0xfff
	v_mul_f32_e32 v31, v30, v25
	s_delay_alu instid0(VALU_DEP_1) | instskip(NEXT) | instid1(VALU_DEP_1)
	v_dual_add_f32 v23, v23, v26 :: v_dual_mul_f32 v32, v29, v31
	v_fma_f32 v28, v31, v29, -v32
	s_delay_alu instid0(VALU_DEP_1) | instskip(NEXT) | instid1(VALU_DEP_1)
	v_fmac_f32_e32 v28, v31, v27
	v_add_f32_e32 v33, v32, v28
	s_delay_alu instid0(VALU_DEP_1) | instskip(SKIP_1) | instid1(VALU_DEP_2)
	v_sub_f32_e32 v34, v30, v33
	v_sub_f32_e32 v26, v33, v32
	;; [unrolled: 1-line block ×3, first 2 shown]
	s_delay_alu instid0(VALU_DEP_2) | instskip(NEXT) | instid1(VALU_DEP_2)
	v_sub_f32_e32 v26, v26, v28
	v_sub_f32_e32 v30, v30, v33
	s_delay_alu instid0(VALU_DEP_1) | instskip(NEXT) | instid1(VALU_DEP_1)
	v_add_f32_e32 v23, v23, v30
	v_add_f32_e32 v23, v26, v23
	s_delay_alu instid0(VALU_DEP_1) | instskip(NEXT) | instid1(VALU_DEP_1)
	v_add_f32_e32 v26, v34, v23
	v_mul_f32_e32 v28, v25, v26
	s_delay_alu instid0(VALU_DEP_1) | instskip(NEXT) | instid1(VALU_DEP_1)
	v_dual_sub_f32 v33, v34, v26 :: v_dual_mul_f32 v30, v29, v28
	v_add_f32_e32 v23, v23, v33
	s_delay_alu instid0(VALU_DEP_2) | instskip(NEXT) | instid1(VALU_DEP_1)
	v_fma_f32 v29, v28, v29, -v30
	v_fmac_f32_e32 v29, v28, v27
	s_delay_alu instid0(VALU_DEP_1) | instskip(NEXT) | instid1(VALU_DEP_1)
	v_add_f32_e32 v27, v30, v29
	v_sub_f32_e32 v32, v26, v27
	v_sub_f32_e32 v30, v27, v30
	s_delay_alu instid0(VALU_DEP_2) | instskip(NEXT) | instid1(VALU_DEP_1)
	v_sub_f32_e32 v26, v26, v32
	v_sub_f32_e32 v26, v26, v27
	s_delay_alu instid0(VALU_DEP_3) | instskip(NEXT) | instid1(VALU_DEP_2)
	v_sub_f32_e32 v27, v30, v29
	v_add_f32_e32 v23, v23, v26
	v_add_f32_e32 v26, v31, v28
	s_delay_alu instid0(VALU_DEP_2) | instskip(NEXT) | instid1(VALU_DEP_2)
	v_add_f32_e32 v23, v27, v23
	v_sub_f32_e32 v27, v26, v31
	s_delay_alu instid0(VALU_DEP_2) | instskip(NEXT) | instid1(VALU_DEP_2)
	v_add_f32_e32 v23, v32, v23
	v_sub_f32_e32 v27, v28, v27
	s_delay_alu instid0(VALU_DEP_2) | instskip(NEXT) | instid1(VALU_DEP_1)
	v_mul_f32_e32 v23, v25, v23
	v_add_f32_e32 v23, v27, v23
	s_delay_alu instid0(VALU_DEP_1) | instskip(NEXT) | instid1(VALU_DEP_1)
	v_add_f32_e32 v25, v26, v23
	v_mul_f32_e32 v27, v25, v25
	s_delay_alu instid0(VALU_DEP_1) | instskip(SKIP_2) | instid1(VALU_DEP_3)
	v_fmaak_f32 v28, s7, v27, 0x3ecc95a3
	v_mul_f32_e32 v29, v25, v27
	v_cmp_eq_f32_e64 s7, 0x7f800000, v24
	v_fmaak_f32 v27, v27, v28, 0x3f2aaada
	v_ldexp_f32 v28, v25, 1
	v_sub_f32_e32 v25, v25, v26
	s_delay_alu instid0(VALU_DEP_4) | instskip(NEXT) | instid1(VALU_DEP_3)
	s_or_b32 s7, s7, s12
	v_mul_f32_e32 v27, v29, v27
	v_mul_f32_e32 v29, 0x3f317218, v22
	s_delay_alu instid0(VALU_DEP_2) | instskip(NEXT) | instid1(VALU_DEP_1)
	v_dual_sub_f32 v23, v23, v25 :: v_dual_add_f32 v26, v28, v27
	v_ldexp_f32 v23, v23, 1
	s_delay_alu instid0(VALU_DEP_2) | instskip(NEXT) | instid1(VALU_DEP_4)
	v_sub_f32_e32 v25, v26, v28
	v_fma_f32 v28, 0x3f317218, v22, -v29
	s_delay_alu instid0(VALU_DEP_1) | instskip(NEXT) | instid1(VALU_DEP_1)
	v_dual_sub_f32 v25, v27, v25 :: v_dual_fmamk_f32 v22, v22, 0xb102e308, v28
	v_add_f32_e32 v23, v23, v25
	s_delay_alu instid0(VALU_DEP_2) | instskip(NEXT) | instid1(VALU_DEP_2)
	v_add_f32_e32 v25, v29, v22
	v_add_f32_e32 v27, v26, v23
	s_delay_alu instid0(VALU_DEP_2) | instskip(NEXT) | instid1(VALU_DEP_2)
	v_sub_f32_e32 v29, v25, v29
	v_add_f32_e32 v28, v25, v27
	v_sub_f32_e32 v26, v27, v26
	s_delay_alu instid0(VALU_DEP_3) | instskip(NEXT) | instid1(VALU_DEP_2)
	v_sub_f32_e32 v22, v22, v29
	v_dual_sub_f32 v30, v28, v25 :: v_dual_sub_f32 v23, v23, v26
	s_delay_alu instid0(VALU_DEP_1) | instskip(NEXT) | instid1(VALU_DEP_2)
	v_sub_f32_e32 v31, v28, v30
	v_dual_sub_f32 v26, v27, v30 :: v_dual_add_f32 v27, v22, v23
	s_delay_alu instid0(VALU_DEP_2) | instskip(NEXT) | instid1(VALU_DEP_1)
	v_sub_f32_e32 v25, v25, v31
	v_dual_add_f32 v25, v26, v25 :: v_dual_sub_f32 v26, v27, v22
	s_delay_alu instid0(VALU_DEP_1) | instskip(NEXT) | instid1(VALU_DEP_2)
	v_add_f32_e32 v25, v27, v25
	v_sub_f32_e32 v27, v27, v26
	v_sub_f32_e32 v23, v23, v26
	s_delay_alu instid0(VALU_DEP_2) | instskip(NEXT) | instid1(VALU_DEP_1)
	v_dual_add_f32 v29, v28, v25 :: v_dual_sub_f32 v22, v22, v27
	v_sub_f32_e32 v26, v29, v28
	s_delay_alu instid0(VALU_DEP_2) | instskip(NEXT) | instid1(VALU_DEP_2)
	v_add_f32_e32 v22, v23, v22
	v_sub_f32_e32 v23, v25, v26
	s_delay_alu instid0(VALU_DEP_1) | instskip(NEXT) | instid1(VALU_DEP_1)
	v_add_f32_e32 v22, v22, v23
	v_add_f32_e32 v22, v29, v22
	s_delay_alu instid0(VALU_DEP_1) | instskip(NEXT) | instid1(VALU_DEP_1)
	v_cndmask_b32_e64 v22, v22, v24, s7
	v_add_f32_e32 v23, v6, v22
.LBB164_170:
	s_or_b32 exec_lo, exec_lo, s9
	ds_load_b32 v6, v20 offset:20
	v_max_f32_e32 v22, v23, v23
	v_cmp_u_f32_e64 s7, v23, v23
	s_waitcnt lgkmcnt(0)
	v_max_f32_e32 v24, v6, v6
	s_delay_alu instid0(VALU_DEP_1) | instskip(SKIP_1) | instid1(VALU_DEP_2)
	v_min_f32_e32 v25, v22, v24
	v_max_f32_e32 v22, v22, v24
	v_cndmask_b32_e64 v24, v25, v23, s7
	s_delay_alu instid0(VALU_DEP_2) | instskip(SKIP_1) | instid1(VALU_DEP_1)
	v_cndmask_b32_e64 v25, v22, v23, s7
	v_cmp_u_f32_e64 s7, v6, v6
	v_cndmask_b32_e64 v22, v24, v6, s7
	s_delay_alu instid0(VALU_DEP_3) | instskip(NEXT) | instid1(VALU_DEP_2)
	v_cndmask_b32_e64 v6, v25, v6, s7
	v_cmp_class_f32_e64 s9, v22, 0x1f8
	s_delay_alu instid0(VALU_DEP_2) | instskip(NEXT) | instid1(VALU_DEP_1)
	v_cmp_neq_f32_e64 s7, v22, v6
	s_or_b32 s7, s7, s9
	s_delay_alu instid0(SALU_CYCLE_1)
	s_and_saveexec_b32 s9, s7
	s_cbranch_execz .LBB164_172
; %bb.171:
	v_sub_f32_e32 v22, v22, v6
	s_delay_alu instid0(VALU_DEP_1) | instskip(NEXT) | instid1(VALU_DEP_1)
	v_mul_f32_e32 v23, 0x3fb8aa3b, v22
	v_fma_f32 v24, 0x3fb8aa3b, v22, -v23
	v_rndne_f32_e32 v25, v23
	s_delay_alu instid0(VALU_DEP_1) | instskip(SKIP_1) | instid1(VALU_DEP_2)
	v_dual_sub_f32 v23, v23, v25 :: v_dual_fmamk_f32 v24, v22, 0x32a5705f, v24
	v_cmp_ngt_f32_e64 s7, 0xc2ce8ed0, v22
	v_add_f32_e32 v23, v23, v24
	v_cvt_i32_f32_e32 v24, v25
	s_delay_alu instid0(VALU_DEP_2) | instskip(SKIP_2) | instid1(VALU_DEP_1)
	v_exp_f32_e32 v23, v23
	s_waitcnt_depctr 0xfff
	v_ldexp_f32 v23, v23, v24
	v_cndmask_b32_e64 v23, 0, v23, s7
	v_cmp_nlt_f32_e64 s7, 0x42b17218, v22
	s_delay_alu instid0(VALU_DEP_1) | instskip(NEXT) | instid1(VALU_DEP_1)
	v_cndmask_b32_e64 v24, 0x7f800000, v23, s7
	v_add_f32_e32 v25, 1.0, v24
	v_cmp_gt_f32_e64 s12, 0x33800000, |v24|
	s_delay_alu instid0(VALU_DEP_2) | instskip(NEXT) | instid1(VALU_DEP_1)
	v_cvt_f64_f32_e32 v[22:23], v25
	v_frexp_exp_i32_f64_e32 v22, v[22:23]
	v_frexp_mant_f32_e32 v23, v25
	s_delay_alu instid0(VALU_DEP_1) | instskip(SKIP_1) | instid1(VALU_DEP_1)
	v_cmp_gt_f32_e64 s7, 0x3f2aaaab, v23
	v_add_f32_e32 v23, -1.0, v25
	v_sub_f32_e32 v27, v23, v25
	v_sub_f32_e32 v23, v24, v23
	s_delay_alu instid0(VALU_DEP_4) | instskip(SKIP_1) | instid1(VALU_DEP_1)
	v_subrev_co_ci_u32_e64 v22, s7, 0, v22, s7
	s_mov_b32 s7, 0x3e9b6dac
	v_sub_nc_u32_e32 v26, 0, v22
	v_cvt_f32_i32_e32 v22, v22
	s_delay_alu instid0(VALU_DEP_2) | instskip(NEXT) | instid1(VALU_DEP_1)
	v_ldexp_f32 v25, v25, v26
	v_dual_add_f32 v28, 1.0, v25 :: v_dual_add_f32 v27, 1.0, v27
	s_delay_alu instid0(VALU_DEP_1) | instskip(NEXT) | instid1(VALU_DEP_2)
	v_add_f32_e32 v23, v23, v27
	v_add_f32_e32 v27, -1.0, v28
	s_delay_alu instid0(VALU_DEP_2) | instskip(NEXT) | instid1(VALU_DEP_2)
	v_ldexp_f32 v23, v23, v26
	v_dual_add_f32 v26, -1.0, v25 :: v_dual_sub_f32 v27, v25, v27
	s_delay_alu instid0(VALU_DEP_1) | instskip(NEXT) | instid1(VALU_DEP_2)
	v_add_f32_e32 v29, 1.0, v26
	v_add_f32_e32 v27, v23, v27
	s_delay_alu instid0(VALU_DEP_2) | instskip(NEXT) | instid1(VALU_DEP_2)
	v_sub_f32_e32 v25, v25, v29
	v_add_f32_e32 v29, v28, v27
	s_delay_alu instid0(VALU_DEP_2) | instskip(NEXT) | instid1(VALU_DEP_2)
	v_add_f32_e32 v23, v23, v25
	v_rcp_f32_e32 v25, v29
	v_sub_f32_e32 v28, v28, v29
	s_delay_alu instid0(VALU_DEP_1) | instskip(NEXT) | instid1(VALU_DEP_1)
	v_dual_add_f32 v30, v26, v23 :: v_dual_add_f32 v27, v27, v28
	v_sub_f32_e32 v26, v26, v30
	s_waitcnt_depctr 0xfff
	v_mul_f32_e32 v31, v30, v25
	s_delay_alu instid0(VALU_DEP_1) | instskip(NEXT) | instid1(VALU_DEP_1)
	v_dual_add_f32 v23, v23, v26 :: v_dual_mul_f32 v32, v29, v31
	v_fma_f32 v28, v31, v29, -v32
	s_delay_alu instid0(VALU_DEP_1) | instskip(NEXT) | instid1(VALU_DEP_1)
	v_fmac_f32_e32 v28, v31, v27
	v_add_f32_e32 v33, v32, v28
	s_delay_alu instid0(VALU_DEP_1) | instskip(SKIP_1) | instid1(VALU_DEP_2)
	v_sub_f32_e32 v34, v30, v33
	v_sub_f32_e32 v26, v33, v32
	;; [unrolled: 1-line block ×3, first 2 shown]
	s_delay_alu instid0(VALU_DEP_2) | instskip(NEXT) | instid1(VALU_DEP_2)
	v_sub_f32_e32 v26, v26, v28
	v_sub_f32_e32 v30, v30, v33
	s_delay_alu instid0(VALU_DEP_1) | instskip(NEXT) | instid1(VALU_DEP_1)
	v_add_f32_e32 v23, v23, v30
	v_add_f32_e32 v23, v26, v23
	s_delay_alu instid0(VALU_DEP_1) | instskip(NEXT) | instid1(VALU_DEP_1)
	v_add_f32_e32 v26, v34, v23
	v_mul_f32_e32 v28, v25, v26
	s_delay_alu instid0(VALU_DEP_1) | instskip(NEXT) | instid1(VALU_DEP_1)
	v_dual_sub_f32 v33, v34, v26 :: v_dual_mul_f32 v30, v29, v28
	v_add_f32_e32 v23, v23, v33
	s_delay_alu instid0(VALU_DEP_2) | instskip(NEXT) | instid1(VALU_DEP_1)
	v_fma_f32 v29, v28, v29, -v30
	v_fmac_f32_e32 v29, v28, v27
	s_delay_alu instid0(VALU_DEP_1) | instskip(NEXT) | instid1(VALU_DEP_1)
	v_add_f32_e32 v27, v30, v29
	v_sub_f32_e32 v32, v26, v27
	v_sub_f32_e32 v30, v27, v30
	s_delay_alu instid0(VALU_DEP_2) | instskip(NEXT) | instid1(VALU_DEP_1)
	v_sub_f32_e32 v26, v26, v32
	v_sub_f32_e32 v26, v26, v27
	s_delay_alu instid0(VALU_DEP_3) | instskip(NEXT) | instid1(VALU_DEP_2)
	v_sub_f32_e32 v27, v30, v29
	v_add_f32_e32 v23, v23, v26
	v_add_f32_e32 v26, v31, v28
	s_delay_alu instid0(VALU_DEP_2) | instskip(NEXT) | instid1(VALU_DEP_2)
	v_add_f32_e32 v23, v27, v23
	v_sub_f32_e32 v27, v26, v31
	s_delay_alu instid0(VALU_DEP_2) | instskip(NEXT) | instid1(VALU_DEP_2)
	v_add_f32_e32 v23, v32, v23
	v_sub_f32_e32 v27, v28, v27
	s_delay_alu instid0(VALU_DEP_2) | instskip(NEXT) | instid1(VALU_DEP_1)
	v_mul_f32_e32 v23, v25, v23
	v_add_f32_e32 v23, v27, v23
	s_delay_alu instid0(VALU_DEP_1) | instskip(NEXT) | instid1(VALU_DEP_1)
	v_add_f32_e32 v25, v26, v23
	v_mul_f32_e32 v27, v25, v25
	s_delay_alu instid0(VALU_DEP_1) | instskip(SKIP_2) | instid1(VALU_DEP_3)
	v_fmaak_f32 v28, s7, v27, 0x3ecc95a3
	v_mul_f32_e32 v29, v25, v27
	v_cmp_eq_f32_e64 s7, 0x7f800000, v24
	v_fmaak_f32 v27, v27, v28, 0x3f2aaada
	v_ldexp_f32 v28, v25, 1
	v_sub_f32_e32 v25, v25, v26
	s_delay_alu instid0(VALU_DEP_4) | instskip(NEXT) | instid1(VALU_DEP_3)
	s_or_b32 s7, s7, s12
	v_mul_f32_e32 v27, v29, v27
	v_mul_f32_e32 v29, 0x3f317218, v22
	s_delay_alu instid0(VALU_DEP_2) | instskip(NEXT) | instid1(VALU_DEP_1)
	v_dual_sub_f32 v23, v23, v25 :: v_dual_add_f32 v26, v28, v27
	v_ldexp_f32 v23, v23, 1
	s_delay_alu instid0(VALU_DEP_2) | instskip(NEXT) | instid1(VALU_DEP_4)
	v_sub_f32_e32 v25, v26, v28
	v_fma_f32 v28, 0x3f317218, v22, -v29
	s_delay_alu instid0(VALU_DEP_1) | instskip(NEXT) | instid1(VALU_DEP_1)
	v_dual_sub_f32 v25, v27, v25 :: v_dual_fmamk_f32 v22, v22, 0xb102e308, v28
	v_add_f32_e32 v23, v23, v25
	s_delay_alu instid0(VALU_DEP_2) | instskip(NEXT) | instid1(VALU_DEP_2)
	v_add_f32_e32 v25, v29, v22
	v_add_f32_e32 v27, v26, v23
	s_delay_alu instid0(VALU_DEP_2) | instskip(NEXT) | instid1(VALU_DEP_2)
	v_sub_f32_e32 v29, v25, v29
	v_add_f32_e32 v28, v25, v27
	v_sub_f32_e32 v26, v27, v26
	s_delay_alu instid0(VALU_DEP_3) | instskip(NEXT) | instid1(VALU_DEP_2)
	v_sub_f32_e32 v22, v22, v29
	v_dual_sub_f32 v30, v28, v25 :: v_dual_sub_f32 v23, v23, v26
	s_delay_alu instid0(VALU_DEP_1) | instskip(NEXT) | instid1(VALU_DEP_2)
	v_sub_f32_e32 v31, v28, v30
	v_dual_sub_f32 v26, v27, v30 :: v_dual_add_f32 v27, v22, v23
	s_delay_alu instid0(VALU_DEP_2) | instskip(NEXT) | instid1(VALU_DEP_1)
	v_sub_f32_e32 v25, v25, v31
	v_dual_add_f32 v25, v26, v25 :: v_dual_sub_f32 v26, v27, v22
	s_delay_alu instid0(VALU_DEP_1) | instskip(NEXT) | instid1(VALU_DEP_2)
	v_add_f32_e32 v25, v27, v25
	v_sub_f32_e32 v27, v27, v26
	v_sub_f32_e32 v23, v23, v26
	s_delay_alu instid0(VALU_DEP_2) | instskip(NEXT) | instid1(VALU_DEP_1)
	v_dual_add_f32 v29, v28, v25 :: v_dual_sub_f32 v22, v22, v27
	v_sub_f32_e32 v26, v29, v28
	s_delay_alu instid0(VALU_DEP_2) | instskip(NEXT) | instid1(VALU_DEP_2)
	v_add_f32_e32 v22, v23, v22
	v_sub_f32_e32 v23, v25, v26
	s_delay_alu instid0(VALU_DEP_1) | instskip(NEXT) | instid1(VALU_DEP_1)
	v_add_f32_e32 v22, v22, v23
	v_add_f32_e32 v22, v29, v22
	s_delay_alu instid0(VALU_DEP_1) | instskip(NEXT) | instid1(VALU_DEP_1)
	v_cndmask_b32_e64 v22, v22, v24, s7
	v_add_f32_e32 v23, v6, v22
.LBB164_172:
	s_or_b32 exec_lo, exec_lo, s9
	ds_load_b32 v6, v20 offset:24
	v_max_f32_e32 v22, v23, v23
	v_cmp_u_f32_e64 s7, v23, v23
	s_waitcnt lgkmcnt(0)
	v_max_f32_e32 v24, v6, v6
	s_delay_alu instid0(VALU_DEP_1) | instskip(SKIP_1) | instid1(VALU_DEP_2)
	v_min_f32_e32 v25, v22, v24
	v_max_f32_e32 v22, v22, v24
	v_cndmask_b32_e64 v24, v25, v23, s7
	s_delay_alu instid0(VALU_DEP_2) | instskip(SKIP_1) | instid1(VALU_DEP_1)
	v_cndmask_b32_e64 v25, v22, v23, s7
	v_cmp_u_f32_e64 s7, v6, v6
	v_cndmask_b32_e64 v22, v24, v6, s7
	s_delay_alu instid0(VALU_DEP_3) | instskip(NEXT) | instid1(VALU_DEP_2)
	v_cndmask_b32_e64 v6, v25, v6, s7
	v_cmp_class_f32_e64 s9, v22, 0x1f8
	s_delay_alu instid0(VALU_DEP_2) | instskip(NEXT) | instid1(VALU_DEP_1)
	v_cmp_neq_f32_e64 s7, v22, v6
	s_or_b32 s7, s7, s9
	s_delay_alu instid0(SALU_CYCLE_1)
	s_and_saveexec_b32 s9, s7
	s_cbranch_execz .LBB164_174
; %bb.173:
	v_sub_f32_e32 v22, v22, v6
	s_delay_alu instid0(VALU_DEP_1) | instskip(NEXT) | instid1(VALU_DEP_1)
	v_mul_f32_e32 v23, 0x3fb8aa3b, v22
	v_fma_f32 v24, 0x3fb8aa3b, v22, -v23
	v_rndne_f32_e32 v25, v23
	s_delay_alu instid0(VALU_DEP_1) | instskip(SKIP_1) | instid1(VALU_DEP_2)
	v_dual_sub_f32 v23, v23, v25 :: v_dual_fmamk_f32 v24, v22, 0x32a5705f, v24
	v_cmp_ngt_f32_e64 s7, 0xc2ce8ed0, v22
	v_add_f32_e32 v23, v23, v24
	v_cvt_i32_f32_e32 v24, v25
	s_delay_alu instid0(VALU_DEP_2) | instskip(SKIP_2) | instid1(VALU_DEP_1)
	v_exp_f32_e32 v23, v23
	s_waitcnt_depctr 0xfff
	v_ldexp_f32 v23, v23, v24
	v_cndmask_b32_e64 v23, 0, v23, s7
	v_cmp_nlt_f32_e64 s7, 0x42b17218, v22
	s_delay_alu instid0(VALU_DEP_1) | instskip(NEXT) | instid1(VALU_DEP_1)
	v_cndmask_b32_e64 v24, 0x7f800000, v23, s7
	v_add_f32_e32 v25, 1.0, v24
	v_cmp_gt_f32_e64 s12, 0x33800000, |v24|
	s_delay_alu instid0(VALU_DEP_2) | instskip(NEXT) | instid1(VALU_DEP_1)
	v_cvt_f64_f32_e32 v[22:23], v25
	v_frexp_exp_i32_f64_e32 v22, v[22:23]
	v_frexp_mant_f32_e32 v23, v25
	s_delay_alu instid0(VALU_DEP_1) | instskip(SKIP_1) | instid1(VALU_DEP_1)
	v_cmp_gt_f32_e64 s7, 0x3f2aaaab, v23
	v_add_f32_e32 v23, -1.0, v25
	v_sub_f32_e32 v27, v23, v25
	v_sub_f32_e32 v23, v24, v23
	s_delay_alu instid0(VALU_DEP_4) | instskip(SKIP_1) | instid1(VALU_DEP_1)
	v_subrev_co_ci_u32_e64 v22, s7, 0, v22, s7
	s_mov_b32 s7, 0x3e9b6dac
	v_sub_nc_u32_e32 v26, 0, v22
	v_cvt_f32_i32_e32 v22, v22
	s_delay_alu instid0(VALU_DEP_2) | instskip(NEXT) | instid1(VALU_DEP_1)
	v_ldexp_f32 v25, v25, v26
	v_dual_add_f32 v28, 1.0, v25 :: v_dual_add_f32 v27, 1.0, v27
	s_delay_alu instid0(VALU_DEP_1) | instskip(NEXT) | instid1(VALU_DEP_2)
	v_add_f32_e32 v23, v23, v27
	v_add_f32_e32 v27, -1.0, v28
	s_delay_alu instid0(VALU_DEP_2) | instskip(NEXT) | instid1(VALU_DEP_2)
	v_ldexp_f32 v23, v23, v26
	v_dual_add_f32 v26, -1.0, v25 :: v_dual_sub_f32 v27, v25, v27
	s_delay_alu instid0(VALU_DEP_1) | instskip(NEXT) | instid1(VALU_DEP_2)
	v_add_f32_e32 v29, 1.0, v26
	v_add_f32_e32 v27, v23, v27
	s_delay_alu instid0(VALU_DEP_2) | instskip(NEXT) | instid1(VALU_DEP_2)
	v_sub_f32_e32 v25, v25, v29
	v_add_f32_e32 v29, v28, v27
	s_delay_alu instid0(VALU_DEP_2) | instskip(NEXT) | instid1(VALU_DEP_2)
	v_add_f32_e32 v23, v23, v25
	v_rcp_f32_e32 v25, v29
	v_sub_f32_e32 v28, v28, v29
	s_delay_alu instid0(VALU_DEP_1) | instskip(NEXT) | instid1(VALU_DEP_1)
	v_dual_add_f32 v30, v26, v23 :: v_dual_add_f32 v27, v27, v28
	v_sub_f32_e32 v26, v26, v30
	s_waitcnt_depctr 0xfff
	v_mul_f32_e32 v31, v30, v25
	s_delay_alu instid0(VALU_DEP_1) | instskip(NEXT) | instid1(VALU_DEP_1)
	v_dual_add_f32 v23, v23, v26 :: v_dual_mul_f32 v32, v29, v31
	v_fma_f32 v28, v31, v29, -v32
	s_delay_alu instid0(VALU_DEP_1) | instskip(NEXT) | instid1(VALU_DEP_1)
	v_fmac_f32_e32 v28, v31, v27
	v_add_f32_e32 v33, v32, v28
	s_delay_alu instid0(VALU_DEP_1) | instskip(SKIP_1) | instid1(VALU_DEP_2)
	v_sub_f32_e32 v34, v30, v33
	v_sub_f32_e32 v26, v33, v32
	;; [unrolled: 1-line block ×3, first 2 shown]
	s_delay_alu instid0(VALU_DEP_2) | instskip(NEXT) | instid1(VALU_DEP_2)
	v_sub_f32_e32 v26, v26, v28
	v_sub_f32_e32 v30, v30, v33
	s_delay_alu instid0(VALU_DEP_1) | instskip(NEXT) | instid1(VALU_DEP_1)
	v_add_f32_e32 v23, v23, v30
	v_add_f32_e32 v23, v26, v23
	s_delay_alu instid0(VALU_DEP_1) | instskip(NEXT) | instid1(VALU_DEP_1)
	v_add_f32_e32 v26, v34, v23
	v_mul_f32_e32 v28, v25, v26
	s_delay_alu instid0(VALU_DEP_1) | instskip(NEXT) | instid1(VALU_DEP_1)
	v_dual_sub_f32 v33, v34, v26 :: v_dual_mul_f32 v30, v29, v28
	v_add_f32_e32 v23, v23, v33
	s_delay_alu instid0(VALU_DEP_2) | instskip(NEXT) | instid1(VALU_DEP_1)
	v_fma_f32 v29, v28, v29, -v30
	v_fmac_f32_e32 v29, v28, v27
	s_delay_alu instid0(VALU_DEP_1) | instskip(NEXT) | instid1(VALU_DEP_1)
	v_add_f32_e32 v27, v30, v29
	v_sub_f32_e32 v32, v26, v27
	v_sub_f32_e32 v30, v27, v30
	s_delay_alu instid0(VALU_DEP_2) | instskip(NEXT) | instid1(VALU_DEP_1)
	v_sub_f32_e32 v26, v26, v32
	v_sub_f32_e32 v26, v26, v27
	s_delay_alu instid0(VALU_DEP_3) | instskip(NEXT) | instid1(VALU_DEP_2)
	v_sub_f32_e32 v27, v30, v29
	v_add_f32_e32 v23, v23, v26
	v_add_f32_e32 v26, v31, v28
	s_delay_alu instid0(VALU_DEP_2) | instskip(NEXT) | instid1(VALU_DEP_2)
	v_add_f32_e32 v23, v27, v23
	v_sub_f32_e32 v27, v26, v31
	s_delay_alu instid0(VALU_DEP_2) | instskip(NEXT) | instid1(VALU_DEP_2)
	v_add_f32_e32 v23, v32, v23
	v_sub_f32_e32 v27, v28, v27
	s_delay_alu instid0(VALU_DEP_2) | instskip(NEXT) | instid1(VALU_DEP_1)
	v_mul_f32_e32 v23, v25, v23
	v_add_f32_e32 v23, v27, v23
	s_delay_alu instid0(VALU_DEP_1) | instskip(NEXT) | instid1(VALU_DEP_1)
	v_add_f32_e32 v25, v26, v23
	v_mul_f32_e32 v27, v25, v25
	s_delay_alu instid0(VALU_DEP_1) | instskip(SKIP_2) | instid1(VALU_DEP_3)
	v_fmaak_f32 v28, s7, v27, 0x3ecc95a3
	v_mul_f32_e32 v29, v25, v27
	v_cmp_eq_f32_e64 s7, 0x7f800000, v24
	v_fmaak_f32 v27, v27, v28, 0x3f2aaada
	v_ldexp_f32 v28, v25, 1
	v_sub_f32_e32 v25, v25, v26
	s_delay_alu instid0(VALU_DEP_4) | instskip(NEXT) | instid1(VALU_DEP_3)
	s_or_b32 s7, s7, s12
	v_mul_f32_e32 v27, v29, v27
	v_mul_f32_e32 v29, 0x3f317218, v22
	s_delay_alu instid0(VALU_DEP_2) | instskip(NEXT) | instid1(VALU_DEP_1)
	v_dual_sub_f32 v23, v23, v25 :: v_dual_add_f32 v26, v28, v27
	v_ldexp_f32 v23, v23, 1
	s_delay_alu instid0(VALU_DEP_2) | instskip(NEXT) | instid1(VALU_DEP_4)
	v_sub_f32_e32 v25, v26, v28
	v_fma_f32 v28, 0x3f317218, v22, -v29
	s_delay_alu instid0(VALU_DEP_1) | instskip(NEXT) | instid1(VALU_DEP_1)
	v_dual_sub_f32 v25, v27, v25 :: v_dual_fmamk_f32 v22, v22, 0xb102e308, v28
	v_add_f32_e32 v23, v23, v25
	s_delay_alu instid0(VALU_DEP_2) | instskip(NEXT) | instid1(VALU_DEP_2)
	v_add_f32_e32 v25, v29, v22
	v_add_f32_e32 v27, v26, v23
	s_delay_alu instid0(VALU_DEP_2) | instskip(NEXT) | instid1(VALU_DEP_2)
	v_sub_f32_e32 v29, v25, v29
	v_add_f32_e32 v28, v25, v27
	v_sub_f32_e32 v26, v27, v26
	s_delay_alu instid0(VALU_DEP_3) | instskip(NEXT) | instid1(VALU_DEP_2)
	v_sub_f32_e32 v22, v22, v29
	v_dual_sub_f32 v30, v28, v25 :: v_dual_sub_f32 v23, v23, v26
	s_delay_alu instid0(VALU_DEP_1) | instskip(NEXT) | instid1(VALU_DEP_2)
	v_sub_f32_e32 v31, v28, v30
	v_dual_sub_f32 v26, v27, v30 :: v_dual_add_f32 v27, v22, v23
	s_delay_alu instid0(VALU_DEP_2) | instskip(NEXT) | instid1(VALU_DEP_1)
	v_sub_f32_e32 v25, v25, v31
	v_dual_add_f32 v25, v26, v25 :: v_dual_sub_f32 v26, v27, v22
	s_delay_alu instid0(VALU_DEP_1) | instskip(NEXT) | instid1(VALU_DEP_2)
	v_add_f32_e32 v25, v27, v25
	v_sub_f32_e32 v27, v27, v26
	v_sub_f32_e32 v23, v23, v26
	s_delay_alu instid0(VALU_DEP_2) | instskip(NEXT) | instid1(VALU_DEP_1)
	v_dual_add_f32 v29, v28, v25 :: v_dual_sub_f32 v22, v22, v27
	v_sub_f32_e32 v26, v29, v28
	s_delay_alu instid0(VALU_DEP_2) | instskip(NEXT) | instid1(VALU_DEP_2)
	v_add_f32_e32 v22, v23, v22
	v_sub_f32_e32 v23, v25, v26
	s_delay_alu instid0(VALU_DEP_1) | instskip(NEXT) | instid1(VALU_DEP_1)
	v_add_f32_e32 v22, v22, v23
	v_add_f32_e32 v22, v29, v22
	s_delay_alu instid0(VALU_DEP_1) | instskip(NEXT) | instid1(VALU_DEP_1)
	v_cndmask_b32_e64 v22, v22, v24, s7
	v_add_f32_e32 v23, v6, v22
.LBB164_174:
	s_or_b32 exec_lo, exec_lo, s9
	ds_load_b32 v6, v20 offset:28
	v_max_f32_e32 v22, v23, v23
	v_cmp_u_f32_e64 s7, v23, v23
	s_waitcnt lgkmcnt(0)
	v_max_f32_e32 v24, v6, v6
	s_delay_alu instid0(VALU_DEP_1) | instskip(SKIP_1) | instid1(VALU_DEP_2)
	v_min_f32_e32 v25, v22, v24
	v_max_f32_e32 v22, v22, v24
	v_cndmask_b32_e64 v24, v25, v23, s7
	s_delay_alu instid0(VALU_DEP_2) | instskip(SKIP_1) | instid1(VALU_DEP_1)
	v_cndmask_b32_e64 v25, v22, v23, s7
	v_cmp_u_f32_e64 s7, v6, v6
	v_cndmask_b32_e64 v22, v24, v6, s7
	s_delay_alu instid0(VALU_DEP_3) | instskip(NEXT) | instid1(VALU_DEP_2)
	v_cndmask_b32_e64 v6, v25, v6, s7
	v_cmp_class_f32_e64 s9, v22, 0x1f8
	s_delay_alu instid0(VALU_DEP_2) | instskip(NEXT) | instid1(VALU_DEP_1)
	v_cmp_neq_f32_e64 s7, v22, v6
	s_or_b32 s7, s7, s9
	s_delay_alu instid0(SALU_CYCLE_1)
	s_and_saveexec_b32 s9, s7
	s_cbranch_execz .LBB164_176
; %bb.175:
	v_sub_f32_e32 v22, v22, v6
	s_delay_alu instid0(VALU_DEP_1) | instskip(NEXT) | instid1(VALU_DEP_1)
	v_mul_f32_e32 v23, 0x3fb8aa3b, v22
	v_fma_f32 v24, 0x3fb8aa3b, v22, -v23
	v_rndne_f32_e32 v25, v23
	s_delay_alu instid0(VALU_DEP_1) | instskip(SKIP_1) | instid1(VALU_DEP_2)
	v_dual_sub_f32 v23, v23, v25 :: v_dual_fmamk_f32 v24, v22, 0x32a5705f, v24
	v_cmp_ngt_f32_e64 s7, 0xc2ce8ed0, v22
	v_add_f32_e32 v23, v23, v24
	v_cvt_i32_f32_e32 v24, v25
	s_delay_alu instid0(VALU_DEP_2) | instskip(SKIP_2) | instid1(VALU_DEP_1)
	v_exp_f32_e32 v23, v23
	s_waitcnt_depctr 0xfff
	v_ldexp_f32 v23, v23, v24
	v_cndmask_b32_e64 v23, 0, v23, s7
	v_cmp_nlt_f32_e64 s7, 0x42b17218, v22
	s_delay_alu instid0(VALU_DEP_1) | instskip(NEXT) | instid1(VALU_DEP_1)
	v_cndmask_b32_e64 v24, 0x7f800000, v23, s7
	v_add_f32_e32 v25, 1.0, v24
	v_cmp_gt_f32_e64 s12, 0x33800000, |v24|
	s_delay_alu instid0(VALU_DEP_2) | instskip(NEXT) | instid1(VALU_DEP_1)
	v_cvt_f64_f32_e32 v[22:23], v25
	v_frexp_exp_i32_f64_e32 v22, v[22:23]
	v_frexp_mant_f32_e32 v23, v25
	s_delay_alu instid0(VALU_DEP_1) | instskip(SKIP_1) | instid1(VALU_DEP_1)
	v_cmp_gt_f32_e64 s7, 0x3f2aaaab, v23
	v_add_f32_e32 v23, -1.0, v25
	v_sub_f32_e32 v27, v23, v25
	v_sub_f32_e32 v23, v24, v23
	s_delay_alu instid0(VALU_DEP_4) | instskip(SKIP_1) | instid1(VALU_DEP_1)
	v_subrev_co_ci_u32_e64 v22, s7, 0, v22, s7
	s_mov_b32 s7, 0x3e9b6dac
	v_sub_nc_u32_e32 v26, 0, v22
	v_cvt_f32_i32_e32 v22, v22
	s_delay_alu instid0(VALU_DEP_2) | instskip(NEXT) | instid1(VALU_DEP_1)
	v_ldexp_f32 v25, v25, v26
	v_dual_add_f32 v28, 1.0, v25 :: v_dual_add_f32 v27, 1.0, v27
	s_delay_alu instid0(VALU_DEP_1) | instskip(NEXT) | instid1(VALU_DEP_2)
	v_add_f32_e32 v23, v23, v27
	v_add_f32_e32 v27, -1.0, v28
	s_delay_alu instid0(VALU_DEP_2) | instskip(NEXT) | instid1(VALU_DEP_2)
	v_ldexp_f32 v23, v23, v26
	v_dual_add_f32 v26, -1.0, v25 :: v_dual_sub_f32 v27, v25, v27
	s_delay_alu instid0(VALU_DEP_1) | instskip(NEXT) | instid1(VALU_DEP_2)
	v_add_f32_e32 v29, 1.0, v26
	v_add_f32_e32 v27, v23, v27
	s_delay_alu instid0(VALU_DEP_2) | instskip(NEXT) | instid1(VALU_DEP_2)
	v_sub_f32_e32 v25, v25, v29
	v_add_f32_e32 v29, v28, v27
	s_delay_alu instid0(VALU_DEP_2) | instskip(NEXT) | instid1(VALU_DEP_2)
	v_add_f32_e32 v23, v23, v25
	v_rcp_f32_e32 v25, v29
	v_sub_f32_e32 v28, v28, v29
	s_delay_alu instid0(VALU_DEP_1) | instskip(NEXT) | instid1(VALU_DEP_1)
	v_dual_add_f32 v30, v26, v23 :: v_dual_add_f32 v27, v27, v28
	v_sub_f32_e32 v26, v26, v30
	s_waitcnt_depctr 0xfff
	v_mul_f32_e32 v31, v30, v25
	s_delay_alu instid0(VALU_DEP_1) | instskip(NEXT) | instid1(VALU_DEP_1)
	v_dual_add_f32 v23, v23, v26 :: v_dual_mul_f32 v32, v29, v31
	v_fma_f32 v28, v31, v29, -v32
	s_delay_alu instid0(VALU_DEP_1) | instskip(NEXT) | instid1(VALU_DEP_1)
	v_fmac_f32_e32 v28, v31, v27
	v_add_f32_e32 v33, v32, v28
	s_delay_alu instid0(VALU_DEP_1) | instskip(SKIP_1) | instid1(VALU_DEP_2)
	v_sub_f32_e32 v34, v30, v33
	v_sub_f32_e32 v26, v33, v32
	;; [unrolled: 1-line block ×3, first 2 shown]
	s_delay_alu instid0(VALU_DEP_2) | instskip(NEXT) | instid1(VALU_DEP_2)
	v_sub_f32_e32 v26, v26, v28
	v_sub_f32_e32 v30, v30, v33
	s_delay_alu instid0(VALU_DEP_1) | instskip(NEXT) | instid1(VALU_DEP_1)
	v_add_f32_e32 v23, v23, v30
	v_add_f32_e32 v23, v26, v23
	s_delay_alu instid0(VALU_DEP_1) | instskip(NEXT) | instid1(VALU_DEP_1)
	v_add_f32_e32 v26, v34, v23
	v_mul_f32_e32 v28, v25, v26
	s_delay_alu instid0(VALU_DEP_1) | instskip(NEXT) | instid1(VALU_DEP_1)
	v_dual_sub_f32 v33, v34, v26 :: v_dual_mul_f32 v30, v29, v28
	v_add_f32_e32 v23, v23, v33
	s_delay_alu instid0(VALU_DEP_2) | instskip(NEXT) | instid1(VALU_DEP_1)
	v_fma_f32 v29, v28, v29, -v30
	v_fmac_f32_e32 v29, v28, v27
	s_delay_alu instid0(VALU_DEP_1) | instskip(NEXT) | instid1(VALU_DEP_1)
	v_add_f32_e32 v27, v30, v29
	v_sub_f32_e32 v32, v26, v27
	v_sub_f32_e32 v30, v27, v30
	s_delay_alu instid0(VALU_DEP_2) | instskip(NEXT) | instid1(VALU_DEP_1)
	v_sub_f32_e32 v26, v26, v32
	v_sub_f32_e32 v26, v26, v27
	s_delay_alu instid0(VALU_DEP_3) | instskip(NEXT) | instid1(VALU_DEP_2)
	v_sub_f32_e32 v27, v30, v29
	v_add_f32_e32 v23, v23, v26
	v_add_f32_e32 v26, v31, v28
	s_delay_alu instid0(VALU_DEP_2) | instskip(NEXT) | instid1(VALU_DEP_2)
	v_add_f32_e32 v23, v27, v23
	v_sub_f32_e32 v27, v26, v31
	s_delay_alu instid0(VALU_DEP_2) | instskip(NEXT) | instid1(VALU_DEP_2)
	v_add_f32_e32 v23, v32, v23
	v_sub_f32_e32 v27, v28, v27
	s_delay_alu instid0(VALU_DEP_2) | instskip(NEXT) | instid1(VALU_DEP_1)
	v_mul_f32_e32 v23, v25, v23
	v_add_f32_e32 v23, v27, v23
	s_delay_alu instid0(VALU_DEP_1) | instskip(NEXT) | instid1(VALU_DEP_1)
	v_add_f32_e32 v25, v26, v23
	v_mul_f32_e32 v27, v25, v25
	s_delay_alu instid0(VALU_DEP_1) | instskip(SKIP_2) | instid1(VALU_DEP_3)
	v_fmaak_f32 v28, s7, v27, 0x3ecc95a3
	v_mul_f32_e32 v29, v25, v27
	v_cmp_eq_f32_e64 s7, 0x7f800000, v24
	v_fmaak_f32 v27, v27, v28, 0x3f2aaada
	v_ldexp_f32 v28, v25, 1
	v_sub_f32_e32 v25, v25, v26
	s_delay_alu instid0(VALU_DEP_4) | instskip(NEXT) | instid1(VALU_DEP_3)
	s_or_b32 s7, s7, s12
	v_mul_f32_e32 v27, v29, v27
	v_mul_f32_e32 v29, 0x3f317218, v22
	s_delay_alu instid0(VALU_DEP_2) | instskip(NEXT) | instid1(VALU_DEP_1)
	v_dual_sub_f32 v23, v23, v25 :: v_dual_add_f32 v26, v28, v27
	v_ldexp_f32 v23, v23, 1
	s_delay_alu instid0(VALU_DEP_2) | instskip(NEXT) | instid1(VALU_DEP_4)
	v_sub_f32_e32 v25, v26, v28
	v_fma_f32 v28, 0x3f317218, v22, -v29
	s_delay_alu instid0(VALU_DEP_1) | instskip(NEXT) | instid1(VALU_DEP_1)
	v_dual_sub_f32 v25, v27, v25 :: v_dual_fmamk_f32 v22, v22, 0xb102e308, v28
	v_add_f32_e32 v23, v23, v25
	s_delay_alu instid0(VALU_DEP_2) | instskip(NEXT) | instid1(VALU_DEP_2)
	v_add_f32_e32 v25, v29, v22
	v_add_f32_e32 v27, v26, v23
	s_delay_alu instid0(VALU_DEP_2) | instskip(NEXT) | instid1(VALU_DEP_2)
	v_sub_f32_e32 v29, v25, v29
	v_add_f32_e32 v28, v25, v27
	v_sub_f32_e32 v26, v27, v26
	s_delay_alu instid0(VALU_DEP_3) | instskip(NEXT) | instid1(VALU_DEP_2)
	v_sub_f32_e32 v22, v22, v29
	v_dual_sub_f32 v30, v28, v25 :: v_dual_sub_f32 v23, v23, v26
	s_delay_alu instid0(VALU_DEP_1) | instskip(NEXT) | instid1(VALU_DEP_2)
	v_sub_f32_e32 v31, v28, v30
	v_dual_sub_f32 v26, v27, v30 :: v_dual_add_f32 v27, v22, v23
	s_delay_alu instid0(VALU_DEP_2) | instskip(NEXT) | instid1(VALU_DEP_1)
	v_sub_f32_e32 v25, v25, v31
	v_dual_add_f32 v25, v26, v25 :: v_dual_sub_f32 v26, v27, v22
	s_delay_alu instid0(VALU_DEP_1) | instskip(NEXT) | instid1(VALU_DEP_2)
	v_add_f32_e32 v25, v27, v25
	v_sub_f32_e32 v27, v27, v26
	v_sub_f32_e32 v23, v23, v26
	s_delay_alu instid0(VALU_DEP_2) | instskip(NEXT) | instid1(VALU_DEP_1)
	v_dual_add_f32 v29, v28, v25 :: v_dual_sub_f32 v22, v22, v27
	v_sub_f32_e32 v26, v29, v28
	s_delay_alu instid0(VALU_DEP_2) | instskip(NEXT) | instid1(VALU_DEP_2)
	v_add_f32_e32 v22, v23, v22
	v_sub_f32_e32 v23, v25, v26
	s_delay_alu instid0(VALU_DEP_1) | instskip(NEXT) | instid1(VALU_DEP_1)
	v_add_f32_e32 v22, v22, v23
	v_add_f32_e32 v22, v29, v22
	s_delay_alu instid0(VALU_DEP_1) | instskip(NEXT) | instid1(VALU_DEP_1)
	v_cndmask_b32_e64 v22, v22, v24, s7
	v_add_f32_e32 v23, v6, v22
.LBB164_176:
	s_or_b32 exec_lo, exec_lo, s9
	v_mbcnt_lo_u32_b32 v6, -1, 0
	s_delay_alu instid0(VALU_DEP_2) | instskip(SKIP_1) | instid1(VALU_DEP_2)
	v_mov_b32_dpp v24, v23 row_shr:1 row_mask:0xf bank_mask:0xf
	s_mov_b32 s9, exec_lo
	v_and_b32_e32 v22, 15, v6
	s_delay_alu instid0(VALU_DEP_1)
	v_cmpx_ne_u32_e32 0, v22
	s_xor_b32 s9, exec_lo, s9
	s_cbranch_execz .LBB164_180
; %bb.177:
	v_dual_max_f32 v25, v23, v23 :: v_dual_max_f32 v26, v24, v24
	v_cmp_u_f32_e64 s7, v24, v24
	s_delay_alu instid0(VALU_DEP_2) | instskip(SKIP_1) | instid1(VALU_DEP_2)
	v_min_f32_e32 v27, v26, v25
	v_max_f32_e32 v25, v26, v25
	v_cndmask_b32_e64 v26, v27, v24, s7
	s_delay_alu instid0(VALU_DEP_2) | instskip(SKIP_1) | instid1(VALU_DEP_1)
	v_cndmask_b32_e64 v27, v25, v24, s7
	v_cmp_u_f32_e64 s7, v23, v23
	v_cndmask_b32_e64 v25, v26, v23, s7
	s_delay_alu instid0(VALU_DEP_3) | instskip(NEXT) | instid1(VALU_DEP_2)
	v_cndmask_b32_e64 v23, v27, v23, s7
	v_cmp_class_f32_e64 s12, v25, 0x1f8
	s_delay_alu instid0(VALU_DEP_2) | instskip(NEXT) | instid1(VALU_DEP_1)
	v_cmp_neq_f32_e64 s7, v25, v23
	s_or_b32 s7, s7, s12
	s_delay_alu instid0(SALU_CYCLE_1)
	s_and_saveexec_b32 s12, s7
	s_cbranch_execz .LBB164_179
; %bb.178:
	v_sub_f32_e32 v24, v25, v23
	s_delay_alu instid0(VALU_DEP_1) | instskip(SKIP_1) | instid1(VALU_DEP_2)
	v_mul_f32_e32 v25, 0x3fb8aa3b, v24
	v_cmp_ngt_f32_e64 s7, 0xc2ce8ed0, v24
	v_fma_f32 v26, 0x3fb8aa3b, v24, -v25
	v_rndne_f32_e32 v27, v25
	s_delay_alu instid0(VALU_DEP_1) | instskip(NEXT) | instid1(VALU_DEP_1)
	v_dual_fmamk_f32 v26, v24, 0x32a5705f, v26 :: v_dual_sub_f32 v25, v25, v27
	v_add_f32_e32 v25, v25, v26
	v_cvt_i32_f32_e32 v26, v27
	s_delay_alu instid0(VALU_DEP_2) | instskip(SKIP_2) | instid1(VALU_DEP_1)
	v_exp_f32_e32 v25, v25
	s_waitcnt_depctr 0xfff
	v_ldexp_f32 v25, v25, v26
	v_cndmask_b32_e64 v25, 0, v25, s7
	v_cmp_nlt_f32_e64 s7, 0x42b17218, v24
	s_delay_alu instid0(VALU_DEP_1) | instskip(NEXT) | instid1(VALU_DEP_1)
	v_cndmask_b32_e64 v26, 0x7f800000, v25, s7
	v_add_f32_e32 v27, 1.0, v26
	v_cmp_gt_f32_e64 s13, 0x33800000, |v26|
	s_delay_alu instid0(VALU_DEP_2) | instskip(NEXT) | instid1(VALU_DEP_1)
	v_cvt_f64_f32_e32 v[24:25], v27
	v_frexp_exp_i32_f64_e32 v24, v[24:25]
	v_frexp_mant_f32_e32 v25, v27
	s_delay_alu instid0(VALU_DEP_1) | instskip(SKIP_1) | instid1(VALU_DEP_1)
	v_cmp_gt_f32_e64 s7, 0x3f2aaaab, v25
	v_add_f32_e32 v25, -1.0, v27
	v_sub_f32_e32 v29, v25, v27
	v_sub_f32_e32 v25, v26, v25
	s_delay_alu instid0(VALU_DEP_4) | instskip(SKIP_1) | instid1(VALU_DEP_1)
	v_subrev_co_ci_u32_e64 v24, s7, 0, v24, s7
	s_mov_b32 s7, 0x3e9b6dac
	v_sub_nc_u32_e32 v28, 0, v24
	v_cvt_f32_i32_e32 v24, v24
	s_delay_alu instid0(VALU_DEP_2) | instskip(NEXT) | instid1(VALU_DEP_1)
	v_ldexp_f32 v27, v27, v28
	v_dual_add_f32 v30, 1.0, v27 :: v_dual_add_f32 v29, 1.0, v29
	s_delay_alu instid0(VALU_DEP_1) | instskip(NEXT) | instid1(VALU_DEP_2)
	v_add_f32_e32 v25, v25, v29
	v_add_f32_e32 v29, -1.0, v30
	s_delay_alu instid0(VALU_DEP_2) | instskip(NEXT) | instid1(VALU_DEP_2)
	v_ldexp_f32 v25, v25, v28
	v_dual_add_f32 v28, -1.0, v27 :: v_dual_sub_f32 v29, v27, v29
	s_delay_alu instid0(VALU_DEP_1) | instskip(NEXT) | instid1(VALU_DEP_2)
	v_add_f32_e32 v31, 1.0, v28
	v_add_f32_e32 v29, v25, v29
	s_delay_alu instid0(VALU_DEP_2) | instskip(NEXT) | instid1(VALU_DEP_2)
	v_sub_f32_e32 v27, v27, v31
	v_add_f32_e32 v31, v30, v29
	s_delay_alu instid0(VALU_DEP_2) | instskip(NEXT) | instid1(VALU_DEP_2)
	v_add_f32_e32 v25, v25, v27
	v_rcp_f32_e32 v27, v31
	v_sub_f32_e32 v30, v30, v31
	s_delay_alu instid0(VALU_DEP_1) | instskip(NEXT) | instid1(VALU_DEP_1)
	v_dual_add_f32 v32, v28, v25 :: v_dual_add_f32 v29, v29, v30
	v_sub_f32_e32 v28, v28, v32
	s_waitcnt_depctr 0xfff
	v_mul_f32_e32 v33, v32, v27
	s_delay_alu instid0(VALU_DEP_1) | instskip(NEXT) | instid1(VALU_DEP_1)
	v_dual_add_f32 v25, v25, v28 :: v_dual_mul_f32 v34, v31, v33
	v_fma_f32 v30, v33, v31, -v34
	s_delay_alu instid0(VALU_DEP_1) | instskip(NEXT) | instid1(VALU_DEP_1)
	v_fmac_f32_e32 v30, v33, v29
	v_add_f32_e32 v35, v34, v30
	s_delay_alu instid0(VALU_DEP_1) | instskip(SKIP_1) | instid1(VALU_DEP_2)
	v_sub_f32_e32 v36, v32, v35
	v_sub_f32_e32 v28, v35, v34
	;; [unrolled: 1-line block ×3, first 2 shown]
	s_delay_alu instid0(VALU_DEP_2) | instskip(NEXT) | instid1(VALU_DEP_2)
	v_sub_f32_e32 v28, v28, v30
	v_sub_f32_e32 v32, v32, v35
	s_delay_alu instid0(VALU_DEP_1) | instskip(NEXT) | instid1(VALU_DEP_1)
	v_add_f32_e32 v25, v25, v32
	v_add_f32_e32 v25, v28, v25
	s_delay_alu instid0(VALU_DEP_1) | instskip(NEXT) | instid1(VALU_DEP_1)
	v_add_f32_e32 v28, v36, v25
	v_mul_f32_e32 v30, v27, v28
	s_delay_alu instid0(VALU_DEP_1) | instskip(NEXT) | instid1(VALU_DEP_1)
	v_dual_sub_f32 v35, v36, v28 :: v_dual_mul_f32 v32, v31, v30
	v_add_f32_e32 v25, v25, v35
	s_delay_alu instid0(VALU_DEP_2) | instskip(NEXT) | instid1(VALU_DEP_1)
	v_fma_f32 v31, v30, v31, -v32
	v_fmac_f32_e32 v31, v30, v29
	s_delay_alu instid0(VALU_DEP_1) | instskip(NEXT) | instid1(VALU_DEP_1)
	v_add_f32_e32 v29, v32, v31
	v_sub_f32_e32 v34, v28, v29
	v_sub_f32_e32 v32, v29, v32
	s_delay_alu instid0(VALU_DEP_2) | instskip(NEXT) | instid1(VALU_DEP_1)
	v_sub_f32_e32 v28, v28, v34
	v_sub_f32_e32 v28, v28, v29
	s_delay_alu instid0(VALU_DEP_3) | instskip(NEXT) | instid1(VALU_DEP_2)
	v_sub_f32_e32 v29, v32, v31
	v_add_f32_e32 v25, v25, v28
	v_add_f32_e32 v28, v33, v30
	s_delay_alu instid0(VALU_DEP_2) | instskip(NEXT) | instid1(VALU_DEP_2)
	v_add_f32_e32 v25, v29, v25
	v_sub_f32_e32 v29, v28, v33
	s_delay_alu instid0(VALU_DEP_2) | instskip(NEXT) | instid1(VALU_DEP_2)
	v_add_f32_e32 v25, v34, v25
	v_sub_f32_e32 v29, v30, v29
	s_delay_alu instid0(VALU_DEP_2) | instskip(NEXT) | instid1(VALU_DEP_1)
	v_mul_f32_e32 v25, v27, v25
	v_add_f32_e32 v25, v29, v25
	s_delay_alu instid0(VALU_DEP_1) | instskip(NEXT) | instid1(VALU_DEP_1)
	v_add_f32_e32 v27, v28, v25
	v_mul_f32_e32 v29, v27, v27
	s_delay_alu instid0(VALU_DEP_1) | instskip(SKIP_2) | instid1(VALU_DEP_3)
	v_fmaak_f32 v30, s7, v29, 0x3ecc95a3
	v_mul_f32_e32 v31, v27, v29
	v_cmp_eq_f32_e64 s7, 0x7f800000, v26
	v_fmaak_f32 v29, v29, v30, 0x3f2aaada
	v_ldexp_f32 v30, v27, 1
	v_sub_f32_e32 v27, v27, v28
	s_delay_alu instid0(VALU_DEP_4) | instskip(NEXT) | instid1(VALU_DEP_3)
	s_or_b32 s7, s7, s13
	v_mul_f32_e32 v29, v31, v29
	v_mul_f32_e32 v31, 0x3f317218, v24
	s_delay_alu instid0(VALU_DEP_2) | instskip(NEXT) | instid1(VALU_DEP_1)
	v_dual_sub_f32 v25, v25, v27 :: v_dual_add_f32 v28, v30, v29
	v_ldexp_f32 v25, v25, 1
	s_delay_alu instid0(VALU_DEP_2) | instskip(NEXT) | instid1(VALU_DEP_4)
	v_sub_f32_e32 v27, v28, v30
	v_fma_f32 v30, 0x3f317218, v24, -v31
	s_delay_alu instid0(VALU_DEP_1) | instskip(NEXT) | instid1(VALU_DEP_1)
	v_dual_sub_f32 v27, v29, v27 :: v_dual_fmamk_f32 v24, v24, 0xb102e308, v30
	v_add_f32_e32 v25, v25, v27
	s_delay_alu instid0(VALU_DEP_2) | instskip(NEXT) | instid1(VALU_DEP_2)
	v_add_f32_e32 v27, v31, v24
	v_add_f32_e32 v29, v28, v25
	s_delay_alu instid0(VALU_DEP_2) | instskip(NEXT) | instid1(VALU_DEP_2)
	v_sub_f32_e32 v31, v27, v31
	v_add_f32_e32 v30, v27, v29
	v_sub_f32_e32 v28, v29, v28
	s_delay_alu instid0(VALU_DEP_3) | instskip(NEXT) | instid1(VALU_DEP_2)
	v_sub_f32_e32 v24, v24, v31
	v_dual_sub_f32 v32, v30, v27 :: v_dual_sub_f32 v25, v25, v28
	s_delay_alu instid0(VALU_DEP_1) | instskip(NEXT) | instid1(VALU_DEP_2)
	v_sub_f32_e32 v33, v30, v32
	v_dual_sub_f32 v28, v29, v32 :: v_dual_add_f32 v29, v24, v25
	s_delay_alu instid0(VALU_DEP_2) | instskip(NEXT) | instid1(VALU_DEP_1)
	v_sub_f32_e32 v27, v27, v33
	v_dual_add_f32 v27, v28, v27 :: v_dual_sub_f32 v28, v29, v24
	s_delay_alu instid0(VALU_DEP_1) | instskip(NEXT) | instid1(VALU_DEP_2)
	v_add_f32_e32 v27, v29, v27
	v_sub_f32_e32 v29, v29, v28
	v_sub_f32_e32 v25, v25, v28
	s_delay_alu instid0(VALU_DEP_2) | instskip(NEXT) | instid1(VALU_DEP_1)
	v_dual_add_f32 v31, v30, v27 :: v_dual_sub_f32 v24, v24, v29
	v_sub_f32_e32 v28, v31, v30
	s_delay_alu instid0(VALU_DEP_2) | instskip(NEXT) | instid1(VALU_DEP_2)
	v_add_f32_e32 v24, v25, v24
	v_sub_f32_e32 v25, v27, v28
	s_delay_alu instid0(VALU_DEP_1) | instskip(NEXT) | instid1(VALU_DEP_1)
	v_add_f32_e32 v24, v24, v25
	v_add_f32_e32 v24, v31, v24
	s_delay_alu instid0(VALU_DEP_1) | instskip(NEXT) | instid1(VALU_DEP_1)
	v_cndmask_b32_e64 v24, v24, v26, s7
	v_add_f32_e32 v24, v23, v24
.LBB164_179:
	s_or_b32 exec_lo, exec_lo, s12
	s_delay_alu instid0(VALU_DEP_1)
	v_mov_b32_e32 v23, v24
.LBB164_180:
	s_or_b32 exec_lo, exec_lo, s9
	s_delay_alu instid0(VALU_DEP_1)
	v_mov_b32_dpp v24, v23 row_shr:2 row_mask:0xf bank_mask:0xf
	s_mov_b32 s9, exec_lo
	v_cmpx_lt_u32_e32 1, v22
	s_cbranch_execz .LBB164_184
; %bb.181:
	s_delay_alu instid0(VALU_DEP_2) | instskip(SKIP_1) | instid1(VALU_DEP_2)
	v_dual_max_f32 v25, v23, v23 :: v_dual_max_f32 v26, v24, v24
	v_cmp_u_f32_e64 s7, v24, v24
	v_min_f32_e32 v27, v26, v25
	v_max_f32_e32 v25, v26, v25
	s_delay_alu instid0(VALU_DEP_2) | instskip(NEXT) | instid1(VALU_DEP_2)
	v_cndmask_b32_e64 v26, v27, v24, s7
	v_cndmask_b32_e64 v27, v25, v24, s7
	v_cmp_u_f32_e64 s7, v23, v23
	s_delay_alu instid0(VALU_DEP_1) | instskip(NEXT) | instid1(VALU_DEP_3)
	v_cndmask_b32_e64 v25, v26, v23, s7
	v_cndmask_b32_e64 v23, v27, v23, s7
	s_delay_alu instid0(VALU_DEP_2) | instskip(NEXT) | instid1(VALU_DEP_2)
	v_cmp_class_f32_e64 s12, v25, 0x1f8
	v_cmp_neq_f32_e64 s7, v25, v23
	s_delay_alu instid0(VALU_DEP_1) | instskip(NEXT) | instid1(SALU_CYCLE_1)
	s_or_b32 s7, s7, s12
	s_and_saveexec_b32 s12, s7
	s_cbranch_execz .LBB164_183
; %bb.182:
	v_sub_f32_e32 v24, v25, v23
	s_delay_alu instid0(VALU_DEP_1) | instskip(SKIP_1) | instid1(VALU_DEP_2)
	v_mul_f32_e32 v25, 0x3fb8aa3b, v24
	v_cmp_ngt_f32_e64 s7, 0xc2ce8ed0, v24
	v_fma_f32 v26, 0x3fb8aa3b, v24, -v25
	v_rndne_f32_e32 v27, v25
	s_delay_alu instid0(VALU_DEP_1) | instskip(NEXT) | instid1(VALU_DEP_1)
	v_dual_fmamk_f32 v26, v24, 0x32a5705f, v26 :: v_dual_sub_f32 v25, v25, v27
	v_add_f32_e32 v25, v25, v26
	v_cvt_i32_f32_e32 v26, v27
	s_delay_alu instid0(VALU_DEP_2) | instskip(SKIP_2) | instid1(VALU_DEP_1)
	v_exp_f32_e32 v25, v25
	s_waitcnt_depctr 0xfff
	v_ldexp_f32 v25, v25, v26
	v_cndmask_b32_e64 v25, 0, v25, s7
	v_cmp_nlt_f32_e64 s7, 0x42b17218, v24
	s_delay_alu instid0(VALU_DEP_1) | instskip(NEXT) | instid1(VALU_DEP_1)
	v_cndmask_b32_e64 v26, 0x7f800000, v25, s7
	v_add_f32_e32 v27, 1.0, v26
	v_cmp_gt_f32_e64 s13, 0x33800000, |v26|
	s_delay_alu instid0(VALU_DEP_2) | instskip(NEXT) | instid1(VALU_DEP_1)
	v_cvt_f64_f32_e32 v[24:25], v27
	v_frexp_exp_i32_f64_e32 v24, v[24:25]
	v_frexp_mant_f32_e32 v25, v27
	s_delay_alu instid0(VALU_DEP_1) | instskip(SKIP_1) | instid1(VALU_DEP_1)
	v_cmp_gt_f32_e64 s7, 0x3f2aaaab, v25
	v_add_f32_e32 v25, -1.0, v27
	v_sub_f32_e32 v29, v25, v27
	v_sub_f32_e32 v25, v26, v25
	s_delay_alu instid0(VALU_DEP_4) | instskip(SKIP_1) | instid1(VALU_DEP_1)
	v_subrev_co_ci_u32_e64 v24, s7, 0, v24, s7
	s_mov_b32 s7, 0x3e9b6dac
	v_sub_nc_u32_e32 v28, 0, v24
	v_cvt_f32_i32_e32 v24, v24
	s_delay_alu instid0(VALU_DEP_2) | instskip(NEXT) | instid1(VALU_DEP_1)
	v_ldexp_f32 v27, v27, v28
	v_dual_add_f32 v30, 1.0, v27 :: v_dual_add_f32 v29, 1.0, v29
	s_delay_alu instid0(VALU_DEP_1) | instskip(NEXT) | instid1(VALU_DEP_2)
	v_add_f32_e32 v25, v25, v29
	v_add_f32_e32 v29, -1.0, v30
	s_delay_alu instid0(VALU_DEP_2) | instskip(NEXT) | instid1(VALU_DEP_2)
	v_ldexp_f32 v25, v25, v28
	v_dual_add_f32 v28, -1.0, v27 :: v_dual_sub_f32 v29, v27, v29
	s_delay_alu instid0(VALU_DEP_1) | instskip(NEXT) | instid1(VALU_DEP_2)
	v_add_f32_e32 v31, 1.0, v28
	v_add_f32_e32 v29, v25, v29
	s_delay_alu instid0(VALU_DEP_2) | instskip(NEXT) | instid1(VALU_DEP_2)
	v_sub_f32_e32 v27, v27, v31
	v_add_f32_e32 v31, v30, v29
	s_delay_alu instid0(VALU_DEP_2) | instskip(NEXT) | instid1(VALU_DEP_2)
	v_add_f32_e32 v25, v25, v27
	v_rcp_f32_e32 v27, v31
	v_sub_f32_e32 v30, v30, v31
	s_delay_alu instid0(VALU_DEP_1) | instskip(NEXT) | instid1(VALU_DEP_1)
	v_dual_add_f32 v32, v28, v25 :: v_dual_add_f32 v29, v29, v30
	v_sub_f32_e32 v28, v28, v32
	s_waitcnt_depctr 0xfff
	v_mul_f32_e32 v33, v32, v27
	s_delay_alu instid0(VALU_DEP_1) | instskip(NEXT) | instid1(VALU_DEP_1)
	v_dual_add_f32 v25, v25, v28 :: v_dual_mul_f32 v34, v31, v33
	v_fma_f32 v30, v33, v31, -v34
	s_delay_alu instid0(VALU_DEP_1) | instskip(NEXT) | instid1(VALU_DEP_1)
	v_fmac_f32_e32 v30, v33, v29
	v_add_f32_e32 v35, v34, v30
	s_delay_alu instid0(VALU_DEP_1) | instskip(SKIP_1) | instid1(VALU_DEP_2)
	v_sub_f32_e32 v36, v32, v35
	v_sub_f32_e32 v28, v35, v34
	;; [unrolled: 1-line block ×3, first 2 shown]
	s_delay_alu instid0(VALU_DEP_2) | instskip(NEXT) | instid1(VALU_DEP_2)
	v_sub_f32_e32 v28, v28, v30
	v_sub_f32_e32 v32, v32, v35
	s_delay_alu instid0(VALU_DEP_1) | instskip(NEXT) | instid1(VALU_DEP_1)
	v_add_f32_e32 v25, v25, v32
	v_add_f32_e32 v25, v28, v25
	s_delay_alu instid0(VALU_DEP_1) | instskip(NEXT) | instid1(VALU_DEP_1)
	v_add_f32_e32 v28, v36, v25
	v_mul_f32_e32 v30, v27, v28
	s_delay_alu instid0(VALU_DEP_1) | instskip(NEXT) | instid1(VALU_DEP_1)
	v_dual_sub_f32 v35, v36, v28 :: v_dual_mul_f32 v32, v31, v30
	v_add_f32_e32 v25, v25, v35
	s_delay_alu instid0(VALU_DEP_2) | instskip(NEXT) | instid1(VALU_DEP_1)
	v_fma_f32 v31, v30, v31, -v32
	v_fmac_f32_e32 v31, v30, v29
	s_delay_alu instid0(VALU_DEP_1) | instskip(NEXT) | instid1(VALU_DEP_1)
	v_add_f32_e32 v29, v32, v31
	v_sub_f32_e32 v34, v28, v29
	v_sub_f32_e32 v32, v29, v32
	s_delay_alu instid0(VALU_DEP_2) | instskip(NEXT) | instid1(VALU_DEP_1)
	v_sub_f32_e32 v28, v28, v34
	v_sub_f32_e32 v28, v28, v29
	s_delay_alu instid0(VALU_DEP_3) | instskip(NEXT) | instid1(VALU_DEP_2)
	v_sub_f32_e32 v29, v32, v31
	v_add_f32_e32 v25, v25, v28
	v_add_f32_e32 v28, v33, v30
	s_delay_alu instid0(VALU_DEP_2) | instskip(NEXT) | instid1(VALU_DEP_2)
	v_add_f32_e32 v25, v29, v25
	v_sub_f32_e32 v29, v28, v33
	s_delay_alu instid0(VALU_DEP_2) | instskip(NEXT) | instid1(VALU_DEP_2)
	v_add_f32_e32 v25, v34, v25
	v_sub_f32_e32 v29, v30, v29
	s_delay_alu instid0(VALU_DEP_2) | instskip(NEXT) | instid1(VALU_DEP_1)
	v_mul_f32_e32 v25, v27, v25
	v_add_f32_e32 v25, v29, v25
	s_delay_alu instid0(VALU_DEP_1) | instskip(NEXT) | instid1(VALU_DEP_1)
	v_add_f32_e32 v27, v28, v25
	v_mul_f32_e32 v29, v27, v27
	s_delay_alu instid0(VALU_DEP_1) | instskip(SKIP_2) | instid1(VALU_DEP_3)
	v_fmaak_f32 v30, s7, v29, 0x3ecc95a3
	v_mul_f32_e32 v31, v27, v29
	v_cmp_eq_f32_e64 s7, 0x7f800000, v26
	v_fmaak_f32 v29, v29, v30, 0x3f2aaada
	v_ldexp_f32 v30, v27, 1
	v_sub_f32_e32 v27, v27, v28
	s_delay_alu instid0(VALU_DEP_4) | instskip(NEXT) | instid1(VALU_DEP_3)
	s_or_b32 s7, s7, s13
	v_mul_f32_e32 v29, v31, v29
	v_mul_f32_e32 v31, 0x3f317218, v24
	s_delay_alu instid0(VALU_DEP_2) | instskip(NEXT) | instid1(VALU_DEP_1)
	v_dual_sub_f32 v25, v25, v27 :: v_dual_add_f32 v28, v30, v29
	v_ldexp_f32 v25, v25, 1
	s_delay_alu instid0(VALU_DEP_2) | instskip(NEXT) | instid1(VALU_DEP_4)
	v_sub_f32_e32 v27, v28, v30
	v_fma_f32 v30, 0x3f317218, v24, -v31
	s_delay_alu instid0(VALU_DEP_1) | instskip(NEXT) | instid1(VALU_DEP_1)
	v_dual_sub_f32 v27, v29, v27 :: v_dual_fmamk_f32 v24, v24, 0xb102e308, v30
	v_add_f32_e32 v25, v25, v27
	s_delay_alu instid0(VALU_DEP_2) | instskip(NEXT) | instid1(VALU_DEP_2)
	v_add_f32_e32 v27, v31, v24
	v_add_f32_e32 v29, v28, v25
	s_delay_alu instid0(VALU_DEP_2) | instskip(NEXT) | instid1(VALU_DEP_2)
	v_sub_f32_e32 v31, v27, v31
	v_add_f32_e32 v30, v27, v29
	v_sub_f32_e32 v28, v29, v28
	s_delay_alu instid0(VALU_DEP_3) | instskip(NEXT) | instid1(VALU_DEP_2)
	v_sub_f32_e32 v24, v24, v31
	v_dual_sub_f32 v32, v30, v27 :: v_dual_sub_f32 v25, v25, v28
	s_delay_alu instid0(VALU_DEP_1) | instskip(NEXT) | instid1(VALU_DEP_2)
	v_sub_f32_e32 v33, v30, v32
	v_dual_sub_f32 v28, v29, v32 :: v_dual_add_f32 v29, v24, v25
	s_delay_alu instid0(VALU_DEP_2) | instskip(NEXT) | instid1(VALU_DEP_1)
	v_sub_f32_e32 v27, v27, v33
	v_dual_add_f32 v27, v28, v27 :: v_dual_sub_f32 v28, v29, v24
	s_delay_alu instid0(VALU_DEP_1) | instskip(NEXT) | instid1(VALU_DEP_2)
	v_add_f32_e32 v27, v29, v27
	v_sub_f32_e32 v29, v29, v28
	v_sub_f32_e32 v25, v25, v28
	s_delay_alu instid0(VALU_DEP_2) | instskip(NEXT) | instid1(VALU_DEP_1)
	v_dual_add_f32 v31, v30, v27 :: v_dual_sub_f32 v24, v24, v29
	v_sub_f32_e32 v28, v31, v30
	s_delay_alu instid0(VALU_DEP_2) | instskip(NEXT) | instid1(VALU_DEP_2)
	v_add_f32_e32 v24, v25, v24
	v_sub_f32_e32 v25, v27, v28
	s_delay_alu instid0(VALU_DEP_1) | instskip(NEXT) | instid1(VALU_DEP_1)
	v_add_f32_e32 v24, v24, v25
	v_add_f32_e32 v24, v31, v24
	s_delay_alu instid0(VALU_DEP_1) | instskip(NEXT) | instid1(VALU_DEP_1)
	v_cndmask_b32_e64 v24, v24, v26, s7
	v_add_f32_e32 v24, v23, v24
.LBB164_183:
	s_or_b32 exec_lo, exec_lo, s12
	s_delay_alu instid0(VALU_DEP_1)
	v_mov_b32_e32 v23, v24
.LBB164_184:
	s_or_b32 exec_lo, exec_lo, s9
	s_delay_alu instid0(VALU_DEP_1)
	v_mov_b32_dpp v24, v23 row_shr:4 row_mask:0xf bank_mask:0xf
	s_mov_b32 s9, exec_lo
	v_cmpx_lt_u32_e32 3, v22
	s_cbranch_execz .LBB164_188
; %bb.185:
	s_delay_alu instid0(VALU_DEP_2) | instskip(SKIP_1) | instid1(VALU_DEP_2)
	v_dual_max_f32 v25, v23, v23 :: v_dual_max_f32 v26, v24, v24
	v_cmp_u_f32_e64 s7, v24, v24
	v_min_f32_e32 v27, v26, v25
	v_max_f32_e32 v25, v26, v25
	s_delay_alu instid0(VALU_DEP_2) | instskip(NEXT) | instid1(VALU_DEP_2)
	v_cndmask_b32_e64 v26, v27, v24, s7
	v_cndmask_b32_e64 v27, v25, v24, s7
	v_cmp_u_f32_e64 s7, v23, v23
	s_delay_alu instid0(VALU_DEP_1) | instskip(NEXT) | instid1(VALU_DEP_3)
	v_cndmask_b32_e64 v25, v26, v23, s7
	v_cndmask_b32_e64 v23, v27, v23, s7
	s_delay_alu instid0(VALU_DEP_2) | instskip(NEXT) | instid1(VALU_DEP_2)
	v_cmp_class_f32_e64 s12, v25, 0x1f8
	v_cmp_neq_f32_e64 s7, v25, v23
	s_delay_alu instid0(VALU_DEP_1) | instskip(NEXT) | instid1(SALU_CYCLE_1)
	s_or_b32 s7, s7, s12
	s_and_saveexec_b32 s12, s7
	s_cbranch_execz .LBB164_187
; %bb.186:
	v_sub_f32_e32 v24, v25, v23
	s_delay_alu instid0(VALU_DEP_1) | instskip(SKIP_1) | instid1(VALU_DEP_2)
	v_mul_f32_e32 v25, 0x3fb8aa3b, v24
	v_cmp_ngt_f32_e64 s7, 0xc2ce8ed0, v24
	v_fma_f32 v26, 0x3fb8aa3b, v24, -v25
	v_rndne_f32_e32 v27, v25
	s_delay_alu instid0(VALU_DEP_1) | instskip(NEXT) | instid1(VALU_DEP_1)
	v_dual_fmamk_f32 v26, v24, 0x32a5705f, v26 :: v_dual_sub_f32 v25, v25, v27
	v_add_f32_e32 v25, v25, v26
	v_cvt_i32_f32_e32 v26, v27
	s_delay_alu instid0(VALU_DEP_2) | instskip(SKIP_2) | instid1(VALU_DEP_1)
	v_exp_f32_e32 v25, v25
	s_waitcnt_depctr 0xfff
	v_ldexp_f32 v25, v25, v26
	v_cndmask_b32_e64 v25, 0, v25, s7
	v_cmp_nlt_f32_e64 s7, 0x42b17218, v24
	s_delay_alu instid0(VALU_DEP_1) | instskip(NEXT) | instid1(VALU_DEP_1)
	v_cndmask_b32_e64 v26, 0x7f800000, v25, s7
	v_add_f32_e32 v27, 1.0, v26
	v_cmp_gt_f32_e64 s13, 0x33800000, |v26|
	s_delay_alu instid0(VALU_DEP_2) | instskip(NEXT) | instid1(VALU_DEP_1)
	v_cvt_f64_f32_e32 v[24:25], v27
	v_frexp_exp_i32_f64_e32 v24, v[24:25]
	v_frexp_mant_f32_e32 v25, v27
	s_delay_alu instid0(VALU_DEP_1) | instskip(SKIP_1) | instid1(VALU_DEP_1)
	v_cmp_gt_f32_e64 s7, 0x3f2aaaab, v25
	v_add_f32_e32 v25, -1.0, v27
	v_sub_f32_e32 v29, v25, v27
	v_sub_f32_e32 v25, v26, v25
	s_delay_alu instid0(VALU_DEP_4) | instskip(SKIP_1) | instid1(VALU_DEP_1)
	v_subrev_co_ci_u32_e64 v24, s7, 0, v24, s7
	s_mov_b32 s7, 0x3e9b6dac
	v_sub_nc_u32_e32 v28, 0, v24
	v_cvt_f32_i32_e32 v24, v24
	s_delay_alu instid0(VALU_DEP_2) | instskip(NEXT) | instid1(VALU_DEP_1)
	v_ldexp_f32 v27, v27, v28
	v_dual_add_f32 v30, 1.0, v27 :: v_dual_add_f32 v29, 1.0, v29
	s_delay_alu instid0(VALU_DEP_1) | instskip(NEXT) | instid1(VALU_DEP_2)
	v_add_f32_e32 v25, v25, v29
	v_add_f32_e32 v29, -1.0, v30
	s_delay_alu instid0(VALU_DEP_2) | instskip(NEXT) | instid1(VALU_DEP_2)
	v_ldexp_f32 v25, v25, v28
	v_dual_add_f32 v28, -1.0, v27 :: v_dual_sub_f32 v29, v27, v29
	s_delay_alu instid0(VALU_DEP_1) | instskip(NEXT) | instid1(VALU_DEP_2)
	v_add_f32_e32 v31, 1.0, v28
	v_add_f32_e32 v29, v25, v29
	s_delay_alu instid0(VALU_DEP_2) | instskip(NEXT) | instid1(VALU_DEP_2)
	v_sub_f32_e32 v27, v27, v31
	v_add_f32_e32 v31, v30, v29
	s_delay_alu instid0(VALU_DEP_2) | instskip(NEXT) | instid1(VALU_DEP_2)
	v_add_f32_e32 v25, v25, v27
	v_rcp_f32_e32 v27, v31
	v_sub_f32_e32 v30, v30, v31
	s_delay_alu instid0(VALU_DEP_1) | instskip(NEXT) | instid1(VALU_DEP_1)
	v_dual_add_f32 v32, v28, v25 :: v_dual_add_f32 v29, v29, v30
	v_sub_f32_e32 v28, v28, v32
	s_waitcnt_depctr 0xfff
	v_mul_f32_e32 v33, v32, v27
	s_delay_alu instid0(VALU_DEP_1) | instskip(NEXT) | instid1(VALU_DEP_1)
	v_dual_add_f32 v25, v25, v28 :: v_dual_mul_f32 v34, v31, v33
	v_fma_f32 v30, v33, v31, -v34
	s_delay_alu instid0(VALU_DEP_1) | instskip(NEXT) | instid1(VALU_DEP_1)
	v_fmac_f32_e32 v30, v33, v29
	v_add_f32_e32 v35, v34, v30
	s_delay_alu instid0(VALU_DEP_1) | instskip(SKIP_1) | instid1(VALU_DEP_2)
	v_sub_f32_e32 v36, v32, v35
	v_sub_f32_e32 v28, v35, v34
	;; [unrolled: 1-line block ×3, first 2 shown]
	s_delay_alu instid0(VALU_DEP_2) | instskip(NEXT) | instid1(VALU_DEP_2)
	v_sub_f32_e32 v28, v28, v30
	v_sub_f32_e32 v32, v32, v35
	s_delay_alu instid0(VALU_DEP_1) | instskip(NEXT) | instid1(VALU_DEP_1)
	v_add_f32_e32 v25, v25, v32
	v_add_f32_e32 v25, v28, v25
	s_delay_alu instid0(VALU_DEP_1) | instskip(NEXT) | instid1(VALU_DEP_1)
	v_add_f32_e32 v28, v36, v25
	v_mul_f32_e32 v30, v27, v28
	s_delay_alu instid0(VALU_DEP_1) | instskip(NEXT) | instid1(VALU_DEP_1)
	v_dual_sub_f32 v35, v36, v28 :: v_dual_mul_f32 v32, v31, v30
	v_add_f32_e32 v25, v25, v35
	s_delay_alu instid0(VALU_DEP_2) | instskip(NEXT) | instid1(VALU_DEP_1)
	v_fma_f32 v31, v30, v31, -v32
	v_fmac_f32_e32 v31, v30, v29
	s_delay_alu instid0(VALU_DEP_1) | instskip(NEXT) | instid1(VALU_DEP_1)
	v_add_f32_e32 v29, v32, v31
	v_sub_f32_e32 v34, v28, v29
	v_sub_f32_e32 v32, v29, v32
	s_delay_alu instid0(VALU_DEP_2) | instskip(NEXT) | instid1(VALU_DEP_1)
	v_sub_f32_e32 v28, v28, v34
	v_sub_f32_e32 v28, v28, v29
	s_delay_alu instid0(VALU_DEP_3) | instskip(NEXT) | instid1(VALU_DEP_2)
	v_sub_f32_e32 v29, v32, v31
	v_add_f32_e32 v25, v25, v28
	v_add_f32_e32 v28, v33, v30
	s_delay_alu instid0(VALU_DEP_2) | instskip(NEXT) | instid1(VALU_DEP_2)
	v_add_f32_e32 v25, v29, v25
	v_sub_f32_e32 v29, v28, v33
	s_delay_alu instid0(VALU_DEP_2) | instskip(NEXT) | instid1(VALU_DEP_2)
	v_add_f32_e32 v25, v34, v25
	v_sub_f32_e32 v29, v30, v29
	s_delay_alu instid0(VALU_DEP_2) | instskip(NEXT) | instid1(VALU_DEP_1)
	v_mul_f32_e32 v25, v27, v25
	v_add_f32_e32 v25, v29, v25
	s_delay_alu instid0(VALU_DEP_1) | instskip(NEXT) | instid1(VALU_DEP_1)
	v_add_f32_e32 v27, v28, v25
	v_mul_f32_e32 v29, v27, v27
	s_delay_alu instid0(VALU_DEP_1) | instskip(SKIP_2) | instid1(VALU_DEP_3)
	v_fmaak_f32 v30, s7, v29, 0x3ecc95a3
	v_mul_f32_e32 v31, v27, v29
	v_cmp_eq_f32_e64 s7, 0x7f800000, v26
	v_fmaak_f32 v29, v29, v30, 0x3f2aaada
	v_ldexp_f32 v30, v27, 1
	v_sub_f32_e32 v27, v27, v28
	s_delay_alu instid0(VALU_DEP_4) | instskip(NEXT) | instid1(VALU_DEP_3)
	s_or_b32 s7, s7, s13
	v_mul_f32_e32 v29, v31, v29
	v_mul_f32_e32 v31, 0x3f317218, v24
	s_delay_alu instid0(VALU_DEP_2) | instskip(NEXT) | instid1(VALU_DEP_1)
	v_dual_sub_f32 v25, v25, v27 :: v_dual_add_f32 v28, v30, v29
	v_ldexp_f32 v25, v25, 1
	s_delay_alu instid0(VALU_DEP_2) | instskip(NEXT) | instid1(VALU_DEP_4)
	v_sub_f32_e32 v27, v28, v30
	v_fma_f32 v30, 0x3f317218, v24, -v31
	s_delay_alu instid0(VALU_DEP_1) | instskip(NEXT) | instid1(VALU_DEP_1)
	v_dual_sub_f32 v27, v29, v27 :: v_dual_fmamk_f32 v24, v24, 0xb102e308, v30
	v_add_f32_e32 v25, v25, v27
	s_delay_alu instid0(VALU_DEP_2) | instskip(NEXT) | instid1(VALU_DEP_2)
	v_add_f32_e32 v27, v31, v24
	v_add_f32_e32 v29, v28, v25
	s_delay_alu instid0(VALU_DEP_2) | instskip(NEXT) | instid1(VALU_DEP_2)
	v_sub_f32_e32 v31, v27, v31
	v_add_f32_e32 v30, v27, v29
	v_sub_f32_e32 v28, v29, v28
	s_delay_alu instid0(VALU_DEP_3) | instskip(NEXT) | instid1(VALU_DEP_2)
	v_sub_f32_e32 v24, v24, v31
	v_dual_sub_f32 v32, v30, v27 :: v_dual_sub_f32 v25, v25, v28
	s_delay_alu instid0(VALU_DEP_1) | instskip(NEXT) | instid1(VALU_DEP_2)
	v_sub_f32_e32 v33, v30, v32
	v_dual_sub_f32 v28, v29, v32 :: v_dual_add_f32 v29, v24, v25
	s_delay_alu instid0(VALU_DEP_2) | instskip(NEXT) | instid1(VALU_DEP_1)
	v_sub_f32_e32 v27, v27, v33
	v_dual_add_f32 v27, v28, v27 :: v_dual_sub_f32 v28, v29, v24
	s_delay_alu instid0(VALU_DEP_1) | instskip(NEXT) | instid1(VALU_DEP_2)
	v_add_f32_e32 v27, v29, v27
	v_sub_f32_e32 v29, v29, v28
	v_sub_f32_e32 v25, v25, v28
	s_delay_alu instid0(VALU_DEP_2) | instskip(NEXT) | instid1(VALU_DEP_1)
	v_dual_add_f32 v31, v30, v27 :: v_dual_sub_f32 v24, v24, v29
	v_sub_f32_e32 v28, v31, v30
	s_delay_alu instid0(VALU_DEP_2) | instskip(NEXT) | instid1(VALU_DEP_2)
	v_add_f32_e32 v24, v25, v24
	v_sub_f32_e32 v25, v27, v28
	s_delay_alu instid0(VALU_DEP_1) | instskip(NEXT) | instid1(VALU_DEP_1)
	v_add_f32_e32 v24, v24, v25
	v_add_f32_e32 v24, v31, v24
	s_delay_alu instid0(VALU_DEP_1) | instskip(NEXT) | instid1(VALU_DEP_1)
	v_cndmask_b32_e64 v24, v24, v26, s7
	v_add_f32_e32 v24, v23, v24
.LBB164_187:
	s_or_b32 exec_lo, exec_lo, s12
	s_delay_alu instid0(VALU_DEP_1)
	v_mov_b32_e32 v23, v24
.LBB164_188:
	s_or_b32 exec_lo, exec_lo, s9
	s_delay_alu instid0(VALU_DEP_1)
	v_mov_b32_dpp v24, v23 row_shr:8 row_mask:0xf bank_mask:0xf
	s_mov_b32 s9, exec_lo
	v_cmpx_lt_u32_e32 7, v22
	s_cbranch_execz .LBB164_192
; %bb.189:
	s_delay_alu instid0(VALU_DEP_2) | instskip(SKIP_1) | instid1(VALU_DEP_2)
	v_dual_max_f32 v22, v23, v23 :: v_dual_max_f32 v25, v24, v24
	v_cmp_u_f32_e64 s7, v24, v24
	v_min_f32_e32 v26, v25, v22
	v_max_f32_e32 v22, v25, v22
	s_delay_alu instid0(VALU_DEP_2) | instskip(NEXT) | instid1(VALU_DEP_2)
	v_cndmask_b32_e64 v25, v26, v24, s7
	v_cndmask_b32_e64 v22, v22, v24, s7
	v_cmp_u_f32_e64 s7, v23, v23
	s_delay_alu instid0(VALU_DEP_1) | instskip(NEXT) | instid1(VALU_DEP_3)
	v_cndmask_b32_e64 v25, v25, v23, s7
	v_cndmask_b32_e64 v22, v22, v23, s7
	s_delay_alu instid0(VALU_DEP_2) | instskip(NEXT) | instid1(VALU_DEP_2)
	v_cmp_class_f32_e64 s12, v25, 0x1f8
	v_cmp_neq_f32_e64 s7, v25, v22
	s_delay_alu instid0(VALU_DEP_1) | instskip(NEXT) | instid1(SALU_CYCLE_1)
	s_or_b32 s7, s7, s12
	s_and_saveexec_b32 s12, s7
	s_cbranch_execz .LBB164_191
; %bb.190:
	v_sub_f32_e32 v23, v25, v22
	s_delay_alu instid0(VALU_DEP_1) | instskip(NEXT) | instid1(VALU_DEP_1)
	v_mul_f32_e32 v24, 0x3fb8aa3b, v23
	v_fma_f32 v25, 0x3fb8aa3b, v23, -v24
	v_rndne_f32_e32 v26, v24
	s_delay_alu instid0(VALU_DEP_1) | instskip(NEXT) | instid1(VALU_DEP_1)
	v_dual_fmamk_f32 v25, v23, 0x32a5705f, v25 :: v_dual_sub_f32 v24, v24, v26
	v_add_f32_e32 v24, v24, v25
	v_cvt_i32_f32_e32 v25, v26
	v_cmp_ngt_f32_e64 s7, 0xc2ce8ed0, v23
	s_delay_alu instid0(VALU_DEP_3) | instskip(SKIP_2) | instid1(VALU_DEP_1)
	v_exp_f32_e32 v24, v24
	s_waitcnt_depctr 0xfff
	v_ldexp_f32 v24, v24, v25
	v_cndmask_b32_e64 v24, 0, v24, s7
	v_cmp_nlt_f32_e64 s7, 0x42b17218, v23
	s_delay_alu instid0(VALU_DEP_1) | instskip(NEXT) | instid1(VALU_DEP_1)
	v_cndmask_b32_e64 v25, 0x7f800000, v24, s7
	v_add_f32_e32 v26, 1.0, v25
	v_cmp_gt_f32_e64 s13, 0x33800000, |v25|
	s_delay_alu instid0(VALU_DEP_2) | instskip(NEXT) | instid1(VALU_DEP_1)
	v_cvt_f64_f32_e32 v[23:24], v26
	v_frexp_exp_i32_f64_e32 v23, v[23:24]
	v_frexp_mant_f32_e32 v24, v26
	s_delay_alu instid0(VALU_DEP_1) | instskip(SKIP_1) | instid1(VALU_DEP_1)
	v_cmp_gt_f32_e64 s7, 0x3f2aaaab, v24
	v_add_f32_e32 v24, -1.0, v26
	v_sub_f32_e32 v28, v24, v26
	s_delay_alu instid0(VALU_DEP_3) | instskip(SKIP_1) | instid1(VALU_DEP_1)
	v_subrev_co_ci_u32_e64 v23, s7, 0, v23, s7
	s_mov_b32 s7, 0x3e9b6dac
	v_sub_nc_u32_e32 v27, 0, v23
	v_cvt_f32_i32_e32 v23, v23
	s_delay_alu instid0(VALU_DEP_2) | instskip(NEXT) | instid1(VALU_DEP_1)
	v_ldexp_f32 v26, v26, v27
	v_dual_sub_f32 v24, v25, v24 :: v_dual_add_f32 v29, 1.0, v26
	v_add_f32_e32 v28, 1.0, v28
	s_delay_alu instid0(VALU_DEP_1) | instskip(NEXT) | instid1(VALU_DEP_3)
	v_add_f32_e32 v24, v24, v28
	v_add_f32_e32 v28, -1.0, v29
	s_delay_alu instid0(VALU_DEP_2) | instskip(NEXT) | instid1(VALU_DEP_2)
	v_ldexp_f32 v24, v24, v27
	v_dual_add_f32 v27, -1.0, v26 :: v_dual_sub_f32 v28, v26, v28
	s_delay_alu instid0(VALU_DEP_1) | instskip(NEXT) | instid1(VALU_DEP_2)
	v_add_f32_e32 v30, 1.0, v27
	v_add_f32_e32 v28, v24, v28
	s_delay_alu instid0(VALU_DEP_2) | instskip(NEXT) | instid1(VALU_DEP_2)
	v_sub_f32_e32 v26, v26, v30
	v_add_f32_e32 v30, v29, v28
	s_delay_alu instid0(VALU_DEP_2) | instskip(NEXT) | instid1(VALU_DEP_2)
	v_add_f32_e32 v24, v24, v26
	v_rcp_f32_e32 v26, v30
	v_sub_f32_e32 v29, v29, v30
	s_delay_alu instid0(VALU_DEP_1) | instskip(NEXT) | instid1(VALU_DEP_1)
	v_dual_add_f32 v31, v27, v24 :: v_dual_add_f32 v28, v28, v29
	v_sub_f32_e32 v27, v27, v31
	s_waitcnt_depctr 0xfff
	v_mul_f32_e32 v32, v31, v26
	s_delay_alu instid0(VALU_DEP_1) | instskip(NEXT) | instid1(VALU_DEP_1)
	v_dual_add_f32 v24, v24, v27 :: v_dual_mul_f32 v33, v30, v32
	v_fma_f32 v29, v32, v30, -v33
	s_delay_alu instid0(VALU_DEP_1) | instskip(NEXT) | instid1(VALU_DEP_1)
	v_fmac_f32_e32 v29, v32, v28
	v_add_f32_e32 v34, v33, v29
	s_delay_alu instid0(VALU_DEP_1) | instskip(SKIP_1) | instid1(VALU_DEP_2)
	v_sub_f32_e32 v35, v31, v34
	v_sub_f32_e32 v27, v34, v33
	;; [unrolled: 1-line block ×3, first 2 shown]
	s_delay_alu instid0(VALU_DEP_2) | instskip(NEXT) | instid1(VALU_DEP_2)
	v_sub_f32_e32 v27, v27, v29
	v_sub_f32_e32 v31, v31, v34
	s_delay_alu instid0(VALU_DEP_1) | instskip(NEXT) | instid1(VALU_DEP_1)
	v_add_f32_e32 v24, v24, v31
	v_add_f32_e32 v24, v27, v24
	s_delay_alu instid0(VALU_DEP_1) | instskip(NEXT) | instid1(VALU_DEP_1)
	v_add_f32_e32 v27, v35, v24
	v_mul_f32_e32 v29, v26, v27
	s_delay_alu instid0(VALU_DEP_1) | instskip(NEXT) | instid1(VALU_DEP_1)
	v_dual_sub_f32 v34, v35, v27 :: v_dual_mul_f32 v31, v30, v29
	v_add_f32_e32 v24, v24, v34
	s_delay_alu instid0(VALU_DEP_2) | instskip(NEXT) | instid1(VALU_DEP_1)
	v_fma_f32 v30, v29, v30, -v31
	v_fmac_f32_e32 v30, v29, v28
	s_delay_alu instid0(VALU_DEP_1) | instskip(NEXT) | instid1(VALU_DEP_1)
	v_add_f32_e32 v28, v31, v30
	v_sub_f32_e32 v33, v27, v28
	v_sub_f32_e32 v31, v28, v31
	s_delay_alu instid0(VALU_DEP_2) | instskip(NEXT) | instid1(VALU_DEP_1)
	v_sub_f32_e32 v27, v27, v33
	v_sub_f32_e32 v27, v27, v28
	s_delay_alu instid0(VALU_DEP_3) | instskip(NEXT) | instid1(VALU_DEP_2)
	v_sub_f32_e32 v28, v31, v30
	v_add_f32_e32 v24, v24, v27
	v_add_f32_e32 v27, v32, v29
	s_delay_alu instid0(VALU_DEP_2) | instskip(NEXT) | instid1(VALU_DEP_2)
	v_add_f32_e32 v24, v28, v24
	v_sub_f32_e32 v28, v27, v32
	s_delay_alu instid0(VALU_DEP_2) | instskip(NEXT) | instid1(VALU_DEP_2)
	v_add_f32_e32 v24, v33, v24
	v_sub_f32_e32 v28, v29, v28
	s_delay_alu instid0(VALU_DEP_2) | instskip(NEXT) | instid1(VALU_DEP_1)
	v_mul_f32_e32 v24, v26, v24
	v_add_f32_e32 v24, v28, v24
	s_delay_alu instid0(VALU_DEP_1) | instskip(NEXT) | instid1(VALU_DEP_1)
	v_add_f32_e32 v26, v27, v24
	v_mul_f32_e32 v28, v26, v26
	s_delay_alu instid0(VALU_DEP_1) | instskip(SKIP_2) | instid1(VALU_DEP_3)
	v_fmaak_f32 v29, s7, v28, 0x3ecc95a3
	v_mul_f32_e32 v30, v26, v28
	v_cmp_eq_f32_e64 s7, 0x7f800000, v25
	v_fmaak_f32 v28, v28, v29, 0x3f2aaada
	v_ldexp_f32 v29, v26, 1
	v_sub_f32_e32 v26, v26, v27
	s_delay_alu instid0(VALU_DEP_4) | instskip(NEXT) | instid1(VALU_DEP_3)
	s_or_b32 s7, s7, s13
	v_mul_f32_e32 v28, v30, v28
	v_mul_f32_e32 v30, 0x3f317218, v23
	s_delay_alu instid0(VALU_DEP_2) | instskip(NEXT) | instid1(VALU_DEP_1)
	v_dual_sub_f32 v24, v24, v26 :: v_dual_add_f32 v27, v29, v28
	v_ldexp_f32 v24, v24, 1
	s_delay_alu instid0(VALU_DEP_2) | instskip(NEXT) | instid1(VALU_DEP_4)
	v_sub_f32_e32 v26, v27, v29
	v_fma_f32 v29, 0x3f317218, v23, -v30
	s_delay_alu instid0(VALU_DEP_1) | instskip(NEXT) | instid1(VALU_DEP_1)
	v_dual_sub_f32 v26, v28, v26 :: v_dual_fmamk_f32 v23, v23, 0xb102e308, v29
	v_add_f32_e32 v24, v24, v26
	s_delay_alu instid0(VALU_DEP_2) | instskip(NEXT) | instid1(VALU_DEP_2)
	v_add_f32_e32 v26, v30, v23
	v_add_f32_e32 v28, v27, v24
	s_delay_alu instid0(VALU_DEP_2) | instskip(NEXT) | instid1(VALU_DEP_2)
	v_sub_f32_e32 v30, v26, v30
	v_add_f32_e32 v29, v26, v28
	v_sub_f32_e32 v27, v28, v27
	s_delay_alu instid0(VALU_DEP_3) | instskip(NEXT) | instid1(VALU_DEP_2)
	v_sub_f32_e32 v23, v23, v30
	v_dual_sub_f32 v31, v29, v26 :: v_dual_sub_f32 v24, v24, v27
	s_delay_alu instid0(VALU_DEP_1) | instskip(NEXT) | instid1(VALU_DEP_2)
	v_sub_f32_e32 v32, v29, v31
	v_dual_sub_f32 v27, v28, v31 :: v_dual_add_f32 v28, v23, v24
	s_delay_alu instid0(VALU_DEP_2) | instskip(NEXT) | instid1(VALU_DEP_1)
	v_sub_f32_e32 v26, v26, v32
	v_dual_add_f32 v26, v27, v26 :: v_dual_sub_f32 v27, v28, v23
	s_delay_alu instid0(VALU_DEP_1) | instskip(NEXT) | instid1(VALU_DEP_2)
	v_add_f32_e32 v26, v28, v26
	v_sub_f32_e32 v28, v28, v27
	v_sub_f32_e32 v24, v24, v27
	s_delay_alu instid0(VALU_DEP_2) | instskip(NEXT) | instid1(VALU_DEP_1)
	v_dual_add_f32 v30, v29, v26 :: v_dual_sub_f32 v23, v23, v28
	v_sub_f32_e32 v27, v30, v29
	s_delay_alu instid0(VALU_DEP_2) | instskip(NEXT) | instid1(VALU_DEP_2)
	v_add_f32_e32 v23, v24, v23
	v_sub_f32_e32 v24, v26, v27
	s_delay_alu instid0(VALU_DEP_1) | instskip(NEXT) | instid1(VALU_DEP_1)
	v_add_f32_e32 v23, v23, v24
	v_add_f32_e32 v23, v30, v23
	s_delay_alu instid0(VALU_DEP_1) | instskip(NEXT) | instid1(VALU_DEP_1)
	v_cndmask_b32_e64 v23, v23, v25, s7
	v_add_f32_e32 v24, v22, v23
.LBB164_191:
	s_or_b32 exec_lo, exec_lo, s12
	s_delay_alu instid0(VALU_DEP_1)
	v_mov_b32_e32 v23, v24
.LBB164_192:
	s_or_b32 exec_lo, exec_lo, s9
	ds_swizzle_b32 v24, v23 offset:swizzle(BROADCAST,32,15)
	v_and_b32_e32 v22, 16, v6
	s_mov_b32 s9, exec_lo
	s_delay_alu instid0(VALU_DEP_1)
	v_cmpx_ne_u32_e32 0, v22
	s_cbranch_execz .LBB164_196
; %bb.193:
	s_waitcnt lgkmcnt(0)
	v_dual_max_f32 v22, v23, v23 :: v_dual_max_f32 v25, v24, v24
	v_cmp_u_f32_e64 s7, v24, v24
	s_delay_alu instid0(VALU_DEP_2) | instskip(SKIP_1) | instid1(VALU_DEP_2)
	v_min_f32_e32 v26, v25, v22
	v_max_f32_e32 v22, v25, v22
	v_cndmask_b32_e64 v25, v26, v24, s7
	s_delay_alu instid0(VALU_DEP_2) | instskip(SKIP_1) | instid1(VALU_DEP_1)
	v_cndmask_b32_e64 v22, v22, v24, s7
	v_cmp_u_f32_e64 s7, v23, v23
	v_cndmask_b32_e64 v25, v25, v23, s7
	s_delay_alu instid0(VALU_DEP_3) | instskip(NEXT) | instid1(VALU_DEP_2)
	v_cndmask_b32_e64 v22, v22, v23, s7
	v_cmp_class_f32_e64 s12, v25, 0x1f8
	s_delay_alu instid0(VALU_DEP_2) | instskip(NEXT) | instid1(VALU_DEP_1)
	v_cmp_neq_f32_e64 s7, v25, v22
	s_or_b32 s7, s7, s12
	s_delay_alu instid0(SALU_CYCLE_1)
	s_and_saveexec_b32 s12, s7
	s_cbranch_execz .LBB164_195
; %bb.194:
	v_sub_f32_e32 v23, v25, v22
	s_delay_alu instid0(VALU_DEP_1) | instskip(NEXT) | instid1(VALU_DEP_1)
	v_mul_f32_e32 v24, 0x3fb8aa3b, v23
	v_fma_f32 v25, 0x3fb8aa3b, v23, -v24
	v_rndne_f32_e32 v26, v24
	s_delay_alu instid0(VALU_DEP_1) | instskip(NEXT) | instid1(VALU_DEP_1)
	v_dual_fmamk_f32 v25, v23, 0x32a5705f, v25 :: v_dual_sub_f32 v24, v24, v26
	v_add_f32_e32 v24, v24, v25
	v_cvt_i32_f32_e32 v25, v26
	v_cmp_ngt_f32_e64 s7, 0xc2ce8ed0, v23
	s_delay_alu instid0(VALU_DEP_3) | instskip(SKIP_2) | instid1(VALU_DEP_1)
	v_exp_f32_e32 v24, v24
	s_waitcnt_depctr 0xfff
	v_ldexp_f32 v24, v24, v25
	v_cndmask_b32_e64 v24, 0, v24, s7
	v_cmp_nlt_f32_e64 s7, 0x42b17218, v23
	s_delay_alu instid0(VALU_DEP_1) | instskip(NEXT) | instid1(VALU_DEP_1)
	v_cndmask_b32_e64 v25, 0x7f800000, v24, s7
	v_add_f32_e32 v26, 1.0, v25
	v_cmp_gt_f32_e64 s13, 0x33800000, |v25|
	s_delay_alu instid0(VALU_DEP_2) | instskip(NEXT) | instid1(VALU_DEP_1)
	v_cvt_f64_f32_e32 v[23:24], v26
	v_frexp_exp_i32_f64_e32 v23, v[23:24]
	v_frexp_mant_f32_e32 v24, v26
	s_delay_alu instid0(VALU_DEP_1) | instskip(SKIP_1) | instid1(VALU_DEP_1)
	v_cmp_gt_f32_e64 s7, 0x3f2aaaab, v24
	v_add_f32_e32 v24, -1.0, v26
	v_sub_f32_e32 v28, v24, v26
	s_delay_alu instid0(VALU_DEP_3) | instskip(SKIP_1) | instid1(VALU_DEP_1)
	v_subrev_co_ci_u32_e64 v23, s7, 0, v23, s7
	s_mov_b32 s7, 0x3e9b6dac
	v_sub_nc_u32_e32 v27, 0, v23
	v_cvt_f32_i32_e32 v23, v23
	s_delay_alu instid0(VALU_DEP_2) | instskip(NEXT) | instid1(VALU_DEP_1)
	v_ldexp_f32 v26, v26, v27
	v_dual_sub_f32 v24, v25, v24 :: v_dual_add_f32 v29, 1.0, v26
	v_add_f32_e32 v28, 1.0, v28
	s_delay_alu instid0(VALU_DEP_1) | instskip(NEXT) | instid1(VALU_DEP_3)
	v_add_f32_e32 v24, v24, v28
	v_add_f32_e32 v28, -1.0, v29
	s_delay_alu instid0(VALU_DEP_2) | instskip(NEXT) | instid1(VALU_DEP_2)
	v_ldexp_f32 v24, v24, v27
	v_dual_add_f32 v27, -1.0, v26 :: v_dual_sub_f32 v28, v26, v28
	s_delay_alu instid0(VALU_DEP_1) | instskip(NEXT) | instid1(VALU_DEP_2)
	v_add_f32_e32 v30, 1.0, v27
	v_add_f32_e32 v28, v24, v28
	s_delay_alu instid0(VALU_DEP_2) | instskip(NEXT) | instid1(VALU_DEP_2)
	v_sub_f32_e32 v26, v26, v30
	v_add_f32_e32 v30, v29, v28
	s_delay_alu instid0(VALU_DEP_2) | instskip(NEXT) | instid1(VALU_DEP_2)
	v_add_f32_e32 v24, v24, v26
	v_rcp_f32_e32 v26, v30
	v_sub_f32_e32 v29, v29, v30
	s_delay_alu instid0(VALU_DEP_1) | instskip(NEXT) | instid1(VALU_DEP_1)
	v_dual_add_f32 v31, v27, v24 :: v_dual_add_f32 v28, v28, v29
	v_sub_f32_e32 v27, v27, v31
	s_waitcnt_depctr 0xfff
	v_mul_f32_e32 v32, v31, v26
	s_delay_alu instid0(VALU_DEP_1) | instskip(NEXT) | instid1(VALU_DEP_1)
	v_dual_add_f32 v24, v24, v27 :: v_dual_mul_f32 v33, v30, v32
	v_fma_f32 v29, v32, v30, -v33
	s_delay_alu instid0(VALU_DEP_1) | instskip(NEXT) | instid1(VALU_DEP_1)
	v_fmac_f32_e32 v29, v32, v28
	v_add_f32_e32 v34, v33, v29
	s_delay_alu instid0(VALU_DEP_1) | instskip(SKIP_1) | instid1(VALU_DEP_2)
	v_sub_f32_e32 v35, v31, v34
	v_sub_f32_e32 v27, v34, v33
	;; [unrolled: 1-line block ×3, first 2 shown]
	s_delay_alu instid0(VALU_DEP_2) | instskip(NEXT) | instid1(VALU_DEP_2)
	v_sub_f32_e32 v27, v27, v29
	v_sub_f32_e32 v31, v31, v34
	s_delay_alu instid0(VALU_DEP_1) | instskip(NEXT) | instid1(VALU_DEP_1)
	v_add_f32_e32 v24, v24, v31
	v_add_f32_e32 v24, v27, v24
	s_delay_alu instid0(VALU_DEP_1) | instskip(NEXT) | instid1(VALU_DEP_1)
	v_add_f32_e32 v27, v35, v24
	v_mul_f32_e32 v29, v26, v27
	s_delay_alu instid0(VALU_DEP_1) | instskip(NEXT) | instid1(VALU_DEP_1)
	v_dual_sub_f32 v34, v35, v27 :: v_dual_mul_f32 v31, v30, v29
	v_add_f32_e32 v24, v24, v34
	s_delay_alu instid0(VALU_DEP_2) | instskip(NEXT) | instid1(VALU_DEP_1)
	v_fma_f32 v30, v29, v30, -v31
	v_fmac_f32_e32 v30, v29, v28
	s_delay_alu instid0(VALU_DEP_1) | instskip(NEXT) | instid1(VALU_DEP_1)
	v_add_f32_e32 v28, v31, v30
	v_sub_f32_e32 v33, v27, v28
	v_sub_f32_e32 v31, v28, v31
	s_delay_alu instid0(VALU_DEP_2) | instskip(NEXT) | instid1(VALU_DEP_1)
	v_sub_f32_e32 v27, v27, v33
	v_sub_f32_e32 v27, v27, v28
	s_delay_alu instid0(VALU_DEP_3) | instskip(NEXT) | instid1(VALU_DEP_2)
	v_sub_f32_e32 v28, v31, v30
	v_add_f32_e32 v24, v24, v27
	v_add_f32_e32 v27, v32, v29
	s_delay_alu instid0(VALU_DEP_2) | instskip(NEXT) | instid1(VALU_DEP_2)
	v_add_f32_e32 v24, v28, v24
	v_sub_f32_e32 v28, v27, v32
	s_delay_alu instid0(VALU_DEP_2) | instskip(NEXT) | instid1(VALU_DEP_2)
	v_add_f32_e32 v24, v33, v24
	v_sub_f32_e32 v28, v29, v28
	s_delay_alu instid0(VALU_DEP_2) | instskip(NEXT) | instid1(VALU_DEP_1)
	v_mul_f32_e32 v24, v26, v24
	v_add_f32_e32 v24, v28, v24
	s_delay_alu instid0(VALU_DEP_1) | instskip(NEXT) | instid1(VALU_DEP_1)
	v_add_f32_e32 v26, v27, v24
	v_mul_f32_e32 v28, v26, v26
	s_delay_alu instid0(VALU_DEP_1) | instskip(SKIP_2) | instid1(VALU_DEP_3)
	v_fmaak_f32 v29, s7, v28, 0x3ecc95a3
	v_mul_f32_e32 v30, v26, v28
	v_cmp_eq_f32_e64 s7, 0x7f800000, v25
	v_fmaak_f32 v28, v28, v29, 0x3f2aaada
	v_ldexp_f32 v29, v26, 1
	v_sub_f32_e32 v26, v26, v27
	s_delay_alu instid0(VALU_DEP_4) | instskip(NEXT) | instid1(VALU_DEP_3)
	s_or_b32 s7, s7, s13
	v_mul_f32_e32 v28, v30, v28
	v_mul_f32_e32 v30, 0x3f317218, v23
	s_delay_alu instid0(VALU_DEP_2) | instskip(NEXT) | instid1(VALU_DEP_1)
	v_dual_sub_f32 v24, v24, v26 :: v_dual_add_f32 v27, v29, v28
	v_ldexp_f32 v24, v24, 1
	s_delay_alu instid0(VALU_DEP_2) | instskip(NEXT) | instid1(VALU_DEP_4)
	v_sub_f32_e32 v26, v27, v29
	v_fma_f32 v29, 0x3f317218, v23, -v30
	s_delay_alu instid0(VALU_DEP_1) | instskip(NEXT) | instid1(VALU_DEP_1)
	v_dual_sub_f32 v26, v28, v26 :: v_dual_fmamk_f32 v23, v23, 0xb102e308, v29
	v_add_f32_e32 v24, v24, v26
	s_delay_alu instid0(VALU_DEP_2) | instskip(NEXT) | instid1(VALU_DEP_2)
	v_add_f32_e32 v26, v30, v23
	v_add_f32_e32 v28, v27, v24
	s_delay_alu instid0(VALU_DEP_2) | instskip(NEXT) | instid1(VALU_DEP_2)
	v_sub_f32_e32 v30, v26, v30
	v_add_f32_e32 v29, v26, v28
	v_sub_f32_e32 v27, v28, v27
	s_delay_alu instid0(VALU_DEP_3) | instskip(NEXT) | instid1(VALU_DEP_2)
	v_sub_f32_e32 v23, v23, v30
	v_dual_sub_f32 v31, v29, v26 :: v_dual_sub_f32 v24, v24, v27
	s_delay_alu instid0(VALU_DEP_1) | instskip(NEXT) | instid1(VALU_DEP_2)
	v_sub_f32_e32 v32, v29, v31
	v_dual_sub_f32 v27, v28, v31 :: v_dual_add_f32 v28, v23, v24
	s_delay_alu instid0(VALU_DEP_2) | instskip(NEXT) | instid1(VALU_DEP_1)
	v_sub_f32_e32 v26, v26, v32
	v_dual_add_f32 v26, v27, v26 :: v_dual_sub_f32 v27, v28, v23
	s_delay_alu instid0(VALU_DEP_1) | instskip(NEXT) | instid1(VALU_DEP_2)
	v_add_f32_e32 v26, v28, v26
	v_sub_f32_e32 v28, v28, v27
	v_sub_f32_e32 v24, v24, v27
	s_delay_alu instid0(VALU_DEP_2) | instskip(NEXT) | instid1(VALU_DEP_1)
	v_dual_add_f32 v30, v29, v26 :: v_dual_sub_f32 v23, v23, v28
	v_sub_f32_e32 v27, v30, v29
	s_delay_alu instid0(VALU_DEP_2) | instskip(NEXT) | instid1(VALU_DEP_2)
	v_add_f32_e32 v23, v24, v23
	v_sub_f32_e32 v24, v26, v27
	s_delay_alu instid0(VALU_DEP_1) | instskip(NEXT) | instid1(VALU_DEP_1)
	v_add_f32_e32 v23, v23, v24
	v_add_f32_e32 v23, v30, v23
	s_delay_alu instid0(VALU_DEP_1) | instskip(NEXT) | instid1(VALU_DEP_1)
	v_cndmask_b32_e64 v23, v23, v25, s7
	v_add_f32_e32 v24, v22, v23
.LBB164_195:
	s_or_b32 exec_lo, exec_lo, s12
	s_delay_alu instid0(VALU_DEP_1)
	v_mov_b32_e32 v23, v24
.LBB164_196:
	s_or_b32 exec_lo, exec_lo, s9
	v_add_nc_u32_e32 v22, -1, v6
	s_delay_alu instid0(VALU_DEP_1) | instskip(NEXT) | instid1(VALU_DEP_1)
	v_cmp_gt_i32_e64 s7, 0, v22
	v_cndmask_b32_e64 v6, v22, v6, s7
	s_delay_alu instid0(VALU_DEP_1) | instskip(SKIP_4) | instid1(VALU_DEP_2)
	v_lshlrev_b32_e32 v6, 2, v6
	ds_bpermute_b32 v6, v6, v23
	s_waitcnt lgkmcnt(0)
	v_max_f32_e32 v22, v6, v6
	v_cmp_u_f32_e64 s7, v6, v6
	v_min_f32_e32 v23, v22, v21
	v_max_f32_e32 v21, v22, v21
	s_delay_alu instid0(VALU_DEP_2) | instskip(NEXT) | instid1(VALU_DEP_2)
	v_cndmask_b32_e64 v22, v23, v6, s7
	v_cndmask_b32_e64 v23, v21, v6, s7
	s_delay_alu instid0(VALU_DEP_2) | instskip(NEXT) | instid1(VALU_DEP_2)
	v_cndmask_b32_e64 v21, v22, v5, s6
	v_cndmask_b32_e64 v5, v23, v5, s6
	s_delay_alu instid0(VALU_DEP_2) | instskip(NEXT) | instid1(VALU_DEP_2)
	v_cmp_class_f32_e64 s7, v21, 0x1f8
	v_cmp_neq_f32_e64 s6, v21, v5
	s_delay_alu instid0(VALU_DEP_1) | instskip(NEXT) | instid1(SALU_CYCLE_1)
	s_or_b32 s6, s6, s7
	s_and_saveexec_b32 s7, s6
	s_cbranch_execz .LBB164_198
; %bb.197:
	v_sub_f32_e32 v6, v21, v5
	s_delay_alu instid0(VALU_DEP_1) | instskip(SKIP_1) | instid1(VALU_DEP_2)
	v_mul_f32_e32 v21, 0x3fb8aa3b, v6
	v_cmp_ngt_f32_e64 s6, 0xc2ce8ed0, v6
	v_fma_f32 v22, 0x3fb8aa3b, v6, -v21
	v_rndne_f32_e32 v23, v21
	s_delay_alu instid0(VALU_DEP_1) | instskip(NEXT) | instid1(VALU_DEP_1)
	v_dual_fmamk_f32 v22, v6, 0x32a5705f, v22 :: v_dual_sub_f32 v21, v21, v23
	v_add_f32_e32 v21, v21, v22
	v_cvt_i32_f32_e32 v22, v23
	s_delay_alu instid0(VALU_DEP_2) | instskip(SKIP_2) | instid1(VALU_DEP_1)
	v_exp_f32_e32 v21, v21
	s_waitcnt_depctr 0xfff
	v_ldexp_f32 v21, v21, v22
	v_cndmask_b32_e64 v21, 0, v21, s6
	v_cmp_nlt_f32_e64 s6, 0x42b17218, v6
	s_delay_alu instid0(VALU_DEP_1) | instskip(NEXT) | instid1(VALU_DEP_1)
	v_cndmask_b32_e64 v6, 0x7f800000, v21, s6
	v_add_f32_e32 v23, 1.0, v6
	v_cmp_gt_f32_e64 s9, 0x33800000, |v6|
	s_delay_alu instid0(VALU_DEP_2) | instskip(NEXT) | instid1(VALU_DEP_1)
	v_cvt_f64_f32_e32 v[21:22], v23
	v_frexp_exp_i32_f64_e32 v21, v[21:22]
	v_frexp_mant_f32_e32 v22, v23
	s_delay_alu instid0(VALU_DEP_1) | instskip(SKIP_1) | instid1(VALU_DEP_1)
	v_cmp_gt_f32_e64 s6, 0x3f2aaaab, v22
	v_add_f32_e32 v22, -1.0, v23
	v_sub_f32_e32 v25, v22, v23
	s_delay_alu instid0(VALU_DEP_1) | instskip(NEXT) | instid1(VALU_DEP_1)
	v_dual_sub_f32 v22, v6, v22 :: v_dual_add_f32 v25, 1.0, v25
	v_add_f32_e32 v22, v22, v25
	v_subrev_co_ci_u32_e64 v21, s6, 0, v21, s6
	s_mov_b32 s6, 0x3e9b6dac
	s_delay_alu instid0(VALU_DEP_1) | instskip(SKIP_1) | instid1(VALU_DEP_2)
	v_sub_nc_u32_e32 v24, 0, v21
	v_cvt_f32_i32_e32 v21, v21
	v_ldexp_f32 v23, v23, v24
	v_ldexp_f32 v22, v22, v24
	s_delay_alu instid0(VALU_DEP_2) | instskip(NEXT) | instid1(VALU_DEP_1)
	v_add_f32_e32 v26, 1.0, v23
	v_dual_add_f32 v24, -1.0, v23 :: v_dual_add_f32 v25, -1.0, v26
	s_delay_alu instid0(VALU_DEP_1) | instskip(NEXT) | instid1(VALU_DEP_2)
	v_add_f32_e32 v27, 1.0, v24
	v_sub_f32_e32 v25, v23, v25
	s_delay_alu instid0(VALU_DEP_2) | instskip(NEXT) | instid1(VALU_DEP_2)
	v_sub_f32_e32 v23, v23, v27
	v_add_f32_e32 v25, v22, v25
	s_delay_alu instid0(VALU_DEP_2) | instskip(NEXT) | instid1(VALU_DEP_1)
	v_add_f32_e32 v22, v22, v23
	v_dual_add_f32 v28, v24, v22 :: v_dual_add_f32 v27, v26, v25
	s_delay_alu instid0(VALU_DEP_1) | instskip(NEXT) | instid1(VALU_DEP_2)
	v_sub_f32_e32 v24, v24, v28
	v_rcp_f32_e32 v23, v27
	v_sub_f32_e32 v26, v26, v27
	s_delay_alu instid0(VALU_DEP_1) | instskip(SKIP_2) | instid1(VALU_DEP_1)
	v_dual_add_f32 v22, v22, v24 :: v_dual_add_f32 v25, v25, v26
	s_waitcnt_depctr 0xfff
	v_mul_f32_e32 v29, v28, v23
	v_mul_f32_e32 v30, v27, v29
	s_delay_alu instid0(VALU_DEP_1) | instskip(NEXT) | instid1(VALU_DEP_1)
	v_fma_f32 v26, v29, v27, -v30
	v_fmac_f32_e32 v26, v29, v25
	s_delay_alu instid0(VALU_DEP_1) | instskip(NEXT) | instid1(VALU_DEP_1)
	v_add_f32_e32 v31, v30, v26
	v_sub_f32_e32 v32, v28, v31
	s_delay_alu instid0(VALU_DEP_1) | instskip(SKIP_1) | instid1(VALU_DEP_2)
	v_sub_f32_e32 v28, v28, v32
	v_sub_f32_e32 v24, v31, v30
	v_sub_f32_e32 v28, v28, v31
	s_delay_alu instid0(VALU_DEP_2) | instskip(NEXT) | instid1(VALU_DEP_2)
	v_sub_f32_e32 v24, v24, v26
	v_add_f32_e32 v22, v22, v28
	s_delay_alu instid0(VALU_DEP_1) | instskip(NEXT) | instid1(VALU_DEP_1)
	v_add_f32_e32 v22, v24, v22
	v_add_f32_e32 v24, v32, v22
	s_delay_alu instid0(VALU_DEP_1) | instskip(NEXT) | instid1(VALU_DEP_1)
	v_mul_f32_e32 v26, v23, v24
	v_dual_sub_f32 v31, v32, v24 :: v_dual_mul_f32 v28, v27, v26
	s_delay_alu instid0(VALU_DEP_1) | instskip(NEXT) | instid1(VALU_DEP_2)
	v_add_f32_e32 v22, v22, v31
	v_fma_f32 v27, v26, v27, -v28
	s_delay_alu instid0(VALU_DEP_1) | instskip(NEXT) | instid1(VALU_DEP_1)
	v_fmac_f32_e32 v27, v26, v25
	v_add_f32_e32 v25, v28, v27
	s_delay_alu instid0(VALU_DEP_1) | instskip(SKIP_1) | instid1(VALU_DEP_2)
	v_sub_f32_e32 v30, v24, v25
	v_sub_f32_e32 v28, v25, v28
	;; [unrolled: 1-line block ×3, first 2 shown]
	s_delay_alu instid0(VALU_DEP_1) | instskip(NEXT) | instid1(VALU_DEP_1)
	v_sub_f32_e32 v24, v24, v25
	v_dual_sub_f32 v25, v28, v27 :: v_dual_add_f32 v22, v22, v24
	v_add_f32_e32 v24, v29, v26
	s_delay_alu instid0(VALU_DEP_1) | instskip(NEXT) | instid1(VALU_DEP_1)
	v_dual_add_f32 v22, v25, v22 :: v_dual_sub_f32 v25, v24, v29
	v_add_f32_e32 v22, v30, v22
	s_delay_alu instid0(VALU_DEP_1) | instskip(NEXT) | instid1(VALU_DEP_1)
	v_dual_sub_f32 v25, v26, v25 :: v_dual_mul_f32 v22, v23, v22
	v_add_f32_e32 v22, v25, v22
	s_delay_alu instid0(VALU_DEP_1) | instskip(NEXT) | instid1(VALU_DEP_1)
	v_add_f32_e32 v23, v24, v22
	v_mul_f32_e32 v25, v23, v23
	s_delay_alu instid0(VALU_DEP_1) | instskip(SKIP_2) | instid1(VALU_DEP_3)
	v_fmaak_f32 v26, s6, v25, 0x3ecc95a3
	v_mul_f32_e32 v27, v23, v25
	v_cmp_eq_f32_e64 s6, 0x7f800000, v6
	v_fmaak_f32 v25, v25, v26, 0x3f2aaada
	v_ldexp_f32 v26, v23, 1
	v_sub_f32_e32 v23, v23, v24
	s_delay_alu instid0(VALU_DEP_4) | instskip(NEXT) | instid1(VALU_DEP_3)
	s_or_b32 s6, s6, s9
	v_mul_f32_e32 v25, v27, v25
	s_delay_alu instid0(VALU_DEP_2) | instskip(NEXT) | instid1(VALU_DEP_2)
	v_dual_mul_f32 v27, 0x3f317218, v21 :: v_dual_sub_f32 v22, v22, v23
	v_add_f32_e32 v24, v26, v25
	s_delay_alu instid0(VALU_DEP_2) | instskip(NEXT) | instid1(VALU_DEP_2)
	v_ldexp_f32 v22, v22, 1
	v_sub_f32_e32 v23, v24, v26
	s_delay_alu instid0(VALU_DEP_4) | instskip(NEXT) | instid1(VALU_DEP_2)
	v_fma_f32 v26, 0x3f317218, v21, -v27
	v_sub_f32_e32 v23, v25, v23
	s_delay_alu instid0(VALU_DEP_1) | instskip(NEXT) | instid1(VALU_DEP_1)
	v_dual_fmamk_f32 v21, v21, 0xb102e308, v26 :: v_dual_add_f32 v22, v22, v23
	v_add_f32_e32 v23, v27, v21
	s_delay_alu instid0(VALU_DEP_1) | instskip(NEXT) | instid1(VALU_DEP_1)
	v_sub_f32_e32 v27, v23, v27
	v_sub_f32_e32 v21, v21, v27
	s_delay_alu instid0(VALU_DEP_4) | instskip(NEXT) | instid1(VALU_DEP_1)
	v_add_f32_e32 v25, v24, v22
	v_sub_f32_e32 v24, v25, v24
	s_delay_alu instid0(VALU_DEP_1) | instskip(SKIP_1) | instid1(VALU_DEP_1)
	v_sub_f32_e32 v22, v22, v24
	v_add_f32_e32 v26, v23, v25
	v_sub_f32_e32 v28, v26, v23
	s_delay_alu instid0(VALU_DEP_1) | instskip(NEXT) | instid1(VALU_DEP_4)
	v_sub_f32_e32 v24, v25, v28
	v_add_f32_e32 v25, v21, v22
	v_sub_f32_e32 v29, v26, v28
	s_delay_alu instid0(VALU_DEP_1) | instskip(NEXT) | instid1(VALU_DEP_1)
	v_sub_f32_e32 v23, v23, v29
	v_dual_add_f32 v23, v24, v23 :: v_dual_sub_f32 v24, v25, v21
	s_delay_alu instid0(VALU_DEP_1) | instskip(SKIP_1) | instid1(VALU_DEP_2)
	v_dual_add_f32 v23, v25, v23 :: v_dual_sub_f32 v22, v22, v24
	v_sub_f32_e32 v25, v25, v24
	v_add_f32_e32 v27, v26, v23
	s_delay_alu instid0(VALU_DEP_1) | instskip(NEXT) | instid1(VALU_DEP_1)
	v_dual_sub_f32 v21, v21, v25 :: v_dual_sub_f32 v24, v27, v26
	v_dual_add_f32 v21, v22, v21 :: v_dual_sub_f32 v22, v23, v24
	s_delay_alu instid0(VALU_DEP_1) | instskip(NEXT) | instid1(VALU_DEP_1)
	v_add_f32_e32 v21, v21, v22
	v_add_f32_e32 v21, v27, v21
	s_delay_alu instid0(VALU_DEP_1) | instskip(NEXT) | instid1(VALU_DEP_1)
	v_cndmask_b32_e64 v6, v21, v6, s6
	v_add_f32_e32 v6, v5, v6
.LBB164_198:
	s_or_b32 exec_lo, exec_lo, s7
	s_delay_alu instid0(VALU_DEP_1)
	v_cndmask_b32_e64 v5, v6, v4, s3
	; wave barrier
	ds_store_b32 v20, v5
	; wave barrier
	ds_load_b32 v6, v20 offset:4
	v_max_f32_e32 v21, v5, v5
	v_cmp_u_f32_e64 s3, v5, v5
	s_waitcnt lgkmcnt(0)
	v_max_f32_e32 v22, v6, v6
	s_delay_alu instid0(VALU_DEP_1) | instskip(SKIP_1) | instid1(VALU_DEP_2)
	v_min_f32_e32 v23, v21, v22
	v_max_f32_e32 v21, v21, v22
	v_cndmask_b32_e64 v22, v23, v5, s3
	s_delay_alu instid0(VALU_DEP_2) | instskip(SKIP_1) | instid1(VALU_DEP_1)
	v_cndmask_b32_e64 v23, v21, v5, s3
	v_cmp_u_f32_e64 s3, v6, v6
	v_cndmask_b32_e64 v21, v22, v6, s3
	s_delay_alu instid0(VALU_DEP_3) | instskip(NEXT) | instid1(VALU_DEP_2)
	v_cndmask_b32_e64 v6, v23, v6, s3
	v_cmp_class_f32_e64 s6, v21, 0x1f8
	s_delay_alu instid0(VALU_DEP_2) | instskip(NEXT) | instid1(VALU_DEP_1)
	v_cmp_neq_f32_e64 s3, v21, v6
	s_or_b32 s3, s3, s6
	s_delay_alu instid0(SALU_CYCLE_1)
	s_and_saveexec_b32 s6, s3
	s_cbranch_execz .LBB164_200
; %bb.199:
	v_sub_f32_e32 v5, v21, v6
	s_delay_alu instid0(VALU_DEP_1) | instskip(SKIP_1) | instid1(VALU_DEP_2)
	v_mul_f32_e32 v21, 0x3fb8aa3b, v5
	v_cmp_ngt_f32_e64 s3, 0xc2ce8ed0, v5
	v_fma_f32 v22, 0x3fb8aa3b, v5, -v21
	v_rndne_f32_e32 v23, v21
	s_delay_alu instid0(VALU_DEP_2) | instskip(NEXT) | instid1(VALU_DEP_2)
	v_fmamk_f32 v22, v5, 0x32a5705f, v22
	v_sub_f32_e32 v21, v21, v23
	s_delay_alu instid0(VALU_DEP_1) | instskip(SKIP_1) | instid1(VALU_DEP_2)
	v_add_f32_e32 v21, v21, v22
	v_cvt_i32_f32_e32 v22, v23
	v_exp_f32_e32 v21, v21
	s_waitcnt_depctr 0xfff
	v_ldexp_f32 v21, v21, v22
	s_delay_alu instid0(VALU_DEP_1) | instskip(SKIP_1) | instid1(VALU_DEP_1)
	v_cndmask_b32_e64 v21, 0, v21, s3
	v_cmp_nlt_f32_e64 s3, 0x42b17218, v5
	v_cndmask_b32_e64 v5, 0x7f800000, v21, s3
	s_delay_alu instid0(VALU_DEP_1) | instskip(SKIP_1) | instid1(VALU_DEP_2)
	v_add_f32_e32 v23, 1.0, v5
	v_cmp_gt_f32_e64 s7, 0x33800000, |v5|
	v_cvt_f64_f32_e32 v[21:22], v23
	s_delay_alu instid0(VALU_DEP_1) | instskip(SKIP_1) | instid1(VALU_DEP_1)
	v_frexp_exp_i32_f64_e32 v21, v[21:22]
	v_frexp_mant_f32_e32 v22, v23
	v_cmp_gt_f32_e64 s3, 0x3f2aaaab, v22
	v_add_f32_e32 v22, -1.0, v23
	s_delay_alu instid0(VALU_DEP_1) | instskip(NEXT) | instid1(VALU_DEP_3)
	v_dual_sub_f32 v25, v22, v23 :: v_dual_sub_f32 v22, v5, v22
	v_subrev_co_ci_u32_e64 v21, s3, 0, v21, s3
	s_mov_b32 s3, 0x3e9b6dac
	s_delay_alu instid0(VALU_DEP_1) | instskip(SKIP_1) | instid1(VALU_DEP_2)
	v_sub_nc_u32_e32 v24, 0, v21
	v_cvt_f32_i32_e32 v21, v21
	v_ldexp_f32 v23, v23, v24
	s_delay_alu instid0(VALU_DEP_1) | instskip(NEXT) | instid1(VALU_DEP_1)
	v_dual_add_f32 v25, 1.0, v25 :: v_dual_add_f32 v26, 1.0, v23
	v_add_f32_e32 v22, v22, v25
	s_delay_alu instid0(VALU_DEP_1) | instskip(NEXT) | instid1(VALU_DEP_3)
	v_ldexp_f32 v22, v22, v24
	v_dual_add_f32 v24, -1.0, v23 :: v_dual_add_f32 v25, -1.0, v26
	s_delay_alu instid0(VALU_DEP_1) | instskip(NEXT) | instid1(VALU_DEP_2)
	v_add_f32_e32 v27, 1.0, v24
	v_sub_f32_e32 v25, v23, v25
	s_delay_alu instid0(VALU_DEP_2) | instskip(NEXT) | instid1(VALU_DEP_2)
	v_sub_f32_e32 v23, v23, v27
	v_add_f32_e32 v25, v22, v25
	s_delay_alu instid0(VALU_DEP_2) | instskip(NEXT) | instid1(VALU_DEP_1)
	v_add_f32_e32 v22, v22, v23
	v_dual_add_f32 v28, v24, v22 :: v_dual_add_f32 v27, v26, v25
	s_delay_alu instid0(VALU_DEP_1) | instskip(NEXT) | instid1(VALU_DEP_2)
	v_sub_f32_e32 v24, v24, v28
	v_rcp_f32_e32 v23, v27
	v_sub_f32_e32 v26, v26, v27
	s_delay_alu instid0(VALU_DEP_1) | instskip(SKIP_2) | instid1(VALU_DEP_1)
	v_dual_add_f32 v22, v22, v24 :: v_dual_add_f32 v25, v25, v26
	s_waitcnt_depctr 0xfff
	v_mul_f32_e32 v29, v28, v23
	v_mul_f32_e32 v30, v27, v29
	s_delay_alu instid0(VALU_DEP_1) | instskip(NEXT) | instid1(VALU_DEP_1)
	v_fma_f32 v26, v29, v27, -v30
	v_fmac_f32_e32 v26, v29, v25
	s_delay_alu instid0(VALU_DEP_1) | instskip(NEXT) | instid1(VALU_DEP_1)
	v_add_f32_e32 v31, v30, v26
	v_sub_f32_e32 v32, v28, v31
	v_sub_f32_e32 v24, v31, v30
	s_delay_alu instid0(VALU_DEP_2) | instskip(NEXT) | instid1(VALU_DEP_2)
	v_sub_f32_e32 v28, v28, v32
	v_sub_f32_e32 v24, v24, v26
	s_delay_alu instid0(VALU_DEP_2) | instskip(NEXT) | instid1(VALU_DEP_1)
	v_sub_f32_e32 v28, v28, v31
	v_add_f32_e32 v22, v22, v28
	s_delay_alu instid0(VALU_DEP_1) | instskip(NEXT) | instid1(VALU_DEP_1)
	v_add_f32_e32 v22, v24, v22
	v_add_f32_e32 v24, v32, v22
	s_delay_alu instid0(VALU_DEP_1) | instskip(NEXT) | instid1(VALU_DEP_1)
	v_mul_f32_e32 v26, v23, v24
	v_dual_sub_f32 v31, v32, v24 :: v_dual_mul_f32 v28, v27, v26
	s_delay_alu instid0(VALU_DEP_1) | instskip(NEXT) | instid1(VALU_DEP_2)
	v_add_f32_e32 v22, v22, v31
	v_fma_f32 v27, v26, v27, -v28
	s_delay_alu instid0(VALU_DEP_1) | instskip(NEXT) | instid1(VALU_DEP_1)
	v_fmac_f32_e32 v27, v26, v25
	v_add_f32_e32 v25, v28, v27
	s_delay_alu instid0(VALU_DEP_1) | instskip(NEXT) | instid1(VALU_DEP_1)
	v_sub_f32_e32 v30, v24, v25
	v_sub_f32_e32 v24, v24, v30
	s_delay_alu instid0(VALU_DEP_1) | instskip(NEXT) | instid1(VALU_DEP_1)
	v_sub_f32_e32 v24, v24, v25
	v_add_f32_e32 v22, v22, v24
	v_add_f32_e32 v24, v29, v26
	v_sub_f32_e32 v28, v25, v28
	s_delay_alu instid0(VALU_DEP_1) | instskip(NEXT) | instid1(VALU_DEP_1)
	v_sub_f32_e32 v25, v28, v27
	v_dual_add_f32 v22, v25, v22 :: v_dual_sub_f32 v25, v24, v29
	s_delay_alu instid0(VALU_DEP_1) | instskip(NEXT) | instid1(VALU_DEP_1)
	v_add_f32_e32 v22, v30, v22
	v_dual_sub_f32 v25, v26, v25 :: v_dual_mul_f32 v22, v23, v22
	s_delay_alu instid0(VALU_DEP_1) | instskip(NEXT) | instid1(VALU_DEP_1)
	v_add_f32_e32 v22, v25, v22
	v_add_f32_e32 v23, v24, v22
	s_delay_alu instid0(VALU_DEP_1) | instskip(NEXT) | instid1(VALU_DEP_1)
	v_mul_f32_e32 v25, v23, v23
	v_fmaak_f32 v26, s3, v25, 0x3ecc95a3
	v_mul_f32_e32 v27, v23, v25
	v_cmp_eq_f32_e64 s3, 0x7f800000, v5
	s_delay_alu instid0(VALU_DEP_3) | instskip(SKIP_2) | instid1(VALU_DEP_4)
	v_fmaak_f32 v25, v25, v26, 0x3f2aaada
	v_ldexp_f32 v26, v23, 1
	v_sub_f32_e32 v23, v23, v24
	s_or_b32 s3, s3, s7
	s_delay_alu instid0(VALU_DEP_3) | instskip(NEXT) | instid1(VALU_DEP_2)
	v_mul_f32_e32 v25, v27, v25
	v_dual_mul_f32 v27, 0x3f317218, v21 :: v_dual_sub_f32 v22, v22, v23
	s_delay_alu instid0(VALU_DEP_2) | instskip(NEXT) | instid1(VALU_DEP_2)
	v_add_f32_e32 v24, v26, v25
	v_ldexp_f32 v22, v22, 1
	s_delay_alu instid0(VALU_DEP_2) | instskip(NEXT) | instid1(VALU_DEP_4)
	v_sub_f32_e32 v23, v24, v26
	v_fma_f32 v26, 0x3f317218, v21, -v27
	s_delay_alu instid0(VALU_DEP_2) | instskip(NEXT) | instid1(VALU_DEP_1)
	v_sub_f32_e32 v23, v25, v23
	v_dual_fmamk_f32 v21, v21, 0xb102e308, v26 :: v_dual_add_f32 v22, v22, v23
	s_delay_alu instid0(VALU_DEP_1) | instskip(NEXT) | instid1(VALU_DEP_1)
	v_add_f32_e32 v23, v27, v21
	v_sub_f32_e32 v27, v23, v27
	s_delay_alu instid0(VALU_DEP_1) | instskip(NEXT) | instid1(VALU_DEP_4)
	v_sub_f32_e32 v21, v21, v27
	v_add_f32_e32 v25, v24, v22
	s_delay_alu instid0(VALU_DEP_1) | instskip(NEXT) | instid1(VALU_DEP_1)
	v_sub_f32_e32 v24, v25, v24
	v_sub_f32_e32 v22, v22, v24
	v_add_f32_e32 v26, v23, v25
	s_delay_alu instid0(VALU_DEP_1) | instskip(NEXT) | instid1(VALU_DEP_1)
	v_sub_f32_e32 v28, v26, v23
	v_sub_f32_e32 v24, v25, v28
	s_delay_alu instid0(VALU_DEP_4) | instskip(SKIP_1) | instid1(VALU_DEP_1)
	v_add_f32_e32 v25, v21, v22
	v_sub_f32_e32 v29, v26, v28
	v_sub_f32_e32 v23, v23, v29
	s_delay_alu instid0(VALU_DEP_1) | instskip(NEXT) | instid1(VALU_DEP_1)
	v_dual_add_f32 v23, v24, v23 :: v_dual_sub_f32 v24, v25, v21
	v_dual_add_f32 v23, v25, v23 :: v_dual_sub_f32 v22, v22, v24
	v_sub_f32_e32 v25, v25, v24
	s_delay_alu instid0(VALU_DEP_2) | instskip(NEXT) | instid1(VALU_DEP_1)
	v_add_f32_e32 v27, v26, v23
	v_dual_sub_f32 v21, v21, v25 :: v_dual_sub_f32 v24, v27, v26
	s_delay_alu instid0(VALU_DEP_1) | instskip(NEXT) | instid1(VALU_DEP_1)
	v_dual_add_f32 v21, v22, v21 :: v_dual_sub_f32 v22, v23, v24
	v_add_f32_e32 v21, v21, v22
	s_delay_alu instid0(VALU_DEP_1) | instskip(NEXT) | instid1(VALU_DEP_1)
	v_add_f32_e32 v21, v27, v21
	v_cndmask_b32_e64 v5, v21, v5, s3
	s_delay_alu instid0(VALU_DEP_1)
	v_add_f32_e32 v5, v6, v5
.LBB164_200:
	s_or_b32 exec_lo, exec_lo, s6
	ds_load_b32 v6, v20 offset:8
	v_max_f32_e32 v21, v5, v5
	v_cmp_u_f32_e64 s3, v5, v5
	ds_store_b32 v20, v5 offset:4
	s_waitcnt lgkmcnt(1)
	v_max_f32_e32 v22, v6, v6
	s_delay_alu instid0(VALU_DEP_1) | instskip(SKIP_1) | instid1(VALU_DEP_2)
	v_min_f32_e32 v23, v21, v22
	v_max_f32_e32 v21, v21, v22
	v_cndmask_b32_e64 v22, v23, v5, s3
	s_delay_alu instid0(VALU_DEP_2) | instskip(SKIP_1) | instid1(VALU_DEP_1)
	v_cndmask_b32_e64 v23, v21, v5, s3
	v_cmp_u_f32_e64 s3, v6, v6
	v_cndmask_b32_e64 v21, v22, v6, s3
	s_delay_alu instid0(VALU_DEP_3) | instskip(NEXT) | instid1(VALU_DEP_2)
	v_cndmask_b32_e64 v6, v23, v6, s3
	v_cmp_class_f32_e64 s6, v21, 0x1f8
	s_delay_alu instid0(VALU_DEP_2) | instskip(NEXT) | instid1(VALU_DEP_1)
	v_cmp_neq_f32_e64 s3, v21, v6
	s_or_b32 s3, s3, s6
	s_delay_alu instid0(SALU_CYCLE_1)
	s_and_saveexec_b32 s6, s3
	s_cbranch_execz .LBB164_202
; %bb.201:
	v_sub_f32_e32 v5, v21, v6
	s_delay_alu instid0(VALU_DEP_1) | instskip(SKIP_1) | instid1(VALU_DEP_2)
	v_mul_f32_e32 v21, 0x3fb8aa3b, v5
	v_cmp_ngt_f32_e64 s3, 0xc2ce8ed0, v5
	v_fma_f32 v22, 0x3fb8aa3b, v5, -v21
	v_rndne_f32_e32 v23, v21
	s_delay_alu instid0(VALU_DEP_2) | instskip(NEXT) | instid1(VALU_DEP_2)
	v_fmamk_f32 v22, v5, 0x32a5705f, v22
	v_sub_f32_e32 v21, v21, v23
	s_delay_alu instid0(VALU_DEP_1) | instskip(SKIP_1) | instid1(VALU_DEP_2)
	v_add_f32_e32 v21, v21, v22
	v_cvt_i32_f32_e32 v22, v23
	v_exp_f32_e32 v21, v21
	s_waitcnt_depctr 0xfff
	v_ldexp_f32 v21, v21, v22
	s_delay_alu instid0(VALU_DEP_1) | instskip(SKIP_1) | instid1(VALU_DEP_1)
	v_cndmask_b32_e64 v21, 0, v21, s3
	v_cmp_nlt_f32_e64 s3, 0x42b17218, v5
	v_cndmask_b32_e64 v5, 0x7f800000, v21, s3
	s_delay_alu instid0(VALU_DEP_1) | instskip(SKIP_1) | instid1(VALU_DEP_2)
	v_add_f32_e32 v23, 1.0, v5
	v_cmp_gt_f32_e64 s7, 0x33800000, |v5|
	v_cvt_f64_f32_e32 v[21:22], v23
	s_delay_alu instid0(VALU_DEP_1) | instskip(SKIP_1) | instid1(VALU_DEP_1)
	v_frexp_exp_i32_f64_e32 v21, v[21:22]
	v_frexp_mant_f32_e32 v22, v23
	v_cmp_gt_f32_e64 s3, 0x3f2aaaab, v22
	v_add_f32_e32 v22, -1.0, v23
	s_delay_alu instid0(VALU_DEP_1) | instskip(NEXT) | instid1(VALU_DEP_3)
	v_dual_sub_f32 v25, v22, v23 :: v_dual_sub_f32 v22, v5, v22
	v_subrev_co_ci_u32_e64 v21, s3, 0, v21, s3
	s_mov_b32 s3, 0x3e9b6dac
	s_delay_alu instid0(VALU_DEP_1) | instskip(SKIP_1) | instid1(VALU_DEP_2)
	v_sub_nc_u32_e32 v24, 0, v21
	v_cvt_f32_i32_e32 v21, v21
	v_ldexp_f32 v23, v23, v24
	s_delay_alu instid0(VALU_DEP_1) | instskip(NEXT) | instid1(VALU_DEP_1)
	v_dual_add_f32 v25, 1.0, v25 :: v_dual_add_f32 v26, 1.0, v23
	v_add_f32_e32 v22, v22, v25
	s_delay_alu instid0(VALU_DEP_1) | instskip(NEXT) | instid1(VALU_DEP_3)
	v_ldexp_f32 v22, v22, v24
	v_dual_add_f32 v24, -1.0, v23 :: v_dual_add_f32 v25, -1.0, v26
	s_delay_alu instid0(VALU_DEP_1) | instskip(NEXT) | instid1(VALU_DEP_2)
	v_add_f32_e32 v27, 1.0, v24
	v_sub_f32_e32 v25, v23, v25
	s_delay_alu instid0(VALU_DEP_2) | instskip(NEXT) | instid1(VALU_DEP_2)
	v_sub_f32_e32 v23, v23, v27
	v_add_f32_e32 v25, v22, v25
	s_delay_alu instid0(VALU_DEP_2) | instskip(NEXT) | instid1(VALU_DEP_1)
	v_add_f32_e32 v22, v22, v23
	v_dual_add_f32 v28, v24, v22 :: v_dual_add_f32 v27, v26, v25
	s_delay_alu instid0(VALU_DEP_1) | instskip(NEXT) | instid1(VALU_DEP_2)
	v_sub_f32_e32 v24, v24, v28
	v_rcp_f32_e32 v23, v27
	v_sub_f32_e32 v26, v26, v27
	s_delay_alu instid0(VALU_DEP_1) | instskip(SKIP_2) | instid1(VALU_DEP_1)
	v_dual_add_f32 v22, v22, v24 :: v_dual_add_f32 v25, v25, v26
	s_waitcnt_depctr 0xfff
	v_mul_f32_e32 v29, v28, v23
	v_mul_f32_e32 v30, v27, v29
	s_delay_alu instid0(VALU_DEP_1) | instskip(NEXT) | instid1(VALU_DEP_1)
	v_fma_f32 v26, v29, v27, -v30
	v_fmac_f32_e32 v26, v29, v25
	s_delay_alu instid0(VALU_DEP_1) | instskip(NEXT) | instid1(VALU_DEP_1)
	v_add_f32_e32 v31, v30, v26
	v_sub_f32_e32 v32, v28, v31
	v_sub_f32_e32 v24, v31, v30
	s_delay_alu instid0(VALU_DEP_2) | instskip(NEXT) | instid1(VALU_DEP_2)
	v_sub_f32_e32 v28, v28, v32
	v_sub_f32_e32 v24, v24, v26
	s_delay_alu instid0(VALU_DEP_2) | instskip(NEXT) | instid1(VALU_DEP_1)
	v_sub_f32_e32 v28, v28, v31
	v_add_f32_e32 v22, v22, v28
	s_delay_alu instid0(VALU_DEP_1) | instskip(NEXT) | instid1(VALU_DEP_1)
	v_add_f32_e32 v22, v24, v22
	v_add_f32_e32 v24, v32, v22
	s_delay_alu instid0(VALU_DEP_1) | instskip(NEXT) | instid1(VALU_DEP_1)
	v_mul_f32_e32 v26, v23, v24
	v_dual_sub_f32 v31, v32, v24 :: v_dual_mul_f32 v28, v27, v26
	s_delay_alu instid0(VALU_DEP_1) | instskip(NEXT) | instid1(VALU_DEP_2)
	v_add_f32_e32 v22, v22, v31
	v_fma_f32 v27, v26, v27, -v28
	s_delay_alu instid0(VALU_DEP_1) | instskip(NEXT) | instid1(VALU_DEP_1)
	v_fmac_f32_e32 v27, v26, v25
	v_add_f32_e32 v25, v28, v27
	s_delay_alu instid0(VALU_DEP_1) | instskip(NEXT) | instid1(VALU_DEP_1)
	v_sub_f32_e32 v30, v24, v25
	v_sub_f32_e32 v24, v24, v30
	s_delay_alu instid0(VALU_DEP_1) | instskip(NEXT) | instid1(VALU_DEP_1)
	v_sub_f32_e32 v24, v24, v25
	v_add_f32_e32 v22, v22, v24
	v_add_f32_e32 v24, v29, v26
	v_sub_f32_e32 v28, v25, v28
	s_delay_alu instid0(VALU_DEP_1) | instskip(NEXT) | instid1(VALU_DEP_1)
	v_sub_f32_e32 v25, v28, v27
	v_dual_add_f32 v22, v25, v22 :: v_dual_sub_f32 v25, v24, v29
	s_delay_alu instid0(VALU_DEP_1) | instskip(NEXT) | instid1(VALU_DEP_1)
	v_add_f32_e32 v22, v30, v22
	v_dual_sub_f32 v25, v26, v25 :: v_dual_mul_f32 v22, v23, v22
	s_delay_alu instid0(VALU_DEP_1) | instskip(NEXT) | instid1(VALU_DEP_1)
	v_add_f32_e32 v22, v25, v22
	v_add_f32_e32 v23, v24, v22
	s_delay_alu instid0(VALU_DEP_1) | instskip(NEXT) | instid1(VALU_DEP_1)
	v_mul_f32_e32 v25, v23, v23
	v_fmaak_f32 v26, s3, v25, 0x3ecc95a3
	v_mul_f32_e32 v27, v23, v25
	v_cmp_eq_f32_e64 s3, 0x7f800000, v5
	s_delay_alu instid0(VALU_DEP_3) | instskip(SKIP_2) | instid1(VALU_DEP_4)
	v_fmaak_f32 v25, v25, v26, 0x3f2aaada
	v_ldexp_f32 v26, v23, 1
	v_sub_f32_e32 v23, v23, v24
	s_or_b32 s3, s3, s7
	s_delay_alu instid0(VALU_DEP_3) | instskip(NEXT) | instid1(VALU_DEP_2)
	v_mul_f32_e32 v25, v27, v25
	v_dual_mul_f32 v27, 0x3f317218, v21 :: v_dual_sub_f32 v22, v22, v23
	s_delay_alu instid0(VALU_DEP_2) | instskip(NEXT) | instid1(VALU_DEP_2)
	v_add_f32_e32 v24, v26, v25
	v_ldexp_f32 v22, v22, 1
	s_delay_alu instid0(VALU_DEP_2) | instskip(NEXT) | instid1(VALU_DEP_4)
	v_sub_f32_e32 v23, v24, v26
	v_fma_f32 v26, 0x3f317218, v21, -v27
	s_delay_alu instid0(VALU_DEP_2) | instskip(NEXT) | instid1(VALU_DEP_1)
	v_sub_f32_e32 v23, v25, v23
	v_dual_fmamk_f32 v21, v21, 0xb102e308, v26 :: v_dual_add_f32 v22, v22, v23
	s_delay_alu instid0(VALU_DEP_1) | instskip(NEXT) | instid1(VALU_DEP_1)
	v_add_f32_e32 v23, v27, v21
	v_sub_f32_e32 v27, v23, v27
	s_delay_alu instid0(VALU_DEP_1) | instskip(NEXT) | instid1(VALU_DEP_4)
	v_sub_f32_e32 v21, v21, v27
	v_add_f32_e32 v25, v24, v22
	s_delay_alu instid0(VALU_DEP_1) | instskip(NEXT) | instid1(VALU_DEP_1)
	v_sub_f32_e32 v24, v25, v24
	v_sub_f32_e32 v22, v22, v24
	v_add_f32_e32 v26, v23, v25
	s_delay_alu instid0(VALU_DEP_1) | instskip(NEXT) | instid1(VALU_DEP_1)
	v_sub_f32_e32 v28, v26, v23
	v_sub_f32_e32 v24, v25, v28
	s_delay_alu instid0(VALU_DEP_4) | instskip(SKIP_1) | instid1(VALU_DEP_1)
	v_add_f32_e32 v25, v21, v22
	v_sub_f32_e32 v29, v26, v28
	v_sub_f32_e32 v23, v23, v29
	s_delay_alu instid0(VALU_DEP_1) | instskip(NEXT) | instid1(VALU_DEP_1)
	v_dual_add_f32 v23, v24, v23 :: v_dual_sub_f32 v24, v25, v21
	v_dual_add_f32 v23, v25, v23 :: v_dual_sub_f32 v22, v22, v24
	v_sub_f32_e32 v25, v25, v24
	s_delay_alu instid0(VALU_DEP_2) | instskip(NEXT) | instid1(VALU_DEP_1)
	v_add_f32_e32 v27, v26, v23
	v_dual_sub_f32 v21, v21, v25 :: v_dual_sub_f32 v24, v27, v26
	s_delay_alu instid0(VALU_DEP_1) | instskip(NEXT) | instid1(VALU_DEP_1)
	v_dual_add_f32 v21, v22, v21 :: v_dual_sub_f32 v22, v23, v24
	v_add_f32_e32 v21, v21, v22
	s_delay_alu instid0(VALU_DEP_1) | instskip(NEXT) | instid1(VALU_DEP_1)
	v_add_f32_e32 v21, v27, v21
	v_cndmask_b32_e64 v5, v21, v5, s3
	s_delay_alu instid0(VALU_DEP_1)
	v_add_f32_e32 v5, v6, v5
.LBB164_202:
	s_or_b32 exec_lo, exec_lo, s6
	ds_load_b32 v6, v20 offset:12
	v_max_f32_e32 v21, v5, v5
	v_cmp_u_f32_e64 s3, v5, v5
	ds_store_b32 v20, v5 offset:8
	s_waitcnt lgkmcnt(1)
	v_max_f32_e32 v22, v6, v6
	s_delay_alu instid0(VALU_DEP_1) | instskip(SKIP_1) | instid1(VALU_DEP_2)
	v_min_f32_e32 v23, v21, v22
	v_max_f32_e32 v21, v21, v22
	v_cndmask_b32_e64 v22, v23, v5, s3
	s_delay_alu instid0(VALU_DEP_2) | instskip(SKIP_1) | instid1(VALU_DEP_1)
	v_cndmask_b32_e64 v23, v21, v5, s3
	v_cmp_u_f32_e64 s3, v6, v6
	v_cndmask_b32_e64 v21, v22, v6, s3
	s_delay_alu instid0(VALU_DEP_3) | instskip(NEXT) | instid1(VALU_DEP_2)
	v_cndmask_b32_e64 v6, v23, v6, s3
	v_cmp_class_f32_e64 s6, v21, 0x1f8
	s_delay_alu instid0(VALU_DEP_2) | instskip(NEXT) | instid1(VALU_DEP_1)
	v_cmp_neq_f32_e64 s3, v21, v6
	s_or_b32 s3, s3, s6
	s_delay_alu instid0(SALU_CYCLE_1)
	s_and_saveexec_b32 s6, s3
	s_cbranch_execz .LBB164_204
; %bb.203:
	v_sub_f32_e32 v5, v21, v6
	s_delay_alu instid0(VALU_DEP_1) | instskip(SKIP_1) | instid1(VALU_DEP_2)
	v_mul_f32_e32 v21, 0x3fb8aa3b, v5
	v_cmp_ngt_f32_e64 s3, 0xc2ce8ed0, v5
	v_fma_f32 v22, 0x3fb8aa3b, v5, -v21
	v_rndne_f32_e32 v23, v21
	s_delay_alu instid0(VALU_DEP_2) | instskip(NEXT) | instid1(VALU_DEP_2)
	v_fmamk_f32 v22, v5, 0x32a5705f, v22
	v_sub_f32_e32 v21, v21, v23
	s_delay_alu instid0(VALU_DEP_1) | instskip(SKIP_1) | instid1(VALU_DEP_2)
	v_add_f32_e32 v21, v21, v22
	v_cvt_i32_f32_e32 v22, v23
	v_exp_f32_e32 v21, v21
	s_waitcnt_depctr 0xfff
	v_ldexp_f32 v21, v21, v22
	s_delay_alu instid0(VALU_DEP_1) | instskip(SKIP_1) | instid1(VALU_DEP_1)
	v_cndmask_b32_e64 v21, 0, v21, s3
	v_cmp_nlt_f32_e64 s3, 0x42b17218, v5
	v_cndmask_b32_e64 v5, 0x7f800000, v21, s3
	s_delay_alu instid0(VALU_DEP_1) | instskip(SKIP_1) | instid1(VALU_DEP_2)
	v_add_f32_e32 v23, 1.0, v5
	v_cmp_gt_f32_e64 s7, 0x33800000, |v5|
	v_cvt_f64_f32_e32 v[21:22], v23
	s_delay_alu instid0(VALU_DEP_1) | instskip(SKIP_1) | instid1(VALU_DEP_1)
	v_frexp_exp_i32_f64_e32 v21, v[21:22]
	v_frexp_mant_f32_e32 v22, v23
	v_cmp_gt_f32_e64 s3, 0x3f2aaaab, v22
	v_add_f32_e32 v22, -1.0, v23
	s_delay_alu instid0(VALU_DEP_1) | instskip(NEXT) | instid1(VALU_DEP_3)
	v_dual_sub_f32 v25, v22, v23 :: v_dual_sub_f32 v22, v5, v22
	v_subrev_co_ci_u32_e64 v21, s3, 0, v21, s3
	s_mov_b32 s3, 0x3e9b6dac
	s_delay_alu instid0(VALU_DEP_1) | instskip(SKIP_1) | instid1(VALU_DEP_2)
	v_sub_nc_u32_e32 v24, 0, v21
	v_cvt_f32_i32_e32 v21, v21
	v_ldexp_f32 v23, v23, v24
	s_delay_alu instid0(VALU_DEP_1) | instskip(NEXT) | instid1(VALU_DEP_1)
	v_dual_add_f32 v25, 1.0, v25 :: v_dual_add_f32 v26, 1.0, v23
	v_add_f32_e32 v22, v22, v25
	s_delay_alu instid0(VALU_DEP_1) | instskip(NEXT) | instid1(VALU_DEP_3)
	v_ldexp_f32 v22, v22, v24
	v_dual_add_f32 v24, -1.0, v23 :: v_dual_add_f32 v25, -1.0, v26
	s_delay_alu instid0(VALU_DEP_1) | instskip(NEXT) | instid1(VALU_DEP_2)
	v_add_f32_e32 v27, 1.0, v24
	v_sub_f32_e32 v25, v23, v25
	s_delay_alu instid0(VALU_DEP_2) | instskip(NEXT) | instid1(VALU_DEP_2)
	v_sub_f32_e32 v23, v23, v27
	v_add_f32_e32 v25, v22, v25
	s_delay_alu instid0(VALU_DEP_2) | instskip(NEXT) | instid1(VALU_DEP_1)
	v_add_f32_e32 v22, v22, v23
	v_dual_add_f32 v28, v24, v22 :: v_dual_add_f32 v27, v26, v25
	s_delay_alu instid0(VALU_DEP_1) | instskip(NEXT) | instid1(VALU_DEP_2)
	v_sub_f32_e32 v24, v24, v28
	v_rcp_f32_e32 v23, v27
	v_sub_f32_e32 v26, v26, v27
	s_delay_alu instid0(VALU_DEP_1) | instskip(SKIP_2) | instid1(VALU_DEP_1)
	v_dual_add_f32 v22, v22, v24 :: v_dual_add_f32 v25, v25, v26
	s_waitcnt_depctr 0xfff
	v_mul_f32_e32 v29, v28, v23
	v_mul_f32_e32 v30, v27, v29
	s_delay_alu instid0(VALU_DEP_1) | instskip(NEXT) | instid1(VALU_DEP_1)
	v_fma_f32 v26, v29, v27, -v30
	v_fmac_f32_e32 v26, v29, v25
	s_delay_alu instid0(VALU_DEP_1) | instskip(NEXT) | instid1(VALU_DEP_1)
	v_add_f32_e32 v31, v30, v26
	v_sub_f32_e32 v32, v28, v31
	v_sub_f32_e32 v24, v31, v30
	s_delay_alu instid0(VALU_DEP_2) | instskip(NEXT) | instid1(VALU_DEP_2)
	v_sub_f32_e32 v28, v28, v32
	v_sub_f32_e32 v24, v24, v26
	s_delay_alu instid0(VALU_DEP_2) | instskip(NEXT) | instid1(VALU_DEP_1)
	v_sub_f32_e32 v28, v28, v31
	v_add_f32_e32 v22, v22, v28
	s_delay_alu instid0(VALU_DEP_1) | instskip(NEXT) | instid1(VALU_DEP_1)
	v_add_f32_e32 v22, v24, v22
	v_add_f32_e32 v24, v32, v22
	s_delay_alu instid0(VALU_DEP_1) | instskip(NEXT) | instid1(VALU_DEP_1)
	v_mul_f32_e32 v26, v23, v24
	v_dual_sub_f32 v31, v32, v24 :: v_dual_mul_f32 v28, v27, v26
	s_delay_alu instid0(VALU_DEP_1) | instskip(NEXT) | instid1(VALU_DEP_2)
	v_add_f32_e32 v22, v22, v31
	v_fma_f32 v27, v26, v27, -v28
	s_delay_alu instid0(VALU_DEP_1) | instskip(NEXT) | instid1(VALU_DEP_1)
	v_fmac_f32_e32 v27, v26, v25
	v_add_f32_e32 v25, v28, v27
	s_delay_alu instid0(VALU_DEP_1) | instskip(NEXT) | instid1(VALU_DEP_1)
	v_sub_f32_e32 v30, v24, v25
	v_sub_f32_e32 v24, v24, v30
	s_delay_alu instid0(VALU_DEP_1) | instskip(NEXT) | instid1(VALU_DEP_1)
	v_sub_f32_e32 v24, v24, v25
	v_add_f32_e32 v22, v22, v24
	v_add_f32_e32 v24, v29, v26
	v_sub_f32_e32 v28, v25, v28
	s_delay_alu instid0(VALU_DEP_1) | instskip(NEXT) | instid1(VALU_DEP_1)
	v_sub_f32_e32 v25, v28, v27
	v_dual_add_f32 v22, v25, v22 :: v_dual_sub_f32 v25, v24, v29
	s_delay_alu instid0(VALU_DEP_1) | instskip(NEXT) | instid1(VALU_DEP_1)
	v_add_f32_e32 v22, v30, v22
	v_dual_sub_f32 v25, v26, v25 :: v_dual_mul_f32 v22, v23, v22
	s_delay_alu instid0(VALU_DEP_1) | instskip(NEXT) | instid1(VALU_DEP_1)
	v_add_f32_e32 v22, v25, v22
	v_add_f32_e32 v23, v24, v22
	s_delay_alu instid0(VALU_DEP_1) | instskip(NEXT) | instid1(VALU_DEP_1)
	v_mul_f32_e32 v25, v23, v23
	v_fmaak_f32 v26, s3, v25, 0x3ecc95a3
	v_mul_f32_e32 v27, v23, v25
	v_cmp_eq_f32_e64 s3, 0x7f800000, v5
	s_delay_alu instid0(VALU_DEP_3) | instskip(SKIP_2) | instid1(VALU_DEP_4)
	v_fmaak_f32 v25, v25, v26, 0x3f2aaada
	v_ldexp_f32 v26, v23, 1
	v_sub_f32_e32 v23, v23, v24
	s_or_b32 s3, s3, s7
	s_delay_alu instid0(VALU_DEP_3) | instskip(NEXT) | instid1(VALU_DEP_2)
	v_mul_f32_e32 v25, v27, v25
	v_dual_mul_f32 v27, 0x3f317218, v21 :: v_dual_sub_f32 v22, v22, v23
	s_delay_alu instid0(VALU_DEP_2) | instskip(NEXT) | instid1(VALU_DEP_2)
	v_add_f32_e32 v24, v26, v25
	v_ldexp_f32 v22, v22, 1
	s_delay_alu instid0(VALU_DEP_2) | instskip(NEXT) | instid1(VALU_DEP_4)
	v_sub_f32_e32 v23, v24, v26
	v_fma_f32 v26, 0x3f317218, v21, -v27
	s_delay_alu instid0(VALU_DEP_2) | instskip(NEXT) | instid1(VALU_DEP_1)
	v_sub_f32_e32 v23, v25, v23
	v_dual_fmamk_f32 v21, v21, 0xb102e308, v26 :: v_dual_add_f32 v22, v22, v23
	s_delay_alu instid0(VALU_DEP_1) | instskip(NEXT) | instid1(VALU_DEP_1)
	v_add_f32_e32 v23, v27, v21
	v_sub_f32_e32 v27, v23, v27
	s_delay_alu instid0(VALU_DEP_1) | instskip(NEXT) | instid1(VALU_DEP_4)
	v_sub_f32_e32 v21, v21, v27
	v_add_f32_e32 v25, v24, v22
	s_delay_alu instid0(VALU_DEP_1) | instskip(NEXT) | instid1(VALU_DEP_1)
	v_sub_f32_e32 v24, v25, v24
	v_sub_f32_e32 v22, v22, v24
	v_add_f32_e32 v26, v23, v25
	s_delay_alu instid0(VALU_DEP_1) | instskip(NEXT) | instid1(VALU_DEP_1)
	v_sub_f32_e32 v28, v26, v23
	v_sub_f32_e32 v24, v25, v28
	s_delay_alu instid0(VALU_DEP_4) | instskip(SKIP_1) | instid1(VALU_DEP_1)
	v_add_f32_e32 v25, v21, v22
	v_sub_f32_e32 v29, v26, v28
	v_sub_f32_e32 v23, v23, v29
	s_delay_alu instid0(VALU_DEP_1) | instskip(NEXT) | instid1(VALU_DEP_1)
	v_dual_add_f32 v23, v24, v23 :: v_dual_sub_f32 v24, v25, v21
	v_dual_add_f32 v23, v25, v23 :: v_dual_sub_f32 v22, v22, v24
	v_sub_f32_e32 v25, v25, v24
	s_delay_alu instid0(VALU_DEP_2) | instskip(NEXT) | instid1(VALU_DEP_1)
	v_add_f32_e32 v27, v26, v23
	v_dual_sub_f32 v21, v21, v25 :: v_dual_sub_f32 v24, v27, v26
	s_delay_alu instid0(VALU_DEP_1) | instskip(NEXT) | instid1(VALU_DEP_1)
	v_dual_add_f32 v21, v22, v21 :: v_dual_sub_f32 v22, v23, v24
	v_add_f32_e32 v21, v21, v22
	s_delay_alu instid0(VALU_DEP_1) | instskip(NEXT) | instid1(VALU_DEP_1)
	v_add_f32_e32 v21, v27, v21
	v_cndmask_b32_e64 v5, v21, v5, s3
	s_delay_alu instid0(VALU_DEP_1)
	v_add_f32_e32 v5, v6, v5
.LBB164_204:
	s_or_b32 exec_lo, exec_lo, s6
	ds_load_b32 v6, v20 offset:16
	v_max_f32_e32 v21, v5, v5
	v_cmp_u_f32_e64 s3, v5, v5
	ds_store_b32 v20, v5 offset:12
	s_waitcnt lgkmcnt(1)
	v_max_f32_e32 v22, v6, v6
	s_delay_alu instid0(VALU_DEP_1) | instskip(SKIP_1) | instid1(VALU_DEP_2)
	v_min_f32_e32 v23, v21, v22
	v_max_f32_e32 v21, v21, v22
	v_cndmask_b32_e64 v22, v23, v5, s3
	s_delay_alu instid0(VALU_DEP_2) | instskip(SKIP_1) | instid1(VALU_DEP_1)
	v_cndmask_b32_e64 v23, v21, v5, s3
	v_cmp_u_f32_e64 s3, v6, v6
	v_cndmask_b32_e64 v21, v22, v6, s3
	s_delay_alu instid0(VALU_DEP_3) | instskip(NEXT) | instid1(VALU_DEP_2)
	v_cndmask_b32_e64 v6, v23, v6, s3
	v_cmp_class_f32_e64 s6, v21, 0x1f8
	s_delay_alu instid0(VALU_DEP_2) | instskip(NEXT) | instid1(VALU_DEP_1)
	v_cmp_neq_f32_e64 s3, v21, v6
	s_or_b32 s3, s3, s6
	s_delay_alu instid0(SALU_CYCLE_1)
	s_and_saveexec_b32 s6, s3
	s_cbranch_execz .LBB164_206
; %bb.205:
	v_sub_f32_e32 v5, v21, v6
	s_delay_alu instid0(VALU_DEP_1) | instskip(SKIP_1) | instid1(VALU_DEP_2)
	v_mul_f32_e32 v21, 0x3fb8aa3b, v5
	v_cmp_ngt_f32_e64 s3, 0xc2ce8ed0, v5
	v_fma_f32 v22, 0x3fb8aa3b, v5, -v21
	v_rndne_f32_e32 v23, v21
	s_delay_alu instid0(VALU_DEP_2) | instskip(NEXT) | instid1(VALU_DEP_2)
	v_fmamk_f32 v22, v5, 0x32a5705f, v22
	v_sub_f32_e32 v21, v21, v23
	s_delay_alu instid0(VALU_DEP_1) | instskip(SKIP_1) | instid1(VALU_DEP_2)
	v_add_f32_e32 v21, v21, v22
	v_cvt_i32_f32_e32 v22, v23
	v_exp_f32_e32 v21, v21
	s_waitcnt_depctr 0xfff
	v_ldexp_f32 v21, v21, v22
	s_delay_alu instid0(VALU_DEP_1) | instskip(SKIP_1) | instid1(VALU_DEP_1)
	v_cndmask_b32_e64 v21, 0, v21, s3
	v_cmp_nlt_f32_e64 s3, 0x42b17218, v5
	v_cndmask_b32_e64 v5, 0x7f800000, v21, s3
	s_delay_alu instid0(VALU_DEP_1) | instskip(SKIP_1) | instid1(VALU_DEP_2)
	v_add_f32_e32 v23, 1.0, v5
	v_cmp_gt_f32_e64 s7, 0x33800000, |v5|
	v_cvt_f64_f32_e32 v[21:22], v23
	s_delay_alu instid0(VALU_DEP_1) | instskip(SKIP_1) | instid1(VALU_DEP_1)
	v_frexp_exp_i32_f64_e32 v21, v[21:22]
	v_frexp_mant_f32_e32 v22, v23
	v_cmp_gt_f32_e64 s3, 0x3f2aaaab, v22
	v_add_f32_e32 v22, -1.0, v23
	s_delay_alu instid0(VALU_DEP_1) | instskip(NEXT) | instid1(VALU_DEP_3)
	v_dual_sub_f32 v25, v22, v23 :: v_dual_sub_f32 v22, v5, v22
	v_subrev_co_ci_u32_e64 v21, s3, 0, v21, s3
	s_mov_b32 s3, 0x3e9b6dac
	s_delay_alu instid0(VALU_DEP_1) | instskip(SKIP_1) | instid1(VALU_DEP_2)
	v_sub_nc_u32_e32 v24, 0, v21
	v_cvt_f32_i32_e32 v21, v21
	v_ldexp_f32 v23, v23, v24
	s_delay_alu instid0(VALU_DEP_1) | instskip(NEXT) | instid1(VALU_DEP_1)
	v_dual_add_f32 v25, 1.0, v25 :: v_dual_add_f32 v26, 1.0, v23
	v_add_f32_e32 v22, v22, v25
	s_delay_alu instid0(VALU_DEP_1) | instskip(NEXT) | instid1(VALU_DEP_3)
	v_ldexp_f32 v22, v22, v24
	v_dual_add_f32 v24, -1.0, v23 :: v_dual_add_f32 v25, -1.0, v26
	s_delay_alu instid0(VALU_DEP_1) | instskip(NEXT) | instid1(VALU_DEP_2)
	v_add_f32_e32 v27, 1.0, v24
	v_sub_f32_e32 v25, v23, v25
	s_delay_alu instid0(VALU_DEP_2) | instskip(NEXT) | instid1(VALU_DEP_2)
	v_sub_f32_e32 v23, v23, v27
	v_add_f32_e32 v25, v22, v25
	s_delay_alu instid0(VALU_DEP_2) | instskip(NEXT) | instid1(VALU_DEP_1)
	v_add_f32_e32 v22, v22, v23
	v_dual_add_f32 v28, v24, v22 :: v_dual_add_f32 v27, v26, v25
	s_delay_alu instid0(VALU_DEP_1) | instskip(NEXT) | instid1(VALU_DEP_2)
	v_sub_f32_e32 v24, v24, v28
	v_rcp_f32_e32 v23, v27
	v_sub_f32_e32 v26, v26, v27
	s_delay_alu instid0(VALU_DEP_1) | instskip(SKIP_2) | instid1(VALU_DEP_1)
	v_dual_add_f32 v22, v22, v24 :: v_dual_add_f32 v25, v25, v26
	s_waitcnt_depctr 0xfff
	v_mul_f32_e32 v29, v28, v23
	v_mul_f32_e32 v30, v27, v29
	s_delay_alu instid0(VALU_DEP_1) | instskip(NEXT) | instid1(VALU_DEP_1)
	v_fma_f32 v26, v29, v27, -v30
	v_fmac_f32_e32 v26, v29, v25
	s_delay_alu instid0(VALU_DEP_1) | instskip(NEXT) | instid1(VALU_DEP_1)
	v_add_f32_e32 v31, v30, v26
	v_sub_f32_e32 v32, v28, v31
	v_sub_f32_e32 v24, v31, v30
	s_delay_alu instid0(VALU_DEP_2) | instskip(NEXT) | instid1(VALU_DEP_2)
	v_sub_f32_e32 v28, v28, v32
	v_sub_f32_e32 v24, v24, v26
	s_delay_alu instid0(VALU_DEP_2) | instskip(NEXT) | instid1(VALU_DEP_1)
	v_sub_f32_e32 v28, v28, v31
	v_add_f32_e32 v22, v22, v28
	s_delay_alu instid0(VALU_DEP_1) | instskip(NEXT) | instid1(VALU_DEP_1)
	v_add_f32_e32 v22, v24, v22
	v_add_f32_e32 v24, v32, v22
	s_delay_alu instid0(VALU_DEP_1) | instskip(NEXT) | instid1(VALU_DEP_1)
	v_mul_f32_e32 v26, v23, v24
	v_dual_sub_f32 v31, v32, v24 :: v_dual_mul_f32 v28, v27, v26
	s_delay_alu instid0(VALU_DEP_1) | instskip(NEXT) | instid1(VALU_DEP_2)
	v_add_f32_e32 v22, v22, v31
	v_fma_f32 v27, v26, v27, -v28
	s_delay_alu instid0(VALU_DEP_1) | instskip(NEXT) | instid1(VALU_DEP_1)
	v_fmac_f32_e32 v27, v26, v25
	v_add_f32_e32 v25, v28, v27
	s_delay_alu instid0(VALU_DEP_1) | instskip(NEXT) | instid1(VALU_DEP_1)
	v_sub_f32_e32 v30, v24, v25
	v_sub_f32_e32 v24, v24, v30
	s_delay_alu instid0(VALU_DEP_1) | instskip(NEXT) | instid1(VALU_DEP_1)
	v_sub_f32_e32 v24, v24, v25
	v_add_f32_e32 v22, v22, v24
	v_add_f32_e32 v24, v29, v26
	v_sub_f32_e32 v28, v25, v28
	s_delay_alu instid0(VALU_DEP_1) | instskip(NEXT) | instid1(VALU_DEP_1)
	v_sub_f32_e32 v25, v28, v27
	v_dual_add_f32 v22, v25, v22 :: v_dual_sub_f32 v25, v24, v29
	s_delay_alu instid0(VALU_DEP_1) | instskip(NEXT) | instid1(VALU_DEP_1)
	v_add_f32_e32 v22, v30, v22
	v_dual_sub_f32 v25, v26, v25 :: v_dual_mul_f32 v22, v23, v22
	s_delay_alu instid0(VALU_DEP_1) | instskip(NEXT) | instid1(VALU_DEP_1)
	v_add_f32_e32 v22, v25, v22
	v_add_f32_e32 v23, v24, v22
	s_delay_alu instid0(VALU_DEP_1) | instskip(NEXT) | instid1(VALU_DEP_1)
	v_mul_f32_e32 v25, v23, v23
	v_fmaak_f32 v26, s3, v25, 0x3ecc95a3
	v_mul_f32_e32 v27, v23, v25
	v_cmp_eq_f32_e64 s3, 0x7f800000, v5
	s_delay_alu instid0(VALU_DEP_3) | instskip(SKIP_2) | instid1(VALU_DEP_4)
	v_fmaak_f32 v25, v25, v26, 0x3f2aaada
	v_ldexp_f32 v26, v23, 1
	v_sub_f32_e32 v23, v23, v24
	s_or_b32 s3, s3, s7
	s_delay_alu instid0(VALU_DEP_3) | instskip(NEXT) | instid1(VALU_DEP_2)
	v_mul_f32_e32 v25, v27, v25
	v_dual_mul_f32 v27, 0x3f317218, v21 :: v_dual_sub_f32 v22, v22, v23
	s_delay_alu instid0(VALU_DEP_2) | instskip(NEXT) | instid1(VALU_DEP_2)
	v_add_f32_e32 v24, v26, v25
	v_ldexp_f32 v22, v22, 1
	s_delay_alu instid0(VALU_DEP_2) | instskip(NEXT) | instid1(VALU_DEP_4)
	v_sub_f32_e32 v23, v24, v26
	v_fma_f32 v26, 0x3f317218, v21, -v27
	s_delay_alu instid0(VALU_DEP_2) | instskip(NEXT) | instid1(VALU_DEP_1)
	v_sub_f32_e32 v23, v25, v23
	v_dual_fmamk_f32 v21, v21, 0xb102e308, v26 :: v_dual_add_f32 v22, v22, v23
	s_delay_alu instid0(VALU_DEP_1) | instskip(NEXT) | instid1(VALU_DEP_1)
	v_add_f32_e32 v23, v27, v21
	v_sub_f32_e32 v27, v23, v27
	s_delay_alu instid0(VALU_DEP_1) | instskip(NEXT) | instid1(VALU_DEP_4)
	v_sub_f32_e32 v21, v21, v27
	v_add_f32_e32 v25, v24, v22
	s_delay_alu instid0(VALU_DEP_1) | instskip(NEXT) | instid1(VALU_DEP_1)
	v_sub_f32_e32 v24, v25, v24
	v_sub_f32_e32 v22, v22, v24
	v_add_f32_e32 v26, v23, v25
	s_delay_alu instid0(VALU_DEP_1) | instskip(NEXT) | instid1(VALU_DEP_1)
	v_sub_f32_e32 v28, v26, v23
	v_sub_f32_e32 v24, v25, v28
	s_delay_alu instid0(VALU_DEP_4) | instskip(SKIP_1) | instid1(VALU_DEP_1)
	v_add_f32_e32 v25, v21, v22
	v_sub_f32_e32 v29, v26, v28
	v_sub_f32_e32 v23, v23, v29
	s_delay_alu instid0(VALU_DEP_1) | instskip(NEXT) | instid1(VALU_DEP_1)
	v_dual_add_f32 v23, v24, v23 :: v_dual_sub_f32 v24, v25, v21
	v_dual_add_f32 v23, v25, v23 :: v_dual_sub_f32 v22, v22, v24
	v_sub_f32_e32 v25, v25, v24
	s_delay_alu instid0(VALU_DEP_2) | instskip(NEXT) | instid1(VALU_DEP_1)
	v_add_f32_e32 v27, v26, v23
	v_dual_sub_f32 v21, v21, v25 :: v_dual_sub_f32 v24, v27, v26
	s_delay_alu instid0(VALU_DEP_1) | instskip(NEXT) | instid1(VALU_DEP_1)
	v_dual_add_f32 v21, v22, v21 :: v_dual_sub_f32 v22, v23, v24
	v_add_f32_e32 v21, v21, v22
	s_delay_alu instid0(VALU_DEP_1) | instskip(NEXT) | instid1(VALU_DEP_1)
	v_add_f32_e32 v21, v27, v21
	v_cndmask_b32_e64 v5, v21, v5, s3
	s_delay_alu instid0(VALU_DEP_1)
	v_add_f32_e32 v5, v6, v5
.LBB164_206:
	s_or_b32 exec_lo, exec_lo, s6
	ds_load_b32 v6, v20 offset:20
	v_max_f32_e32 v21, v5, v5
	v_cmp_u_f32_e64 s3, v5, v5
	ds_store_b32 v20, v5 offset:16
	s_waitcnt lgkmcnt(1)
	v_max_f32_e32 v22, v6, v6
	s_delay_alu instid0(VALU_DEP_1) | instskip(SKIP_1) | instid1(VALU_DEP_2)
	v_min_f32_e32 v23, v21, v22
	v_max_f32_e32 v21, v21, v22
	v_cndmask_b32_e64 v22, v23, v5, s3
	s_delay_alu instid0(VALU_DEP_2) | instskip(SKIP_1) | instid1(VALU_DEP_1)
	v_cndmask_b32_e64 v23, v21, v5, s3
	v_cmp_u_f32_e64 s3, v6, v6
	v_cndmask_b32_e64 v21, v22, v6, s3
	s_delay_alu instid0(VALU_DEP_3) | instskip(NEXT) | instid1(VALU_DEP_2)
	v_cndmask_b32_e64 v6, v23, v6, s3
	v_cmp_class_f32_e64 s6, v21, 0x1f8
	s_delay_alu instid0(VALU_DEP_2) | instskip(NEXT) | instid1(VALU_DEP_1)
	v_cmp_neq_f32_e64 s3, v21, v6
	s_or_b32 s3, s3, s6
	s_delay_alu instid0(SALU_CYCLE_1)
	s_and_saveexec_b32 s6, s3
	s_cbranch_execz .LBB164_208
; %bb.207:
	v_sub_f32_e32 v5, v21, v6
	s_delay_alu instid0(VALU_DEP_1) | instskip(SKIP_1) | instid1(VALU_DEP_2)
	v_mul_f32_e32 v21, 0x3fb8aa3b, v5
	v_cmp_ngt_f32_e64 s3, 0xc2ce8ed0, v5
	v_fma_f32 v22, 0x3fb8aa3b, v5, -v21
	v_rndne_f32_e32 v23, v21
	s_delay_alu instid0(VALU_DEP_2) | instskip(NEXT) | instid1(VALU_DEP_2)
	v_fmamk_f32 v22, v5, 0x32a5705f, v22
	v_sub_f32_e32 v21, v21, v23
	s_delay_alu instid0(VALU_DEP_1) | instskip(SKIP_1) | instid1(VALU_DEP_2)
	v_add_f32_e32 v21, v21, v22
	v_cvt_i32_f32_e32 v22, v23
	v_exp_f32_e32 v21, v21
	s_waitcnt_depctr 0xfff
	v_ldexp_f32 v21, v21, v22
	s_delay_alu instid0(VALU_DEP_1) | instskip(SKIP_1) | instid1(VALU_DEP_1)
	v_cndmask_b32_e64 v21, 0, v21, s3
	v_cmp_nlt_f32_e64 s3, 0x42b17218, v5
	v_cndmask_b32_e64 v5, 0x7f800000, v21, s3
	s_delay_alu instid0(VALU_DEP_1) | instskip(SKIP_1) | instid1(VALU_DEP_2)
	v_add_f32_e32 v23, 1.0, v5
	v_cmp_gt_f32_e64 s7, 0x33800000, |v5|
	v_cvt_f64_f32_e32 v[21:22], v23
	s_delay_alu instid0(VALU_DEP_1) | instskip(SKIP_1) | instid1(VALU_DEP_1)
	v_frexp_exp_i32_f64_e32 v21, v[21:22]
	v_frexp_mant_f32_e32 v22, v23
	v_cmp_gt_f32_e64 s3, 0x3f2aaaab, v22
	v_add_f32_e32 v22, -1.0, v23
	s_delay_alu instid0(VALU_DEP_1) | instskip(NEXT) | instid1(VALU_DEP_3)
	v_dual_sub_f32 v25, v22, v23 :: v_dual_sub_f32 v22, v5, v22
	v_subrev_co_ci_u32_e64 v21, s3, 0, v21, s3
	s_mov_b32 s3, 0x3e9b6dac
	s_delay_alu instid0(VALU_DEP_1) | instskip(SKIP_1) | instid1(VALU_DEP_2)
	v_sub_nc_u32_e32 v24, 0, v21
	v_cvt_f32_i32_e32 v21, v21
	v_ldexp_f32 v23, v23, v24
	s_delay_alu instid0(VALU_DEP_1) | instskip(NEXT) | instid1(VALU_DEP_1)
	v_dual_add_f32 v25, 1.0, v25 :: v_dual_add_f32 v26, 1.0, v23
	v_add_f32_e32 v22, v22, v25
	s_delay_alu instid0(VALU_DEP_1) | instskip(NEXT) | instid1(VALU_DEP_3)
	v_ldexp_f32 v22, v22, v24
	v_dual_add_f32 v24, -1.0, v23 :: v_dual_add_f32 v25, -1.0, v26
	s_delay_alu instid0(VALU_DEP_1) | instskip(NEXT) | instid1(VALU_DEP_2)
	v_add_f32_e32 v27, 1.0, v24
	v_sub_f32_e32 v25, v23, v25
	s_delay_alu instid0(VALU_DEP_2) | instskip(NEXT) | instid1(VALU_DEP_2)
	v_sub_f32_e32 v23, v23, v27
	v_add_f32_e32 v25, v22, v25
	s_delay_alu instid0(VALU_DEP_2) | instskip(NEXT) | instid1(VALU_DEP_1)
	v_add_f32_e32 v22, v22, v23
	v_dual_add_f32 v28, v24, v22 :: v_dual_add_f32 v27, v26, v25
	s_delay_alu instid0(VALU_DEP_1) | instskip(NEXT) | instid1(VALU_DEP_2)
	v_sub_f32_e32 v24, v24, v28
	v_rcp_f32_e32 v23, v27
	v_sub_f32_e32 v26, v26, v27
	s_delay_alu instid0(VALU_DEP_1) | instskip(SKIP_2) | instid1(VALU_DEP_1)
	v_dual_add_f32 v22, v22, v24 :: v_dual_add_f32 v25, v25, v26
	s_waitcnt_depctr 0xfff
	v_mul_f32_e32 v29, v28, v23
	v_mul_f32_e32 v30, v27, v29
	s_delay_alu instid0(VALU_DEP_1) | instskip(NEXT) | instid1(VALU_DEP_1)
	v_fma_f32 v26, v29, v27, -v30
	v_fmac_f32_e32 v26, v29, v25
	s_delay_alu instid0(VALU_DEP_1) | instskip(NEXT) | instid1(VALU_DEP_1)
	v_add_f32_e32 v31, v30, v26
	v_sub_f32_e32 v32, v28, v31
	v_sub_f32_e32 v24, v31, v30
	s_delay_alu instid0(VALU_DEP_2) | instskip(NEXT) | instid1(VALU_DEP_2)
	v_sub_f32_e32 v28, v28, v32
	v_sub_f32_e32 v24, v24, v26
	s_delay_alu instid0(VALU_DEP_2) | instskip(NEXT) | instid1(VALU_DEP_1)
	v_sub_f32_e32 v28, v28, v31
	v_add_f32_e32 v22, v22, v28
	s_delay_alu instid0(VALU_DEP_1) | instskip(NEXT) | instid1(VALU_DEP_1)
	v_add_f32_e32 v22, v24, v22
	v_add_f32_e32 v24, v32, v22
	s_delay_alu instid0(VALU_DEP_1) | instskip(NEXT) | instid1(VALU_DEP_1)
	v_mul_f32_e32 v26, v23, v24
	v_dual_sub_f32 v31, v32, v24 :: v_dual_mul_f32 v28, v27, v26
	s_delay_alu instid0(VALU_DEP_1) | instskip(NEXT) | instid1(VALU_DEP_2)
	v_add_f32_e32 v22, v22, v31
	v_fma_f32 v27, v26, v27, -v28
	s_delay_alu instid0(VALU_DEP_1) | instskip(NEXT) | instid1(VALU_DEP_1)
	v_fmac_f32_e32 v27, v26, v25
	v_add_f32_e32 v25, v28, v27
	s_delay_alu instid0(VALU_DEP_1) | instskip(NEXT) | instid1(VALU_DEP_1)
	v_sub_f32_e32 v30, v24, v25
	v_sub_f32_e32 v24, v24, v30
	s_delay_alu instid0(VALU_DEP_1) | instskip(NEXT) | instid1(VALU_DEP_1)
	v_sub_f32_e32 v24, v24, v25
	v_add_f32_e32 v22, v22, v24
	v_add_f32_e32 v24, v29, v26
	v_sub_f32_e32 v28, v25, v28
	s_delay_alu instid0(VALU_DEP_1) | instskip(NEXT) | instid1(VALU_DEP_1)
	v_sub_f32_e32 v25, v28, v27
	v_dual_add_f32 v22, v25, v22 :: v_dual_sub_f32 v25, v24, v29
	s_delay_alu instid0(VALU_DEP_1) | instskip(NEXT) | instid1(VALU_DEP_1)
	v_add_f32_e32 v22, v30, v22
	v_dual_sub_f32 v25, v26, v25 :: v_dual_mul_f32 v22, v23, v22
	s_delay_alu instid0(VALU_DEP_1) | instskip(NEXT) | instid1(VALU_DEP_1)
	v_add_f32_e32 v22, v25, v22
	v_add_f32_e32 v23, v24, v22
	s_delay_alu instid0(VALU_DEP_1) | instskip(NEXT) | instid1(VALU_DEP_1)
	v_mul_f32_e32 v25, v23, v23
	v_fmaak_f32 v26, s3, v25, 0x3ecc95a3
	v_mul_f32_e32 v27, v23, v25
	v_cmp_eq_f32_e64 s3, 0x7f800000, v5
	s_delay_alu instid0(VALU_DEP_3) | instskip(SKIP_2) | instid1(VALU_DEP_4)
	v_fmaak_f32 v25, v25, v26, 0x3f2aaada
	v_ldexp_f32 v26, v23, 1
	v_sub_f32_e32 v23, v23, v24
	s_or_b32 s3, s3, s7
	s_delay_alu instid0(VALU_DEP_3) | instskip(NEXT) | instid1(VALU_DEP_2)
	v_mul_f32_e32 v25, v27, v25
	v_dual_mul_f32 v27, 0x3f317218, v21 :: v_dual_sub_f32 v22, v22, v23
	s_delay_alu instid0(VALU_DEP_2) | instskip(NEXT) | instid1(VALU_DEP_2)
	v_add_f32_e32 v24, v26, v25
	v_ldexp_f32 v22, v22, 1
	s_delay_alu instid0(VALU_DEP_2) | instskip(NEXT) | instid1(VALU_DEP_4)
	v_sub_f32_e32 v23, v24, v26
	v_fma_f32 v26, 0x3f317218, v21, -v27
	s_delay_alu instid0(VALU_DEP_2) | instskip(NEXT) | instid1(VALU_DEP_1)
	v_sub_f32_e32 v23, v25, v23
	v_dual_fmamk_f32 v21, v21, 0xb102e308, v26 :: v_dual_add_f32 v22, v22, v23
	s_delay_alu instid0(VALU_DEP_1) | instskip(NEXT) | instid1(VALU_DEP_1)
	v_add_f32_e32 v23, v27, v21
	v_sub_f32_e32 v27, v23, v27
	s_delay_alu instid0(VALU_DEP_1) | instskip(NEXT) | instid1(VALU_DEP_4)
	v_sub_f32_e32 v21, v21, v27
	v_add_f32_e32 v25, v24, v22
	s_delay_alu instid0(VALU_DEP_1) | instskip(NEXT) | instid1(VALU_DEP_1)
	v_sub_f32_e32 v24, v25, v24
	v_sub_f32_e32 v22, v22, v24
	v_add_f32_e32 v26, v23, v25
	s_delay_alu instid0(VALU_DEP_1) | instskip(NEXT) | instid1(VALU_DEP_1)
	v_sub_f32_e32 v28, v26, v23
	v_sub_f32_e32 v24, v25, v28
	s_delay_alu instid0(VALU_DEP_4) | instskip(SKIP_1) | instid1(VALU_DEP_1)
	v_add_f32_e32 v25, v21, v22
	v_sub_f32_e32 v29, v26, v28
	v_sub_f32_e32 v23, v23, v29
	s_delay_alu instid0(VALU_DEP_1) | instskip(NEXT) | instid1(VALU_DEP_1)
	v_dual_add_f32 v23, v24, v23 :: v_dual_sub_f32 v24, v25, v21
	v_dual_add_f32 v23, v25, v23 :: v_dual_sub_f32 v22, v22, v24
	v_sub_f32_e32 v25, v25, v24
	s_delay_alu instid0(VALU_DEP_2) | instskip(NEXT) | instid1(VALU_DEP_1)
	v_add_f32_e32 v27, v26, v23
	v_dual_sub_f32 v21, v21, v25 :: v_dual_sub_f32 v24, v27, v26
	s_delay_alu instid0(VALU_DEP_1) | instskip(NEXT) | instid1(VALU_DEP_1)
	v_dual_add_f32 v21, v22, v21 :: v_dual_sub_f32 v22, v23, v24
	v_add_f32_e32 v21, v21, v22
	s_delay_alu instid0(VALU_DEP_1) | instskip(NEXT) | instid1(VALU_DEP_1)
	v_add_f32_e32 v21, v27, v21
	v_cndmask_b32_e64 v5, v21, v5, s3
	s_delay_alu instid0(VALU_DEP_1)
	v_add_f32_e32 v5, v6, v5
.LBB164_208:
	s_or_b32 exec_lo, exec_lo, s6
	ds_load_b32 v6, v20 offset:24
	v_max_f32_e32 v21, v5, v5
	v_cmp_u_f32_e64 s3, v5, v5
	ds_store_b32 v20, v5 offset:20
	s_waitcnt lgkmcnt(1)
	v_max_f32_e32 v22, v6, v6
	s_delay_alu instid0(VALU_DEP_1) | instskip(SKIP_1) | instid1(VALU_DEP_2)
	v_min_f32_e32 v23, v21, v22
	v_max_f32_e32 v21, v21, v22
	v_cndmask_b32_e64 v22, v23, v5, s3
	s_delay_alu instid0(VALU_DEP_2) | instskip(SKIP_1) | instid1(VALU_DEP_1)
	v_cndmask_b32_e64 v23, v21, v5, s3
	v_cmp_u_f32_e64 s3, v6, v6
	v_cndmask_b32_e64 v21, v22, v6, s3
	s_delay_alu instid0(VALU_DEP_3) | instskip(NEXT) | instid1(VALU_DEP_2)
	v_cndmask_b32_e64 v6, v23, v6, s3
	v_cmp_class_f32_e64 s6, v21, 0x1f8
	s_delay_alu instid0(VALU_DEP_2) | instskip(NEXT) | instid1(VALU_DEP_1)
	v_cmp_neq_f32_e64 s3, v21, v6
	s_or_b32 s3, s3, s6
	s_delay_alu instid0(SALU_CYCLE_1)
	s_and_saveexec_b32 s6, s3
	s_cbranch_execz .LBB164_210
; %bb.209:
	v_sub_f32_e32 v5, v21, v6
	s_delay_alu instid0(VALU_DEP_1) | instskip(SKIP_1) | instid1(VALU_DEP_2)
	v_mul_f32_e32 v21, 0x3fb8aa3b, v5
	v_cmp_ngt_f32_e64 s3, 0xc2ce8ed0, v5
	v_fma_f32 v22, 0x3fb8aa3b, v5, -v21
	v_rndne_f32_e32 v23, v21
	s_delay_alu instid0(VALU_DEP_2) | instskip(NEXT) | instid1(VALU_DEP_2)
	v_fmamk_f32 v22, v5, 0x32a5705f, v22
	v_sub_f32_e32 v21, v21, v23
	s_delay_alu instid0(VALU_DEP_1) | instskip(SKIP_1) | instid1(VALU_DEP_2)
	v_add_f32_e32 v21, v21, v22
	v_cvt_i32_f32_e32 v22, v23
	v_exp_f32_e32 v21, v21
	s_waitcnt_depctr 0xfff
	v_ldexp_f32 v21, v21, v22
	s_delay_alu instid0(VALU_DEP_1) | instskip(SKIP_1) | instid1(VALU_DEP_1)
	v_cndmask_b32_e64 v21, 0, v21, s3
	v_cmp_nlt_f32_e64 s3, 0x42b17218, v5
	v_cndmask_b32_e64 v5, 0x7f800000, v21, s3
	s_delay_alu instid0(VALU_DEP_1) | instskip(SKIP_1) | instid1(VALU_DEP_2)
	v_add_f32_e32 v23, 1.0, v5
	v_cmp_gt_f32_e64 s7, 0x33800000, |v5|
	v_cvt_f64_f32_e32 v[21:22], v23
	s_delay_alu instid0(VALU_DEP_1) | instskip(SKIP_1) | instid1(VALU_DEP_1)
	v_frexp_exp_i32_f64_e32 v21, v[21:22]
	v_frexp_mant_f32_e32 v22, v23
	v_cmp_gt_f32_e64 s3, 0x3f2aaaab, v22
	v_add_f32_e32 v22, -1.0, v23
	s_delay_alu instid0(VALU_DEP_1) | instskip(NEXT) | instid1(VALU_DEP_3)
	v_dual_sub_f32 v25, v22, v23 :: v_dual_sub_f32 v22, v5, v22
	v_subrev_co_ci_u32_e64 v21, s3, 0, v21, s3
	s_mov_b32 s3, 0x3e9b6dac
	s_delay_alu instid0(VALU_DEP_1) | instskip(SKIP_1) | instid1(VALU_DEP_2)
	v_sub_nc_u32_e32 v24, 0, v21
	v_cvt_f32_i32_e32 v21, v21
	v_ldexp_f32 v23, v23, v24
	s_delay_alu instid0(VALU_DEP_1) | instskip(NEXT) | instid1(VALU_DEP_1)
	v_dual_add_f32 v25, 1.0, v25 :: v_dual_add_f32 v26, 1.0, v23
	v_add_f32_e32 v22, v22, v25
	s_delay_alu instid0(VALU_DEP_1) | instskip(NEXT) | instid1(VALU_DEP_3)
	v_ldexp_f32 v22, v22, v24
	v_dual_add_f32 v24, -1.0, v23 :: v_dual_add_f32 v25, -1.0, v26
	s_delay_alu instid0(VALU_DEP_1) | instskip(NEXT) | instid1(VALU_DEP_2)
	v_add_f32_e32 v27, 1.0, v24
	v_sub_f32_e32 v25, v23, v25
	s_delay_alu instid0(VALU_DEP_2) | instskip(NEXT) | instid1(VALU_DEP_2)
	v_sub_f32_e32 v23, v23, v27
	v_add_f32_e32 v25, v22, v25
	s_delay_alu instid0(VALU_DEP_2) | instskip(NEXT) | instid1(VALU_DEP_1)
	v_add_f32_e32 v22, v22, v23
	v_dual_add_f32 v28, v24, v22 :: v_dual_add_f32 v27, v26, v25
	s_delay_alu instid0(VALU_DEP_1) | instskip(NEXT) | instid1(VALU_DEP_2)
	v_sub_f32_e32 v24, v24, v28
	v_rcp_f32_e32 v23, v27
	v_sub_f32_e32 v26, v26, v27
	s_delay_alu instid0(VALU_DEP_1) | instskip(SKIP_2) | instid1(VALU_DEP_1)
	v_dual_add_f32 v22, v22, v24 :: v_dual_add_f32 v25, v25, v26
	s_waitcnt_depctr 0xfff
	v_mul_f32_e32 v29, v28, v23
	v_mul_f32_e32 v30, v27, v29
	s_delay_alu instid0(VALU_DEP_1) | instskip(NEXT) | instid1(VALU_DEP_1)
	v_fma_f32 v26, v29, v27, -v30
	v_fmac_f32_e32 v26, v29, v25
	s_delay_alu instid0(VALU_DEP_1) | instskip(NEXT) | instid1(VALU_DEP_1)
	v_add_f32_e32 v31, v30, v26
	v_sub_f32_e32 v32, v28, v31
	v_sub_f32_e32 v24, v31, v30
	s_delay_alu instid0(VALU_DEP_2) | instskip(NEXT) | instid1(VALU_DEP_2)
	v_sub_f32_e32 v28, v28, v32
	v_sub_f32_e32 v24, v24, v26
	s_delay_alu instid0(VALU_DEP_2) | instskip(NEXT) | instid1(VALU_DEP_1)
	v_sub_f32_e32 v28, v28, v31
	v_add_f32_e32 v22, v22, v28
	s_delay_alu instid0(VALU_DEP_1) | instskip(NEXT) | instid1(VALU_DEP_1)
	v_add_f32_e32 v22, v24, v22
	v_add_f32_e32 v24, v32, v22
	s_delay_alu instid0(VALU_DEP_1) | instskip(NEXT) | instid1(VALU_DEP_1)
	v_mul_f32_e32 v26, v23, v24
	v_dual_sub_f32 v31, v32, v24 :: v_dual_mul_f32 v28, v27, v26
	s_delay_alu instid0(VALU_DEP_1) | instskip(NEXT) | instid1(VALU_DEP_2)
	v_add_f32_e32 v22, v22, v31
	v_fma_f32 v27, v26, v27, -v28
	s_delay_alu instid0(VALU_DEP_1) | instskip(NEXT) | instid1(VALU_DEP_1)
	v_fmac_f32_e32 v27, v26, v25
	v_add_f32_e32 v25, v28, v27
	s_delay_alu instid0(VALU_DEP_1) | instskip(NEXT) | instid1(VALU_DEP_1)
	v_sub_f32_e32 v30, v24, v25
	v_sub_f32_e32 v24, v24, v30
	s_delay_alu instid0(VALU_DEP_1) | instskip(NEXT) | instid1(VALU_DEP_1)
	v_sub_f32_e32 v24, v24, v25
	v_add_f32_e32 v22, v22, v24
	v_add_f32_e32 v24, v29, v26
	v_sub_f32_e32 v28, v25, v28
	s_delay_alu instid0(VALU_DEP_1) | instskip(NEXT) | instid1(VALU_DEP_1)
	v_sub_f32_e32 v25, v28, v27
	v_dual_add_f32 v22, v25, v22 :: v_dual_sub_f32 v25, v24, v29
	s_delay_alu instid0(VALU_DEP_1) | instskip(NEXT) | instid1(VALU_DEP_1)
	v_add_f32_e32 v22, v30, v22
	v_dual_sub_f32 v25, v26, v25 :: v_dual_mul_f32 v22, v23, v22
	s_delay_alu instid0(VALU_DEP_1) | instskip(NEXT) | instid1(VALU_DEP_1)
	v_add_f32_e32 v22, v25, v22
	v_add_f32_e32 v23, v24, v22
	s_delay_alu instid0(VALU_DEP_1) | instskip(NEXT) | instid1(VALU_DEP_1)
	v_mul_f32_e32 v25, v23, v23
	v_fmaak_f32 v26, s3, v25, 0x3ecc95a3
	v_mul_f32_e32 v27, v23, v25
	v_cmp_eq_f32_e64 s3, 0x7f800000, v5
	s_delay_alu instid0(VALU_DEP_3) | instskip(SKIP_2) | instid1(VALU_DEP_4)
	v_fmaak_f32 v25, v25, v26, 0x3f2aaada
	v_ldexp_f32 v26, v23, 1
	v_sub_f32_e32 v23, v23, v24
	s_or_b32 s3, s3, s7
	s_delay_alu instid0(VALU_DEP_3) | instskip(NEXT) | instid1(VALU_DEP_2)
	v_mul_f32_e32 v25, v27, v25
	v_dual_mul_f32 v27, 0x3f317218, v21 :: v_dual_sub_f32 v22, v22, v23
	s_delay_alu instid0(VALU_DEP_2) | instskip(NEXT) | instid1(VALU_DEP_2)
	v_add_f32_e32 v24, v26, v25
	v_ldexp_f32 v22, v22, 1
	s_delay_alu instid0(VALU_DEP_2) | instskip(NEXT) | instid1(VALU_DEP_4)
	v_sub_f32_e32 v23, v24, v26
	v_fma_f32 v26, 0x3f317218, v21, -v27
	s_delay_alu instid0(VALU_DEP_2) | instskip(NEXT) | instid1(VALU_DEP_1)
	v_sub_f32_e32 v23, v25, v23
	v_dual_fmamk_f32 v21, v21, 0xb102e308, v26 :: v_dual_add_f32 v22, v22, v23
	s_delay_alu instid0(VALU_DEP_1) | instskip(NEXT) | instid1(VALU_DEP_1)
	v_add_f32_e32 v23, v27, v21
	v_sub_f32_e32 v27, v23, v27
	s_delay_alu instid0(VALU_DEP_1) | instskip(NEXT) | instid1(VALU_DEP_4)
	v_sub_f32_e32 v21, v21, v27
	v_add_f32_e32 v25, v24, v22
	s_delay_alu instid0(VALU_DEP_1) | instskip(NEXT) | instid1(VALU_DEP_1)
	v_sub_f32_e32 v24, v25, v24
	v_sub_f32_e32 v22, v22, v24
	v_add_f32_e32 v26, v23, v25
	s_delay_alu instid0(VALU_DEP_1) | instskip(NEXT) | instid1(VALU_DEP_1)
	v_sub_f32_e32 v28, v26, v23
	v_sub_f32_e32 v24, v25, v28
	s_delay_alu instid0(VALU_DEP_4) | instskip(SKIP_1) | instid1(VALU_DEP_1)
	v_add_f32_e32 v25, v21, v22
	v_sub_f32_e32 v29, v26, v28
	v_sub_f32_e32 v23, v23, v29
	s_delay_alu instid0(VALU_DEP_1) | instskip(NEXT) | instid1(VALU_DEP_1)
	v_dual_add_f32 v23, v24, v23 :: v_dual_sub_f32 v24, v25, v21
	v_dual_add_f32 v23, v25, v23 :: v_dual_sub_f32 v22, v22, v24
	v_sub_f32_e32 v25, v25, v24
	s_delay_alu instid0(VALU_DEP_2) | instskip(NEXT) | instid1(VALU_DEP_1)
	v_add_f32_e32 v27, v26, v23
	v_dual_sub_f32 v21, v21, v25 :: v_dual_sub_f32 v24, v27, v26
	s_delay_alu instid0(VALU_DEP_1) | instskip(NEXT) | instid1(VALU_DEP_1)
	v_dual_add_f32 v21, v22, v21 :: v_dual_sub_f32 v22, v23, v24
	v_add_f32_e32 v21, v21, v22
	s_delay_alu instid0(VALU_DEP_1) | instskip(NEXT) | instid1(VALU_DEP_1)
	v_add_f32_e32 v21, v27, v21
	v_cndmask_b32_e64 v5, v21, v5, s3
	s_delay_alu instid0(VALU_DEP_1)
	v_add_f32_e32 v5, v6, v5
.LBB164_210:
	s_or_b32 exec_lo, exec_lo, s6
	ds_load_b32 v6, v20 offset:28
	v_max_f32_e32 v21, v5, v5
	v_cmp_u_f32_e64 s3, v5, v5
	ds_store_b32 v20, v5 offset:24
	s_waitcnt lgkmcnt(1)
	v_max_f32_e32 v22, v6, v6
	s_delay_alu instid0(VALU_DEP_1) | instskip(SKIP_1) | instid1(VALU_DEP_2)
	v_min_f32_e32 v23, v21, v22
	v_max_f32_e32 v21, v21, v22
	v_cndmask_b32_e64 v22, v23, v5, s3
	s_delay_alu instid0(VALU_DEP_2) | instskip(SKIP_1) | instid1(VALU_DEP_1)
	v_cndmask_b32_e64 v23, v21, v5, s3
	v_cmp_u_f32_e64 s3, v6, v6
	v_cndmask_b32_e64 v21, v22, v6, s3
	s_delay_alu instid0(VALU_DEP_3) | instskip(NEXT) | instid1(VALU_DEP_2)
	v_cndmask_b32_e64 v6, v23, v6, s3
	v_cmp_class_f32_e64 s6, v21, 0x1f8
	s_delay_alu instid0(VALU_DEP_2) | instskip(NEXT) | instid1(VALU_DEP_1)
	v_cmp_neq_f32_e64 s3, v21, v6
	s_or_b32 s3, s3, s6
	s_delay_alu instid0(SALU_CYCLE_1)
	s_and_saveexec_b32 s6, s3
	s_cbranch_execz .LBB164_212
; %bb.211:
	v_sub_f32_e32 v5, v21, v6
	s_delay_alu instid0(VALU_DEP_1) | instskip(SKIP_1) | instid1(VALU_DEP_2)
	v_mul_f32_e32 v21, 0x3fb8aa3b, v5
	v_cmp_ngt_f32_e64 s3, 0xc2ce8ed0, v5
	v_fma_f32 v22, 0x3fb8aa3b, v5, -v21
	v_rndne_f32_e32 v23, v21
	s_delay_alu instid0(VALU_DEP_2) | instskip(NEXT) | instid1(VALU_DEP_2)
	v_fmamk_f32 v22, v5, 0x32a5705f, v22
	v_sub_f32_e32 v21, v21, v23
	s_delay_alu instid0(VALU_DEP_1) | instskip(SKIP_1) | instid1(VALU_DEP_2)
	v_add_f32_e32 v21, v21, v22
	v_cvt_i32_f32_e32 v22, v23
	v_exp_f32_e32 v21, v21
	s_waitcnt_depctr 0xfff
	v_ldexp_f32 v21, v21, v22
	s_delay_alu instid0(VALU_DEP_1) | instskip(SKIP_1) | instid1(VALU_DEP_1)
	v_cndmask_b32_e64 v21, 0, v21, s3
	v_cmp_nlt_f32_e64 s3, 0x42b17218, v5
	v_cndmask_b32_e64 v5, 0x7f800000, v21, s3
	s_delay_alu instid0(VALU_DEP_1) | instskip(SKIP_1) | instid1(VALU_DEP_2)
	v_add_f32_e32 v23, 1.0, v5
	v_cmp_gt_f32_e64 s7, 0x33800000, |v5|
	v_cvt_f64_f32_e32 v[21:22], v23
	s_delay_alu instid0(VALU_DEP_1) | instskip(SKIP_1) | instid1(VALU_DEP_1)
	v_frexp_exp_i32_f64_e32 v21, v[21:22]
	v_frexp_mant_f32_e32 v22, v23
	v_cmp_gt_f32_e64 s3, 0x3f2aaaab, v22
	v_add_f32_e32 v22, -1.0, v23
	s_delay_alu instid0(VALU_DEP_1) | instskip(NEXT) | instid1(VALU_DEP_3)
	v_dual_sub_f32 v25, v22, v23 :: v_dual_sub_f32 v22, v5, v22
	v_subrev_co_ci_u32_e64 v21, s3, 0, v21, s3
	s_mov_b32 s3, 0x3e9b6dac
	s_delay_alu instid0(VALU_DEP_1) | instskip(SKIP_1) | instid1(VALU_DEP_2)
	v_sub_nc_u32_e32 v24, 0, v21
	v_cvt_f32_i32_e32 v21, v21
	v_ldexp_f32 v23, v23, v24
	s_delay_alu instid0(VALU_DEP_1) | instskip(NEXT) | instid1(VALU_DEP_1)
	v_dual_add_f32 v25, 1.0, v25 :: v_dual_add_f32 v26, 1.0, v23
	v_add_f32_e32 v22, v22, v25
	s_delay_alu instid0(VALU_DEP_1) | instskip(NEXT) | instid1(VALU_DEP_3)
	v_ldexp_f32 v22, v22, v24
	v_dual_add_f32 v24, -1.0, v23 :: v_dual_add_f32 v25, -1.0, v26
	s_delay_alu instid0(VALU_DEP_1) | instskip(NEXT) | instid1(VALU_DEP_2)
	v_add_f32_e32 v27, 1.0, v24
	v_sub_f32_e32 v25, v23, v25
	s_delay_alu instid0(VALU_DEP_2) | instskip(NEXT) | instid1(VALU_DEP_2)
	v_sub_f32_e32 v23, v23, v27
	v_add_f32_e32 v25, v22, v25
	s_delay_alu instid0(VALU_DEP_2) | instskip(NEXT) | instid1(VALU_DEP_1)
	v_add_f32_e32 v22, v22, v23
	v_dual_add_f32 v28, v24, v22 :: v_dual_add_f32 v27, v26, v25
	s_delay_alu instid0(VALU_DEP_1) | instskip(NEXT) | instid1(VALU_DEP_2)
	v_sub_f32_e32 v24, v24, v28
	v_rcp_f32_e32 v23, v27
	v_sub_f32_e32 v26, v26, v27
	s_delay_alu instid0(VALU_DEP_1) | instskip(SKIP_2) | instid1(VALU_DEP_1)
	v_dual_add_f32 v22, v22, v24 :: v_dual_add_f32 v25, v25, v26
	s_waitcnt_depctr 0xfff
	v_mul_f32_e32 v29, v28, v23
	v_mul_f32_e32 v30, v27, v29
	s_delay_alu instid0(VALU_DEP_1) | instskip(NEXT) | instid1(VALU_DEP_1)
	v_fma_f32 v26, v29, v27, -v30
	v_fmac_f32_e32 v26, v29, v25
	s_delay_alu instid0(VALU_DEP_1) | instskip(NEXT) | instid1(VALU_DEP_1)
	v_add_f32_e32 v31, v30, v26
	v_sub_f32_e32 v32, v28, v31
	v_sub_f32_e32 v24, v31, v30
	s_delay_alu instid0(VALU_DEP_2) | instskip(NEXT) | instid1(VALU_DEP_2)
	v_sub_f32_e32 v28, v28, v32
	v_sub_f32_e32 v24, v24, v26
	s_delay_alu instid0(VALU_DEP_2) | instskip(NEXT) | instid1(VALU_DEP_1)
	v_sub_f32_e32 v28, v28, v31
	v_add_f32_e32 v22, v22, v28
	s_delay_alu instid0(VALU_DEP_1) | instskip(NEXT) | instid1(VALU_DEP_1)
	v_add_f32_e32 v22, v24, v22
	v_add_f32_e32 v24, v32, v22
	s_delay_alu instid0(VALU_DEP_1) | instskip(NEXT) | instid1(VALU_DEP_1)
	v_mul_f32_e32 v26, v23, v24
	v_dual_sub_f32 v31, v32, v24 :: v_dual_mul_f32 v28, v27, v26
	s_delay_alu instid0(VALU_DEP_1) | instskip(NEXT) | instid1(VALU_DEP_2)
	v_add_f32_e32 v22, v22, v31
	v_fma_f32 v27, v26, v27, -v28
	s_delay_alu instid0(VALU_DEP_1) | instskip(NEXT) | instid1(VALU_DEP_1)
	v_fmac_f32_e32 v27, v26, v25
	v_add_f32_e32 v25, v28, v27
	s_delay_alu instid0(VALU_DEP_1) | instskip(NEXT) | instid1(VALU_DEP_1)
	v_sub_f32_e32 v30, v24, v25
	v_sub_f32_e32 v24, v24, v30
	s_delay_alu instid0(VALU_DEP_1) | instskip(NEXT) | instid1(VALU_DEP_1)
	v_sub_f32_e32 v24, v24, v25
	v_add_f32_e32 v22, v22, v24
	v_add_f32_e32 v24, v29, v26
	v_sub_f32_e32 v28, v25, v28
	s_delay_alu instid0(VALU_DEP_1) | instskip(NEXT) | instid1(VALU_DEP_1)
	v_sub_f32_e32 v25, v28, v27
	v_dual_add_f32 v22, v25, v22 :: v_dual_sub_f32 v25, v24, v29
	s_delay_alu instid0(VALU_DEP_1) | instskip(NEXT) | instid1(VALU_DEP_1)
	v_add_f32_e32 v22, v30, v22
	v_dual_sub_f32 v25, v26, v25 :: v_dual_mul_f32 v22, v23, v22
	s_delay_alu instid0(VALU_DEP_1) | instskip(NEXT) | instid1(VALU_DEP_1)
	v_add_f32_e32 v22, v25, v22
	v_add_f32_e32 v23, v24, v22
	s_delay_alu instid0(VALU_DEP_1) | instskip(NEXT) | instid1(VALU_DEP_1)
	v_mul_f32_e32 v25, v23, v23
	v_fmaak_f32 v26, s3, v25, 0x3ecc95a3
	v_mul_f32_e32 v27, v23, v25
	v_cmp_eq_f32_e64 s3, 0x7f800000, v5
	s_delay_alu instid0(VALU_DEP_3) | instskip(SKIP_2) | instid1(VALU_DEP_4)
	v_fmaak_f32 v25, v25, v26, 0x3f2aaada
	v_ldexp_f32 v26, v23, 1
	v_sub_f32_e32 v23, v23, v24
	s_or_b32 s3, s3, s7
	s_delay_alu instid0(VALU_DEP_3) | instskip(NEXT) | instid1(VALU_DEP_2)
	v_mul_f32_e32 v25, v27, v25
	v_dual_mul_f32 v27, 0x3f317218, v21 :: v_dual_sub_f32 v22, v22, v23
	s_delay_alu instid0(VALU_DEP_2) | instskip(NEXT) | instid1(VALU_DEP_2)
	v_add_f32_e32 v24, v26, v25
	v_ldexp_f32 v22, v22, 1
	s_delay_alu instid0(VALU_DEP_2) | instskip(NEXT) | instid1(VALU_DEP_4)
	v_sub_f32_e32 v23, v24, v26
	v_fma_f32 v26, 0x3f317218, v21, -v27
	s_delay_alu instid0(VALU_DEP_2) | instskip(NEXT) | instid1(VALU_DEP_1)
	v_sub_f32_e32 v23, v25, v23
	v_dual_fmamk_f32 v21, v21, 0xb102e308, v26 :: v_dual_add_f32 v22, v22, v23
	s_delay_alu instid0(VALU_DEP_1) | instskip(NEXT) | instid1(VALU_DEP_1)
	v_add_f32_e32 v23, v27, v21
	v_sub_f32_e32 v27, v23, v27
	s_delay_alu instid0(VALU_DEP_1) | instskip(NEXT) | instid1(VALU_DEP_4)
	v_sub_f32_e32 v21, v21, v27
	v_add_f32_e32 v25, v24, v22
	s_delay_alu instid0(VALU_DEP_1) | instskip(NEXT) | instid1(VALU_DEP_1)
	v_sub_f32_e32 v24, v25, v24
	v_sub_f32_e32 v22, v22, v24
	v_add_f32_e32 v26, v23, v25
	s_delay_alu instid0(VALU_DEP_1) | instskip(NEXT) | instid1(VALU_DEP_1)
	v_sub_f32_e32 v28, v26, v23
	v_sub_f32_e32 v24, v25, v28
	s_delay_alu instid0(VALU_DEP_4) | instskip(SKIP_1) | instid1(VALU_DEP_1)
	v_add_f32_e32 v25, v21, v22
	v_sub_f32_e32 v29, v26, v28
	v_sub_f32_e32 v23, v23, v29
	s_delay_alu instid0(VALU_DEP_1) | instskip(NEXT) | instid1(VALU_DEP_1)
	v_dual_add_f32 v23, v24, v23 :: v_dual_sub_f32 v24, v25, v21
	v_dual_add_f32 v23, v25, v23 :: v_dual_sub_f32 v22, v22, v24
	v_sub_f32_e32 v25, v25, v24
	s_delay_alu instid0(VALU_DEP_2) | instskip(NEXT) | instid1(VALU_DEP_1)
	v_add_f32_e32 v27, v26, v23
	v_dual_sub_f32 v21, v21, v25 :: v_dual_sub_f32 v24, v27, v26
	s_delay_alu instid0(VALU_DEP_1) | instskip(NEXT) | instid1(VALU_DEP_1)
	v_dual_add_f32 v21, v22, v21 :: v_dual_sub_f32 v22, v23, v24
	v_add_f32_e32 v21, v21, v22
	s_delay_alu instid0(VALU_DEP_1) | instskip(NEXT) | instid1(VALU_DEP_1)
	v_add_f32_e32 v21, v27, v21
	v_cndmask_b32_e64 v5, v21, v5, s3
	s_delay_alu instid0(VALU_DEP_1)
	v_add_f32_e32 v5, v6, v5
.LBB164_212:
	s_or_b32 exec_lo, exec_lo, s6
	ds_store_b32 v20, v5 offset:28
.LBB164_213:
	s_or_b32 exec_lo, exec_lo, s8
	s_waitcnt lgkmcnt(0)
	s_barrier
	buffer_gl0_inv
	s_and_saveexec_b32 s3, s2
	s_cbranch_execz .LBB164_215
; %bb.214:
	v_add_nc_u32_e32 v4, -1, v0
	s_delay_alu instid0(VALU_DEP_1) | instskip(NEXT) | instid1(VALU_DEP_1)
	v_lshrrev_b32_e32 v5, 5, v4
	v_add_lshl_u32 v4, v5, v4, 2
	ds_load_b32 v4, v4
.LBB164_215:
	s_or_b32 exec_lo, exec_lo, s3
	s_and_saveexec_b32 s3, s2
	s_cbranch_execz .LBB164_219
; %bb.216:
	s_waitcnt lgkmcnt(0)
	v_max_f32_e32 v3, v4, v4
	v_cmp_u_f32_e64 s2, v4, v4
	s_delay_alu instid0(VALU_DEP_2) | instskip(SKIP_1) | instid1(VALU_DEP_2)
	v_min_f32_e32 v5, v3, v19
	v_max_f32_e32 v3, v3, v19
	v_cndmask_b32_e64 v5, v5, v4, s2
	s_delay_alu instid0(VALU_DEP_2) | instskip(NEXT) | instid1(VALU_DEP_2)
	v_cndmask_b32_e64 v6, v3, v4, s2
	v_cndmask_b32_e64 v3, v5, v1, s5
	s_delay_alu instid0(VALU_DEP_2) | instskip(NEXT) | instid1(VALU_DEP_2)
	v_cndmask_b32_e64 v1, v6, v1, s5
	v_cmp_class_f32_e64 s5, v3, 0x1f8
	s_delay_alu instid0(VALU_DEP_2) | instskip(NEXT) | instid1(VALU_DEP_1)
	v_cmp_neq_f32_e64 s2, v3, v1
	s_or_b32 s2, s2, s5
	s_delay_alu instid0(SALU_CYCLE_1)
	s_and_saveexec_b32 s5, s2
	s_cbranch_execz .LBB164_218
; %bb.217:
	v_sub_f32_e32 v3, v3, v1
	s_delay_alu instid0(VALU_DEP_1) | instskip(NEXT) | instid1(VALU_DEP_1)
	v_mul_f32_e32 v4, 0x3fb8aa3b, v3
	v_fma_f32 v5, 0x3fb8aa3b, v3, -v4
	v_rndne_f32_e32 v6, v4
	s_delay_alu instid0(VALU_DEP_1) | instskip(SKIP_1) | instid1(VALU_DEP_2)
	v_dual_sub_f32 v4, v4, v6 :: v_dual_fmamk_f32 v5, v3, 0x32a5705f, v5
	v_cmp_ngt_f32_e64 s2, 0xc2ce8ed0, v3
	v_add_f32_e32 v4, v4, v5
	v_cvt_i32_f32_e32 v5, v6
	s_delay_alu instid0(VALU_DEP_2) | instskip(SKIP_2) | instid1(VALU_DEP_1)
	v_exp_f32_e32 v4, v4
	s_waitcnt_depctr 0xfff
	v_ldexp_f32 v4, v4, v5
	v_cndmask_b32_e64 v4, 0, v4, s2
	v_cmp_nlt_f32_e64 s2, 0x42b17218, v3
	s_delay_alu instid0(VALU_DEP_1) | instskip(NEXT) | instid1(VALU_DEP_1)
	v_cndmask_b32_e64 v5, 0x7f800000, v4, s2
	v_add_f32_e32 v6, 1.0, v5
	v_cmp_gt_f32_e64 s6, 0x33800000, |v5|
	s_delay_alu instid0(VALU_DEP_2) | instskip(NEXT) | instid1(VALU_DEP_1)
	v_cvt_f64_f32_e32 v[3:4], v6
	v_frexp_exp_i32_f64_e32 v3, v[3:4]
	v_frexp_mant_f32_e32 v4, v6
	s_delay_alu instid0(VALU_DEP_1) | instskip(SKIP_1) | instid1(VALU_DEP_1)
	v_cmp_gt_f32_e64 s2, 0x3f2aaaab, v4
	v_add_f32_e32 v4, -1.0, v6
	v_sub_f32_e32 v12, v4, v6
	v_sub_f32_e32 v4, v5, v4
	s_delay_alu instid0(VALU_DEP_2) | instskip(NEXT) | instid1(VALU_DEP_1)
	v_add_f32_e32 v12, 1.0, v12
	v_add_f32_e32 v4, v4, v12
	v_subrev_co_ci_u32_e64 v3, s2, 0, v3, s2
	s_mov_b32 s2, 0x3e9b6dac
	s_delay_alu instid0(VALU_DEP_1) | instskip(SKIP_1) | instid1(VALU_DEP_2)
	v_sub_nc_u32_e32 v11, 0, v3
	v_cvt_f32_i32_e32 v3, v3
	v_ldexp_f32 v6, v6, v11
	v_ldexp_f32 v4, v4, v11
	s_delay_alu instid0(VALU_DEP_2) | instskip(NEXT) | instid1(VALU_DEP_1)
	v_add_f32_e32 v19, 1.0, v6
	v_dual_add_f32 v11, -1.0, v6 :: v_dual_add_f32 v12, -1.0, v19
	s_delay_alu instid0(VALU_DEP_1) | instskip(NEXT) | instid1(VALU_DEP_2)
	v_add_f32_e32 v20, 1.0, v11
	v_sub_f32_e32 v12, v6, v12
	s_delay_alu instid0(VALU_DEP_2) | instskip(NEXT) | instid1(VALU_DEP_2)
	v_sub_f32_e32 v6, v6, v20
	v_add_f32_e32 v12, v4, v12
	s_delay_alu instid0(VALU_DEP_2) | instskip(NEXT) | instid1(VALU_DEP_2)
	v_add_f32_e32 v4, v4, v6
	v_add_f32_e32 v20, v19, v12
	s_delay_alu instid0(VALU_DEP_2) | instskip(NEXT) | instid1(VALU_DEP_2)
	v_add_f32_e32 v21, v11, v4
	v_rcp_f32_e32 v6, v20
	v_sub_f32_e32 v19, v19, v20
	s_delay_alu instid0(VALU_DEP_1) | instskip(SKIP_2) | instid1(VALU_DEP_1)
	v_dual_sub_f32 v11, v11, v21 :: v_dual_add_f32 v12, v12, v19
	s_waitcnt_depctr 0xfff
	v_mul_f32_e32 v22, v21, v6
	v_mul_f32_e32 v23, v20, v22
	s_delay_alu instid0(VALU_DEP_1) | instskip(NEXT) | instid1(VALU_DEP_1)
	v_fma_f32 v19, v22, v20, -v23
	v_fmac_f32_e32 v19, v22, v12
	s_delay_alu instid0(VALU_DEP_1) | instskip(NEXT) | instid1(VALU_DEP_1)
	v_add_f32_e32 v24, v23, v19
	v_sub_f32_e32 v25, v21, v24
	s_delay_alu instid0(VALU_DEP_1) | instskip(NEXT) | instid1(VALU_DEP_1)
	v_sub_f32_e32 v21, v21, v25
	v_dual_sub_f32 v21, v21, v24 :: v_dual_add_f32 v4, v4, v11
	v_sub_f32_e32 v11, v24, v23
	s_delay_alu instid0(VALU_DEP_1) | instskip(NEXT) | instid1(VALU_DEP_1)
	v_dual_add_f32 v4, v4, v21 :: v_dual_sub_f32 v11, v11, v19
	v_add_f32_e32 v4, v11, v4
	s_delay_alu instid0(VALU_DEP_1) | instskip(NEXT) | instid1(VALU_DEP_1)
	v_add_f32_e32 v11, v25, v4
	v_mul_f32_e32 v19, v6, v11
	v_sub_f32_e32 v24, v25, v11
	s_delay_alu instid0(VALU_DEP_2) | instskip(NEXT) | instid1(VALU_DEP_2)
	v_mul_f32_e32 v21, v20, v19
	v_add_f32_e32 v4, v4, v24
	s_delay_alu instid0(VALU_DEP_2) | instskip(NEXT) | instid1(VALU_DEP_1)
	v_fma_f32 v20, v19, v20, -v21
	v_fmac_f32_e32 v20, v19, v12
	s_delay_alu instid0(VALU_DEP_1) | instskip(NEXT) | instid1(VALU_DEP_1)
	v_add_f32_e32 v12, v21, v20
	v_sub_f32_e32 v23, v11, v12
	v_sub_f32_e32 v21, v12, v21
	s_delay_alu instid0(VALU_DEP_2) | instskip(NEXT) | instid1(VALU_DEP_1)
	v_sub_f32_e32 v11, v11, v23
	v_sub_f32_e32 v11, v11, v12
	s_delay_alu instid0(VALU_DEP_3) | instskip(NEXT) | instid1(VALU_DEP_2)
	v_sub_f32_e32 v12, v21, v20
	v_add_f32_e32 v4, v4, v11
	s_delay_alu instid0(VALU_DEP_1) | instskip(NEXT) | instid1(VALU_DEP_1)
	v_dual_add_f32 v11, v22, v19 :: v_dual_add_f32 v4, v12, v4
	v_sub_f32_e32 v12, v11, v22
	s_delay_alu instid0(VALU_DEP_2) | instskip(NEXT) | instid1(VALU_DEP_2)
	v_add_f32_e32 v4, v23, v4
	v_sub_f32_e32 v12, v19, v12
	s_delay_alu instid0(VALU_DEP_2) | instskip(NEXT) | instid1(VALU_DEP_1)
	v_mul_f32_e32 v4, v6, v4
	v_add_f32_e32 v4, v12, v4
	s_delay_alu instid0(VALU_DEP_1) | instskip(NEXT) | instid1(VALU_DEP_1)
	v_add_f32_e32 v6, v11, v4
	v_mul_f32_e32 v12, v6, v6
	s_delay_alu instid0(VALU_DEP_1) | instskip(SKIP_2) | instid1(VALU_DEP_3)
	v_fmaak_f32 v19, s2, v12, 0x3ecc95a3
	v_mul_f32_e32 v20, v6, v12
	v_cmp_eq_f32_e64 s2, 0x7f800000, v5
	v_fmaak_f32 v12, v12, v19, 0x3f2aaada
	v_ldexp_f32 v19, v6, 1
	v_sub_f32_e32 v6, v6, v11
	s_delay_alu instid0(VALU_DEP_4) | instskip(NEXT) | instid1(VALU_DEP_3)
	s_or_b32 s2, s2, s6
	v_mul_f32_e32 v12, v20, v12
	s_delay_alu instid0(VALU_DEP_1) | instskip(NEXT) | instid1(VALU_DEP_1)
	v_dual_sub_f32 v4, v4, v6 :: v_dual_add_f32 v11, v19, v12
	v_ldexp_f32 v4, v4, 1
	s_delay_alu instid0(VALU_DEP_2) | instskip(NEXT) | instid1(VALU_DEP_1)
	v_sub_f32_e32 v6, v11, v19
	v_sub_f32_e32 v6, v12, v6
	s_delay_alu instid0(VALU_DEP_1) | instskip(NEXT) | instid1(VALU_DEP_1)
	v_add_f32_e32 v4, v4, v6
	v_add_f32_e32 v12, v11, v4
	v_mul_f32_e32 v20, 0x3f317218, v3
	s_delay_alu instid0(VALU_DEP_2) | instskip(NEXT) | instid1(VALU_DEP_2)
	v_sub_f32_e32 v11, v12, v11
	v_fma_f32 v19, 0x3f317218, v3, -v20
	s_delay_alu instid0(VALU_DEP_1) | instskip(NEXT) | instid1(VALU_DEP_1)
	v_dual_sub_f32 v4, v4, v11 :: v_dual_fmamk_f32 v3, v3, 0xb102e308, v19
	v_add_f32_e32 v6, v20, v3
	s_delay_alu instid0(VALU_DEP_1) | instskip(NEXT) | instid1(VALU_DEP_1)
	v_add_f32_e32 v19, v6, v12
	v_dual_sub_f32 v20, v6, v20 :: v_dual_sub_f32 v21, v19, v6
	s_delay_alu instid0(VALU_DEP_1) | instskip(NEXT) | instid1(VALU_DEP_2)
	v_sub_f32_e32 v3, v3, v20
	v_sub_f32_e32 v22, v19, v21
	s_delay_alu instid0(VALU_DEP_2) | instskip(NEXT) | instid1(VALU_DEP_2)
	v_dual_sub_f32 v11, v12, v21 :: v_dual_add_f32 v12, v3, v4
	v_sub_f32_e32 v6, v6, v22
	s_delay_alu instid0(VALU_DEP_1) | instskip(NEXT) | instid1(VALU_DEP_1)
	v_dual_add_f32 v6, v11, v6 :: v_dual_sub_f32 v11, v12, v3
	v_add_f32_e32 v6, v12, v6
	s_delay_alu instid0(VALU_DEP_2) | instskip(SKIP_1) | instid1(VALU_DEP_3)
	v_sub_f32_e32 v12, v12, v11
	v_sub_f32_e32 v4, v4, v11
	v_add_f32_e32 v20, v19, v6
	s_delay_alu instid0(VALU_DEP_3) | instskip(NEXT) | instid1(VALU_DEP_2)
	v_sub_f32_e32 v3, v3, v12
	v_sub_f32_e32 v11, v20, v19
	s_delay_alu instid0(VALU_DEP_2) | instskip(NEXT) | instid1(VALU_DEP_2)
	v_add_f32_e32 v3, v4, v3
	v_sub_f32_e32 v4, v6, v11
	s_delay_alu instid0(VALU_DEP_1) | instskip(NEXT) | instid1(VALU_DEP_1)
	v_add_f32_e32 v3, v3, v4
	v_add_f32_e32 v3, v20, v3
	s_delay_alu instid0(VALU_DEP_1) | instskip(NEXT) | instid1(VALU_DEP_1)
	v_cndmask_b32_e64 v3, v3, v5, s2
	v_add_f32_e32 v4, v1, v3
.LBB164_218:
	s_or_b32 exec_lo, exec_lo, s5
	s_delay_alu instid0(VALU_DEP_1) | instskip(SKIP_2) | instid1(VALU_DEP_2)
	v_max_f32_e32 v3, v4, v4
	v_mov_b32_e32 v1, v4
	;;#ASMSTART
	;;#ASMEND
	v_max_f32_e32 v12, v3, v18
	v_min_f32_e32 v11, v3, v18
	v_mov_b32_e32 v3, v4
	v_mov_b32_e32 v4, v5
	;; [unrolled: 1-line block ×4, first 2 shown]
.LBB164_219:
	s_or_b32 exec_lo, exec_lo, s3
	v_cmp_u_f32_e64 s2, v1, v1
	s_waitcnt lgkmcnt(0)
	s_delay_alu instid0(VALU_DEP_1) | instskip(SKIP_1) | instid1(VALU_DEP_2)
	v_cndmask_b32_e64 v4, v11, v1, s2
	v_cndmask_b32_e64 v5, v12, v1, s2
	v_cndmask_b32_e32 v4, v4, v2, vcc_lo
	s_delay_alu instid0(VALU_DEP_2) | instskip(NEXT) | instid1(VALU_DEP_2)
	v_cndmask_b32_e32 v2, v5, v2, vcc_lo
	v_cmp_class_f32_e64 s2, v4, 0x1f8
	s_delay_alu instid0(VALU_DEP_2) | instskip(NEXT) | instid1(VALU_DEP_2)
	v_cmp_neq_f32_e32 vcc_lo, v4, v2
	s_or_b32 s3, vcc_lo, s2
	s_delay_alu instid0(SALU_CYCLE_1)
	s_and_saveexec_b32 s2, s3
	s_cbranch_execz .LBB164_221
; %bb.220:
	v_sub_f32_e32 v1, v4, v2
	s_mov_b32 s3, 0x3e9b6dac
	s_delay_alu instid0(VALU_DEP_1) | instskip(SKIP_1) | instid1(VALU_DEP_2)
	v_mul_f32_e32 v4, 0x3fb8aa3b, v1
	v_cmp_ngt_f32_e32 vcc_lo, 0xc2ce8ed0, v1
	v_fma_f32 v5, 0x3fb8aa3b, v1, -v4
	v_rndne_f32_e32 v6, v4
	s_delay_alu instid0(VALU_DEP_1) | instskip(NEXT) | instid1(VALU_DEP_1)
	v_dual_fmamk_f32 v5, v1, 0x32a5705f, v5 :: v_dual_sub_f32 v4, v4, v6
	v_add_f32_e32 v4, v4, v5
	v_cvt_i32_f32_e32 v5, v6
	s_delay_alu instid0(VALU_DEP_2) | instskip(SKIP_2) | instid1(VALU_DEP_1)
	v_exp_f32_e32 v4, v4
	s_waitcnt_depctr 0xfff
	v_ldexp_f32 v4, v4, v5
	v_cndmask_b32_e32 v4, 0, v4, vcc_lo
	v_cmp_nlt_f32_e32 vcc_lo, 0x42b17218, v1
	s_delay_alu instid0(VALU_DEP_2) | instskip(NEXT) | instid1(VALU_DEP_1)
	v_cndmask_b32_e32 v1, 0x7f800000, v4, vcc_lo
	v_add_f32_e32 v6, 1.0, v1
	s_delay_alu instid0(VALU_DEP_1) | instskip(NEXT) | instid1(VALU_DEP_1)
	v_cvt_f64_f32_e32 v[4:5], v6
	v_frexp_exp_i32_f64_e32 v4, v[4:5]
	v_frexp_mant_f32_e32 v5, v6
	s_delay_alu instid0(VALU_DEP_1) | instskip(SKIP_1) | instid1(VALU_DEP_1)
	v_cmp_gt_f32_e32 vcc_lo, 0x3f2aaaab, v5
	v_add_f32_e32 v5, -1.0, v6
	v_sub_f32_e32 v12, v5, v6
	s_delay_alu instid0(VALU_DEP_1) | instskip(NEXT) | instid1(VALU_DEP_1)
	v_dual_sub_f32 v5, v1, v5 :: v_dual_add_f32 v12, 1.0, v12
	v_add_f32_e32 v5, v5, v12
	v_subrev_co_ci_u32_e32 v4, vcc_lo, 0, v4, vcc_lo
	v_cmp_eq_f32_e32 vcc_lo, 0x7f800000, v1
	s_delay_alu instid0(VALU_DEP_2) | instskip(SKIP_1) | instid1(VALU_DEP_2)
	v_sub_nc_u32_e32 v11, 0, v4
	v_cvt_f32_i32_e32 v4, v4
	v_ldexp_f32 v6, v6, v11
	v_ldexp_f32 v5, v5, v11
	s_delay_alu instid0(VALU_DEP_2) | instskip(SKIP_1) | instid1(VALU_DEP_1)
	v_add_f32_e32 v11, -1.0, v6
	v_add_f32_e32 v18, 1.0, v6
	v_add_f32_e32 v12, -1.0, v18
	s_delay_alu instid0(VALU_DEP_1) | instskip(NEXT) | instid1(VALU_DEP_1)
	v_dual_sub_f32 v12, v6, v12 :: v_dual_add_f32 v19, 1.0, v11
	v_add_f32_e32 v12, v5, v12
	s_delay_alu instid0(VALU_DEP_2) | instskip(NEXT) | instid1(VALU_DEP_1)
	v_sub_f32_e32 v6, v6, v19
	v_add_f32_e32 v5, v5, v6
	s_delay_alu instid0(VALU_DEP_1) | instskip(NEXT) | instid1(VALU_DEP_1)
	v_add_f32_e32 v20, v11, v5
	v_sub_f32_e32 v11, v11, v20
	v_add_f32_e32 v19, v18, v12
	s_delay_alu instid0(VALU_DEP_1) | instskip(SKIP_1) | instid1(VALU_DEP_3)
	v_rcp_f32_e32 v6, v19
	v_sub_f32_e32 v18, v18, v19
	v_add_f32_e32 v5, v5, v11
	s_waitcnt_depctr 0xfff
	v_mul_f32_e32 v21, v20, v6
	v_add_f32_e32 v12, v12, v18
	s_delay_alu instid0(VALU_DEP_2) | instskip(NEXT) | instid1(VALU_DEP_1)
	v_mul_f32_e32 v22, v19, v21
	v_fma_f32 v18, v21, v19, -v22
	s_delay_alu instid0(VALU_DEP_1) | instskip(NEXT) | instid1(VALU_DEP_1)
	v_fmac_f32_e32 v18, v21, v12
	v_add_f32_e32 v23, v22, v18
	s_delay_alu instid0(VALU_DEP_1) | instskip(NEXT) | instid1(VALU_DEP_1)
	v_sub_f32_e32 v24, v20, v23
	v_sub_f32_e32 v20, v20, v24
	s_delay_alu instid0(VALU_DEP_1) | instskip(NEXT) | instid1(VALU_DEP_1)
	v_sub_f32_e32 v20, v20, v23
	v_add_f32_e32 v5, v5, v20
	v_sub_f32_e32 v11, v23, v22
	s_delay_alu instid0(VALU_DEP_1) | instskip(NEXT) | instid1(VALU_DEP_1)
	v_sub_f32_e32 v11, v11, v18
	v_add_f32_e32 v5, v11, v5
	s_delay_alu instid0(VALU_DEP_1) | instskip(NEXT) | instid1(VALU_DEP_1)
	v_add_f32_e32 v11, v24, v5
	v_mul_f32_e32 v18, v6, v11
	s_delay_alu instid0(VALU_DEP_1) | instskip(NEXT) | instid1(VALU_DEP_1)
	v_dual_mul_f32 v20, v19, v18 :: v_dual_sub_f32 v23, v24, v11
	v_fma_f32 v19, v18, v19, -v20
	s_delay_alu instid0(VALU_DEP_1) | instskip(NEXT) | instid1(VALU_DEP_1)
	v_fmac_f32_e32 v19, v18, v12
	v_add_f32_e32 v12, v20, v19
	s_delay_alu instid0(VALU_DEP_1) | instskip(NEXT) | instid1(VALU_DEP_1)
	v_dual_add_f32 v5, v5, v23 :: v_dual_sub_f32 v22, v11, v12
	v_sub_f32_e32 v11, v11, v22
	s_delay_alu instid0(VALU_DEP_1) | instskip(NEXT) | instid1(VALU_DEP_1)
	v_sub_f32_e32 v11, v11, v12
	v_add_f32_e32 v5, v5, v11
	v_dual_add_f32 v11, v21, v18 :: v_dual_sub_f32 v20, v12, v20
	s_delay_alu instid0(VALU_DEP_1) | instskip(NEXT) | instid1(VALU_DEP_1)
	v_sub_f32_e32 v12, v20, v19
	v_add_f32_e32 v5, v12, v5
	s_delay_alu instid0(VALU_DEP_3) | instskip(NEXT) | instid1(VALU_DEP_1)
	v_sub_f32_e32 v12, v11, v21
	v_sub_f32_e32 v12, v18, v12
	s_delay_alu instid0(VALU_DEP_3) | instskip(NEXT) | instid1(VALU_DEP_1)
	v_add_f32_e32 v5, v22, v5
	v_mul_f32_e32 v5, v6, v5
	s_delay_alu instid0(VALU_DEP_1) | instskip(NEXT) | instid1(VALU_DEP_1)
	v_add_f32_e32 v5, v12, v5
	v_add_f32_e32 v6, v11, v5
	s_delay_alu instid0(VALU_DEP_1) | instskip(NEXT) | instid1(VALU_DEP_1)
	v_mul_f32_e32 v12, v6, v6
	v_fmaak_f32 v18, s3, v12, 0x3ecc95a3
	v_mul_f32_e32 v19, v6, v12
	v_cmp_gt_f32_e64 s3, 0x33800000, |v1|
	s_delay_alu instid0(VALU_DEP_3) | instskip(SKIP_2) | instid1(VALU_DEP_4)
	v_fmaak_f32 v12, v12, v18, 0x3f2aaada
	v_ldexp_f32 v18, v6, 1
	v_sub_f32_e32 v6, v6, v11
	s_or_b32 vcc_lo, vcc_lo, s3
	s_delay_alu instid0(VALU_DEP_3) | instskip(SKIP_1) | instid1(VALU_DEP_3)
	v_mul_f32_e32 v12, v19, v12
	v_mul_f32_e32 v19, 0x3f317218, v4
	v_sub_f32_e32 v5, v5, v6
	s_delay_alu instid0(VALU_DEP_3) | instskip(NEXT) | instid1(VALU_DEP_2)
	v_add_f32_e32 v11, v18, v12
	v_ldexp_f32 v5, v5, 1
	s_delay_alu instid0(VALU_DEP_2) | instskip(SKIP_1) | instid1(VALU_DEP_2)
	v_sub_f32_e32 v6, v11, v18
	v_fma_f32 v18, 0x3f317218, v4, -v19
	v_sub_f32_e32 v6, v12, v6
	s_delay_alu instid0(VALU_DEP_1) | instskip(NEXT) | instid1(VALU_DEP_1)
	v_dual_fmamk_f32 v4, v4, 0xb102e308, v18 :: v_dual_add_f32 v5, v5, v6
	v_add_f32_e32 v12, v11, v5
	s_delay_alu instid0(VALU_DEP_1) | instskip(NEXT) | instid1(VALU_DEP_1)
	v_dual_sub_f32 v11, v12, v11 :: v_dual_add_f32 v6, v19, v4
	v_sub_f32_e32 v5, v5, v11
	s_delay_alu instid0(VALU_DEP_2) | instskip(SKIP_1) | instid1(VALU_DEP_2)
	v_sub_f32_e32 v19, v6, v19
	v_add_f32_e32 v18, v6, v12
	v_sub_f32_e32 v4, v4, v19
	s_delay_alu instid0(VALU_DEP_2) | instskip(NEXT) | instid1(VALU_DEP_1)
	v_sub_f32_e32 v20, v18, v6
	v_sub_f32_e32 v21, v18, v20
	;; [unrolled: 1-line block ×3, first 2 shown]
	s_delay_alu instid0(VALU_DEP_4) | instskip(NEXT) | instid1(VALU_DEP_3)
	v_add_f32_e32 v12, v4, v5
	v_sub_f32_e32 v6, v6, v21
	s_delay_alu instid0(VALU_DEP_1) | instskip(NEXT) | instid1(VALU_DEP_1)
	v_dual_add_f32 v6, v11, v6 :: v_dual_sub_f32 v11, v12, v4
	v_add_f32_e32 v6, v12, v6
	s_delay_alu instid0(VALU_DEP_2) | instskip(SKIP_1) | instid1(VALU_DEP_3)
	v_sub_f32_e32 v12, v12, v11
	v_sub_f32_e32 v5, v5, v11
	v_add_f32_e32 v19, v18, v6
	s_delay_alu instid0(VALU_DEP_1) | instskip(NEXT) | instid1(VALU_DEP_1)
	v_dual_sub_f32 v11, v19, v18 :: v_dual_sub_f32 v4, v4, v12
	v_dual_add_f32 v4, v5, v4 :: v_dual_sub_f32 v5, v6, v11
	s_delay_alu instid0(VALU_DEP_1) | instskip(NEXT) | instid1(VALU_DEP_1)
	v_add_f32_e32 v4, v4, v5
	v_add_f32_e32 v4, v19, v4
	s_delay_alu instid0(VALU_DEP_1) | instskip(NEXT) | instid1(VALU_DEP_1)
	v_cndmask_b32_e32 v1, v4, v1, vcc_lo
	v_add_f32_e32 v1, v2, v1
.LBB164_221:
	s_or_b32 exec_lo, exec_lo, s2
	s_delay_alu instid0(VALU_DEP_1) | instskip(SKIP_1) | instid1(VALU_DEP_2)
	v_max_f32_e32 v2, v1, v1
	v_cmp_u_f32_e32 vcc_lo, v1, v1
	v_dual_mov_b32 v5, v1 :: v_dual_min_f32 v4, v2, v9
	v_max_f32_e32 v2, v2, v9
	s_delay_alu instid0(VALU_DEP_2) | instskip(NEXT) | instid1(VALU_DEP_2)
	v_cndmask_b32_e32 v4, v4, v1, vcc_lo
	v_cndmask_b32_e32 v2, v2, v1, vcc_lo
	s_delay_alu instid0(VALU_DEP_2) | instskip(NEXT) | instid1(VALU_DEP_2)
	v_cndmask_b32_e64 v4, v4, v7, s1
	v_cndmask_b32_e64 v2, v2, v7, s1
	s_delay_alu instid0(VALU_DEP_2) | instskip(NEXT) | instid1(VALU_DEP_2)
	v_cmp_class_f32_e64 s1, v4, 0x1f8
	v_cmp_neq_f32_e32 vcc_lo, v4, v2
	s_delay_alu instid0(VALU_DEP_2) | instskip(NEXT) | instid1(SALU_CYCLE_1)
	s_or_b32 s2, vcc_lo, s1
	s_and_saveexec_b32 s1, s2
	s_cbranch_execz .LBB164_223
; %bb.222:
	v_sub_f32_e32 v4, v4, v2
	s_mov_b32 s2, 0x3e9b6dac
	s_delay_alu instid0(VALU_DEP_1) | instskip(NEXT) | instid1(VALU_DEP_1)
	v_mul_f32_e32 v5, 0x3fb8aa3b, v4
	v_fma_f32 v6, 0x3fb8aa3b, v4, -v5
	v_rndne_f32_e32 v7, v5
	s_delay_alu instid0(VALU_DEP_1) | instskip(SKIP_1) | instid1(VALU_DEP_4)
	v_sub_f32_e32 v5, v5, v7
	v_cmp_ngt_f32_e32 vcc_lo, 0xc2ce8ed0, v4
	v_fmamk_f32 v6, v4, 0x32a5705f, v6
	s_delay_alu instid0(VALU_DEP_1) | instskip(SKIP_1) | instid1(VALU_DEP_2)
	v_add_f32_e32 v5, v5, v6
	v_cvt_i32_f32_e32 v6, v7
	v_exp_f32_e32 v5, v5
	s_waitcnt_depctr 0xfff
	v_ldexp_f32 v5, v5, v6
	s_delay_alu instid0(VALU_DEP_1) | instskip(SKIP_1) | instid1(VALU_DEP_2)
	v_cndmask_b32_e32 v5, 0, v5, vcc_lo
	v_cmp_nlt_f32_e32 vcc_lo, 0x42b17218, v4
	v_cndmask_b32_e32 v6, 0x7f800000, v5, vcc_lo
	s_delay_alu instid0(VALU_DEP_1) | instskip(NEXT) | instid1(VALU_DEP_1)
	v_add_f32_e32 v7, 1.0, v6
	v_cvt_f64_f32_e32 v[4:5], v7
	s_delay_alu instid0(VALU_DEP_1) | instskip(SKIP_1) | instid1(VALU_DEP_1)
	v_frexp_exp_i32_f64_e32 v4, v[4:5]
	v_frexp_mant_f32_e32 v5, v7
	v_cmp_gt_f32_e32 vcc_lo, 0x3f2aaaab, v5
	v_add_f32_e32 v5, -1.0, v7
	s_delay_alu instid0(VALU_DEP_1) | instskip(SKIP_1) | instid1(VALU_DEP_2)
	v_sub_f32_e32 v11, v5, v7
	v_sub_f32_e32 v5, v6, v5
	v_add_f32_e32 v11, 1.0, v11
	s_delay_alu instid0(VALU_DEP_1) | instskip(SKIP_2) | instid1(VALU_DEP_2)
	v_add_f32_e32 v5, v5, v11
	v_subrev_co_ci_u32_e32 v4, vcc_lo, 0, v4, vcc_lo
	v_cmp_eq_f32_e32 vcc_lo, 0x7f800000, v6
	v_sub_nc_u32_e32 v9, 0, v4
	v_cvt_f32_i32_e32 v4, v4
	s_delay_alu instid0(VALU_DEP_2) | instskip(SKIP_1) | instid1(VALU_DEP_2)
	v_ldexp_f32 v7, v7, v9
	v_ldexp_f32 v5, v5, v9
	v_add_f32_e32 v12, 1.0, v7
	v_add_f32_e32 v9, -1.0, v7
	s_delay_alu instid0(VALU_DEP_1) | instskip(NEXT) | instid1(VALU_DEP_1)
	v_dual_add_f32 v11, -1.0, v12 :: v_dual_add_f32 v18, 1.0, v9
	v_sub_f32_e32 v11, v7, v11
	s_delay_alu instid0(VALU_DEP_2) | instskip(NEXT) | instid1(VALU_DEP_2)
	v_sub_f32_e32 v7, v7, v18
	v_add_f32_e32 v11, v5, v11
	s_delay_alu instid0(VALU_DEP_2) | instskip(NEXT) | instid1(VALU_DEP_2)
	v_add_f32_e32 v5, v5, v7
	v_add_f32_e32 v18, v12, v11
	s_delay_alu instid0(VALU_DEP_1) | instskip(SKIP_1) | instid1(VALU_DEP_1)
	v_rcp_f32_e32 v7, v18
	v_sub_f32_e32 v12, v12, v18
	v_add_f32_e32 v11, v11, v12
	v_add_f32_e32 v19, v9, v5
	s_waitcnt_depctr 0xfff
	v_mul_f32_e32 v20, v19, v7
	v_sub_f32_e32 v9, v9, v19
	s_delay_alu instid0(VALU_DEP_2) | instskip(NEXT) | instid1(VALU_DEP_2)
	v_mul_f32_e32 v21, v18, v20
	v_add_f32_e32 v5, v5, v9
	s_delay_alu instid0(VALU_DEP_2) | instskip(NEXT) | instid1(VALU_DEP_1)
	v_fma_f32 v12, v20, v18, -v21
	v_fmac_f32_e32 v12, v20, v11
	s_delay_alu instid0(VALU_DEP_1) | instskip(NEXT) | instid1(VALU_DEP_1)
	v_add_f32_e32 v22, v21, v12
	v_sub_f32_e32 v23, v19, v22
	v_sub_f32_e32 v9, v22, v21
	s_delay_alu instid0(VALU_DEP_2) | instskip(NEXT) | instid1(VALU_DEP_2)
	v_sub_f32_e32 v19, v19, v23
	v_sub_f32_e32 v9, v9, v12
	s_delay_alu instid0(VALU_DEP_2) | instskip(NEXT) | instid1(VALU_DEP_1)
	v_sub_f32_e32 v19, v19, v22
	v_add_f32_e32 v5, v5, v19
	s_delay_alu instid0(VALU_DEP_1) | instskip(NEXT) | instid1(VALU_DEP_1)
	v_add_f32_e32 v5, v9, v5
	v_add_f32_e32 v9, v23, v5
	s_delay_alu instid0(VALU_DEP_1) | instskip(NEXT) | instid1(VALU_DEP_1)
	v_mul_f32_e32 v12, v7, v9
	v_dual_sub_f32 v22, v23, v9 :: v_dual_mul_f32 v19, v18, v12
	s_delay_alu instid0(VALU_DEP_1) | instskip(NEXT) | instid1(VALU_DEP_2)
	v_add_f32_e32 v5, v5, v22
	v_fma_f32 v18, v12, v18, -v19
	s_delay_alu instid0(VALU_DEP_1) | instskip(NEXT) | instid1(VALU_DEP_1)
	v_fmac_f32_e32 v18, v12, v11
	v_add_f32_e32 v11, v19, v18
	s_delay_alu instid0(VALU_DEP_1) | instskip(SKIP_1) | instid1(VALU_DEP_2)
	v_sub_f32_e32 v21, v9, v11
	v_sub_f32_e32 v19, v11, v19
	v_sub_f32_e32 v9, v9, v21
	s_delay_alu instid0(VALU_DEP_1) | instskip(NEXT) | instid1(VALU_DEP_3)
	v_sub_f32_e32 v9, v9, v11
	v_sub_f32_e32 v11, v19, v18
	s_delay_alu instid0(VALU_DEP_2) | instskip(SKIP_1) | instid1(VALU_DEP_2)
	v_add_f32_e32 v5, v5, v9
	v_add_f32_e32 v9, v20, v12
	v_add_f32_e32 v5, v11, v5
	s_delay_alu instid0(VALU_DEP_2) | instskip(NEXT) | instid1(VALU_DEP_2)
	v_sub_f32_e32 v11, v9, v20
	v_add_f32_e32 v5, v21, v5
	s_delay_alu instid0(VALU_DEP_2) | instskip(NEXT) | instid1(VALU_DEP_2)
	v_sub_f32_e32 v11, v12, v11
	v_mul_f32_e32 v5, v7, v5
	s_delay_alu instid0(VALU_DEP_1) | instskip(NEXT) | instid1(VALU_DEP_1)
	v_add_f32_e32 v5, v11, v5
	v_add_f32_e32 v7, v9, v5
	s_delay_alu instid0(VALU_DEP_1) | instskip(NEXT) | instid1(VALU_DEP_1)
	v_mul_f32_e32 v11, v7, v7
	v_fmaak_f32 v12, s2, v11, 0x3ecc95a3
	v_mul_f32_e32 v18, v7, v11
	v_cmp_gt_f32_e64 s2, 0x33800000, |v6|
	s_delay_alu instid0(VALU_DEP_3) | instskip(SKIP_2) | instid1(VALU_DEP_4)
	v_fmaak_f32 v11, v11, v12, 0x3f2aaada
	v_ldexp_f32 v12, v7, 1
	v_sub_f32_e32 v7, v7, v9
	s_or_b32 vcc_lo, vcc_lo, s2
	s_delay_alu instid0(VALU_DEP_3) | instskip(NEXT) | instid1(VALU_DEP_2)
	v_dual_mul_f32 v11, v18, v11 :: v_dual_mul_f32 v18, 0x3f317218, v4
	v_sub_f32_e32 v5, v5, v7
	s_delay_alu instid0(VALU_DEP_2) | instskip(NEXT) | instid1(VALU_DEP_2)
	v_add_f32_e32 v9, v12, v11
	v_ldexp_f32 v5, v5, 1
	s_delay_alu instid0(VALU_DEP_2) | instskip(SKIP_1) | instid1(VALU_DEP_1)
	v_sub_f32_e32 v7, v9, v12
	v_fma_f32 v12, 0x3f317218, v4, -v18
	v_dual_sub_f32 v7, v11, v7 :: v_dual_fmamk_f32 v4, v4, 0xb102e308, v12
	s_delay_alu instid0(VALU_DEP_1) | instskip(NEXT) | instid1(VALU_DEP_2)
	v_add_f32_e32 v5, v5, v7
	v_add_f32_e32 v7, v18, v4
	s_delay_alu instid0(VALU_DEP_1) | instskip(NEXT) | instid1(VALU_DEP_1)
	v_dual_add_f32 v11, v9, v5 :: v_dual_sub_f32 v18, v7, v18
	v_add_f32_e32 v12, v7, v11
	s_delay_alu instid0(VALU_DEP_2) | instskip(NEXT) | instid1(VALU_DEP_2)
	v_dual_sub_f32 v9, v11, v9 :: v_dual_sub_f32 v4, v4, v18
	v_sub_f32_e32 v19, v12, v7
	s_delay_alu instid0(VALU_DEP_1) | instskip(SKIP_1) | instid1(VALU_DEP_2)
	v_dual_sub_f32 v5, v5, v9 :: v_dual_sub_f32 v20, v12, v19
	v_sub_f32_e32 v9, v11, v19
	v_add_f32_e32 v11, v4, v5
	s_delay_alu instid0(VALU_DEP_3) | instskip(NEXT) | instid1(VALU_DEP_1)
	v_sub_f32_e32 v7, v7, v20
	v_add_f32_e32 v7, v9, v7
	s_delay_alu instid0(VALU_DEP_3) | instskip(NEXT) | instid1(VALU_DEP_2)
	v_sub_f32_e32 v9, v11, v4
	v_add_f32_e32 v7, v11, v7
	s_delay_alu instid0(VALU_DEP_2) | instskip(NEXT) | instid1(VALU_DEP_2)
	v_sub_f32_e32 v11, v11, v9
	v_dual_sub_f32 v5, v5, v9 :: v_dual_add_f32 v18, v12, v7
	s_delay_alu instid0(VALU_DEP_1) | instskip(NEXT) | instid1(VALU_DEP_1)
	v_dual_sub_f32 v4, v4, v11 :: v_dual_sub_f32 v9, v18, v12
	v_dual_add_f32 v4, v5, v4 :: v_dual_sub_f32 v5, v7, v9
	s_delay_alu instid0(VALU_DEP_1) | instskip(NEXT) | instid1(VALU_DEP_1)
	v_add_f32_e32 v4, v4, v5
	v_add_f32_e32 v4, v18, v4
	s_delay_alu instid0(VALU_DEP_1) | instskip(NEXT) | instid1(VALU_DEP_1)
	v_cndmask_b32_e32 v4, v4, v6, vcc_lo
	v_add_f32_e32 v5, v2, v4
.LBB164_223:
	s_or_b32 exec_lo, exec_lo, s1
	s_delay_alu instid0(VALU_DEP_1) | instskip(SKIP_2) | instid1(VALU_DEP_3)
	v_max_f32_e32 v2, v5, v5
	v_cmp_u_f32_e32 vcc_lo, v5, v5
	v_mov_b32_e32 v6, v5
	v_min_f32_e32 v4, v2, v10
	v_max_f32_e32 v2, v2, v10
	s_delay_alu instid0(VALU_DEP_2) | instskip(NEXT) | instid1(VALU_DEP_2)
	v_cndmask_b32_e32 v4, v4, v5, vcc_lo
	v_cndmask_b32_e32 v2, v2, v5, vcc_lo
	s_delay_alu instid0(VALU_DEP_2) | instskip(NEXT) | instid1(VALU_DEP_2)
	v_cndmask_b32_e64 v4, v4, v8, s4
	v_cndmask_b32_e64 v2, v2, v8, s4
	s_delay_alu instid0(VALU_DEP_2) | instskip(NEXT) | instid1(VALU_DEP_2)
	v_cmp_class_f32_e64 s1, v4, 0x1f8
	v_cmp_neq_f32_e32 vcc_lo, v4, v2
	s_delay_alu instid0(VALU_DEP_2) | instskip(NEXT) | instid1(SALU_CYCLE_1)
	s_or_b32 s2, vcc_lo, s1
	s_and_saveexec_b32 s1, s2
	s_cbranch_execz .LBB164_225
; %bb.224:
	v_sub_f32_e32 v4, v4, v2
	s_mov_b32 s2, 0x3e9b6dac
	s_delay_alu instid0(VALU_DEP_1) | instskip(SKIP_1) | instid1(VALU_DEP_2)
	v_mul_f32_e32 v6, 0x3fb8aa3b, v4
	v_cmp_ngt_f32_e32 vcc_lo, 0xc2ce8ed0, v4
	v_fma_f32 v7, 0x3fb8aa3b, v4, -v6
	v_rndne_f32_e32 v8, v6
	s_delay_alu instid0(VALU_DEP_1) | instskip(NEXT) | instid1(VALU_DEP_1)
	v_dual_fmamk_f32 v7, v4, 0x32a5705f, v7 :: v_dual_sub_f32 v6, v6, v8
	v_add_f32_e32 v6, v6, v7
	v_cvt_i32_f32_e32 v7, v8
	s_delay_alu instid0(VALU_DEP_2) | instskip(SKIP_2) | instid1(VALU_DEP_1)
	v_exp_f32_e32 v6, v6
	s_waitcnt_depctr 0xfff
	v_ldexp_f32 v6, v6, v7
	v_cndmask_b32_e32 v6, 0, v6, vcc_lo
	v_cmp_nlt_f32_e32 vcc_lo, 0x42b17218, v4
	s_delay_alu instid0(VALU_DEP_2) | instskip(NEXT) | instid1(VALU_DEP_1)
	v_cndmask_b32_e32 v4, 0x7f800000, v6, vcc_lo
	v_add_f32_e32 v8, 1.0, v4
	s_delay_alu instid0(VALU_DEP_1) | instskip(NEXT) | instid1(VALU_DEP_1)
	v_cvt_f64_f32_e32 v[6:7], v8
	v_frexp_exp_i32_f64_e32 v6, v[6:7]
	v_frexp_mant_f32_e32 v7, v8
	s_delay_alu instid0(VALU_DEP_1) | instskip(SKIP_1) | instid1(VALU_DEP_1)
	v_cmp_gt_f32_e32 vcc_lo, 0x3f2aaaab, v7
	v_add_f32_e32 v7, -1.0, v8
	v_dual_sub_f32 v10, v7, v8 :: v_dual_sub_f32 v7, v4, v7
	s_delay_alu instid0(VALU_DEP_1) | instskip(NEXT) | instid1(VALU_DEP_1)
	v_add_f32_e32 v10, 1.0, v10
	v_add_f32_e32 v7, v7, v10
	v_subrev_co_ci_u32_e32 v6, vcc_lo, 0, v6, vcc_lo
	s_delay_alu instid0(VALU_DEP_1) | instskip(SKIP_1) | instid1(VALU_DEP_2)
	v_sub_nc_u32_e32 v9, 0, v6
	v_cvt_f32_i32_e32 v6, v6
	v_ldexp_f32 v8, v8, v9
	v_ldexp_f32 v7, v7, v9
	s_delay_alu instid0(VALU_DEP_2) | instskip(NEXT) | instid1(VALU_DEP_1)
	v_add_f32_e32 v11, 1.0, v8
	v_dual_add_f32 v9, -1.0, v8 :: v_dual_add_f32 v10, -1.0, v11
	s_delay_alu instid0(VALU_DEP_1) | instskip(NEXT) | instid1(VALU_DEP_2)
	v_add_f32_e32 v12, 1.0, v9
	v_sub_f32_e32 v10, v8, v10
	s_delay_alu instid0(VALU_DEP_2) | instskip(NEXT) | instid1(VALU_DEP_2)
	v_sub_f32_e32 v8, v8, v12
	v_add_f32_e32 v10, v7, v10
	s_delay_alu instid0(VALU_DEP_2) | instskip(SKIP_1) | instid1(VALU_DEP_3)
	v_add_f32_e32 v7, v7, v8
	v_cmp_eq_f32_e32 vcc_lo, 0x7f800000, v4
	v_add_f32_e32 v12, v11, v10
	s_delay_alu instid0(VALU_DEP_1) | instskip(NEXT) | instid1(VALU_DEP_3)
	v_rcp_f32_e32 v8, v12
	v_dual_add_f32 v18, v9, v7 :: v_dual_sub_f32 v11, v11, v12
	s_delay_alu instid0(VALU_DEP_1) | instskip(SKIP_2) | instid1(VALU_DEP_1)
	v_dual_sub_f32 v9, v9, v18 :: v_dual_add_f32 v10, v10, v11
	s_waitcnt_depctr 0xfff
	v_mul_f32_e32 v19, v18, v8
	v_dual_add_f32 v7, v7, v9 :: v_dual_mul_f32 v20, v12, v19
	s_delay_alu instid0(VALU_DEP_1) | instskip(NEXT) | instid1(VALU_DEP_1)
	v_fma_f32 v11, v19, v12, -v20
	v_fmac_f32_e32 v11, v19, v10
	s_delay_alu instid0(VALU_DEP_1) | instskip(NEXT) | instid1(VALU_DEP_1)
	v_add_f32_e32 v21, v20, v11
	v_sub_f32_e32 v22, v18, v21
	s_delay_alu instid0(VALU_DEP_1) | instskip(NEXT) | instid1(VALU_DEP_1)
	v_sub_f32_e32 v18, v18, v22
	v_sub_f32_e32 v18, v18, v21
	s_delay_alu instid0(VALU_DEP_1) | instskip(SKIP_1) | instid1(VALU_DEP_1)
	v_add_f32_e32 v7, v7, v18
	v_sub_f32_e32 v9, v21, v20
	v_sub_f32_e32 v9, v9, v11
	s_delay_alu instid0(VALU_DEP_1) | instskip(NEXT) | instid1(VALU_DEP_1)
	v_add_f32_e32 v7, v9, v7
	v_add_f32_e32 v9, v22, v7
	s_delay_alu instid0(VALU_DEP_1) | instskip(NEXT) | instid1(VALU_DEP_1)
	v_mul_f32_e32 v11, v8, v9
	v_mul_f32_e32 v18, v12, v11
	s_delay_alu instid0(VALU_DEP_1) | instskip(NEXT) | instid1(VALU_DEP_1)
	v_fma_f32 v12, v11, v12, -v18
	v_dual_fmac_f32 v12, v11, v10 :: v_dual_sub_f32 v21, v22, v9
	s_delay_alu instid0(VALU_DEP_1) | instskip(NEXT) | instid1(VALU_DEP_1)
	v_dual_add_f32 v7, v7, v21 :: v_dual_add_f32 v10, v18, v12
	v_sub_f32_e32 v20, v9, v10
	s_delay_alu instid0(VALU_DEP_1) | instskip(NEXT) | instid1(VALU_DEP_1)
	v_sub_f32_e32 v9, v9, v20
	v_sub_f32_e32 v9, v9, v10
	s_delay_alu instid0(VALU_DEP_1) | instskip(SKIP_1) | instid1(VALU_DEP_1)
	v_add_f32_e32 v7, v7, v9
	v_dual_add_f32 v9, v19, v11 :: v_dual_sub_f32 v18, v10, v18
	v_sub_f32_e32 v10, v18, v12
	s_delay_alu instid0(VALU_DEP_1) | instskip(NEXT) | instid1(VALU_DEP_3)
	v_add_f32_e32 v7, v10, v7
	v_sub_f32_e32 v10, v9, v19
	s_delay_alu instid0(VALU_DEP_1) | instskip(NEXT) | instid1(VALU_DEP_1)
	v_dual_sub_f32 v10, v11, v10 :: v_dual_add_f32 v7, v20, v7
	v_mul_f32_e32 v7, v8, v7
	s_delay_alu instid0(VALU_DEP_1) | instskip(NEXT) | instid1(VALU_DEP_1)
	v_add_f32_e32 v7, v10, v7
	v_add_f32_e32 v8, v9, v7
	s_delay_alu instid0(VALU_DEP_1) | instskip(NEXT) | instid1(VALU_DEP_1)
	v_mul_f32_e32 v10, v8, v8
	v_fmaak_f32 v11, s2, v10, 0x3ecc95a3
	v_mul_f32_e32 v12, v8, v10
	v_cmp_gt_f32_e64 s2, 0x33800000, |v4|
	s_delay_alu instid0(VALU_DEP_3) | instskip(SKIP_1) | instid1(VALU_DEP_3)
	v_fmaak_f32 v10, v10, v11, 0x3f2aaada
	v_ldexp_f32 v11, v8, 1
	s_or_b32 vcc_lo, vcc_lo, s2
	s_delay_alu instid0(VALU_DEP_2) | instskip(NEXT) | instid1(VALU_DEP_1)
	v_mul_f32_e32 v10, v12, v10
	v_dual_sub_f32 v8, v8, v9 :: v_dual_add_f32 v9, v11, v10
	s_delay_alu instid0(VALU_DEP_1) | instskip(NEXT) | instid1(VALU_DEP_1)
	v_dual_sub_f32 v7, v7, v8 :: v_dual_sub_f32 v8, v9, v11
	v_ldexp_f32 v7, v7, 1
	s_delay_alu instid0(VALU_DEP_2) | instskip(NEXT) | instid1(VALU_DEP_1)
	v_sub_f32_e32 v8, v10, v8
	v_add_f32_e32 v7, v7, v8
	s_delay_alu instid0(VALU_DEP_1) | instskip(NEXT) | instid1(VALU_DEP_1)
	v_add_f32_e32 v10, v9, v7
	v_dual_mul_f32 v12, 0x3f317218, v6 :: v_dual_sub_f32 v9, v10, v9
	s_delay_alu instid0(VALU_DEP_1) | instskip(NEXT) | instid1(VALU_DEP_1)
	v_fma_f32 v11, 0x3f317218, v6, -v12
	v_dual_sub_f32 v7, v7, v9 :: v_dual_fmamk_f32 v6, v6, 0xb102e308, v11
	s_delay_alu instid0(VALU_DEP_1) | instskip(NEXT) | instid1(VALU_DEP_1)
	v_add_f32_e32 v8, v12, v6
	v_add_f32_e32 v11, v8, v10
	v_sub_f32_e32 v12, v8, v12
	s_delay_alu instid0(VALU_DEP_1) | instskip(NEXT) | instid1(VALU_DEP_3)
	v_sub_f32_e32 v6, v6, v12
	v_sub_f32_e32 v18, v11, v8
	s_delay_alu instid0(VALU_DEP_1) | instskip(SKIP_1) | instid1(VALU_DEP_4)
	v_sub_f32_e32 v19, v11, v18
	v_sub_f32_e32 v9, v10, v18
	v_add_f32_e32 v10, v6, v7
	s_delay_alu instid0(VALU_DEP_3) | instskip(NEXT) | instid1(VALU_DEP_1)
	v_sub_f32_e32 v8, v8, v19
	v_dual_add_f32 v8, v9, v8 :: v_dual_sub_f32 v9, v10, v6
	s_delay_alu instid0(VALU_DEP_1) | instskip(NEXT) | instid1(VALU_DEP_2)
	v_add_f32_e32 v8, v10, v8
	v_sub_f32_e32 v10, v10, v9
	v_sub_f32_e32 v7, v7, v9
	s_delay_alu instid0(VALU_DEP_3) | instskip(NEXT) | instid1(VALU_DEP_1)
	v_add_f32_e32 v12, v11, v8
	v_dual_sub_f32 v9, v12, v11 :: v_dual_sub_f32 v6, v6, v10
	s_delay_alu instid0(VALU_DEP_1) | instskip(NEXT) | instid1(VALU_DEP_1)
	v_dual_add_f32 v6, v7, v6 :: v_dual_sub_f32 v7, v8, v9
	v_add_f32_e32 v6, v6, v7
	s_delay_alu instid0(VALU_DEP_1) | instskip(NEXT) | instid1(VALU_DEP_1)
	v_add_f32_e32 v6, v12, v6
	v_cndmask_b32_e32 v4, v6, v4, vcc_lo
	s_delay_alu instid0(VALU_DEP_1)
	v_add_f32_e32 v6, v2, v4
.LBB164_225:
	s_or_b32 exec_lo, exec_lo, s1
	v_mov_b32_e32 v4, v1
	s_mov_b32 s1, exec_lo
	v_cmpx_eq_u32_e32 0xff, v0
	s_cbranch_execz .LBB164_227
; %bb.226:
	v_dual_mov_b32 v7, 0 :: v_dual_mov_b32 v2, 2
	v_mov_b32_e32 v1, v6
	global_store_b64 v7, v[1:2], s[10:11] offset:256
.LBB164_227:
	s_or_b32 exec_lo, exec_lo, s1
.LBB164_228:
	s_add_u32 s1, s24, s22
	v_lshlrev_b32_e32 v2, 4, v0
	v_lshrrev_b32_e32 v1, 5, v0
	s_addc_u32 s3, s25, s23
	s_add_u32 s2, s1, s20
	s_addc_u32 s3, s3, s21
	s_and_b32 vcc_lo, exec_lo, s0
	s_mov_b32 s0, -1
	s_waitcnt_vscnt null, 0x0
	s_barrier
	buffer_gl0_inv
	s_cbranch_vccz .LBB164_230
; %bb.229:
	v_lshl_add_u32 v7, v17, 2, v2
	v_lshrrev_b32_e32 v8, 5, v15
	v_lshrrev_b32_e32 v9, 5, v13
	v_add_lshl_u32 v10, v1, v0, 2
	s_mov_b32 s0, 0
	ds_store_2addr_b32 v7, v3, v4 offset1:1
	ds_store_2addr_b32 v7, v5, v6 offset0:2 offset1:3
	v_lshrrev_b32_e32 v7, 5, v14
	v_add_lshl_u32 v8, v8, v0, 2
	v_add_lshl_u32 v9, v9, v0, 2
	s_waitcnt lgkmcnt(0)
	s_barrier
	v_add_lshl_u32 v7, v7, v0, 2
	buffer_gl0_inv
	ds_load_b32 v10, v10
	ds_load_b32 v8, v8 offset:1024
	ds_load_b32 v9, v9 offset:2048
	;; [unrolled: 1-line block ×3, first 2 shown]
	s_waitcnt lgkmcnt(3)
	global_store_b32 v16, v10, s[2:3]
	s_waitcnt lgkmcnt(2)
	global_store_b32 v16, v8, s[2:3] offset:1024
	s_waitcnt lgkmcnt(1)
	global_store_b32 v16, v9, s[2:3] offset:2048
	;; [unrolled: 2-line block ×3, first 2 shown]
.LBB164_230:
	s_and_not1_b32 vcc_lo, exec_lo, s0
	s_cbranch_vccnz .LBB164_236
; %bb.231:
	v_lshl_add_u32 v2, v17, 2, v2
	v_lshrrev_b32_e32 v7, 5, v15
	v_lshrrev_b32_e32 v8, 5, v13
	v_add_lshl_u32 v1, v1, v0, 2
	ds_store_2addr_b32 v2, v3, v4 offset1:1
	ds_store_2addr_b32 v2, v5, v6 offset0:2 offset1:3
	v_lshrrev_b32_e32 v2, 5, v14
	v_add_lshl_u32 v3, v7, v0, 2
	v_add_lshl_u32 v6, v8, v0, 2
	s_waitcnt lgkmcnt(0)
	s_waitcnt_vscnt null, 0x0
	s_barrier
	v_add_lshl_u32 v2, v2, v0, 2
	buffer_gl0_inv
	ds_load_b32 v5, v1
	ds_load_b32 v4, v3 offset:1024
	ds_load_b32 v6, v6 offset:2048
	;; [unrolled: 1-line block ×3, first 2 shown]
	v_add_co_u32 v2, s0, s2, v16
	v_mov_b32_e32 v1, 0
	v_add_co_ci_u32_e64 v3, null, s3, 0, s0
	s_mov_b32 s0, exec_lo
	v_cmpx_gt_u32_e64 s26, v0
	s_cbranch_execnz .LBB164_240
; %bb.232:
	s_or_b32 exec_lo, exec_lo, s0
	s_delay_alu instid0(SALU_CYCLE_1)
	s_mov_b32 s0, exec_lo
	v_cmpx_gt_u32_e64 s26, v15
	s_cbranch_execnz .LBB164_241
.LBB164_233:
	s_or_b32 exec_lo, exec_lo, s0
	s_delay_alu instid0(SALU_CYCLE_1)
	s_mov_b32 s0, exec_lo
	v_cmpx_gt_u32_e64 s26, v13
	s_cbranch_execnz .LBB164_242
.LBB164_234:
	s_or_b32 exec_lo, exec_lo, s0
	s_delay_alu instid0(SALU_CYCLE_1)
	s_mov_b32 s0, exec_lo
	v_cmpx_gt_u32_e64 s26, v14
	s_cbranch_execnz .LBB164_243
.LBB164_235:
	s_or_b32 exec_lo, exec_lo, s0
	v_cmp_lt_u64_e64 s0, s[18:19], 2
	s_delay_alu instid0(VALU_DEP_1)
	s_and_b32 vcc_lo, exec_lo, s0
	s_cbranch_vccz .LBB164_244
.LBB164_236:
	s_nop 0
	s_sendmsg sendmsg(MSG_DEALLOC_VGPRS)
	s_endpgm
.LBB164_237:
	global_load_b32 v4, v16, s[4:5]
	s_or_b32 exec_lo, exec_lo, s6
	s_delay_alu instid0(SALU_CYCLE_1)
	s_mov_b32 s1, exec_lo
	v_cmpx_gt_u32_e64 s26, v15
	s_cbranch_execz .LBB164_9
.LBB164_238:
	global_load_b32 v1, v16, s[4:5] offset:1024
	s_or_b32 exec_lo, exec_lo, s1
	s_delay_alu instid0(SALU_CYCLE_1)
	s_mov_b32 s1, exec_lo
	v_cmpx_gt_u32_e64 s26, v13
	s_cbranch_execz .LBB164_10
.LBB164_239:
	global_load_b32 v3, v16, s[4:5] offset:2048
	s_or_b32 exec_lo, exec_lo, s1
	s_delay_alu instid0(SALU_CYCLE_1)
	s_mov_b32 s1, exec_lo
	v_cmpx_gt_u32_e64 s26, v14
	s_cbranch_execnz .LBB164_11
	s_branch .LBB164_12
.LBB164_240:
	s_waitcnt lgkmcnt(3)
	global_store_b32 v[2:3], v5, off
	s_or_b32 exec_lo, exec_lo, s0
	s_delay_alu instid0(SALU_CYCLE_1)
	s_mov_b32 s0, exec_lo
	v_cmpx_gt_u32_e64 s26, v15
	s_cbranch_execz .LBB164_233
.LBB164_241:
	s_waitcnt lgkmcnt(2)
	global_store_b32 v[2:3], v4, off offset:1024
	s_or_b32 exec_lo, exec_lo, s0
	s_delay_alu instid0(SALU_CYCLE_1)
	s_mov_b32 s0, exec_lo
	v_cmpx_gt_u32_e64 s26, v13
	s_cbranch_execz .LBB164_234
.LBB164_242:
	s_waitcnt lgkmcnt(1)
	global_store_b32 v[2:3], v6, off offset:2048
	s_or_b32 exec_lo, exec_lo, s0
	s_delay_alu instid0(SALU_CYCLE_1)
	s_mov_b32 s0, exec_lo
	v_cmpx_gt_u32_e64 s26, v14
	s_cbranch_execz .LBB164_235
.LBB164_243:
	s_waitcnt lgkmcnt(0)
	global_store_b32 v[2:3], v7, off offset:3072
	s_or_b32 exec_lo, exec_lo, s0
	v_cmp_lt_u64_e64 s0, s[18:19], 2
	s_delay_alu instid0(VALU_DEP_1)
	s_and_b32 vcc_lo, exec_lo, s0
	s_cbranch_vccnz .LBB164_236
.LBB164_244:
	s_add_u32 s0, s26, -1
	s_addc_u32 s1, s27, -1
	s_delay_alu instid0(SALU_CYCLE_1)
	s_lshr_b64 s[2:3], s[0:1], 2
	s_mov_b32 s1, exec_lo
	v_cmpx_eq_u64_e64 s[2:3], v[0:1]
	s_cbranch_execz .LBB164_236
; %bb.245:
	s_and_b32 s0, s0, 3
	s_mov_b32 s1, 0
	s_delay_alu instid0(SALU_CYCLE_1) | instskip(NEXT) | instid1(VALU_DEP_1)
	v_cmp_lt_i64_e64 s2, s[0:1], 2
	s_and_b32 vcc_lo, exec_lo, s2
	s_mov_b32 s2, -1
	s_cbranch_vccnz .LBB164_251
; %bb.246:
	v_cmp_gt_i64_e64 s2, s[0:1], 2
	s_delay_alu instid0(VALU_DEP_1)
	s_and_b32 vcc_lo, exec_lo, s2
	s_mov_b32 s2, -1
	s_cbranch_vccz .LBB164_248
; %bb.247:
	v_mov_b32_e32 v0, 0
	s_mov_b32 s2, 0
	s_waitcnt lgkmcnt(0)
	global_store_b32 v0, v7, s[14:15]
.LBB164_248:
	s_and_not1_b32 vcc_lo, exec_lo, s2
	s_cbranch_vccnz .LBB164_250
; %bb.249:
	v_mov_b32_e32 v0, 0
	s_waitcnt lgkmcnt(1)
	global_store_b32 v0, v6, s[14:15]
.LBB164_250:
	s_mov_b32 s2, 0
.LBB164_251:
	s_delay_alu instid0(SALU_CYCLE_1)
	s_and_not1_b32 vcc_lo, exec_lo, s2
	s_cbranch_vccnz .LBB164_236
; %bb.252:
	s_cmp_eq_u64 s[0:1], 1
	s_mov_b32 s0, -1
	s_cbranch_scc1 .LBB164_254
; %bb.253:
	v_mov_b32_e32 v0, 0
	s_mov_b32 s0, 0
	s_waitcnt lgkmcnt(3)
	global_store_b32 v0, v5, s[14:15]
.LBB164_254:
	s_and_not1_b32 vcc_lo, exec_lo, s0
	s_cbranch_vccnz .LBB164_236
; %bb.255:
	v_mov_b32_e32 v0, 0
	s_waitcnt lgkmcnt(2)
	global_store_b32 v0, v4, s[14:15]
	s_nop 0
	s_sendmsg sendmsg(MSG_DEALLOC_VGPRS)
	s_endpgm
	.section	.rodata,"a",@progbits
	.p2align	6, 0x0
	.amdhsa_kernel _ZN7rocprim17ROCPRIM_400000_NS6detail17trampoline_kernelINS0_14default_configENS1_20scan_config_selectorIfEEZZNS1_9scan_implILNS1_25lookback_scan_determinismE0ELb0ELb0ES3_PKfPffZZZN2at6native31launch_logcumsumexp_cuda_kernelERKNSB_10TensorBaseESF_lENKUlvE_clEvENKUlvE0_clEvEUlffE_fEEDaPvRmT3_T4_T5_mT6_P12ihipStream_tbENKUlT_T0_E_clISt17integral_constantIbLb0EESV_IbLb1EEEEDaSR_SS_EUlSR_E_NS1_11comp_targetILNS1_3genE9ELNS1_11target_archE1100ELNS1_3gpuE3ELNS1_3repE0EEENS1_30default_config_static_selectorELNS0_4arch9wavefront6targetE0EEEvT1_
		.amdhsa_group_segment_fixed_size 4224
		.amdhsa_private_segment_fixed_size 0
		.amdhsa_kernarg_size 96
		.amdhsa_user_sgpr_count 15
		.amdhsa_user_sgpr_dispatch_ptr 0
		.amdhsa_user_sgpr_queue_ptr 0
		.amdhsa_user_sgpr_kernarg_segment_ptr 1
		.amdhsa_user_sgpr_dispatch_id 0
		.amdhsa_user_sgpr_private_segment_size 0
		.amdhsa_wavefront_size32 1
		.amdhsa_uses_dynamic_stack 0
		.amdhsa_enable_private_segment 0
		.amdhsa_system_sgpr_workgroup_id_x 1
		.amdhsa_system_sgpr_workgroup_id_y 0
		.amdhsa_system_sgpr_workgroup_id_z 0
		.amdhsa_system_sgpr_workgroup_info 0
		.amdhsa_system_vgpr_workitem_id 0
		.amdhsa_next_free_vgpr 46
		.amdhsa_next_free_sgpr 32
		.amdhsa_reserve_vcc 1
		.amdhsa_float_round_mode_32 0
		.amdhsa_float_round_mode_16_64 0
		.amdhsa_float_denorm_mode_32 3
		.amdhsa_float_denorm_mode_16_64 3
		.amdhsa_dx10_clamp 1
		.amdhsa_ieee_mode 1
		.amdhsa_fp16_overflow 0
		.amdhsa_workgroup_processor_mode 1
		.amdhsa_memory_ordered 1
		.amdhsa_forward_progress 0
		.amdhsa_shared_vgpr_count 0
		.amdhsa_exception_fp_ieee_invalid_op 0
		.amdhsa_exception_fp_denorm_src 0
		.amdhsa_exception_fp_ieee_div_zero 0
		.amdhsa_exception_fp_ieee_overflow 0
		.amdhsa_exception_fp_ieee_underflow 0
		.amdhsa_exception_fp_ieee_inexact 0
		.amdhsa_exception_int_div_zero 0
	.end_amdhsa_kernel
	.section	.text._ZN7rocprim17ROCPRIM_400000_NS6detail17trampoline_kernelINS0_14default_configENS1_20scan_config_selectorIfEEZZNS1_9scan_implILNS1_25lookback_scan_determinismE0ELb0ELb0ES3_PKfPffZZZN2at6native31launch_logcumsumexp_cuda_kernelERKNSB_10TensorBaseESF_lENKUlvE_clEvENKUlvE0_clEvEUlffE_fEEDaPvRmT3_T4_T5_mT6_P12ihipStream_tbENKUlT_T0_E_clISt17integral_constantIbLb0EESV_IbLb1EEEEDaSR_SS_EUlSR_E_NS1_11comp_targetILNS1_3genE9ELNS1_11target_archE1100ELNS1_3gpuE3ELNS1_3repE0EEENS1_30default_config_static_selectorELNS0_4arch9wavefront6targetE0EEEvT1_,"axG",@progbits,_ZN7rocprim17ROCPRIM_400000_NS6detail17trampoline_kernelINS0_14default_configENS1_20scan_config_selectorIfEEZZNS1_9scan_implILNS1_25lookback_scan_determinismE0ELb0ELb0ES3_PKfPffZZZN2at6native31launch_logcumsumexp_cuda_kernelERKNSB_10TensorBaseESF_lENKUlvE_clEvENKUlvE0_clEvEUlffE_fEEDaPvRmT3_T4_T5_mT6_P12ihipStream_tbENKUlT_T0_E_clISt17integral_constantIbLb0EESV_IbLb1EEEEDaSR_SS_EUlSR_E_NS1_11comp_targetILNS1_3genE9ELNS1_11target_archE1100ELNS1_3gpuE3ELNS1_3repE0EEENS1_30default_config_static_selectorELNS0_4arch9wavefront6targetE0EEEvT1_,comdat
.Lfunc_end164:
	.size	_ZN7rocprim17ROCPRIM_400000_NS6detail17trampoline_kernelINS0_14default_configENS1_20scan_config_selectorIfEEZZNS1_9scan_implILNS1_25lookback_scan_determinismE0ELb0ELb0ES3_PKfPffZZZN2at6native31launch_logcumsumexp_cuda_kernelERKNSB_10TensorBaseESF_lENKUlvE_clEvENKUlvE0_clEvEUlffE_fEEDaPvRmT3_T4_T5_mT6_P12ihipStream_tbENKUlT_T0_E_clISt17integral_constantIbLb0EESV_IbLb1EEEEDaSR_SS_EUlSR_E_NS1_11comp_targetILNS1_3genE9ELNS1_11target_archE1100ELNS1_3gpuE3ELNS1_3repE0EEENS1_30default_config_static_selectorELNS0_4arch9wavefront6targetE0EEEvT1_, .Lfunc_end164-_ZN7rocprim17ROCPRIM_400000_NS6detail17trampoline_kernelINS0_14default_configENS1_20scan_config_selectorIfEEZZNS1_9scan_implILNS1_25lookback_scan_determinismE0ELb0ELb0ES3_PKfPffZZZN2at6native31launch_logcumsumexp_cuda_kernelERKNSB_10TensorBaseESF_lENKUlvE_clEvENKUlvE0_clEvEUlffE_fEEDaPvRmT3_T4_T5_mT6_P12ihipStream_tbENKUlT_T0_E_clISt17integral_constantIbLb0EESV_IbLb1EEEEDaSR_SS_EUlSR_E_NS1_11comp_targetILNS1_3genE9ELNS1_11target_archE1100ELNS1_3gpuE3ELNS1_3repE0EEENS1_30default_config_static_selectorELNS0_4arch9wavefront6targetE0EEEvT1_
                                        ; -- End function
	.section	.AMDGPU.csdata,"",@progbits
; Kernel info:
; codeLenInByte = 66236
; NumSgprs: 34
; NumVgprs: 46
; ScratchSize: 0
; MemoryBound: 0
; FloatMode: 240
; IeeeMode: 1
; LDSByteSize: 4224 bytes/workgroup (compile time only)
; SGPRBlocks: 4
; VGPRBlocks: 5
; NumSGPRsForWavesPerEU: 34
; NumVGPRsForWavesPerEU: 46
; Occupancy: 16
; WaveLimiterHint : 1
; COMPUTE_PGM_RSRC2:SCRATCH_EN: 0
; COMPUTE_PGM_RSRC2:USER_SGPR: 15
; COMPUTE_PGM_RSRC2:TRAP_HANDLER: 0
; COMPUTE_PGM_RSRC2:TGID_X_EN: 1
; COMPUTE_PGM_RSRC2:TGID_Y_EN: 0
; COMPUTE_PGM_RSRC2:TGID_Z_EN: 0
; COMPUTE_PGM_RSRC2:TIDIG_COMP_CNT: 0
	.section	.text._ZN7rocprim17ROCPRIM_400000_NS6detail17trampoline_kernelINS0_14default_configENS1_20scan_config_selectorIfEEZZNS1_9scan_implILNS1_25lookback_scan_determinismE0ELb0ELb0ES3_PKfPffZZZN2at6native31launch_logcumsumexp_cuda_kernelERKNSB_10TensorBaseESF_lENKUlvE_clEvENKUlvE0_clEvEUlffE_fEEDaPvRmT3_T4_T5_mT6_P12ihipStream_tbENKUlT_T0_E_clISt17integral_constantIbLb0EESV_IbLb1EEEEDaSR_SS_EUlSR_E_NS1_11comp_targetILNS1_3genE8ELNS1_11target_archE1030ELNS1_3gpuE2ELNS1_3repE0EEENS1_30default_config_static_selectorELNS0_4arch9wavefront6targetE0EEEvT1_,"axG",@progbits,_ZN7rocprim17ROCPRIM_400000_NS6detail17trampoline_kernelINS0_14default_configENS1_20scan_config_selectorIfEEZZNS1_9scan_implILNS1_25lookback_scan_determinismE0ELb0ELb0ES3_PKfPffZZZN2at6native31launch_logcumsumexp_cuda_kernelERKNSB_10TensorBaseESF_lENKUlvE_clEvENKUlvE0_clEvEUlffE_fEEDaPvRmT3_T4_T5_mT6_P12ihipStream_tbENKUlT_T0_E_clISt17integral_constantIbLb0EESV_IbLb1EEEEDaSR_SS_EUlSR_E_NS1_11comp_targetILNS1_3genE8ELNS1_11target_archE1030ELNS1_3gpuE2ELNS1_3repE0EEENS1_30default_config_static_selectorELNS0_4arch9wavefront6targetE0EEEvT1_,comdat
	.globl	_ZN7rocprim17ROCPRIM_400000_NS6detail17trampoline_kernelINS0_14default_configENS1_20scan_config_selectorIfEEZZNS1_9scan_implILNS1_25lookback_scan_determinismE0ELb0ELb0ES3_PKfPffZZZN2at6native31launch_logcumsumexp_cuda_kernelERKNSB_10TensorBaseESF_lENKUlvE_clEvENKUlvE0_clEvEUlffE_fEEDaPvRmT3_T4_T5_mT6_P12ihipStream_tbENKUlT_T0_E_clISt17integral_constantIbLb0EESV_IbLb1EEEEDaSR_SS_EUlSR_E_NS1_11comp_targetILNS1_3genE8ELNS1_11target_archE1030ELNS1_3gpuE2ELNS1_3repE0EEENS1_30default_config_static_selectorELNS0_4arch9wavefront6targetE0EEEvT1_ ; -- Begin function _ZN7rocprim17ROCPRIM_400000_NS6detail17trampoline_kernelINS0_14default_configENS1_20scan_config_selectorIfEEZZNS1_9scan_implILNS1_25lookback_scan_determinismE0ELb0ELb0ES3_PKfPffZZZN2at6native31launch_logcumsumexp_cuda_kernelERKNSB_10TensorBaseESF_lENKUlvE_clEvENKUlvE0_clEvEUlffE_fEEDaPvRmT3_T4_T5_mT6_P12ihipStream_tbENKUlT_T0_E_clISt17integral_constantIbLb0EESV_IbLb1EEEEDaSR_SS_EUlSR_E_NS1_11comp_targetILNS1_3genE8ELNS1_11target_archE1030ELNS1_3gpuE2ELNS1_3repE0EEENS1_30default_config_static_selectorELNS0_4arch9wavefront6targetE0EEEvT1_
	.p2align	8
	.type	_ZN7rocprim17ROCPRIM_400000_NS6detail17trampoline_kernelINS0_14default_configENS1_20scan_config_selectorIfEEZZNS1_9scan_implILNS1_25lookback_scan_determinismE0ELb0ELb0ES3_PKfPffZZZN2at6native31launch_logcumsumexp_cuda_kernelERKNSB_10TensorBaseESF_lENKUlvE_clEvENKUlvE0_clEvEUlffE_fEEDaPvRmT3_T4_T5_mT6_P12ihipStream_tbENKUlT_T0_E_clISt17integral_constantIbLb0EESV_IbLb1EEEEDaSR_SS_EUlSR_E_NS1_11comp_targetILNS1_3genE8ELNS1_11target_archE1030ELNS1_3gpuE2ELNS1_3repE0EEENS1_30default_config_static_selectorELNS0_4arch9wavefront6targetE0EEEvT1_,@function
_ZN7rocprim17ROCPRIM_400000_NS6detail17trampoline_kernelINS0_14default_configENS1_20scan_config_selectorIfEEZZNS1_9scan_implILNS1_25lookback_scan_determinismE0ELb0ELb0ES3_PKfPffZZZN2at6native31launch_logcumsumexp_cuda_kernelERKNSB_10TensorBaseESF_lENKUlvE_clEvENKUlvE0_clEvEUlffE_fEEDaPvRmT3_T4_T5_mT6_P12ihipStream_tbENKUlT_T0_E_clISt17integral_constantIbLb0EESV_IbLb1EEEEDaSR_SS_EUlSR_E_NS1_11comp_targetILNS1_3genE8ELNS1_11target_archE1030ELNS1_3gpuE2ELNS1_3repE0EEENS1_30default_config_static_selectorELNS0_4arch9wavefront6targetE0EEEvT1_: ; @_ZN7rocprim17ROCPRIM_400000_NS6detail17trampoline_kernelINS0_14default_configENS1_20scan_config_selectorIfEEZZNS1_9scan_implILNS1_25lookback_scan_determinismE0ELb0ELb0ES3_PKfPffZZZN2at6native31launch_logcumsumexp_cuda_kernelERKNSB_10TensorBaseESF_lENKUlvE_clEvENKUlvE0_clEvEUlffE_fEEDaPvRmT3_T4_T5_mT6_P12ihipStream_tbENKUlT_T0_E_clISt17integral_constantIbLb0EESV_IbLb1EEEEDaSR_SS_EUlSR_E_NS1_11comp_targetILNS1_3genE8ELNS1_11target_archE1030ELNS1_3gpuE2ELNS1_3repE0EEENS1_30default_config_static_selectorELNS0_4arch9wavefront6targetE0EEEvT1_
; %bb.0:
	.section	.rodata,"a",@progbits
	.p2align	6, 0x0
	.amdhsa_kernel _ZN7rocprim17ROCPRIM_400000_NS6detail17trampoline_kernelINS0_14default_configENS1_20scan_config_selectorIfEEZZNS1_9scan_implILNS1_25lookback_scan_determinismE0ELb0ELb0ES3_PKfPffZZZN2at6native31launch_logcumsumexp_cuda_kernelERKNSB_10TensorBaseESF_lENKUlvE_clEvENKUlvE0_clEvEUlffE_fEEDaPvRmT3_T4_T5_mT6_P12ihipStream_tbENKUlT_T0_E_clISt17integral_constantIbLb0EESV_IbLb1EEEEDaSR_SS_EUlSR_E_NS1_11comp_targetILNS1_3genE8ELNS1_11target_archE1030ELNS1_3gpuE2ELNS1_3repE0EEENS1_30default_config_static_selectorELNS0_4arch9wavefront6targetE0EEEvT1_
		.amdhsa_group_segment_fixed_size 0
		.amdhsa_private_segment_fixed_size 0
		.amdhsa_kernarg_size 96
		.amdhsa_user_sgpr_count 15
		.amdhsa_user_sgpr_dispatch_ptr 0
		.amdhsa_user_sgpr_queue_ptr 0
		.amdhsa_user_sgpr_kernarg_segment_ptr 1
		.amdhsa_user_sgpr_dispatch_id 0
		.amdhsa_user_sgpr_private_segment_size 0
		.amdhsa_wavefront_size32 1
		.amdhsa_uses_dynamic_stack 0
		.amdhsa_enable_private_segment 0
		.amdhsa_system_sgpr_workgroup_id_x 1
		.amdhsa_system_sgpr_workgroup_id_y 0
		.amdhsa_system_sgpr_workgroup_id_z 0
		.amdhsa_system_sgpr_workgroup_info 0
		.amdhsa_system_vgpr_workitem_id 0
		.amdhsa_next_free_vgpr 1
		.amdhsa_next_free_sgpr 1
		.amdhsa_reserve_vcc 0
		.amdhsa_float_round_mode_32 0
		.amdhsa_float_round_mode_16_64 0
		.amdhsa_float_denorm_mode_32 3
		.amdhsa_float_denorm_mode_16_64 3
		.amdhsa_dx10_clamp 1
		.amdhsa_ieee_mode 1
		.amdhsa_fp16_overflow 0
		.amdhsa_workgroup_processor_mode 1
		.amdhsa_memory_ordered 1
		.amdhsa_forward_progress 0
		.amdhsa_shared_vgpr_count 0
		.amdhsa_exception_fp_ieee_invalid_op 0
		.amdhsa_exception_fp_denorm_src 0
		.amdhsa_exception_fp_ieee_div_zero 0
		.amdhsa_exception_fp_ieee_overflow 0
		.amdhsa_exception_fp_ieee_underflow 0
		.amdhsa_exception_fp_ieee_inexact 0
		.amdhsa_exception_int_div_zero 0
	.end_amdhsa_kernel
	.section	.text._ZN7rocprim17ROCPRIM_400000_NS6detail17trampoline_kernelINS0_14default_configENS1_20scan_config_selectorIfEEZZNS1_9scan_implILNS1_25lookback_scan_determinismE0ELb0ELb0ES3_PKfPffZZZN2at6native31launch_logcumsumexp_cuda_kernelERKNSB_10TensorBaseESF_lENKUlvE_clEvENKUlvE0_clEvEUlffE_fEEDaPvRmT3_T4_T5_mT6_P12ihipStream_tbENKUlT_T0_E_clISt17integral_constantIbLb0EESV_IbLb1EEEEDaSR_SS_EUlSR_E_NS1_11comp_targetILNS1_3genE8ELNS1_11target_archE1030ELNS1_3gpuE2ELNS1_3repE0EEENS1_30default_config_static_selectorELNS0_4arch9wavefront6targetE0EEEvT1_,"axG",@progbits,_ZN7rocprim17ROCPRIM_400000_NS6detail17trampoline_kernelINS0_14default_configENS1_20scan_config_selectorIfEEZZNS1_9scan_implILNS1_25lookback_scan_determinismE0ELb0ELb0ES3_PKfPffZZZN2at6native31launch_logcumsumexp_cuda_kernelERKNSB_10TensorBaseESF_lENKUlvE_clEvENKUlvE0_clEvEUlffE_fEEDaPvRmT3_T4_T5_mT6_P12ihipStream_tbENKUlT_T0_E_clISt17integral_constantIbLb0EESV_IbLb1EEEEDaSR_SS_EUlSR_E_NS1_11comp_targetILNS1_3genE8ELNS1_11target_archE1030ELNS1_3gpuE2ELNS1_3repE0EEENS1_30default_config_static_selectorELNS0_4arch9wavefront6targetE0EEEvT1_,comdat
.Lfunc_end165:
	.size	_ZN7rocprim17ROCPRIM_400000_NS6detail17trampoline_kernelINS0_14default_configENS1_20scan_config_selectorIfEEZZNS1_9scan_implILNS1_25lookback_scan_determinismE0ELb0ELb0ES3_PKfPffZZZN2at6native31launch_logcumsumexp_cuda_kernelERKNSB_10TensorBaseESF_lENKUlvE_clEvENKUlvE0_clEvEUlffE_fEEDaPvRmT3_T4_T5_mT6_P12ihipStream_tbENKUlT_T0_E_clISt17integral_constantIbLb0EESV_IbLb1EEEEDaSR_SS_EUlSR_E_NS1_11comp_targetILNS1_3genE8ELNS1_11target_archE1030ELNS1_3gpuE2ELNS1_3repE0EEENS1_30default_config_static_selectorELNS0_4arch9wavefront6targetE0EEEvT1_, .Lfunc_end165-_ZN7rocprim17ROCPRIM_400000_NS6detail17trampoline_kernelINS0_14default_configENS1_20scan_config_selectorIfEEZZNS1_9scan_implILNS1_25lookback_scan_determinismE0ELb0ELb0ES3_PKfPffZZZN2at6native31launch_logcumsumexp_cuda_kernelERKNSB_10TensorBaseESF_lENKUlvE_clEvENKUlvE0_clEvEUlffE_fEEDaPvRmT3_T4_T5_mT6_P12ihipStream_tbENKUlT_T0_E_clISt17integral_constantIbLb0EESV_IbLb1EEEEDaSR_SS_EUlSR_E_NS1_11comp_targetILNS1_3genE8ELNS1_11target_archE1030ELNS1_3gpuE2ELNS1_3repE0EEENS1_30default_config_static_selectorELNS0_4arch9wavefront6targetE0EEEvT1_
                                        ; -- End function
	.section	.AMDGPU.csdata,"",@progbits
; Kernel info:
; codeLenInByte = 0
; NumSgprs: 0
; NumVgprs: 0
; ScratchSize: 0
; MemoryBound: 0
; FloatMode: 240
; IeeeMode: 1
; LDSByteSize: 0 bytes/workgroup (compile time only)
; SGPRBlocks: 0
; VGPRBlocks: 0
; NumSGPRsForWavesPerEU: 1
; NumVGPRsForWavesPerEU: 1
; Occupancy: 16
; WaveLimiterHint : 0
; COMPUTE_PGM_RSRC2:SCRATCH_EN: 0
; COMPUTE_PGM_RSRC2:USER_SGPR: 15
; COMPUTE_PGM_RSRC2:TRAP_HANDLER: 0
; COMPUTE_PGM_RSRC2:TGID_X_EN: 1
; COMPUTE_PGM_RSRC2:TGID_Y_EN: 0
; COMPUTE_PGM_RSRC2:TGID_Z_EN: 0
; COMPUTE_PGM_RSRC2:TIDIG_COMP_CNT: 0
	.section	.text._ZN7rocprim17ROCPRIM_400000_NS6detail17trampoline_kernelINS0_14default_configENS1_20scan_config_selectorIfEEZZNS1_9scan_implILNS1_25lookback_scan_determinismE0ELb0ELb0ES3_PKfPffZZZN2at6native31launch_logcumsumexp_cuda_kernelERKNSB_10TensorBaseESF_lENKUlvE_clEvENKUlvE0_clEvEUlffE_fEEDaPvRmT3_T4_T5_mT6_P12ihipStream_tbENKUlT_T0_E_clISt17integral_constantIbLb0EESV_IbLb1EEEEDaSR_SS_EUlSR_E0_NS1_11comp_targetILNS1_3genE0ELNS1_11target_archE4294967295ELNS1_3gpuE0ELNS1_3repE0EEENS1_30default_config_static_selectorELNS0_4arch9wavefront6targetE0EEEvT1_,"axG",@progbits,_ZN7rocprim17ROCPRIM_400000_NS6detail17trampoline_kernelINS0_14default_configENS1_20scan_config_selectorIfEEZZNS1_9scan_implILNS1_25lookback_scan_determinismE0ELb0ELb0ES3_PKfPffZZZN2at6native31launch_logcumsumexp_cuda_kernelERKNSB_10TensorBaseESF_lENKUlvE_clEvENKUlvE0_clEvEUlffE_fEEDaPvRmT3_T4_T5_mT6_P12ihipStream_tbENKUlT_T0_E_clISt17integral_constantIbLb0EESV_IbLb1EEEEDaSR_SS_EUlSR_E0_NS1_11comp_targetILNS1_3genE0ELNS1_11target_archE4294967295ELNS1_3gpuE0ELNS1_3repE0EEENS1_30default_config_static_selectorELNS0_4arch9wavefront6targetE0EEEvT1_,comdat
	.globl	_ZN7rocprim17ROCPRIM_400000_NS6detail17trampoline_kernelINS0_14default_configENS1_20scan_config_selectorIfEEZZNS1_9scan_implILNS1_25lookback_scan_determinismE0ELb0ELb0ES3_PKfPffZZZN2at6native31launch_logcumsumexp_cuda_kernelERKNSB_10TensorBaseESF_lENKUlvE_clEvENKUlvE0_clEvEUlffE_fEEDaPvRmT3_T4_T5_mT6_P12ihipStream_tbENKUlT_T0_E_clISt17integral_constantIbLb0EESV_IbLb1EEEEDaSR_SS_EUlSR_E0_NS1_11comp_targetILNS1_3genE0ELNS1_11target_archE4294967295ELNS1_3gpuE0ELNS1_3repE0EEENS1_30default_config_static_selectorELNS0_4arch9wavefront6targetE0EEEvT1_ ; -- Begin function _ZN7rocprim17ROCPRIM_400000_NS6detail17trampoline_kernelINS0_14default_configENS1_20scan_config_selectorIfEEZZNS1_9scan_implILNS1_25lookback_scan_determinismE0ELb0ELb0ES3_PKfPffZZZN2at6native31launch_logcumsumexp_cuda_kernelERKNSB_10TensorBaseESF_lENKUlvE_clEvENKUlvE0_clEvEUlffE_fEEDaPvRmT3_T4_T5_mT6_P12ihipStream_tbENKUlT_T0_E_clISt17integral_constantIbLb0EESV_IbLb1EEEEDaSR_SS_EUlSR_E0_NS1_11comp_targetILNS1_3genE0ELNS1_11target_archE4294967295ELNS1_3gpuE0ELNS1_3repE0EEENS1_30default_config_static_selectorELNS0_4arch9wavefront6targetE0EEEvT1_
	.p2align	8
	.type	_ZN7rocprim17ROCPRIM_400000_NS6detail17trampoline_kernelINS0_14default_configENS1_20scan_config_selectorIfEEZZNS1_9scan_implILNS1_25lookback_scan_determinismE0ELb0ELb0ES3_PKfPffZZZN2at6native31launch_logcumsumexp_cuda_kernelERKNSB_10TensorBaseESF_lENKUlvE_clEvENKUlvE0_clEvEUlffE_fEEDaPvRmT3_T4_T5_mT6_P12ihipStream_tbENKUlT_T0_E_clISt17integral_constantIbLb0EESV_IbLb1EEEEDaSR_SS_EUlSR_E0_NS1_11comp_targetILNS1_3genE0ELNS1_11target_archE4294967295ELNS1_3gpuE0ELNS1_3repE0EEENS1_30default_config_static_selectorELNS0_4arch9wavefront6targetE0EEEvT1_,@function
_ZN7rocprim17ROCPRIM_400000_NS6detail17trampoline_kernelINS0_14default_configENS1_20scan_config_selectorIfEEZZNS1_9scan_implILNS1_25lookback_scan_determinismE0ELb0ELb0ES3_PKfPffZZZN2at6native31launch_logcumsumexp_cuda_kernelERKNSB_10TensorBaseESF_lENKUlvE_clEvENKUlvE0_clEvEUlffE_fEEDaPvRmT3_T4_T5_mT6_P12ihipStream_tbENKUlT_T0_E_clISt17integral_constantIbLb0EESV_IbLb1EEEEDaSR_SS_EUlSR_E0_NS1_11comp_targetILNS1_3genE0ELNS1_11target_archE4294967295ELNS1_3gpuE0ELNS1_3repE0EEENS1_30default_config_static_selectorELNS0_4arch9wavefront6targetE0EEEvT1_: ; @_ZN7rocprim17ROCPRIM_400000_NS6detail17trampoline_kernelINS0_14default_configENS1_20scan_config_selectorIfEEZZNS1_9scan_implILNS1_25lookback_scan_determinismE0ELb0ELb0ES3_PKfPffZZZN2at6native31launch_logcumsumexp_cuda_kernelERKNSB_10TensorBaseESF_lENKUlvE_clEvENKUlvE0_clEvEUlffE_fEEDaPvRmT3_T4_T5_mT6_P12ihipStream_tbENKUlT_T0_E_clISt17integral_constantIbLb0EESV_IbLb1EEEEDaSR_SS_EUlSR_E0_NS1_11comp_targetILNS1_3genE0ELNS1_11target_archE4294967295ELNS1_3gpuE0ELNS1_3repE0EEENS1_30default_config_static_selectorELNS0_4arch9wavefront6targetE0EEEvT1_
; %bb.0:
	.section	.rodata,"a",@progbits
	.p2align	6, 0x0
	.amdhsa_kernel _ZN7rocprim17ROCPRIM_400000_NS6detail17trampoline_kernelINS0_14default_configENS1_20scan_config_selectorIfEEZZNS1_9scan_implILNS1_25lookback_scan_determinismE0ELb0ELb0ES3_PKfPffZZZN2at6native31launch_logcumsumexp_cuda_kernelERKNSB_10TensorBaseESF_lENKUlvE_clEvENKUlvE0_clEvEUlffE_fEEDaPvRmT3_T4_T5_mT6_P12ihipStream_tbENKUlT_T0_E_clISt17integral_constantIbLb0EESV_IbLb1EEEEDaSR_SS_EUlSR_E0_NS1_11comp_targetILNS1_3genE0ELNS1_11target_archE4294967295ELNS1_3gpuE0ELNS1_3repE0EEENS1_30default_config_static_selectorELNS0_4arch9wavefront6targetE0EEEvT1_
		.amdhsa_group_segment_fixed_size 0
		.amdhsa_private_segment_fixed_size 0
		.amdhsa_kernarg_size 32
		.amdhsa_user_sgpr_count 15
		.amdhsa_user_sgpr_dispatch_ptr 0
		.amdhsa_user_sgpr_queue_ptr 0
		.amdhsa_user_sgpr_kernarg_segment_ptr 1
		.amdhsa_user_sgpr_dispatch_id 0
		.amdhsa_user_sgpr_private_segment_size 0
		.amdhsa_wavefront_size32 1
		.amdhsa_uses_dynamic_stack 0
		.amdhsa_enable_private_segment 0
		.amdhsa_system_sgpr_workgroup_id_x 1
		.amdhsa_system_sgpr_workgroup_id_y 0
		.amdhsa_system_sgpr_workgroup_id_z 0
		.amdhsa_system_sgpr_workgroup_info 0
		.amdhsa_system_vgpr_workitem_id 0
		.amdhsa_next_free_vgpr 1
		.amdhsa_next_free_sgpr 1
		.amdhsa_reserve_vcc 0
		.amdhsa_float_round_mode_32 0
		.amdhsa_float_round_mode_16_64 0
		.amdhsa_float_denorm_mode_32 3
		.amdhsa_float_denorm_mode_16_64 3
		.amdhsa_dx10_clamp 1
		.amdhsa_ieee_mode 1
		.amdhsa_fp16_overflow 0
		.amdhsa_workgroup_processor_mode 1
		.amdhsa_memory_ordered 1
		.amdhsa_forward_progress 0
		.amdhsa_shared_vgpr_count 0
		.amdhsa_exception_fp_ieee_invalid_op 0
		.amdhsa_exception_fp_denorm_src 0
		.amdhsa_exception_fp_ieee_div_zero 0
		.amdhsa_exception_fp_ieee_overflow 0
		.amdhsa_exception_fp_ieee_underflow 0
		.amdhsa_exception_fp_ieee_inexact 0
		.amdhsa_exception_int_div_zero 0
	.end_amdhsa_kernel
	.section	.text._ZN7rocprim17ROCPRIM_400000_NS6detail17trampoline_kernelINS0_14default_configENS1_20scan_config_selectorIfEEZZNS1_9scan_implILNS1_25lookback_scan_determinismE0ELb0ELb0ES3_PKfPffZZZN2at6native31launch_logcumsumexp_cuda_kernelERKNSB_10TensorBaseESF_lENKUlvE_clEvENKUlvE0_clEvEUlffE_fEEDaPvRmT3_T4_T5_mT6_P12ihipStream_tbENKUlT_T0_E_clISt17integral_constantIbLb0EESV_IbLb1EEEEDaSR_SS_EUlSR_E0_NS1_11comp_targetILNS1_3genE0ELNS1_11target_archE4294967295ELNS1_3gpuE0ELNS1_3repE0EEENS1_30default_config_static_selectorELNS0_4arch9wavefront6targetE0EEEvT1_,"axG",@progbits,_ZN7rocprim17ROCPRIM_400000_NS6detail17trampoline_kernelINS0_14default_configENS1_20scan_config_selectorIfEEZZNS1_9scan_implILNS1_25lookback_scan_determinismE0ELb0ELb0ES3_PKfPffZZZN2at6native31launch_logcumsumexp_cuda_kernelERKNSB_10TensorBaseESF_lENKUlvE_clEvENKUlvE0_clEvEUlffE_fEEDaPvRmT3_T4_T5_mT6_P12ihipStream_tbENKUlT_T0_E_clISt17integral_constantIbLb0EESV_IbLb1EEEEDaSR_SS_EUlSR_E0_NS1_11comp_targetILNS1_3genE0ELNS1_11target_archE4294967295ELNS1_3gpuE0ELNS1_3repE0EEENS1_30default_config_static_selectorELNS0_4arch9wavefront6targetE0EEEvT1_,comdat
.Lfunc_end166:
	.size	_ZN7rocprim17ROCPRIM_400000_NS6detail17trampoline_kernelINS0_14default_configENS1_20scan_config_selectorIfEEZZNS1_9scan_implILNS1_25lookback_scan_determinismE0ELb0ELb0ES3_PKfPffZZZN2at6native31launch_logcumsumexp_cuda_kernelERKNSB_10TensorBaseESF_lENKUlvE_clEvENKUlvE0_clEvEUlffE_fEEDaPvRmT3_T4_T5_mT6_P12ihipStream_tbENKUlT_T0_E_clISt17integral_constantIbLb0EESV_IbLb1EEEEDaSR_SS_EUlSR_E0_NS1_11comp_targetILNS1_3genE0ELNS1_11target_archE4294967295ELNS1_3gpuE0ELNS1_3repE0EEENS1_30default_config_static_selectorELNS0_4arch9wavefront6targetE0EEEvT1_, .Lfunc_end166-_ZN7rocprim17ROCPRIM_400000_NS6detail17trampoline_kernelINS0_14default_configENS1_20scan_config_selectorIfEEZZNS1_9scan_implILNS1_25lookback_scan_determinismE0ELb0ELb0ES3_PKfPffZZZN2at6native31launch_logcumsumexp_cuda_kernelERKNSB_10TensorBaseESF_lENKUlvE_clEvENKUlvE0_clEvEUlffE_fEEDaPvRmT3_T4_T5_mT6_P12ihipStream_tbENKUlT_T0_E_clISt17integral_constantIbLb0EESV_IbLb1EEEEDaSR_SS_EUlSR_E0_NS1_11comp_targetILNS1_3genE0ELNS1_11target_archE4294967295ELNS1_3gpuE0ELNS1_3repE0EEENS1_30default_config_static_selectorELNS0_4arch9wavefront6targetE0EEEvT1_
                                        ; -- End function
	.section	.AMDGPU.csdata,"",@progbits
; Kernel info:
; codeLenInByte = 0
; NumSgprs: 0
; NumVgprs: 0
; ScratchSize: 0
; MemoryBound: 0
; FloatMode: 240
; IeeeMode: 1
; LDSByteSize: 0 bytes/workgroup (compile time only)
; SGPRBlocks: 0
; VGPRBlocks: 0
; NumSGPRsForWavesPerEU: 1
; NumVGPRsForWavesPerEU: 1
; Occupancy: 16
; WaveLimiterHint : 0
; COMPUTE_PGM_RSRC2:SCRATCH_EN: 0
; COMPUTE_PGM_RSRC2:USER_SGPR: 15
; COMPUTE_PGM_RSRC2:TRAP_HANDLER: 0
; COMPUTE_PGM_RSRC2:TGID_X_EN: 1
; COMPUTE_PGM_RSRC2:TGID_Y_EN: 0
; COMPUTE_PGM_RSRC2:TGID_Z_EN: 0
; COMPUTE_PGM_RSRC2:TIDIG_COMP_CNT: 0
	.section	.text._ZN7rocprim17ROCPRIM_400000_NS6detail17trampoline_kernelINS0_14default_configENS1_20scan_config_selectorIfEEZZNS1_9scan_implILNS1_25lookback_scan_determinismE0ELb0ELb0ES3_PKfPffZZZN2at6native31launch_logcumsumexp_cuda_kernelERKNSB_10TensorBaseESF_lENKUlvE_clEvENKUlvE0_clEvEUlffE_fEEDaPvRmT3_T4_T5_mT6_P12ihipStream_tbENKUlT_T0_E_clISt17integral_constantIbLb0EESV_IbLb1EEEEDaSR_SS_EUlSR_E0_NS1_11comp_targetILNS1_3genE5ELNS1_11target_archE942ELNS1_3gpuE9ELNS1_3repE0EEENS1_30default_config_static_selectorELNS0_4arch9wavefront6targetE0EEEvT1_,"axG",@progbits,_ZN7rocprim17ROCPRIM_400000_NS6detail17trampoline_kernelINS0_14default_configENS1_20scan_config_selectorIfEEZZNS1_9scan_implILNS1_25lookback_scan_determinismE0ELb0ELb0ES3_PKfPffZZZN2at6native31launch_logcumsumexp_cuda_kernelERKNSB_10TensorBaseESF_lENKUlvE_clEvENKUlvE0_clEvEUlffE_fEEDaPvRmT3_T4_T5_mT6_P12ihipStream_tbENKUlT_T0_E_clISt17integral_constantIbLb0EESV_IbLb1EEEEDaSR_SS_EUlSR_E0_NS1_11comp_targetILNS1_3genE5ELNS1_11target_archE942ELNS1_3gpuE9ELNS1_3repE0EEENS1_30default_config_static_selectorELNS0_4arch9wavefront6targetE0EEEvT1_,comdat
	.globl	_ZN7rocprim17ROCPRIM_400000_NS6detail17trampoline_kernelINS0_14default_configENS1_20scan_config_selectorIfEEZZNS1_9scan_implILNS1_25lookback_scan_determinismE0ELb0ELb0ES3_PKfPffZZZN2at6native31launch_logcumsumexp_cuda_kernelERKNSB_10TensorBaseESF_lENKUlvE_clEvENKUlvE0_clEvEUlffE_fEEDaPvRmT3_T4_T5_mT6_P12ihipStream_tbENKUlT_T0_E_clISt17integral_constantIbLb0EESV_IbLb1EEEEDaSR_SS_EUlSR_E0_NS1_11comp_targetILNS1_3genE5ELNS1_11target_archE942ELNS1_3gpuE9ELNS1_3repE0EEENS1_30default_config_static_selectorELNS0_4arch9wavefront6targetE0EEEvT1_ ; -- Begin function _ZN7rocprim17ROCPRIM_400000_NS6detail17trampoline_kernelINS0_14default_configENS1_20scan_config_selectorIfEEZZNS1_9scan_implILNS1_25lookback_scan_determinismE0ELb0ELb0ES3_PKfPffZZZN2at6native31launch_logcumsumexp_cuda_kernelERKNSB_10TensorBaseESF_lENKUlvE_clEvENKUlvE0_clEvEUlffE_fEEDaPvRmT3_T4_T5_mT6_P12ihipStream_tbENKUlT_T0_E_clISt17integral_constantIbLb0EESV_IbLb1EEEEDaSR_SS_EUlSR_E0_NS1_11comp_targetILNS1_3genE5ELNS1_11target_archE942ELNS1_3gpuE9ELNS1_3repE0EEENS1_30default_config_static_selectorELNS0_4arch9wavefront6targetE0EEEvT1_
	.p2align	8
	.type	_ZN7rocprim17ROCPRIM_400000_NS6detail17trampoline_kernelINS0_14default_configENS1_20scan_config_selectorIfEEZZNS1_9scan_implILNS1_25lookback_scan_determinismE0ELb0ELb0ES3_PKfPffZZZN2at6native31launch_logcumsumexp_cuda_kernelERKNSB_10TensorBaseESF_lENKUlvE_clEvENKUlvE0_clEvEUlffE_fEEDaPvRmT3_T4_T5_mT6_P12ihipStream_tbENKUlT_T0_E_clISt17integral_constantIbLb0EESV_IbLb1EEEEDaSR_SS_EUlSR_E0_NS1_11comp_targetILNS1_3genE5ELNS1_11target_archE942ELNS1_3gpuE9ELNS1_3repE0EEENS1_30default_config_static_selectorELNS0_4arch9wavefront6targetE0EEEvT1_,@function
_ZN7rocprim17ROCPRIM_400000_NS6detail17trampoline_kernelINS0_14default_configENS1_20scan_config_selectorIfEEZZNS1_9scan_implILNS1_25lookback_scan_determinismE0ELb0ELb0ES3_PKfPffZZZN2at6native31launch_logcumsumexp_cuda_kernelERKNSB_10TensorBaseESF_lENKUlvE_clEvENKUlvE0_clEvEUlffE_fEEDaPvRmT3_T4_T5_mT6_P12ihipStream_tbENKUlT_T0_E_clISt17integral_constantIbLb0EESV_IbLb1EEEEDaSR_SS_EUlSR_E0_NS1_11comp_targetILNS1_3genE5ELNS1_11target_archE942ELNS1_3gpuE9ELNS1_3repE0EEENS1_30default_config_static_selectorELNS0_4arch9wavefront6targetE0EEEvT1_: ; @_ZN7rocprim17ROCPRIM_400000_NS6detail17trampoline_kernelINS0_14default_configENS1_20scan_config_selectorIfEEZZNS1_9scan_implILNS1_25lookback_scan_determinismE0ELb0ELb0ES3_PKfPffZZZN2at6native31launch_logcumsumexp_cuda_kernelERKNSB_10TensorBaseESF_lENKUlvE_clEvENKUlvE0_clEvEUlffE_fEEDaPvRmT3_T4_T5_mT6_P12ihipStream_tbENKUlT_T0_E_clISt17integral_constantIbLb0EESV_IbLb1EEEEDaSR_SS_EUlSR_E0_NS1_11comp_targetILNS1_3genE5ELNS1_11target_archE942ELNS1_3gpuE9ELNS1_3repE0EEENS1_30default_config_static_selectorELNS0_4arch9wavefront6targetE0EEEvT1_
; %bb.0:
	.section	.rodata,"a",@progbits
	.p2align	6, 0x0
	.amdhsa_kernel _ZN7rocprim17ROCPRIM_400000_NS6detail17trampoline_kernelINS0_14default_configENS1_20scan_config_selectorIfEEZZNS1_9scan_implILNS1_25lookback_scan_determinismE0ELb0ELb0ES3_PKfPffZZZN2at6native31launch_logcumsumexp_cuda_kernelERKNSB_10TensorBaseESF_lENKUlvE_clEvENKUlvE0_clEvEUlffE_fEEDaPvRmT3_T4_T5_mT6_P12ihipStream_tbENKUlT_T0_E_clISt17integral_constantIbLb0EESV_IbLb1EEEEDaSR_SS_EUlSR_E0_NS1_11comp_targetILNS1_3genE5ELNS1_11target_archE942ELNS1_3gpuE9ELNS1_3repE0EEENS1_30default_config_static_selectorELNS0_4arch9wavefront6targetE0EEEvT1_
		.amdhsa_group_segment_fixed_size 0
		.amdhsa_private_segment_fixed_size 0
		.amdhsa_kernarg_size 32
		.amdhsa_user_sgpr_count 15
		.amdhsa_user_sgpr_dispatch_ptr 0
		.amdhsa_user_sgpr_queue_ptr 0
		.amdhsa_user_sgpr_kernarg_segment_ptr 1
		.amdhsa_user_sgpr_dispatch_id 0
		.amdhsa_user_sgpr_private_segment_size 0
		.amdhsa_wavefront_size32 1
		.amdhsa_uses_dynamic_stack 0
		.amdhsa_enable_private_segment 0
		.amdhsa_system_sgpr_workgroup_id_x 1
		.amdhsa_system_sgpr_workgroup_id_y 0
		.amdhsa_system_sgpr_workgroup_id_z 0
		.amdhsa_system_sgpr_workgroup_info 0
		.amdhsa_system_vgpr_workitem_id 0
		.amdhsa_next_free_vgpr 1
		.amdhsa_next_free_sgpr 1
		.amdhsa_reserve_vcc 0
		.amdhsa_float_round_mode_32 0
		.amdhsa_float_round_mode_16_64 0
		.amdhsa_float_denorm_mode_32 3
		.amdhsa_float_denorm_mode_16_64 3
		.amdhsa_dx10_clamp 1
		.amdhsa_ieee_mode 1
		.amdhsa_fp16_overflow 0
		.amdhsa_workgroup_processor_mode 1
		.amdhsa_memory_ordered 1
		.amdhsa_forward_progress 0
		.amdhsa_shared_vgpr_count 0
		.amdhsa_exception_fp_ieee_invalid_op 0
		.amdhsa_exception_fp_denorm_src 0
		.amdhsa_exception_fp_ieee_div_zero 0
		.amdhsa_exception_fp_ieee_overflow 0
		.amdhsa_exception_fp_ieee_underflow 0
		.amdhsa_exception_fp_ieee_inexact 0
		.amdhsa_exception_int_div_zero 0
	.end_amdhsa_kernel
	.section	.text._ZN7rocprim17ROCPRIM_400000_NS6detail17trampoline_kernelINS0_14default_configENS1_20scan_config_selectorIfEEZZNS1_9scan_implILNS1_25lookback_scan_determinismE0ELb0ELb0ES3_PKfPffZZZN2at6native31launch_logcumsumexp_cuda_kernelERKNSB_10TensorBaseESF_lENKUlvE_clEvENKUlvE0_clEvEUlffE_fEEDaPvRmT3_T4_T5_mT6_P12ihipStream_tbENKUlT_T0_E_clISt17integral_constantIbLb0EESV_IbLb1EEEEDaSR_SS_EUlSR_E0_NS1_11comp_targetILNS1_3genE5ELNS1_11target_archE942ELNS1_3gpuE9ELNS1_3repE0EEENS1_30default_config_static_selectorELNS0_4arch9wavefront6targetE0EEEvT1_,"axG",@progbits,_ZN7rocprim17ROCPRIM_400000_NS6detail17trampoline_kernelINS0_14default_configENS1_20scan_config_selectorIfEEZZNS1_9scan_implILNS1_25lookback_scan_determinismE0ELb0ELb0ES3_PKfPffZZZN2at6native31launch_logcumsumexp_cuda_kernelERKNSB_10TensorBaseESF_lENKUlvE_clEvENKUlvE0_clEvEUlffE_fEEDaPvRmT3_T4_T5_mT6_P12ihipStream_tbENKUlT_T0_E_clISt17integral_constantIbLb0EESV_IbLb1EEEEDaSR_SS_EUlSR_E0_NS1_11comp_targetILNS1_3genE5ELNS1_11target_archE942ELNS1_3gpuE9ELNS1_3repE0EEENS1_30default_config_static_selectorELNS0_4arch9wavefront6targetE0EEEvT1_,comdat
.Lfunc_end167:
	.size	_ZN7rocprim17ROCPRIM_400000_NS6detail17trampoline_kernelINS0_14default_configENS1_20scan_config_selectorIfEEZZNS1_9scan_implILNS1_25lookback_scan_determinismE0ELb0ELb0ES3_PKfPffZZZN2at6native31launch_logcumsumexp_cuda_kernelERKNSB_10TensorBaseESF_lENKUlvE_clEvENKUlvE0_clEvEUlffE_fEEDaPvRmT3_T4_T5_mT6_P12ihipStream_tbENKUlT_T0_E_clISt17integral_constantIbLb0EESV_IbLb1EEEEDaSR_SS_EUlSR_E0_NS1_11comp_targetILNS1_3genE5ELNS1_11target_archE942ELNS1_3gpuE9ELNS1_3repE0EEENS1_30default_config_static_selectorELNS0_4arch9wavefront6targetE0EEEvT1_, .Lfunc_end167-_ZN7rocprim17ROCPRIM_400000_NS6detail17trampoline_kernelINS0_14default_configENS1_20scan_config_selectorIfEEZZNS1_9scan_implILNS1_25lookback_scan_determinismE0ELb0ELb0ES3_PKfPffZZZN2at6native31launch_logcumsumexp_cuda_kernelERKNSB_10TensorBaseESF_lENKUlvE_clEvENKUlvE0_clEvEUlffE_fEEDaPvRmT3_T4_T5_mT6_P12ihipStream_tbENKUlT_T0_E_clISt17integral_constantIbLb0EESV_IbLb1EEEEDaSR_SS_EUlSR_E0_NS1_11comp_targetILNS1_3genE5ELNS1_11target_archE942ELNS1_3gpuE9ELNS1_3repE0EEENS1_30default_config_static_selectorELNS0_4arch9wavefront6targetE0EEEvT1_
                                        ; -- End function
	.section	.AMDGPU.csdata,"",@progbits
; Kernel info:
; codeLenInByte = 0
; NumSgprs: 0
; NumVgprs: 0
; ScratchSize: 0
; MemoryBound: 0
; FloatMode: 240
; IeeeMode: 1
; LDSByteSize: 0 bytes/workgroup (compile time only)
; SGPRBlocks: 0
; VGPRBlocks: 0
; NumSGPRsForWavesPerEU: 1
; NumVGPRsForWavesPerEU: 1
; Occupancy: 16
; WaveLimiterHint : 0
; COMPUTE_PGM_RSRC2:SCRATCH_EN: 0
; COMPUTE_PGM_RSRC2:USER_SGPR: 15
; COMPUTE_PGM_RSRC2:TRAP_HANDLER: 0
; COMPUTE_PGM_RSRC2:TGID_X_EN: 1
; COMPUTE_PGM_RSRC2:TGID_Y_EN: 0
; COMPUTE_PGM_RSRC2:TGID_Z_EN: 0
; COMPUTE_PGM_RSRC2:TIDIG_COMP_CNT: 0
	.section	.text._ZN7rocprim17ROCPRIM_400000_NS6detail17trampoline_kernelINS0_14default_configENS1_20scan_config_selectorIfEEZZNS1_9scan_implILNS1_25lookback_scan_determinismE0ELb0ELb0ES3_PKfPffZZZN2at6native31launch_logcumsumexp_cuda_kernelERKNSB_10TensorBaseESF_lENKUlvE_clEvENKUlvE0_clEvEUlffE_fEEDaPvRmT3_T4_T5_mT6_P12ihipStream_tbENKUlT_T0_E_clISt17integral_constantIbLb0EESV_IbLb1EEEEDaSR_SS_EUlSR_E0_NS1_11comp_targetILNS1_3genE4ELNS1_11target_archE910ELNS1_3gpuE8ELNS1_3repE0EEENS1_30default_config_static_selectorELNS0_4arch9wavefront6targetE0EEEvT1_,"axG",@progbits,_ZN7rocprim17ROCPRIM_400000_NS6detail17trampoline_kernelINS0_14default_configENS1_20scan_config_selectorIfEEZZNS1_9scan_implILNS1_25lookback_scan_determinismE0ELb0ELb0ES3_PKfPffZZZN2at6native31launch_logcumsumexp_cuda_kernelERKNSB_10TensorBaseESF_lENKUlvE_clEvENKUlvE0_clEvEUlffE_fEEDaPvRmT3_T4_T5_mT6_P12ihipStream_tbENKUlT_T0_E_clISt17integral_constantIbLb0EESV_IbLb1EEEEDaSR_SS_EUlSR_E0_NS1_11comp_targetILNS1_3genE4ELNS1_11target_archE910ELNS1_3gpuE8ELNS1_3repE0EEENS1_30default_config_static_selectorELNS0_4arch9wavefront6targetE0EEEvT1_,comdat
	.globl	_ZN7rocprim17ROCPRIM_400000_NS6detail17trampoline_kernelINS0_14default_configENS1_20scan_config_selectorIfEEZZNS1_9scan_implILNS1_25lookback_scan_determinismE0ELb0ELb0ES3_PKfPffZZZN2at6native31launch_logcumsumexp_cuda_kernelERKNSB_10TensorBaseESF_lENKUlvE_clEvENKUlvE0_clEvEUlffE_fEEDaPvRmT3_T4_T5_mT6_P12ihipStream_tbENKUlT_T0_E_clISt17integral_constantIbLb0EESV_IbLb1EEEEDaSR_SS_EUlSR_E0_NS1_11comp_targetILNS1_3genE4ELNS1_11target_archE910ELNS1_3gpuE8ELNS1_3repE0EEENS1_30default_config_static_selectorELNS0_4arch9wavefront6targetE0EEEvT1_ ; -- Begin function _ZN7rocprim17ROCPRIM_400000_NS6detail17trampoline_kernelINS0_14default_configENS1_20scan_config_selectorIfEEZZNS1_9scan_implILNS1_25lookback_scan_determinismE0ELb0ELb0ES3_PKfPffZZZN2at6native31launch_logcumsumexp_cuda_kernelERKNSB_10TensorBaseESF_lENKUlvE_clEvENKUlvE0_clEvEUlffE_fEEDaPvRmT3_T4_T5_mT6_P12ihipStream_tbENKUlT_T0_E_clISt17integral_constantIbLb0EESV_IbLb1EEEEDaSR_SS_EUlSR_E0_NS1_11comp_targetILNS1_3genE4ELNS1_11target_archE910ELNS1_3gpuE8ELNS1_3repE0EEENS1_30default_config_static_selectorELNS0_4arch9wavefront6targetE0EEEvT1_
	.p2align	8
	.type	_ZN7rocprim17ROCPRIM_400000_NS6detail17trampoline_kernelINS0_14default_configENS1_20scan_config_selectorIfEEZZNS1_9scan_implILNS1_25lookback_scan_determinismE0ELb0ELb0ES3_PKfPffZZZN2at6native31launch_logcumsumexp_cuda_kernelERKNSB_10TensorBaseESF_lENKUlvE_clEvENKUlvE0_clEvEUlffE_fEEDaPvRmT3_T4_T5_mT6_P12ihipStream_tbENKUlT_T0_E_clISt17integral_constantIbLb0EESV_IbLb1EEEEDaSR_SS_EUlSR_E0_NS1_11comp_targetILNS1_3genE4ELNS1_11target_archE910ELNS1_3gpuE8ELNS1_3repE0EEENS1_30default_config_static_selectorELNS0_4arch9wavefront6targetE0EEEvT1_,@function
_ZN7rocprim17ROCPRIM_400000_NS6detail17trampoline_kernelINS0_14default_configENS1_20scan_config_selectorIfEEZZNS1_9scan_implILNS1_25lookback_scan_determinismE0ELb0ELb0ES3_PKfPffZZZN2at6native31launch_logcumsumexp_cuda_kernelERKNSB_10TensorBaseESF_lENKUlvE_clEvENKUlvE0_clEvEUlffE_fEEDaPvRmT3_T4_T5_mT6_P12ihipStream_tbENKUlT_T0_E_clISt17integral_constantIbLb0EESV_IbLb1EEEEDaSR_SS_EUlSR_E0_NS1_11comp_targetILNS1_3genE4ELNS1_11target_archE910ELNS1_3gpuE8ELNS1_3repE0EEENS1_30default_config_static_selectorELNS0_4arch9wavefront6targetE0EEEvT1_: ; @_ZN7rocprim17ROCPRIM_400000_NS6detail17trampoline_kernelINS0_14default_configENS1_20scan_config_selectorIfEEZZNS1_9scan_implILNS1_25lookback_scan_determinismE0ELb0ELb0ES3_PKfPffZZZN2at6native31launch_logcumsumexp_cuda_kernelERKNSB_10TensorBaseESF_lENKUlvE_clEvENKUlvE0_clEvEUlffE_fEEDaPvRmT3_T4_T5_mT6_P12ihipStream_tbENKUlT_T0_E_clISt17integral_constantIbLb0EESV_IbLb1EEEEDaSR_SS_EUlSR_E0_NS1_11comp_targetILNS1_3genE4ELNS1_11target_archE910ELNS1_3gpuE8ELNS1_3repE0EEENS1_30default_config_static_selectorELNS0_4arch9wavefront6targetE0EEEvT1_
; %bb.0:
	.section	.rodata,"a",@progbits
	.p2align	6, 0x0
	.amdhsa_kernel _ZN7rocprim17ROCPRIM_400000_NS6detail17trampoline_kernelINS0_14default_configENS1_20scan_config_selectorIfEEZZNS1_9scan_implILNS1_25lookback_scan_determinismE0ELb0ELb0ES3_PKfPffZZZN2at6native31launch_logcumsumexp_cuda_kernelERKNSB_10TensorBaseESF_lENKUlvE_clEvENKUlvE0_clEvEUlffE_fEEDaPvRmT3_T4_T5_mT6_P12ihipStream_tbENKUlT_T0_E_clISt17integral_constantIbLb0EESV_IbLb1EEEEDaSR_SS_EUlSR_E0_NS1_11comp_targetILNS1_3genE4ELNS1_11target_archE910ELNS1_3gpuE8ELNS1_3repE0EEENS1_30default_config_static_selectorELNS0_4arch9wavefront6targetE0EEEvT1_
		.amdhsa_group_segment_fixed_size 0
		.amdhsa_private_segment_fixed_size 0
		.amdhsa_kernarg_size 32
		.amdhsa_user_sgpr_count 15
		.amdhsa_user_sgpr_dispatch_ptr 0
		.amdhsa_user_sgpr_queue_ptr 0
		.amdhsa_user_sgpr_kernarg_segment_ptr 1
		.amdhsa_user_sgpr_dispatch_id 0
		.amdhsa_user_sgpr_private_segment_size 0
		.amdhsa_wavefront_size32 1
		.amdhsa_uses_dynamic_stack 0
		.amdhsa_enable_private_segment 0
		.amdhsa_system_sgpr_workgroup_id_x 1
		.amdhsa_system_sgpr_workgroup_id_y 0
		.amdhsa_system_sgpr_workgroup_id_z 0
		.amdhsa_system_sgpr_workgroup_info 0
		.amdhsa_system_vgpr_workitem_id 0
		.amdhsa_next_free_vgpr 1
		.amdhsa_next_free_sgpr 1
		.amdhsa_reserve_vcc 0
		.amdhsa_float_round_mode_32 0
		.amdhsa_float_round_mode_16_64 0
		.amdhsa_float_denorm_mode_32 3
		.amdhsa_float_denorm_mode_16_64 3
		.amdhsa_dx10_clamp 1
		.amdhsa_ieee_mode 1
		.amdhsa_fp16_overflow 0
		.amdhsa_workgroup_processor_mode 1
		.amdhsa_memory_ordered 1
		.amdhsa_forward_progress 0
		.amdhsa_shared_vgpr_count 0
		.amdhsa_exception_fp_ieee_invalid_op 0
		.amdhsa_exception_fp_denorm_src 0
		.amdhsa_exception_fp_ieee_div_zero 0
		.amdhsa_exception_fp_ieee_overflow 0
		.amdhsa_exception_fp_ieee_underflow 0
		.amdhsa_exception_fp_ieee_inexact 0
		.amdhsa_exception_int_div_zero 0
	.end_amdhsa_kernel
	.section	.text._ZN7rocprim17ROCPRIM_400000_NS6detail17trampoline_kernelINS0_14default_configENS1_20scan_config_selectorIfEEZZNS1_9scan_implILNS1_25lookback_scan_determinismE0ELb0ELb0ES3_PKfPffZZZN2at6native31launch_logcumsumexp_cuda_kernelERKNSB_10TensorBaseESF_lENKUlvE_clEvENKUlvE0_clEvEUlffE_fEEDaPvRmT3_T4_T5_mT6_P12ihipStream_tbENKUlT_T0_E_clISt17integral_constantIbLb0EESV_IbLb1EEEEDaSR_SS_EUlSR_E0_NS1_11comp_targetILNS1_3genE4ELNS1_11target_archE910ELNS1_3gpuE8ELNS1_3repE0EEENS1_30default_config_static_selectorELNS0_4arch9wavefront6targetE0EEEvT1_,"axG",@progbits,_ZN7rocprim17ROCPRIM_400000_NS6detail17trampoline_kernelINS0_14default_configENS1_20scan_config_selectorIfEEZZNS1_9scan_implILNS1_25lookback_scan_determinismE0ELb0ELb0ES3_PKfPffZZZN2at6native31launch_logcumsumexp_cuda_kernelERKNSB_10TensorBaseESF_lENKUlvE_clEvENKUlvE0_clEvEUlffE_fEEDaPvRmT3_T4_T5_mT6_P12ihipStream_tbENKUlT_T0_E_clISt17integral_constantIbLb0EESV_IbLb1EEEEDaSR_SS_EUlSR_E0_NS1_11comp_targetILNS1_3genE4ELNS1_11target_archE910ELNS1_3gpuE8ELNS1_3repE0EEENS1_30default_config_static_selectorELNS0_4arch9wavefront6targetE0EEEvT1_,comdat
.Lfunc_end168:
	.size	_ZN7rocprim17ROCPRIM_400000_NS6detail17trampoline_kernelINS0_14default_configENS1_20scan_config_selectorIfEEZZNS1_9scan_implILNS1_25lookback_scan_determinismE0ELb0ELb0ES3_PKfPffZZZN2at6native31launch_logcumsumexp_cuda_kernelERKNSB_10TensorBaseESF_lENKUlvE_clEvENKUlvE0_clEvEUlffE_fEEDaPvRmT3_T4_T5_mT6_P12ihipStream_tbENKUlT_T0_E_clISt17integral_constantIbLb0EESV_IbLb1EEEEDaSR_SS_EUlSR_E0_NS1_11comp_targetILNS1_3genE4ELNS1_11target_archE910ELNS1_3gpuE8ELNS1_3repE0EEENS1_30default_config_static_selectorELNS0_4arch9wavefront6targetE0EEEvT1_, .Lfunc_end168-_ZN7rocprim17ROCPRIM_400000_NS6detail17trampoline_kernelINS0_14default_configENS1_20scan_config_selectorIfEEZZNS1_9scan_implILNS1_25lookback_scan_determinismE0ELb0ELb0ES3_PKfPffZZZN2at6native31launch_logcumsumexp_cuda_kernelERKNSB_10TensorBaseESF_lENKUlvE_clEvENKUlvE0_clEvEUlffE_fEEDaPvRmT3_T4_T5_mT6_P12ihipStream_tbENKUlT_T0_E_clISt17integral_constantIbLb0EESV_IbLb1EEEEDaSR_SS_EUlSR_E0_NS1_11comp_targetILNS1_3genE4ELNS1_11target_archE910ELNS1_3gpuE8ELNS1_3repE0EEENS1_30default_config_static_selectorELNS0_4arch9wavefront6targetE0EEEvT1_
                                        ; -- End function
	.section	.AMDGPU.csdata,"",@progbits
; Kernel info:
; codeLenInByte = 0
; NumSgprs: 0
; NumVgprs: 0
; ScratchSize: 0
; MemoryBound: 0
; FloatMode: 240
; IeeeMode: 1
; LDSByteSize: 0 bytes/workgroup (compile time only)
; SGPRBlocks: 0
; VGPRBlocks: 0
; NumSGPRsForWavesPerEU: 1
; NumVGPRsForWavesPerEU: 1
; Occupancy: 16
; WaveLimiterHint : 0
; COMPUTE_PGM_RSRC2:SCRATCH_EN: 0
; COMPUTE_PGM_RSRC2:USER_SGPR: 15
; COMPUTE_PGM_RSRC2:TRAP_HANDLER: 0
; COMPUTE_PGM_RSRC2:TGID_X_EN: 1
; COMPUTE_PGM_RSRC2:TGID_Y_EN: 0
; COMPUTE_PGM_RSRC2:TGID_Z_EN: 0
; COMPUTE_PGM_RSRC2:TIDIG_COMP_CNT: 0
	.section	.text._ZN7rocprim17ROCPRIM_400000_NS6detail17trampoline_kernelINS0_14default_configENS1_20scan_config_selectorIfEEZZNS1_9scan_implILNS1_25lookback_scan_determinismE0ELb0ELb0ES3_PKfPffZZZN2at6native31launch_logcumsumexp_cuda_kernelERKNSB_10TensorBaseESF_lENKUlvE_clEvENKUlvE0_clEvEUlffE_fEEDaPvRmT3_T4_T5_mT6_P12ihipStream_tbENKUlT_T0_E_clISt17integral_constantIbLb0EESV_IbLb1EEEEDaSR_SS_EUlSR_E0_NS1_11comp_targetILNS1_3genE3ELNS1_11target_archE908ELNS1_3gpuE7ELNS1_3repE0EEENS1_30default_config_static_selectorELNS0_4arch9wavefront6targetE0EEEvT1_,"axG",@progbits,_ZN7rocprim17ROCPRIM_400000_NS6detail17trampoline_kernelINS0_14default_configENS1_20scan_config_selectorIfEEZZNS1_9scan_implILNS1_25lookback_scan_determinismE0ELb0ELb0ES3_PKfPffZZZN2at6native31launch_logcumsumexp_cuda_kernelERKNSB_10TensorBaseESF_lENKUlvE_clEvENKUlvE0_clEvEUlffE_fEEDaPvRmT3_T4_T5_mT6_P12ihipStream_tbENKUlT_T0_E_clISt17integral_constantIbLb0EESV_IbLb1EEEEDaSR_SS_EUlSR_E0_NS1_11comp_targetILNS1_3genE3ELNS1_11target_archE908ELNS1_3gpuE7ELNS1_3repE0EEENS1_30default_config_static_selectorELNS0_4arch9wavefront6targetE0EEEvT1_,comdat
	.globl	_ZN7rocprim17ROCPRIM_400000_NS6detail17trampoline_kernelINS0_14default_configENS1_20scan_config_selectorIfEEZZNS1_9scan_implILNS1_25lookback_scan_determinismE0ELb0ELb0ES3_PKfPffZZZN2at6native31launch_logcumsumexp_cuda_kernelERKNSB_10TensorBaseESF_lENKUlvE_clEvENKUlvE0_clEvEUlffE_fEEDaPvRmT3_T4_T5_mT6_P12ihipStream_tbENKUlT_T0_E_clISt17integral_constantIbLb0EESV_IbLb1EEEEDaSR_SS_EUlSR_E0_NS1_11comp_targetILNS1_3genE3ELNS1_11target_archE908ELNS1_3gpuE7ELNS1_3repE0EEENS1_30default_config_static_selectorELNS0_4arch9wavefront6targetE0EEEvT1_ ; -- Begin function _ZN7rocprim17ROCPRIM_400000_NS6detail17trampoline_kernelINS0_14default_configENS1_20scan_config_selectorIfEEZZNS1_9scan_implILNS1_25lookback_scan_determinismE0ELb0ELb0ES3_PKfPffZZZN2at6native31launch_logcumsumexp_cuda_kernelERKNSB_10TensorBaseESF_lENKUlvE_clEvENKUlvE0_clEvEUlffE_fEEDaPvRmT3_T4_T5_mT6_P12ihipStream_tbENKUlT_T0_E_clISt17integral_constantIbLb0EESV_IbLb1EEEEDaSR_SS_EUlSR_E0_NS1_11comp_targetILNS1_3genE3ELNS1_11target_archE908ELNS1_3gpuE7ELNS1_3repE0EEENS1_30default_config_static_selectorELNS0_4arch9wavefront6targetE0EEEvT1_
	.p2align	8
	.type	_ZN7rocprim17ROCPRIM_400000_NS6detail17trampoline_kernelINS0_14default_configENS1_20scan_config_selectorIfEEZZNS1_9scan_implILNS1_25lookback_scan_determinismE0ELb0ELb0ES3_PKfPffZZZN2at6native31launch_logcumsumexp_cuda_kernelERKNSB_10TensorBaseESF_lENKUlvE_clEvENKUlvE0_clEvEUlffE_fEEDaPvRmT3_T4_T5_mT6_P12ihipStream_tbENKUlT_T0_E_clISt17integral_constantIbLb0EESV_IbLb1EEEEDaSR_SS_EUlSR_E0_NS1_11comp_targetILNS1_3genE3ELNS1_11target_archE908ELNS1_3gpuE7ELNS1_3repE0EEENS1_30default_config_static_selectorELNS0_4arch9wavefront6targetE0EEEvT1_,@function
_ZN7rocprim17ROCPRIM_400000_NS6detail17trampoline_kernelINS0_14default_configENS1_20scan_config_selectorIfEEZZNS1_9scan_implILNS1_25lookback_scan_determinismE0ELb0ELb0ES3_PKfPffZZZN2at6native31launch_logcumsumexp_cuda_kernelERKNSB_10TensorBaseESF_lENKUlvE_clEvENKUlvE0_clEvEUlffE_fEEDaPvRmT3_T4_T5_mT6_P12ihipStream_tbENKUlT_T0_E_clISt17integral_constantIbLb0EESV_IbLb1EEEEDaSR_SS_EUlSR_E0_NS1_11comp_targetILNS1_3genE3ELNS1_11target_archE908ELNS1_3gpuE7ELNS1_3repE0EEENS1_30default_config_static_selectorELNS0_4arch9wavefront6targetE0EEEvT1_: ; @_ZN7rocprim17ROCPRIM_400000_NS6detail17trampoline_kernelINS0_14default_configENS1_20scan_config_selectorIfEEZZNS1_9scan_implILNS1_25lookback_scan_determinismE0ELb0ELb0ES3_PKfPffZZZN2at6native31launch_logcumsumexp_cuda_kernelERKNSB_10TensorBaseESF_lENKUlvE_clEvENKUlvE0_clEvEUlffE_fEEDaPvRmT3_T4_T5_mT6_P12ihipStream_tbENKUlT_T0_E_clISt17integral_constantIbLb0EESV_IbLb1EEEEDaSR_SS_EUlSR_E0_NS1_11comp_targetILNS1_3genE3ELNS1_11target_archE908ELNS1_3gpuE7ELNS1_3repE0EEENS1_30default_config_static_selectorELNS0_4arch9wavefront6targetE0EEEvT1_
; %bb.0:
	.section	.rodata,"a",@progbits
	.p2align	6, 0x0
	.amdhsa_kernel _ZN7rocprim17ROCPRIM_400000_NS6detail17trampoline_kernelINS0_14default_configENS1_20scan_config_selectorIfEEZZNS1_9scan_implILNS1_25lookback_scan_determinismE0ELb0ELb0ES3_PKfPffZZZN2at6native31launch_logcumsumexp_cuda_kernelERKNSB_10TensorBaseESF_lENKUlvE_clEvENKUlvE0_clEvEUlffE_fEEDaPvRmT3_T4_T5_mT6_P12ihipStream_tbENKUlT_T0_E_clISt17integral_constantIbLb0EESV_IbLb1EEEEDaSR_SS_EUlSR_E0_NS1_11comp_targetILNS1_3genE3ELNS1_11target_archE908ELNS1_3gpuE7ELNS1_3repE0EEENS1_30default_config_static_selectorELNS0_4arch9wavefront6targetE0EEEvT1_
		.amdhsa_group_segment_fixed_size 0
		.amdhsa_private_segment_fixed_size 0
		.amdhsa_kernarg_size 32
		.amdhsa_user_sgpr_count 15
		.amdhsa_user_sgpr_dispatch_ptr 0
		.amdhsa_user_sgpr_queue_ptr 0
		.amdhsa_user_sgpr_kernarg_segment_ptr 1
		.amdhsa_user_sgpr_dispatch_id 0
		.amdhsa_user_sgpr_private_segment_size 0
		.amdhsa_wavefront_size32 1
		.amdhsa_uses_dynamic_stack 0
		.amdhsa_enable_private_segment 0
		.amdhsa_system_sgpr_workgroup_id_x 1
		.amdhsa_system_sgpr_workgroup_id_y 0
		.amdhsa_system_sgpr_workgroup_id_z 0
		.amdhsa_system_sgpr_workgroup_info 0
		.amdhsa_system_vgpr_workitem_id 0
		.amdhsa_next_free_vgpr 1
		.amdhsa_next_free_sgpr 1
		.amdhsa_reserve_vcc 0
		.amdhsa_float_round_mode_32 0
		.amdhsa_float_round_mode_16_64 0
		.amdhsa_float_denorm_mode_32 3
		.amdhsa_float_denorm_mode_16_64 3
		.amdhsa_dx10_clamp 1
		.amdhsa_ieee_mode 1
		.amdhsa_fp16_overflow 0
		.amdhsa_workgroup_processor_mode 1
		.amdhsa_memory_ordered 1
		.amdhsa_forward_progress 0
		.amdhsa_shared_vgpr_count 0
		.amdhsa_exception_fp_ieee_invalid_op 0
		.amdhsa_exception_fp_denorm_src 0
		.amdhsa_exception_fp_ieee_div_zero 0
		.amdhsa_exception_fp_ieee_overflow 0
		.amdhsa_exception_fp_ieee_underflow 0
		.amdhsa_exception_fp_ieee_inexact 0
		.amdhsa_exception_int_div_zero 0
	.end_amdhsa_kernel
	.section	.text._ZN7rocprim17ROCPRIM_400000_NS6detail17trampoline_kernelINS0_14default_configENS1_20scan_config_selectorIfEEZZNS1_9scan_implILNS1_25lookback_scan_determinismE0ELb0ELb0ES3_PKfPffZZZN2at6native31launch_logcumsumexp_cuda_kernelERKNSB_10TensorBaseESF_lENKUlvE_clEvENKUlvE0_clEvEUlffE_fEEDaPvRmT3_T4_T5_mT6_P12ihipStream_tbENKUlT_T0_E_clISt17integral_constantIbLb0EESV_IbLb1EEEEDaSR_SS_EUlSR_E0_NS1_11comp_targetILNS1_3genE3ELNS1_11target_archE908ELNS1_3gpuE7ELNS1_3repE0EEENS1_30default_config_static_selectorELNS0_4arch9wavefront6targetE0EEEvT1_,"axG",@progbits,_ZN7rocprim17ROCPRIM_400000_NS6detail17trampoline_kernelINS0_14default_configENS1_20scan_config_selectorIfEEZZNS1_9scan_implILNS1_25lookback_scan_determinismE0ELb0ELb0ES3_PKfPffZZZN2at6native31launch_logcumsumexp_cuda_kernelERKNSB_10TensorBaseESF_lENKUlvE_clEvENKUlvE0_clEvEUlffE_fEEDaPvRmT3_T4_T5_mT6_P12ihipStream_tbENKUlT_T0_E_clISt17integral_constantIbLb0EESV_IbLb1EEEEDaSR_SS_EUlSR_E0_NS1_11comp_targetILNS1_3genE3ELNS1_11target_archE908ELNS1_3gpuE7ELNS1_3repE0EEENS1_30default_config_static_selectorELNS0_4arch9wavefront6targetE0EEEvT1_,comdat
.Lfunc_end169:
	.size	_ZN7rocprim17ROCPRIM_400000_NS6detail17trampoline_kernelINS0_14default_configENS1_20scan_config_selectorIfEEZZNS1_9scan_implILNS1_25lookback_scan_determinismE0ELb0ELb0ES3_PKfPffZZZN2at6native31launch_logcumsumexp_cuda_kernelERKNSB_10TensorBaseESF_lENKUlvE_clEvENKUlvE0_clEvEUlffE_fEEDaPvRmT3_T4_T5_mT6_P12ihipStream_tbENKUlT_T0_E_clISt17integral_constantIbLb0EESV_IbLb1EEEEDaSR_SS_EUlSR_E0_NS1_11comp_targetILNS1_3genE3ELNS1_11target_archE908ELNS1_3gpuE7ELNS1_3repE0EEENS1_30default_config_static_selectorELNS0_4arch9wavefront6targetE0EEEvT1_, .Lfunc_end169-_ZN7rocprim17ROCPRIM_400000_NS6detail17trampoline_kernelINS0_14default_configENS1_20scan_config_selectorIfEEZZNS1_9scan_implILNS1_25lookback_scan_determinismE0ELb0ELb0ES3_PKfPffZZZN2at6native31launch_logcumsumexp_cuda_kernelERKNSB_10TensorBaseESF_lENKUlvE_clEvENKUlvE0_clEvEUlffE_fEEDaPvRmT3_T4_T5_mT6_P12ihipStream_tbENKUlT_T0_E_clISt17integral_constantIbLb0EESV_IbLb1EEEEDaSR_SS_EUlSR_E0_NS1_11comp_targetILNS1_3genE3ELNS1_11target_archE908ELNS1_3gpuE7ELNS1_3repE0EEENS1_30default_config_static_selectorELNS0_4arch9wavefront6targetE0EEEvT1_
                                        ; -- End function
	.section	.AMDGPU.csdata,"",@progbits
; Kernel info:
; codeLenInByte = 0
; NumSgprs: 0
; NumVgprs: 0
; ScratchSize: 0
; MemoryBound: 0
; FloatMode: 240
; IeeeMode: 1
; LDSByteSize: 0 bytes/workgroup (compile time only)
; SGPRBlocks: 0
; VGPRBlocks: 0
; NumSGPRsForWavesPerEU: 1
; NumVGPRsForWavesPerEU: 1
; Occupancy: 16
; WaveLimiterHint : 0
; COMPUTE_PGM_RSRC2:SCRATCH_EN: 0
; COMPUTE_PGM_RSRC2:USER_SGPR: 15
; COMPUTE_PGM_RSRC2:TRAP_HANDLER: 0
; COMPUTE_PGM_RSRC2:TGID_X_EN: 1
; COMPUTE_PGM_RSRC2:TGID_Y_EN: 0
; COMPUTE_PGM_RSRC2:TGID_Z_EN: 0
; COMPUTE_PGM_RSRC2:TIDIG_COMP_CNT: 0
	.section	.text._ZN7rocprim17ROCPRIM_400000_NS6detail17trampoline_kernelINS0_14default_configENS1_20scan_config_selectorIfEEZZNS1_9scan_implILNS1_25lookback_scan_determinismE0ELb0ELb0ES3_PKfPffZZZN2at6native31launch_logcumsumexp_cuda_kernelERKNSB_10TensorBaseESF_lENKUlvE_clEvENKUlvE0_clEvEUlffE_fEEDaPvRmT3_T4_T5_mT6_P12ihipStream_tbENKUlT_T0_E_clISt17integral_constantIbLb0EESV_IbLb1EEEEDaSR_SS_EUlSR_E0_NS1_11comp_targetILNS1_3genE2ELNS1_11target_archE906ELNS1_3gpuE6ELNS1_3repE0EEENS1_30default_config_static_selectorELNS0_4arch9wavefront6targetE0EEEvT1_,"axG",@progbits,_ZN7rocprim17ROCPRIM_400000_NS6detail17trampoline_kernelINS0_14default_configENS1_20scan_config_selectorIfEEZZNS1_9scan_implILNS1_25lookback_scan_determinismE0ELb0ELb0ES3_PKfPffZZZN2at6native31launch_logcumsumexp_cuda_kernelERKNSB_10TensorBaseESF_lENKUlvE_clEvENKUlvE0_clEvEUlffE_fEEDaPvRmT3_T4_T5_mT6_P12ihipStream_tbENKUlT_T0_E_clISt17integral_constantIbLb0EESV_IbLb1EEEEDaSR_SS_EUlSR_E0_NS1_11comp_targetILNS1_3genE2ELNS1_11target_archE906ELNS1_3gpuE6ELNS1_3repE0EEENS1_30default_config_static_selectorELNS0_4arch9wavefront6targetE0EEEvT1_,comdat
	.globl	_ZN7rocprim17ROCPRIM_400000_NS6detail17trampoline_kernelINS0_14default_configENS1_20scan_config_selectorIfEEZZNS1_9scan_implILNS1_25lookback_scan_determinismE0ELb0ELb0ES3_PKfPffZZZN2at6native31launch_logcumsumexp_cuda_kernelERKNSB_10TensorBaseESF_lENKUlvE_clEvENKUlvE0_clEvEUlffE_fEEDaPvRmT3_T4_T5_mT6_P12ihipStream_tbENKUlT_T0_E_clISt17integral_constantIbLb0EESV_IbLb1EEEEDaSR_SS_EUlSR_E0_NS1_11comp_targetILNS1_3genE2ELNS1_11target_archE906ELNS1_3gpuE6ELNS1_3repE0EEENS1_30default_config_static_selectorELNS0_4arch9wavefront6targetE0EEEvT1_ ; -- Begin function _ZN7rocprim17ROCPRIM_400000_NS6detail17trampoline_kernelINS0_14default_configENS1_20scan_config_selectorIfEEZZNS1_9scan_implILNS1_25lookback_scan_determinismE0ELb0ELb0ES3_PKfPffZZZN2at6native31launch_logcumsumexp_cuda_kernelERKNSB_10TensorBaseESF_lENKUlvE_clEvENKUlvE0_clEvEUlffE_fEEDaPvRmT3_T4_T5_mT6_P12ihipStream_tbENKUlT_T0_E_clISt17integral_constantIbLb0EESV_IbLb1EEEEDaSR_SS_EUlSR_E0_NS1_11comp_targetILNS1_3genE2ELNS1_11target_archE906ELNS1_3gpuE6ELNS1_3repE0EEENS1_30default_config_static_selectorELNS0_4arch9wavefront6targetE0EEEvT1_
	.p2align	8
	.type	_ZN7rocprim17ROCPRIM_400000_NS6detail17trampoline_kernelINS0_14default_configENS1_20scan_config_selectorIfEEZZNS1_9scan_implILNS1_25lookback_scan_determinismE0ELb0ELb0ES3_PKfPffZZZN2at6native31launch_logcumsumexp_cuda_kernelERKNSB_10TensorBaseESF_lENKUlvE_clEvENKUlvE0_clEvEUlffE_fEEDaPvRmT3_T4_T5_mT6_P12ihipStream_tbENKUlT_T0_E_clISt17integral_constantIbLb0EESV_IbLb1EEEEDaSR_SS_EUlSR_E0_NS1_11comp_targetILNS1_3genE2ELNS1_11target_archE906ELNS1_3gpuE6ELNS1_3repE0EEENS1_30default_config_static_selectorELNS0_4arch9wavefront6targetE0EEEvT1_,@function
_ZN7rocprim17ROCPRIM_400000_NS6detail17trampoline_kernelINS0_14default_configENS1_20scan_config_selectorIfEEZZNS1_9scan_implILNS1_25lookback_scan_determinismE0ELb0ELb0ES3_PKfPffZZZN2at6native31launch_logcumsumexp_cuda_kernelERKNSB_10TensorBaseESF_lENKUlvE_clEvENKUlvE0_clEvEUlffE_fEEDaPvRmT3_T4_T5_mT6_P12ihipStream_tbENKUlT_T0_E_clISt17integral_constantIbLb0EESV_IbLb1EEEEDaSR_SS_EUlSR_E0_NS1_11comp_targetILNS1_3genE2ELNS1_11target_archE906ELNS1_3gpuE6ELNS1_3repE0EEENS1_30default_config_static_selectorELNS0_4arch9wavefront6targetE0EEEvT1_: ; @_ZN7rocprim17ROCPRIM_400000_NS6detail17trampoline_kernelINS0_14default_configENS1_20scan_config_selectorIfEEZZNS1_9scan_implILNS1_25lookback_scan_determinismE0ELb0ELb0ES3_PKfPffZZZN2at6native31launch_logcumsumexp_cuda_kernelERKNSB_10TensorBaseESF_lENKUlvE_clEvENKUlvE0_clEvEUlffE_fEEDaPvRmT3_T4_T5_mT6_P12ihipStream_tbENKUlT_T0_E_clISt17integral_constantIbLb0EESV_IbLb1EEEEDaSR_SS_EUlSR_E0_NS1_11comp_targetILNS1_3genE2ELNS1_11target_archE906ELNS1_3gpuE6ELNS1_3repE0EEENS1_30default_config_static_selectorELNS0_4arch9wavefront6targetE0EEEvT1_
; %bb.0:
	.section	.rodata,"a",@progbits
	.p2align	6, 0x0
	.amdhsa_kernel _ZN7rocprim17ROCPRIM_400000_NS6detail17trampoline_kernelINS0_14default_configENS1_20scan_config_selectorIfEEZZNS1_9scan_implILNS1_25lookback_scan_determinismE0ELb0ELb0ES3_PKfPffZZZN2at6native31launch_logcumsumexp_cuda_kernelERKNSB_10TensorBaseESF_lENKUlvE_clEvENKUlvE0_clEvEUlffE_fEEDaPvRmT3_T4_T5_mT6_P12ihipStream_tbENKUlT_T0_E_clISt17integral_constantIbLb0EESV_IbLb1EEEEDaSR_SS_EUlSR_E0_NS1_11comp_targetILNS1_3genE2ELNS1_11target_archE906ELNS1_3gpuE6ELNS1_3repE0EEENS1_30default_config_static_selectorELNS0_4arch9wavefront6targetE0EEEvT1_
		.amdhsa_group_segment_fixed_size 0
		.amdhsa_private_segment_fixed_size 0
		.amdhsa_kernarg_size 32
		.amdhsa_user_sgpr_count 15
		.amdhsa_user_sgpr_dispatch_ptr 0
		.amdhsa_user_sgpr_queue_ptr 0
		.amdhsa_user_sgpr_kernarg_segment_ptr 1
		.amdhsa_user_sgpr_dispatch_id 0
		.amdhsa_user_sgpr_private_segment_size 0
		.amdhsa_wavefront_size32 1
		.amdhsa_uses_dynamic_stack 0
		.amdhsa_enable_private_segment 0
		.amdhsa_system_sgpr_workgroup_id_x 1
		.amdhsa_system_sgpr_workgroup_id_y 0
		.amdhsa_system_sgpr_workgroup_id_z 0
		.amdhsa_system_sgpr_workgroup_info 0
		.amdhsa_system_vgpr_workitem_id 0
		.amdhsa_next_free_vgpr 1
		.amdhsa_next_free_sgpr 1
		.amdhsa_reserve_vcc 0
		.amdhsa_float_round_mode_32 0
		.amdhsa_float_round_mode_16_64 0
		.amdhsa_float_denorm_mode_32 3
		.amdhsa_float_denorm_mode_16_64 3
		.amdhsa_dx10_clamp 1
		.amdhsa_ieee_mode 1
		.amdhsa_fp16_overflow 0
		.amdhsa_workgroup_processor_mode 1
		.amdhsa_memory_ordered 1
		.amdhsa_forward_progress 0
		.amdhsa_shared_vgpr_count 0
		.amdhsa_exception_fp_ieee_invalid_op 0
		.amdhsa_exception_fp_denorm_src 0
		.amdhsa_exception_fp_ieee_div_zero 0
		.amdhsa_exception_fp_ieee_overflow 0
		.amdhsa_exception_fp_ieee_underflow 0
		.amdhsa_exception_fp_ieee_inexact 0
		.amdhsa_exception_int_div_zero 0
	.end_amdhsa_kernel
	.section	.text._ZN7rocprim17ROCPRIM_400000_NS6detail17trampoline_kernelINS0_14default_configENS1_20scan_config_selectorIfEEZZNS1_9scan_implILNS1_25lookback_scan_determinismE0ELb0ELb0ES3_PKfPffZZZN2at6native31launch_logcumsumexp_cuda_kernelERKNSB_10TensorBaseESF_lENKUlvE_clEvENKUlvE0_clEvEUlffE_fEEDaPvRmT3_T4_T5_mT6_P12ihipStream_tbENKUlT_T0_E_clISt17integral_constantIbLb0EESV_IbLb1EEEEDaSR_SS_EUlSR_E0_NS1_11comp_targetILNS1_3genE2ELNS1_11target_archE906ELNS1_3gpuE6ELNS1_3repE0EEENS1_30default_config_static_selectorELNS0_4arch9wavefront6targetE0EEEvT1_,"axG",@progbits,_ZN7rocprim17ROCPRIM_400000_NS6detail17trampoline_kernelINS0_14default_configENS1_20scan_config_selectorIfEEZZNS1_9scan_implILNS1_25lookback_scan_determinismE0ELb0ELb0ES3_PKfPffZZZN2at6native31launch_logcumsumexp_cuda_kernelERKNSB_10TensorBaseESF_lENKUlvE_clEvENKUlvE0_clEvEUlffE_fEEDaPvRmT3_T4_T5_mT6_P12ihipStream_tbENKUlT_T0_E_clISt17integral_constantIbLb0EESV_IbLb1EEEEDaSR_SS_EUlSR_E0_NS1_11comp_targetILNS1_3genE2ELNS1_11target_archE906ELNS1_3gpuE6ELNS1_3repE0EEENS1_30default_config_static_selectorELNS0_4arch9wavefront6targetE0EEEvT1_,comdat
.Lfunc_end170:
	.size	_ZN7rocprim17ROCPRIM_400000_NS6detail17trampoline_kernelINS0_14default_configENS1_20scan_config_selectorIfEEZZNS1_9scan_implILNS1_25lookback_scan_determinismE0ELb0ELb0ES3_PKfPffZZZN2at6native31launch_logcumsumexp_cuda_kernelERKNSB_10TensorBaseESF_lENKUlvE_clEvENKUlvE0_clEvEUlffE_fEEDaPvRmT3_T4_T5_mT6_P12ihipStream_tbENKUlT_T0_E_clISt17integral_constantIbLb0EESV_IbLb1EEEEDaSR_SS_EUlSR_E0_NS1_11comp_targetILNS1_3genE2ELNS1_11target_archE906ELNS1_3gpuE6ELNS1_3repE0EEENS1_30default_config_static_selectorELNS0_4arch9wavefront6targetE0EEEvT1_, .Lfunc_end170-_ZN7rocprim17ROCPRIM_400000_NS6detail17trampoline_kernelINS0_14default_configENS1_20scan_config_selectorIfEEZZNS1_9scan_implILNS1_25lookback_scan_determinismE0ELb0ELb0ES3_PKfPffZZZN2at6native31launch_logcumsumexp_cuda_kernelERKNSB_10TensorBaseESF_lENKUlvE_clEvENKUlvE0_clEvEUlffE_fEEDaPvRmT3_T4_T5_mT6_P12ihipStream_tbENKUlT_T0_E_clISt17integral_constantIbLb0EESV_IbLb1EEEEDaSR_SS_EUlSR_E0_NS1_11comp_targetILNS1_3genE2ELNS1_11target_archE906ELNS1_3gpuE6ELNS1_3repE0EEENS1_30default_config_static_selectorELNS0_4arch9wavefront6targetE0EEEvT1_
                                        ; -- End function
	.section	.AMDGPU.csdata,"",@progbits
; Kernel info:
; codeLenInByte = 0
; NumSgprs: 0
; NumVgprs: 0
; ScratchSize: 0
; MemoryBound: 0
; FloatMode: 240
; IeeeMode: 1
; LDSByteSize: 0 bytes/workgroup (compile time only)
; SGPRBlocks: 0
; VGPRBlocks: 0
; NumSGPRsForWavesPerEU: 1
; NumVGPRsForWavesPerEU: 1
; Occupancy: 16
; WaveLimiterHint : 0
; COMPUTE_PGM_RSRC2:SCRATCH_EN: 0
; COMPUTE_PGM_RSRC2:USER_SGPR: 15
; COMPUTE_PGM_RSRC2:TRAP_HANDLER: 0
; COMPUTE_PGM_RSRC2:TGID_X_EN: 1
; COMPUTE_PGM_RSRC2:TGID_Y_EN: 0
; COMPUTE_PGM_RSRC2:TGID_Z_EN: 0
; COMPUTE_PGM_RSRC2:TIDIG_COMP_CNT: 0
	.section	.text._ZN7rocprim17ROCPRIM_400000_NS6detail17trampoline_kernelINS0_14default_configENS1_20scan_config_selectorIfEEZZNS1_9scan_implILNS1_25lookback_scan_determinismE0ELb0ELb0ES3_PKfPffZZZN2at6native31launch_logcumsumexp_cuda_kernelERKNSB_10TensorBaseESF_lENKUlvE_clEvENKUlvE0_clEvEUlffE_fEEDaPvRmT3_T4_T5_mT6_P12ihipStream_tbENKUlT_T0_E_clISt17integral_constantIbLb0EESV_IbLb1EEEEDaSR_SS_EUlSR_E0_NS1_11comp_targetILNS1_3genE10ELNS1_11target_archE1201ELNS1_3gpuE5ELNS1_3repE0EEENS1_30default_config_static_selectorELNS0_4arch9wavefront6targetE0EEEvT1_,"axG",@progbits,_ZN7rocprim17ROCPRIM_400000_NS6detail17trampoline_kernelINS0_14default_configENS1_20scan_config_selectorIfEEZZNS1_9scan_implILNS1_25lookback_scan_determinismE0ELb0ELb0ES3_PKfPffZZZN2at6native31launch_logcumsumexp_cuda_kernelERKNSB_10TensorBaseESF_lENKUlvE_clEvENKUlvE0_clEvEUlffE_fEEDaPvRmT3_T4_T5_mT6_P12ihipStream_tbENKUlT_T0_E_clISt17integral_constantIbLb0EESV_IbLb1EEEEDaSR_SS_EUlSR_E0_NS1_11comp_targetILNS1_3genE10ELNS1_11target_archE1201ELNS1_3gpuE5ELNS1_3repE0EEENS1_30default_config_static_selectorELNS0_4arch9wavefront6targetE0EEEvT1_,comdat
	.globl	_ZN7rocprim17ROCPRIM_400000_NS6detail17trampoline_kernelINS0_14default_configENS1_20scan_config_selectorIfEEZZNS1_9scan_implILNS1_25lookback_scan_determinismE0ELb0ELb0ES3_PKfPffZZZN2at6native31launch_logcumsumexp_cuda_kernelERKNSB_10TensorBaseESF_lENKUlvE_clEvENKUlvE0_clEvEUlffE_fEEDaPvRmT3_T4_T5_mT6_P12ihipStream_tbENKUlT_T0_E_clISt17integral_constantIbLb0EESV_IbLb1EEEEDaSR_SS_EUlSR_E0_NS1_11comp_targetILNS1_3genE10ELNS1_11target_archE1201ELNS1_3gpuE5ELNS1_3repE0EEENS1_30default_config_static_selectorELNS0_4arch9wavefront6targetE0EEEvT1_ ; -- Begin function _ZN7rocprim17ROCPRIM_400000_NS6detail17trampoline_kernelINS0_14default_configENS1_20scan_config_selectorIfEEZZNS1_9scan_implILNS1_25lookback_scan_determinismE0ELb0ELb0ES3_PKfPffZZZN2at6native31launch_logcumsumexp_cuda_kernelERKNSB_10TensorBaseESF_lENKUlvE_clEvENKUlvE0_clEvEUlffE_fEEDaPvRmT3_T4_T5_mT6_P12ihipStream_tbENKUlT_T0_E_clISt17integral_constantIbLb0EESV_IbLb1EEEEDaSR_SS_EUlSR_E0_NS1_11comp_targetILNS1_3genE10ELNS1_11target_archE1201ELNS1_3gpuE5ELNS1_3repE0EEENS1_30default_config_static_selectorELNS0_4arch9wavefront6targetE0EEEvT1_
	.p2align	8
	.type	_ZN7rocprim17ROCPRIM_400000_NS6detail17trampoline_kernelINS0_14default_configENS1_20scan_config_selectorIfEEZZNS1_9scan_implILNS1_25lookback_scan_determinismE0ELb0ELb0ES3_PKfPffZZZN2at6native31launch_logcumsumexp_cuda_kernelERKNSB_10TensorBaseESF_lENKUlvE_clEvENKUlvE0_clEvEUlffE_fEEDaPvRmT3_T4_T5_mT6_P12ihipStream_tbENKUlT_T0_E_clISt17integral_constantIbLb0EESV_IbLb1EEEEDaSR_SS_EUlSR_E0_NS1_11comp_targetILNS1_3genE10ELNS1_11target_archE1201ELNS1_3gpuE5ELNS1_3repE0EEENS1_30default_config_static_selectorELNS0_4arch9wavefront6targetE0EEEvT1_,@function
_ZN7rocprim17ROCPRIM_400000_NS6detail17trampoline_kernelINS0_14default_configENS1_20scan_config_selectorIfEEZZNS1_9scan_implILNS1_25lookback_scan_determinismE0ELb0ELb0ES3_PKfPffZZZN2at6native31launch_logcumsumexp_cuda_kernelERKNSB_10TensorBaseESF_lENKUlvE_clEvENKUlvE0_clEvEUlffE_fEEDaPvRmT3_T4_T5_mT6_P12ihipStream_tbENKUlT_T0_E_clISt17integral_constantIbLb0EESV_IbLb1EEEEDaSR_SS_EUlSR_E0_NS1_11comp_targetILNS1_3genE10ELNS1_11target_archE1201ELNS1_3gpuE5ELNS1_3repE0EEENS1_30default_config_static_selectorELNS0_4arch9wavefront6targetE0EEEvT1_: ; @_ZN7rocprim17ROCPRIM_400000_NS6detail17trampoline_kernelINS0_14default_configENS1_20scan_config_selectorIfEEZZNS1_9scan_implILNS1_25lookback_scan_determinismE0ELb0ELb0ES3_PKfPffZZZN2at6native31launch_logcumsumexp_cuda_kernelERKNSB_10TensorBaseESF_lENKUlvE_clEvENKUlvE0_clEvEUlffE_fEEDaPvRmT3_T4_T5_mT6_P12ihipStream_tbENKUlT_T0_E_clISt17integral_constantIbLb0EESV_IbLb1EEEEDaSR_SS_EUlSR_E0_NS1_11comp_targetILNS1_3genE10ELNS1_11target_archE1201ELNS1_3gpuE5ELNS1_3repE0EEENS1_30default_config_static_selectorELNS0_4arch9wavefront6targetE0EEEvT1_
; %bb.0:
	.section	.rodata,"a",@progbits
	.p2align	6, 0x0
	.amdhsa_kernel _ZN7rocprim17ROCPRIM_400000_NS6detail17trampoline_kernelINS0_14default_configENS1_20scan_config_selectorIfEEZZNS1_9scan_implILNS1_25lookback_scan_determinismE0ELb0ELb0ES3_PKfPffZZZN2at6native31launch_logcumsumexp_cuda_kernelERKNSB_10TensorBaseESF_lENKUlvE_clEvENKUlvE0_clEvEUlffE_fEEDaPvRmT3_T4_T5_mT6_P12ihipStream_tbENKUlT_T0_E_clISt17integral_constantIbLb0EESV_IbLb1EEEEDaSR_SS_EUlSR_E0_NS1_11comp_targetILNS1_3genE10ELNS1_11target_archE1201ELNS1_3gpuE5ELNS1_3repE0EEENS1_30default_config_static_selectorELNS0_4arch9wavefront6targetE0EEEvT1_
		.amdhsa_group_segment_fixed_size 0
		.amdhsa_private_segment_fixed_size 0
		.amdhsa_kernarg_size 32
		.amdhsa_user_sgpr_count 15
		.amdhsa_user_sgpr_dispatch_ptr 0
		.amdhsa_user_sgpr_queue_ptr 0
		.amdhsa_user_sgpr_kernarg_segment_ptr 1
		.amdhsa_user_sgpr_dispatch_id 0
		.amdhsa_user_sgpr_private_segment_size 0
		.amdhsa_wavefront_size32 1
		.amdhsa_uses_dynamic_stack 0
		.amdhsa_enable_private_segment 0
		.amdhsa_system_sgpr_workgroup_id_x 1
		.amdhsa_system_sgpr_workgroup_id_y 0
		.amdhsa_system_sgpr_workgroup_id_z 0
		.amdhsa_system_sgpr_workgroup_info 0
		.amdhsa_system_vgpr_workitem_id 0
		.amdhsa_next_free_vgpr 1
		.amdhsa_next_free_sgpr 1
		.amdhsa_reserve_vcc 0
		.amdhsa_float_round_mode_32 0
		.amdhsa_float_round_mode_16_64 0
		.amdhsa_float_denorm_mode_32 3
		.amdhsa_float_denorm_mode_16_64 3
		.amdhsa_dx10_clamp 1
		.amdhsa_ieee_mode 1
		.amdhsa_fp16_overflow 0
		.amdhsa_workgroup_processor_mode 1
		.amdhsa_memory_ordered 1
		.amdhsa_forward_progress 0
		.amdhsa_shared_vgpr_count 0
		.amdhsa_exception_fp_ieee_invalid_op 0
		.amdhsa_exception_fp_denorm_src 0
		.amdhsa_exception_fp_ieee_div_zero 0
		.amdhsa_exception_fp_ieee_overflow 0
		.amdhsa_exception_fp_ieee_underflow 0
		.amdhsa_exception_fp_ieee_inexact 0
		.amdhsa_exception_int_div_zero 0
	.end_amdhsa_kernel
	.section	.text._ZN7rocprim17ROCPRIM_400000_NS6detail17trampoline_kernelINS0_14default_configENS1_20scan_config_selectorIfEEZZNS1_9scan_implILNS1_25lookback_scan_determinismE0ELb0ELb0ES3_PKfPffZZZN2at6native31launch_logcumsumexp_cuda_kernelERKNSB_10TensorBaseESF_lENKUlvE_clEvENKUlvE0_clEvEUlffE_fEEDaPvRmT3_T4_T5_mT6_P12ihipStream_tbENKUlT_T0_E_clISt17integral_constantIbLb0EESV_IbLb1EEEEDaSR_SS_EUlSR_E0_NS1_11comp_targetILNS1_3genE10ELNS1_11target_archE1201ELNS1_3gpuE5ELNS1_3repE0EEENS1_30default_config_static_selectorELNS0_4arch9wavefront6targetE0EEEvT1_,"axG",@progbits,_ZN7rocprim17ROCPRIM_400000_NS6detail17trampoline_kernelINS0_14default_configENS1_20scan_config_selectorIfEEZZNS1_9scan_implILNS1_25lookback_scan_determinismE0ELb0ELb0ES3_PKfPffZZZN2at6native31launch_logcumsumexp_cuda_kernelERKNSB_10TensorBaseESF_lENKUlvE_clEvENKUlvE0_clEvEUlffE_fEEDaPvRmT3_T4_T5_mT6_P12ihipStream_tbENKUlT_T0_E_clISt17integral_constantIbLb0EESV_IbLb1EEEEDaSR_SS_EUlSR_E0_NS1_11comp_targetILNS1_3genE10ELNS1_11target_archE1201ELNS1_3gpuE5ELNS1_3repE0EEENS1_30default_config_static_selectorELNS0_4arch9wavefront6targetE0EEEvT1_,comdat
.Lfunc_end171:
	.size	_ZN7rocprim17ROCPRIM_400000_NS6detail17trampoline_kernelINS0_14default_configENS1_20scan_config_selectorIfEEZZNS1_9scan_implILNS1_25lookback_scan_determinismE0ELb0ELb0ES3_PKfPffZZZN2at6native31launch_logcumsumexp_cuda_kernelERKNSB_10TensorBaseESF_lENKUlvE_clEvENKUlvE0_clEvEUlffE_fEEDaPvRmT3_T4_T5_mT6_P12ihipStream_tbENKUlT_T0_E_clISt17integral_constantIbLb0EESV_IbLb1EEEEDaSR_SS_EUlSR_E0_NS1_11comp_targetILNS1_3genE10ELNS1_11target_archE1201ELNS1_3gpuE5ELNS1_3repE0EEENS1_30default_config_static_selectorELNS0_4arch9wavefront6targetE0EEEvT1_, .Lfunc_end171-_ZN7rocprim17ROCPRIM_400000_NS6detail17trampoline_kernelINS0_14default_configENS1_20scan_config_selectorIfEEZZNS1_9scan_implILNS1_25lookback_scan_determinismE0ELb0ELb0ES3_PKfPffZZZN2at6native31launch_logcumsumexp_cuda_kernelERKNSB_10TensorBaseESF_lENKUlvE_clEvENKUlvE0_clEvEUlffE_fEEDaPvRmT3_T4_T5_mT6_P12ihipStream_tbENKUlT_T0_E_clISt17integral_constantIbLb0EESV_IbLb1EEEEDaSR_SS_EUlSR_E0_NS1_11comp_targetILNS1_3genE10ELNS1_11target_archE1201ELNS1_3gpuE5ELNS1_3repE0EEENS1_30default_config_static_selectorELNS0_4arch9wavefront6targetE0EEEvT1_
                                        ; -- End function
	.section	.AMDGPU.csdata,"",@progbits
; Kernel info:
; codeLenInByte = 0
; NumSgprs: 0
; NumVgprs: 0
; ScratchSize: 0
; MemoryBound: 0
; FloatMode: 240
; IeeeMode: 1
; LDSByteSize: 0 bytes/workgroup (compile time only)
; SGPRBlocks: 0
; VGPRBlocks: 0
; NumSGPRsForWavesPerEU: 1
; NumVGPRsForWavesPerEU: 1
; Occupancy: 16
; WaveLimiterHint : 0
; COMPUTE_PGM_RSRC2:SCRATCH_EN: 0
; COMPUTE_PGM_RSRC2:USER_SGPR: 15
; COMPUTE_PGM_RSRC2:TRAP_HANDLER: 0
; COMPUTE_PGM_RSRC2:TGID_X_EN: 1
; COMPUTE_PGM_RSRC2:TGID_Y_EN: 0
; COMPUTE_PGM_RSRC2:TGID_Z_EN: 0
; COMPUTE_PGM_RSRC2:TIDIG_COMP_CNT: 0
	.section	.text._ZN7rocprim17ROCPRIM_400000_NS6detail17trampoline_kernelINS0_14default_configENS1_20scan_config_selectorIfEEZZNS1_9scan_implILNS1_25lookback_scan_determinismE0ELb0ELb0ES3_PKfPffZZZN2at6native31launch_logcumsumexp_cuda_kernelERKNSB_10TensorBaseESF_lENKUlvE_clEvENKUlvE0_clEvEUlffE_fEEDaPvRmT3_T4_T5_mT6_P12ihipStream_tbENKUlT_T0_E_clISt17integral_constantIbLb0EESV_IbLb1EEEEDaSR_SS_EUlSR_E0_NS1_11comp_targetILNS1_3genE10ELNS1_11target_archE1200ELNS1_3gpuE4ELNS1_3repE0EEENS1_30default_config_static_selectorELNS0_4arch9wavefront6targetE0EEEvT1_,"axG",@progbits,_ZN7rocprim17ROCPRIM_400000_NS6detail17trampoline_kernelINS0_14default_configENS1_20scan_config_selectorIfEEZZNS1_9scan_implILNS1_25lookback_scan_determinismE0ELb0ELb0ES3_PKfPffZZZN2at6native31launch_logcumsumexp_cuda_kernelERKNSB_10TensorBaseESF_lENKUlvE_clEvENKUlvE0_clEvEUlffE_fEEDaPvRmT3_T4_T5_mT6_P12ihipStream_tbENKUlT_T0_E_clISt17integral_constantIbLb0EESV_IbLb1EEEEDaSR_SS_EUlSR_E0_NS1_11comp_targetILNS1_3genE10ELNS1_11target_archE1200ELNS1_3gpuE4ELNS1_3repE0EEENS1_30default_config_static_selectorELNS0_4arch9wavefront6targetE0EEEvT1_,comdat
	.globl	_ZN7rocprim17ROCPRIM_400000_NS6detail17trampoline_kernelINS0_14default_configENS1_20scan_config_selectorIfEEZZNS1_9scan_implILNS1_25lookback_scan_determinismE0ELb0ELb0ES3_PKfPffZZZN2at6native31launch_logcumsumexp_cuda_kernelERKNSB_10TensorBaseESF_lENKUlvE_clEvENKUlvE0_clEvEUlffE_fEEDaPvRmT3_T4_T5_mT6_P12ihipStream_tbENKUlT_T0_E_clISt17integral_constantIbLb0EESV_IbLb1EEEEDaSR_SS_EUlSR_E0_NS1_11comp_targetILNS1_3genE10ELNS1_11target_archE1200ELNS1_3gpuE4ELNS1_3repE0EEENS1_30default_config_static_selectorELNS0_4arch9wavefront6targetE0EEEvT1_ ; -- Begin function _ZN7rocprim17ROCPRIM_400000_NS6detail17trampoline_kernelINS0_14default_configENS1_20scan_config_selectorIfEEZZNS1_9scan_implILNS1_25lookback_scan_determinismE0ELb0ELb0ES3_PKfPffZZZN2at6native31launch_logcumsumexp_cuda_kernelERKNSB_10TensorBaseESF_lENKUlvE_clEvENKUlvE0_clEvEUlffE_fEEDaPvRmT3_T4_T5_mT6_P12ihipStream_tbENKUlT_T0_E_clISt17integral_constantIbLb0EESV_IbLb1EEEEDaSR_SS_EUlSR_E0_NS1_11comp_targetILNS1_3genE10ELNS1_11target_archE1200ELNS1_3gpuE4ELNS1_3repE0EEENS1_30default_config_static_selectorELNS0_4arch9wavefront6targetE0EEEvT1_
	.p2align	8
	.type	_ZN7rocprim17ROCPRIM_400000_NS6detail17trampoline_kernelINS0_14default_configENS1_20scan_config_selectorIfEEZZNS1_9scan_implILNS1_25lookback_scan_determinismE0ELb0ELb0ES3_PKfPffZZZN2at6native31launch_logcumsumexp_cuda_kernelERKNSB_10TensorBaseESF_lENKUlvE_clEvENKUlvE0_clEvEUlffE_fEEDaPvRmT3_T4_T5_mT6_P12ihipStream_tbENKUlT_T0_E_clISt17integral_constantIbLb0EESV_IbLb1EEEEDaSR_SS_EUlSR_E0_NS1_11comp_targetILNS1_3genE10ELNS1_11target_archE1200ELNS1_3gpuE4ELNS1_3repE0EEENS1_30default_config_static_selectorELNS0_4arch9wavefront6targetE0EEEvT1_,@function
_ZN7rocprim17ROCPRIM_400000_NS6detail17trampoline_kernelINS0_14default_configENS1_20scan_config_selectorIfEEZZNS1_9scan_implILNS1_25lookback_scan_determinismE0ELb0ELb0ES3_PKfPffZZZN2at6native31launch_logcumsumexp_cuda_kernelERKNSB_10TensorBaseESF_lENKUlvE_clEvENKUlvE0_clEvEUlffE_fEEDaPvRmT3_T4_T5_mT6_P12ihipStream_tbENKUlT_T0_E_clISt17integral_constantIbLb0EESV_IbLb1EEEEDaSR_SS_EUlSR_E0_NS1_11comp_targetILNS1_3genE10ELNS1_11target_archE1200ELNS1_3gpuE4ELNS1_3repE0EEENS1_30default_config_static_selectorELNS0_4arch9wavefront6targetE0EEEvT1_: ; @_ZN7rocprim17ROCPRIM_400000_NS6detail17trampoline_kernelINS0_14default_configENS1_20scan_config_selectorIfEEZZNS1_9scan_implILNS1_25lookback_scan_determinismE0ELb0ELb0ES3_PKfPffZZZN2at6native31launch_logcumsumexp_cuda_kernelERKNSB_10TensorBaseESF_lENKUlvE_clEvENKUlvE0_clEvEUlffE_fEEDaPvRmT3_T4_T5_mT6_P12ihipStream_tbENKUlT_T0_E_clISt17integral_constantIbLb0EESV_IbLb1EEEEDaSR_SS_EUlSR_E0_NS1_11comp_targetILNS1_3genE10ELNS1_11target_archE1200ELNS1_3gpuE4ELNS1_3repE0EEENS1_30default_config_static_selectorELNS0_4arch9wavefront6targetE0EEEvT1_
; %bb.0:
	.section	.rodata,"a",@progbits
	.p2align	6, 0x0
	.amdhsa_kernel _ZN7rocprim17ROCPRIM_400000_NS6detail17trampoline_kernelINS0_14default_configENS1_20scan_config_selectorIfEEZZNS1_9scan_implILNS1_25lookback_scan_determinismE0ELb0ELb0ES3_PKfPffZZZN2at6native31launch_logcumsumexp_cuda_kernelERKNSB_10TensorBaseESF_lENKUlvE_clEvENKUlvE0_clEvEUlffE_fEEDaPvRmT3_T4_T5_mT6_P12ihipStream_tbENKUlT_T0_E_clISt17integral_constantIbLb0EESV_IbLb1EEEEDaSR_SS_EUlSR_E0_NS1_11comp_targetILNS1_3genE10ELNS1_11target_archE1200ELNS1_3gpuE4ELNS1_3repE0EEENS1_30default_config_static_selectorELNS0_4arch9wavefront6targetE0EEEvT1_
		.amdhsa_group_segment_fixed_size 0
		.amdhsa_private_segment_fixed_size 0
		.amdhsa_kernarg_size 32
		.amdhsa_user_sgpr_count 15
		.amdhsa_user_sgpr_dispatch_ptr 0
		.amdhsa_user_sgpr_queue_ptr 0
		.amdhsa_user_sgpr_kernarg_segment_ptr 1
		.amdhsa_user_sgpr_dispatch_id 0
		.amdhsa_user_sgpr_private_segment_size 0
		.amdhsa_wavefront_size32 1
		.amdhsa_uses_dynamic_stack 0
		.amdhsa_enable_private_segment 0
		.amdhsa_system_sgpr_workgroup_id_x 1
		.amdhsa_system_sgpr_workgroup_id_y 0
		.amdhsa_system_sgpr_workgroup_id_z 0
		.amdhsa_system_sgpr_workgroup_info 0
		.amdhsa_system_vgpr_workitem_id 0
		.amdhsa_next_free_vgpr 1
		.amdhsa_next_free_sgpr 1
		.amdhsa_reserve_vcc 0
		.amdhsa_float_round_mode_32 0
		.amdhsa_float_round_mode_16_64 0
		.amdhsa_float_denorm_mode_32 3
		.amdhsa_float_denorm_mode_16_64 3
		.amdhsa_dx10_clamp 1
		.amdhsa_ieee_mode 1
		.amdhsa_fp16_overflow 0
		.amdhsa_workgroup_processor_mode 1
		.amdhsa_memory_ordered 1
		.amdhsa_forward_progress 0
		.amdhsa_shared_vgpr_count 0
		.amdhsa_exception_fp_ieee_invalid_op 0
		.amdhsa_exception_fp_denorm_src 0
		.amdhsa_exception_fp_ieee_div_zero 0
		.amdhsa_exception_fp_ieee_overflow 0
		.amdhsa_exception_fp_ieee_underflow 0
		.amdhsa_exception_fp_ieee_inexact 0
		.amdhsa_exception_int_div_zero 0
	.end_amdhsa_kernel
	.section	.text._ZN7rocprim17ROCPRIM_400000_NS6detail17trampoline_kernelINS0_14default_configENS1_20scan_config_selectorIfEEZZNS1_9scan_implILNS1_25lookback_scan_determinismE0ELb0ELb0ES3_PKfPffZZZN2at6native31launch_logcumsumexp_cuda_kernelERKNSB_10TensorBaseESF_lENKUlvE_clEvENKUlvE0_clEvEUlffE_fEEDaPvRmT3_T4_T5_mT6_P12ihipStream_tbENKUlT_T0_E_clISt17integral_constantIbLb0EESV_IbLb1EEEEDaSR_SS_EUlSR_E0_NS1_11comp_targetILNS1_3genE10ELNS1_11target_archE1200ELNS1_3gpuE4ELNS1_3repE0EEENS1_30default_config_static_selectorELNS0_4arch9wavefront6targetE0EEEvT1_,"axG",@progbits,_ZN7rocprim17ROCPRIM_400000_NS6detail17trampoline_kernelINS0_14default_configENS1_20scan_config_selectorIfEEZZNS1_9scan_implILNS1_25lookback_scan_determinismE0ELb0ELb0ES3_PKfPffZZZN2at6native31launch_logcumsumexp_cuda_kernelERKNSB_10TensorBaseESF_lENKUlvE_clEvENKUlvE0_clEvEUlffE_fEEDaPvRmT3_T4_T5_mT6_P12ihipStream_tbENKUlT_T0_E_clISt17integral_constantIbLb0EESV_IbLb1EEEEDaSR_SS_EUlSR_E0_NS1_11comp_targetILNS1_3genE10ELNS1_11target_archE1200ELNS1_3gpuE4ELNS1_3repE0EEENS1_30default_config_static_selectorELNS0_4arch9wavefront6targetE0EEEvT1_,comdat
.Lfunc_end172:
	.size	_ZN7rocprim17ROCPRIM_400000_NS6detail17trampoline_kernelINS0_14default_configENS1_20scan_config_selectorIfEEZZNS1_9scan_implILNS1_25lookback_scan_determinismE0ELb0ELb0ES3_PKfPffZZZN2at6native31launch_logcumsumexp_cuda_kernelERKNSB_10TensorBaseESF_lENKUlvE_clEvENKUlvE0_clEvEUlffE_fEEDaPvRmT3_T4_T5_mT6_P12ihipStream_tbENKUlT_T0_E_clISt17integral_constantIbLb0EESV_IbLb1EEEEDaSR_SS_EUlSR_E0_NS1_11comp_targetILNS1_3genE10ELNS1_11target_archE1200ELNS1_3gpuE4ELNS1_3repE0EEENS1_30default_config_static_selectorELNS0_4arch9wavefront6targetE0EEEvT1_, .Lfunc_end172-_ZN7rocprim17ROCPRIM_400000_NS6detail17trampoline_kernelINS0_14default_configENS1_20scan_config_selectorIfEEZZNS1_9scan_implILNS1_25lookback_scan_determinismE0ELb0ELb0ES3_PKfPffZZZN2at6native31launch_logcumsumexp_cuda_kernelERKNSB_10TensorBaseESF_lENKUlvE_clEvENKUlvE0_clEvEUlffE_fEEDaPvRmT3_T4_T5_mT6_P12ihipStream_tbENKUlT_T0_E_clISt17integral_constantIbLb0EESV_IbLb1EEEEDaSR_SS_EUlSR_E0_NS1_11comp_targetILNS1_3genE10ELNS1_11target_archE1200ELNS1_3gpuE4ELNS1_3repE0EEENS1_30default_config_static_selectorELNS0_4arch9wavefront6targetE0EEEvT1_
                                        ; -- End function
	.section	.AMDGPU.csdata,"",@progbits
; Kernel info:
; codeLenInByte = 0
; NumSgprs: 0
; NumVgprs: 0
; ScratchSize: 0
; MemoryBound: 0
; FloatMode: 240
; IeeeMode: 1
; LDSByteSize: 0 bytes/workgroup (compile time only)
; SGPRBlocks: 0
; VGPRBlocks: 0
; NumSGPRsForWavesPerEU: 1
; NumVGPRsForWavesPerEU: 1
; Occupancy: 16
; WaveLimiterHint : 0
; COMPUTE_PGM_RSRC2:SCRATCH_EN: 0
; COMPUTE_PGM_RSRC2:USER_SGPR: 15
; COMPUTE_PGM_RSRC2:TRAP_HANDLER: 0
; COMPUTE_PGM_RSRC2:TGID_X_EN: 1
; COMPUTE_PGM_RSRC2:TGID_Y_EN: 0
; COMPUTE_PGM_RSRC2:TGID_Z_EN: 0
; COMPUTE_PGM_RSRC2:TIDIG_COMP_CNT: 0
	.section	.text._ZN7rocprim17ROCPRIM_400000_NS6detail17trampoline_kernelINS0_14default_configENS1_20scan_config_selectorIfEEZZNS1_9scan_implILNS1_25lookback_scan_determinismE0ELb0ELb0ES3_PKfPffZZZN2at6native31launch_logcumsumexp_cuda_kernelERKNSB_10TensorBaseESF_lENKUlvE_clEvENKUlvE0_clEvEUlffE_fEEDaPvRmT3_T4_T5_mT6_P12ihipStream_tbENKUlT_T0_E_clISt17integral_constantIbLb0EESV_IbLb1EEEEDaSR_SS_EUlSR_E0_NS1_11comp_targetILNS1_3genE9ELNS1_11target_archE1100ELNS1_3gpuE3ELNS1_3repE0EEENS1_30default_config_static_selectorELNS0_4arch9wavefront6targetE0EEEvT1_,"axG",@progbits,_ZN7rocprim17ROCPRIM_400000_NS6detail17trampoline_kernelINS0_14default_configENS1_20scan_config_selectorIfEEZZNS1_9scan_implILNS1_25lookback_scan_determinismE0ELb0ELb0ES3_PKfPffZZZN2at6native31launch_logcumsumexp_cuda_kernelERKNSB_10TensorBaseESF_lENKUlvE_clEvENKUlvE0_clEvEUlffE_fEEDaPvRmT3_T4_T5_mT6_P12ihipStream_tbENKUlT_T0_E_clISt17integral_constantIbLb0EESV_IbLb1EEEEDaSR_SS_EUlSR_E0_NS1_11comp_targetILNS1_3genE9ELNS1_11target_archE1100ELNS1_3gpuE3ELNS1_3repE0EEENS1_30default_config_static_selectorELNS0_4arch9wavefront6targetE0EEEvT1_,comdat
	.globl	_ZN7rocprim17ROCPRIM_400000_NS6detail17trampoline_kernelINS0_14default_configENS1_20scan_config_selectorIfEEZZNS1_9scan_implILNS1_25lookback_scan_determinismE0ELb0ELb0ES3_PKfPffZZZN2at6native31launch_logcumsumexp_cuda_kernelERKNSB_10TensorBaseESF_lENKUlvE_clEvENKUlvE0_clEvEUlffE_fEEDaPvRmT3_T4_T5_mT6_P12ihipStream_tbENKUlT_T0_E_clISt17integral_constantIbLb0EESV_IbLb1EEEEDaSR_SS_EUlSR_E0_NS1_11comp_targetILNS1_3genE9ELNS1_11target_archE1100ELNS1_3gpuE3ELNS1_3repE0EEENS1_30default_config_static_selectorELNS0_4arch9wavefront6targetE0EEEvT1_ ; -- Begin function _ZN7rocprim17ROCPRIM_400000_NS6detail17trampoline_kernelINS0_14default_configENS1_20scan_config_selectorIfEEZZNS1_9scan_implILNS1_25lookback_scan_determinismE0ELb0ELb0ES3_PKfPffZZZN2at6native31launch_logcumsumexp_cuda_kernelERKNSB_10TensorBaseESF_lENKUlvE_clEvENKUlvE0_clEvEUlffE_fEEDaPvRmT3_T4_T5_mT6_P12ihipStream_tbENKUlT_T0_E_clISt17integral_constantIbLb0EESV_IbLb1EEEEDaSR_SS_EUlSR_E0_NS1_11comp_targetILNS1_3genE9ELNS1_11target_archE1100ELNS1_3gpuE3ELNS1_3repE0EEENS1_30default_config_static_selectorELNS0_4arch9wavefront6targetE0EEEvT1_
	.p2align	8
	.type	_ZN7rocprim17ROCPRIM_400000_NS6detail17trampoline_kernelINS0_14default_configENS1_20scan_config_selectorIfEEZZNS1_9scan_implILNS1_25lookback_scan_determinismE0ELb0ELb0ES3_PKfPffZZZN2at6native31launch_logcumsumexp_cuda_kernelERKNSB_10TensorBaseESF_lENKUlvE_clEvENKUlvE0_clEvEUlffE_fEEDaPvRmT3_T4_T5_mT6_P12ihipStream_tbENKUlT_T0_E_clISt17integral_constantIbLb0EESV_IbLb1EEEEDaSR_SS_EUlSR_E0_NS1_11comp_targetILNS1_3genE9ELNS1_11target_archE1100ELNS1_3gpuE3ELNS1_3repE0EEENS1_30default_config_static_selectorELNS0_4arch9wavefront6targetE0EEEvT1_,@function
_ZN7rocprim17ROCPRIM_400000_NS6detail17trampoline_kernelINS0_14default_configENS1_20scan_config_selectorIfEEZZNS1_9scan_implILNS1_25lookback_scan_determinismE0ELb0ELb0ES3_PKfPffZZZN2at6native31launch_logcumsumexp_cuda_kernelERKNSB_10TensorBaseESF_lENKUlvE_clEvENKUlvE0_clEvEUlffE_fEEDaPvRmT3_T4_T5_mT6_P12ihipStream_tbENKUlT_T0_E_clISt17integral_constantIbLb0EESV_IbLb1EEEEDaSR_SS_EUlSR_E0_NS1_11comp_targetILNS1_3genE9ELNS1_11target_archE1100ELNS1_3gpuE3ELNS1_3repE0EEENS1_30default_config_static_selectorELNS0_4arch9wavefront6targetE0EEEvT1_: ; @_ZN7rocprim17ROCPRIM_400000_NS6detail17trampoline_kernelINS0_14default_configENS1_20scan_config_selectorIfEEZZNS1_9scan_implILNS1_25lookback_scan_determinismE0ELb0ELb0ES3_PKfPffZZZN2at6native31launch_logcumsumexp_cuda_kernelERKNSB_10TensorBaseESF_lENKUlvE_clEvENKUlvE0_clEvEUlffE_fEEDaPvRmT3_T4_T5_mT6_P12ihipStream_tbENKUlT_T0_E_clISt17integral_constantIbLb0EESV_IbLb1EEEEDaSR_SS_EUlSR_E0_NS1_11comp_targetILNS1_3genE9ELNS1_11target_archE1100ELNS1_3gpuE3ELNS1_3repE0EEENS1_30default_config_static_selectorELNS0_4arch9wavefront6targetE0EEEvT1_
; %bb.0:
	s_load_b128 s[8:11], s[0:1], 0x0
	v_lshlrev_b32_e32 v7, 2, v0
	s_waitcnt lgkmcnt(0)
	s_load_b32 s4, s[8:9], 0x0
	v_cmp_gt_u32_e32 vcc_lo, s10, v0
	s_waitcnt lgkmcnt(0)
	s_mov_b32 s5, s4
	s_mov_b32 s6, s4
	;; [unrolled: 1-line block ×3, first 2 shown]
	s_delay_alu instid0(SALU_CYCLE_1)
	v_dual_mov_b32 v1, s4 :: v_dual_mov_b32 v4, s7
	v_dual_mov_b32 v5, s4 :: v_dual_mov_b32 v2, s5
	v_mov_b32_e32 v3, s6
	s_and_saveexec_b32 s2, vcc_lo
	s_cbranch_execz .LBB173_2
; %bb.1:
	global_load_b32 v5, v7, s[8:9]
	v_dual_mov_b32 v1, s4 :: v_dual_mov_b32 v2, s5
	v_dual_mov_b32 v3, s6 :: v_dual_mov_b32 v4, s7
                                        ; kill: def $vgpr1 killed $vgpr5 killed $exec
.LBB173_2:
	s_or_b32 exec_lo, exec_lo, s2
	v_or_b32_e32 v1, 0x100, v0
	s_delay_alu instid0(VALU_DEP_1) | instskip(NEXT) | instid1(VALU_DEP_1)
	v_cmp_gt_u32_e64 s2, s10, v1
	s_and_saveexec_b32 s3, s2
	s_cbranch_execz .LBB173_4
; %bb.3:
	global_load_b32 v2, v7, s[8:9] offset:1024
.LBB173_4:
	s_or_b32 exec_lo, exec_lo, s3
	v_or_b32_e32 v6, 0x200, v0
	s_delay_alu instid0(VALU_DEP_1) | instskip(NEXT) | instid1(VALU_DEP_1)
	v_cmp_gt_u32_e64 s3, s10, v6
	s_and_saveexec_b32 s4, s3
	s_cbranch_execz .LBB173_6
; %bb.5:
	global_load_b32 v3, v7, s[8:9] offset:2048
.LBB173_6:
	;; [unrolled: 9-line block ×3, first 2 shown]
	s_or_b32 exec_lo, exec_lo, s5
	v_lshrrev_b32_e32 v12, 3, v0
	v_lshrrev_b32_e32 v1, 3, v1
	;; [unrolled: 1-line block ×4, first 2 shown]
	s_delay_alu instid0(VALU_DEP_4) | instskip(NEXT) | instid1(VALU_DEP_4)
	v_and_b32_e32 v9, 28, v12
	v_and_b32_e32 v1, 60, v1
	s_delay_alu instid0(VALU_DEP_4) | instskip(NEXT) | instid1(VALU_DEP_4)
	v_and_b32_e32 v6, 0x7c, v6
	v_and_b32_e32 v11, 0x7c, v8
	v_add_lshl_u32 v12, v12, v7, 2
	v_add_nc_u32_e32 v8, v9, v7
	v_add_nc_u32_e32 v9, v1, v7
	;; [unrolled: 1-line block ×4, first 2 shown]
	s_waitcnt vmcnt(0)
	ds_store_b32 v8, v5
	ds_store_b32 v9, v2 offset:1024
	ds_store_b32 v10, v3 offset:2048
	;; [unrolled: 1-line block ×3, first 2 shown]
	s_waitcnt lgkmcnt(0)
	s_barrier
	buffer_gl0_inv
	ds_load_2addr_b32 v[1:2], v12 offset1:1
	ds_load_2addr_b32 v[3:4], v12 offset0:2 offset1:3
	s_waitcnt lgkmcnt(0)
	s_barrier
	buffer_gl0_inv
	v_mov_b32_e32 v19, v1
	v_dual_max_f32 v15, v2, v2 :: v_dual_max_f32 v18, v1, v1
	v_cmp_u_f32_e64 s8, v1, v1
	v_cmp_u_f32_e64 s5, v2, v2
	s_delay_alu instid0(VALU_DEP_3) | instskip(SKIP_1) | instid1(VALU_DEP_2)
	v_min_f32_e32 v16, v18, v15
	v_max_f32_e32 v17, v18, v15
	v_cndmask_b32_e64 v5, v16, v1, s8
	s_delay_alu instid0(VALU_DEP_2) | instskip(NEXT) | instid1(VALU_DEP_2)
	v_cndmask_b32_e64 v13, v17, v1, s8
	v_cndmask_b32_e64 v6, v5, v2, s5
	s_delay_alu instid0(VALU_DEP_2) | instskip(NEXT) | instid1(VALU_DEP_2)
	v_cndmask_b32_e64 v5, v13, v2, s5
	v_cmp_class_f32_e64 s7, v6, 0x1f8
	s_delay_alu instid0(VALU_DEP_2) | instskip(NEXT) | instid1(VALU_DEP_1)
	v_cmp_neq_f32_e64 s6, v6, v5
	s_or_b32 s6, s6, s7
	s_delay_alu instid0(SALU_CYCLE_1)
	s_and_saveexec_b32 s7, s6
	s_cbranch_execz .LBB173_10
; %bb.9:
	v_sub_f32_e32 v6, v6, v5
	s_delay_alu instid0(VALU_DEP_1) | instskip(NEXT) | instid1(VALU_DEP_1)
	v_mul_f32_e32 v13, 0x3fb8aa3b, v6
	v_fma_f32 v14, 0x3fb8aa3b, v6, -v13
	v_rndne_f32_e32 v19, v13
	s_delay_alu instid0(VALU_DEP_1) | instskip(SKIP_1) | instid1(VALU_DEP_2)
	v_dual_sub_f32 v13, v13, v19 :: v_dual_fmamk_f32 v14, v6, 0x32a5705f, v14
	v_cmp_ngt_f32_e64 s6, 0xc2ce8ed0, v6
	v_add_f32_e32 v13, v13, v14
	v_cvt_i32_f32_e32 v14, v19
	s_delay_alu instid0(VALU_DEP_2) | instskip(SKIP_2) | instid1(VALU_DEP_1)
	v_exp_f32_e32 v13, v13
	s_waitcnt_depctr 0xfff
	v_ldexp_f32 v13, v13, v14
	v_cndmask_b32_e64 v13, 0, v13, s6
	v_cmp_nlt_f32_e64 s6, 0x42b17218, v6
	s_delay_alu instid0(VALU_DEP_1) | instskip(NEXT) | instid1(VALU_DEP_1)
	v_cndmask_b32_e64 v6, 0x7f800000, v13, s6
	v_add_f32_e32 v19, 1.0, v6
	v_cmp_gt_f32_e64 s9, 0x33800000, |v6|
	s_delay_alu instid0(VALU_DEP_2) | instskip(NEXT) | instid1(VALU_DEP_1)
	v_cvt_f64_f32_e32 v[13:14], v19
	v_frexp_exp_i32_f64_e32 v13, v[13:14]
	v_frexp_mant_f32_e32 v14, v19
	s_delay_alu instid0(VALU_DEP_1) | instskip(SKIP_1) | instid1(VALU_DEP_1)
	v_cmp_gt_f32_e64 s6, 0x3f2aaaab, v14
	v_add_f32_e32 v14, -1.0, v19
	v_sub_f32_e32 v21, v14, v19
	s_delay_alu instid0(VALU_DEP_1) | instskip(NEXT) | instid1(VALU_DEP_4)
	v_dual_sub_f32 v14, v6, v14 :: v_dual_add_f32 v21, 1.0, v21
	v_subrev_co_ci_u32_e64 v13, s6, 0, v13, s6
	s_mov_b32 s6, 0x3e9b6dac
	s_delay_alu instid0(VALU_DEP_1) | instskip(SKIP_1) | instid1(VALU_DEP_2)
	v_sub_nc_u32_e32 v20, 0, v13
	v_cvt_f32_i32_e32 v13, v13
	v_ldexp_f32 v19, v19, v20
	s_delay_alu instid0(VALU_DEP_1) | instskip(NEXT) | instid1(VALU_DEP_1)
	v_add_f32_e32 v22, 1.0, v19
	v_dual_add_f32 v14, v14, v21 :: v_dual_add_f32 v21, -1.0, v22
	s_delay_alu instid0(VALU_DEP_1) | instskip(NEXT) | instid1(VALU_DEP_2)
	v_ldexp_f32 v14, v14, v20
	v_dual_add_f32 v20, -1.0, v19 :: v_dual_sub_f32 v21, v19, v21
	s_delay_alu instid0(VALU_DEP_1) | instskip(NEXT) | instid1(VALU_DEP_2)
	v_add_f32_e32 v23, 1.0, v20
	v_add_f32_e32 v21, v14, v21
	s_delay_alu instid0(VALU_DEP_2) | instskip(NEXT) | instid1(VALU_DEP_1)
	v_sub_f32_e32 v19, v19, v23
	v_add_f32_e32 v14, v14, v19
	s_delay_alu instid0(VALU_DEP_1) | instskip(NEXT) | instid1(VALU_DEP_1)
	v_dual_add_f32 v24, v20, v14 :: v_dual_add_f32 v23, v22, v21
	v_sub_f32_e32 v20, v20, v24
	s_delay_alu instid0(VALU_DEP_2) | instskip(SKIP_1) | instid1(VALU_DEP_1)
	v_rcp_f32_e32 v19, v23
	v_sub_f32_e32 v22, v22, v23
	v_dual_add_f32 v14, v14, v20 :: v_dual_add_f32 v21, v21, v22
	s_waitcnt_depctr 0xfff
	v_mul_f32_e32 v25, v24, v19
	s_delay_alu instid0(VALU_DEP_1) | instskip(NEXT) | instid1(VALU_DEP_1)
	v_mul_f32_e32 v26, v23, v25
	v_fma_f32 v22, v25, v23, -v26
	s_delay_alu instid0(VALU_DEP_1) | instskip(NEXT) | instid1(VALU_DEP_1)
	v_fmac_f32_e32 v22, v25, v21
	v_add_f32_e32 v27, v26, v22
	s_delay_alu instid0(VALU_DEP_1) | instskip(NEXT) | instid1(VALU_DEP_1)
	v_sub_f32_e32 v28, v24, v27
	v_sub_f32_e32 v24, v24, v28
	;; [unrolled: 1-line block ×3, first 2 shown]
	s_delay_alu instid0(VALU_DEP_2) | instskip(NEXT) | instid1(VALU_DEP_2)
	v_sub_f32_e32 v24, v24, v27
	v_sub_f32_e32 v20, v20, v22
	s_delay_alu instid0(VALU_DEP_2) | instskip(NEXT) | instid1(VALU_DEP_1)
	v_add_f32_e32 v14, v14, v24
	v_add_f32_e32 v14, v20, v14
	s_delay_alu instid0(VALU_DEP_1) | instskip(NEXT) | instid1(VALU_DEP_1)
	v_add_f32_e32 v20, v28, v14
	v_mul_f32_e32 v22, v19, v20
	s_delay_alu instid0(VALU_DEP_1) | instskip(NEXT) | instid1(VALU_DEP_1)
	v_dual_sub_f32 v27, v28, v20 :: v_dual_mul_f32 v24, v23, v22
	v_add_f32_e32 v14, v14, v27
	s_delay_alu instid0(VALU_DEP_2) | instskip(NEXT) | instid1(VALU_DEP_1)
	v_fma_f32 v23, v22, v23, -v24
	v_fmac_f32_e32 v23, v22, v21
	s_delay_alu instid0(VALU_DEP_1) | instskip(NEXT) | instid1(VALU_DEP_1)
	v_add_f32_e32 v21, v24, v23
	v_sub_f32_e32 v26, v20, v21
	v_sub_f32_e32 v24, v21, v24
	s_delay_alu instid0(VALU_DEP_2) | instskip(NEXT) | instid1(VALU_DEP_1)
	v_sub_f32_e32 v20, v20, v26
	v_sub_f32_e32 v20, v20, v21
	s_delay_alu instid0(VALU_DEP_1) | instskip(SKIP_1) | instid1(VALU_DEP_1)
	v_dual_sub_f32 v21, v24, v23 :: v_dual_add_f32 v14, v14, v20
	v_add_f32_e32 v20, v25, v22
	v_dual_add_f32 v14, v21, v14 :: v_dual_sub_f32 v21, v20, v25
	s_delay_alu instid0(VALU_DEP_1) | instskip(NEXT) | instid1(VALU_DEP_1)
	v_add_f32_e32 v14, v26, v14
	v_dual_sub_f32 v21, v22, v21 :: v_dual_mul_f32 v14, v19, v14
	s_delay_alu instid0(VALU_DEP_1) | instskip(NEXT) | instid1(VALU_DEP_1)
	v_add_f32_e32 v14, v21, v14
	v_add_f32_e32 v19, v20, v14
	s_delay_alu instid0(VALU_DEP_1) | instskip(NEXT) | instid1(VALU_DEP_1)
	v_mul_f32_e32 v21, v19, v19
	v_fmaak_f32 v22, s6, v21, 0x3ecc95a3
	v_mul_f32_e32 v23, v19, v21
	v_cmp_eq_f32_e64 s6, 0x7f800000, v6
	s_delay_alu instid0(VALU_DEP_3) | instskip(SKIP_2) | instid1(VALU_DEP_4)
	v_fmaak_f32 v21, v21, v22, 0x3f2aaada
	v_ldexp_f32 v22, v19, 1
	v_sub_f32_e32 v19, v19, v20
	s_or_b32 s6, s6, s9
	s_delay_alu instid0(VALU_DEP_3) | instskip(NEXT) | instid1(VALU_DEP_2)
	v_mul_f32_e32 v21, v23, v21
	v_dual_mul_f32 v23, 0x3f317218, v13 :: v_dual_sub_f32 v14, v14, v19
	s_delay_alu instid0(VALU_DEP_2) | instskip(NEXT) | instid1(VALU_DEP_2)
	v_add_f32_e32 v20, v22, v21
	v_ldexp_f32 v14, v14, 1
	s_delay_alu instid0(VALU_DEP_2) | instskip(NEXT) | instid1(VALU_DEP_4)
	v_sub_f32_e32 v19, v20, v22
	v_fma_f32 v22, 0x3f317218, v13, -v23
	s_delay_alu instid0(VALU_DEP_2) | instskip(NEXT) | instid1(VALU_DEP_1)
	v_sub_f32_e32 v19, v21, v19
	v_dual_fmamk_f32 v13, v13, 0xb102e308, v22 :: v_dual_add_f32 v14, v14, v19
	s_delay_alu instid0(VALU_DEP_1) | instskip(NEXT) | instid1(VALU_DEP_1)
	v_add_f32_e32 v19, v23, v13
	v_sub_f32_e32 v23, v19, v23
	s_delay_alu instid0(VALU_DEP_1) | instskip(NEXT) | instid1(VALU_DEP_4)
	v_sub_f32_e32 v13, v13, v23
	v_add_f32_e32 v21, v20, v14
	s_delay_alu instid0(VALU_DEP_1) | instskip(NEXT) | instid1(VALU_DEP_1)
	v_sub_f32_e32 v20, v21, v20
	v_sub_f32_e32 v14, v14, v20
	v_add_f32_e32 v22, v19, v21
	s_delay_alu instid0(VALU_DEP_1) | instskip(NEXT) | instid1(VALU_DEP_1)
	v_sub_f32_e32 v24, v22, v19
	v_sub_f32_e32 v20, v21, v24
	s_delay_alu instid0(VALU_DEP_4) | instskip(SKIP_1) | instid1(VALU_DEP_1)
	v_add_f32_e32 v21, v13, v14
	v_sub_f32_e32 v25, v22, v24
	v_sub_f32_e32 v19, v19, v25
	s_delay_alu instid0(VALU_DEP_1) | instskip(NEXT) | instid1(VALU_DEP_1)
	v_dual_add_f32 v19, v20, v19 :: v_dual_sub_f32 v20, v21, v13
	v_dual_add_f32 v19, v21, v19 :: v_dual_sub_f32 v14, v14, v20
	v_sub_f32_e32 v21, v21, v20
	s_delay_alu instid0(VALU_DEP_2) | instskip(NEXT) | instid1(VALU_DEP_1)
	v_add_f32_e32 v23, v22, v19
	v_dual_sub_f32 v13, v13, v21 :: v_dual_sub_f32 v20, v23, v22
	s_delay_alu instid0(VALU_DEP_1) | instskip(NEXT) | instid1(VALU_DEP_1)
	v_dual_add_f32 v13, v14, v13 :: v_dual_sub_f32 v14, v19, v20
	v_add_f32_e32 v13, v13, v14
	s_delay_alu instid0(VALU_DEP_1) | instskip(NEXT) | instid1(VALU_DEP_1)
	v_add_f32_e32 v13, v23, v13
	v_cndmask_b32_e64 v6, v13, v6, s6
	s_delay_alu instid0(VALU_DEP_1)
	v_add_f32_e32 v19, v5, v6
.LBB173_10:
	s_or_b32 exec_lo, exec_lo, s7
	s_delay_alu instid0(VALU_DEP_1) | instskip(SKIP_2) | instid1(VALU_DEP_2)
	v_max_f32_e32 v5, v19, v19
	v_max_f32_e32 v13, v3, v3
	v_cmp_u_f32_e64 s6, v19, v19
	v_min_f32_e32 v6, v5, v13
	v_max_f32_e32 v5, v5, v13
	s_delay_alu instid0(VALU_DEP_2) | instskip(NEXT) | instid1(VALU_DEP_2)
	v_cndmask_b32_e64 v6, v6, v19, s6
	v_cndmask_b32_e64 v5, v5, v19, s6
	v_cmp_u_f32_e64 s6, v3, v3
	s_delay_alu instid0(VALU_DEP_1) | instskip(NEXT) | instid1(VALU_DEP_3)
	v_cndmask_b32_e64 v6, v6, v3, s6
	v_cndmask_b32_e64 v5, v5, v3, s6
	s_delay_alu instid0(VALU_DEP_2) | instskip(NEXT) | instid1(VALU_DEP_2)
	v_cmp_class_f32_e64 s9, v6, 0x1f8
	v_cmp_neq_f32_e64 s7, v6, v5
	s_delay_alu instid0(VALU_DEP_1) | instskip(NEXT) | instid1(SALU_CYCLE_1)
	s_or_b32 s7, s7, s9
	s_and_saveexec_b32 s9, s7
	s_cbranch_execz .LBB173_12
; %bb.11:
	v_sub_f32_e32 v6, v6, v5
	s_delay_alu instid0(VALU_DEP_1) | instskip(SKIP_1) | instid1(VALU_DEP_2)
	v_mul_f32_e32 v14, 0x3fb8aa3b, v6
	v_cmp_ngt_f32_e64 s7, 0xc2ce8ed0, v6
	v_fma_f32 v19, 0x3fb8aa3b, v6, -v14
	v_rndne_f32_e32 v20, v14
	s_delay_alu instid0(VALU_DEP_2) | instskip(NEXT) | instid1(VALU_DEP_2)
	v_fmamk_f32 v19, v6, 0x32a5705f, v19
	v_sub_f32_e32 v14, v14, v20
	s_delay_alu instid0(VALU_DEP_1) | instskip(SKIP_1) | instid1(VALU_DEP_2)
	v_add_f32_e32 v14, v14, v19
	v_cvt_i32_f32_e32 v19, v20
	v_exp_f32_e32 v14, v14
	s_waitcnt_depctr 0xfff
	v_ldexp_f32 v14, v14, v19
	s_delay_alu instid0(VALU_DEP_1) | instskip(SKIP_1) | instid1(VALU_DEP_1)
	v_cndmask_b32_e64 v14, 0, v14, s7
	v_cmp_nlt_f32_e64 s7, 0x42b17218, v6
	v_cndmask_b32_e64 v6, 0x7f800000, v14, s7
	s_delay_alu instid0(VALU_DEP_1) | instskip(SKIP_1) | instid1(VALU_DEP_2)
	v_add_f32_e32 v14, 1.0, v6
	v_cmp_gt_f32_e64 s10, 0x33800000, |v6|
	v_cvt_f64_f32_e32 v[19:20], v14
	s_delay_alu instid0(VALU_DEP_1) | instskip(SKIP_1) | instid1(VALU_DEP_1)
	v_frexp_exp_i32_f64_e32 v19, v[19:20]
	v_frexp_mant_f32_e32 v20, v14
	v_cmp_gt_f32_e64 s7, 0x3f2aaaab, v20
	v_add_f32_e32 v20, -1.0, v14
	s_delay_alu instid0(VALU_DEP_1) | instskip(NEXT) | instid1(VALU_DEP_1)
	v_sub_f32_e32 v22, v20, v14
	v_add_f32_e32 v22, 1.0, v22
	s_delay_alu instid0(VALU_DEP_4) | instskip(SKIP_1) | instid1(VALU_DEP_1)
	v_subrev_co_ci_u32_e64 v19, s7, 0, v19, s7
	s_mov_b32 s7, 0x3e9b6dac
	v_sub_nc_u32_e32 v21, 0, v19
	v_cvt_f32_i32_e32 v19, v19
	s_delay_alu instid0(VALU_DEP_2) | instskip(NEXT) | instid1(VALU_DEP_1)
	v_ldexp_f32 v14, v14, v21
	v_dual_sub_f32 v20, v6, v20 :: v_dual_add_f32 v23, 1.0, v14
	s_delay_alu instid0(VALU_DEP_1) | instskip(NEXT) | instid1(VALU_DEP_1)
	v_add_f32_e32 v20, v20, v22
	v_ldexp_f32 v20, v20, v21
	s_delay_alu instid0(VALU_DEP_3) | instskip(NEXT) | instid1(VALU_DEP_1)
	v_dual_add_f32 v21, -1.0, v14 :: v_dual_add_f32 v22, -1.0, v23
	v_add_f32_e32 v24, 1.0, v21
	s_delay_alu instid0(VALU_DEP_2) | instskip(NEXT) | instid1(VALU_DEP_2)
	v_sub_f32_e32 v22, v14, v22
	v_sub_f32_e32 v14, v14, v24
	s_delay_alu instid0(VALU_DEP_2) | instskip(NEXT) | instid1(VALU_DEP_2)
	v_add_f32_e32 v22, v20, v22
	v_add_f32_e32 v14, v20, v14
	s_delay_alu instid0(VALU_DEP_2) | instskip(NEXT) | instid1(VALU_DEP_2)
	v_add_f32_e32 v24, v23, v22
	v_add_f32_e32 v25, v21, v14
	s_delay_alu instid0(VALU_DEP_2) | instskip(SKIP_1) | instid1(VALU_DEP_1)
	v_rcp_f32_e32 v20, v24
	v_sub_f32_e32 v23, v23, v24
	v_dual_sub_f32 v21, v21, v25 :: v_dual_add_f32 v22, v22, v23
	s_delay_alu instid0(VALU_DEP_1) | instskip(SKIP_2) | instid1(VALU_DEP_1)
	v_add_f32_e32 v14, v14, v21
	s_waitcnt_depctr 0xfff
	v_mul_f32_e32 v26, v25, v20
	v_mul_f32_e32 v27, v24, v26
	s_delay_alu instid0(VALU_DEP_1) | instskip(NEXT) | instid1(VALU_DEP_1)
	v_fma_f32 v23, v26, v24, -v27
	v_fmac_f32_e32 v23, v26, v22
	s_delay_alu instid0(VALU_DEP_1) | instskip(NEXT) | instid1(VALU_DEP_1)
	v_add_f32_e32 v28, v27, v23
	v_sub_f32_e32 v29, v25, v28
	v_sub_f32_e32 v21, v28, v27
	s_delay_alu instid0(VALU_DEP_2) | instskip(NEXT) | instid1(VALU_DEP_2)
	v_sub_f32_e32 v25, v25, v29
	v_sub_f32_e32 v21, v21, v23
	s_delay_alu instid0(VALU_DEP_2) | instskip(NEXT) | instid1(VALU_DEP_1)
	v_sub_f32_e32 v25, v25, v28
	v_add_f32_e32 v14, v14, v25
	s_delay_alu instid0(VALU_DEP_1) | instskip(NEXT) | instid1(VALU_DEP_1)
	v_add_f32_e32 v14, v21, v14
	v_add_f32_e32 v21, v29, v14
	s_delay_alu instid0(VALU_DEP_1) | instskip(NEXT) | instid1(VALU_DEP_1)
	v_mul_f32_e32 v23, v20, v21
	v_dual_sub_f32 v28, v29, v21 :: v_dual_mul_f32 v25, v24, v23
	s_delay_alu instid0(VALU_DEP_1) | instskip(NEXT) | instid1(VALU_DEP_2)
	v_add_f32_e32 v14, v14, v28
	v_fma_f32 v24, v23, v24, -v25
	s_delay_alu instid0(VALU_DEP_1) | instskip(NEXT) | instid1(VALU_DEP_1)
	v_fmac_f32_e32 v24, v23, v22
	v_add_f32_e32 v22, v25, v24
	s_delay_alu instid0(VALU_DEP_1) | instskip(SKIP_1) | instid1(VALU_DEP_2)
	v_sub_f32_e32 v27, v21, v22
	v_sub_f32_e32 v25, v22, v25
	;; [unrolled: 1-line block ×3, first 2 shown]
	s_delay_alu instid0(VALU_DEP_1) | instskip(NEXT) | instid1(VALU_DEP_3)
	v_sub_f32_e32 v21, v21, v22
	v_sub_f32_e32 v22, v25, v24
	s_delay_alu instid0(VALU_DEP_2) | instskip(SKIP_1) | instid1(VALU_DEP_2)
	v_add_f32_e32 v14, v14, v21
	v_add_f32_e32 v21, v26, v23
	;; [unrolled: 1-line block ×3, first 2 shown]
	s_delay_alu instid0(VALU_DEP_2) | instskip(NEXT) | instid1(VALU_DEP_2)
	v_sub_f32_e32 v22, v21, v26
	v_add_f32_e32 v14, v27, v14
	s_delay_alu instid0(VALU_DEP_2) | instskip(NEXT) | instid1(VALU_DEP_2)
	v_sub_f32_e32 v22, v23, v22
	v_mul_f32_e32 v14, v20, v14
	s_delay_alu instid0(VALU_DEP_1) | instskip(NEXT) | instid1(VALU_DEP_1)
	v_add_f32_e32 v14, v22, v14
	v_add_f32_e32 v20, v21, v14
	s_delay_alu instid0(VALU_DEP_1) | instskip(NEXT) | instid1(VALU_DEP_1)
	v_mul_f32_e32 v22, v20, v20
	v_fmaak_f32 v23, s7, v22, 0x3ecc95a3
	v_mul_f32_e32 v24, v20, v22
	v_cmp_eq_f32_e64 s7, 0x7f800000, v6
	s_delay_alu instid0(VALU_DEP_3) | instskip(SKIP_2) | instid1(VALU_DEP_4)
	v_fmaak_f32 v22, v22, v23, 0x3f2aaada
	v_ldexp_f32 v23, v20, 1
	v_sub_f32_e32 v20, v20, v21
	s_or_b32 s7, s7, s10
	s_delay_alu instid0(VALU_DEP_3) | instskip(SKIP_1) | instid1(VALU_DEP_2)
	v_mul_f32_e32 v22, v24, v22
	v_mul_f32_e32 v24, 0x3f317218, v19
	v_dual_sub_f32 v14, v14, v20 :: v_dual_add_f32 v21, v23, v22
	s_delay_alu instid0(VALU_DEP_1) | instskip(NEXT) | instid1(VALU_DEP_2)
	v_ldexp_f32 v14, v14, 1
	v_sub_f32_e32 v20, v21, v23
	s_delay_alu instid0(VALU_DEP_4) | instskip(NEXT) | instid1(VALU_DEP_1)
	v_fma_f32 v23, 0x3f317218, v19, -v24
	v_dual_sub_f32 v20, v22, v20 :: v_dual_fmamk_f32 v19, v19, 0xb102e308, v23
	s_delay_alu instid0(VALU_DEP_1) | instskip(NEXT) | instid1(VALU_DEP_2)
	v_add_f32_e32 v14, v14, v20
	v_add_f32_e32 v20, v24, v19
	s_delay_alu instid0(VALU_DEP_2) | instskip(NEXT) | instid1(VALU_DEP_2)
	v_add_f32_e32 v22, v21, v14
	v_sub_f32_e32 v24, v20, v24
	s_delay_alu instid0(VALU_DEP_2) | instskip(SKIP_1) | instid1(VALU_DEP_3)
	v_add_f32_e32 v23, v20, v22
	v_sub_f32_e32 v21, v22, v21
	v_sub_f32_e32 v19, v19, v24
	s_delay_alu instid0(VALU_DEP_2) | instskip(NEXT) | instid1(VALU_DEP_1)
	v_dual_sub_f32 v25, v23, v20 :: v_dual_sub_f32 v14, v14, v21
	v_sub_f32_e32 v26, v23, v25
	s_delay_alu instid0(VALU_DEP_2) | instskip(NEXT) | instid1(VALU_DEP_2)
	v_dual_sub_f32 v21, v22, v25 :: v_dual_add_f32 v22, v19, v14
	v_sub_f32_e32 v20, v20, v26
	s_delay_alu instid0(VALU_DEP_1) | instskip(NEXT) | instid1(VALU_DEP_1)
	v_dual_add_f32 v20, v21, v20 :: v_dual_sub_f32 v21, v22, v19
	v_add_f32_e32 v20, v22, v20
	s_delay_alu instid0(VALU_DEP_2) | instskip(SKIP_1) | instid1(VALU_DEP_3)
	v_sub_f32_e32 v22, v22, v21
	v_sub_f32_e32 v14, v14, v21
	v_add_f32_e32 v24, v23, v20
	s_delay_alu instid0(VALU_DEP_3) | instskip(NEXT) | instid1(VALU_DEP_2)
	v_sub_f32_e32 v19, v19, v22
	v_sub_f32_e32 v21, v24, v23
	s_delay_alu instid0(VALU_DEP_1) | instskip(NEXT) | instid1(VALU_DEP_1)
	v_dual_add_f32 v14, v14, v19 :: v_dual_sub_f32 v19, v20, v21
	v_add_f32_e32 v14, v14, v19
	s_delay_alu instid0(VALU_DEP_1) | instskip(NEXT) | instid1(VALU_DEP_1)
	v_add_f32_e32 v14, v24, v14
	v_cndmask_b32_e64 v6, v14, v6, s7
	s_delay_alu instid0(VALU_DEP_1)
	v_add_f32_e32 v19, v5, v6
.LBB173_12:
	s_or_b32 exec_lo, exec_lo, s9
	s_delay_alu instid0(VALU_DEP_1) | instskip(SKIP_1) | instid1(VALU_DEP_2)
	v_dual_max_f32 v5, v19, v19 :: v_dual_max_f32 v14, v4, v4
	v_cmp_u_f32_e64 s7, v19, v19
	v_min_f32_e32 v6, v5, v14
	v_max_f32_e32 v5, v5, v14
	s_delay_alu instid0(VALU_DEP_2) | instskip(NEXT) | instid1(VALU_DEP_2)
	v_cndmask_b32_e64 v6, v6, v19, s7
	v_cndmask_b32_e64 v5, v5, v19, s7
	v_cmp_u_f32_e64 s7, v4, v4
	s_delay_alu instid0(VALU_DEP_1) | instskip(NEXT) | instid1(VALU_DEP_3)
	v_cndmask_b32_e64 v6, v6, v4, s7
	v_cndmask_b32_e64 v5, v5, v4, s7
	s_delay_alu instid0(VALU_DEP_2) | instskip(NEXT) | instid1(VALU_DEP_2)
	v_cmp_class_f32_e64 s10, v6, 0x1f8
	v_cmp_neq_f32_e64 s9, v6, v5
	s_delay_alu instid0(VALU_DEP_1) | instskip(NEXT) | instid1(SALU_CYCLE_1)
	s_or_b32 s9, s9, s10
	s_and_saveexec_b32 s10, s9
	s_cbranch_execz .LBB173_14
; %bb.13:
	v_sub_f32_e32 v6, v6, v5
	s_delay_alu instid0(VALU_DEP_1) | instskip(NEXT) | instid1(VALU_DEP_1)
	v_mul_f32_e32 v19, 0x3fb8aa3b, v6
	v_fma_f32 v20, 0x3fb8aa3b, v6, -v19
	v_rndne_f32_e32 v21, v19
	s_delay_alu instid0(VALU_DEP_1) | instskip(NEXT) | instid1(VALU_DEP_1)
	v_dual_fmamk_f32 v20, v6, 0x32a5705f, v20 :: v_dual_sub_f32 v19, v19, v21
	v_add_f32_e32 v19, v19, v20
	v_cvt_i32_f32_e32 v20, v21
	v_cmp_ngt_f32_e64 s9, 0xc2ce8ed0, v6
	s_delay_alu instid0(VALU_DEP_3) | instskip(SKIP_2) | instid1(VALU_DEP_1)
	v_exp_f32_e32 v19, v19
	s_waitcnt_depctr 0xfff
	v_ldexp_f32 v19, v19, v20
	v_cndmask_b32_e64 v19, 0, v19, s9
	v_cmp_nlt_f32_e64 s9, 0x42b17218, v6
	s_delay_alu instid0(VALU_DEP_1) | instskip(NEXT) | instid1(VALU_DEP_1)
	v_cndmask_b32_e64 v6, 0x7f800000, v19, s9
	v_add_f32_e32 v21, 1.0, v6
	v_cmp_gt_f32_e64 s11, 0x33800000, |v6|
	s_delay_alu instid0(VALU_DEP_2) | instskip(NEXT) | instid1(VALU_DEP_1)
	v_cvt_f64_f32_e32 v[19:20], v21
	v_frexp_exp_i32_f64_e32 v19, v[19:20]
	v_frexp_mant_f32_e32 v20, v21
	s_delay_alu instid0(VALU_DEP_1) | instskip(SKIP_1) | instid1(VALU_DEP_1)
	v_cmp_gt_f32_e64 s9, 0x3f2aaaab, v20
	v_add_f32_e32 v20, -1.0, v21
	v_dual_sub_f32 v23, v20, v21 :: v_dual_sub_f32 v20, v6, v20
	s_delay_alu instid0(VALU_DEP_3) | instskip(SKIP_1) | instid1(VALU_DEP_1)
	v_subrev_co_ci_u32_e64 v19, s9, 0, v19, s9
	s_mov_b32 s9, 0x3e9b6dac
	v_sub_nc_u32_e32 v22, 0, v19
	v_cvt_f32_i32_e32 v19, v19
	s_delay_alu instid0(VALU_DEP_2) | instskip(NEXT) | instid1(VALU_DEP_1)
	v_ldexp_f32 v21, v21, v22
	v_dual_add_f32 v23, 1.0, v23 :: v_dual_add_f32 v24, 1.0, v21
	s_delay_alu instid0(VALU_DEP_1) | instskip(NEXT) | instid1(VALU_DEP_1)
	v_dual_add_f32 v20, v20, v23 :: v_dual_add_f32 v23, -1.0, v24
	v_ldexp_f32 v20, v20, v22
	s_delay_alu instid0(VALU_DEP_2) | instskip(NEXT) | instid1(VALU_DEP_1)
	v_dual_add_f32 v22, -1.0, v21 :: v_dual_sub_f32 v23, v21, v23
	v_add_f32_e32 v25, 1.0, v22
	s_delay_alu instid0(VALU_DEP_2) | instskip(NEXT) | instid1(VALU_DEP_2)
	v_add_f32_e32 v23, v20, v23
	v_sub_f32_e32 v21, v21, v25
	s_delay_alu instid0(VALU_DEP_1) | instskip(NEXT) | instid1(VALU_DEP_1)
	v_add_f32_e32 v20, v20, v21
	v_dual_add_f32 v26, v22, v20 :: v_dual_add_f32 v25, v24, v23
	s_delay_alu instid0(VALU_DEP_1) | instskip(NEXT) | instid1(VALU_DEP_2)
	v_sub_f32_e32 v22, v22, v26
	v_rcp_f32_e32 v21, v25
	v_sub_f32_e32 v24, v24, v25
	s_delay_alu instid0(VALU_DEP_1) | instskip(SKIP_2) | instid1(VALU_DEP_1)
	v_dual_add_f32 v20, v20, v22 :: v_dual_add_f32 v23, v23, v24
	s_waitcnt_depctr 0xfff
	v_mul_f32_e32 v27, v26, v21
	v_mul_f32_e32 v28, v25, v27
	s_delay_alu instid0(VALU_DEP_1) | instskip(NEXT) | instid1(VALU_DEP_1)
	v_fma_f32 v24, v27, v25, -v28
	v_fmac_f32_e32 v24, v27, v23
	s_delay_alu instid0(VALU_DEP_1) | instskip(NEXT) | instid1(VALU_DEP_1)
	v_add_f32_e32 v29, v28, v24
	v_sub_f32_e32 v30, v26, v29
	s_delay_alu instid0(VALU_DEP_1) | instskip(SKIP_1) | instid1(VALU_DEP_2)
	v_sub_f32_e32 v26, v26, v30
	v_sub_f32_e32 v22, v29, v28
	;; [unrolled: 1-line block ×3, first 2 shown]
	s_delay_alu instid0(VALU_DEP_2) | instskip(NEXT) | instid1(VALU_DEP_2)
	v_sub_f32_e32 v22, v22, v24
	v_add_f32_e32 v20, v20, v26
	s_delay_alu instid0(VALU_DEP_1) | instskip(NEXT) | instid1(VALU_DEP_1)
	v_add_f32_e32 v20, v22, v20
	v_add_f32_e32 v22, v30, v20
	s_delay_alu instid0(VALU_DEP_1) | instskip(NEXT) | instid1(VALU_DEP_1)
	v_mul_f32_e32 v24, v21, v22
	v_dual_sub_f32 v29, v30, v22 :: v_dual_mul_f32 v26, v25, v24
	s_delay_alu instid0(VALU_DEP_1) | instskip(NEXT) | instid1(VALU_DEP_2)
	v_add_f32_e32 v20, v20, v29
	v_fma_f32 v25, v24, v25, -v26
	s_delay_alu instid0(VALU_DEP_1) | instskip(NEXT) | instid1(VALU_DEP_1)
	v_fmac_f32_e32 v25, v24, v23
	v_add_f32_e32 v23, v26, v25
	s_delay_alu instid0(VALU_DEP_1) | instskip(SKIP_1) | instid1(VALU_DEP_2)
	v_sub_f32_e32 v28, v22, v23
	v_sub_f32_e32 v26, v23, v26
	;; [unrolled: 1-line block ×3, first 2 shown]
	s_delay_alu instid0(VALU_DEP_1) | instskip(NEXT) | instid1(VALU_DEP_1)
	v_sub_f32_e32 v22, v22, v23
	v_dual_sub_f32 v23, v26, v25 :: v_dual_add_f32 v20, v20, v22
	v_add_f32_e32 v22, v27, v24
	s_delay_alu instid0(VALU_DEP_1) | instskip(NEXT) | instid1(VALU_DEP_1)
	v_dual_add_f32 v20, v23, v20 :: v_dual_sub_f32 v23, v22, v27
	v_add_f32_e32 v20, v28, v20
	s_delay_alu instid0(VALU_DEP_1) | instskip(NEXT) | instid1(VALU_DEP_1)
	v_dual_sub_f32 v23, v24, v23 :: v_dual_mul_f32 v20, v21, v20
	v_add_f32_e32 v20, v23, v20
	s_delay_alu instid0(VALU_DEP_1) | instskip(NEXT) | instid1(VALU_DEP_1)
	v_add_f32_e32 v21, v22, v20
	v_mul_f32_e32 v23, v21, v21
	s_delay_alu instid0(VALU_DEP_1) | instskip(SKIP_2) | instid1(VALU_DEP_3)
	v_fmaak_f32 v24, s9, v23, 0x3ecc95a3
	v_mul_f32_e32 v25, v21, v23
	v_cmp_eq_f32_e64 s9, 0x7f800000, v6
	v_fmaak_f32 v23, v23, v24, 0x3f2aaada
	v_ldexp_f32 v24, v21, 1
	v_sub_f32_e32 v21, v21, v22
	s_delay_alu instid0(VALU_DEP_4) | instskip(NEXT) | instid1(VALU_DEP_3)
	s_or_b32 s9, s9, s11
	v_mul_f32_e32 v23, v25, v23
	s_delay_alu instid0(VALU_DEP_2) | instskip(NEXT) | instid1(VALU_DEP_2)
	v_dual_mul_f32 v25, 0x3f317218, v19 :: v_dual_sub_f32 v20, v20, v21
	v_add_f32_e32 v22, v24, v23
	s_delay_alu instid0(VALU_DEP_2) | instskip(NEXT) | instid1(VALU_DEP_2)
	v_ldexp_f32 v20, v20, 1
	v_sub_f32_e32 v21, v22, v24
	s_delay_alu instid0(VALU_DEP_4) | instskip(NEXT) | instid1(VALU_DEP_2)
	v_fma_f32 v24, 0x3f317218, v19, -v25
	v_sub_f32_e32 v21, v23, v21
	s_delay_alu instid0(VALU_DEP_1) | instskip(NEXT) | instid1(VALU_DEP_1)
	v_dual_fmamk_f32 v19, v19, 0xb102e308, v24 :: v_dual_add_f32 v20, v20, v21
	v_add_f32_e32 v21, v25, v19
	s_delay_alu instid0(VALU_DEP_1) | instskip(NEXT) | instid1(VALU_DEP_1)
	v_sub_f32_e32 v25, v21, v25
	v_sub_f32_e32 v19, v19, v25
	s_delay_alu instid0(VALU_DEP_4) | instskip(NEXT) | instid1(VALU_DEP_1)
	v_add_f32_e32 v23, v22, v20
	v_sub_f32_e32 v22, v23, v22
	s_delay_alu instid0(VALU_DEP_1) | instskip(SKIP_1) | instid1(VALU_DEP_1)
	v_sub_f32_e32 v20, v20, v22
	v_add_f32_e32 v24, v21, v23
	v_sub_f32_e32 v26, v24, v21
	s_delay_alu instid0(VALU_DEP_1) | instskip(NEXT) | instid1(VALU_DEP_4)
	v_sub_f32_e32 v22, v23, v26
	v_add_f32_e32 v23, v19, v20
	v_sub_f32_e32 v27, v24, v26
	s_delay_alu instid0(VALU_DEP_1) | instskip(NEXT) | instid1(VALU_DEP_1)
	v_sub_f32_e32 v21, v21, v27
	v_dual_add_f32 v21, v22, v21 :: v_dual_sub_f32 v22, v23, v19
	s_delay_alu instid0(VALU_DEP_1) | instskip(SKIP_1) | instid1(VALU_DEP_2)
	v_dual_add_f32 v21, v23, v21 :: v_dual_sub_f32 v20, v20, v22
	v_sub_f32_e32 v23, v23, v22
	v_add_f32_e32 v25, v24, v21
	s_delay_alu instid0(VALU_DEP_1) | instskip(NEXT) | instid1(VALU_DEP_1)
	v_dual_sub_f32 v19, v19, v23 :: v_dual_sub_f32 v22, v25, v24
	v_dual_add_f32 v19, v20, v19 :: v_dual_sub_f32 v20, v21, v22
	s_delay_alu instid0(VALU_DEP_1) | instskip(NEXT) | instid1(VALU_DEP_1)
	v_add_f32_e32 v19, v19, v20
	v_add_f32_e32 v19, v25, v19
	s_delay_alu instid0(VALU_DEP_1) | instskip(NEXT) | instid1(VALU_DEP_1)
	v_cndmask_b32_e64 v6, v19, v6, s9
	v_add_f32_e32 v19, v5, v6
.LBB173_14:
	s_or_b32 exec_lo, exec_lo, s10
	s_load_b64 s[10:11], s[0:1], 0x18
	s_mov_b32 s9, exec_lo
	ds_store_b32 v8, v19
	s_waitcnt lgkmcnt(0)
	s_barrier
	buffer_gl0_inv
	v_cmpx_gt_u32_e32 32, v0
	s_cbranch_execz .LBB173_66
; %bb.15:
	v_and_b32_e32 v5, 0xfc, v0
	s_delay_alu instid0(VALU_DEP_1)
	v_lshl_or_b32 v20, v0, 5, v5
	ds_load_2addr_b32 v[5:6], v20 offset1:1
	s_waitcnt lgkmcnt(0)
	v_dual_max_f32 v22, v6, v6 :: v_dual_max_f32 v21, v5, v5
	v_cmp_u_f32_e64 s0, v5, v5
	v_cmp_u_f32_e64 s1, v6, v6
	s_delay_alu instid0(VALU_DEP_3) | instskip(SKIP_1) | instid1(VALU_DEP_2)
	v_min_f32_e32 v23, v21, v22
	v_max_f32_e32 v22, v21, v22
	v_cndmask_b32_e64 v23, v23, v5, s0
	s_delay_alu instid0(VALU_DEP_2) | instskip(NEXT) | instid1(VALU_DEP_2)
	v_cndmask_b32_e64 v24, v22, v5, s0
	v_cndmask_b32_e64 v22, v23, v6, s1
	s_delay_alu instid0(VALU_DEP_2) | instskip(SKIP_1) | instid1(VALU_DEP_3)
	v_cndmask_b32_e64 v6, v24, v6, s1
	v_mov_b32_e32 v23, v5
	v_cmp_class_f32_e64 s12, v22, 0x1f8
	s_delay_alu instid0(VALU_DEP_3) | instskip(NEXT) | instid1(VALU_DEP_1)
	v_cmp_neq_f32_e64 s1, v22, v6
	s_or_b32 s1, s1, s12
	s_delay_alu instid0(SALU_CYCLE_1)
	s_and_saveexec_b32 s12, s1
	s_cbranch_execz .LBB173_17
; %bb.16:
	v_sub_f32_e32 v22, v22, v6
	s_delay_alu instid0(VALU_DEP_1) | instskip(NEXT) | instid1(VALU_DEP_1)
	v_mul_f32_e32 v23, 0x3fb8aa3b, v22
	v_fma_f32 v24, 0x3fb8aa3b, v22, -v23
	v_rndne_f32_e32 v25, v23
	s_delay_alu instid0(VALU_DEP_1) | instskip(SKIP_1) | instid1(VALU_DEP_2)
	v_dual_sub_f32 v23, v23, v25 :: v_dual_fmamk_f32 v24, v22, 0x32a5705f, v24
	v_cmp_ngt_f32_e64 s1, 0xc2ce8ed0, v22
	v_add_f32_e32 v23, v23, v24
	v_cvt_i32_f32_e32 v24, v25
	s_delay_alu instid0(VALU_DEP_2) | instskip(SKIP_2) | instid1(VALU_DEP_1)
	v_exp_f32_e32 v23, v23
	s_waitcnt_depctr 0xfff
	v_ldexp_f32 v23, v23, v24
	v_cndmask_b32_e64 v23, 0, v23, s1
	v_cmp_nlt_f32_e64 s1, 0x42b17218, v22
	s_delay_alu instid0(VALU_DEP_1) | instskip(NEXT) | instid1(VALU_DEP_1)
	v_cndmask_b32_e64 v24, 0x7f800000, v23, s1
	v_add_f32_e32 v25, 1.0, v24
	v_cmp_gt_f32_e64 s13, 0x33800000, |v24|
	s_delay_alu instid0(VALU_DEP_2) | instskip(NEXT) | instid1(VALU_DEP_1)
	v_cvt_f64_f32_e32 v[22:23], v25
	v_frexp_exp_i32_f64_e32 v22, v[22:23]
	v_frexp_mant_f32_e32 v23, v25
	s_delay_alu instid0(VALU_DEP_1) | instskip(SKIP_1) | instid1(VALU_DEP_1)
	v_cmp_gt_f32_e64 s1, 0x3f2aaaab, v23
	v_add_f32_e32 v23, -1.0, v25
	v_sub_f32_e32 v27, v23, v25
	v_sub_f32_e32 v23, v24, v23
	s_delay_alu instid0(VALU_DEP_4) | instskip(SKIP_1) | instid1(VALU_DEP_1)
	v_subrev_co_ci_u32_e64 v22, s1, 0, v22, s1
	s_mov_b32 s1, 0x3e9b6dac
	v_sub_nc_u32_e32 v26, 0, v22
	v_cvt_f32_i32_e32 v22, v22
	s_delay_alu instid0(VALU_DEP_2) | instskip(NEXT) | instid1(VALU_DEP_1)
	v_ldexp_f32 v25, v25, v26
	v_dual_add_f32 v28, 1.0, v25 :: v_dual_add_f32 v27, 1.0, v27
	s_delay_alu instid0(VALU_DEP_1) | instskip(NEXT) | instid1(VALU_DEP_2)
	v_add_f32_e32 v23, v23, v27
	v_add_f32_e32 v27, -1.0, v28
	s_delay_alu instid0(VALU_DEP_2) | instskip(NEXT) | instid1(VALU_DEP_2)
	v_ldexp_f32 v23, v23, v26
	v_dual_add_f32 v26, -1.0, v25 :: v_dual_sub_f32 v27, v25, v27
	s_delay_alu instid0(VALU_DEP_1) | instskip(NEXT) | instid1(VALU_DEP_2)
	v_add_f32_e32 v29, 1.0, v26
	v_add_f32_e32 v27, v23, v27
	s_delay_alu instid0(VALU_DEP_2) | instskip(NEXT) | instid1(VALU_DEP_2)
	v_sub_f32_e32 v25, v25, v29
	v_add_f32_e32 v29, v28, v27
	s_delay_alu instid0(VALU_DEP_2) | instskip(NEXT) | instid1(VALU_DEP_2)
	v_add_f32_e32 v23, v23, v25
	v_rcp_f32_e32 v25, v29
	v_sub_f32_e32 v28, v28, v29
	s_delay_alu instid0(VALU_DEP_1) | instskip(NEXT) | instid1(VALU_DEP_1)
	v_dual_add_f32 v30, v26, v23 :: v_dual_add_f32 v27, v27, v28
	v_sub_f32_e32 v26, v26, v30
	s_waitcnt_depctr 0xfff
	v_mul_f32_e32 v31, v30, v25
	s_delay_alu instid0(VALU_DEP_1) | instskip(NEXT) | instid1(VALU_DEP_1)
	v_dual_add_f32 v23, v23, v26 :: v_dual_mul_f32 v32, v29, v31
	v_fma_f32 v28, v31, v29, -v32
	s_delay_alu instid0(VALU_DEP_1) | instskip(NEXT) | instid1(VALU_DEP_1)
	v_fmac_f32_e32 v28, v31, v27
	v_add_f32_e32 v33, v32, v28
	s_delay_alu instid0(VALU_DEP_1) | instskip(SKIP_1) | instid1(VALU_DEP_2)
	v_sub_f32_e32 v34, v30, v33
	v_sub_f32_e32 v26, v33, v32
	;; [unrolled: 1-line block ×3, first 2 shown]
	s_delay_alu instid0(VALU_DEP_2) | instskip(NEXT) | instid1(VALU_DEP_2)
	v_sub_f32_e32 v26, v26, v28
	v_sub_f32_e32 v30, v30, v33
	s_delay_alu instid0(VALU_DEP_1) | instskip(NEXT) | instid1(VALU_DEP_1)
	v_add_f32_e32 v23, v23, v30
	v_add_f32_e32 v23, v26, v23
	s_delay_alu instid0(VALU_DEP_1) | instskip(NEXT) | instid1(VALU_DEP_1)
	v_add_f32_e32 v26, v34, v23
	v_mul_f32_e32 v28, v25, v26
	s_delay_alu instid0(VALU_DEP_1) | instskip(NEXT) | instid1(VALU_DEP_1)
	v_dual_sub_f32 v33, v34, v26 :: v_dual_mul_f32 v30, v29, v28
	v_add_f32_e32 v23, v23, v33
	s_delay_alu instid0(VALU_DEP_2) | instskip(NEXT) | instid1(VALU_DEP_1)
	v_fma_f32 v29, v28, v29, -v30
	v_fmac_f32_e32 v29, v28, v27
	s_delay_alu instid0(VALU_DEP_1) | instskip(NEXT) | instid1(VALU_DEP_1)
	v_add_f32_e32 v27, v30, v29
	v_sub_f32_e32 v32, v26, v27
	v_sub_f32_e32 v30, v27, v30
	s_delay_alu instid0(VALU_DEP_2) | instskip(NEXT) | instid1(VALU_DEP_1)
	v_sub_f32_e32 v26, v26, v32
	v_sub_f32_e32 v26, v26, v27
	s_delay_alu instid0(VALU_DEP_3) | instskip(NEXT) | instid1(VALU_DEP_2)
	v_sub_f32_e32 v27, v30, v29
	v_add_f32_e32 v23, v23, v26
	v_add_f32_e32 v26, v31, v28
	s_delay_alu instid0(VALU_DEP_2) | instskip(NEXT) | instid1(VALU_DEP_2)
	v_add_f32_e32 v23, v27, v23
	v_sub_f32_e32 v27, v26, v31
	s_delay_alu instid0(VALU_DEP_2) | instskip(NEXT) | instid1(VALU_DEP_2)
	v_add_f32_e32 v23, v32, v23
	v_sub_f32_e32 v27, v28, v27
	s_delay_alu instid0(VALU_DEP_2) | instskip(NEXT) | instid1(VALU_DEP_1)
	v_mul_f32_e32 v23, v25, v23
	v_add_f32_e32 v23, v27, v23
	s_delay_alu instid0(VALU_DEP_1) | instskip(NEXT) | instid1(VALU_DEP_1)
	v_add_f32_e32 v25, v26, v23
	v_mul_f32_e32 v27, v25, v25
	s_delay_alu instid0(VALU_DEP_1) | instskip(SKIP_2) | instid1(VALU_DEP_3)
	v_fmaak_f32 v28, s1, v27, 0x3ecc95a3
	v_mul_f32_e32 v29, v25, v27
	v_cmp_eq_f32_e64 s1, 0x7f800000, v24
	v_fmaak_f32 v27, v27, v28, 0x3f2aaada
	v_ldexp_f32 v28, v25, 1
	v_sub_f32_e32 v25, v25, v26
	s_delay_alu instid0(VALU_DEP_4) | instskip(NEXT) | instid1(VALU_DEP_3)
	s_or_b32 s1, s1, s13
	v_mul_f32_e32 v27, v29, v27
	v_mul_f32_e32 v29, 0x3f317218, v22
	s_delay_alu instid0(VALU_DEP_2) | instskip(NEXT) | instid1(VALU_DEP_1)
	v_dual_sub_f32 v23, v23, v25 :: v_dual_add_f32 v26, v28, v27
	v_ldexp_f32 v23, v23, 1
	s_delay_alu instid0(VALU_DEP_2) | instskip(NEXT) | instid1(VALU_DEP_4)
	v_sub_f32_e32 v25, v26, v28
	v_fma_f32 v28, 0x3f317218, v22, -v29
	s_delay_alu instid0(VALU_DEP_1) | instskip(NEXT) | instid1(VALU_DEP_1)
	v_dual_sub_f32 v25, v27, v25 :: v_dual_fmamk_f32 v22, v22, 0xb102e308, v28
	v_add_f32_e32 v23, v23, v25
	s_delay_alu instid0(VALU_DEP_2) | instskip(NEXT) | instid1(VALU_DEP_2)
	v_add_f32_e32 v25, v29, v22
	v_add_f32_e32 v27, v26, v23
	s_delay_alu instid0(VALU_DEP_2) | instskip(NEXT) | instid1(VALU_DEP_2)
	v_sub_f32_e32 v29, v25, v29
	v_add_f32_e32 v28, v25, v27
	v_sub_f32_e32 v26, v27, v26
	s_delay_alu instid0(VALU_DEP_3) | instskip(NEXT) | instid1(VALU_DEP_2)
	v_sub_f32_e32 v22, v22, v29
	v_dual_sub_f32 v30, v28, v25 :: v_dual_sub_f32 v23, v23, v26
	s_delay_alu instid0(VALU_DEP_1) | instskip(NEXT) | instid1(VALU_DEP_2)
	v_sub_f32_e32 v31, v28, v30
	v_dual_sub_f32 v26, v27, v30 :: v_dual_add_f32 v27, v22, v23
	s_delay_alu instid0(VALU_DEP_2) | instskip(NEXT) | instid1(VALU_DEP_1)
	v_sub_f32_e32 v25, v25, v31
	v_dual_add_f32 v25, v26, v25 :: v_dual_sub_f32 v26, v27, v22
	s_delay_alu instid0(VALU_DEP_1) | instskip(NEXT) | instid1(VALU_DEP_2)
	v_add_f32_e32 v25, v27, v25
	v_sub_f32_e32 v27, v27, v26
	v_sub_f32_e32 v23, v23, v26
	s_delay_alu instid0(VALU_DEP_2) | instskip(NEXT) | instid1(VALU_DEP_1)
	v_dual_add_f32 v29, v28, v25 :: v_dual_sub_f32 v22, v22, v27
	v_sub_f32_e32 v26, v29, v28
	s_delay_alu instid0(VALU_DEP_2) | instskip(NEXT) | instid1(VALU_DEP_2)
	v_add_f32_e32 v22, v23, v22
	v_sub_f32_e32 v23, v25, v26
	s_delay_alu instid0(VALU_DEP_1) | instskip(NEXT) | instid1(VALU_DEP_1)
	v_add_f32_e32 v22, v22, v23
	v_add_f32_e32 v22, v29, v22
	s_delay_alu instid0(VALU_DEP_1) | instskip(NEXT) | instid1(VALU_DEP_1)
	v_cndmask_b32_e64 v22, v22, v24, s1
	v_add_f32_e32 v23, v6, v22
.LBB173_17:
	s_or_b32 exec_lo, exec_lo, s12
	ds_load_b32 v6, v20 offset:8
	v_max_f32_e32 v22, v23, v23
	v_cmp_u_f32_e64 s1, v23, v23
	s_waitcnt lgkmcnt(0)
	v_max_f32_e32 v24, v6, v6
	s_delay_alu instid0(VALU_DEP_1) | instskip(SKIP_1) | instid1(VALU_DEP_2)
	v_min_f32_e32 v25, v22, v24
	v_max_f32_e32 v22, v22, v24
	v_cndmask_b32_e64 v24, v25, v23, s1
	s_delay_alu instid0(VALU_DEP_2) | instskip(SKIP_1) | instid1(VALU_DEP_1)
	v_cndmask_b32_e64 v25, v22, v23, s1
	v_cmp_u_f32_e64 s1, v6, v6
	v_cndmask_b32_e64 v22, v24, v6, s1
	s_delay_alu instid0(VALU_DEP_3) | instskip(NEXT) | instid1(VALU_DEP_2)
	v_cndmask_b32_e64 v6, v25, v6, s1
	v_cmp_class_f32_e64 s12, v22, 0x1f8
	s_delay_alu instid0(VALU_DEP_2) | instskip(NEXT) | instid1(VALU_DEP_1)
	v_cmp_neq_f32_e64 s1, v22, v6
	s_or_b32 s1, s1, s12
	s_delay_alu instid0(SALU_CYCLE_1)
	s_and_saveexec_b32 s12, s1
	s_cbranch_execz .LBB173_19
; %bb.18:
	v_sub_f32_e32 v22, v22, v6
	s_delay_alu instid0(VALU_DEP_1) | instskip(NEXT) | instid1(VALU_DEP_1)
	v_mul_f32_e32 v23, 0x3fb8aa3b, v22
	v_fma_f32 v24, 0x3fb8aa3b, v22, -v23
	v_rndne_f32_e32 v25, v23
	s_delay_alu instid0(VALU_DEP_1) | instskip(SKIP_1) | instid1(VALU_DEP_2)
	v_dual_sub_f32 v23, v23, v25 :: v_dual_fmamk_f32 v24, v22, 0x32a5705f, v24
	v_cmp_ngt_f32_e64 s1, 0xc2ce8ed0, v22
	v_add_f32_e32 v23, v23, v24
	v_cvt_i32_f32_e32 v24, v25
	s_delay_alu instid0(VALU_DEP_2) | instskip(SKIP_2) | instid1(VALU_DEP_1)
	v_exp_f32_e32 v23, v23
	s_waitcnt_depctr 0xfff
	v_ldexp_f32 v23, v23, v24
	v_cndmask_b32_e64 v23, 0, v23, s1
	v_cmp_nlt_f32_e64 s1, 0x42b17218, v22
	s_delay_alu instid0(VALU_DEP_1) | instskip(NEXT) | instid1(VALU_DEP_1)
	v_cndmask_b32_e64 v24, 0x7f800000, v23, s1
	v_add_f32_e32 v25, 1.0, v24
	v_cmp_gt_f32_e64 s13, 0x33800000, |v24|
	s_delay_alu instid0(VALU_DEP_2) | instskip(NEXT) | instid1(VALU_DEP_1)
	v_cvt_f64_f32_e32 v[22:23], v25
	v_frexp_exp_i32_f64_e32 v22, v[22:23]
	v_frexp_mant_f32_e32 v23, v25
	s_delay_alu instid0(VALU_DEP_1) | instskip(SKIP_1) | instid1(VALU_DEP_1)
	v_cmp_gt_f32_e64 s1, 0x3f2aaaab, v23
	v_add_f32_e32 v23, -1.0, v25
	v_sub_f32_e32 v27, v23, v25
	v_sub_f32_e32 v23, v24, v23
	s_delay_alu instid0(VALU_DEP_4) | instskip(SKIP_1) | instid1(VALU_DEP_1)
	v_subrev_co_ci_u32_e64 v22, s1, 0, v22, s1
	s_mov_b32 s1, 0x3e9b6dac
	v_sub_nc_u32_e32 v26, 0, v22
	v_cvt_f32_i32_e32 v22, v22
	s_delay_alu instid0(VALU_DEP_2) | instskip(NEXT) | instid1(VALU_DEP_1)
	v_ldexp_f32 v25, v25, v26
	v_dual_add_f32 v28, 1.0, v25 :: v_dual_add_f32 v27, 1.0, v27
	s_delay_alu instid0(VALU_DEP_1) | instskip(NEXT) | instid1(VALU_DEP_2)
	v_add_f32_e32 v23, v23, v27
	v_add_f32_e32 v27, -1.0, v28
	s_delay_alu instid0(VALU_DEP_2) | instskip(NEXT) | instid1(VALU_DEP_2)
	v_ldexp_f32 v23, v23, v26
	v_dual_add_f32 v26, -1.0, v25 :: v_dual_sub_f32 v27, v25, v27
	s_delay_alu instid0(VALU_DEP_1) | instskip(NEXT) | instid1(VALU_DEP_2)
	v_add_f32_e32 v29, 1.0, v26
	v_add_f32_e32 v27, v23, v27
	s_delay_alu instid0(VALU_DEP_2) | instskip(NEXT) | instid1(VALU_DEP_2)
	v_sub_f32_e32 v25, v25, v29
	v_add_f32_e32 v29, v28, v27
	s_delay_alu instid0(VALU_DEP_2) | instskip(NEXT) | instid1(VALU_DEP_2)
	v_add_f32_e32 v23, v23, v25
	v_rcp_f32_e32 v25, v29
	v_sub_f32_e32 v28, v28, v29
	s_delay_alu instid0(VALU_DEP_1) | instskip(NEXT) | instid1(VALU_DEP_1)
	v_dual_add_f32 v30, v26, v23 :: v_dual_add_f32 v27, v27, v28
	v_sub_f32_e32 v26, v26, v30
	s_waitcnt_depctr 0xfff
	v_mul_f32_e32 v31, v30, v25
	s_delay_alu instid0(VALU_DEP_1) | instskip(NEXT) | instid1(VALU_DEP_1)
	v_dual_add_f32 v23, v23, v26 :: v_dual_mul_f32 v32, v29, v31
	v_fma_f32 v28, v31, v29, -v32
	s_delay_alu instid0(VALU_DEP_1) | instskip(NEXT) | instid1(VALU_DEP_1)
	v_fmac_f32_e32 v28, v31, v27
	v_add_f32_e32 v33, v32, v28
	s_delay_alu instid0(VALU_DEP_1) | instskip(SKIP_1) | instid1(VALU_DEP_2)
	v_sub_f32_e32 v34, v30, v33
	v_sub_f32_e32 v26, v33, v32
	;; [unrolled: 1-line block ×3, first 2 shown]
	s_delay_alu instid0(VALU_DEP_2) | instskip(NEXT) | instid1(VALU_DEP_2)
	v_sub_f32_e32 v26, v26, v28
	v_sub_f32_e32 v30, v30, v33
	s_delay_alu instid0(VALU_DEP_1) | instskip(NEXT) | instid1(VALU_DEP_1)
	v_add_f32_e32 v23, v23, v30
	v_add_f32_e32 v23, v26, v23
	s_delay_alu instid0(VALU_DEP_1) | instskip(NEXT) | instid1(VALU_DEP_1)
	v_add_f32_e32 v26, v34, v23
	v_mul_f32_e32 v28, v25, v26
	s_delay_alu instid0(VALU_DEP_1) | instskip(NEXT) | instid1(VALU_DEP_1)
	v_dual_sub_f32 v33, v34, v26 :: v_dual_mul_f32 v30, v29, v28
	v_add_f32_e32 v23, v23, v33
	s_delay_alu instid0(VALU_DEP_2) | instskip(NEXT) | instid1(VALU_DEP_1)
	v_fma_f32 v29, v28, v29, -v30
	v_fmac_f32_e32 v29, v28, v27
	s_delay_alu instid0(VALU_DEP_1) | instskip(NEXT) | instid1(VALU_DEP_1)
	v_add_f32_e32 v27, v30, v29
	v_sub_f32_e32 v32, v26, v27
	v_sub_f32_e32 v30, v27, v30
	s_delay_alu instid0(VALU_DEP_2) | instskip(NEXT) | instid1(VALU_DEP_1)
	v_sub_f32_e32 v26, v26, v32
	v_sub_f32_e32 v26, v26, v27
	s_delay_alu instid0(VALU_DEP_3) | instskip(NEXT) | instid1(VALU_DEP_2)
	v_sub_f32_e32 v27, v30, v29
	v_add_f32_e32 v23, v23, v26
	v_add_f32_e32 v26, v31, v28
	s_delay_alu instid0(VALU_DEP_2) | instskip(NEXT) | instid1(VALU_DEP_2)
	v_add_f32_e32 v23, v27, v23
	v_sub_f32_e32 v27, v26, v31
	s_delay_alu instid0(VALU_DEP_2) | instskip(NEXT) | instid1(VALU_DEP_2)
	v_add_f32_e32 v23, v32, v23
	v_sub_f32_e32 v27, v28, v27
	s_delay_alu instid0(VALU_DEP_2) | instskip(NEXT) | instid1(VALU_DEP_1)
	v_mul_f32_e32 v23, v25, v23
	v_add_f32_e32 v23, v27, v23
	s_delay_alu instid0(VALU_DEP_1) | instskip(NEXT) | instid1(VALU_DEP_1)
	v_add_f32_e32 v25, v26, v23
	v_mul_f32_e32 v27, v25, v25
	s_delay_alu instid0(VALU_DEP_1) | instskip(SKIP_2) | instid1(VALU_DEP_3)
	v_fmaak_f32 v28, s1, v27, 0x3ecc95a3
	v_mul_f32_e32 v29, v25, v27
	v_cmp_eq_f32_e64 s1, 0x7f800000, v24
	v_fmaak_f32 v27, v27, v28, 0x3f2aaada
	v_ldexp_f32 v28, v25, 1
	v_sub_f32_e32 v25, v25, v26
	s_delay_alu instid0(VALU_DEP_4) | instskip(NEXT) | instid1(VALU_DEP_3)
	s_or_b32 s1, s1, s13
	v_mul_f32_e32 v27, v29, v27
	v_mul_f32_e32 v29, 0x3f317218, v22
	s_delay_alu instid0(VALU_DEP_2) | instskip(NEXT) | instid1(VALU_DEP_1)
	v_dual_sub_f32 v23, v23, v25 :: v_dual_add_f32 v26, v28, v27
	v_ldexp_f32 v23, v23, 1
	s_delay_alu instid0(VALU_DEP_2) | instskip(NEXT) | instid1(VALU_DEP_4)
	v_sub_f32_e32 v25, v26, v28
	v_fma_f32 v28, 0x3f317218, v22, -v29
	s_delay_alu instid0(VALU_DEP_1) | instskip(NEXT) | instid1(VALU_DEP_1)
	v_dual_sub_f32 v25, v27, v25 :: v_dual_fmamk_f32 v22, v22, 0xb102e308, v28
	v_add_f32_e32 v23, v23, v25
	s_delay_alu instid0(VALU_DEP_2) | instskip(NEXT) | instid1(VALU_DEP_2)
	v_add_f32_e32 v25, v29, v22
	v_add_f32_e32 v27, v26, v23
	s_delay_alu instid0(VALU_DEP_2) | instskip(NEXT) | instid1(VALU_DEP_2)
	v_sub_f32_e32 v29, v25, v29
	v_add_f32_e32 v28, v25, v27
	v_sub_f32_e32 v26, v27, v26
	s_delay_alu instid0(VALU_DEP_3) | instskip(NEXT) | instid1(VALU_DEP_2)
	v_sub_f32_e32 v22, v22, v29
	v_dual_sub_f32 v30, v28, v25 :: v_dual_sub_f32 v23, v23, v26
	s_delay_alu instid0(VALU_DEP_1) | instskip(NEXT) | instid1(VALU_DEP_2)
	v_sub_f32_e32 v31, v28, v30
	v_dual_sub_f32 v26, v27, v30 :: v_dual_add_f32 v27, v22, v23
	s_delay_alu instid0(VALU_DEP_2) | instskip(NEXT) | instid1(VALU_DEP_1)
	v_sub_f32_e32 v25, v25, v31
	v_dual_add_f32 v25, v26, v25 :: v_dual_sub_f32 v26, v27, v22
	s_delay_alu instid0(VALU_DEP_1) | instskip(NEXT) | instid1(VALU_DEP_2)
	v_add_f32_e32 v25, v27, v25
	v_sub_f32_e32 v27, v27, v26
	v_sub_f32_e32 v23, v23, v26
	s_delay_alu instid0(VALU_DEP_2) | instskip(NEXT) | instid1(VALU_DEP_1)
	v_dual_add_f32 v29, v28, v25 :: v_dual_sub_f32 v22, v22, v27
	v_sub_f32_e32 v26, v29, v28
	s_delay_alu instid0(VALU_DEP_2) | instskip(NEXT) | instid1(VALU_DEP_2)
	v_add_f32_e32 v22, v23, v22
	v_sub_f32_e32 v23, v25, v26
	s_delay_alu instid0(VALU_DEP_1) | instskip(NEXT) | instid1(VALU_DEP_1)
	v_add_f32_e32 v22, v22, v23
	v_add_f32_e32 v22, v29, v22
	s_delay_alu instid0(VALU_DEP_1) | instskip(NEXT) | instid1(VALU_DEP_1)
	v_cndmask_b32_e64 v22, v22, v24, s1
	v_add_f32_e32 v23, v6, v22
.LBB173_19:
	s_or_b32 exec_lo, exec_lo, s12
	ds_load_b32 v6, v20 offset:12
	v_max_f32_e32 v22, v23, v23
	v_cmp_u_f32_e64 s1, v23, v23
	s_waitcnt lgkmcnt(0)
	v_max_f32_e32 v24, v6, v6
	s_delay_alu instid0(VALU_DEP_1) | instskip(SKIP_1) | instid1(VALU_DEP_2)
	v_min_f32_e32 v25, v22, v24
	v_max_f32_e32 v22, v22, v24
	v_cndmask_b32_e64 v24, v25, v23, s1
	s_delay_alu instid0(VALU_DEP_2) | instskip(SKIP_1) | instid1(VALU_DEP_1)
	v_cndmask_b32_e64 v25, v22, v23, s1
	v_cmp_u_f32_e64 s1, v6, v6
	v_cndmask_b32_e64 v22, v24, v6, s1
	s_delay_alu instid0(VALU_DEP_3) | instskip(NEXT) | instid1(VALU_DEP_2)
	v_cndmask_b32_e64 v6, v25, v6, s1
	v_cmp_class_f32_e64 s12, v22, 0x1f8
	s_delay_alu instid0(VALU_DEP_2) | instskip(NEXT) | instid1(VALU_DEP_1)
	v_cmp_neq_f32_e64 s1, v22, v6
	s_or_b32 s1, s1, s12
	s_delay_alu instid0(SALU_CYCLE_1)
	s_and_saveexec_b32 s12, s1
	s_cbranch_execz .LBB173_21
; %bb.20:
	v_sub_f32_e32 v22, v22, v6
	s_delay_alu instid0(VALU_DEP_1) | instskip(NEXT) | instid1(VALU_DEP_1)
	v_mul_f32_e32 v23, 0x3fb8aa3b, v22
	v_fma_f32 v24, 0x3fb8aa3b, v22, -v23
	v_rndne_f32_e32 v25, v23
	s_delay_alu instid0(VALU_DEP_1) | instskip(SKIP_1) | instid1(VALU_DEP_2)
	v_dual_sub_f32 v23, v23, v25 :: v_dual_fmamk_f32 v24, v22, 0x32a5705f, v24
	v_cmp_ngt_f32_e64 s1, 0xc2ce8ed0, v22
	v_add_f32_e32 v23, v23, v24
	v_cvt_i32_f32_e32 v24, v25
	s_delay_alu instid0(VALU_DEP_2) | instskip(SKIP_2) | instid1(VALU_DEP_1)
	v_exp_f32_e32 v23, v23
	s_waitcnt_depctr 0xfff
	v_ldexp_f32 v23, v23, v24
	v_cndmask_b32_e64 v23, 0, v23, s1
	v_cmp_nlt_f32_e64 s1, 0x42b17218, v22
	s_delay_alu instid0(VALU_DEP_1) | instskip(NEXT) | instid1(VALU_DEP_1)
	v_cndmask_b32_e64 v24, 0x7f800000, v23, s1
	v_add_f32_e32 v25, 1.0, v24
	v_cmp_gt_f32_e64 s13, 0x33800000, |v24|
	s_delay_alu instid0(VALU_DEP_2) | instskip(NEXT) | instid1(VALU_DEP_1)
	v_cvt_f64_f32_e32 v[22:23], v25
	v_frexp_exp_i32_f64_e32 v22, v[22:23]
	v_frexp_mant_f32_e32 v23, v25
	s_delay_alu instid0(VALU_DEP_1) | instskip(SKIP_1) | instid1(VALU_DEP_1)
	v_cmp_gt_f32_e64 s1, 0x3f2aaaab, v23
	v_add_f32_e32 v23, -1.0, v25
	v_sub_f32_e32 v27, v23, v25
	v_sub_f32_e32 v23, v24, v23
	s_delay_alu instid0(VALU_DEP_4) | instskip(SKIP_1) | instid1(VALU_DEP_1)
	v_subrev_co_ci_u32_e64 v22, s1, 0, v22, s1
	s_mov_b32 s1, 0x3e9b6dac
	v_sub_nc_u32_e32 v26, 0, v22
	v_cvt_f32_i32_e32 v22, v22
	s_delay_alu instid0(VALU_DEP_2) | instskip(NEXT) | instid1(VALU_DEP_1)
	v_ldexp_f32 v25, v25, v26
	v_dual_add_f32 v28, 1.0, v25 :: v_dual_add_f32 v27, 1.0, v27
	s_delay_alu instid0(VALU_DEP_1) | instskip(NEXT) | instid1(VALU_DEP_2)
	v_add_f32_e32 v23, v23, v27
	v_add_f32_e32 v27, -1.0, v28
	s_delay_alu instid0(VALU_DEP_2) | instskip(NEXT) | instid1(VALU_DEP_2)
	v_ldexp_f32 v23, v23, v26
	v_dual_add_f32 v26, -1.0, v25 :: v_dual_sub_f32 v27, v25, v27
	s_delay_alu instid0(VALU_DEP_1) | instskip(NEXT) | instid1(VALU_DEP_2)
	v_add_f32_e32 v29, 1.0, v26
	v_add_f32_e32 v27, v23, v27
	s_delay_alu instid0(VALU_DEP_2) | instskip(NEXT) | instid1(VALU_DEP_2)
	v_sub_f32_e32 v25, v25, v29
	v_add_f32_e32 v29, v28, v27
	s_delay_alu instid0(VALU_DEP_2) | instskip(NEXT) | instid1(VALU_DEP_2)
	v_add_f32_e32 v23, v23, v25
	v_rcp_f32_e32 v25, v29
	v_sub_f32_e32 v28, v28, v29
	s_delay_alu instid0(VALU_DEP_1) | instskip(NEXT) | instid1(VALU_DEP_1)
	v_dual_add_f32 v30, v26, v23 :: v_dual_add_f32 v27, v27, v28
	v_sub_f32_e32 v26, v26, v30
	s_waitcnt_depctr 0xfff
	v_mul_f32_e32 v31, v30, v25
	s_delay_alu instid0(VALU_DEP_1) | instskip(NEXT) | instid1(VALU_DEP_1)
	v_dual_add_f32 v23, v23, v26 :: v_dual_mul_f32 v32, v29, v31
	v_fma_f32 v28, v31, v29, -v32
	s_delay_alu instid0(VALU_DEP_1) | instskip(NEXT) | instid1(VALU_DEP_1)
	v_fmac_f32_e32 v28, v31, v27
	v_add_f32_e32 v33, v32, v28
	s_delay_alu instid0(VALU_DEP_1) | instskip(SKIP_1) | instid1(VALU_DEP_2)
	v_sub_f32_e32 v34, v30, v33
	v_sub_f32_e32 v26, v33, v32
	;; [unrolled: 1-line block ×3, first 2 shown]
	s_delay_alu instid0(VALU_DEP_2) | instskip(NEXT) | instid1(VALU_DEP_2)
	v_sub_f32_e32 v26, v26, v28
	v_sub_f32_e32 v30, v30, v33
	s_delay_alu instid0(VALU_DEP_1) | instskip(NEXT) | instid1(VALU_DEP_1)
	v_add_f32_e32 v23, v23, v30
	v_add_f32_e32 v23, v26, v23
	s_delay_alu instid0(VALU_DEP_1) | instskip(NEXT) | instid1(VALU_DEP_1)
	v_add_f32_e32 v26, v34, v23
	v_mul_f32_e32 v28, v25, v26
	s_delay_alu instid0(VALU_DEP_1) | instskip(NEXT) | instid1(VALU_DEP_1)
	v_dual_sub_f32 v33, v34, v26 :: v_dual_mul_f32 v30, v29, v28
	v_add_f32_e32 v23, v23, v33
	s_delay_alu instid0(VALU_DEP_2) | instskip(NEXT) | instid1(VALU_DEP_1)
	v_fma_f32 v29, v28, v29, -v30
	v_fmac_f32_e32 v29, v28, v27
	s_delay_alu instid0(VALU_DEP_1) | instskip(NEXT) | instid1(VALU_DEP_1)
	v_add_f32_e32 v27, v30, v29
	v_sub_f32_e32 v32, v26, v27
	v_sub_f32_e32 v30, v27, v30
	s_delay_alu instid0(VALU_DEP_2) | instskip(NEXT) | instid1(VALU_DEP_1)
	v_sub_f32_e32 v26, v26, v32
	v_sub_f32_e32 v26, v26, v27
	s_delay_alu instid0(VALU_DEP_3) | instskip(NEXT) | instid1(VALU_DEP_2)
	v_sub_f32_e32 v27, v30, v29
	v_add_f32_e32 v23, v23, v26
	v_add_f32_e32 v26, v31, v28
	s_delay_alu instid0(VALU_DEP_2) | instskip(NEXT) | instid1(VALU_DEP_2)
	v_add_f32_e32 v23, v27, v23
	v_sub_f32_e32 v27, v26, v31
	s_delay_alu instid0(VALU_DEP_2) | instskip(NEXT) | instid1(VALU_DEP_2)
	v_add_f32_e32 v23, v32, v23
	v_sub_f32_e32 v27, v28, v27
	s_delay_alu instid0(VALU_DEP_2) | instskip(NEXT) | instid1(VALU_DEP_1)
	v_mul_f32_e32 v23, v25, v23
	v_add_f32_e32 v23, v27, v23
	s_delay_alu instid0(VALU_DEP_1) | instskip(NEXT) | instid1(VALU_DEP_1)
	v_add_f32_e32 v25, v26, v23
	v_mul_f32_e32 v27, v25, v25
	s_delay_alu instid0(VALU_DEP_1) | instskip(SKIP_2) | instid1(VALU_DEP_3)
	v_fmaak_f32 v28, s1, v27, 0x3ecc95a3
	v_mul_f32_e32 v29, v25, v27
	v_cmp_eq_f32_e64 s1, 0x7f800000, v24
	v_fmaak_f32 v27, v27, v28, 0x3f2aaada
	v_ldexp_f32 v28, v25, 1
	v_sub_f32_e32 v25, v25, v26
	s_delay_alu instid0(VALU_DEP_4) | instskip(NEXT) | instid1(VALU_DEP_3)
	s_or_b32 s1, s1, s13
	v_mul_f32_e32 v27, v29, v27
	v_mul_f32_e32 v29, 0x3f317218, v22
	s_delay_alu instid0(VALU_DEP_2) | instskip(NEXT) | instid1(VALU_DEP_1)
	v_dual_sub_f32 v23, v23, v25 :: v_dual_add_f32 v26, v28, v27
	v_ldexp_f32 v23, v23, 1
	s_delay_alu instid0(VALU_DEP_2) | instskip(NEXT) | instid1(VALU_DEP_4)
	v_sub_f32_e32 v25, v26, v28
	v_fma_f32 v28, 0x3f317218, v22, -v29
	s_delay_alu instid0(VALU_DEP_1) | instskip(NEXT) | instid1(VALU_DEP_1)
	v_dual_sub_f32 v25, v27, v25 :: v_dual_fmamk_f32 v22, v22, 0xb102e308, v28
	v_add_f32_e32 v23, v23, v25
	s_delay_alu instid0(VALU_DEP_2) | instskip(NEXT) | instid1(VALU_DEP_2)
	v_add_f32_e32 v25, v29, v22
	v_add_f32_e32 v27, v26, v23
	s_delay_alu instid0(VALU_DEP_2) | instskip(NEXT) | instid1(VALU_DEP_2)
	v_sub_f32_e32 v29, v25, v29
	v_add_f32_e32 v28, v25, v27
	v_sub_f32_e32 v26, v27, v26
	s_delay_alu instid0(VALU_DEP_3) | instskip(NEXT) | instid1(VALU_DEP_2)
	v_sub_f32_e32 v22, v22, v29
	v_dual_sub_f32 v30, v28, v25 :: v_dual_sub_f32 v23, v23, v26
	s_delay_alu instid0(VALU_DEP_1) | instskip(NEXT) | instid1(VALU_DEP_2)
	v_sub_f32_e32 v31, v28, v30
	v_dual_sub_f32 v26, v27, v30 :: v_dual_add_f32 v27, v22, v23
	s_delay_alu instid0(VALU_DEP_2) | instskip(NEXT) | instid1(VALU_DEP_1)
	v_sub_f32_e32 v25, v25, v31
	v_dual_add_f32 v25, v26, v25 :: v_dual_sub_f32 v26, v27, v22
	s_delay_alu instid0(VALU_DEP_1) | instskip(NEXT) | instid1(VALU_DEP_2)
	v_add_f32_e32 v25, v27, v25
	v_sub_f32_e32 v27, v27, v26
	v_sub_f32_e32 v23, v23, v26
	s_delay_alu instid0(VALU_DEP_2) | instskip(NEXT) | instid1(VALU_DEP_1)
	v_dual_add_f32 v29, v28, v25 :: v_dual_sub_f32 v22, v22, v27
	v_sub_f32_e32 v26, v29, v28
	s_delay_alu instid0(VALU_DEP_2) | instskip(NEXT) | instid1(VALU_DEP_2)
	v_add_f32_e32 v22, v23, v22
	v_sub_f32_e32 v23, v25, v26
	s_delay_alu instid0(VALU_DEP_1) | instskip(NEXT) | instid1(VALU_DEP_1)
	v_add_f32_e32 v22, v22, v23
	v_add_f32_e32 v22, v29, v22
	s_delay_alu instid0(VALU_DEP_1) | instskip(NEXT) | instid1(VALU_DEP_1)
	v_cndmask_b32_e64 v22, v22, v24, s1
	v_add_f32_e32 v23, v6, v22
.LBB173_21:
	s_or_b32 exec_lo, exec_lo, s12
	ds_load_b32 v6, v20 offset:16
	v_max_f32_e32 v22, v23, v23
	v_cmp_u_f32_e64 s1, v23, v23
	s_waitcnt lgkmcnt(0)
	v_max_f32_e32 v24, v6, v6
	s_delay_alu instid0(VALU_DEP_1) | instskip(SKIP_1) | instid1(VALU_DEP_2)
	v_min_f32_e32 v25, v22, v24
	v_max_f32_e32 v22, v22, v24
	v_cndmask_b32_e64 v24, v25, v23, s1
	s_delay_alu instid0(VALU_DEP_2) | instskip(SKIP_1) | instid1(VALU_DEP_1)
	v_cndmask_b32_e64 v25, v22, v23, s1
	v_cmp_u_f32_e64 s1, v6, v6
	v_cndmask_b32_e64 v22, v24, v6, s1
	s_delay_alu instid0(VALU_DEP_3) | instskip(NEXT) | instid1(VALU_DEP_2)
	v_cndmask_b32_e64 v6, v25, v6, s1
	v_cmp_class_f32_e64 s12, v22, 0x1f8
	s_delay_alu instid0(VALU_DEP_2) | instskip(NEXT) | instid1(VALU_DEP_1)
	v_cmp_neq_f32_e64 s1, v22, v6
	s_or_b32 s1, s1, s12
	s_delay_alu instid0(SALU_CYCLE_1)
	s_and_saveexec_b32 s12, s1
	s_cbranch_execz .LBB173_23
; %bb.22:
	v_sub_f32_e32 v22, v22, v6
	s_delay_alu instid0(VALU_DEP_1) | instskip(NEXT) | instid1(VALU_DEP_1)
	v_mul_f32_e32 v23, 0x3fb8aa3b, v22
	v_fma_f32 v24, 0x3fb8aa3b, v22, -v23
	v_rndne_f32_e32 v25, v23
	s_delay_alu instid0(VALU_DEP_1) | instskip(SKIP_1) | instid1(VALU_DEP_2)
	v_dual_sub_f32 v23, v23, v25 :: v_dual_fmamk_f32 v24, v22, 0x32a5705f, v24
	v_cmp_ngt_f32_e64 s1, 0xc2ce8ed0, v22
	v_add_f32_e32 v23, v23, v24
	v_cvt_i32_f32_e32 v24, v25
	s_delay_alu instid0(VALU_DEP_2) | instskip(SKIP_2) | instid1(VALU_DEP_1)
	v_exp_f32_e32 v23, v23
	s_waitcnt_depctr 0xfff
	v_ldexp_f32 v23, v23, v24
	v_cndmask_b32_e64 v23, 0, v23, s1
	v_cmp_nlt_f32_e64 s1, 0x42b17218, v22
	s_delay_alu instid0(VALU_DEP_1) | instskip(NEXT) | instid1(VALU_DEP_1)
	v_cndmask_b32_e64 v24, 0x7f800000, v23, s1
	v_add_f32_e32 v25, 1.0, v24
	v_cmp_gt_f32_e64 s13, 0x33800000, |v24|
	s_delay_alu instid0(VALU_DEP_2) | instskip(NEXT) | instid1(VALU_DEP_1)
	v_cvt_f64_f32_e32 v[22:23], v25
	v_frexp_exp_i32_f64_e32 v22, v[22:23]
	v_frexp_mant_f32_e32 v23, v25
	s_delay_alu instid0(VALU_DEP_1) | instskip(SKIP_1) | instid1(VALU_DEP_1)
	v_cmp_gt_f32_e64 s1, 0x3f2aaaab, v23
	v_add_f32_e32 v23, -1.0, v25
	v_sub_f32_e32 v27, v23, v25
	v_sub_f32_e32 v23, v24, v23
	s_delay_alu instid0(VALU_DEP_4) | instskip(SKIP_1) | instid1(VALU_DEP_1)
	v_subrev_co_ci_u32_e64 v22, s1, 0, v22, s1
	s_mov_b32 s1, 0x3e9b6dac
	v_sub_nc_u32_e32 v26, 0, v22
	v_cvt_f32_i32_e32 v22, v22
	s_delay_alu instid0(VALU_DEP_2) | instskip(NEXT) | instid1(VALU_DEP_1)
	v_ldexp_f32 v25, v25, v26
	v_dual_add_f32 v28, 1.0, v25 :: v_dual_add_f32 v27, 1.0, v27
	s_delay_alu instid0(VALU_DEP_1) | instskip(NEXT) | instid1(VALU_DEP_2)
	v_add_f32_e32 v23, v23, v27
	v_add_f32_e32 v27, -1.0, v28
	s_delay_alu instid0(VALU_DEP_2) | instskip(NEXT) | instid1(VALU_DEP_2)
	v_ldexp_f32 v23, v23, v26
	v_dual_add_f32 v26, -1.0, v25 :: v_dual_sub_f32 v27, v25, v27
	s_delay_alu instid0(VALU_DEP_1) | instskip(NEXT) | instid1(VALU_DEP_2)
	v_add_f32_e32 v29, 1.0, v26
	v_add_f32_e32 v27, v23, v27
	s_delay_alu instid0(VALU_DEP_2) | instskip(NEXT) | instid1(VALU_DEP_2)
	v_sub_f32_e32 v25, v25, v29
	v_add_f32_e32 v29, v28, v27
	s_delay_alu instid0(VALU_DEP_2) | instskip(NEXT) | instid1(VALU_DEP_2)
	v_add_f32_e32 v23, v23, v25
	v_rcp_f32_e32 v25, v29
	v_sub_f32_e32 v28, v28, v29
	s_delay_alu instid0(VALU_DEP_1) | instskip(NEXT) | instid1(VALU_DEP_1)
	v_dual_add_f32 v30, v26, v23 :: v_dual_add_f32 v27, v27, v28
	v_sub_f32_e32 v26, v26, v30
	s_waitcnt_depctr 0xfff
	v_mul_f32_e32 v31, v30, v25
	s_delay_alu instid0(VALU_DEP_1) | instskip(NEXT) | instid1(VALU_DEP_1)
	v_dual_add_f32 v23, v23, v26 :: v_dual_mul_f32 v32, v29, v31
	v_fma_f32 v28, v31, v29, -v32
	s_delay_alu instid0(VALU_DEP_1) | instskip(NEXT) | instid1(VALU_DEP_1)
	v_fmac_f32_e32 v28, v31, v27
	v_add_f32_e32 v33, v32, v28
	s_delay_alu instid0(VALU_DEP_1) | instskip(SKIP_1) | instid1(VALU_DEP_2)
	v_sub_f32_e32 v34, v30, v33
	v_sub_f32_e32 v26, v33, v32
	;; [unrolled: 1-line block ×3, first 2 shown]
	s_delay_alu instid0(VALU_DEP_2) | instskip(NEXT) | instid1(VALU_DEP_2)
	v_sub_f32_e32 v26, v26, v28
	v_sub_f32_e32 v30, v30, v33
	s_delay_alu instid0(VALU_DEP_1) | instskip(NEXT) | instid1(VALU_DEP_1)
	v_add_f32_e32 v23, v23, v30
	v_add_f32_e32 v23, v26, v23
	s_delay_alu instid0(VALU_DEP_1) | instskip(NEXT) | instid1(VALU_DEP_1)
	v_add_f32_e32 v26, v34, v23
	v_mul_f32_e32 v28, v25, v26
	s_delay_alu instid0(VALU_DEP_1) | instskip(NEXT) | instid1(VALU_DEP_1)
	v_dual_sub_f32 v33, v34, v26 :: v_dual_mul_f32 v30, v29, v28
	v_add_f32_e32 v23, v23, v33
	s_delay_alu instid0(VALU_DEP_2) | instskip(NEXT) | instid1(VALU_DEP_1)
	v_fma_f32 v29, v28, v29, -v30
	v_fmac_f32_e32 v29, v28, v27
	s_delay_alu instid0(VALU_DEP_1) | instskip(NEXT) | instid1(VALU_DEP_1)
	v_add_f32_e32 v27, v30, v29
	v_sub_f32_e32 v32, v26, v27
	v_sub_f32_e32 v30, v27, v30
	s_delay_alu instid0(VALU_DEP_2) | instskip(NEXT) | instid1(VALU_DEP_1)
	v_sub_f32_e32 v26, v26, v32
	v_sub_f32_e32 v26, v26, v27
	s_delay_alu instid0(VALU_DEP_3) | instskip(NEXT) | instid1(VALU_DEP_2)
	v_sub_f32_e32 v27, v30, v29
	v_add_f32_e32 v23, v23, v26
	v_add_f32_e32 v26, v31, v28
	s_delay_alu instid0(VALU_DEP_2) | instskip(NEXT) | instid1(VALU_DEP_2)
	v_add_f32_e32 v23, v27, v23
	v_sub_f32_e32 v27, v26, v31
	s_delay_alu instid0(VALU_DEP_2) | instskip(NEXT) | instid1(VALU_DEP_2)
	v_add_f32_e32 v23, v32, v23
	v_sub_f32_e32 v27, v28, v27
	s_delay_alu instid0(VALU_DEP_2) | instskip(NEXT) | instid1(VALU_DEP_1)
	v_mul_f32_e32 v23, v25, v23
	v_add_f32_e32 v23, v27, v23
	s_delay_alu instid0(VALU_DEP_1) | instskip(NEXT) | instid1(VALU_DEP_1)
	v_add_f32_e32 v25, v26, v23
	v_mul_f32_e32 v27, v25, v25
	s_delay_alu instid0(VALU_DEP_1) | instskip(SKIP_2) | instid1(VALU_DEP_3)
	v_fmaak_f32 v28, s1, v27, 0x3ecc95a3
	v_mul_f32_e32 v29, v25, v27
	v_cmp_eq_f32_e64 s1, 0x7f800000, v24
	v_fmaak_f32 v27, v27, v28, 0x3f2aaada
	v_ldexp_f32 v28, v25, 1
	v_sub_f32_e32 v25, v25, v26
	s_delay_alu instid0(VALU_DEP_4) | instskip(NEXT) | instid1(VALU_DEP_3)
	s_or_b32 s1, s1, s13
	v_mul_f32_e32 v27, v29, v27
	v_mul_f32_e32 v29, 0x3f317218, v22
	s_delay_alu instid0(VALU_DEP_2) | instskip(NEXT) | instid1(VALU_DEP_1)
	v_dual_sub_f32 v23, v23, v25 :: v_dual_add_f32 v26, v28, v27
	v_ldexp_f32 v23, v23, 1
	s_delay_alu instid0(VALU_DEP_2) | instskip(NEXT) | instid1(VALU_DEP_4)
	v_sub_f32_e32 v25, v26, v28
	v_fma_f32 v28, 0x3f317218, v22, -v29
	s_delay_alu instid0(VALU_DEP_1) | instskip(NEXT) | instid1(VALU_DEP_1)
	v_dual_sub_f32 v25, v27, v25 :: v_dual_fmamk_f32 v22, v22, 0xb102e308, v28
	v_add_f32_e32 v23, v23, v25
	s_delay_alu instid0(VALU_DEP_2) | instskip(NEXT) | instid1(VALU_DEP_2)
	v_add_f32_e32 v25, v29, v22
	v_add_f32_e32 v27, v26, v23
	s_delay_alu instid0(VALU_DEP_2) | instskip(NEXT) | instid1(VALU_DEP_2)
	v_sub_f32_e32 v29, v25, v29
	v_add_f32_e32 v28, v25, v27
	v_sub_f32_e32 v26, v27, v26
	s_delay_alu instid0(VALU_DEP_3) | instskip(NEXT) | instid1(VALU_DEP_2)
	v_sub_f32_e32 v22, v22, v29
	v_dual_sub_f32 v30, v28, v25 :: v_dual_sub_f32 v23, v23, v26
	s_delay_alu instid0(VALU_DEP_1) | instskip(NEXT) | instid1(VALU_DEP_2)
	v_sub_f32_e32 v31, v28, v30
	v_dual_sub_f32 v26, v27, v30 :: v_dual_add_f32 v27, v22, v23
	s_delay_alu instid0(VALU_DEP_2) | instskip(NEXT) | instid1(VALU_DEP_1)
	v_sub_f32_e32 v25, v25, v31
	v_dual_add_f32 v25, v26, v25 :: v_dual_sub_f32 v26, v27, v22
	s_delay_alu instid0(VALU_DEP_1) | instskip(NEXT) | instid1(VALU_DEP_2)
	v_add_f32_e32 v25, v27, v25
	v_sub_f32_e32 v27, v27, v26
	v_sub_f32_e32 v23, v23, v26
	s_delay_alu instid0(VALU_DEP_2) | instskip(NEXT) | instid1(VALU_DEP_1)
	v_dual_add_f32 v29, v28, v25 :: v_dual_sub_f32 v22, v22, v27
	v_sub_f32_e32 v26, v29, v28
	s_delay_alu instid0(VALU_DEP_2) | instskip(NEXT) | instid1(VALU_DEP_2)
	v_add_f32_e32 v22, v23, v22
	v_sub_f32_e32 v23, v25, v26
	s_delay_alu instid0(VALU_DEP_1) | instskip(NEXT) | instid1(VALU_DEP_1)
	v_add_f32_e32 v22, v22, v23
	v_add_f32_e32 v22, v29, v22
	s_delay_alu instid0(VALU_DEP_1) | instskip(NEXT) | instid1(VALU_DEP_1)
	v_cndmask_b32_e64 v22, v22, v24, s1
	v_add_f32_e32 v23, v6, v22
.LBB173_23:
	s_or_b32 exec_lo, exec_lo, s12
	ds_load_b32 v6, v20 offset:20
	v_max_f32_e32 v22, v23, v23
	v_cmp_u_f32_e64 s1, v23, v23
	s_waitcnt lgkmcnt(0)
	v_max_f32_e32 v24, v6, v6
	s_delay_alu instid0(VALU_DEP_1) | instskip(SKIP_1) | instid1(VALU_DEP_2)
	v_min_f32_e32 v25, v22, v24
	v_max_f32_e32 v22, v22, v24
	v_cndmask_b32_e64 v24, v25, v23, s1
	s_delay_alu instid0(VALU_DEP_2) | instskip(SKIP_1) | instid1(VALU_DEP_1)
	v_cndmask_b32_e64 v25, v22, v23, s1
	v_cmp_u_f32_e64 s1, v6, v6
	v_cndmask_b32_e64 v22, v24, v6, s1
	s_delay_alu instid0(VALU_DEP_3) | instskip(NEXT) | instid1(VALU_DEP_2)
	v_cndmask_b32_e64 v6, v25, v6, s1
	v_cmp_class_f32_e64 s12, v22, 0x1f8
	s_delay_alu instid0(VALU_DEP_2) | instskip(NEXT) | instid1(VALU_DEP_1)
	v_cmp_neq_f32_e64 s1, v22, v6
	s_or_b32 s1, s1, s12
	s_delay_alu instid0(SALU_CYCLE_1)
	s_and_saveexec_b32 s12, s1
	s_cbranch_execz .LBB173_25
; %bb.24:
	v_sub_f32_e32 v22, v22, v6
	s_delay_alu instid0(VALU_DEP_1) | instskip(NEXT) | instid1(VALU_DEP_1)
	v_mul_f32_e32 v23, 0x3fb8aa3b, v22
	v_fma_f32 v24, 0x3fb8aa3b, v22, -v23
	v_rndne_f32_e32 v25, v23
	s_delay_alu instid0(VALU_DEP_1) | instskip(SKIP_1) | instid1(VALU_DEP_2)
	v_dual_sub_f32 v23, v23, v25 :: v_dual_fmamk_f32 v24, v22, 0x32a5705f, v24
	v_cmp_ngt_f32_e64 s1, 0xc2ce8ed0, v22
	v_add_f32_e32 v23, v23, v24
	v_cvt_i32_f32_e32 v24, v25
	s_delay_alu instid0(VALU_DEP_2) | instskip(SKIP_2) | instid1(VALU_DEP_1)
	v_exp_f32_e32 v23, v23
	s_waitcnt_depctr 0xfff
	v_ldexp_f32 v23, v23, v24
	v_cndmask_b32_e64 v23, 0, v23, s1
	v_cmp_nlt_f32_e64 s1, 0x42b17218, v22
	s_delay_alu instid0(VALU_DEP_1) | instskip(NEXT) | instid1(VALU_DEP_1)
	v_cndmask_b32_e64 v24, 0x7f800000, v23, s1
	v_add_f32_e32 v25, 1.0, v24
	v_cmp_gt_f32_e64 s13, 0x33800000, |v24|
	s_delay_alu instid0(VALU_DEP_2) | instskip(NEXT) | instid1(VALU_DEP_1)
	v_cvt_f64_f32_e32 v[22:23], v25
	v_frexp_exp_i32_f64_e32 v22, v[22:23]
	v_frexp_mant_f32_e32 v23, v25
	s_delay_alu instid0(VALU_DEP_1) | instskip(SKIP_1) | instid1(VALU_DEP_1)
	v_cmp_gt_f32_e64 s1, 0x3f2aaaab, v23
	v_add_f32_e32 v23, -1.0, v25
	v_sub_f32_e32 v27, v23, v25
	v_sub_f32_e32 v23, v24, v23
	s_delay_alu instid0(VALU_DEP_4) | instskip(SKIP_1) | instid1(VALU_DEP_1)
	v_subrev_co_ci_u32_e64 v22, s1, 0, v22, s1
	s_mov_b32 s1, 0x3e9b6dac
	v_sub_nc_u32_e32 v26, 0, v22
	v_cvt_f32_i32_e32 v22, v22
	s_delay_alu instid0(VALU_DEP_2) | instskip(NEXT) | instid1(VALU_DEP_1)
	v_ldexp_f32 v25, v25, v26
	v_dual_add_f32 v28, 1.0, v25 :: v_dual_add_f32 v27, 1.0, v27
	s_delay_alu instid0(VALU_DEP_1) | instskip(NEXT) | instid1(VALU_DEP_2)
	v_add_f32_e32 v23, v23, v27
	v_add_f32_e32 v27, -1.0, v28
	s_delay_alu instid0(VALU_DEP_2) | instskip(NEXT) | instid1(VALU_DEP_2)
	v_ldexp_f32 v23, v23, v26
	v_dual_add_f32 v26, -1.0, v25 :: v_dual_sub_f32 v27, v25, v27
	s_delay_alu instid0(VALU_DEP_1) | instskip(NEXT) | instid1(VALU_DEP_2)
	v_add_f32_e32 v29, 1.0, v26
	v_add_f32_e32 v27, v23, v27
	s_delay_alu instid0(VALU_DEP_2) | instskip(NEXT) | instid1(VALU_DEP_2)
	v_sub_f32_e32 v25, v25, v29
	v_add_f32_e32 v29, v28, v27
	s_delay_alu instid0(VALU_DEP_2) | instskip(NEXT) | instid1(VALU_DEP_2)
	v_add_f32_e32 v23, v23, v25
	v_rcp_f32_e32 v25, v29
	v_sub_f32_e32 v28, v28, v29
	s_delay_alu instid0(VALU_DEP_1) | instskip(NEXT) | instid1(VALU_DEP_1)
	v_dual_add_f32 v30, v26, v23 :: v_dual_add_f32 v27, v27, v28
	v_sub_f32_e32 v26, v26, v30
	s_waitcnt_depctr 0xfff
	v_mul_f32_e32 v31, v30, v25
	s_delay_alu instid0(VALU_DEP_1) | instskip(NEXT) | instid1(VALU_DEP_1)
	v_dual_add_f32 v23, v23, v26 :: v_dual_mul_f32 v32, v29, v31
	v_fma_f32 v28, v31, v29, -v32
	s_delay_alu instid0(VALU_DEP_1) | instskip(NEXT) | instid1(VALU_DEP_1)
	v_fmac_f32_e32 v28, v31, v27
	v_add_f32_e32 v33, v32, v28
	s_delay_alu instid0(VALU_DEP_1) | instskip(SKIP_1) | instid1(VALU_DEP_2)
	v_sub_f32_e32 v34, v30, v33
	v_sub_f32_e32 v26, v33, v32
	;; [unrolled: 1-line block ×3, first 2 shown]
	s_delay_alu instid0(VALU_DEP_2) | instskip(NEXT) | instid1(VALU_DEP_2)
	v_sub_f32_e32 v26, v26, v28
	v_sub_f32_e32 v30, v30, v33
	s_delay_alu instid0(VALU_DEP_1) | instskip(NEXT) | instid1(VALU_DEP_1)
	v_add_f32_e32 v23, v23, v30
	v_add_f32_e32 v23, v26, v23
	s_delay_alu instid0(VALU_DEP_1) | instskip(NEXT) | instid1(VALU_DEP_1)
	v_add_f32_e32 v26, v34, v23
	v_mul_f32_e32 v28, v25, v26
	s_delay_alu instid0(VALU_DEP_1) | instskip(NEXT) | instid1(VALU_DEP_1)
	v_dual_sub_f32 v33, v34, v26 :: v_dual_mul_f32 v30, v29, v28
	v_add_f32_e32 v23, v23, v33
	s_delay_alu instid0(VALU_DEP_2) | instskip(NEXT) | instid1(VALU_DEP_1)
	v_fma_f32 v29, v28, v29, -v30
	v_fmac_f32_e32 v29, v28, v27
	s_delay_alu instid0(VALU_DEP_1) | instskip(NEXT) | instid1(VALU_DEP_1)
	v_add_f32_e32 v27, v30, v29
	v_sub_f32_e32 v32, v26, v27
	v_sub_f32_e32 v30, v27, v30
	s_delay_alu instid0(VALU_DEP_2) | instskip(NEXT) | instid1(VALU_DEP_1)
	v_sub_f32_e32 v26, v26, v32
	v_sub_f32_e32 v26, v26, v27
	s_delay_alu instid0(VALU_DEP_3) | instskip(NEXT) | instid1(VALU_DEP_2)
	v_sub_f32_e32 v27, v30, v29
	v_add_f32_e32 v23, v23, v26
	v_add_f32_e32 v26, v31, v28
	s_delay_alu instid0(VALU_DEP_2) | instskip(NEXT) | instid1(VALU_DEP_2)
	v_add_f32_e32 v23, v27, v23
	v_sub_f32_e32 v27, v26, v31
	s_delay_alu instid0(VALU_DEP_2) | instskip(NEXT) | instid1(VALU_DEP_2)
	v_add_f32_e32 v23, v32, v23
	v_sub_f32_e32 v27, v28, v27
	s_delay_alu instid0(VALU_DEP_2) | instskip(NEXT) | instid1(VALU_DEP_1)
	v_mul_f32_e32 v23, v25, v23
	v_add_f32_e32 v23, v27, v23
	s_delay_alu instid0(VALU_DEP_1) | instskip(NEXT) | instid1(VALU_DEP_1)
	v_add_f32_e32 v25, v26, v23
	v_mul_f32_e32 v27, v25, v25
	s_delay_alu instid0(VALU_DEP_1) | instskip(SKIP_2) | instid1(VALU_DEP_3)
	v_fmaak_f32 v28, s1, v27, 0x3ecc95a3
	v_mul_f32_e32 v29, v25, v27
	v_cmp_eq_f32_e64 s1, 0x7f800000, v24
	v_fmaak_f32 v27, v27, v28, 0x3f2aaada
	v_ldexp_f32 v28, v25, 1
	v_sub_f32_e32 v25, v25, v26
	s_delay_alu instid0(VALU_DEP_4) | instskip(NEXT) | instid1(VALU_DEP_3)
	s_or_b32 s1, s1, s13
	v_mul_f32_e32 v27, v29, v27
	v_mul_f32_e32 v29, 0x3f317218, v22
	s_delay_alu instid0(VALU_DEP_2) | instskip(NEXT) | instid1(VALU_DEP_1)
	v_dual_sub_f32 v23, v23, v25 :: v_dual_add_f32 v26, v28, v27
	v_ldexp_f32 v23, v23, 1
	s_delay_alu instid0(VALU_DEP_2) | instskip(NEXT) | instid1(VALU_DEP_4)
	v_sub_f32_e32 v25, v26, v28
	v_fma_f32 v28, 0x3f317218, v22, -v29
	s_delay_alu instid0(VALU_DEP_1) | instskip(NEXT) | instid1(VALU_DEP_1)
	v_dual_sub_f32 v25, v27, v25 :: v_dual_fmamk_f32 v22, v22, 0xb102e308, v28
	v_add_f32_e32 v23, v23, v25
	s_delay_alu instid0(VALU_DEP_2) | instskip(NEXT) | instid1(VALU_DEP_2)
	v_add_f32_e32 v25, v29, v22
	v_add_f32_e32 v27, v26, v23
	s_delay_alu instid0(VALU_DEP_2) | instskip(NEXT) | instid1(VALU_DEP_2)
	v_sub_f32_e32 v29, v25, v29
	v_add_f32_e32 v28, v25, v27
	v_sub_f32_e32 v26, v27, v26
	s_delay_alu instid0(VALU_DEP_3) | instskip(NEXT) | instid1(VALU_DEP_2)
	v_sub_f32_e32 v22, v22, v29
	v_dual_sub_f32 v30, v28, v25 :: v_dual_sub_f32 v23, v23, v26
	s_delay_alu instid0(VALU_DEP_1) | instskip(NEXT) | instid1(VALU_DEP_2)
	v_sub_f32_e32 v31, v28, v30
	v_dual_sub_f32 v26, v27, v30 :: v_dual_add_f32 v27, v22, v23
	s_delay_alu instid0(VALU_DEP_2) | instskip(NEXT) | instid1(VALU_DEP_1)
	v_sub_f32_e32 v25, v25, v31
	v_dual_add_f32 v25, v26, v25 :: v_dual_sub_f32 v26, v27, v22
	s_delay_alu instid0(VALU_DEP_1) | instskip(NEXT) | instid1(VALU_DEP_2)
	v_add_f32_e32 v25, v27, v25
	v_sub_f32_e32 v27, v27, v26
	v_sub_f32_e32 v23, v23, v26
	s_delay_alu instid0(VALU_DEP_2) | instskip(NEXT) | instid1(VALU_DEP_1)
	v_dual_add_f32 v29, v28, v25 :: v_dual_sub_f32 v22, v22, v27
	v_sub_f32_e32 v26, v29, v28
	s_delay_alu instid0(VALU_DEP_2) | instskip(NEXT) | instid1(VALU_DEP_2)
	v_add_f32_e32 v22, v23, v22
	v_sub_f32_e32 v23, v25, v26
	s_delay_alu instid0(VALU_DEP_1) | instskip(NEXT) | instid1(VALU_DEP_1)
	v_add_f32_e32 v22, v22, v23
	v_add_f32_e32 v22, v29, v22
	s_delay_alu instid0(VALU_DEP_1) | instskip(NEXT) | instid1(VALU_DEP_1)
	v_cndmask_b32_e64 v22, v22, v24, s1
	v_add_f32_e32 v23, v6, v22
.LBB173_25:
	s_or_b32 exec_lo, exec_lo, s12
	ds_load_b32 v6, v20 offset:24
	v_max_f32_e32 v22, v23, v23
	v_cmp_u_f32_e64 s1, v23, v23
	s_waitcnt lgkmcnt(0)
	v_max_f32_e32 v24, v6, v6
	s_delay_alu instid0(VALU_DEP_1) | instskip(SKIP_1) | instid1(VALU_DEP_2)
	v_min_f32_e32 v25, v22, v24
	v_max_f32_e32 v22, v22, v24
	v_cndmask_b32_e64 v24, v25, v23, s1
	s_delay_alu instid0(VALU_DEP_2) | instskip(SKIP_1) | instid1(VALU_DEP_1)
	v_cndmask_b32_e64 v25, v22, v23, s1
	v_cmp_u_f32_e64 s1, v6, v6
	v_cndmask_b32_e64 v22, v24, v6, s1
	s_delay_alu instid0(VALU_DEP_3) | instskip(NEXT) | instid1(VALU_DEP_2)
	v_cndmask_b32_e64 v6, v25, v6, s1
	v_cmp_class_f32_e64 s12, v22, 0x1f8
	s_delay_alu instid0(VALU_DEP_2) | instskip(NEXT) | instid1(VALU_DEP_1)
	v_cmp_neq_f32_e64 s1, v22, v6
	s_or_b32 s1, s1, s12
	s_delay_alu instid0(SALU_CYCLE_1)
	s_and_saveexec_b32 s12, s1
	s_cbranch_execz .LBB173_27
; %bb.26:
	v_sub_f32_e32 v22, v22, v6
	s_delay_alu instid0(VALU_DEP_1) | instskip(NEXT) | instid1(VALU_DEP_1)
	v_mul_f32_e32 v23, 0x3fb8aa3b, v22
	v_fma_f32 v24, 0x3fb8aa3b, v22, -v23
	v_rndne_f32_e32 v25, v23
	s_delay_alu instid0(VALU_DEP_1) | instskip(SKIP_1) | instid1(VALU_DEP_2)
	v_dual_sub_f32 v23, v23, v25 :: v_dual_fmamk_f32 v24, v22, 0x32a5705f, v24
	v_cmp_ngt_f32_e64 s1, 0xc2ce8ed0, v22
	v_add_f32_e32 v23, v23, v24
	v_cvt_i32_f32_e32 v24, v25
	s_delay_alu instid0(VALU_DEP_2) | instskip(SKIP_2) | instid1(VALU_DEP_1)
	v_exp_f32_e32 v23, v23
	s_waitcnt_depctr 0xfff
	v_ldexp_f32 v23, v23, v24
	v_cndmask_b32_e64 v23, 0, v23, s1
	v_cmp_nlt_f32_e64 s1, 0x42b17218, v22
	s_delay_alu instid0(VALU_DEP_1) | instskip(NEXT) | instid1(VALU_DEP_1)
	v_cndmask_b32_e64 v24, 0x7f800000, v23, s1
	v_add_f32_e32 v25, 1.0, v24
	v_cmp_gt_f32_e64 s13, 0x33800000, |v24|
	s_delay_alu instid0(VALU_DEP_2) | instskip(NEXT) | instid1(VALU_DEP_1)
	v_cvt_f64_f32_e32 v[22:23], v25
	v_frexp_exp_i32_f64_e32 v22, v[22:23]
	v_frexp_mant_f32_e32 v23, v25
	s_delay_alu instid0(VALU_DEP_1) | instskip(SKIP_1) | instid1(VALU_DEP_1)
	v_cmp_gt_f32_e64 s1, 0x3f2aaaab, v23
	v_add_f32_e32 v23, -1.0, v25
	v_sub_f32_e32 v27, v23, v25
	v_sub_f32_e32 v23, v24, v23
	s_delay_alu instid0(VALU_DEP_4) | instskip(SKIP_1) | instid1(VALU_DEP_1)
	v_subrev_co_ci_u32_e64 v22, s1, 0, v22, s1
	s_mov_b32 s1, 0x3e9b6dac
	v_sub_nc_u32_e32 v26, 0, v22
	v_cvt_f32_i32_e32 v22, v22
	s_delay_alu instid0(VALU_DEP_2) | instskip(NEXT) | instid1(VALU_DEP_1)
	v_ldexp_f32 v25, v25, v26
	v_dual_add_f32 v28, 1.0, v25 :: v_dual_add_f32 v27, 1.0, v27
	s_delay_alu instid0(VALU_DEP_1) | instskip(NEXT) | instid1(VALU_DEP_2)
	v_add_f32_e32 v23, v23, v27
	v_add_f32_e32 v27, -1.0, v28
	s_delay_alu instid0(VALU_DEP_2) | instskip(NEXT) | instid1(VALU_DEP_2)
	v_ldexp_f32 v23, v23, v26
	v_dual_add_f32 v26, -1.0, v25 :: v_dual_sub_f32 v27, v25, v27
	s_delay_alu instid0(VALU_DEP_1) | instskip(NEXT) | instid1(VALU_DEP_2)
	v_add_f32_e32 v29, 1.0, v26
	v_add_f32_e32 v27, v23, v27
	s_delay_alu instid0(VALU_DEP_2) | instskip(NEXT) | instid1(VALU_DEP_2)
	v_sub_f32_e32 v25, v25, v29
	v_add_f32_e32 v29, v28, v27
	s_delay_alu instid0(VALU_DEP_2) | instskip(NEXT) | instid1(VALU_DEP_2)
	v_add_f32_e32 v23, v23, v25
	v_rcp_f32_e32 v25, v29
	v_sub_f32_e32 v28, v28, v29
	s_delay_alu instid0(VALU_DEP_1) | instskip(NEXT) | instid1(VALU_DEP_1)
	v_dual_add_f32 v30, v26, v23 :: v_dual_add_f32 v27, v27, v28
	v_sub_f32_e32 v26, v26, v30
	s_waitcnt_depctr 0xfff
	v_mul_f32_e32 v31, v30, v25
	s_delay_alu instid0(VALU_DEP_1) | instskip(NEXT) | instid1(VALU_DEP_1)
	v_dual_add_f32 v23, v23, v26 :: v_dual_mul_f32 v32, v29, v31
	v_fma_f32 v28, v31, v29, -v32
	s_delay_alu instid0(VALU_DEP_1) | instskip(NEXT) | instid1(VALU_DEP_1)
	v_fmac_f32_e32 v28, v31, v27
	v_add_f32_e32 v33, v32, v28
	s_delay_alu instid0(VALU_DEP_1) | instskip(SKIP_1) | instid1(VALU_DEP_2)
	v_sub_f32_e32 v34, v30, v33
	v_sub_f32_e32 v26, v33, v32
	;; [unrolled: 1-line block ×3, first 2 shown]
	s_delay_alu instid0(VALU_DEP_2) | instskip(NEXT) | instid1(VALU_DEP_2)
	v_sub_f32_e32 v26, v26, v28
	v_sub_f32_e32 v30, v30, v33
	s_delay_alu instid0(VALU_DEP_1) | instskip(NEXT) | instid1(VALU_DEP_1)
	v_add_f32_e32 v23, v23, v30
	v_add_f32_e32 v23, v26, v23
	s_delay_alu instid0(VALU_DEP_1) | instskip(NEXT) | instid1(VALU_DEP_1)
	v_add_f32_e32 v26, v34, v23
	v_mul_f32_e32 v28, v25, v26
	s_delay_alu instid0(VALU_DEP_1) | instskip(NEXT) | instid1(VALU_DEP_1)
	v_dual_sub_f32 v33, v34, v26 :: v_dual_mul_f32 v30, v29, v28
	v_add_f32_e32 v23, v23, v33
	s_delay_alu instid0(VALU_DEP_2) | instskip(NEXT) | instid1(VALU_DEP_1)
	v_fma_f32 v29, v28, v29, -v30
	v_fmac_f32_e32 v29, v28, v27
	s_delay_alu instid0(VALU_DEP_1) | instskip(NEXT) | instid1(VALU_DEP_1)
	v_add_f32_e32 v27, v30, v29
	v_sub_f32_e32 v32, v26, v27
	v_sub_f32_e32 v30, v27, v30
	s_delay_alu instid0(VALU_DEP_2) | instskip(NEXT) | instid1(VALU_DEP_1)
	v_sub_f32_e32 v26, v26, v32
	v_sub_f32_e32 v26, v26, v27
	s_delay_alu instid0(VALU_DEP_3) | instskip(NEXT) | instid1(VALU_DEP_2)
	v_sub_f32_e32 v27, v30, v29
	v_add_f32_e32 v23, v23, v26
	v_add_f32_e32 v26, v31, v28
	s_delay_alu instid0(VALU_DEP_2) | instskip(NEXT) | instid1(VALU_DEP_2)
	v_add_f32_e32 v23, v27, v23
	v_sub_f32_e32 v27, v26, v31
	s_delay_alu instid0(VALU_DEP_2) | instskip(NEXT) | instid1(VALU_DEP_2)
	v_add_f32_e32 v23, v32, v23
	v_sub_f32_e32 v27, v28, v27
	s_delay_alu instid0(VALU_DEP_2) | instskip(NEXT) | instid1(VALU_DEP_1)
	v_mul_f32_e32 v23, v25, v23
	v_add_f32_e32 v23, v27, v23
	s_delay_alu instid0(VALU_DEP_1) | instskip(NEXT) | instid1(VALU_DEP_1)
	v_add_f32_e32 v25, v26, v23
	v_mul_f32_e32 v27, v25, v25
	s_delay_alu instid0(VALU_DEP_1) | instskip(SKIP_2) | instid1(VALU_DEP_3)
	v_fmaak_f32 v28, s1, v27, 0x3ecc95a3
	v_mul_f32_e32 v29, v25, v27
	v_cmp_eq_f32_e64 s1, 0x7f800000, v24
	v_fmaak_f32 v27, v27, v28, 0x3f2aaada
	v_ldexp_f32 v28, v25, 1
	v_sub_f32_e32 v25, v25, v26
	s_delay_alu instid0(VALU_DEP_4) | instskip(NEXT) | instid1(VALU_DEP_3)
	s_or_b32 s1, s1, s13
	v_mul_f32_e32 v27, v29, v27
	v_mul_f32_e32 v29, 0x3f317218, v22
	s_delay_alu instid0(VALU_DEP_2) | instskip(NEXT) | instid1(VALU_DEP_1)
	v_dual_sub_f32 v23, v23, v25 :: v_dual_add_f32 v26, v28, v27
	v_ldexp_f32 v23, v23, 1
	s_delay_alu instid0(VALU_DEP_2) | instskip(NEXT) | instid1(VALU_DEP_4)
	v_sub_f32_e32 v25, v26, v28
	v_fma_f32 v28, 0x3f317218, v22, -v29
	s_delay_alu instid0(VALU_DEP_1) | instskip(NEXT) | instid1(VALU_DEP_1)
	v_dual_sub_f32 v25, v27, v25 :: v_dual_fmamk_f32 v22, v22, 0xb102e308, v28
	v_add_f32_e32 v23, v23, v25
	s_delay_alu instid0(VALU_DEP_2) | instskip(NEXT) | instid1(VALU_DEP_2)
	v_add_f32_e32 v25, v29, v22
	v_add_f32_e32 v27, v26, v23
	s_delay_alu instid0(VALU_DEP_2) | instskip(NEXT) | instid1(VALU_DEP_2)
	v_sub_f32_e32 v29, v25, v29
	v_add_f32_e32 v28, v25, v27
	v_sub_f32_e32 v26, v27, v26
	s_delay_alu instid0(VALU_DEP_3) | instskip(NEXT) | instid1(VALU_DEP_2)
	v_sub_f32_e32 v22, v22, v29
	v_dual_sub_f32 v30, v28, v25 :: v_dual_sub_f32 v23, v23, v26
	s_delay_alu instid0(VALU_DEP_1) | instskip(NEXT) | instid1(VALU_DEP_2)
	v_sub_f32_e32 v31, v28, v30
	v_dual_sub_f32 v26, v27, v30 :: v_dual_add_f32 v27, v22, v23
	s_delay_alu instid0(VALU_DEP_2) | instskip(NEXT) | instid1(VALU_DEP_1)
	v_sub_f32_e32 v25, v25, v31
	v_dual_add_f32 v25, v26, v25 :: v_dual_sub_f32 v26, v27, v22
	s_delay_alu instid0(VALU_DEP_1) | instskip(NEXT) | instid1(VALU_DEP_2)
	v_add_f32_e32 v25, v27, v25
	v_sub_f32_e32 v27, v27, v26
	v_sub_f32_e32 v23, v23, v26
	s_delay_alu instid0(VALU_DEP_2) | instskip(NEXT) | instid1(VALU_DEP_1)
	v_dual_add_f32 v29, v28, v25 :: v_dual_sub_f32 v22, v22, v27
	v_sub_f32_e32 v26, v29, v28
	s_delay_alu instid0(VALU_DEP_2) | instskip(NEXT) | instid1(VALU_DEP_2)
	v_add_f32_e32 v22, v23, v22
	v_sub_f32_e32 v23, v25, v26
	s_delay_alu instid0(VALU_DEP_1) | instskip(NEXT) | instid1(VALU_DEP_1)
	v_add_f32_e32 v22, v22, v23
	v_add_f32_e32 v22, v29, v22
	s_delay_alu instid0(VALU_DEP_1) | instskip(NEXT) | instid1(VALU_DEP_1)
	v_cndmask_b32_e64 v22, v22, v24, s1
	v_add_f32_e32 v23, v6, v22
.LBB173_27:
	s_or_b32 exec_lo, exec_lo, s12
	ds_load_b32 v6, v20 offset:28
	v_max_f32_e32 v22, v23, v23
	v_cmp_u_f32_e64 s1, v23, v23
	s_waitcnt lgkmcnt(0)
	v_max_f32_e32 v24, v6, v6
	s_delay_alu instid0(VALU_DEP_1) | instskip(SKIP_1) | instid1(VALU_DEP_2)
	v_min_f32_e32 v25, v22, v24
	v_max_f32_e32 v22, v22, v24
	v_cndmask_b32_e64 v24, v25, v23, s1
	s_delay_alu instid0(VALU_DEP_2) | instskip(SKIP_1) | instid1(VALU_DEP_1)
	v_cndmask_b32_e64 v25, v22, v23, s1
	v_cmp_u_f32_e64 s1, v6, v6
	v_cndmask_b32_e64 v22, v24, v6, s1
	s_delay_alu instid0(VALU_DEP_3) | instskip(NEXT) | instid1(VALU_DEP_2)
	v_cndmask_b32_e64 v6, v25, v6, s1
	v_cmp_class_f32_e64 s12, v22, 0x1f8
	s_delay_alu instid0(VALU_DEP_2) | instskip(NEXT) | instid1(VALU_DEP_1)
	v_cmp_neq_f32_e64 s1, v22, v6
	s_or_b32 s1, s1, s12
	s_delay_alu instid0(SALU_CYCLE_1)
	s_and_saveexec_b32 s12, s1
	s_cbranch_execz .LBB173_29
; %bb.28:
	v_sub_f32_e32 v22, v22, v6
	s_delay_alu instid0(VALU_DEP_1) | instskip(NEXT) | instid1(VALU_DEP_1)
	v_mul_f32_e32 v23, 0x3fb8aa3b, v22
	v_fma_f32 v24, 0x3fb8aa3b, v22, -v23
	v_rndne_f32_e32 v25, v23
	s_delay_alu instid0(VALU_DEP_1) | instskip(SKIP_1) | instid1(VALU_DEP_2)
	v_dual_sub_f32 v23, v23, v25 :: v_dual_fmamk_f32 v24, v22, 0x32a5705f, v24
	v_cmp_ngt_f32_e64 s1, 0xc2ce8ed0, v22
	v_add_f32_e32 v23, v23, v24
	v_cvt_i32_f32_e32 v24, v25
	s_delay_alu instid0(VALU_DEP_2) | instskip(SKIP_2) | instid1(VALU_DEP_1)
	v_exp_f32_e32 v23, v23
	s_waitcnt_depctr 0xfff
	v_ldexp_f32 v23, v23, v24
	v_cndmask_b32_e64 v23, 0, v23, s1
	v_cmp_nlt_f32_e64 s1, 0x42b17218, v22
	s_delay_alu instid0(VALU_DEP_1) | instskip(NEXT) | instid1(VALU_DEP_1)
	v_cndmask_b32_e64 v24, 0x7f800000, v23, s1
	v_add_f32_e32 v25, 1.0, v24
	v_cmp_gt_f32_e64 s13, 0x33800000, |v24|
	s_delay_alu instid0(VALU_DEP_2) | instskip(NEXT) | instid1(VALU_DEP_1)
	v_cvt_f64_f32_e32 v[22:23], v25
	v_frexp_exp_i32_f64_e32 v22, v[22:23]
	v_frexp_mant_f32_e32 v23, v25
	s_delay_alu instid0(VALU_DEP_1) | instskip(SKIP_1) | instid1(VALU_DEP_1)
	v_cmp_gt_f32_e64 s1, 0x3f2aaaab, v23
	v_add_f32_e32 v23, -1.0, v25
	v_sub_f32_e32 v27, v23, v25
	v_sub_f32_e32 v23, v24, v23
	s_delay_alu instid0(VALU_DEP_4) | instskip(SKIP_1) | instid1(VALU_DEP_1)
	v_subrev_co_ci_u32_e64 v22, s1, 0, v22, s1
	s_mov_b32 s1, 0x3e9b6dac
	v_sub_nc_u32_e32 v26, 0, v22
	v_cvt_f32_i32_e32 v22, v22
	s_delay_alu instid0(VALU_DEP_2) | instskip(NEXT) | instid1(VALU_DEP_1)
	v_ldexp_f32 v25, v25, v26
	v_dual_add_f32 v28, 1.0, v25 :: v_dual_add_f32 v27, 1.0, v27
	s_delay_alu instid0(VALU_DEP_1) | instskip(NEXT) | instid1(VALU_DEP_2)
	v_add_f32_e32 v23, v23, v27
	v_add_f32_e32 v27, -1.0, v28
	s_delay_alu instid0(VALU_DEP_2) | instskip(NEXT) | instid1(VALU_DEP_2)
	v_ldexp_f32 v23, v23, v26
	v_dual_add_f32 v26, -1.0, v25 :: v_dual_sub_f32 v27, v25, v27
	s_delay_alu instid0(VALU_DEP_1) | instskip(NEXT) | instid1(VALU_DEP_2)
	v_add_f32_e32 v29, 1.0, v26
	v_add_f32_e32 v27, v23, v27
	s_delay_alu instid0(VALU_DEP_2) | instskip(NEXT) | instid1(VALU_DEP_2)
	v_sub_f32_e32 v25, v25, v29
	v_add_f32_e32 v29, v28, v27
	s_delay_alu instid0(VALU_DEP_2) | instskip(NEXT) | instid1(VALU_DEP_2)
	v_add_f32_e32 v23, v23, v25
	v_rcp_f32_e32 v25, v29
	v_sub_f32_e32 v28, v28, v29
	s_delay_alu instid0(VALU_DEP_1) | instskip(NEXT) | instid1(VALU_DEP_1)
	v_dual_add_f32 v30, v26, v23 :: v_dual_add_f32 v27, v27, v28
	v_sub_f32_e32 v26, v26, v30
	s_waitcnt_depctr 0xfff
	v_mul_f32_e32 v31, v30, v25
	s_delay_alu instid0(VALU_DEP_1) | instskip(NEXT) | instid1(VALU_DEP_1)
	v_dual_add_f32 v23, v23, v26 :: v_dual_mul_f32 v32, v29, v31
	v_fma_f32 v28, v31, v29, -v32
	s_delay_alu instid0(VALU_DEP_1) | instskip(NEXT) | instid1(VALU_DEP_1)
	v_fmac_f32_e32 v28, v31, v27
	v_add_f32_e32 v33, v32, v28
	s_delay_alu instid0(VALU_DEP_1) | instskip(SKIP_1) | instid1(VALU_DEP_2)
	v_sub_f32_e32 v34, v30, v33
	v_sub_f32_e32 v26, v33, v32
	;; [unrolled: 1-line block ×3, first 2 shown]
	s_delay_alu instid0(VALU_DEP_2) | instskip(NEXT) | instid1(VALU_DEP_2)
	v_sub_f32_e32 v26, v26, v28
	v_sub_f32_e32 v30, v30, v33
	s_delay_alu instid0(VALU_DEP_1) | instskip(NEXT) | instid1(VALU_DEP_1)
	v_add_f32_e32 v23, v23, v30
	v_add_f32_e32 v23, v26, v23
	s_delay_alu instid0(VALU_DEP_1) | instskip(NEXT) | instid1(VALU_DEP_1)
	v_add_f32_e32 v26, v34, v23
	v_mul_f32_e32 v28, v25, v26
	s_delay_alu instid0(VALU_DEP_1) | instskip(NEXT) | instid1(VALU_DEP_1)
	v_dual_sub_f32 v33, v34, v26 :: v_dual_mul_f32 v30, v29, v28
	v_add_f32_e32 v23, v23, v33
	s_delay_alu instid0(VALU_DEP_2) | instskip(NEXT) | instid1(VALU_DEP_1)
	v_fma_f32 v29, v28, v29, -v30
	v_fmac_f32_e32 v29, v28, v27
	s_delay_alu instid0(VALU_DEP_1) | instskip(NEXT) | instid1(VALU_DEP_1)
	v_add_f32_e32 v27, v30, v29
	v_sub_f32_e32 v32, v26, v27
	v_sub_f32_e32 v30, v27, v30
	s_delay_alu instid0(VALU_DEP_2) | instskip(NEXT) | instid1(VALU_DEP_1)
	v_sub_f32_e32 v26, v26, v32
	v_sub_f32_e32 v26, v26, v27
	s_delay_alu instid0(VALU_DEP_3) | instskip(NEXT) | instid1(VALU_DEP_2)
	v_sub_f32_e32 v27, v30, v29
	v_add_f32_e32 v23, v23, v26
	v_add_f32_e32 v26, v31, v28
	s_delay_alu instid0(VALU_DEP_2) | instskip(NEXT) | instid1(VALU_DEP_2)
	v_add_f32_e32 v23, v27, v23
	v_sub_f32_e32 v27, v26, v31
	s_delay_alu instid0(VALU_DEP_2) | instskip(NEXT) | instid1(VALU_DEP_2)
	v_add_f32_e32 v23, v32, v23
	v_sub_f32_e32 v27, v28, v27
	s_delay_alu instid0(VALU_DEP_2) | instskip(NEXT) | instid1(VALU_DEP_1)
	v_mul_f32_e32 v23, v25, v23
	v_add_f32_e32 v23, v27, v23
	s_delay_alu instid0(VALU_DEP_1) | instskip(NEXT) | instid1(VALU_DEP_1)
	v_add_f32_e32 v25, v26, v23
	v_mul_f32_e32 v27, v25, v25
	s_delay_alu instid0(VALU_DEP_1) | instskip(SKIP_2) | instid1(VALU_DEP_3)
	v_fmaak_f32 v28, s1, v27, 0x3ecc95a3
	v_mul_f32_e32 v29, v25, v27
	v_cmp_eq_f32_e64 s1, 0x7f800000, v24
	v_fmaak_f32 v27, v27, v28, 0x3f2aaada
	v_ldexp_f32 v28, v25, 1
	v_sub_f32_e32 v25, v25, v26
	s_delay_alu instid0(VALU_DEP_4) | instskip(NEXT) | instid1(VALU_DEP_3)
	s_or_b32 s1, s1, s13
	v_mul_f32_e32 v27, v29, v27
	v_mul_f32_e32 v29, 0x3f317218, v22
	s_delay_alu instid0(VALU_DEP_2) | instskip(NEXT) | instid1(VALU_DEP_1)
	v_dual_sub_f32 v23, v23, v25 :: v_dual_add_f32 v26, v28, v27
	v_ldexp_f32 v23, v23, 1
	s_delay_alu instid0(VALU_DEP_2) | instskip(NEXT) | instid1(VALU_DEP_4)
	v_sub_f32_e32 v25, v26, v28
	v_fma_f32 v28, 0x3f317218, v22, -v29
	s_delay_alu instid0(VALU_DEP_1) | instskip(NEXT) | instid1(VALU_DEP_1)
	v_dual_sub_f32 v25, v27, v25 :: v_dual_fmamk_f32 v22, v22, 0xb102e308, v28
	v_add_f32_e32 v23, v23, v25
	s_delay_alu instid0(VALU_DEP_2) | instskip(NEXT) | instid1(VALU_DEP_2)
	v_add_f32_e32 v25, v29, v22
	v_add_f32_e32 v27, v26, v23
	s_delay_alu instid0(VALU_DEP_2) | instskip(NEXT) | instid1(VALU_DEP_2)
	v_sub_f32_e32 v29, v25, v29
	v_add_f32_e32 v28, v25, v27
	v_sub_f32_e32 v26, v27, v26
	s_delay_alu instid0(VALU_DEP_3) | instskip(NEXT) | instid1(VALU_DEP_2)
	v_sub_f32_e32 v22, v22, v29
	v_dual_sub_f32 v30, v28, v25 :: v_dual_sub_f32 v23, v23, v26
	s_delay_alu instid0(VALU_DEP_1) | instskip(NEXT) | instid1(VALU_DEP_2)
	v_sub_f32_e32 v31, v28, v30
	v_dual_sub_f32 v26, v27, v30 :: v_dual_add_f32 v27, v22, v23
	s_delay_alu instid0(VALU_DEP_2) | instskip(NEXT) | instid1(VALU_DEP_1)
	v_sub_f32_e32 v25, v25, v31
	v_dual_add_f32 v25, v26, v25 :: v_dual_sub_f32 v26, v27, v22
	s_delay_alu instid0(VALU_DEP_1) | instskip(NEXT) | instid1(VALU_DEP_2)
	v_add_f32_e32 v25, v27, v25
	v_sub_f32_e32 v27, v27, v26
	v_sub_f32_e32 v23, v23, v26
	s_delay_alu instid0(VALU_DEP_2) | instskip(NEXT) | instid1(VALU_DEP_1)
	v_dual_add_f32 v29, v28, v25 :: v_dual_sub_f32 v22, v22, v27
	v_sub_f32_e32 v26, v29, v28
	s_delay_alu instid0(VALU_DEP_2) | instskip(NEXT) | instid1(VALU_DEP_2)
	v_add_f32_e32 v22, v23, v22
	v_sub_f32_e32 v23, v25, v26
	s_delay_alu instid0(VALU_DEP_1) | instskip(NEXT) | instid1(VALU_DEP_1)
	v_add_f32_e32 v22, v22, v23
	v_add_f32_e32 v22, v29, v22
	s_delay_alu instid0(VALU_DEP_1) | instskip(NEXT) | instid1(VALU_DEP_1)
	v_cndmask_b32_e64 v22, v22, v24, s1
	v_add_f32_e32 v23, v6, v22
.LBB173_29:
	s_or_b32 exec_lo, exec_lo, s12
	v_mbcnt_lo_u32_b32 v6, -1, 0
	s_delay_alu instid0(VALU_DEP_2) | instskip(SKIP_1) | instid1(VALU_DEP_2)
	v_mov_b32_dpp v24, v23 row_shr:1 row_mask:0xf bank_mask:0xf
	s_mov_b32 s12, exec_lo
	v_and_b32_e32 v22, 15, v6
	s_delay_alu instid0(VALU_DEP_1)
	v_cmpx_ne_u32_e32 0, v22
	s_xor_b32 s12, exec_lo, s12
	s_cbranch_execz .LBB173_33
; %bb.30:
	v_dual_max_f32 v25, v23, v23 :: v_dual_max_f32 v26, v24, v24
	v_cmp_u_f32_e64 s1, v24, v24
	s_delay_alu instid0(VALU_DEP_2) | instskip(SKIP_1) | instid1(VALU_DEP_2)
	v_min_f32_e32 v27, v26, v25
	v_max_f32_e32 v25, v26, v25
	v_cndmask_b32_e64 v26, v27, v24, s1
	s_delay_alu instid0(VALU_DEP_2) | instskip(SKIP_1) | instid1(VALU_DEP_1)
	v_cndmask_b32_e64 v27, v25, v24, s1
	v_cmp_u_f32_e64 s1, v23, v23
	v_cndmask_b32_e64 v25, v26, v23, s1
	s_delay_alu instid0(VALU_DEP_3) | instskip(NEXT) | instid1(VALU_DEP_2)
	v_cndmask_b32_e64 v23, v27, v23, s1
	v_cmp_class_f32_e64 s13, v25, 0x1f8
	s_delay_alu instid0(VALU_DEP_2) | instskip(NEXT) | instid1(VALU_DEP_1)
	v_cmp_neq_f32_e64 s1, v25, v23
	s_or_b32 s1, s1, s13
	s_delay_alu instid0(SALU_CYCLE_1)
	s_and_saveexec_b32 s13, s1
	s_cbranch_execz .LBB173_32
; %bb.31:
	v_sub_f32_e32 v24, v25, v23
	s_delay_alu instid0(VALU_DEP_1) | instskip(SKIP_1) | instid1(VALU_DEP_2)
	v_mul_f32_e32 v25, 0x3fb8aa3b, v24
	v_cmp_ngt_f32_e64 s1, 0xc2ce8ed0, v24
	v_fma_f32 v26, 0x3fb8aa3b, v24, -v25
	v_rndne_f32_e32 v27, v25
	s_delay_alu instid0(VALU_DEP_1) | instskip(NEXT) | instid1(VALU_DEP_1)
	v_dual_fmamk_f32 v26, v24, 0x32a5705f, v26 :: v_dual_sub_f32 v25, v25, v27
	v_add_f32_e32 v25, v25, v26
	v_cvt_i32_f32_e32 v26, v27
	s_delay_alu instid0(VALU_DEP_2) | instskip(SKIP_2) | instid1(VALU_DEP_1)
	v_exp_f32_e32 v25, v25
	s_waitcnt_depctr 0xfff
	v_ldexp_f32 v25, v25, v26
	v_cndmask_b32_e64 v25, 0, v25, s1
	v_cmp_nlt_f32_e64 s1, 0x42b17218, v24
	s_delay_alu instid0(VALU_DEP_1) | instskip(NEXT) | instid1(VALU_DEP_1)
	v_cndmask_b32_e64 v26, 0x7f800000, v25, s1
	v_add_f32_e32 v27, 1.0, v26
	v_cmp_gt_f32_e64 s14, 0x33800000, |v26|
	s_delay_alu instid0(VALU_DEP_2) | instskip(NEXT) | instid1(VALU_DEP_1)
	v_cvt_f64_f32_e32 v[24:25], v27
	v_frexp_exp_i32_f64_e32 v24, v[24:25]
	v_frexp_mant_f32_e32 v25, v27
	s_delay_alu instid0(VALU_DEP_1) | instskip(SKIP_1) | instid1(VALU_DEP_1)
	v_cmp_gt_f32_e64 s1, 0x3f2aaaab, v25
	v_add_f32_e32 v25, -1.0, v27
	v_sub_f32_e32 v29, v25, v27
	v_sub_f32_e32 v25, v26, v25
	s_delay_alu instid0(VALU_DEP_4) | instskip(SKIP_1) | instid1(VALU_DEP_1)
	v_subrev_co_ci_u32_e64 v24, s1, 0, v24, s1
	s_mov_b32 s1, 0x3e9b6dac
	v_sub_nc_u32_e32 v28, 0, v24
	v_cvt_f32_i32_e32 v24, v24
	s_delay_alu instid0(VALU_DEP_2) | instskip(NEXT) | instid1(VALU_DEP_1)
	v_ldexp_f32 v27, v27, v28
	v_dual_add_f32 v30, 1.0, v27 :: v_dual_add_f32 v29, 1.0, v29
	s_delay_alu instid0(VALU_DEP_1) | instskip(NEXT) | instid1(VALU_DEP_2)
	v_add_f32_e32 v25, v25, v29
	v_add_f32_e32 v29, -1.0, v30
	s_delay_alu instid0(VALU_DEP_2) | instskip(NEXT) | instid1(VALU_DEP_2)
	v_ldexp_f32 v25, v25, v28
	v_dual_add_f32 v28, -1.0, v27 :: v_dual_sub_f32 v29, v27, v29
	s_delay_alu instid0(VALU_DEP_1) | instskip(NEXT) | instid1(VALU_DEP_2)
	v_add_f32_e32 v31, 1.0, v28
	v_add_f32_e32 v29, v25, v29
	s_delay_alu instid0(VALU_DEP_2) | instskip(NEXT) | instid1(VALU_DEP_2)
	v_sub_f32_e32 v27, v27, v31
	v_add_f32_e32 v31, v30, v29
	s_delay_alu instid0(VALU_DEP_2) | instskip(NEXT) | instid1(VALU_DEP_2)
	v_add_f32_e32 v25, v25, v27
	v_rcp_f32_e32 v27, v31
	v_sub_f32_e32 v30, v30, v31
	s_delay_alu instid0(VALU_DEP_1) | instskip(NEXT) | instid1(VALU_DEP_1)
	v_dual_add_f32 v32, v28, v25 :: v_dual_add_f32 v29, v29, v30
	v_sub_f32_e32 v28, v28, v32
	s_waitcnt_depctr 0xfff
	v_mul_f32_e32 v33, v32, v27
	s_delay_alu instid0(VALU_DEP_1) | instskip(NEXT) | instid1(VALU_DEP_1)
	v_dual_add_f32 v25, v25, v28 :: v_dual_mul_f32 v34, v31, v33
	v_fma_f32 v30, v33, v31, -v34
	s_delay_alu instid0(VALU_DEP_1) | instskip(NEXT) | instid1(VALU_DEP_1)
	v_fmac_f32_e32 v30, v33, v29
	v_add_f32_e32 v35, v34, v30
	s_delay_alu instid0(VALU_DEP_1) | instskip(SKIP_1) | instid1(VALU_DEP_2)
	v_sub_f32_e32 v36, v32, v35
	v_sub_f32_e32 v28, v35, v34
	;; [unrolled: 1-line block ×3, first 2 shown]
	s_delay_alu instid0(VALU_DEP_2) | instskip(NEXT) | instid1(VALU_DEP_2)
	v_sub_f32_e32 v28, v28, v30
	v_sub_f32_e32 v32, v32, v35
	s_delay_alu instid0(VALU_DEP_1) | instskip(NEXT) | instid1(VALU_DEP_1)
	v_add_f32_e32 v25, v25, v32
	v_add_f32_e32 v25, v28, v25
	s_delay_alu instid0(VALU_DEP_1) | instskip(NEXT) | instid1(VALU_DEP_1)
	v_add_f32_e32 v28, v36, v25
	v_mul_f32_e32 v30, v27, v28
	s_delay_alu instid0(VALU_DEP_1) | instskip(NEXT) | instid1(VALU_DEP_1)
	v_dual_sub_f32 v35, v36, v28 :: v_dual_mul_f32 v32, v31, v30
	v_add_f32_e32 v25, v25, v35
	s_delay_alu instid0(VALU_DEP_2) | instskip(NEXT) | instid1(VALU_DEP_1)
	v_fma_f32 v31, v30, v31, -v32
	v_fmac_f32_e32 v31, v30, v29
	s_delay_alu instid0(VALU_DEP_1) | instskip(NEXT) | instid1(VALU_DEP_1)
	v_add_f32_e32 v29, v32, v31
	v_sub_f32_e32 v34, v28, v29
	v_sub_f32_e32 v32, v29, v32
	s_delay_alu instid0(VALU_DEP_2) | instskip(NEXT) | instid1(VALU_DEP_1)
	v_sub_f32_e32 v28, v28, v34
	v_sub_f32_e32 v28, v28, v29
	s_delay_alu instid0(VALU_DEP_3) | instskip(NEXT) | instid1(VALU_DEP_2)
	v_sub_f32_e32 v29, v32, v31
	v_add_f32_e32 v25, v25, v28
	v_add_f32_e32 v28, v33, v30
	s_delay_alu instid0(VALU_DEP_2) | instskip(NEXT) | instid1(VALU_DEP_2)
	v_add_f32_e32 v25, v29, v25
	v_sub_f32_e32 v29, v28, v33
	s_delay_alu instid0(VALU_DEP_2) | instskip(NEXT) | instid1(VALU_DEP_2)
	v_add_f32_e32 v25, v34, v25
	v_sub_f32_e32 v29, v30, v29
	s_delay_alu instid0(VALU_DEP_2) | instskip(NEXT) | instid1(VALU_DEP_1)
	v_mul_f32_e32 v25, v27, v25
	v_add_f32_e32 v25, v29, v25
	s_delay_alu instid0(VALU_DEP_1) | instskip(NEXT) | instid1(VALU_DEP_1)
	v_add_f32_e32 v27, v28, v25
	v_mul_f32_e32 v29, v27, v27
	s_delay_alu instid0(VALU_DEP_1) | instskip(SKIP_2) | instid1(VALU_DEP_3)
	v_fmaak_f32 v30, s1, v29, 0x3ecc95a3
	v_mul_f32_e32 v31, v27, v29
	v_cmp_eq_f32_e64 s1, 0x7f800000, v26
	v_fmaak_f32 v29, v29, v30, 0x3f2aaada
	v_ldexp_f32 v30, v27, 1
	v_sub_f32_e32 v27, v27, v28
	s_delay_alu instid0(VALU_DEP_4) | instskip(NEXT) | instid1(VALU_DEP_3)
	s_or_b32 s1, s1, s14
	v_mul_f32_e32 v29, v31, v29
	v_mul_f32_e32 v31, 0x3f317218, v24
	s_delay_alu instid0(VALU_DEP_2) | instskip(NEXT) | instid1(VALU_DEP_1)
	v_dual_sub_f32 v25, v25, v27 :: v_dual_add_f32 v28, v30, v29
	v_ldexp_f32 v25, v25, 1
	s_delay_alu instid0(VALU_DEP_2) | instskip(NEXT) | instid1(VALU_DEP_4)
	v_sub_f32_e32 v27, v28, v30
	v_fma_f32 v30, 0x3f317218, v24, -v31
	s_delay_alu instid0(VALU_DEP_1) | instskip(NEXT) | instid1(VALU_DEP_1)
	v_dual_sub_f32 v27, v29, v27 :: v_dual_fmamk_f32 v24, v24, 0xb102e308, v30
	v_add_f32_e32 v25, v25, v27
	s_delay_alu instid0(VALU_DEP_2) | instskip(NEXT) | instid1(VALU_DEP_2)
	v_add_f32_e32 v27, v31, v24
	v_add_f32_e32 v29, v28, v25
	s_delay_alu instid0(VALU_DEP_2) | instskip(NEXT) | instid1(VALU_DEP_2)
	v_sub_f32_e32 v31, v27, v31
	v_add_f32_e32 v30, v27, v29
	v_sub_f32_e32 v28, v29, v28
	s_delay_alu instid0(VALU_DEP_3) | instskip(NEXT) | instid1(VALU_DEP_2)
	v_sub_f32_e32 v24, v24, v31
	v_dual_sub_f32 v32, v30, v27 :: v_dual_sub_f32 v25, v25, v28
	s_delay_alu instid0(VALU_DEP_1) | instskip(NEXT) | instid1(VALU_DEP_2)
	v_sub_f32_e32 v33, v30, v32
	v_dual_sub_f32 v28, v29, v32 :: v_dual_add_f32 v29, v24, v25
	s_delay_alu instid0(VALU_DEP_2) | instskip(NEXT) | instid1(VALU_DEP_1)
	v_sub_f32_e32 v27, v27, v33
	v_dual_add_f32 v27, v28, v27 :: v_dual_sub_f32 v28, v29, v24
	s_delay_alu instid0(VALU_DEP_1) | instskip(NEXT) | instid1(VALU_DEP_2)
	v_add_f32_e32 v27, v29, v27
	v_sub_f32_e32 v29, v29, v28
	v_sub_f32_e32 v25, v25, v28
	s_delay_alu instid0(VALU_DEP_2) | instskip(NEXT) | instid1(VALU_DEP_1)
	v_dual_add_f32 v31, v30, v27 :: v_dual_sub_f32 v24, v24, v29
	v_sub_f32_e32 v28, v31, v30
	s_delay_alu instid0(VALU_DEP_2) | instskip(NEXT) | instid1(VALU_DEP_2)
	v_add_f32_e32 v24, v25, v24
	v_sub_f32_e32 v25, v27, v28
	s_delay_alu instid0(VALU_DEP_1) | instskip(NEXT) | instid1(VALU_DEP_1)
	v_add_f32_e32 v24, v24, v25
	v_add_f32_e32 v24, v31, v24
	s_delay_alu instid0(VALU_DEP_1) | instskip(NEXT) | instid1(VALU_DEP_1)
	v_cndmask_b32_e64 v24, v24, v26, s1
	v_add_f32_e32 v24, v23, v24
.LBB173_32:
	s_or_b32 exec_lo, exec_lo, s13
	s_delay_alu instid0(VALU_DEP_1)
	v_mov_b32_e32 v23, v24
.LBB173_33:
	s_or_b32 exec_lo, exec_lo, s12
	s_delay_alu instid0(VALU_DEP_1)
	v_mov_b32_dpp v24, v23 row_shr:2 row_mask:0xf bank_mask:0xf
	s_mov_b32 s12, exec_lo
	v_cmpx_lt_u32_e32 1, v22
	s_cbranch_execz .LBB173_37
; %bb.34:
	s_delay_alu instid0(VALU_DEP_2) | instskip(SKIP_1) | instid1(VALU_DEP_2)
	v_dual_max_f32 v25, v23, v23 :: v_dual_max_f32 v26, v24, v24
	v_cmp_u_f32_e64 s1, v24, v24
	v_min_f32_e32 v27, v26, v25
	v_max_f32_e32 v25, v26, v25
	s_delay_alu instid0(VALU_DEP_2) | instskip(NEXT) | instid1(VALU_DEP_2)
	v_cndmask_b32_e64 v26, v27, v24, s1
	v_cndmask_b32_e64 v27, v25, v24, s1
	v_cmp_u_f32_e64 s1, v23, v23
	s_delay_alu instid0(VALU_DEP_1) | instskip(NEXT) | instid1(VALU_DEP_3)
	v_cndmask_b32_e64 v25, v26, v23, s1
	v_cndmask_b32_e64 v23, v27, v23, s1
	s_delay_alu instid0(VALU_DEP_2) | instskip(NEXT) | instid1(VALU_DEP_2)
	v_cmp_class_f32_e64 s13, v25, 0x1f8
	v_cmp_neq_f32_e64 s1, v25, v23
	s_delay_alu instid0(VALU_DEP_1) | instskip(NEXT) | instid1(SALU_CYCLE_1)
	s_or_b32 s1, s1, s13
	s_and_saveexec_b32 s13, s1
	s_cbranch_execz .LBB173_36
; %bb.35:
	v_sub_f32_e32 v24, v25, v23
	s_delay_alu instid0(VALU_DEP_1) | instskip(SKIP_1) | instid1(VALU_DEP_2)
	v_mul_f32_e32 v25, 0x3fb8aa3b, v24
	v_cmp_ngt_f32_e64 s1, 0xc2ce8ed0, v24
	v_fma_f32 v26, 0x3fb8aa3b, v24, -v25
	v_rndne_f32_e32 v27, v25
	s_delay_alu instid0(VALU_DEP_1) | instskip(NEXT) | instid1(VALU_DEP_1)
	v_dual_fmamk_f32 v26, v24, 0x32a5705f, v26 :: v_dual_sub_f32 v25, v25, v27
	v_add_f32_e32 v25, v25, v26
	v_cvt_i32_f32_e32 v26, v27
	s_delay_alu instid0(VALU_DEP_2) | instskip(SKIP_2) | instid1(VALU_DEP_1)
	v_exp_f32_e32 v25, v25
	s_waitcnt_depctr 0xfff
	v_ldexp_f32 v25, v25, v26
	v_cndmask_b32_e64 v25, 0, v25, s1
	v_cmp_nlt_f32_e64 s1, 0x42b17218, v24
	s_delay_alu instid0(VALU_DEP_1) | instskip(NEXT) | instid1(VALU_DEP_1)
	v_cndmask_b32_e64 v26, 0x7f800000, v25, s1
	v_add_f32_e32 v27, 1.0, v26
	v_cmp_gt_f32_e64 s14, 0x33800000, |v26|
	s_delay_alu instid0(VALU_DEP_2) | instskip(NEXT) | instid1(VALU_DEP_1)
	v_cvt_f64_f32_e32 v[24:25], v27
	v_frexp_exp_i32_f64_e32 v24, v[24:25]
	v_frexp_mant_f32_e32 v25, v27
	s_delay_alu instid0(VALU_DEP_1) | instskip(SKIP_1) | instid1(VALU_DEP_1)
	v_cmp_gt_f32_e64 s1, 0x3f2aaaab, v25
	v_add_f32_e32 v25, -1.0, v27
	v_sub_f32_e32 v29, v25, v27
	v_sub_f32_e32 v25, v26, v25
	s_delay_alu instid0(VALU_DEP_4) | instskip(SKIP_1) | instid1(VALU_DEP_1)
	v_subrev_co_ci_u32_e64 v24, s1, 0, v24, s1
	s_mov_b32 s1, 0x3e9b6dac
	v_sub_nc_u32_e32 v28, 0, v24
	v_cvt_f32_i32_e32 v24, v24
	s_delay_alu instid0(VALU_DEP_2) | instskip(NEXT) | instid1(VALU_DEP_1)
	v_ldexp_f32 v27, v27, v28
	v_dual_add_f32 v30, 1.0, v27 :: v_dual_add_f32 v29, 1.0, v29
	s_delay_alu instid0(VALU_DEP_1) | instskip(NEXT) | instid1(VALU_DEP_2)
	v_add_f32_e32 v25, v25, v29
	v_add_f32_e32 v29, -1.0, v30
	s_delay_alu instid0(VALU_DEP_2) | instskip(NEXT) | instid1(VALU_DEP_2)
	v_ldexp_f32 v25, v25, v28
	v_dual_add_f32 v28, -1.0, v27 :: v_dual_sub_f32 v29, v27, v29
	s_delay_alu instid0(VALU_DEP_1) | instskip(NEXT) | instid1(VALU_DEP_2)
	v_add_f32_e32 v31, 1.0, v28
	v_add_f32_e32 v29, v25, v29
	s_delay_alu instid0(VALU_DEP_2) | instskip(NEXT) | instid1(VALU_DEP_2)
	v_sub_f32_e32 v27, v27, v31
	v_add_f32_e32 v31, v30, v29
	s_delay_alu instid0(VALU_DEP_2) | instskip(NEXT) | instid1(VALU_DEP_2)
	v_add_f32_e32 v25, v25, v27
	v_rcp_f32_e32 v27, v31
	v_sub_f32_e32 v30, v30, v31
	s_delay_alu instid0(VALU_DEP_1) | instskip(NEXT) | instid1(VALU_DEP_1)
	v_dual_add_f32 v32, v28, v25 :: v_dual_add_f32 v29, v29, v30
	v_sub_f32_e32 v28, v28, v32
	s_waitcnt_depctr 0xfff
	v_mul_f32_e32 v33, v32, v27
	s_delay_alu instid0(VALU_DEP_1) | instskip(NEXT) | instid1(VALU_DEP_1)
	v_dual_add_f32 v25, v25, v28 :: v_dual_mul_f32 v34, v31, v33
	v_fma_f32 v30, v33, v31, -v34
	s_delay_alu instid0(VALU_DEP_1) | instskip(NEXT) | instid1(VALU_DEP_1)
	v_fmac_f32_e32 v30, v33, v29
	v_add_f32_e32 v35, v34, v30
	s_delay_alu instid0(VALU_DEP_1) | instskip(SKIP_1) | instid1(VALU_DEP_2)
	v_sub_f32_e32 v36, v32, v35
	v_sub_f32_e32 v28, v35, v34
	;; [unrolled: 1-line block ×3, first 2 shown]
	s_delay_alu instid0(VALU_DEP_2) | instskip(NEXT) | instid1(VALU_DEP_2)
	v_sub_f32_e32 v28, v28, v30
	v_sub_f32_e32 v32, v32, v35
	s_delay_alu instid0(VALU_DEP_1) | instskip(NEXT) | instid1(VALU_DEP_1)
	v_add_f32_e32 v25, v25, v32
	v_add_f32_e32 v25, v28, v25
	s_delay_alu instid0(VALU_DEP_1) | instskip(NEXT) | instid1(VALU_DEP_1)
	v_add_f32_e32 v28, v36, v25
	v_mul_f32_e32 v30, v27, v28
	s_delay_alu instid0(VALU_DEP_1) | instskip(NEXT) | instid1(VALU_DEP_1)
	v_dual_sub_f32 v35, v36, v28 :: v_dual_mul_f32 v32, v31, v30
	v_add_f32_e32 v25, v25, v35
	s_delay_alu instid0(VALU_DEP_2) | instskip(NEXT) | instid1(VALU_DEP_1)
	v_fma_f32 v31, v30, v31, -v32
	v_fmac_f32_e32 v31, v30, v29
	s_delay_alu instid0(VALU_DEP_1) | instskip(NEXT) | instid1(VALU_DEP_1)
	v_add_f32_e32 v29, v32, v31
	v_sub_f32_e32 v34, v28, v29
	v_sub_f32_e32 v32, v29, v32
	s_delay_alu instid0(VALU_DEP_2) | instskip(NEXT) | instid1(VALU_DEP_1)
	v_sub_f32_e32 v28, v28, v34
	v_sub_f32_e32 v28, v28, v29
	s_delay_alu instid0(VALU_DEP_3) | instskip(NEXT) | instid1(VALU_DEP_2)
	v_sub_f32_e32 v29, v32, v31
	v_add_f32_e32 v25, v25, v28
	v_add_f32_e32 v28, v33, v30
	s_delay_alu instid0(VALU_DEP_2) | instskip(NEXT) | instid1(VALU_DEP_2)
	v_add_f32_e32 v25, v29, v25
	v_sub_f32_e32 v29, v28, v33
	s_delay_alu instid0(VALU_DEP_2) | instskip(NEXT) | instid1(VALU_DEP_2)
	v_add_f32_e32 v25, v34, v25
	v_sub_f32_e32 v29, v30, v29
	s_delay_alu instid0(VALU_DEP_2) | instskip(NEXT) | instid1(VALU_DEP_1)
	v_mul_f32_e32 v25, v27, v25
	v_add_f32_e32 v25, v29, v25
	s_delay_alu instid0(VALU_DEP_1) | instskip(NEXT) | instid1(VALU_DEP_1)
	v_add_f32_e32 v27, v28, v25
	v_mul_f32_e32 v29, v27, v27
	s_delay_alu instid0(VALU_DEP_1) | instskip(SKIP_2) | instid1(VALU_DEP_3)
	v_fmaak_f32 v30, s1, v29, 0x3ecc95a3
	v_mul_f32_e32 v31, v27, v29
	v_cmp_eq_f32_e64 s1, 0x7f800000, v26
	v_fmaak_f32 v29, v29, v30, 0x3f2aaada
	v_ldexp_f32 v30, v27, 1
	v_sub_f32_e32 v27, v27, v28
	s_delay_alu instid0(VALU_DEP_4) | instskip(NEXT) | instid1(VALU_DEP_3)
	s_or_b32 s1, s1, s14
	v_mul_f32_e32 v29, v31, v29
	v_mul_f32_e32 v31, 0x3f317218, v24
	s_delay_alu instid0(VALU_DEP_2) | instskip(NEXT) | instid1(VALU_DEP_1)
	v_dual_sub_f32 v25, v25, v27 :: v_dual_add_f32 v28, v30, v29
	v_ldexp_f32 v25, v25, 1
	s_delay_alu instid0(VALU_DEP_2) | instskip(NEXT) | instid1(VALU_DEP_4)
	v_sub_f32_e32 v27, v28, v30
	v_fma_f32 v30, 0x3f317218, v24, -v31
	s_delay_alu instid0(VALU_DEP_1) | instskip(NEXT) | instid1(VALU_DEP_1)
	v_dual_sub_f32 v27, v29, v27 :: v_dual_fmamk_f32 v24, v24, 0xb102e308, v30
	v_add_f32_e32 v25, v25, v27
	s_delay_alu instid0(VALU_DEP_2) | instskip(NEXT) | instid1(VALU_DEP_2)
	v_add_f32_e32 v27, v31, v24
	v_add_f32_e32 v29, v28, v25
	s_delay_alu instid0(VALU_DEP_2) | instskip(NEXT) | instid1(VALU_DEP_2)
	v_sub_f32_e32 v31, v27, v31
	v_add_f32_e32 v30, v27, v29
	v_sub_f32_e32 v28, v29, v28
	s_delay_alu instid0(VALU_DEP_3) | instskip(NEXT) | instid1(VALU_DEP_2)
	v_sub_f32_e32 v24, v24, v31
	v_dual_sub_f32 v32, v30, v27 :: v_dual_sub_f32 v25, v25, v28
	s_delay_alu instid0(VALU_DEP_1) | instskip(NEXT) | instid1(VALU_DEP_2)
	v_sub_f32_e32 v33, v30, v32
	v_dual_sub_f32 v28, v29, v32 :: v_dual_add_f32 v29, v24, v25
	s_delay_alu instid0(VALU_DEP_2) | instskip(NEXT) | instid1(VALU_DEP_1)
	v_sub_f32_e32 v27, v27, v33
	v_dual_add_f32 v27, v28, v27 :: v_dual_sub_f32 v28, v29, v24
	s_delay_alu instid0(VALU_DEP_1) | instskip(NEXT) | instid1(VALU_DEP_2)
	v_add_f32_e32 v27, v29, v27
	v_sub_f32_e32 v29, v29, v28
	v_sub_f32_e32 v25, v25, v28
	s_delay_alu instid0(VALU_DEP_2) | instskip(NEXT) | instid1(VALU_DEP_1)
	v_dual_add_f32 v31, v30, v27 :: v_dual_sub_f32 v24, v24, v29
	v_sub_f32_e32 v28, v31, v30
	s_delay_alu instid0(VALU_DEP_2) | instskip(NEXT) | instid1(VALU_DEP_2)
	v_add_f32_e32 v24, v25, v24
	v_sub_f32_e32 v25, v27, v28
	s_delay_alu instid0(VALU_DEP_1) | instskip(NEXT) | instid1(VALU_DEP_1)
	v_add_f32_e32 v24, v24, v25
	v_add_f32_e32 v24, v31, v24
	s_delay_alu instid0(VALU_DEP_1) | instskip(NEXT) | instid1(VALU_DEP_1)
	v_cndmask_b32_e64 v24, v24, v26, s1
	v_add_f32_e32 v24, v23, v24
.LBB173_36:
	s_or_b32 exec_lo, exec_lo, s13
	s_delay_alu instid0(VALU_DEP_1)
	v_mov_b32_e32 v23, v24
.LBB173_37:
	s_or_b32 exec_lo, exec_lo, s12
	s_delay_alu instid0(VALU_DEP_1)
	v_mov_b32_dpp v24, v23 row_shr:4 row_mask:0xf bank_mask:0xf
	s_mov_b32 s12, exec_lo
	v_cmpx_lt_u32_e32 3, v22
	s_cbranch_execz .LBB173_41
; %bb.38:
	s_delay_alu instid0(VALU_DEP_2) | instskip(SKIP_1) | instid1(VALU_DEP_2)
	v_dual_max_f32 v25, v23, v23 :: v_dual_max_f32 v26, v24, v24
	v_cmp_u_f32_e64 s1, v24, v24
	v_min_f32_e32 v27, v26, v25
	v_max_f32_e32 v25, v26, v25
	s_delay_alu instid0(VALU_DEP_2) | instskip(NEXT) | instid1(VALU_DEP_2)
	v_cndmask_b32_e64 v26, v27, v24, s1
	v_cndmask_b32_e64 v27, v25, v24, s1
	v_cmp_u_f32_e64 s1, v23, v23
	s_delay_alu instid0(VALU_DEP_1) | instskip(NEXT) | instid1(VALU_DEP_3)
	v_cndmask_b32_e64 v25, v26, v23, s1
	v_cndmask_b32_e64 v23, v27, v23, s1
	s_delay_alu instid0(VALU_DEP_2) | instskip(NEXT) | instid1(VALU_DEP_2)
	v_cmp_class_f32_e64 s13, v25, 0x1f8
	v_cmp_neq_f32_e64 s1, v25, v23
	s_delay_alu instid0(VALU_DEP_1) | instskip(NEXT) | instid1(SALU_CYCLE_1)
	s_or_b32 s1, s1, s13
	s_and_saveexec_b32 s13, s1
	s_cbranch_execz .LBB173_40
; %bb.39:
	v_sub_f32_e32 v24, v25, v23
	s_delay_alu instid0(VALU_DEP_1) | instskip(SKIP_1) | instid1(VALU_DEP_2)
	v_mul_f32_e32 v25, 0x3fb8aa3b, v24
	v_cmp_ngt_f32_e64 s1, 0xc2ce8ed0, v24
	v_fma_f32 v26, 0x3fb8aa3b, v24, -v25
	v_rndne_f32_e32 v27, v25
	s_delay_alu instid0(VALU_DEP_1) | instskip(NEXT) | instid1(VALU_DEP_1)
	v_dual_fmamk_f32 v26, v24, 0x32a5705f, v26 :: v_dual_sub_f32 v25, v25, v27
	v_add_f32_e32 v25, v25, v26
	v_cvt_i32_f32_e32 v26, v27
	s_delay_alu instid0(VALU_DEP_2) | instskip(SKIP_2) | instid1(VALU_DEP_1)
	v_exp_f32_e32 v25, v25
	s_waitcnt_depctr 0xfff
	v_ldexp_f32 v25, v25, v26
	v_cndmask_b32_e64 v25, 0, v25, s1
	v_cmp_nlt_f32_e64 s1, 0x42b17218, v24
	s_delay_alu instid0(VALU_DEP_1) | instskip(NEXT) | instid1(VALU_DEP_1)
	v_cndmask_b32_e64 v26, 0x7f800000, v25, s1
	v_add_f32_e32 v27, 1.0, v26
	v_cmp_gt_f32_e64 s14, 0x33800000, |v26|
	s_delay_alu instid0(VALU_DEP_2) | instskip(NEXT) | instid1(VALU_DEP_1)
	v_cvt_f64_f32_e32 v[24:25], v27
	v_frexp_exp_i32_f64_e32 v24, v[24:25]
	v_frexp_mant_f32_e32 v25, v27
	s_delay_alu instid0(VALU_DEP_1) | instskip(SKIP_1) | instid1(VALU_DEP_1)
	v_cmp_gt_f32_e64 s1, 0x3f2aaaab, v25
	v_add_f32_e32 v25, -1.0, v27
	v_sub_f32_e32 v29, v25, v27
	v_sub_f32_e32 v25, v26, v25
	s_delay_alu instid0(VALU_DEP_4) | instskip(SKIP_1) | instid1(VALU_DEP_1)
	v_subrev_co_ci_u32_e64 v24, s1, 0, v24, s1
	s_mov_b32 s1, 0x3e9b6dac
	v_sub_nc_u32_e32 v28, 0, v24
	v_cvt_f32_i32_e32 v24, v24
	s_delay_alu instid0(VALU_DEP_2) | instskip(NEXT) | instid1(VALU_DEP_1)
	v_ldexp_f32 v27, v27, v28
	v_dual_add_f32 v30, 1.0, v27 :: v_dual_add_f32 v29, 1.0, v29
	s_delay_alu instid0(VALU_DEP_1) | instskip(NEXT) | instid1(VALU_DEP_2)
	v_add_f32_e32 v25, v25, v29
	v_add_f32_e32 v29, -1.0, v30
	s_delay_alu instid0(VALU_DEP_2) | instskip(NEXT) | instid1(VALU_DEP_2)
	v_ldexp_f32 v25, v25, v28
	v_dual_add_f32 v28, -1.0, v27 :: v_dual_sub_f32 v29, v27, v29
	s_delay_alu instid0(VALU_DEP_1) | instskip(NEXT) | instid1(VALU_DEP_2)
	v_add_f32_e32 v31, 1.0, v28
	v_add_f32_e32 v29, v25, v29
	s_delay_alu instid0(VALU_DEP_2) | instskip(NEXT) | instid1(VALU_DEP_2)
	v_sub_f32_e32 v27, v27, v31
	v_add_f32_e32 v31, v30, v29
	s_delay_alu instid0(VALU_DEP_2) | instskip(NEXT) | instid1(VALU_DEP_2)
	v_add_f32_e32 v25, v25, v27
	v_rcp_f32_e32 v27, v31
	v_sub_f32_e32 v30, v30, v31
	s_delay_alu instid0(VALU_DEP_1) | instskip(NEXT) | instid1(VALU_DEP_1)
	v_dual_add_f32 v32, v28, v25 :: v_dual_add_f32 v29, v29, v30
	v_sub_f32_e32 v28, v28, v32
	s_waitcnt_depctr 0xfff
	v_mul_f32_e32 v33, v32, v27
	s_delay_alu instid0(VALU_DEP_1) | instskip(NEXT) | instid1(VALU_DEP_1)
	v_dual_add_f32 v25, v25, v28 :: v_dual_mul_f32 v34, v31, v33
	v_fma_f32 v30, v33, v31, -v34
	s_delay_alu instid0(VALU_DEP_1) | instskip(NEXT) | instid1(VALU_DEP_1)
	v_fmac_f32_e32 v30, v33, v29
	v_add_f32_e32 v35, v34, v30
	s_delay_alu instid0(VALU_DEP_1) | instskip(SKIP_1) | instid1(VALU_DEP_2)
	v_sub_f32_e32 v36, v32, v35
	v_sub_f32_e32 v28, v35, v34
	;; [unrolled: 1-line block ×3, first 2 shown]
	s_delay_alu instid0(VALU_DEP_2) | instskip(NEXT) | instid1(VALU_DEP_2)
	v_sub_f32_e32 v28, v28, v30
	v_sub_f32_e32 v32, v32, v35
	s_delay_alu instid0(VALU_DEP_1) | instskip(NEXT) | instid1(VALU_DEP_1)
	v_add_f32_e32 v25, v25, v32
	v_add_f32_e32 v25, v28, v25
	s_delay_alu instid0(VALU_DEP_1) | instskip(NEXT) | instid1(VALU_DEP_1)
	v_add_f32_e32 v28, v36, v25
	v_mul_f32_e32 v30, v27, v28
	s_delay_alu instid0(VALU_DEP_1) | instskip(NEXT) | instid1(VALU_DEP_1)
	v_dual_sub_f32 v35, v36, v28 :: v_dual_mul_f32 v32, v31, v30
	v_add_f32_e32 v25, v25, v35
	s_delay_alu instid0(VALU_DEP_2) | instskip(NEXT) | instid1(VALU_DEP_1)
	v_fma_f32 v31, v30, v31, -v32
	v_fmac_f32_e32 v31, v30, v29
	s_delay_alu instid0(VALU_DEP_1) | instskip(NEXT) | instid1(VALU_DEP_1)
	v_add_f32_e32 v29, v32, v31
	v_sub_f32_e32 v34, v28, v29
	v_sub_f32_e32 v32, v29, v32
	s_delay_alu instid0(VALU_DEP_2) | instskip(NEXT) | instid1(VALU_DEP_1)
	v_sub_f32_e32 v28, v28, v34
	v_sub_f32_e32 v28, v28, v29
	s_delay_alu instid0(VALU_DEP_3) | instskip(NEXT) | instid1(VALU_DEP_2)
	v_sub_f32_e32 v29, v32, v31
	v_add_f32_e32 v25, v25, v28
	v_add_f32_e32 v28, v33, v30
	s_delay_alu instid0(VALU_DEP_2) | instskip(NEXT) | instid1(VALU_DEP_2)
	v_add_f32_e32 v25, v29, v25
	v_sub_f32_e32 v29, v28, v33
	s_delay_alu instid0(VALU_DEP_2) | instskip(NEXT) | instid1(VALU_DEP_2)
	v_add_f32_e32 v25, v34, v25
	v_sub_f32_e32 v29, v30, v29
	s_delay_alu instid0(VALU_DEP_2) | instskip(NEXT) | instid1(VALU_DEP_1)
	v_mul_f32_e32 v25, v27, v25
	v_add_f32_e32 v25, v29, v25
	s_delay_alu instid0(VALU_DEP_1) | instskip(NEXT) | instid1(VALU_DEP_1)
	v_add_f32_e32 v27, v28, v25
	v_mul_f32_e32 v29, v27, v27
	s_delay_alu instid0(VALU_DEP_1) | instskip(SKIP_2) | instid1(VALU_DEP_3)
	v_fmaak_f32 v30, s1, v29, 0x3ecc95a3
	v_mul_f32_e32 v31, v27, v29
	v_cmp_eq_f32_e64 s1, 0x7f800000, v26
	v_fmaak_f32 v29, v29, v30, 0x3f2aaada
	v_ldexp_f32 v30, v27, 1
	v_sub_f32_e32 v27, v27, v28
	s_delay_alu instid0(VALU_DEP_4) | instskip(NEXT) | instid1(VALU_DEP_3)
	s_or_b32 s1, s1, s14
	v_mul_f32_e32 v29, v31, v29
	v_mul_f32_e32 v31, 0x3f317218, v24
	s_delay_alu instid0(VALU_DEP_2) | instskip(NEXT) | instid1(VALU_DEP_1)
	v_dual_sub_f32 v25, v25, v27 :: v_dual_add_f32 v28, v30, v29
	v_ldexp_f32 v25, v25, 1
	s_delay_alu instid0(VALU_DEP_2) | instskip(NEXT) | instid1(VALU_DEP_4)
	v_sub_f32_e32 v27, v28, v30
	v_fma_f32 v30, 0x3f317218, v24, -v31
	s_delay_alu instid0(VALU_DEP_1) | instskip(NEXT) | instid1(VALU_DEP_1)
	v_dual_sub_f32 v27, v29, v27 :: v_dual_fmamk_f32 v24, v24, 0xb102e308, v30
	v_add_f32_e32 v25, v25, v27
	s_delay_alu instid0(VALU_DEP_2) | instskip(NEXT) | instid1(VALU_DEP_2)
	v_add_f32_e32 v27, v31, v24
	v_add_f32_e32 v29, v28, v25
	s_delay_alu instid0(VALU_DEP_2) | instskip(NEXT) | instid1(VALU_DEP_2)
	v_sub_f32_e32 v31, v27, v31
	v_add_f32_e32 v30, v27, v29
	v_sub_f32_e32 v28, v29, v28
	s_delay_alu instid0(VALU_DEP_3) | instskip(NEXT) | instid1(VALU_DEP_2)
	v_sub_f32_e32 v24, v24, v31
	v_dual_sub_f32 v32, v30, v27 :: v_dual_sub_f32 v25, v25, v28
	s_delay_alu instid0(VALU_DEP_1) | instskip(NEXT) | instid1(VALU_DEP_2)
	v_sub_f32_e32 v33, v30, v32
	v_dual_sub_f32 v28, v29, v32 :: v_dual_add_f32 v29, v24, v25
	s_delay_alu instid0(VALU_DEP_2) | instskip(NEXT) | instid1(VALU_DEP_1)
	v_sub_f32_e32 v27, v27, v33
	v_dual_add_f32 v27, v28, v27 :: v_dual_sub_f32 v28, v29, v24
	s_delay_alu instid0(VALU_DEP_1) | instskip(NEXT) | instid1(VALU_DEP_2)
	v_add_f32_e32 v27, v29, v27
	v_sub_f32_e32 v29, v29, v28
	v_sub_f32_e32 v25, v25, v28
	s_delay_alu instid0(VALU_DEP_2) | instskip(NEXT) | instid1(VALU_DEP_1)
	v_dual_add_f32 v31, v30, v27 :: v_dual_sub_f32 v24, v24, v29
	v_sub_f32_e32 v28, v31, v30
	s_delay_alu instid0(VALU_DEP_2) | instskip(NEXT) | instid1(VALU_DEP_2)
	v_add_f32_e32 v24, v25, v24
	v_sub_f32_e32 v25, v27, v28
	s_delay_alu instid0(VALU_DEP_1) | instskip(NEXT) | instid1(VALU_DEP_1)
	v_add_f32_e32 v24, v24, v25
	v_add_f32_e32 v24, v31, v24
	s_delay_alu instid0(VALU_DEP_1) | instskip(NEXT) | instid1(VALU_DEP_1)
	v_cndmask_b32_e64 v24, v24, v26, s1
	v_add_f32_e32 v24, v23, v24
.LBB173_40:
	s_or_b32 exec_lo, exec_lo, s13
	s_delay_alu instid0(VALU_DEP_1)
	v_mov_b32_e32 v23, v24
.LBB173_41:
	s_or_b32 exec_lo, exec_lo, s12
	s_delay_alu instid0(VALU_DEP_1)
	v_mov_b32_dpp v24, v23 row_shr:8 row_mask:0xf bank_mask:0xf
	s_mov_b32 s12, exec_lo
	v_cmpx_lt_u32_e32 7, v22
	s_cbranch_execz .LBB173_45
; %bb.42:
	s_delay_alu instid0(VALU_DEP_2) | instskip(SKIP_1) | instid1(VALU_DEP_2)
	v_dual_max_f32 v22, v23, v23 :: v_dual_max_f32 v25, v24, v24
	v_cmp_u_f32_e64 s1, v24, v24
	v_min_f32_e32 v26, v25, v22
	v_max_f32_e32 v22, v25, v22
	s_delay_alu instid0(VALU_DEP_2) | instskip(NEXT) | instid1(VALU_DEP_2)
	v_cndmask_b32_e64 v25, v26, v24, s1
	v_cndmask_b32_e64 v22, v22, v24, s1
	v_cmp_u_f32_e64 s1, v23, v23
	s_delay_alu instid0(VALU_DEP_1) | instskip(NEXT) | instid1(VALU_DEP_3)
	v_cndmask_b32_e64 v25, v25, v23, s1
	v_cndmask_b32_e64 v22, v22, v23, s1
	s_delay_alu instid0(VALU_DEP_2) | instskip(NEXT) | instid1(VALU_DEP_2)
	v_cmp_class_f32_e64 s13, v25, 0x1f8
	v_cmp_neq_f32_e64 s1, v25, v22
	s_delay_alu instid0(VALU_DEP_1) | instskip(NEXT) | instid1(SALU_CYCLE_1)
	s_or_b32 s1, s1, s13
	s_and_saveexec_b32 s13, s1
	s_cbranch_execz .LBB173_44
; %bb.43:
	v_sub_f32_e32 v23, v25, v22
	s_delay_alu instid0(VALU_DEP_1) | instskip(NEXT) | instid1(VALU_DEP_1)
	v_mul_f32_e32 v24, 0x3fb8aa3b, v23
	v_fma_f32 v25, 0x3fb8aa3b, v23, -v24
	v_rndne_f32_e32 v26, v24
	s_delay_alu instid0(VALU_DEP_1) | instskip(NEXT) | instid1(VALU_DEP_1)
	v_dual_fmamk_f32 v25, v23, 0x32a5705f, v25 :: v_dual_sub_f32 v24, v24, v26
	v_add_f32_e32 v24, v24, v25
	v_cvt_i32_f32_e32 v25, v26
	v_cmp_ngt_f32_e64 s1, 0xc2ce8ed0, v23
	s_delay_alu instid0(VALU_DEP_3) | instskip(SKIP_2) | instid1(VALU_DEP_1)
	v_exp_f32_e32 v24, v24
	s_waitcnt_depctr 0xfff
	v_ldexp_f32 v24, v24, v25
	v_cndmask_b32_e64 v24, 0, v24, s1
	v_cmp_nlt_f32_e64 s1, 0x42b17218, v23
	s_delay_alu instid0(VALU_DEP_1) | instskip(NEXT) | instid1(VALU_DEP_1)
	v_cndmask_b32_e64 v25, 0x7f800000, v24, s1
	v_add_f32_e32 v26, 1.0, v25
	v_cmp_gt_f32_e64 s14, 0x33800000, |v25|
	s_delay_alu instid0(VALU_DEP_2) | instskip(NEXT) | instid1(VALU_DEP_1)
	v_cvt_f64_f32_e32 v[23:24], v26
	v_frexp_exp_i32_f64_e32 v23, v[23:24]
	v_frexp_mant_f32_e32 v24, v26
	s_delay_alu instid0(VALU_DEP_1) | instskip(SKIP_1) | instid1(VALU_DEP_1)
	v_cmp_gt_f32_e64 s1, 0x3f2aaaab, v24
	v_add_f32_e32 v24, -1.0, v26
	v_sub_f32_e32 v28, v24, v26
	s_delay_alu instid0(VALU_DEP_3) | instskip(SKIP_1) | instid1(VALU_DEP_1)
	v_subrev_co_ci_u32_e64 v23, s1, 0, v23, s1
	s_mov_b32 s1, 0x3e9b6dac
	v_sub_nc_u32_e32 v27, 0, v23
	v_cvt_f32_i32_e32 v23, v23
	s_delay_alu instid0(VALU_DEP_2) | instskip(NEXT) | instid1(VALU_DEP_1)
	v_ldexp_f32 v26, v26, v27
	v_dual_sub_f32 v24, v25, v24 :: v_dual_add_f32 v29, 1.0, v26
	v_add_f32_e32 v28, 1.0, v28
	s_delay_alu instid0(VALU_DEP_1) | instskip(NEXT) | instid1(VALU_DEP_3)
	v_add_f32_e32 v24, v24, v28
	v_add_f32_e32 v28, -1.0, v29
	s_delay_alu instid0(VALU_DEP_2) | instskip(NEXT) | instid1(VALU_DEP_2)
	v_ldexp_f32 v24, v24, v27
	v_dual_add_f32 v27, -1.0, v26 :: v_dual_sub_f32 v28, v26, v28
	s_delay_alu instid0(VALU_DEP_1) | instskip(NEXT) | instid1(VALU_DEP_2)
	v_add_f32_e32 v30, 1.0, v27
	v_add_f32_e32 v28, v24, v28
	s_delay_alu instid0(VALU_DEP_2) | instskip(NEXT) | instid1(VALU_DEP_2)
	v_sub_f32_e32 v26, v26, v30
	v_add_f32_e32 v30, v29, v28
	s_delay_alu instid0(VALU_DEP_2) | instskip(NEXT) | instid1(VALU_DEP_2)
	v_add_f32_e32 v24, v24, v26
	v_rcp_f32_e32 v26, v30
	v_sub_f32_e32 v29, v29, v30
	s_delay_alu instid0(VALU_DEP_1) | instskip(NEXT) | instid1(VALU_DEP_1)
	v_dual_add_f32 v31, v27, v24 :: v_dual_add_f32 v28, v28, v29
	v_sub_f32_e32 v27, v27, v31
	s_waitcnt_depctr 0xfff
	v_mul_f32_e32 v32, v31, v26
	s_delay_alu instid0(VALU_DEP_1) | instskip(NEXT) | instid1(VALU_DEP_1)
	v_dual_add_f32 v24, v24, v27 :: v_dual_mul_f32 v33, v30, v32
	v_fma_f32 v29, v32, v30, -v33
	s_delay_alu instid0(VALU_DEP_1) | instskip(NEXT) | instid1(VALU_DEP_1)
	v_fmac_f32_e32 v29, v32, v28
	v_add_f32_e32 v34, v33, v29
	s_delay_alu instid0(VALU_DEP_1) | instskip(SKIP_1) | instid1(VALU_DEP_2)
	v_sub_f32_e32 v35, v31, v34
	v_sub_f32_e32 v27, v34, v33
	;; [unrolled: 1-line block ×3, first 2 shown]
	s_delay_alu instid0(VALU_DEP_2) | instskip(NEXT) | instid1(VALU_DEP_2)
	v_sub_f32_e32 v27, v27, v29
	v_sub_f32_e32 v31, v31, v34
	s_delay_alu instid0(VALU_DEP_1) | instskip(NEXT) | instid1(VALU_DEP_1)
	v_add_f32_e32 v24, v24, v31
	v_add_f32_e32 v24, v27, v24
	s_delay_alu instid0(VALU_DEP_1) | instskip(NEXT) | instid1(VALU_DEP_1)
	v_add_f32_e32 v27, v35, v24
	v_mul_f32_e32 v29, v26, v27
	s_delay_alu instid0(VALU_DEP_1) | instskip(NEXT) | instid1(VALU_DEP_1)
	v_dual_sub_f32 v34, v35, v27 :: v_dual_mul_f32 v31, v30, v29
	v_add_f32_e32 v24, v24, v34
	s_delay_alu instid0(VALU_DEP_2) | instskip(NEXT) | instid1(VALU_DEP_1)
	v_fma_f32 v30, v29, v30, -v31
	v_fmac_f32_e32 v30, v29, v28
	s_delay_alu instid0(VALU_DEP_1) | instskip(NEXT) | instid1(VALU_DEP_1)
	v_add_f32_e32 v28, v31, v30
	v_sub_f32_e32 v33, v27, v28
	v_sub_f32_e32 v31, v28, v31
	s_delay_alu instid0(VALU_DEP_2) | instskip(NEXT) | instid1(VALU_DEP_1)
	v_sub_f32_e32 v27, v27, v33
	v_sub_f32_e32 v27, v27, v28
	s_delay_alu instid0(VALU_DEP_3) | instskip(NEXT) | instid1(VALU_DEP_2)
	v_sub_f32_e32 v28, v31, v30
	v_add_f32_e32 v24, v24, v27
	v_add_f32_e32 v27, v32, v29
	s_delay_alu instid0(VALU_DEP_2) | instskip(NEXT) | instid1(VALU_DEP_2)
	v_add_f32_e32 v24, v28, v24
	v_sub_f32_e32 v28, v27, v32
	s_delay_alu instid0(VALU_DEP_2) | instskip(NEXT) | instid1(VALU_DEP_2)
	v_add_f32_e32 v24, v33, v24
	v_sub_f32_e32 v28, v29, v28
	s_delay_alu instid0(VALU_DEP_2) | instskip(NEXT) | instid1(VALU_DEP_1)
	v_mul_f32_e32 v24, v26, v24
	v_add_f32_e32 v24, v28, v24
	s_delay_alu instid0(VALU_DEP_1) | instskip(NEXT) | instid1(VALU_DEP_1)
	v_add_f32_e32 v26, v27, v24
	v_mul_f32_e32 v28, v26, v26
	s_delay_alu instid0(VALU_DEP_1) | instskip(SKIP_2) | instid1(VALU_DEP_3)
	v_fmaak_f32 v29, s1, v28, 0x3ecc95a3
	v_mul_f32_e32 v30, v26, v28
	v_cmp_eq_f32_e64 s1, 0x7f800000, v25
	v_fmaak_f32 v28, v28, v29, 0x3f2aaada
	v_ldexp_f32 v29, v26, 1
	v_sub_f32_e32 v26, v26, v27
	s_delay_alu instid0(VALU_DEP_4) | instskip(NEXT) | instid1(VALU_DEP_3)
	s_or_b32 s1, s1, s14
	v_mul_f32_e32 v28, v30, v28
	v_mul_f32_e32 v30, 0x3f317218, v23
	s_delay_alu instid0(VALU_DEP_2) | instskip(NEXT) | instid1(VALU_DEP_1)
	v_dual_sub_f32 v24, v24, v26 :: v_dual_add_f32 v27, v29, v28
	v_ldexp_f32 v24, v24, 1
	s_delay_alu instid0(VALU_DEP_2) | instskip(NEXT) | instid1(VALU_DEP_4)
	v_sub_f32_e32 v26, v27, v29
	v_fma_f32 v29, 0x3f317218, v23, -v30
	s_delay_alu instid0(VALU_DEP_1) | instskip(NEXT) | instid1(VALU_DEP_1)
	v_dual_sub_f32 v26, v28, v26 :: v_dual_fmamk_f32 v23, v23, 0xb102e308, v29
	v_add_f32_e32 v24, v24, v26
	s_delay_alu instid0(VALU_DEP_2) | instskip(NEXT) | instid1(VALU_DEP_2)
	v_add_f32_e32 v26, v30, v23
	v_add_f32_e32 v28, v27, v24
	s_delay_alu instid0(VALU_DEP_2) | instskip(NEXT) | instid1(VALU_DEP_2)
	v_sub_f32_e32 v30, v26, v30
	v_add_f32_e32 v29, v26, v28
	v_sub_f32_e32 v27, v28, v27
	s_delay_alu instid0(VALU_DEP_3) | instskip(NEXT) | instid1(VALU_DEP_2)
	v_sub_f32_e32 v23, v23, v30
	v_dual_sub_f32 v31, v29, v26 :: v_dual_sub_f32 v24, v24, v27
	s_delay_alu instid0(VALU_DEP_1) | instskip(NEXT) | instid1(VALU_DEP_2)
	v_sub_f32_e32 v32, v29, v31
	v_dual_sub_f32 v27, v28, v31 :: v_dual_add_f32 v28, v23, v24
	s_delay_alu instid0(VALU_DEP_2) | instskip(NEXT) | instid1(VALU_DEP_1)
	v_sub_f32_e32 v26, v26, v32
	v_dual_add_f32 v26, v27, v26 :: v_dual_sub_f32 v27, v28, v23
	s_delay_alu instid0(VALU_DEP_1) | instskip(NEXT) | instid1(VALU_DEP_2)
	v_add_f32_e32 v26, v28, v26
	v_sub_f32_e32 v28, v28, v27
	v_sub_f32_e32 v24, v24, v27
	s_delay_alu instid0(VALU_DEP_2) | instskip(NEXT) | instid1(VALU_DEP_1)
	v_dual_add_f32 v30, v29, v26 :: v_dual_sub_f32 v23, v23, v28
	v_sub_f32_e32 v27, v30, v29
	s_delay_alu instid0(VALU_DEP_2) | instskip(NEXT) | instid1(VALU_DEP_2)
	v_add_f32_e32 v23, v24, v23
	v_sub_f32_e32 v24, v26, v27
	s_delay_alu instid0(VALU_DEP_1) | instskip(NEXT) | instid1(VALU_DEP_1)
	v_add_f32_e32 v23, v23, v24
	v_add_f32_e32 v23, v30, v23
	s_delay_alu instid0(VALU_DEP_1) | instskip(NEXT) | instid1(VALU_DEP_1)
	v_cndmask_b32_e64 v23, v23, v25, s1
	v_add_f32_e32 v24, v22, v23
.LBB173_44:
	s_or_b32 exec_lo, exec_lo, s13
	s_delay_alu instid0(VALU_DEP_1)
	v_mov_b32_e32 v23, v24
.LBB173_45:
	s_or_b32 exec_lo, exec_lo, s12
	ds_swizzle_b32 v24, v23 offset:swizzle(BROADCAST,32,15)
	v_and_b32_e32 v22, 16, v6
	s_mov_b32 s12, exec_lo
	s_delay_alu instid0(VALU_DEP_1)
	v_cmpx_ne_u32_e32 0, v22
	s_cbranch_execz .LBB173_49
; %bb.46:
	s_waitcnt lgkmcnt(0)
	v_dual_max_f32 v22, v23, v23 :: v_dual_max_f32 v25, v24, v24
	v_cmp_u_f32_e64 s1, v24, v24
	s_delay_alu instid0(VALU_DEP_2) | instskip(SKIP_1) | instid1(VALU_DEP_2)
	v_min_f32_e32 v26, v25, v22
	v_max_f32_e32 v22, v25, v22
	v_cndmask_b32_e64 v25, v26, v24, s1
	s_delay_alu instid0(VALU_DEP_2) | instskip(SKIP_1) | instid1(VALU_DEP_1)
	v_cndmask_b32_e64 v22, v22, v24, s1
	v_cmp_u_f32_e64 s1, v23, v23
	v_cndmask_b32_e64 v25, v25, v23, s1
	s_delay_alu instid0(VALU_DEP_3) | instskip(NEXT) | instid1(VALU_DEP_2)
	v_cndmask_b32_e64 v22, v22, v23, s1
	v_cmp_class_f32_e64 s13, v25, 0x1f8
	s_delay_alu instid0(VALU_DEP_2) | instskip(NEXT) | instid1(VALU_DEP_1)
	v_cmp_neq_f32_e64 s1, v25, v22
	s_or_b32 s1, s1, s13
	s_delay_alu instid0(SALU_CYCLE_1)
	s_and_saveexec_b32 s13, s1
	s_cbranch_execz .LBB173_48
; %bb.47:
	v_sub_f32_e32 v23, v25, v22
	s_delay_alu instid0(VALU_DEP_1) | instskip(NEXT) | instid1(VALU_DEP_1)
	v_mul_f32_e32 v24, 0x3fb8aa3b, v23
	v_fma_f32 v25, 0x3fb8aa3b, v23, -v24
	v_rndne_f32_e32 v26, v24
	s_delay_alu instid0(VALU_DEP_1) | instskip(NEXT) | instid1(VALU_DEP_1)
	v_dual_fmamk_f32 v25, v23, 0x32a5705f, v25 :: v_dual_sub_f32 v24, v24, v26
	v_add_f32_e32 v24, v24, v25
	v_cvt_i32_f32_e32 v25, v26
	v_cmp_ngt_f32_e64 s1, 0xc2ce8ed0, v23
	s_delay_alu instid0(VALU_DEP_3) | instskip(SKIP_2) | instid1(VALU_DEP_1)
	v_exp_f32_e32 v24, v24
	s_waitcnt_depctr 0xfff
	v_ldexp_f32 v24, v24, v25
	v_cndmask_b32_e64 v24, 0, v24, s1
	v_cmp_nlt_f32_e64 s1, 0x42b17218, v23
	s_delay_alu instid0(VALU_DEP_1) | instskip(NEXT) | instid1(VALU_DEP_1)
	v_cndmask_b32_e64 v25, 0x7f800000, v24, s1
	v_add_f32_e32 v26, 1.0, v25
	v_cmp_gt_f32_e64 s14, 0x33800000, |v25|
	s_delay_alu instid0(VALU_DEP_2) | instskip(NEXT) | instid1(VALU_DEP_1)
	v_cvt_f64_f32_e32 v[23:24], v26
	v_frexp_exp_i32_f64_e32 v23, v[23:24]
	v_frexp_mant_f32_e32 v24, v26
	s_delay_alu instid0(VALU_DEP_1) | instskip(SKIP_1) | instid1(VALU_DEP_1)
	v_cmp_gt_f32_e64 s1, 0x3f2aaaab, v24
	v_add_f32_e32 v24, -1.0, v26
	v_sub_f32_e32 v28, v24, v26
	s_delay_alu instid0(VALU_DEP_3) | instskip(SKIP_1) | instid1(VALU_DEP_1)
	v_subrev_co_ci_u32_e64 v23, s1, 0, v23, s1
	s_mov_b32 s1, 0x3e9b6dac
	v_sub_nc_u32_e32 v27, 0, v23
	v_cvt_f32_i32_e32 v23, v23
	s_delay_alu instid0(VALU_DEP_2) | instskip(NEXT) | instid1(VALU_DEP_1)
	v_ldexp_f32 v26, v26, v27
	v_dual_sub_f32 v24, v25, v24 :: v_dual_add_f32 v29, 1.0, v26
	v_add_f32_e32 v28, 1.0, v28
	s_delay_alu instid0(VALU_DEP_1) | instskip(NEXT) | instid1(VALU_DEP_3)
	v_add_f32_e32 v24, v24, v28
	v_add_f32_e32 v28, -1.0, v29
	s_delay_alu instid0(VALU_DEP_2) | instskip(NEXT) | instid1(VALU_DEP_2)
	v_ldexp_f32 v24, v24, v27
	v_dual_add_f32 v27, -1.0, v26 :: v_dual_sub_f32 v28, v26, v28
	s_delay_alu instid0(VALU_DEP_1) | instskip(NEXT) | instid1(VALU_DEP_2)
	v_add_f32_e32 v30, 1.0, v27
	v_add_f32_e32 v28, v24, v28
	s_delay_alu instid0(VALU_DEP_2) | instskip(NEXT) | instid1(VALU_DEP_2)
	v_sub_f32_e32 v26, v26, v30
	v_add_f32_e32 v30, v29, v28
	s_delay_alu instid0(VALU_DEP_2) | instskip(NEXT) | instid1(VALU_DEP_2)
	v_add_f32_e32 v24, v24, v26
	v_rcp_f32_e32 v26, v30
	v_sub_f32_e32 v29, v29, v30
	s_delay_alu instid0(VALU_DEP_1) | instskip(NEXT) | instid1(VALU_DEP_1)
	v_dual_add_f32 v31, v27, v24 :: v_dual_add_f32 v28, v28, v29
	v_sub_f32_e32 v27, v27, v31
	s_waitcnt_depctr 0xfff
	v_mul_f32_e32 v32, v31, v26
	s_delay_alu instid0(VALU_DEP_1) | instskip(NEXT) | instid1(VALU_DEP_1)
	v_dual_add_f32 v24, v24, v27 :: v_dual_mul_f32 v33, v30, v32
	v_fma_f32 v29, v32, v30, -v33
	s_delay_alu instid0(VALU_DEP_1) | instskip(NEXT) | instid1(VALU_DEP_1)
	v_fmac_f32_e32 v29, v32, v28
	v_add_f32_e32 v34, v33, v29
	s_delay_alu instid0(VALU_DEP_1) | instskip(SKIP_1) | instid1(VALU_DEP_2)
	v_sub_f32_e32 v35, v31, v34
	v_sub_f32_e32 v27, v34, v33
	;; [unrolled: 1-line block ×3, first 2 shown]
	s_delay_alu instid0(VALU_DEP_2) | instskip(NEXT) | instid1(VALU_DEP_2)
	v_sub_f32_e32 v27, v27, v29
	v_sub_f32_e32 v31, v31, v34
	s_delay_alu instid0(VALU_DEP_1) | instskip(NEXT) | instid1(VALU_DEP_1)
	v_add_f32_e32 v24, v24, v31
	v_add_f32_e32 v24, v27, v24
	s_delay_alu instid0(VALU_DEP_1) | instskip(NEXT) | instid1(VALU_DEP_1)
	v_add_f32_e32 v27, v35, v24
	v_mul_f32_e32 v29, v26, v27
	s_delay_alu instid0(VALU_DEP_1) | instskip(NEXT) | instid1(VALU_DEP_1)
	v_dual_sub_f32 v34, v35, v27 :: v_dual_mul_f32 v31, v30, v29
	v_add_f32_e32 v24, v24, v34
	s_delay_alu instid0(VALU_DEP_2) | instskip(NEXT) | instid1(VALU_DEP_1)
	v_fma_f32 v30, v29, v30, -v31
	v_fmac_f32_e32 v30, v29, v28
	s_delay_alu instid0(VALU_DEP_1) | instskip(NEXT) | instid1(VALU_DEP_1)
	v_add_f32_e32 v28, v31, v30
	v_sub_f32_e32 v33, v27, v28
	v_sub_f32_e32 v31, v28, v31
	s_delay_alu instid0(VALU_DEP_2) | instskip(NEXT) | instid1(VALU_DEP_1)
	v_sub_f32_e32 v27, v27, v33
	v_sub_f32_e32 v27, v27, v28
	s_delay_alu instid0(VALU_DEP_3) | instskip(NEXT) | instid1(VALU_DEP_2)
	v_sub_f32_e32 v28, v31, v30
	v_add_f32_e32 v24, v24, v27
	v_add_f32_e32 v27, v32, v29
	s_delay_alu instid0(VALU_DEP_2) | instskip(NEXT) | instid1(VALU_DEP_2)
	v_add_f32_e32 v24, v28, v24
	v_sub_f32_e32 v28, v27, v32
	s_delay_alu instid0(VALU_DEP_2) | instskip(NEXT) | instid1(VALU_DEP_2)
	v_add_f32_e32 v24, v33, v24
	v_sub_f32_e32 v28, v29, v28
	s_delay_alu instid0(VALU_DEP_2) | instskip(NEXT) | instid1(VALU_DEP_1)
	v_mul_f32_e32 v24, v26, v24
	v_add_f32_e32 v24, v28, v24
	s_delay_alu instid0(VALU_DEP_1) | instskip(NEXT) | instid1(VALU_DEP_1)
	v_add_f32_e32 v26, v27, v24
	v_mul_f32_e32 v28, v26, v26
	s_delay_alu instid0(VALU_DEP_1) | instskip(SKIP_2) | instid1(VALU_DEP_3)
	v_fmaak_f32 v29, s1, v28, 0x3ecc95a3
	v_mul_f32_e32 v30, v26, v28
	v_cmp_eq_f32_e64 s1, 0x7f800000, v25
	v_fmaak_f32 v28, v28, v29, 0x3f2aaada
	v_ldexp_f32 v29, v26, 1
	v_sub_f32_e32 v26, v26, v27
	s_delay_alu instid0(VALU_DEP_4) | instskip(NEXT) | instid1(VALU_DEP_3)
	s_or_b32 s1, s1, s14
	v_mul_f32_e32 v28, v30, v28
	v_mul_f32_e32 v30, 0x3f317218, v23
	s_delay_alu instid0(VALU_DEP_2) | instskip(NEXT) | instid1(VALU_DEP_1)
	v_dual_sub_f32 v24, v24, v26 :: v_dual_add_f32 v27, v29, v28
	v_ldexp_f32 v24, v24, 1
	s_delay_alu instid0(VALU_DEP_2) | instskip(NEXT) | instid1(VALU_DEP_4)
	v_sub_f32_e32 v26, v27, v29
	v_fma_f32 v29, 0x3f317218, v23, -v30
	s_delay_alu instid0(VALU_DEP_1) | instskip(NEXT) | instid1(VALU_DEP_1)
	v_dual_sub_f32 v26, v28, v26 :: v_dual_fmamk_f32 v23, v23, 0xb102e308, v29
	v_add_f32_e32 v24, v24, v26
	s_delay_alu instid0(VALU_DEP_2) | instskip(NEXT) | instid1(VALU_DEP_2)
	v_add_f32_e32 v26, v30, v23
	v_add_f32_e32 v28, v27, v24
	s_delay_alu instid0(VALU_DEP_2) | instskip(NEXT) | instid1(VALU_DEP_2)
	v_sub_f32_e32 v30, v26, v30
	v_add_f32_e32 v29, v26, v28
	v_sub_f32_e32 v27, v28, v27
	s_delay_alu instid0(VALU_DEP_3) | instskip(NEXT) | instid1(VALU_DEP_2)
	v_sub_f32_e32 v23, v23, v30
	v_dual_sub_f32 v31, v29, v26 :: v_dual_sub_f32 v24, v24, v27
	s_delay_alu instid0(VALU_DEP_1) | instskip(NEXT) | instid1(VALU_DEP_2)
	v_sub_f32_e32 v32, v29, v31
	v_dual_sub_f32 v27, v28, v31 :: v_dual_add_f32 v28, v23, v24
	s_delay_alu instid0(VALU_DEP_2) | instskip(NEXT) | instid1(VALU_DEP_1)
	v_sub_f32_e32 v26, v26, v32
	v_dual_add_f32 v26, v27, v26 :: v_dual_sub_f32 v27, v28, v23
	s_delay_alu instid0(VALU_DEP_1) | instskip(NEXT) | instid1(VALU_DEP_2)
	v_add_f32_e32 v26, v28, v26
	v_sub_f32_e32 v28, v28, v27
	v_sub_f32_e32 v24, v24, v27
	s_delay_alu instid0(VALU_DEP_2) | instskip(NEXT) | instid1(VALU_DEP_1)
	v_dual_add_f32 v30, v29, v26 :: v_dual_sub_f32 v23, v23, v28
	v_sub_f32_e32 v27, v30, v29
	s_delay_alu instid0(VALU_DEP_2) | instskip(NEXT) | instid1(VALU_DEP_2)
	v_add_f32_e32 v23, v24, v23
	v_sub_f32_e32 v24, v26, v27
	s_delay_alu instid0(VALU_DEP_1) | instskip(NEXT) | instid1(VALU_DEP_1)
	v_add_f32_e32 v23, v23, v24
	v_add_f32_e32 v23, v30, v23
	s_delay_alu instid0(VALU_DEP_1) | instskip(NEXT) | instid1(VALU_DEP_1)
	v_cndmask_b32_e64 v23, v23, v25, s1
	v_add_f32_e32 v24, v22, v23
.LBB173_48:
	s_or_b32 exec_lo, exec_lo, s13
	s_delay_alu instid0(VALU_DEP_1)
	v_mov_b32_e32 v23, v24
.LBB173_49:
	s_or_b32 exec_lo, exec_lo, s12
	v_add_nc_u32_e32 v22, -1, v6
	s_delay_alu instid0(VALU_DEP_1) | instskip(NEXT) | instid1(VALU_DEP_1)
	v_cmp_gt_i32_e64 s1, 0, v22
	v_cndmask_b32_e64 v6, v22, v6, s1
	s_delay_alu instid0(VALU_DEP_1) | instskip(SKIP_4) | instid1(VALU_DEP_2)
	v_lshlrev_b32_e32 v6, 2, v6
	ds_bpermute_b32 v6, v6, v23
	s_waitcnt lgkmcnt(0)
	v_max_f32_e32 v22, v6, v6
	v_cmp_u_f32_e64 s1, v6, v6
	v_min_f32_e32 v23, v22, v21
	v_max_f32_e32 v21, v22, v21
	s_delay_alu instid0(VALU_DEP_2) | instskip(NEXT) | instid1(VALU_DEP_2)
	v_cndmask_b32_e64 v22, v23, v6, s1
	v_cndmask_b32_e64 v23, v21, v6, s1
	s_delay_alu instid0(VALU_DEP_2) | instskip(NEXT) | instid1(VALU_DEP_2)
	v_cndmask_b32_e64 v21, v22, v5, s0
	v_cndmask_b32_e64 v5, v23, v5, s0
	s_delay_alu instid0(VALU_DEP_2) | instskip(NEXT) | instid1(VALU_DEP_2)
	v_cmp_class_f32_e64 s1, v21, 0x1f8
	v_cmp_neq_f32_e64 s0, v21, v5
	s_delay_alu instid0(VALU_DEP_1) | instskip(NEXT) | instid1(SALU_CYCLE_1)
	s_or_b32 s0, s0, s1
	s_and_saveexec_b32 s1, s0
	s_cbranch_execz .LBB173_51
; %bb.50:
	v_sub_f32_e32 v6, v21, v5
	s_delay_alu instid0(VALU_DEP_1) | instskip(SKIP_1) | instid1(VALU_DEP_2)
	v_mul_f32_e32 v21, 0x3fb8aa3b, v6
	v_cmp_ngt_f32_e64 s0, 0xc2ce8ed0, v6
	v_fma_f32 v22, 0x3fb8aa3b, v6, -v21
	v_rndne_f32_e32 v23, v21
	s_delay_alu instid0(VALU_DEP_1) | instskip(NEXT) | instid1(VALU_DEP_1)
	v_dual_fmamk_f32 v22, v6, 0x32a5705f, v22 :: v_dual_sub_f32 v21, v21, v23
	v_add_f32_e32 v21, v21, v22
	v_cvt_i32_f32_e32 v22, v23
	s_delay_alu instid0(VALU_DEP_2) | instskip(SKIP_2) | instid1(VALU_DEP_1)
	v_exp_f32_e32 v21, v21
	s_waitcnt_depctr 0xfff
	v_ldexp_f32 v21, v21, v22
	v_cndmask_b32_e64 v21, 0, v21, s0
	v_cmp_nlt_f32_e64 s0, 0x42b17218, v6
	s_delay_alu instid0(VALU_DEP_1) | instskip(NEXT) | instid1(VALU_DEP_1)
	v_cndmask_b32_e64 v6, 0x7f800000, v21, s0
	v_add_f32_e32 v23, 1.0, v6
	v_cmp_gt_f32_e64 s12, 0x33800000, |v6|
	s_delay_alu instid0(VALU_DEP_2) | instskip(NEXT) | instid1(VALU_DEP_1)
	v_cvt_f64_f32_e32 v[21:22], v23
	v_frexp_exp_i32_f64_e32 v21, v[21:22]
	v_frexp_mant_f32_e32 v22, v23
	s_delay_alu instid0(VALU_DEP_1) | instskip(SKIP_1) | instid1(VALU_DEP_1)
	v_cmp_gt_f32_e64 s0, 0x3f2aaaab, v22
	v_add_f32_e32 v22, -1.0, v23
	v_sub_f32_e32 v25, v22, v23
	s_delay_alu instid0(VALU_DEP_1) | instskip(NEXT) | instid1(VALU_DEP_1)
	v_dual_sub_f32 v22, v6, v22 :: v_dual_add_f32 v25, 1.0, v25
	v_add_f32_e32 v22, v22, v25
	v_subrev_co_ci_u32_e64 v21, s0, 0, v21, s0
	s_mov_b32 s0, 0x3e9b6dac
	s_delay_alu instid0(VALU_DEP_1) | instskip(SKIP_1) | instid1(VALU_DEP_2)
	v_sub_nc_u32_e32 v24, 0, v21
	v_cvt_f32_i32_e32 v21, v21
	v_ldexp_f32 v23, v23, v24
	v_ldexp_f32 v22, v22, v24
	s_delay_alu instid0(VALU_DEP_2) | instskip(NEXT) | instid1(VALU_DEP_1)
	v_add_f32_e32 v26, 1.0, v23
	v_dual_add_f32 v24, -1.0, v23 :: v_dual_add_f32 v25, -1.0, v26
	s_delay_alu instid0(VALU_DEP_1) | instskip(NEXT) | instid1(VALU_DEP_2)
	v_add_f32_e32 v27, 1.0, v24
	v_sub_f32_e32 v25, v23, v25
	s_delay_alu instid0(VALU_DEP_2) | instskip(NEXT) | instid1(VALU_DEP_2)
	v_sub_f32_e32 v23, v23, v27
	v_add_f32_e32 v25, v22, v25
	s_delay_alu instid0(VALU_DEP_2) | instskip(NEXT) | instid1(VALU_DEP_1)
	v_add_f32_e32 v22, v22, v23
	v_dual_add_f32 v28, v24, v22 :: v_dual_add_f32 v27, v26, v25
	s_delay_alu instid0(VALU_DEP_1) | instskip(NEXT) | instid1(VALU_DEP_2)
	v_sub_f32_e32 v24, v24, v28
	v_rcp_f32_e32 v23, v27
	v_sub_f32_e32 v26, v26, v27
	s_delay_alu instid0(VALU_DEP_1) | instskip(SKIP_2) | instid1(VALU_DEP_1)
	v_dual_add_f32 v22, v22, v24 :: v_dual_add_f32 v25, v25, v26
	s_waitcnt_depctr 0xfff
	v_mul_f32_e32 v29, v28, v23
	v_mul_f32_e32 v30, v27, v29
	s_delay_alu instid0(VALU_DEP_1) | instskip(NEXT) | instid1(VALU_DEP_1)
	v_fma_f32 v26, v29, v27, -v30
	v_fmac_f32_e32 v26, v29, v25
	s_delay_alu instid0(VALU_DEP_1) | instskip(NEXT) | instid1(VALU_DEP_1)
	v_add_f32_e32 v31, v30, v26
	v_sub_f32_e32 v32, v28, v31
	s_delay_alu instid0(VALU_DEP_1) | instskip(SKIP_1) | instid1(VALU_DEP_2)
	v_sub_f32_e32 v28, v28, v32
	v_sub_f32_e32 v24, v31, v30
	;; [unrolled: 1-line block ×3, first 2 shown]
	s_delay_alu instid0(VALU_DEP_2) | instskip(NEXT) | instid1(VALU_DEP_2)
	v_sub_f32_e32 v24, v24, v26
	v_add_f32_e32 v22, v22, v28
	s_delay_alu instid0(VALU_DEP_1) | instskip(NEXT) | instid1(VALU_DEP_1)
	v_add_f32_e32 v22, v24, v22
	v_add_f32_e32 v24, v32, v22
	s_delay_alu instid0(VALU_DEP_1) | instskip(NEXT) | instid1(VALU_DEP_1)
	v_mul_f32_e32 v26, v23, v24
	v_dual_sub_f32 v31, v32, v24 :: v_dual_mul_f32 v28, v27, v26
	s_delay_alu instid0(VALU_DEP_1) | instskip(NEXT) | instid1(VALU_DEP_2)
	v_add_f32_e32 v22, v22, v31
	v_fma_f32 v27, v26, v27, -v28
	s_delay_alu instid0(VALU_DEP_1) | instskip(NEXT) | instid1(VALU_DEP_1)
	v_fmac_f32_e32 v27, v26, v25
	v_add_f32_e32 v25, v28, v27
	s_delay_alu instid0(VALU_DEP_1) | instskip(SKIP_1) | instid1(VALU_DEP_2)
	v_sub_f32_e32 v30, v24, v25
	v_sub_f32_e32 v28, v25, v28
	;; [unrolled: 1-line block ×3, first 2 shown]
	s_delay_alu instid0(VALU_DEP_1) | instskip(NEXT) | instid1(VALU_DEP_1)
	v_sub_f32_e32 v24, v24, v25
	v_dual_sub_f32 v25, v28, v27 :: v_dual_add_f32 v22, v22, v24
	v_add_f32_e32 v24, v29, v26
	s_delay_alu instid0(VALU_DEP_1) | instskip(NEXT) | instid1(VALU_DEP_1)
	v_dual_add_f32 v22, v25, v22 :: v_dual_sub_f32 v25, v24, v29
	v_add_f32_e32 v22, v30, v22
	s_delay_alu instid0(VALU_DEP_1) | instskip(NEXT) | instid1(VALU_DEP_1)
	v_dual_sub_f32 v25, v26, v25 :: v_dual_mul_f32 v22, v23, v22
	v_add_f32_e32 v22, v25, v22
	s_delay_alu instid0(VALU_DEP_1) | instskip(NEXT) | instid1(VALU_DEP_1)
	v_add_f32_e32 v23, v24, v22
	v_mul_f32_e32 v25, v23, v23
	s_delay_alu instid0(VALU_DEP_1) | instskip(SKIP_2) | instid1(VALU_DEP_3)
	v_fmaak_f32 v26, s0, v25, 0x3ecc95a3
	v_mul_f32_e32 v27, v23, v25
	v_cmp_eq_f32_e64 s0, 0x7f800000, v6
	v_fmaak_f32 v25, v25, v26, 0x3f2aaada
	v_ldexp_f32 v26, v23, 1
	v_sub_f32_e32 v23, v23, v24
	s_delay_alu instid0(VALU_DEP_4) | instskip(NEXT) | instid1(VALU_DEP_3)
	s_or_b32 s0, s0, s12
	v_mul_f32_e32 v25, v27, v25
	s_delay_alu instid0(VALU_DEP_2) | instskip(NEXT) | instid1(VALU_DEP_2)
	v_dual_mul_f32 v27, 0x3f317218, v21 :: v_dual_sub_f32 v22, v22, v23
	v_add_f32_e32 v24, v26, v25
	s_delay_alu instid0(VALU_DEP_2) | instskip(NEXT) | instid1(VALU_DEP_2)
	v_ldexp_f32 v22, v22, 1
	v_sub_f32_e32 v23, v24, v26
	s_delay_alu instid0(VALU_DEP_4) | instskip(NEXT) | instid1(VALU_DEP_2)
	v_fma_f32 v26, 0x3f317218, v21, -v27
	v_sub_f32_e32 v23, v25, v23
	s_delay_alu instid0(VALU_DEP_1) | instskip(NEXT) | instid1(VALU_DEP_1)
	v_dual_fmamk_f32 v21, v21, 0xb102e308, v26 :: v_dual_add_f32 v22, v22, v23
	v_add_f32_e32 v23, v27, v21
	s_delay_alu instid0(VALU_DEP_1) | instskip(NEXT) | instid1(VALU_DEP_1)
	v_sub_f32_e32 v27, v23, v27
	v_sub_f32_e32 v21, v21, v27
	s_delay_alu instid0(VALU_DEP_4) | instskip(NEXT) | instid1(VALU_DEP_1)
	v_add_f32_e32 v25, v24, v22
	v_sub_f32_e32 v24, v25, v24
	s_delay_alu instid0(VALU_DEP_1) | instskip(SKIP_1) | instid1(VALU_DEP_1)
	v_sub_f32_e32 v22, v22, v24
	v_add_f32_e32 v26, v23, v25
	v_sub_f32_e32 v28, v26, v23
	s_delay_alu instid0(VALU_DEP_1) | instskip(NEXT) | instid1(VALU_DEP_4)
	v_sub_f32_e32 v24, v25, v28
	v_add_f32_e32 v25, v21, v22
	v_sub_f32_e32 v29, v26, v28
	s_delay_alu instid0(VALU_DEP_1) | instskip(NEXT) | instid1(VALU_DEP_1)
	v_sub_f32_e32 v23, v23, v29
	v_dual_add_f32 v23, v24, v23 :: v_dual_sub_f32 v24, v25, v21
	s_delay_alu instid0(VALU_DEP_1) | instskip(SKIP_1) | instid1(VALU_DEP_2)
	v_dual_add_f32 v23, v25, v23 :: v_dual_sub_f32 v22, v22, v24
	v_sub_f32_e32 v25, v25, v24
	v_add_f32_e32 v27, v26, v23
	s_delay_alu instid0(VALU_DEP_1) | instskip(NEXT) | instid1(VALU_DEP_1)
	v_dual_sub_f32 v21, v21, v25 :: v_dual_sub_f32 v24, v27, v26
	v_dual_add_f32 v21, v22, v21 :: v_dual_sub_f32 v22, v23, v24
	s_delay_alu instid0(VALU_DEP_1) | instskip(NEXT) | instid1(VALU_DEP_1)
	v_add_f32_e32 v21, v21, v22
	v_add_f32_e32 v21, v27, v21
	s_delay_alu instid0(VALU_DEP_1) | instskip(NEXT) | instid1(VALU_DEP_1)
	v_cndmask_b32_e64 v6, v21, v6, s0
	v_add_f32_e32 v6, v5, v6
.LBB173_51:
	s_or_b32 exec_lo, exec_lo, s1
	v_cmp_eq_u32_e64 s0, 0, v0
	; wave barrier
	s_delay_alu instid0(VALU_DEP_1)
	v_cndmask_b32_e64 v5, v6, v19, s0
	ds_store_b32 v20, v5
	; wave barrier
	ds_load_b32 v6, v20 offset:4
	v_max_f32_e32 v21, v5, v5
	v_cmp_u_f32_e64 s0, v5, v5
	s_waitcnt lgkmcnt(0)
	v_max_f32_e32 v22, v6, v6
	s_delay_alu instid0(VALU_DEP_1) | instskip(SKIP_1) | instid1(VALU_DEP_2)
	v_min_f32_e32 v23, v21, v22
	v_max_f32_e32 v21, v21, v22
	v_cndmask_b32_e64 v22, v23, v5, s0
	s_delay_alu instid0(VALU_DEP_2) | instskip(SKIP_1) | instid1(VALU_DEP_1)
	v_cndmask_b32_e64 v23, v21, v5, s0
	v_cmp_u_f32_e64 s0, v6, v6
	v_cndmask_b32_e64 v21, v22, v6, s0
	s_delay_alu instid0(VALU_DEP_3) | instskip(NEXT) | instid1(VALU_DEP_2)
	v_cndmask_b32_e64 v6, v23, v6, s0
	v_cmp_class_f32_e64 s1, v21, 0x1f8
	s_delay_alu instid0(VALU_DEP_2) | instskip(NEXT) | instid1(VALU_DEP_1)
	v_cmp_neq_f32_e64 s0, v21, v6
	s_or_b32 s0, s0, s1
	s_delay_alu instid0(SALU_CYCLE_1)
	s_and_saveexec_b32 s1, s0
	s_cbranch_execz .LBB173_53
; %bb.52:
	v_sub_f32_e32 v5, v21, v6
	s_delay_alu instid0(VALU_DEP_1) | instskip(SKIP_1) | instid1(VALU_DEP_2)
	v_mul_f32_e32 v21, 0x3fb8aa3b, v5
	v_cmp_ngt_f32_e64 s0, 0xc2ce8ed0, v5
	v_fma_f32 v22, 0x3fb8aa3b, v5, -v21
	v_rndne_f32_e32 v23, v21
	s_delay_alu instid0(VALU_DEP_2) | instskip(NEXT) | instid1(VALU_DEP_2)
	v_fmamk_f32 v22, v5, 0x32a5705f, v22
	v_sub_f32_e32 v21, v21, v23
	s_delay_alu instid0(VALU_DEP_1) | instskip(SKIP_1) | instid1(VALU_DEP_2)
	v_add_f32_e32 v21, v21, v22
	v_cvt_i32_f32_e32 v22, v23
	v_exp_f32_e32 v21, v21
	s_waitcnt_depctr 0xfff
	v_ldexp_f32 v21, v21, v22
	s_delay_alu instid0(VALU_DEP_1) | instskip(SKIP_1) | instid1(VALU_DEP_1)
	v_cndmask_b32_e64 v21, 0, v21, s0
	v_cmp_nlt_f32_e64 s0, 0x42b17218, v5
	v_cndmask_b32_e64 v5, 0x7f800000, v21, s0
	s_delay_alu instid0(VALU_DEP_1) | instskip(SKIP_1) | instid1(VALU_DEP_2)
	v_add_f32_e32 v23, 1.0, v5
	v_cmp_gt_f32_e64 s12, 0x33800000, |v5|
	v_cvt_f64_f32_e32 v[21:22], v23
	s_delay_alu instid0(VALU_DEP_1) | instskip(SKIP_1) | instid1(VALU_DEP_1)
	v_frexp_exp_i32_f64_e32 v21, v[21:22]
	v_frexp_mant_f32_e32 v22, v23
	v_cmp_gt_f32_e64 s0, 0x3f2aaaab, v22
	v_add_f32_e32 v22, -1.0, v23
	s_delay_alu instid0(VALU_DEP_1) | instskip(NEXT) | instid1(VALU_DEP_3)
	v_dual_sub_f32 v25, v22, v23 :: v_dual_sub_f32 v22, v5, v22
	v_subrev_co_ci_u32_e64 v21, s0, 0, v21, s0
	s_mov_b32 s0, 0x3e9b6dac
	s_delay_alu instid0(VALU_DEP_1) | instskip(SKIP_1) | instid1(VALU_DEP_2)
	v_sub_nc_u32_e32 v24, 0, v21
	v_cvt_f32_i32_e32 v21, v21
	v_ldexp_f32 v23, v23, v24
	s_delay_alu instid0(VALU_DEP_1) | instskip(NEXT) | instid1(VALU_DEP_1)
	v_dual_add_f32 v25, 1.0, v25 :: v_dual_add_f32 v26, 1.0, v23
	v_add_f32_e32 v22, v22, v25
	s_delay_alu instid0(VALU_DEP_1) | instskip(NEXT) | instid1(VALU_DEP_3)
	v_ldexp_f32 v22, v22, v24
	v_dual_add_f32 v24, -1.0, v23 :: v_dual_add_f32 v25, -1.0, v26
	s_delay_alu instid0(VALU_DEP_1) | instskip(NEXT) | instid1(VALU_DEP_2)
	v_add_f32_e32 v27, 1.0, v24
	v_sub_f32_e32 v25, v23, v25
	s_delay_alu instid0(VALU_DEP_2) | instskip(NEXT) | instid1(VALU_DEP_2)
	v_sub_f32_e32 v23, v23, v27
	v_add_f32_e32 v25, v22, v25
	s_delay_alu instid0(VALU_DEP_2) | instskip(NEXT) | instid1(VALU_DEP_1)
	v_add_f32_e32 v22, v22, v23
	v_dual_add_f32 v28, v24, v22 :: v_dual_add_f32 v27, v26, v25
	s_delay_alu instid0(VALU_DEP_1) | instskip(NEXT) | instid1(VALU_DEP_2)
	v_sub_f32_e32 v24, v24, v28
	v_rcp_f32_e32 v23, v27
	v_sub_f32_e32 v26, v26, v27
	s_delay_alu instid0(VALU_DEP_1) | instskip(SKIP_2) | instid1(VALU_DEP_1)
	v_dual_add_f32 v22, v22, v24 :: v_dual_add_f32 v25, v25, v26
	s_waitcnt_depctr 0xfff
	v_mul_f32_e32 v29, v28, v23
	v_mul_f32_e32 v30, v27, v29
	s_delay_alu instid0(VALU_DEP_1) | instskip(NEXT) | instid1(VALU_DEP_1)
	v_fma_f32 v26, v29, v27, -v30
	v_fmac_f32_e32 v26, v29, v25
	s_delay_alu instid0(VALU_DEP_1) | instskip(NEXT) | instid1(VALU_DEP_1)
	v_add_f32_e32 v31, v30, v26
	v_sub_f32_e32 v32, v28, v31
	v_sub_f32_e32 v24, v31, v30
	s_delay_alu instid0(VALU_DEP_2) | instskip(NEXT) | instid1(VALU_DEP_2)
	v_sub_f32_e32 v28, v28, v32
	v_sub_f32_e32 v24, v24, v26
	s_delay_alu instid0(VALU_DEP_2) | instskip(NEXT) | instid1(VALU_DEP_1)
	v_sub_f32_e32 v28, v28, v31
	v_add_f32_e32 v22, v22, v28
	s_delay_alu instid0(VALU_DEP_1) | instskip(NEXT) | instid1(VALU_DEP_1)
	v_add_f32_e32 v22, v24, v22
	v_add_f32_e32 v24, v32, v22
	s_delay_alu instid0(VALU_DEP_1) | instskip(NEXT) | instid1(VALU_DEP_1)
	v_mul_f32_e32 v26, v23, v24
	v_dual_sub_f32 v31, v32, v24 :: v_dual_mul_f32 v28, v27, v26
	s_delay_alu instid0(VALU_DEP_1) | instskip(NEXT) | instid1(VALU_DEP_2)
	v_add_f32_e32 v22, v22, v31
	v_fma_f32 v27, v26, v27, -v28
	s_delay_alu instid0(VALU_DEP_1) | instskip(NEXT) | instid1(VALU_DEP_1)
	v_fmac_f32_e32 v27, v26, v25
	v_add_f32_e32 v25, v28, v27
	s_delay_alu instid0(VALU_DEP_1) | instskip(NEXT) | instid1(VALU_DEP_1)
	v_sub_f32_e32 v30, v24, v25
	v_sub_f32_e32 v24, v24, v30
	s_delay_alu instid0(VALU_DEP_1) | instskip(NEXT) | instid1(VALU_DEP_1)
	v_sub_f32_e32 v24, v24, v25
	v_add_f32_e32 v22, v22, v24
	v_add_f32_e32 v24, v29, v26
	v_sub_f32_e32 v28, v25, v28
	s_delay_alu instid0(VALU_DEP_1) | instskip(NEXT) | instid1(VALU_DEP_1)
	v_sub_f32_e32 v25, v28, v27
	v_dual_add_f32 v22, v25, v22 :: v_dual_sub_f32 v25, v24, v29
	s_delay_alu instid0(VALU_DEP_1) | instskip(NEXT) | instid1(VALU_DEP_1)
	v_add_f32_e32 v22, v30, v22
	v_dual_sub_f32 v25, v26, v25 :: v_dual_mul_f32 v22, v23, v22
	s_delay_alu instid0(VALU_DEP_1) | instskip(NEXT) | instid1(VALU_DEP_1)
	v_add_f32_e32 v22, v25, v22
	v_add_f32_e32 v23, v24, v22
	s_delay_alu instid0(VALU_DEP_1) | instskip(NEXT) | instid1(VALU_DEP_1)
	v_mul_f32_e32 v25, v23, v23
	v_fmaak_f32 v26, s0, v25, 0x3ecc95a3
	v_mul_f32_e32 v27, v23, v25
	v_cmp_eq_f32_e64 s0, 0x7f800000, v5
	s_delay_alu instid0(VALU_DEP_3) | instskip(SKIP_2) | instid1(VALU_DEP_4)
	v_fmaak_f32 v25, v25, v26, 0x3f2aaada
	v_ldexp_f32 v26, v23, 1
	v_sub_f32_e32 v23, v23, v24
	s_or_b32 s0, s0, s12
	s_delay_alu instid0(VALU_DEP_3) | instskip(NEXT) | instid1(VALU_DEP_2)
	v_mul_f32_e32 v25, v27, v25
	v_dual_mul_f32 v27, 0x3f317218, v21 :: v_dual_sub_f32 v22, v22, v23
	s_delay_alu instid0(VALU_DEP_2) | instskip(NEXT) | instid1(VALU_DEP_2)
	v_add_f32_e32 v24, v26, v25
	v_ldexp_f32 v22, v22, 1
	s_delay_alu instid0(VALU_DEP_2) | instskip(NEXT) | instid1(VALU_DEP_4)
	v_sub_f32_e32 v23, v24, v26
	v_fma_f32 v26, 0x3f317218, v21, -v27
	s_delay_alu instid0(VALU_DEP_2) | instskip(NEXT) | instid1(VALU_DEP_1)
	v_sub_f32_e32 v23, v25, v23
	v_dual_fmamk_f32 v21, v21, 0xb102e308, v26 :: v_dual_add_f32 v22, v22, v23
	s_delay_alu instid0(VALU_DEP_1) | instskip(NEXT) | instid1(VALU_DEP_1)
	v_add_f32_e32 v23, v27, v21
	v_sub_f32_e32 v27, v23, v27
	s_delay_alu instid0(VALU_DEP_1) | instskip(NEXT) | instid1(VALU_DEP_4)
	v_sub_f32_e32 v21, v21, v27
	v_add_f32_e32 v25, v24, v22
	s_delay_alu instid0(VALU_DEP_1) | instskip(NEXT) | instid1(VALU_DEP_1)
	v_sub_f32_e32 v24, v25, v24
	v_sub_f32_e32 v22, v22, v24
	v_add_f32_e32 v26, v23, v25
	s_delay_alu instid0(VALU_DEP_1) | instskip(NEXT) | instid1(VALU_DEP_1)
	v_sub_f32_e32 v28, v26, v23
	v_sub_f32_e32 v24, v25, v28
	s_delay_alu instid0(VALU_DEP_4) | instskip(SKIP_1) | instid1(VALU_DEP_1)
	v_add_f32_e32 v25, v21, v22
	v_sub_f32_e32 v29, v26, v28
	v_sub_f32_e32 v23, v23, v29
	s_delay_alu instid0(VALU_DEP_1) | instskip(NEXT) | instid1(VALU_DEP_1)
	v_dual_add_f32 v23, v24, v23 :: v_dual_sub_f32 v24, v25, v21
	v_dual_add_f32 v23, v25, v23 :: v_dual_sub_f32 v22, v22, v24
	v_sub_f32_e32 v25, v25, v24
	s_delay_alu instid0(VALU_DEP_2) | instskip(NEXT) | instid1(VALU_DEP_1)
	v_add_f32_e32 v27, v26, v23
	v_dual_sub_f32 v21, v21, v25 :: v_dual_sub_f32 v24, v27, v26
	s_delay_alu instid0(VALU_DEP_1) | instskip(NEXT) | instid1(VALU_DEP_1)
	v_dual_add_f32 v21, v22, v21 :: v_dual_sub_f32 v22, v23, v24
	v_add_f32_e32 v21, v21, v22
	s_delay_alu instid0(VALU_DEP_1) | instskip(NEXT) | instid1(VALU_DEP_1)
	v_add_f32_e32 v21, v27, v21
	v_cndmask_b32_e64 v5, v21, v5, s0
	s_delay_alu instid0(VALU_DEP_1)
	v_add_f32_e32 v5, v6, v5
.LBB173_53:
	s_or_b32 exec_lo, exec_lo, s1
	ds_load_b32 v6, v20 offset:8
	v_max_f32_e32 v21, v5, v5
	v_cmp_u_f32_e64 s0, v5, v5
	ds_store_b32 v20, v5 offset:4
	s_waitcnt lgkmcnt(1)
	v_max_f32_e32 v22, v6, v6
	s_delay_alu instid0(VALU_DEP_1) | instskip(SKIP_1) | instid1(VALU_DEP_2)
	v_min_f32_e32 v23, v21, v22
	v_max_f32_e32 v21, v21, v22
	v_cndmask_b32_e64 v22, v23, v5, s0
	s_delay_alu instid0(VALU_DEP_2) | instskip(SKIP_1) | instid1(VALU_DEP_1)
	v_cndmask_b32_e64 v23, v21, v5, s0
	v_cmp_u_f32_e64 s0, v6, v6
	v_cndmask_b32_e64 v21, v22, v6, s0
	s_delay_alu instid0(VALU_DEP_3) | instskip(NEXT) | instid1(VALU_DEP_2)
	v_cndmask_b32_e64 v6, v23, v6, s0
	v_cmp_class_f32_e64 s1, v21, 0x1f8
	s_delay_alu instid0(VALU_DEP_2) | instskip(NEXT) | instid1(VALU_DEP_1)
	v_cmp_neq_f32_e64 s0, v21, v6
	s_or_b32 s0, s0, s1
	s_delay_alu instid0(SALU_CYCLE_1)
	s_and_saveexec_b32 s1, s0
	s_cbranch_execz .LBB173_55
; %bb.54:
	v_sub_f32_e32 v5, v21, v6
	s_delay_alu instid0(VALU_DEP_1) | instskip(SKIP_1) | instid1(VALU_DEP_2)
	v_mul_f32_e32 v21, 0x3fb8aa3b, v5
	v_cmp_ngt_f32_e64 s0, 0xc2ce8ed0, v5
	v_fma_f32 v22, 0x3fb8aa3b, v5, -v21
	v_rndne_f32_e32 v23, v21
	s_delay_alu instid0(VALU_DEP_2) | instskip(NEXT) | instid1(VALU_DEP_2)
	v_fmamk_f32 v22, v5, 0x32a5705f, v22
	v_sub_f32_e32 v21, v21, v23
	s_delay_alu instid0(VALU_DEP_1) | instskip(SKIP_1) | instid1(VALU_DEP_2)
	v_add_f32_e32 v21, v21, v22
	v_cvt_i32_f32_e32 v22, v23
	v_exp_f32_e32 v21, v21
	s_waitcnt_depctr 0xfff
	v_ldexp_f32 v21, v21, v22
	s_delay_alu instid0(VALU_DEP_1) | instskip(SKIP_1) | instid1(VALU_DEP_1)
	v_cndmask_b32_e64 v21, 0, v21, s0
	v_cmp_nlt_f32_e64 s0, 0x42b17218, v5
	v_cndmask_b32_e64 v5, 0x7f800000, v21, s0
	s_delay_alu instid0(VALU_DEP_1) | instskip(SKIP_1) | instid1(VALU_DEP_2)
	v_add_f32_e32 v23, 1.0, v5
	v_cmp_gt_f32_e64 s12, 0x33800000, |v5|
	v_cvt_f64_f32_e32 v[21:22], v23
	s_delay_alu instid0(VALU_DEP_1) | instskip(SKIP_1) | instid1(VALU_DEP_1)
	v_frexp_exp_i32_f64_e32 v21, v[21:22]
	v_frexp_mant_f32_e32 v22, v23
	v_cmp_gt_f32_e64 s0, 0x3f2aaaab, v22
	v_add_f32_e32 v22, -1.0, v23
	s_delay_alu instid0(VALU_DEP_1) | instskip(NEXT) | instid1(VALU_DEP_3)
	v_dual_sub_f32 v25, v22, v23 :: v_dual_sub_f32 v22, v5, v22
	v_subrev_co_ci_u32_e64 v21, s0, 0, v21, s0
	s_mov_b32 s0, 0x3e9b6dac
	s_delay_alu instid0(VALU_DEP_1) | instskip(SKIP_1) | instid1(VALU_DEP_2)
	v_sub_nc_u32_e32 v24, 0, v21
	v_cvt_f32_i32_e32 v21, v21
	v_ldexp_f32 v23, v23, v24
	s_delay_alu instid0(VALU_DEP_1) | instskip(NEXT) | instid1(VALU_DEP_1)
	v_dual_add_f32 v25, 1.0, v25 :: v_dual_add_f32 v26, 1.0, v23
	v_add_f32_e32 v22, v22, v25
	s_delay_alu instid0(VALU_DEP_1) | instskip(NEXT) | instid1(VALU_DEP_3)
	v_ldexp_f32 v22, v22, v24
	v_dual_add_f32 v24, -1.0, v23 :: v_dual_add_f32 v25, -1.0, v26
	s_delay_alu instid0(VALU_DEP_1) | instskip(NEXT) | instid1(VALU_DEP_2)
	v_add_f32_e32 v27, 1.0, v24
	v_sub_f32_e32 v25, v23, v25
	s_delay_alu instid0(VALU_DEP_2) | instskip(NEXT) | instid1(VALU_DEP_2)
	v_sub_f32_e32 v23, v23, v27
	v_add_f32_e32 v25, v22, v25
	s_delay_alu instid0(VALU_DEP_2) | instskip(NEXT) | instid1(VALU_DEP_1)
	v_add_f32_e32 v22, v22, v23
	v_dual_add_f32 v28, v24, v22 :: v_dual_add_f32 v27, v26, v25
	s_delay_alu instid0(VALU_DEP_1) | instskip(NEXT) | instid1(VALU_DEP_2)
	v_sub_f32_e32 v24, v24, v28
	v_rcp_f32_e32 v23, v27
	v_sub_f32_e32 v26, v26, v27
	s_delay_alu instid0(VALU_DEP_1) | instskip(SKIP_2) | instid1(VALU_DEP_1)
	v_dual_add_f32 v22, v22, v24 :: v_dual_add_f32 v25, v25, v26
	s_waitcnt_depctr 0xfff
	v_mul_f32_e32 v29, v28, v23
	v_mul_f32_e32 v30, v27, v29
	s_delay_alu instid0(VALU_DEP_1) | instskip(NEXT) | instid1(VALU_DEP_1)
	v_fma_f32 v26, v29, v27, -v30
	v_fmac_f32_e32 v26, v29, v25
	s_delay_alu instid0(VALU_DEP_1) | instskip(NEXT) | instid1(VALU_DEP_1)
	v_add_f32_e32 v31, v30, v26
	v_sub_f32_e32 v32, v28, v31
	v_sub_f32_e32 v24, v31, v30
	s_delay_alu instid0(VALU_DEP_2) | instskip(NEXT) | instid1(VALU_DEP_2)
	v_sub_f32_e32 v28, v28, v32
	v_sub_f32_e32 v24, v24, v26
	s_delay_alu instid0(VALU_DEP_2) | instskip(NEXT) | instid1(VALU_DEP_1)
	v_sub_f32_e32 v28, v28, v31
	v_add_f32_e32 v22, v22, v28
	s_delay_alu instid0(VALU_DEP_1) | instskip(NEXT) | instid1(VALU_DEP_1)
	v_add_f32_e32 v22, v24, v22
	v_add_f32_e32 v24, v32, v22
	s_delay_alu instid0(VALU_DEP_1) | instskip(NEXT) | instid1(VALU_DEP_1)
	v_mul_f32_e32 v26, v23, v24
	v_dual_sub_f32 v31, v32, v24 :: v_dual_mul_f32 v28, v27, v26
	s_delay_alu instid0(VALU_DEP_1) | instskip(NEXT) | instid1(VALU_DEP_2)
	v_add_f32_e32 v22, v22, v31
	v_fma_f32 v27, v26, v27, -v28
	s_delay_alu instid0(VALU_DEP_1) | instskip(NEXT) | instid1(VALU_DEP_1)
	v_fmac_f32_e32 v27, v26, v25
	v_add_f32_e32 v25, v28, v27
	s_delay_alu instid0(VALU_DEP_1) | instskip(NEXT) | instid1(VALU_DEP_1)
	v_sub_f32_e32 v30, v24, v25
	v_sub_f32_e32 v24, v24, v30
	s_delay_alu instid0(VALU_DEP_1) | instskip(NEXT) | instid1(VALU_DEP_1)
	v_sub_f32_e32 v24, v24, v25
	v_add_f32_e32 v22, v22, v24
	v_add_f32_e32 v24, v29, v26
	v_sub_f32_e32 v28, v25, v28
	s_delay_alu instid0(VALU_DEP_1) | instskip(NEXT) | instid1(VALU_DEP_1)
	v_sub_f32_e32 v25, v28, v27
	v_dual_add_f32 v22, v25, v22 :: v_dual_sub_f32 v25, v24, v29
	s_delay_alu instid0(VALU_DEP_1) | instskip(NEXT) | instid1(VALU_DEP_1)
	v_add_f32_e32 v22, v30, v22
	v_dual_sub_f32 v25, v26, v25 :: v_dual_mul_f32 v22, v23, v22
	s_delay_alu instid0(VALU_DEP_1) | instskip(NEXT) | instid1(VALU_DEP_1)
	v_add_f32_e32 v22, v25, v22
	v_add_f32_e32 v23, v24, v22
	s_delay_alu instid0(VALU_DEP_1) | instskip(NEXT) | instid1(VALU_DEP_1)
	v_mul_f32_e32 v25, v23, v23
	v_fmaak_f32 v26, s0, v25, 0x3ecc95a3
	v_mul_f32_e32 v27, v23, v25
	v_cmp_eq_f32_e64 s0, 0x7f800000, v5
	s_delay_alu instid0(VALU_DEP_3) | instskip(SKIP_2) | instid1(VALU_DEP_4)
	v_fmaak_f32 v25, v25, v26, 0x3f2aaada
	v_ldexp_f32 v26, v23, 1
	v_sub_f32_e32 v23, v23, v24
	s_or_b32 s0, s0, s12
	s_delay_alu instid0(VALU_DEP_3) | instskip(NEXT) | instid1(VALU_DEP_2)
	v_mul_f32_e32 v25, v27, v25
	v_dual_mul_f32 v27, 0x3f317218, v21 :: v_dual_sub_f32 v22, v22, v23
	s_delay_alu instid0(VALU_DEP_2) | instskip(NEXT) | instid1(VALU_DEP_2)
	v_add_f32_e32 v24, v26, v25
	v_ldexp_f32 v22, v22, 1
	s_delay_alu instid0(VALU_DEP_2) | instskip(NEXT) | instid1(VALU_DEP_4)
	v_sub_f32_e32 v23, v24, v26
	v_fma_f32 v26, 0x3f317218, v21, -v27
	s_delay_alu instid0(VALU_DEP_2) | instskip(NEXT) | instid1(VALU_DEP_1)
	v_sub_f32_e32 v23, v25, v23
	v_dual_fmamk_f32 v21, v21, 0xb102e308, v26 :: v_dual_add_f32 v22, v22, v23
	s_delay_alu instid0(VALU_DEP_1) | instskip(NEXT) | instid1(VALU_DEP_1)
	v_add_f32_e32 v23, v27, v21
	v_sub_f32_e32 v27, v23, v27
	s_delay_alu instid0(VALU_DEP_1) | instskip(NEXT) | instid1(VALU_DEP_4)
	v_sub_f32_e32 v21, v21, v27
	v_add_f32_e32 v25, v24, v22
	s_delay_alu instid0(VALU_DEP_1) | instskip(NEXT) | instid1(VALU_DEP_1)
	v_sub_f32_e32 v24, v25, v24
	v_sub_f32_e32 v22, v22, v24
	v_add_f32_e32 v26, v23, v25
	s_delay_alu instid0(VALU_DEP_1) | instskip(NEXT) | instid1(VALU_DEP_1)
	v_sub_f32_e32 v28, v26, v23
	v_sub_f32_e32 v24, v25, v28
	s_delay_alu instid0(VALU_DEP_4) | instskip(SKIP_1) | instid1(VALU_DEP_1)
	v_add_f32_e32 v25, v21, v22
	v_sub_f32_e32 v29, v26, v28
	v_sub_f32_e32 v23, v23, v29
	s_delay_alu instid0(VALU_DEP_1) | instskip(NEXT) | instid1(VALU_DEP_1)
	v_dual_add_f32 v23, v24, v23 :: v_dual_sub_f32 v24, v25, v21
	v_dual_add_f32 v23, v25, v23 :: v_dual_sub_f32 v22, v22, v24
	v_sub_f32_e32 v25, v25, v24
	s_delay_alu instid0(VALU_DEP_2) | instskip(NEXT) | instid1(VALU_DEP_1)
	v_add_f32_e32 v27, v26, v23
	v_dual_sub_f32 v21, v21, v25 :: v_dual_sub_f32 v24, v27, v26
	s_delay_alu instid0(VALU_DEP_1) | instskip(NEXT) | instid1(VALU_DEP_1)
	v_dual_add_f32 v21, v22, v21 :: v_dual_sub_f32 v22, v23, v24
	v_add_f32_e32 v21, v21, v22
	s_delay_alu instid0(VALU_DEP_1) | instskip(NEXT) | instid1(VALU_DEP_1)
	v_add_f32_e32 v21, v27, v21
	v_cndmask_b32_e64 v5, v21, v5, s0
	s_delay_alu instid0(VALU_DEP_1)
	v_add_f32_e32 v5, v6, v5
.LBB173_55:
	s_or_b32 exec_lo, exec_lo, s1
	ds_load_b32 v6, v20 offset:12
	v_max_f32_e32 v21, v5, v5
	v_cmp_u_f32_e64 s0, v5, v5
	ds_store_b32 v20, v5 offset:8
	s_waitcnt lgkmcnt(1)
	v_max_f32_e32 v22, v6, v6
	s_delay_alu instid0(VALU_DEP_1) | instskip(SKIP_1) | instid1(VALU_DEP_2)
	v_min_f32_e32 v23, v21, v22
	v_max_f32_e32 v21, v21, v22
	v_cndmask_b32_e64 v22, v23, v5, s0
	s_delay_alu instid0(VALU_DEP_2) | instskip(SKIP_1) | instid1(VALU_DEP_1)
	v_cndmask_b32_e64 v23, v21, v5, s0
	v_cmp_u_f32_e64 s0, v6, v6
	v_cndmask_b32_e64 v21, v22, v6, s0
	s_delay_alu instid0(VALU_DEP_3) | instskip(NEXT) | instid1(VALU_DEP_2)
	v_cndmask_b32_e64 v6, v23, v6, s0
	v_cmp_class_f32_e64 s1, v21, 0x1f8
	s_delay_alu instid0(VALU_DEP_2) | instskip(NEXT) | instid1(VALU_DEP_1)
	v_cmp_neq_f32_e64 s0, v21, v6
	s_or_b32 s0, s0, s1
	s_delay_alu instid0(SALU_CYCLE_1)
	s_and_saveexec_b32 s1, s0
	s_cbranch_execz .LBB173_57
; %bb.56:
	v_sub_f32_e32 v5, v21, v6
	s_delay_alu instid0(VALU_DEP_1) | instskip(SKIP_1) | instid1(VALU_DEP_2)
	v_mul_f32_e32 v21, 0x3fb8aa3b, v5
	v_cmp_ngt_f32_e64 s0, 0xc2ce8ed0, v5
	v_fma_f32 v22, 0x3fb8aa3b, v5, -v21
	v_rndne_f32_e32 v23, v21
	s_delay_alu instid0(VALU_DEP_2) | instskip(NEXT) | instid1(VALU_DEP_2)
	v_fmamk_f32 v22, v5, 0x32a5705f, v22
	v_sub_f32_e32 v21, v21, v23
	s_delay_alu instid0(VALU_DEP_1) | instskip(SKIP_1) | instid1(VALU_DEP_2)
	v_add_f32_e32 v21, v21, v22
	v_cvt_i32_f32_e32 v22, v23
	v_exp_f32_e32 v21, v21
	s_waitcnt_depctr 0xfff
	v_ldexp_f32 v21, v21, v22
	s_delay_alu instid0(VALU_DEP_1) | instskip(SKIP_1) | instid1(VALU_DEP_1)
	v_cndmask_b32_e64 v21, 0, v21, s0
	v_cmp_nlt_f32_e64 s0, 0x42b17218, v5
	v_cndmask_b32_e64 v5, 0x7f800000, v21, s0
	s_delay_alu instid0(VALU_DEP_1) | instskip(SKIP_1) | instid1(VALU_DEP_2)
	v_add_f32_e32 v23, 1.0, v5
	v_cmp_gt_f32_e64 s12, 0x33800000, |v5|
	v_cvt_f64_f32_e32 v[21:22], v23
	s_delay_alu instid0(VALU_DEP_1) | instskip(SKIP_1) | instid1(VALU_DEP_1)
	v_frexp_exp_i32_f64_e32 v21, v[21:22]
	v_frexp_mant_f32_e32 v22, v23
	v_cmp_gt_f32_e64 s0, 0x3f2aaaab, v22
	v_add_f32_e32 v22, -1.0, v23
	s_delay_alu instid0(VALU_DEP_1) | instskip(NEXT) | instid1(VALU_DEP_3)
	v_dual_sub_f32 v25, v22, v23 :: v_dual_sub_f32 v22, v5, v22
	v_subrev_co_ci_u32_e64 v21, s0, 0, v21, s0
	s_mov_b32 s0, 0x3e9b6dac
	s_delay_alu instid0(VALU_DEP_1) | instskip(SKIP_1) | instid1(VALU_DEP_2)
	v_sub_nc_u32_e32 v24, 0, v21
	v_cvt_f32_i32_e32 v21, v21
	v_ldexp_f32 v23, v23, v24
	s_delay_alu instid0(VALU_DEP_1) | instskip(NEXT) | instid1(VALU_DEP_1)
	v_dual_add_f32 v25, 1.0, v25 :: v_dual_add_f32 v26, 1.0, v23
	v_add_f32_e32 v22, v22, v25
	s_delay_alu instid0(VALU_DEP_1) | instskip(NEXT) | instid1(VALU_DEP_3)
	v_ldexp_f32 v22, v22, v24
	v_dual_add_f32 v24, -1.0, v23 :: v_dual_add_f32 v25, -1.0, v26
	s_delay_alu instid0(VALU_DEP_1) | instskip(NEXT) | instid1(VALU_DEP_2)
	v_add_f32_e32 v27, 1.0, v24
	v_sub_f32_e32 v25, v23, v25
	s_delay_alu instid0(VALU_DEP_2) | instskip(NEXT) | instid1(VALU_DEP_2)
	v_sub_f32_e32 v23, v23, v27
	v_add_f32_e32 v25, v22, v25
	s_delay_alu instid0(VALU_DEP_2) | instskip(NEXT) | instid1(VALU_DEP_1)
	v_add_f32_e32 v22, v22, v23
	v_dual_add_f32 v28, v24, v22 :: v_dual_add_f32 v27, v26, v25
	s_delay_alu instid0(VALU_DEP_1) | instskip(NEXT) | instid1(VALU_DEP_2)
	v_sub_f32_e32 v24, v24, v28
	v_rcp_f32_e32 v23, v27
	v_sub_f32_e32 v26, v26, v27
	s_delay_alu instid0(VALU_DEP_1) | instskip(SKIP_2) | instid1(VALU_DEP_1)
	v_dual_add_f32 v22, v22, v24 :: v_dual_add_f32 v25, v25, v26
	s_waitcnt_depctr 0xfff
	v_mul_f32_e32 v29, v28, v23
	v_mul_f32_e32 v30, v27, v29
	s_delay_alu instid0(VALU_DEP_1) | instskip(NEXT) | instid1(VALU_DEP_1)
	v_fma_f32 v26, v29, v27, -v30
	v_fmac_f32_e32 v26, v29, v25
	s_delay_alu instid0(VALU_DEP_1) | instskip(NEXT) | instid1(VALU_DEP_1)
	v_add_f32_e32 v31, v30, v26
	v_sub_f32_e32 v32, v28, v31
	v_sub_f32_e32 v24, v31, v30
	s_delay_alu instid0(VALU_DEP_2) | instskip(NEXT) | instid1(VALU_DEP_2)
	v_sub_f32_e32 v28, v28, v32
	v_sub_f32_e32 v24, v24, v26
	s_delay_alu instid0(VALU_DEP_2) | instskip(NEXT) | instid1(VALU_DEP_1)
	v_sub_f32_e32 v28, v28, v31
	v_add_f32_e32 v22, v22, v28
	s_delay_alu instid0(VALU_DEP_1) | instskip(NEXT) | instid1(VALU_DEP_1)
	v_add_f32_e32 v22, v24, v22
	v_add_f32_e32 v24, v32, v22
	s_delay_alu instid0(VALU_DEP_1) | instskip(NEXT) | instid1(VALU_DEP_1)
	v_mul_f32_e32 v26, v23, v24
	v_dual_sub_f32 v31, v32, v24 :: v_dual_mul_f32 v28, v27, v26
	s_delay_alu instid0(VALU_DEP_1) | instskip(NEXT) | instid1(VALU_DEP_2)
	v_add_f32_e32 v22, v22, v31
	v_fma_f32 v27, v26, v27, -v28
	s_delay_alu instid0(VALU_DEP_1) | instskip(NEXT) | instid1(VALU_DEP_1)
	v_fmac_f32_e32 v27, v26, v25
	v_add_f32_e32 v25, v28, v27
	s_delay_alu instid0(VALU_DEP_1) | instskip(NEXT) | instid1(VALU_DEP_1)
	v_sub_f32_e32 v30, v24, v25
	v_sub_f32_e32 v24, v24, v30
	s_delay_alu instid0(VALU_DEP_1) | instskip(NEXT) | instid1(VALU_DEP_1)
	v_sub_f32_e32 v24, v24, v25
	v_add_f32_e32 v22, v22, v24
	v_add_f32_e32 v24, v29, v26
	v_sub_f32_e32 v28, v25, v28
	s_delay_alu instid0(VALU_DEP_1) | instskip(NEXT) | instid1(VALU_DEP_1)
	v_sub_f32_e32 v25, v28, v27
	v_dual_add_f32 v22, v25, v22 :: v_dual_sub_f32 v25, v24, v29
	s_delay_alu instid0(VALU_DEP_1) | instskip(NEXT) | instid1(VALU_DEP_1)
	v_add_f32_e32 v22, v30, v22
	v_dual_sub_f32 v25, v26, v25 :: v_dual_mul_f32 v22, v23, v22
	s_delay_alu instid0(VALU_DEP_1) | instskip(NEXT) | instid1(VALU_DEP_1)
	v_add_f32_e32 v22, v25, v22
	v_add_f32_e32 v23, v24, v22
	s_delay_alu instid0(VALU_DEP_1) | instskip(NEXT) | instid1(VALU_DEP_1)
	v_mul_f32_e32 v25, v23, v23
	v_fmaak_f32 v26, s0, v25, 0x3ecc95a3
	v_mul_f32_e32 v27, v23, v25
	v_cmp_eq_f32_e64 s0, 0x7f800000, v5
	s_delay_alu instid0(VALU_DEP_3) | instskip(SKIP_2) | instid1(VALU_DEP_4)
	v_fmaak_f32 v25, v25, v26, 0x3f2aaada
	v_ldexp_f32 v26, v23, 1
	v_sub_f32_e32 v23, v23, v24
	s_or_b32 s0, s0, s12
	s_delay_alu instid0(VALU_DEP_3) | instskip(NEXT) | instid1(VALU_DEP_2)
	v_mul_f32_e32 v25, v27, v25
	v_dual_mul_f32 v27, 0x3f317218, v21 :: v_dual_sub_f32 v22, v22, v23
	s_delay_alu instid0(VALU_DEP_2) | instskip(NEXT) | instid1(VALU_DEP_2)
	v_add_f32_e32 v24, v26, v25
	v_ldexp_f32 v22, v22, 1
	s_delay_alu instid0(VALU_DEP_2) | instskip(NEXT) | instid1(VALU_DEP_4)
	v_sub_f32_e32 v23, v24, v26
	v_fma_f32 v26, 0x3f317218, v21, -v27
	s_delay_alu instid0(VALU_DEP_2) | instskip(NEXT) | instid1(VALU_DEP_1)
	v_sub_f32_e32 v23, v25, v23
	v_dual_fmamk_f32 v21, v21, 0xb102e308, v26 :: v_dual_add_f32 v22, v22, v23
	s_delay_alu instid0(VALU_DEP_1) | instskip(NEXT) | instid1(VALU_DEP_1)
	v_add_f32_e32 v23, v27, v21
	v_sub_f32_e32 v27, v23, v27
	s_delay_alu instid0(VALU_DEP_1) | instskip(NEXT) | instid1(VALU_DEP_4)
	v_sub_f32_e32 v21, v21, v27
	v_add_f32_e32 v25, v24, v22
	s_delay_alu instid0(VALU_DEP_1) | instskip(NEXT) | instid1(VALU_DEP_1)
	v_sub_f32_e32 v24, v25, v24
	v_sub_f32_e32 v22, v22, v24
	v_add_f32_e32 v26, v23, v25
	s_delay_alu instid0(VALU_DEP_1) | instskip(NEXT) | instid1(VALU_DEP_1)
	v_sub_f32_e32 v28, v26, v23
	v_sub_f32_e32 v24, v25, v28
	s_delay_alu instid0(VALU_DEP_4) | instskip(SKIP_1) | instid1(VALU_DEP_1)
	v_add_f32_e32 v25, v21, v22
	v_sub_f32_e32 v29, v26, v28
	v_sub_f32_e32 v23, v23, v29
	s_delay_alu instid0(VALU_DEP_1) | instskip(NEXT) | instid1(VALU_DEP_1)
	v_dual_add_f32 v23, v24, v23 :: v_dual_sub_f32 v24, v25, v21
	v_dual_add_f32 v23, v25, v23 :: v_dual_sub_f32 v22, v22, v24
	v_sub_f32_e32 v25, v25, v24
	s_delay_alu instid0(VALU_DEP_2) | instskip(NEXT) | instid1(VALU_DEP_1)
	v_add_f32_e32 v27, v26, v23
	v_dual_sub_f32 v21, v21, v25 :: v_dual_sub_f32 v24, v27, v26
	s_delay_alu instid0(VALU_DEP_1) | instskip(NEXT) | instid1(VALU_DEP_1)
	v_dual_add_f32 v21, v22, v21 :: v_dual_sub_f32 v22, v23, v24
	v_add_f32_e32 v21, v21, v22
	s_delay_alu instid0(VALU_DEP_1) | instskip(NEXT) | instid1(VALU_DEP_1)
	v_add_f32_e32 v21, v27, v21
	v_cndmask_b32_e64 v5, v21, v5, s0
	s_delay_alu instid0(VALU_DEP_1)
	v_add_f32_e32 v5, v6, v5
.LBB173_57:
	s_or_b32 exec_lo, exec_lo, s1
	ds_load_b32 v6, v20 offset:16
	v_max_f32_e32 v21, v5, v5
	v_cmp_u_f32_e64 s0, v5, v5
	ds_store_b32 v20, v5 offset:12
	s_waitcnt lgkmcnt(1)
	v_max_f32_e32 v22, v6, v6
	s_delay_alu instid0(VALU_DEP_1) | instskip(SKIP_1) | instid1(VALU_DEP_2)
	v_min_f32_e32 v23, v21, v22
	v_max_f32_e32 v21, v21, v22
	v_cndmask_b32_e64 v22, v23, v5, s0
	s_delay_alu instid0(VALU_DEP_2) | instskip(SKIP_1) | instid1(VALU_DEP_1)
	v_cndmask_b32_e64 v23, v21, v5, s0
	v_cmp_u_f32_e64 s0, v6, v6
	v_cndmask_b32_e64 v21, v22, v6, s0
	s_delay_alu instid0(VALU_DEP_3) | instskip(NEXT) | instid1(VALU_DEP_2)
	v_cndmask_b32_e64 v6, v23, v6, s0
	v_cmp_class_f32_e64 s1, v21, 0x1f8
	s_delay_alu instid0(VALU_DEP_2) | instskip(NEXT) | instid1(VALU_DEP_1)
	v_cmp_neq_f32_e64 s0, v21, v6
	s_or_b32 s0, s0, s1
	s_delay_alu instid0(SALU_CYCLE_1)
	s_and_saveexec_b32 s1, s0
	s_cbranch_execz .LBB173_59
; %bb.58:
	v_sub_f32_e32 v5, v21, v6
	s_delay_alu instid0(VALU_DEP_1) | instskip(SKIP_1) | instid1(VALU_DEP_2)
	v_mul_f32_e32 v21, 0x3fb8aa3b, v5
	v_cmp_ngt_f32_e64 s0, 0xc2ce8ed0, v5
	v_fma_f32 v22, 0x3fb8aa3b, v5, -v21
	v_rndne_f32_e32 v23, v21
	s_delay_alu instid0(VALU_DEP_2) | instskip(NEXT) | instid1(VALU_DEP_2)
	v_fmamk_f32 v22, v5, 0x32a5705f, v22
	v_sub_f32_e32 v21, v21, v23
	s_delay_alu instid0(VALU_DEP_1) | instskip(SKIP_1) | instid1(VALU_DEP_2)
	v_add_f32_e32 v21, v21, v22
	v_cvt_i32_f32_e32 v22, v23
	v_exp_f32_e32 v21, v21
	s_waitcnt_depctr 0xfff
	v_ldexp_f32 v21, v21, v22
	s_delay_alu instid0(VALU_DEP_1) | instskip(SKIP_1) | instid1(VALU_DEP_1)
	v_cndmask_b32_e64 v21, 0, v21, s0
	v_cmp_nlt_f32_e64 s0, 0x42b17218, v5
	v_cndmask_b32_e64 v5, 0x7f800000, v21, s0
	s_delay_alu instid0(VALU_DEP_1) | instskip(SKIP_1) | instid1(VALU_DEP_2)
	v_add_f32_e32 v23, 1.0, v5
	v_cmp_gt_f32_e64 s12, 0x33800000, |v5|
	v_cvt_f64_f32_e32 v[21:22], v23
	s_delay_alu instid0(VALU_DEP_1) | instskip(SKIP_1) | instid1(VALU_DEP_1)
	v_frexp_exp_i32_f64_e32 v21, v[21:22]
	v_frexp_mant_f32_e32 v22, v23
	v_cmp_gt_f32_e64 s0, 0x3f2aaaab, v22
	v_add_f32_e32 v22, -1.0, v23
	s_delay_alu instid0(VALU_DEP_1) | instskip(NEXT) | instid1(VALU_DEP_3)
	v_dual_sub_f32 v25, v22, v23 :: v_dual_sub_f32 v22, v5, v22
	v_subrev_co_ci_u32_e64 v21, s0, 0, v21, s0
	s_mov_b32 s0, 0x3e9b6dac
	s_delay_alu instid0(VALU_DEP_1) | instskip(SKIP_1) | instid1(VALU_DEP_2)
	v_sub_nc_u32_e32 v24, 0, v21
	v_cvt_f32_i32_e32 v21, v21
	v_ldexp_f32 v23, v23, v24
	s_delay_alu instid0(VALU_DEP_1) | instskip(NEXT) | instid1(VALU_DEP_1)
	v_dual_add_f32 v25, 1.0, v25 :: v_dual_add_f32 v26, 1.0, v23
	v_add_f32_e32 v22, v22, v25
	s_delay_alu instid0(VALU_DEP_1) | instskip(NEXT) | instid1(VALU_DEP_3)
	v_ldexp_f32 v22, v22, v24
	v_dual_add_f32 v24, -1.0, v23 :: v_dual_add_f32 v25, -1.0, v26
	s_delay_alu instid0(VALU_DEP_1) | instskip(NEXT) | instid1(VALU_DEP_2)
	v_add_f32_e32 v27, 1.0, v24
	v_sub_f32_e32 v25, v23, v25
	s_delay_alu instid0(VALU_DEP_2) | instskip(NEXT) | instid1(VALU_DEP_2)
	v_sub_f32_e32 v23, v23, v27
	v_add_f32_e32 v25, v22, v25
	s_delay_alu instid0(VALU_DEP_2) | instskip(NEXT) | instid1(VALU_DEP_1)
	v_add_f32_e32 v22, v22, v23
	v_dual_add_f32 v28, v24, v22 :: v_dual_add_f32 v27, v26, v25
	s_delay_alu instid0(VALU_DEP_1) | instskip(NEXT) | instid1(VALU_DEP_2)
	v_sub_f32_e32 v24, v24, v28
	v_rcp_f32_e32 v23, v27
	v_sub_f32_e32 v26, v26, v27
	s_delay_alu instid0(VALU_DEP_1) | instskip(SKIP_2) | instid1(VALU_DEP_1)
	v_dual_add_f32 v22, v22, v24 :: v_dual_add_f32 v25, v25, v26
	s_waitcnt_depctr 0xfff
	v_mul_f32_e32 v29, v28, v23
	v_mul_f32_e32 v30, v27, v29
	s_delay_alu instid0(VALU_DEP_1) | instskip(NEXT) | instid1(VALU_DEP_1)
	v_fma_f32 v26, v29, v27, -v30
	v_fmac_f32_e32 v26, v29, v25
	s_delay_alu instid0(VALU_DEP_1) | instskip(NEXT) | instid1(VALU_DEP_1)
	v_add_f32_e32 v31, v30, v26
	v_sub_f32_e32 v32, v28, v31
	v_sub_f32_e32 v24, v31, v30
	s_delay_alu instid0(VALU_DEP_2) | instskip(NEXT) | instid1(VALU_DEP_2)
	v_sub_f32_e32 v28, v28, v32
	v_sub_f32_e32 v24, v24, v26
	s_delay_alu instid0(VALU_DEP_2) | instskip(NEXT) | instid1(VALU_DEP_1)
	v_sub_f32_e32 v28, v28, v31
	v_add_f32_e32 v22, v22, v28
	s_delay_alu instid0(VALU_DEP_1) | instskip(NEXT) | instid1(VALU_DEP_1)
	v_add_f32_e32 v22, v24, v22
	v_add_f32_e32 v24, v32, v22
	s_delay_alu instid0(VALU_DEP_1) | instskip(NEXT) | instid1(VALU_DEP_1)
	v_mul_f32_e32 v26, v23, v24
	v_dual_sub_f32 v31, v32, v24 :: v_dual_mul_f32 v28, v27, v26
	s_delay_alu instid0(VALU_DEP_1) | instskip(NEXT) | instid1(VALU_DEP_2)
	v_add_f32_e32 v22, v22, v31
	v_fma_f32 v27, v26, v27, -v28
	s_delay_alu instid0(VALU_DEP_1) | instskip(NEXT) | instid1(VALU_DEP_1)
	v_fmac_f32_e32 v27, v26, v25
	v_add_f32_e32 v25, v28, v27
	s_delay_alu instid0(VALU_DEP_1) | instskip(NEXT) | instid1(VALU_DEP_1)
	v_sub_f32_e32 v30, v24, v25
	v_sub_f32_e32 v24, v24, v30
	s_delay_alu instid0(VALU_DEP_1) | instskip(NEXT) | instid1(VALU_DEP_1)
	v_sub_f32_e32 v24, v24, v25
	v_add_f32_e32 v22, v22, v24
	v_add_f32_e32 v24, v29, v26
	v_sub_f32_e32 v28, v25, v28
	s_delay_alu instid0(VALU_DEP_1) | instskip(NEXT) | instid1(VALU_DEP_1)
	v_sub_f32_e32 v25, v28, v27
	v_dual_add_f32 v22, v25, v22 :: v_dual_sub_f32 v25, v24, v29
	s_delay_alu instid0(VALU_DEP_1) | instskip(NEXT) | instid1(VALU_DEP_1)
	v_add_f32_e32 v22, v30, v22
	v_dual_sub_f32 v25, v26, v25 :: v_dual_mul_f32 v22, v23, v22
	s_delay_alu instid0(VALU_DEP_1) | instskip(NEXT) | instid1(VALU_DEP_1)
	v_add_f32_e32 v22, v25, v22
	v_add_f32_e32 v23, v24, v22
	s_delay_alu instid0(VALU_DEP_1) | instskip(NEXT) | instid1(VALU_DEP_1)
	v_mul_f32_e32 v25, v23, v23
	v_fmaak_f32 v26, s0, v25, 0x3ecc95a3
	v_mul_f32_e32 v27, v23, v25
	v_cmp_eq_f32_e64 s0, 0x7f800000, v5
	s_delay_alu instid0(VALU_DEP_3) | instskip(SKIP_2) | instid1(VALU_DEP_4)
	v_fmaak_f32 v25, v25, v26, 0x3f2aaada
	v_ldexp_f32 v26, v23, 1
	v_sub_f32_e32 v23, v23, v24
	s_or_b32 s0, s0, s12
	s_delay_alu instid0(VALU_DEP_3) | instskip(NEXT) | instid1(VALU_DEP_2)
	v_mul_f32_e32 v25, v27, v25
	v_dual_mul_f32 v27, 0x3f317218, v21 :: v_dual_sub_f32 v22, v22, v23
	s_delay_alu instid0(VALU_DEP_2) | instskip(NEXT) | instid1(VALU_DEP_2)
	v_add_f32_e32 v24, v26, v25
	v_ldexp_f32 v22, v22, 1
	s_delay_alu instid0(VALU_DEP_2) | instskip(NEXT) | instid1(VALU_DEP_4)
	v_sub_f32_e32 v23, v24, v26
	v_fma_f32 v26, 0x3f317218, v21, -v27
	s_delay_alu instid0(VALU_DEP_2) | instskip(NEXT) | instid1(VALU_DEP_1)
	v_sub_f32_e32 v23, v25, v23
	v_dual_fmamk_f32 v21, v21, 0xb102e308, v26 :: v_dual_add_f32 v22, v22, v23
	s_delay_alu instid0(VALU_DEP_1) | instskip(NEXT) | instid1(VALU_DEP_1)
	v_add_f32_e32 v23, v27, v21
	v_sub_f32_e32 v27, v23, v27
	s_delay_alu instid0(VALU_DEP_1) | instskip(NEXT) | instid1(VALU_DEP_4)
	v_sub_f32_e32 v21, v21, v27
	v_add_f32_e32 v25, v24, v22
	s_delay_alu instid0(VALU_DEP_1) | instskip(NEXT) | instid1(VALU_DEP_1)
	v_sub_f32_e32 v24, v25, v24
	v_sub_f32_e32 v22, v22, v24
	v_add_f32_e32 v26, v23, v25
	s_delay_alu instid0(VALU_DEP_1) | instskip(NEXT) | instid1(VALU_DEP_1)
	v_sub_f32_e32 v28, v26, v23
	v_sub_f32_e32 v24, v25, v28
	s_delay_alu instid0(VALU_DEP_4) | instskip(SKIP_1) | instid1(VALU_DEP_1)
	v_add_f32_e32 v25, v21, v22
	v_sub_f32_e32 v29, v26, v28
	v_sub_f32_e32 v23, v23, v29
	s_delay_alu instid0(VALU_DEP_1) | instskip(NEXT) | instid1(VALU_DEP_1)
	v_dual_add_f32 v23, v24, v23 :: v_dual_sub_f32 v24, v25, v21
	v_dual_add_f32 v23, v25, v23 :: v_dual_sub_f32 v22, v22, v24
	v_sub_f32_e32 v25, v25, v24
	s_delay_alu instid0(VALU_DEP_2) | instskip(NEXT) | instid1(VALU_DEP_1)
	v_add_f32_e32 v27, v26, v23
	v_dual_sub_f32 v21, v21, v25 :: v_dual_sub_f32 v24, v27, v26
	s_delay_alu instid0(VALU_DEP_1) | instskip(NEXT) | instid1(VALU_DEP_1)
	v_dual_add_f32 v21, v22, v21 :: v_dual_sub_f32 v22, v23, v24
	v_add_f32_e32 v21, v21, v22
	s_delay_alu instid0(VALU_DEP_1) | instskip(NEXT) | instid1(VALU_DEP_1)
	v_add_f32_e32 v21, v27, v21
	v_cndmask_b32_e64 v5, v21, v5, s0
	s_delay_alu instid0(VALU_DEP_1)
	v_add_f32_e32 v5, v6, v5
.LBB173_59:
	s_or_b32 exec_lo, exec_lo, s1
	ds_load_b32 v6, v20 offset:20
	v_max_f32_e32 v21, v5, v5
	v_cmp_u_f32_e64 s0, v5, v5
	ds_store_b32 v20, v5 offset:16
	s_waitcnt lgkmcnt(1)
	v_max_f32_e32 v22, v6, v6
	s_delay_alu instid0(VALU_DEP_1) | instskip(SKIP_1) | instid1(VALU_DEP_2)
	v_min_f32_e32 v23, v21, v22
	v_max_f32_e32 v21, v21, v22
	v_cndmask_b32_e64 v22, v23, v5, s0
	s_delay_alu instid0(VALU_DEP_2) | instskip(SKIP_1) | instid1(VALU_DEP_1)
	v_cndmask_b32_e64 v23, v21, v5, s0
	v_cmp_u_f32_e64 s0, v6, v6
	v_cndmask_b32_e64 v21, v22, v6, s0
	s_delay_alu instid0(VALU_DEP_3) | instskip(NEXT) | instid1(VALU_DEP_2)
	v_cndmask_b32_e64 v6, v23, v6, s0
	v_cmp_class_f32_e64 s1, v21, 0x1f8
	s_delay_alu instid0(VALU_DEP_2) | instskip(NEXT) | instid1(VALU_DEP_1)
	v_cmp_neq_f32_e64 s0, v21, v6
	s_or_b32 s0, s0, s1
	s_delay_alu instid0(SALU_CYCLE_1)
	s_and_saveexec_b32 s1, s0
	s_cbranch_execz .LBB173_61
; %bb.60:
	v_sub_f32_e32 v5, v21, v6
	s_delay_alu instid0(VALU_DEP_1) | instskip(SKIP_1) | instid1(VALU_DEP_2)
	v_mul_f32_e32 v21, 0x3fb8aa3b, v5
	v_cmp_ngt_f32_e64 s0, 0xc2ce8ed0, v5
	v_fma_f32 v22, 0x3fb8aa3b, v5, -v21
	v_rndne_f32_e32 v23, v21
	s_delay_alu instid0(VALU_DEP_2) | instskip(NEXT) | instid1(VALU_DEP_2)
	v_fmamk_f32 v22, v5, 0x32a5705f, v22
	v_sub_f32_e32 v21, v21, v23
	s_delay_alu instid0(VALU_DEP_1) | instskip(SKIP_1) | instid1(VALU_DEP_2)
	v_add_f32_e32 v21, v21, v22
	v_cvt_i32_f32_e32 v22, v23
	v_exp_f32_e32 v21, v21
	s_waitcnt_depctr 0xfff
	v_ldexp_f32 v21, v21, v22
	s_delay_alu instid0(VALU_DEP_1) | instskip(SKIP_1) | instid1(VALU_DEP_1)
	v_cndmask_b32_e64 v21, 0, v21, s0
	v_cmp_nlt_f32_e64 s0, 0x42b17218, v5
	v_cndmask_b32_e64 v5, 0x7f800000, v21, s0
	s_delay_alu instid0(VALU_DEP_1) | instskip(SKIP_1) | instid1(VALU_DEP_2)
	v_add_f32_e32 v23, 1.0, v5
	v_cmp_gt_f32_e64 s12, 0x33800000, |v5|
	v_cvt_f64_f32_e32 v[21:22], v23
	s_delay_alu instid0(VALU_DEP_1) | instskip(SKIP_1) | instid1(VALU_DEP_1)
	v_frexp_exp_i32_f64_e32 v21, v[21:22]
	v_frexp_mant_f32_e32 v22, v23
	v_cmp_gt_f32_e64 s0, 0x3f2aaaab, v22
	v_add_f32_e32 v22, -1.0, v23
	s_delay_alu instid0(VALU_DEP_1) | instskip(NEXT) | instid1(VALU_DEP_3)
	v_dual_sub_f32 v25, v22, v23 :: v_dual_sub_f32 v22, v5, v22
	v_subrev_co_ci_u32_e64 v21, s0, 0, v21, s0
	s_mov_b32 s0, 0x3e9b6dac
	s_delay_alu instid0(VALU_DEP_1) | instskip(SKIP_1) | instid1(VALU_DEP_2)
	v_sub_nc_u32_e32 v24, 0, v21
	v_cvt_f32_i32_e32 v21, v21
	v_ldexp_f32 v23, v23, v24
	s_delay_alu instid0(VALU_DEP_1) | instskip(NEXT) | instid1(VALU_DEP_1)
	v_dual_add_f32 v25, 1.0, v25 :: v_dual_add_f32 v26, 1.0, v23
	v_add_f32_e32 v22, v22, v25
	s_delay_alu instid0(VALU_DEP_1) | instskip(NEXT) | instid1(VALU_DEP_3)
	v_ldexp_f32 v22, v22, v24
	v_dual_add_f32 v24, -1.0, v23 :: v_dual_add_f32 v25, -1.0, v26
	s_delay_alu instid0(VALU_DEP_1) | instskip(NEXT) | instid1(VALU_DEP_2)
	v_add_f32_e32 v27, 1.0, v24
	v_sub_f32_e32 v25, v23, v25
	s_delay_alu instid0(VALU_DEP_2) | instskip(NEXT) | instid1(VALU_DEP_2)
	v_sub_f32_e32 v23, v23, v27
	v_add_f32_e32 v25, v22, v25
	s_delay_alu instid0(VALU_DEP_2) | instskip(NEXT) | instid1(VALU_DEP_1)
	v_add_f32_e32 v22, v22, v23
	v_dual_add_f32 v28, v24, v22 :: v_dual_add_f32 v27, v26, v25
	s_delay_alu instid0(VALU_DEP_1) | instskip(NEXT) | instid1(VALU_DEP_2)
	v_sub_f32_e32 v24, v24, v28
	v_rcp_f32_e32 v23, v27
	v_sub_f32_e32 v26, v26, v27
	s_delay_alu instid0(VALU_DEP_1) | instskip(SKIP_2) | instid1(VALU_DEP_1)
	v_dual_add_f32 v22, v22, v24 :: v_dual_add_f32 v25, v25, v26
	s_waitcnt_depctr 0xfff
	v_mul_f32_e32 v29, v28, v23
	v_mul_f32_e32 v30, v27, v29
	s_delay_alu instid0(VALU_DEP_1) | instskip(NEXT) | instid1(VALU_DEP_1)
	v_fma_f32 v26, v29, v27, -v30
	v_fmac_f32_e32 v26, v29, v25
	s_delay_alu instid0(VALU_DEP_1) | instskip(NEXT) | instid1(VALU_DEP_1)
	v_add_f32_e32 v31, v30, v26
	v_sub_f32_e32 v32, v28, v31
	v_sub_f32_e32 v24, v31, v30
	s_delay_alu instid0(VALU_DEP_2) | instskip(NEXT) | instid1(VALU_DEP_2)
	v_sub_f32_e32 v28, v28, v32
	v_sub_f32_e32 v24, v24, v26
	s_delay_alu instid0(VALU_DEP_2) | instskip(NEXT) | instid1(VALU_DEP_1)
	v_sub_f32_e32 v28, v28, v31
	v_add_f32_e32 v22, v22, v28
	s_delay_alu instid0(VALU_DEP_1) | instskip(NEXT) | instid1(VALU_DEP_1)
	v_add_f32_e32 v22, v24, v22
	v_add_f32_e32 v24, v32, v22
	s_delay_alu instid0(VALU_DEP_1) | instskip(NEXT) | instid1(VALU_DEP_1)
	v_mul_f32_e32 v26, v23, v24
	v_dual_sub_f32 v31, v32, v24 :: v_dual_mul_f32 v28, v27, v26
	s_delay_alu instid0(VALU_DEP_1) | instskip(NEXT) | instid1(VALU_DEP_2)
	v_add_f32_e32 v22, v22, v31
	v_fma_f32 v27, v26, v27, -v28
	s_delay_alu instid0(VALU_DEP_1) | instskip(NEXT) | instid1(VALU_DEP_1)
	v_fmac_f32_e32 v27, v26, v25
	v_add_f32_e32 v25, v28, v27
	s_delay_alu instid0(VALU_DEP_1) | instskip(NEXT) | instid1(VALU_DEP_1)
	v_sub_f32_e32 v30, v24, v25
	v_sub_f32_e32 v24, v24, v30
	s_delay_alu instid0(VALU_DEP_1) | instskip(NEXT) | instid1(VALU_DEP_1)
	v_sub_f32_e32 v24, v24, v25
	v_add_f32_e32 v22, v22, v24
	v_add_f32_e32 v24, v29, v26
	v_sub_f32_e32 v28, v25, v28
	s_delay_alu instid0(VALU_DEP_1) | instskip(NEXT) | instid1(VALU_DEP_1)
	v_sub_f32_e32 v25, v28, v27
	v_dual_add_f32 v22, v25, v22 :: v_dual_sub_f32 v25, v24, v29
	s_delay_alu instid0(VALU_DEP_1) | instskip(NEXT) | instid1(VALU_DEP_1)
	v_add_f32_e32 v22, v30, v22
	v_dual_sub_f32 v25, v26, v25 :: v_dual_mul_f32 v22, v23, v22
	s_delay_alu instid0(VALU_DEP_1) | instskip(NEXT) | instid1(VALU_DEP_1)
	v_add_f32_e32 v22, v25, v22
	v_add_f32_e32 v23, v24, v22
	s_delay_alu instid0(VALU_DEP_1) | instskip(NEXT) | instid1(VALU_DEP_1)
	v_mul_f32_e32 v25, v23, v23
	v_fmaak_f32 v26, s0, v25, 0x3ecc95a3
	v_mul_f32_e32 v27, v23, v25
	v_cmp_eq_f32_e64 s0, 0x7f800000, v5
	s_delay_alu instid0(VALU_DEP_3) | instskip(SKIP_2) | instid1(VALU_DEP_4)
	v_fmaak_f32 v25, v25, v26, 0x3f2aaada
	v_ldexp_f32 v26, v23, 1
	v_sub_f32_e32 v23, v23, v24
	s_or_b32 s0, s0, s12
	s_delay_alu instid0(VALU_DEP_3) | instskip(NEXT) | instid1(VALU_DEP_2)
	v_mul_f32_e32 v25, v27, v25
	v_dual_mul_f32 v27, 0x3f317218, v21 :: v_dual_sub_f32 v22, v22, v23
	s_delay_alu instid0(VALU_DEP_2) | instskip(NEXT) | instid1(VALU_DEP_2)
	v_add_f32_e32 v24, v26, v25
	v_ldexp_f32 v22, v22, 1
	s_delay_alu instid0(VALU_DEP_2) | instskip(NEXT) | instid1(VALU_DEP_4)
	v_sub_f32_e32 v23, v24, v26
	v_fma_f32 v26, 0x3f317218, v21, -v27
	s_delay_alu instid0(VALU_DEP_2) | instskip(NEXT) | instid1(VALU_DEP_1)
	v_sub_f32_e32 v23, v25, v23
	v_dual_fmamk_f32 v21, v21, 0xb102e308, v26 :: v_dual_add_f32 v22, v22, v23
	s_delay_alu instid0(VALU_DEP_1) | instskip(NEXT) | instid1(VALU_DEP_1)
	v_add_f32_e32 v23, v27, v21
	v_sub_f32_e32 v27, v23, v27
	s_delay_alu instid0(VALU_DEP_1) | instskip(NEXT) | instid1(VALU_DEP_4)
	v_sub_f32_e32 v21, v21, v27
	v_add_f32_e32 v25, v24, v22
	s_delay_alu instid0(VALU_DEP_1) | instskip(NEXT) | instid1(VALU_DEP_1)
	v_sub_f32_e32 v24, v25, v24
	v_sub_f32_e32 v22, v22, v24
	v_add_f32_e32 v26, v23, v25
	s_delay_alu instid0(VALU_DEP_1) | instskip(NEXT) | instid1(VALU_DEP_1)
	v_sub_f32_e32 v28, v26, v23
	v_sub_f32_e32 v24, v25, v28
	s_delay_alu instid0(VALU_DEP_4) | instskip(SKIP_1) | instid1(VALU_DEP_1)
	v_add_f32_e32 v25, v21, v22
	v_sub_f32_e32 v29, v26, v28
	v_sub_f32_e32 v23, v23, v29
	s_delay_alu instid0(VALU_DEP_1) | instskip(NEXT) | instid1(VALU_DEP_1)
	v_dual_add_f32 v23, v24, v23 :: v_dual_sub_f32 v24, v25, v21
	v_dual_add_f32 v23, v25, v23 :: v_dual_sub_f32 v22, v22, v24
	v_sub_f32_e32 v25, v25, v24
	s_delay_alu instid0(VALU_DEP_2) | instskip(NEXT) | instid1(VALU_DEP_1)
	v_add_f32_e32 v27, v26, v23
	v_dual_sub_f32 v21, v21, v25 :: v_dual_sub_f32 v24, v27, v26
	s_delay_alu instid0(VALU_DEP_1) | instskip(NEXT) | instid1(VALU_DEP_1)
	v_dual_add_f32 v21, v22, v21 :: v_dual_sub_f32 v22, v23, v24
	v_add_f32_e32 v21, v21, v22
	s_delay_alu instid0(VALU_DEP_1) | instskip(NEXT) | instid1(VALU_DEP_1)
	v_add_f32_e32 v21, v27, v21
	v_cndmask_b32_e64 v5, v21, v5, s0
	s_delay_alu instid0(VALU_DEP_1)
	v_add_f32_e32 v5, v6, v5
.LBB173_61:
	s_or_b32 exec_lo, exec_lo, s1
	ds_load_b32 v6, v20 offset:24
	v_max_f32_e32 v21, v5, v5
	v_cmp_u_f32_e64 s0, v5, v5
	ds_store_b32 v20, v5 offset:20
	s_waitcnt lgkmcnt(1)
	v_max_f32_e32 v22, v6, v6
	s_delay_alu instid0(VALU_DEP_1) | instskip(SKIP_1) | instid1(VALU_DEP_2)
	v_min_f32_e32 v23, v21, v22
	v_max_f32_e32 v21, v21, v22
	v_cndmask_b32_e64 v22, v23, v5, s0
	s_delay_alu instid0(VALU_DEP_2) | instskip(SKIP_1) | instid1(VALU_DEP_1)
	v_cndmask_b32_e64 v23, v21, v5, s0
	v_cmp_u_f32_e64 s0, v6, v6
	v_cndmask_b32_e64 v21, v22, v6, s0
	s_delay_alu instid0(VALU_DEP_3) | instskip(NEXT) | instid1(VALU_DEP_2)
	v_cndmask_b32_e64 v6, v23, v6, s0
	v_cmp_class_f32_e64 s1, v21, 0x1f8
	s_delay_alu instid0(VALU_DEP_2) | instskip(NEXT) | instid1(VALU_DEP_1)
	v_cmp_neq_f32_e64 s0, v21, v6
	s_or_b32 s0, s0, s1
	s_delay_alu instid0(SALU_CYCLE_1)
	s_and_saveexec_b32 s1, s0
	s_cbranch_execz .LBB173_63
; %bb.62:
	v_sub_f32_e32 v5, v21, v6
	s_delay_alu instid0(VALU_DEP_1) | instskip(SKIP_1) | instid1(VALU_DEP_2)
	v_mul_f32_e32 v21, 0x3fb8aa3b, v5
	v_cmp_ngt_f32_e64 s0, 0xc2ce8ed0, v5
	v_fma_f32 v22, 0x3fb8aa3b, v5, -v21
	v_rndne_f32_e32 v23, v21
	s_delay_alu instid0(VALU_DEP_2) | instskip(NEXT) | instid1(VALU_DEP_2)
	v_fmamk_f32 v22, v5, 0x32a5705f, v22
	v_sub_f32_e32 v21, v21, v23
	s_delay_alu instid0(VALU_DEP_1) | instskip(SKIP_1) | instid1(VALU_DEP_2)
	v_add_f32_e32 v21, v21, v22
	v_cvt_i32_f32_e32 v22, v23
	v_exp_f32_e32 v21, v21
	s_waitcnt_depctr 0xfff
	v_ldexp_f32 v21, v21, v22
	s_delay_alu instid0(VALU_DEP_1) | instskip(SKIP_1) | instid1(VALU_DEP_1)
	v_cndmask_b32_e64 v21, 0, v21, s0
	v_cmp_nlt_f32_e64 s0, 0x42b17218, v5
	v_cndmask_b32_e64 v5, 0x7f800000, v21, s0
	s_delay_alu instid0(VALU_DEP_1) | instskip(SKIP_1) | instid1(VALU_DEP_2)
	v_add_f32_e32 v23, 1.0, v5
	v_cmp_gt_f32_e64 s12, 0x33800000, |v5|
	v_cvt_f64_f32_e32 v[21:22], v23
	s_delay_alu instid0(VALU_DEP_1) | instskip(SKIP_1) | instid1(VALU_DEP_1)
	v_frexp_exp_i32_f64_e32 v21, v[21:22]
	v_frexp_mant_f32_e32 v22, v23
	v_cmp_gt_f32_e64 s0, 0x3f2aaaab, v22
	v_add_f32_e32 v22, -1.0, v23
	s_delay_alu instid0(VALU_DEP_1) | instskip(NEXT) | instid1(VALU_DEP_3)
	v_dual_sub_f32 v25, v22, v23 :: v_dual_sub_f32 v22, v5, v22
	v_subrev_co_ci_u32_e64 v21, s0, 0, v21, s0
	s_mov_b32 s0, 0x3e9b6dac
	s_delay_alu instid0(VALU_DEP_1) | instskip(SKIP_1) | instid1(VALU_DEP_2)
	v_sub_nc_u32_e32 v24, 0, v21
	v_cvt_f32_i32_e32 v21, v21
	v_ldexp_f32 v23, v23, v24
	s_delay_alu instid0(VALU_DEP_1) | instskip(NEXT) | instid1(VALU_DEP_1)
	v_dual_add_f32 v25, 1.0, v25 :: v_dual_add_f32 v26, 1.0, v23
	v_add_f32_e32 v22, v22, v25
	s_delay_alu instid0(VALU_DEP_1) | instskip(NEXT) | instid1(VALU_DEP_3)
	v_ldexp_f32 v22, v22, v24
	v_dual_add_f32 v24, -1.0, v23 :: v_dual_add_f32 v25, -1.0, v26
	s_delay_alu instid0(VALU_DEP_1) | instskip(NEXT) | instid1(VALU_DEP_2)
	v_add_f32_e32 v27, 1.0, v24
	v_sub_f32_e32 v25, v23, v25
	s_delay_alu instid0(VALU_DEP_2) | instskip(NEXT) | instid1(VALU_DEP_2)
	v_sub_f32_e32 v23, v23, v27
	v_add_f32_e32 v25, v22, v25
	s_delay_alu instid0(VALU_DEP_2) | instskip(NEXT) | instid1(VALU_DEP_1)
	v_add_f32_e32 v22, v22, v23
	v_dual_add_f32 v28, v24, v22 :: v_dual_add_f32 v27, v26, v25
	s_delay_alu instid0(VALU_DEP_1) | instskip(NEXT) | instid1(VALU_DEP_2)
	v_sub_f32_e32 v24, v24, v28
	v_rcp_f32_e32 v23, v27
	v_sub_f32_e32 v26, v26, v27
	s_delay_alu instid0(VALU_DEP_1) | instskip(SKIP_2) | instid1(VALU_DEP_1)
	v_dual_add_f32 v22, v22, v24 :: v_dual_add_f32 v25, v25, v26
	s_waitcnt_depctr 0xfff
	v_mul_f32_e32 v29, v28, v23
	v_mul_f32_e32 v30, v27, v29
	s_delay_alu instid0(VALU_DEP_1) | instskip(NEXT) | instid1(VALU_DEP_1)
	v_fma_f32 v26, v29, v27, -v30
	v_fmac_f32_e32 v26, v29, v25
	s_delay_alu instid0(VALU_DEP_1) | instskip(NEXT) | instid1(VALU_DEP_1)
	v_add_f32_e32 v31, v30, v26
	v_sub_f32_e32 v32, v28, v31
	v_sub_f32_e32 v24, v31, v30
	s_delay_alu instid0(VALU_DEP_2) | instskip(NEXT) | instid1(VALU_DEP_2)
	v_sub_f32_e32 v28, v28, v32
	v_sub_f32_e32 v24, v24, v26
	s_delay_alu instid0(VALU_DEP_2) | instskip(NEXT) | instid1(VALU_DEP_1)
	v_sub_f32_e32 v28, v28, v31
	v_add_f32_e32 v22, v22, v28
	s_delay_alu instid0(VALU_DEP_1) | instskip(NEXT) | instid1(VALU_DEP_1)
	v_add_f32_e32 v22, v24, v22
	v_add_f32_e32 v24, v32, v22
	s_delay_alu instid0(VALU_DEP_1) | instskip(NEXT) | instid1(VALU_DEP_1)
	v_mul_f32_e32 v26, v23, v24
	v_dual_sub_f32 v31, v32, v24 :: v_dual_mul_f32 v28, v27, v26
	s_delay_alu instid0(VALU_DEP_1) | instskip(NEXT) | instid1(VALU_DEP_2)
	v_add_f32_e32 v22, v22, v31
	v_fma_f32 v27, v26, v27, -v28
	s_delay_alu instid0(VALU_DEP_1) | instskip(NEXT) | instid1(VALU_DEP_1)
	v_fmac_f32_e32 v27, v26, v25
	v_add_f32_e32 v25, v28, v27
	s_delay_alu instid0(VALU_DEP_1) | instskip(NEXT) | instid1(VALU_DEP_1)
	v_sub_f32_e32 v30, v24, v25
	v_sub_f32_e32 v24, v24, v30
	s_delay_alu instid0(VALU_DEP_1) | instskip(NEXT) | instid1(VALU_DEP_1)
	v_sub_f32_e32 v24, v24, v25
	v_add_f32_e32 v22, v22, v24
	v_add_f32_e32 v24, v29, v26
	v_sub_f32_e32 v28, v25, v28
	s_delay_alu instid0(VALU_DEP_1) | instskip(NEXT) | instid1(VALU_DEP_1)
	v_sub_f32_e32 v25, v28, v27
	v_dual_add_f32 v22, v25, v22 :: v_dual_sub_f32 v25, v24, v29
	s_delay_alu instid0(VALU_DEP_1) | instskip(NEXT) | instid1(VALU_DEP_1)
	v_add_f32_e32 v22, v30, v22
	v_dual_sub_f32 v25, v26, v25 :: v_dual_mul_f32 v22, v23, v22
	s_delay_alu instid0(VALU_DEP_1) | instskip(NEXT) | instid1(VALU_DEP_1)
	v_add_f32_e32 v22, v25, v22
	v_add_f32_e32 v23, v24, v22
	s_delay_alu instid0(VALU_DEP_1) | instskip(NEXT) | instid1(VALU_DEP_1)
	v_mul_f32_e32 v25, v23, v23
	v_fmaak_f32 v26, s0, v25, 0x3ecc95a3
	v_mul_f32_e32 v27, v23, v25
	v_cmp_eq_f32_e64 s0, 0x7f800000, v5
	s_delay_alu instid0(VALU_DEP_3) | instskip(SKIP_2) | instid1(VALU_DEP_4)
	v_fmaak_f32 v25, v25, v26, 0x3f2aaada
	v_ldexp_f32 v26, v23, 1
	v_sub_f32_e32 v23, v23, v24
	s_or_b32 s0, s0, s12
	s_delay_alu instid0(VALU_DEP_3) | instskip(NEXT) | instid1(VALU_DEP_2)
	v_mul_f32_e32 v25, v27, v25
	v_dual_mul_f32 v27, 0x3f317218, v21 :: v_dual_sub_f32 v22, v22, v23
	s_delay_alu instid0(VALU_DEP_2) | instskip(NEXT) | instid1(VALU_DEP_2)
	v_add_f32_e32 v24, v26, v25
	v_ldexp_f32 v22, v22, 1
	s_delay_alu instid0(VALU_DEP_2) | instskip(NEXT) | instid1(VALU_DEP_4)
	v_sub_f32_e32 v23, v24, v26
	v_fma_f32 v26, 0x3f317218, v21, -v27
	s_delay_alu instid0(VALU_DEP_2) | instskip(NEXT) | instid1(VALU_DEP_1)
	v_sub_f32_e32 v23, v25, v23
	v_dual_fmamk_f32 v21, v21, 0xb102e308, v26 :: v_dual_add_f32 v22, v22, v23
	s_delay_alu instid0(VALU_DEP_1) | instskip(NEXT) | instid1(VALU_DEP_1)
	v_add_f32_e32 v23, v27, v21
	v_sub_f32_e32 v27, v23, v27
	s_delay_alu instid0(VALU_DEP_1) | instskip(NEXT) | instid1(VALU_DEP_4)
	v_sub_f32_e32 v21, v21, v27
	v_add_f32_e32 v25, v24, v22
	s_delay_alu instid0(VALU_DEP_1) | instskip(NEXT) | instid1(VALU_DEP_1)
	v_sub_f32_e32 v24, v25, v24
	v_sub_f32_e32 v22, v22, v24
	v_add_f32_e32 v26, v23, v25
	s_delay_alu instid0(VALU_DEP_1) | instskip(NEXT) | instid1(VALU_DEP_1)
	v_sub_f32_e32 v28, v26, v23
	v_sub_f32_e32 v24, v25, v28
	s_delay_alu instid0(VALU_DEP_4) | instskip(SKIP_1) | instid1(VALU_DEP_1)
	v_add_f32_e32 v25, v21, v22
	v_sub_f32_e32 v29, v26, v28
	v_sub_f32_e32 v23, v23, v29
	s_delay_alu instid0(VALU_DEP_1) | instskip(NEXT) | instid1(VALU_DEP_1)
	v_dual_add_f32 v23, v24, v23 :: v_dual_sub_f32 v24, v25, v21
	v_dual_add_f32 v23, v25, v23 :: v_dual_sub_f32 v22, v22, v24
	v_sub_f32_e32 v25, v25, v24
	s_delay_alu instid0(VALU_DEP_2) | instskip(NEXT) | instid1(VALU_DEP_1)
	v_add_f32_e32 v27, v26, v23
	v_dual_sub_f32 v21, v21, v25 :: v_dual_sub_f32 v24, v27, v26
	s_delay_alu instid0(VALU_DEP_1) | instskip(NEXT) | instid1(VALU_DEP_1)
	v_dual_add_f32 v21, v22, v21 :: v_dual_sub_f32 v22, v23, v24
	v_add_f32_e32 v21, v21, v22
	s_delay_alu instid0(VALU_DEP_1) | instskip(NEXT) | instid1(VALU_DEP_1)
	v_add_f32_e32 v21, v27, v21
	v_cndmask_b32_e64 v5, v21, v5, s0
	s_delay_alu instid0(VALU_DEP_1)
	v_add_f32_e32 v5, v6, v5
.LBB173_63:
	s_or_b32 exec_lo, exec_lo, s1
	ds_load_b32 v6, v20 offset:28
	v_max_f32_e32 v21, v5, v5
	v_cmp_u_f32_e64 s0, v5, v5
	ds_store_b32 v20, v5 offset:24
	s_waitcnt lgkmcnt(1)
	v_max_f32_e32 v22, v6, v6
	s_delay_alu instid0(VALU_DEP_1) | instskip(SKIP_1) | instid1(VALU_DEP_2)
	v_min_f32_e32 v23, v21, v22
	v_max_f32_e32 v21, v21, v22
	v_cndmask_b32_e64 v22, v23, v5, s0
	s_delay_alu instid0(VALU_DEP_2) | instskip(SKIP_1) | instid1(VALU_DEP_1)
	v_cndmask_b32_e64 v23, v21, v5, s0
	v_cmp_u_f32_e64 s0, v6, v6
	v_cndmask_b32_e64 v21, v22, v6, s0
	s_delay_alu instid0(VALU_DEP_3) | instskip(NEXT) | instid1(VALU_DEP_2)
	v_cndmask_b32_e64 v6, v23, v6, s0
	v_cmp_class_f32_e64 s1, v21, 0x1f8
	s_delay_alu instid0(VALU_DEP_2) | instskip(NEXT) | instid1(VALU_DEP_1)
	v_cmp_neq_f32_e64 s0, v21, v6
	s_or_b32 s0, s0, s1
	s_delay_alu instid0(SALU_CYCLE_1)
	s_and_saveexec_b32 s1, s0
	s_cbranch_execz .LBB173_65
; %bb.64:
	v_sub_f32_e32 v5, v21, v6
	s_delay_alu instid0(VALU_DEP_1) | instskip(SKIP_1) | instid1(VALU_DEP_2)
	v_mul_f32_e32 v21, 0x3fb8aa3b, v5
	v_cmp_ngt_f32_e64 s0, 0xc2ce8ed0, v5
	v_fma_f32 v22, 0x3fb8aa3b, v5, -v21
	v_rndne_f32_e32 v23, v21
	s_delay_alu instid0(VALU_DEP_2) | instskip(NEXT) | instid1(VALU_DEP_2)
	v_fmamk_f32 v22, v5, 0x32a5705f, v22
	v_sub_f32_e32 v21, v21, v23
	s_delay_alu instid0(VALU_DEP_1) | instskip(SKIP_1) | instid1(VALU_DEP_2)
	v_add_f32_e32 v21, v21, v22
	v_cvt_i32_f32_e32 v22, v23
	v_exp_f32_e32 v21, v21
	s_waitcnt_depctr 0xfff
	v_ldexp_f32 v21, v21, v22
	s_delay_alu instid0(VALU_DEP_1) | instskip(SKIP_1) | instid1(VALU_DEP_1)
	v_cndmask_b32_e64 v21, 0, v21, s0
	v_cmp_nlt_f32_e64 s0, 0x42b17218, v5
	v_cndmask_b32_e64 v5, 0x7f800000, v21, s0
	s_delay_alu instid0(VALU_DEP_1) | instskip(SKIP_1) | instid1(VALU_DEP_2)
	v_add_f32_e32 v23, 1.0, v5
	v_cmp_gt_f32_e64 s12, 0x33800000, |v5|
	v_cvt_f64_f32_e32 v[21:22], v23
	s_delay_alu instid0(VALU_DEP_1) | instskip(SKIP_1) | instid1(VALU_DEP_1)
	v_frexp_exp_i32_f64_e32 v21, v[21:22]
	v_frexp_mant_f32_e32 v22, v23
	v_cmp_gt_f32_e64 s0, 0x3f2aaaab, v22
	v_add_f32_e32 v22, -1.0, v23
	s_delay_alu instid0(VALU_DEP_1) | instskip(NEXT) | instid1(VALU_DEP_3)
	v_dual_sub_f32 v25, v22, v23 :: v_dual_sub_f32 v22, v5, v22
	v_subrev_co_ci_u32_e64 v21, s0, 0, v21, s0
	s_mov_b32 s0, 0x3e9b6dac
	s_delay_alu instid0(VALU_DEP_1) | instskip(SKIP_1) | instid1(VALU_DEP_2)
	v_sub_nc_u32_e32 v24, 0, v21
	v_cvt_f32_i32_e32 v21, v21
	v_ldexp_f32 v23, v23, v24
	s_delay_alu instid0(VALU_DEP_1) | instskip(NEXT) | instid1(VALU_DEP_1)
	v_dual_add_f32 v25, 1.0, v25 :: v_dual_add_f32 v26, 1.0, v23
	v_add_f32_e32 v22, v22, v25
	s_delay_alu instid0(VALU_DEP_1) | instskip(NEXT) | instid1(VALU_DEP_3)
	v_ldexp_f32 v22, v22, v24
	v_dual_add_f32 v24, -1.0, v23 :: v_dual_add_f32 v25, -1.0, v26
	s_delay_alu instid0(VALU_DEP_1) | instskip(NEXT) | instid1(VALU_DEP_2)
	v_add_f32_e32 v27, 1.0, v24
	v_sub_f32_e32 v25, v23, v25
	s_delay_alu instid0(VALU_DEP_2) | instskip(NEXT) | instid1(VALU_DEP_2)
	v_sub_f32_e32 v23, v23, v27
	v_add_f32_e32 v25, v22, v25
	s_delay_alu instid0(VALU_DEP_2) | instskip(NEXT) | instid1(VALU_DEP_1)
	v_add_f32_e32 v22, v22, v23
	v_dual_add_f32 v28, v24, v22 :: v_dual_add_f32 v27, v26, v25
	s_delay_alu instid0(VALU_DEP_1) | instskip(NEXT) | instid1(VALU_DEP_2)
	v_sub_f32_e32 v24, v24, v28
	v_rcp_f32_e32 v23, v27
	v_sub_f32_e32 v26, v26, v27
	s_delay_alu instid0(VALU_DEP_1) | instskip(SKIP_2) | instid1(VALU_DEP_1)
	v_dual_add_f32 v22, v22, v24 :: v_dual_add_f32 v25, v25, v26
	s_waitcnt_depctr 0xfff
	v_mul_f32_e32 v29, v28, v23
	v_mul_f32_e32 v30, v27, v29
	s_delay_alu instid0(VALU_DEP_1) | instskip(NEXT) | instid1(VALU_DEP_1)
	v_fma_f32 v26, v29, v27, -v30
	v_fmac_f32_e32 v26, v29, v25
	s_delay_alu instid0(VALU_DEP_1) | instskip(NEXT) | instid1(VALU_DEP_1)
	v_add_f32_e32 v31, v30, v26
	v_sub_f32_e32 v32, v28, v31
	v_sub_f32_e32 v24, v31, v30
	s_delay_alu instid0(VALU_DEP_2) | instskip(NEXT) | instid1(VALU_DEP_2)
	v_sub_f32_e32 v28, v28, v32
	v_sub_f32_e32 v24, v24, v26
	s_delay_alu instid0(VALU_DEP_2) | instskip(NEXT) | instid1(VALU_DEP_1)
	v_sub_f32_e32 v28, v28, v31
	v_add_f32_e32 v22, v22, v28
	s_delay_alu instid0(VALU_DEP_1) | instskip(NEXT) | instid1(VALU_DEP_1)
	v_add_f32_e32 v22, v24, v22
	v_add_f32_e32 v24, v32, v22
	s_delay_alu instid0(VALU_DEP_1) | instskip(NEXT) | instid1(VALU_DEP_1)
	v_mul_f32_e32 v26, v23, v24
	v_dual_sub_f32 v31, v32, v24 :: v_dual_mul_f32 v28, v27, v26
	s_delay_alu instid0(VALU_DEP_1) | instskip(NEXT) | instid1(VALU_DEP_2)
	v_add_f32_e32 v22, v22, v31
	v_fma_f32 v27, v26, v27, -v28
	s_delay_alu instid0(VALU_DEP_1) | instskip(NEXT) | instid1(VALU_DEP_1)
	v_fmac_f32_e32 v27, v26, v25
	v_add_f32_e32 v25, v28, v27
	s_delay_alu instid0(VALU_DEP_1) | instskip(NEXT) | instid1(VALU_DEP_1)
	v_sub_f32_e32 v30, v24, v25
	v_sub_f32_e32 v24, v24, v30
	s_delay_alu instid0(VALU_DEP_1) | instskip(NEXT) | instid1(VALU_DEP_1)
	v_sub_f32_e32 v24, v24, v25
	v_add_f32_e32 v22, v22, v24
	v_add_f32_e32 v24, v29, v26
	v_sub_f32_e32 v28, v25, v28
	s_delay_alu instid0(VALU_DEP_1) | instskip(NEXT) | instid1(VALU_DEP_1)
	v_sub_f32_e32 v25, v28, v27
	v_dual_add_f32 v22, v25, v22 :: v_dual_sub_f32 v25, v24, v29
	s_delay_alu instid0(VALU_DEP_1) | instskip(NEXT) | instid1(VALU_DEP_1)
	v_add_f32_e32 v22, v30, v22
	v_dual_sub_f32 v25, v26, v25 :: v_dual_mul_f32 v22, v23, v22
	s_delay_alu instid0(VALU_DEP_1) | instskip(NEXT) | instid1(VALU_DEP_1)
	v_add_f32_e32 v22, v25, v22
	v_add_f32_e32 v23, v24, v22
	s_delay_alu instid0(VALU_DEP_1) | instskip(NEXT) | instid1(VALU_DEP_1)
	v_mul_f32_e32 v25, v23, v23
	v_fmaak_f32 v26, s0, v25, 0x3ecc95a3
	v_mul_f32_e32 v27, v23, v25
	v_cmp_eq_f32_e64 s0, 0x7f800000, v5
	s_delay_alu instid0(VALU_DEP_3) | instskip(SKIP_2) | instid1(VALU_DEP_4)
	v_fmaak_f32 v25, v25, v26, 0x3f2aaada
	v_ldexp_f32 v26, v23, 1
	v_sub_f32_e32 v23, v23, v24
	s_or_b32 s0, s0, s12
	s_delay_alu instid0(VALU_DEP_3) | instskip(NEXT) | instid1(VALU_DEP_2)
	v_mul_f32_e32 v25, v27, v25
	v_dual_mul_f32 v27, 0x3f317218, v21 :: v_dual_sub_f32 v22, v22, v23
	s_delay_alu instid0(VALU_DEP_2) | instskip(NEXT) | instid1(VALU_DEP_2)
	v_add_f32_e32 v24, v26, v25
	v_ldexp_f32 v22, v22, 1
	s_delay_alu instid0(VALU_DEP_2) | instskip(NEXT) | instid1(VALU_DEP_4)
	v_sub_f32_e32 v23, v24, v26
	v_fma_f32 v26, 0x3f317218, v21, -v27
	s_delay_alu instid0(VALU_DEP_2) | instskip(NEXT) | instid1(VALU_DEP_1)
	v_sub_f32_e32 v23, v25, v23
	v_dual_fmamk_f32 v21, v21, 0xb102e308, v26 :: v_dual_add_f32 v22, v22, v23
	s_delay_alu instid0(VALU_DEP_1) | instskip(NEXT) | instid1(VALU_DEP_1)
	v_add_f32_e32 v23, v27, v21
	v_sub_f32_e32 v27, v23, v27
	s_delay_alu instid0(VALU_DEP_1) | instskip(NEXT) | instid1(VALU_DEP_4)
	v_sub_f32_e32 v21, v21, v27
	v_add_f32_e32 v25, v24, v22
	s_delay_alu instid0(VALU_DEP_1) | instskip(NEXT) | instid1(VALU_DEP_1)
	v_sub_f32_e32 v24, v25, v24
	v_sub_f32_e32 v22, v22, v24
	v_add_f32_e32 v26, v23, v25
	s_delay_alu instid0(VALU_DEP_1) | instskip(NEXT) | instid1(VALU_DEP_1)
	v_sub_f32_e32 v28, v26, v23
	v_sub_f32_e32 v24, v25, v28
	s_delay_alu instid0(VALU_DEP_4) | instskip(SKIP_1) | instid1(VALU_DEP_1)
	v_add_f32_e32 v25, v21, v22
	v_sub_f32_e32 v29, v26, v28
	v_sub_f32_e32 v23, v23, v29
	s_delay_alu instid0(VALU_DEP_1) | instskip(NEXT) | instid1(VALU_DEP_1)
	v_dual_add_f32 v23, v24, v23 :: v_dual_sub_f32 v24, v25, v21
	v_dual_add_f32 v23, v25, v23 :: v_dual_sub_f32 v22, v22, v24
	v_sub_f32_e32 v25, v25, v24
	s_delay_alu instid0(VALU_DEP_2) | instskip(NEXT) | instid1(VALU_DEP_1)
	v_add_f32_e32 v27, v26, v23
	v_dual_sub_f32 v21, v21, v25 :: v_dual_sub_f32 v24, v27, v26
	s_delay_alu instid0(VALU_DEP_1) | instskip(NEXT) | instid1(VALU_DEP_1)
	v_dual_add_f32 v21, v22, v21 :: v_dual_sub_f32 v22, v23, v24
	v_add_f32_e32 v21, v21, v22
	s_delay_alu instid0(VALU_DEP_1) | instskip(NEXT) | instid1(VALU_DEP_1)
	v_add_f32_e32 v21, v27, v21
	v_cndmask_b32_e64 v5, v21, v5, s0
	s_delay_alu instid0(VALU_DEP_1)
	v_add_f32_e32 v5, v6, v5
.LBB173_65:
	s_or_b32 exec_lo, exec_lo, s1
	ds_store_b32 v20, v5 offset:28
.LBB173_66:
	s_or_b32 exec_lo, exec_lo, s9
	v_cmp_ne_u32_e64 s0, 0, v0
	s_waitcnt lgkmcnt(0)
	s_barrier
	buffer_gl0_inv
	s_and_saveexec_b32 s1, s0
	s_cbranch_execz .LBB173_68
; %bb.67:
	v_add_nc_u32_e32 v0, -1, v0
	s_delay_alu instid0(VALU_DEP_1) | instskip(NEXT) | instid1(VALU_DEP_1)
	v_lshrrev_b32_e32 v5, 5, v0
	v_add_lshl_u32 v0, v5, v0, 2
	ds_load_b32 v19, v0
.LBB173_68:
	s_or_b32 exec_lo, exec_lo, s1
	s_and_saveexec_b32 s1, s0
	s_cbranch_execz .LBB173_72
; %bb.69:
	s_waitcnt lgkmcnt(0)
	v_max_f32_e32 v0, v19, v19
	v_cmp_u_f32_e64 s0, v19, v19
	s_delay_alu instid0(VALU_DEP_2) | instskip(SKIP_1) | instid1(VALU_DEP_2)
	v_min_f32_e32 v5, v0, v18
	v_max_f32_e32 v0, v0, v18
	v_cndmask_b32_e64 v5, v5, v19, s0
	s_delay_alu instid0(VALU_DEP_2) | instskip(NEXT) | instid1(VALU_DEP_2)
	v_cndmask_b32_e64 v0, v0, v19, s0
	v_cndmask_b32_e64 v5, v5, v1, s8
	s_delay_alu instid0(VALU_DEP_2) | instskip(NEXT) | instid1(VALU_DEP_2)
	v_cndmask_b32_e64 v0, v0, v1, s8
	v_cmp_class_f32_e64 s8, v5, 0x1f8
	s_delay_alu instid0(VALU_DEP_2) | instskip(NEXT) | instid1(VALU_DEP_1)
	v_cmp_neq_f32_e64 s0, v5, v0
	s_or_b32 s0, s0, s8
	s_delay_alu instid0(SALU_CYCLE_1)
	s_and_saveexec_b32 s8, s0
	s_cbranch_execz .LBB173_71
; %bb.70:
	v_sub_f32_e32 v1, v5, v0
	s_delay_alu instid0(VALU_DEP_1) | instskip(SKIP_1) | instid1(VALU_DEP_2)
	v_mul_f32_e32 v5, 0x3fb8aa3b, v1
	v_cmp_ngt_f32_e64 s0, 0xc2ce8ed0, v1
	v_fma_f32 v6, 0x3fb8aa3b, v1, -v5
	v_rndne_f32_e32 v16, v5
	s_delay_alu instid0(VALU_DEP_2) | instskip(NEXT) | instid1(VALU_DEP_2)
	v_fmamk_f32 v6, v1, 0x32a5705f, v6
	v_sub_f32_e32 v5, v5, v16
	s_delay_alu instid0(VALU_DEP_1) | instskip(SKIP_1) | instid1(VALU_DEP_2)
	v_add_f32_e32 v5, v5, v6
	v_cvt_i32_f32_e32 v6, v16
	v_exp_f32_e32 v5, v5
	s_waitcnt_depctr 0xfff
	v_ldexp_f32 v5, v5, v6
	s_delay_alu instid0(VALU_DEP_1) | instskip(SKIP_1) | instid1(VALU_DEP_1)
	v_cndmask_b32_e64 v5, 0, v5, s0
	v_cmp_nlt_f32_e64 s0, 0x42b17218, v1
	v_cndmask_b32_e64 v1, 0x7f800000, v5, s0
	s_delay_alu instid0(VALU_DEP_1) | instskip(SKIP_1) | instid1(VALU_DEP_2)
	v_add_f32_e32 v16, 1.0, v1
	v_cmp_gt_f32_e64 s9, 0x33800000, |v1|
	v_cvt_f64_f32_e32 v[5:6], v16
	s_delay_alu instid0(VALU_DEP_1) | instskip(SKIP_1) | instid1(VALU_DEP_1)
	v_frexp_exp_i32_f64_e32 v5, v[5:6]
	v_frexp_mant_f32_e32 v6, v16
	v_cmp_gt_f32_e64 s0, 0x3f2aaaab, v6
	v_add_f32_e32 v6, -1.0, v16
	s_delay_alu instid0(VALU_DEP_1) | instskip(NEXT) | instid1(VALU_DEP_1)
	v_sub_f32_e32 v18, v6, v16
	v_add_f32_e32 v18, 1.0, v18
	s_delay_alu instid0(VALU_DEP_4) | instskip(SKIP_1) | instid1(VALU_DEP_1)
	v_subrev_co_ci_u32_e64 v5, s0, 0, v5, s0
	s_mov_b32 s0, 0x3e9b6dac
	v_sub_nc_u32_e32 v17, 0, v5
	v_cvt_f32_i32_e32 v5, v5
	s_delay_alu instid0(VALU_DEP_2) | instskip(NEXT) | instid1(VALU_DEP_1)
	v_ldexp_f32 v16, v16, v17
	v_dual_sub_f32 v6, v1, v6 :: v_dual_add_f32 v19, 1.0, v16
	s_delay_alu instid0(VALU_DEP_1) | instskip(NEXT) | instid1(VALU_DEP_1)
	v_add_f32_e32 v6, v6, v18
	v_ldexp_f32 v6, v6, v17
	s_delay_alu instid0(VALU_DEP_3) | instskip(NEXT) | instid1(VALU_DEP_1)
	v_dual_add_f32 v17, -1.0, v16 :: v_dual_add_f32 v18, -1.0, v19
	v_add_f32_e32 v20, 1.0, v17
	s_delay_alu instid0(VALU_DEP_2) | instskip(NEXT) | instid1(VALU_DEP_2)
	v_sub_f32_e32 v18, v16, v18
	v_sub_f32_e32 v16, v16, v20
	s_delay_alu instid0(VALU_DEP_2) | instskip(NEXT) | instid1(VALU_DEP_2)
	v_add_f32_e32 v18, v6, v18
	v_add_f32_e32 v6, v6, v16
	s_delay_alu instid0(VALU_DEP_1) | instskip(NEXT) | instid1(VALU_DEP_1)
	v_add_f32_e32 v21, v17, v6
	v_dual_sub_f32 v17, v17, v21 :: v_dual_add_f32 v20, v19, v18
	s_delay_alu instid0(VALU_DEP_1) | instskip(SKIP_1) | instid1(VALU_DEP_1)
	v_rcp_f32_e32 v16, v20
	v_sub_f32_e32 v19, v19, v20
	v_add_f32_e32 v18, v18, v19
	s_waitcnt_depctr 0xfff
	v_mul_f32_e32 v22, v21, v16
	s_delay_alu instid0(VALU_DEP_1) | instskip(NEXT) | instid1(VALU_DEP_1)
	v_mul_f32_e32 v23, v20, v22
	v_fma_f32 v19, v22, v20, -v23
	s_delay_alu instid0(VALU_DEP_1) | instskip(SKIP_1) | instid1(VALU_DEP_2)
	v_fmac_f32_e32 v19, v22, v18
	v_add_f32_e32 v6, v6, v17
	v_add_f32_e32 v24, v23, v19
	s_delay_alu instid0(VALU_DEP_1) | instskip(SKIP_1) | instid1(VALU_DEP_2)
	v_sub_f32_e32 v25, v21, v24
	v_sub_f32_e32 v17, v24, v23
	;; [unrolled: 1-line block ×3, first 2 shown]
	s_delay_alu instid0(VALU_DEP_2) | instskip(NEXT) | instid1(VALU_DEP_2)
	v_sub_f32_e32 v17, v17, v19
	v_sub_f32_e32 v21, v21, v24
	s_delay_alu instid0(VALU_DEP_1) | instskip(NEXT) | instid1(VALU_DEP_1)
	v_add_f32_e32 v6, v6, v21
	v_add_f32_e32 v6, v17, v6
	s_delay_alu instid0(VALU_DEP_1) | instskip(NEXT) | instid1(VALU_DEP_1)
	v_add_f32_e32 v17, v25, v6
	v_mul_f32_e32 v19, v16, v17
	s_delay_alu instid0(VALU_DEP_1) | instskip(NEXT) | instid1(VALU_DEP_1)
	v_dual_sub_f32 v24, v25, v17 :: v_dual_mul_f32 v21, v20, v19
	v_fma_f32 v20, v19, v20, -v21
	s_delay_alu instid0(VALU_DEP_1) | instskip(NEXT) | instid1(VALU_DEP_1)
	v_fmac_f32_e32 v20, v19, v18
	v_add_f32_e32 v18, v21, v20
	s_delay_alu instid0(VALU_DEP_1) | instskip(SKIP_1) | instid1(VALU_DEP_1)
	v_sub_f32_e32 v21, v18, v21
	v_dual_sub_f32 v23, v17, v18 :: v_dual_add_f32 v6, v6, v24
	v_sub_f32_e32 v17, v17, v23
	s_delay_alu instid0(VALU_DEP_1) | instskip(NEXT) | instid1(VALU_DEP_4)
	v_sub_f32_e32 v17, v17, v18
	v_sub_f32_e32 v18, v21, v20
	s_delay_alu instid0(VALU_DEP_2) | instskip(SKIP_1) | instid1(VALU_DEP_2)
	v_add_f32_e32 v6, v6, v17
	v_add_f32_e32 v17, v22, v19
	;; [unrolled: 1-line block ×3, first 2 shown]
	s_delay_alu instid0(VALU_DEP_2) | instskip(NEXT) | instid1(VALU_DEP_2)
	v_sub_f32_e32 v18, v17, v22
	v_add_f32_e32 v6, v23, v6
	s_delay_alu instid0(VALU_DEP_2) | instskip(NEXT) | instid1(VALU_DEP_2)
	v_sub_f32_e32 v18, v19, v18
	v_mul_f32_e32 v6, v16, v6
	s_delay_alu instid0(VALU_DEP_1) | instskip(NEXT) | instid1(VALU_DEP_1)
	v_add_f32_e32 v6, v18, v6
	v_add_f32_e32 v16, v17, v6
	s_delay_alu instid0(VALU_DEP_1) | instskip(NEXT) | instid1(VALU_DEP_1)
	v_mul_f32_e32 v18, v16, v16
	v_fmaak_f32 v19, s0, v18, 0x3ecc95a3
	v_mul_f32_e32 v20, v16, v18
	v_cmp_eq_f32_e64 s0, 0x7f800000, v1
	s_delay_alu instid0(VALU_DEP_3) | instskip(SKIP_2) | instid1(VALU_DEP_4)
	v_fmaak_f32 v18, v18, v19, 0x3f2aaada
	v_ldexp_f32 v19, v16, 1
	v_sub_f32_e32 v16, v16, v17
	s_or_b32 s0, s0, s9
	s_delay_alu instid0(VALU_DEP_3) | instskip(NEXT) | instid1(VALU_DEP_1)
	v_mul_f32_e32 v18, v20, v18
	v_dual_sub_f32 v6, v6, v16 :: v_dual_add_f32 v17, v19, v18
	s_delay_alu instid0(VALU_DEP_1) | instskip(NEXT) | instid1(VALU_DEP_2)
	v_ldexp_f32 v6, v6, 1
	v_sub_f32_e32 v16, v17, v19
	s_delay_alu instid0(VALU_DEP_1) | instskip(NEXT) | instid1(VALU_DEP_1)
	v_sub_f32_e32 v16, v18, v16
	v_add_f32_e32 v6, v6, v16
	s_delay_alu instid0(VALU_DEP_1) | instskip(SKIP_1) | instid1(VALU_DEP_2)
	v_add_f32_e32 v18, v17, v6
	v_mul_f32_e32 v20, 0x3f317218, v5
	v_sub_f32_e32 v17, v18, v17
	s_delay_alu instid0(VALU_DEP_2) | instskip(NEXT) | instid1(VALU_DEP_1)
	v_fma_f32 v19, 0x3f317218, v5, -v20
	v_dual_sub_f32 v6, v6, v17 :: v_dual_fmamk_f32 v5, v5, 0xb102e308, v19
	s_delay_alu instid0(VALU_DEP_1) | instskip(NEXT) | instid1(VALU_DEP_1)
	v_add_f32_e32 v16, v20, v5
	v_add_f32_e32 v19, v16, v18
	v_sub_f32_e32 v20, v16, v20
	s_delay_alu instid0(VALU_DEP_2) | instskip(NEXT) | instid1(VALU_DEP_1)
	v_sub_f32_e32 v21, v19, v16
	v_dual_sub_f32 v5, v5, v20 :: v_dual_sub_f32 v22, v19, v21
	s_delay_alu instid0(VALU_DEP_1) | instskip(NEXT) | instid1(VALU_DEP_2)
	v_dual_sub_f32 v17, v18, v21 :: v_dual_add_f32 v18, v5, v6
	v_sub_f32_e32 v16, v16, v22
	s_delay_alu instid0(VALU_DEP_1) | instskip(NEXT) | instid1(VALU_DEP_1)
	v_dual_add_f32 v16, v17, v16 :: v_dual_sub_f32 v17, v18, v5
	v_add_f32_e32 v16, v18, v16
	s_delay_alu instid0(VALU_DEP_2) | instskip(SKIP_1) | instid1(VALU_DEP_2)
	v_sub_f32_e32 v18, v18, v17
	v_sub_f32_e32 v6, v6, v17
	v_dual_add_f32 v20, v19, v16 :: v_dual_sub_f32 v5, v5, v18
	s_delay_alu instid0(VALU_DEP_1) | instskip(NEXT) | instid1(VALU_DEP_2)
	v_sub_f32_e32 v17, v20, v19
	v_add_f32_e32 v5, v6, v5
	s_delay_alu instid0(VALU_DEP_2) | instskip(NEXT) | instid1(VALU_DEP_1)
	v_sub_f32_e32 v6, v16, v17
	v_add_f32_e32 v5, v5, v6
	s_delay_alu instid0(VALU_DEP_1) | instskip(NEXT) | instid1(VALU_DEP_1)
	v_add_f32_e32 v5, v20, v5
	v_cndmask_b32_e64 v1, v5, v1, s0
	s_delay_alu instid0(VALU_DEP_1)
	v_add_f32_e32 v19, v0, v1
.LBB173_71:
	s_or_b32 exec_lo, exec_lo, s8
	s_delay_alu instid0(VALU_DEP_1) | instskip(SKIP_1) | instid1(VALU_DEP_1)
	v_max_f32_e32 v0, v19, v19
	;;#ASMSTART
	;;#ASMEND
	v_dual_mov_b32 v1, v19 :: v_dual_min_f32 v16, v0, v15
	v_max_f32_e32 v17, v0, v15
.LBB173_72:
	s_or_b32 exec_lo, exec_lo, s1
	s_delay_alu instid0(VALU_DEP_2) | instskip(NEXT) | instid1(VALU_DEP_1)
	v_cmp_u_f32_e64 s0, v1, v1
	v_cndmask_b32_e64 v0, v16, v1, s0
	s_delay_alu instid0(VALU_DEP_3) | instskip(NEXT) | instid1(VALU_DEP_2)
	v_cndmask_b32_e64 v6, v17, v1, s0
	v_cndmask_b32_e64 v5, v0, v2, s5
	s_delay_alu instid0(VALU_DEP_2) | instskip(SKIP_1) | instid1(VALU_DEP_3)
	v_cndmask_b32_e64 v2, v6, v2, s5
	v_mov_b32_e32 v0, v1
	v_cmp_class_f32_e64 s1, v5, 0x1f8
	s_delay_alu instid0(VALU_DEP_3) | instskip(NEXT) | instid1(VALU_DEP_1)
	v_cmp_neq_f32_e64 s0, v5, v2
	s_or_b32 s0, s0, s1
	s_delay_alu instid0(SALU_CYCLE_1)
	s_and_saveexec_b32 s1, s0
	s_cbranch_execz .LBB173_74
; %bb.73:
	v_sub_f32_e32 v0, v5, v2
	s_delay_alu instid0(VALU_DEP_1) | instskip(SKIP_1) | instid1(VALU_DEP_2)
	v_mul_f32_e32 v5, 0x3fb8aa3b, v0
	v_cmp_ngt_f32_e64 s0, 0xc2ce8ed0, v0
	v_fma_f32 v6, 0x3fb8aa3b, v0, -v5
	v_rndne_f32_e32 v15, v5
	s_delay_alu instid0(VALU_DEP_1) | instskip(NEXT) | instid1(VALU_DEP_1)
	v_dual_fmamk_f32 v6, v0, 0x32a5705f, v6 :: v_dual_sub_f32 v5, v5, v15
	v_add_f32_e32 v5, v5, v6
	v_cvt_i32_f32_e32 v6, v15
	s_delay_alu instid0(VALU_DEP_2) | instskip(SKIP_2) | instid1(VALU_DEP_1)
	v_exp_f32_e32 v5, v5
	s_waitcnt_depctr 0xfff
	v_ldexp_f32 v5, v5, v6
	v_cndmask_b32_e64 v5, 0, v5, s0
	v_cmp_nlt_f32_e64 s0, 0x42b17218, v0
	s_delay_alu instid0(VALU_DEP_1) | instskip(NEXT) | instid1(VALU_DEP_1)
	v_cndmask_b32_e64 v0, 0x7f800000, v5, s0
	v_add_f32_e32 v15, 1.0, v0
	v_cmp_gt_f32_e64 s5, 0x33800000, |v0|
	s_delay_alu instid0(VALU_DEP_2) | instskip(NEXT) | instid1(VALU_DEP_1)
	v_cvt_f64_f32_e32 v[5:6], v15
	v_frexp_exp_i32_f64_e32 v5, v[5:6]
	v_frexp_mant_f32_e32 v6, v15
	s_delay_alu instid0(VALU_DEP_1) | instskip(SKIP_1) | instid1(VALU_DEP_1)
	v_cmp_gt_f32_e64 s0, 0x3f2aaaab, v6
	v_add_f32_e32 v6, -1.0, v15
	v_dual_sub_f32 v17, v6, v15 :: v_dual_sub_f32 v6, v0, v6
	s_delay_alu instid0(VALU_DEP_3) | instskip(SKIP_1) | instid1(VALU_DEP_1)
	v_subrev_co_ci_u32_e64 v5, s0, 0, v5, s0
	s_mov_b32 s0, 0x3e9b6dac
	v_sub_nc_u32_e32 v16, 0, v5
	v_cvt_f32_i32_e32 v5, v5
	s_delay_alu instid0(VALU_DEP_2) | instskip(NEXT) | instid1(VALU_DEP_1)
	v_ldexp_f32 v15, v15, v16
	v_dual_add_f32 v17, 1.0, v17 :: v_dual_add_f32 v18, 1.0, v15
	s_delay_alu instid0(VALU_DEP_1) | instskip(NEXT) | instid1(VALU_DEP_1)
	v_dual_add_f32 v6, v6, v17 :: v_dual_add_f32 v17, -1.0, v18
	v_ldexp_f32 v6, v6, v16
	s_delay_alu instid0(VALU_DEP_2) | instskip(SKIP_1) | instid1(VALU_DEP_1)
	v_dual_add_f32 v16, -1.0, v15 :: v_dual_sub_f32 v17, v15, v17
	s_waitcnt lgkmcnt(0)
	v_add_f32_e32 v19, 1.0, v16
	s_delay_alu instid0(VALU_DEP_2) | instskip(NEXT) | instid1(VALU_DEP_2)
	v_add_f32_e32 v17, v6, v17
	v_sub_f32_e32 v15, v15, v19
	s_delay_alu instid0(VALU_DEP_1) | instskip(NEXT) | instid1(VALU_DEP_1)
	v_add_f32_e32 v6, v6, v15
	v_dual_add_f32 v20, v16, v6 :: v_dual_add_f32 v19, v18, v17
	s_delay_alu instid0(VALU_DEP_1) | instskip(NEXT) | instid1(VALU_DEP_2)
	v_sub_f32_e32 v16, v16, v20
	v_rcp_f32_e32 v15, v19
	v_sub_f32_e32 v18, v18, v19
	s_delay_alu instid0(VALU_DEP_1) | instskip(SKIP_2) | instid1(VALU_DEP_1)
	v_dual_add_f32 v6, v6, v16 :: v_dual_add_f32 v17, v17, v18
	s_waitcnt_depctr 0xfff
	v_mul_f32_e32 v21, v20, v15
	v_mul_f32_e32 v22, v19, v21
	s_delay_alu instid0(VALU_DEP_1) | instskip(NEXT) | instid1(VALU_DEP_1)
	v_fma_f32 v18, v21, v19, -v22
	v_fmac_f32_e32 v18, v21, v17
	s_delay_alu instid0(VALU_DEP_1) | instskip(NEXT) | instid1(VALU_DEP_1)
	v_add_f32_e32 v23, v22, v18
	v_sub_f32_e32 v24, v20, v23
	s_delay_alu instid0(VALU_DEP_1) | instskip(SKIP_1) | instid1(VALU_DEP_2)
	v_sub_f32_e32 v20, v20, v24
	v_sub_f32_e32 v16, v23, v22
	;; [unrolled: 1-line block ×3, first 2 shown]
	s_delay_alu instid0(VALU_DEP_2) | instskip(NEXT) | instid1(VALU_DEP_2)
	v_sub_f32_e32 v16, v16, v18
	v_add_f32_e32 v6, v6, v20
	s_delay_alu instid0(VALU_DEP_1) | instskip(NEXT) | instid1(VALU_DEP_1)
	v_add_f32_e32 v6, v16, v6
	v_add_f32_e32 v16, v24, v6
	s_delay_alu instid0(VALU_DEP_1) | instskip(NEXT) | instid1(VALU_DEP_1)
	v_mul_f32_e32 v18, v15, v16
	v_dual_sub_f32 v23, v24, v16 :: v_dual_mul_f32 v20, v19, v18
	s_delay_alu instid0(VALU_DEP_1) | instskip(NEXT) | instid1(VALU_DEP_2)
	v_add_f32_e32 v6, v6, v23
	v_fma_f32 v19, v18, v19, -v20
	s_delay_alu instid0(VALU_DEP_1) | instskip(NEXT) | instid1(VALU_DEP_1)
	v_fmac_f32_e32 v19, v18, v17
	v_add_f32_e32 v17, v20, v19
	s_delay_alu instid0(VALU_DEP_1) | instskip(SKIP_1) | instid1(VALU_DEP_2)
	v_sub_f32_e32 v22, v16, v17
	v_sub_f32_e32 v20, v17, v20
	;; [unrolled: 1-line block ×3, first 2 shown]
	s_delay_alu instid0(VALU_DEP_1) | instskip(NEXT) | instid1(VALU_DEP_1)
	v_sub_f32_e32 v16, v16, v17
	v_dual_sub_f32 v17, v20, v19 :: v_dual_add_f32 v6, v6, v16
	v_add_f32_e32 v16, v21, v18
	s_delay_alu instid0(VALU_DEP_1) | instskip(NEXT) | instid1(VALU_DEP_1)
	v_dual_add_f32 v6, v17, v6 :: v_dual_sub_f32 v17, v16, v21
	v_add_f32_e32 v6, v22, v6
	s_delay_alu instid0(VALU_DEP_1) | instskip(NEXT) | instid1(VALU_DEP_1)
	v_dual_sub_f32 v17, v18, v17 :: v_dual_mul_f32 v6, v15, v6
	v_add_f32_e32 v6, v17, v6
	s_delay_alu instid0(VALU_DEP_1) | instskip(NEXT) | instid1(VALU_DEP_1)
	v_add_f32_e32 v15, v16, v6
	v_mul_f32_e32 v17, v15, v15
	s_delay_alu instid0(VALU_DEP_1) | instskip(SKIP_2) | instid1(VALU_DEP_3)
	v_fmaak_f32 v18, s0, v17, 0x3ecc95a3
	v_mul_f32_e32 v19, v15, v17
	v_cmp_eq_f32_e64 s0, 0x7f800000, v0
	v_fmaak_f32 v17, v17, v18, 0x3f2aaada
	v_ldexp_f32 v18, v15, 1
	v_sub_f32_e32 v15, v15, v16
	s_delay_alu instid0(VALU_DEP_4) | instskip(NEXT) | instid1(VALU_DEP_3)
	s_or_b32 s0, s0, s5
	v_mul_f32_e32 v17, v19, v17
	s_delay_alu instid0(VALU_DEP_2) | instskip(NEXT) | instid1(VALU_DEP_2)
	v_dual_mul_f32 v19, 0x3f317218, v5 :: v_dual_sub_f32 v6, v6, v15
	v_add_f32_e32 v16, v18, v17
	s_delay_alu instid0(VALU_DEP_2) | instskip(NEXT) | instid1(VALU_DEP_2)
	v_ldexp_f32 v6, v6, 1
	v_sub_f32_e32 v15, v16, v18
	s_delay_alu instid0(VALU_DEP_4) | instskip(NEXT) | instid1(VALU_DEP_2)
	v_fma_f32 v18, 0x3f317218, v5, -v19
	v_sub_f32_e32 v15, v17, v15
	s_delay_alu instid0(VALU_DEP_1) | instskip(NEXT) | instid1(VALU_DEP_1)
	v_dual_fmamk_f32 v5, v5, 0xb102e308, v18 :: v_dual_add_f32 v6, v6, v15
	v_add_f32_e32 v15, v19, v5
	s_delay_alu instid0(VALU_DEP_1) | instskip(NEXT) | instid1(VALU_DEP_1)
	v_sub_f32_e32 v19, v15, v19
	v_sub_f32_e32 v5, v5, v19
	s_delay_alu instid0(VALU_DEP_4) | instskip(NEXT) | instid1(VALU_DEP_1)
	v_add_f32_e32 v17, v16, v6
	v_sub_f32_e32 v16, v17, v16
	s_delay_alu instid0(VALU_DEP_1) | instskip(SKIP_1) | instid1(VALU_DEP_1)
	v_sub_f32_e32 v6, v6, v16
	v_add_f32_e32 v18, v15, v17
	v_sub_f32_e32 v20, v18, v15
	s_delay_alu instid0(VALU_DEP_1) | instskip(NEXT) | instid1(VALU_DEP_4)
	v_sub_f32_e32 v16, v17, v20
	v_add_f32_e32 v17, v5, v6
	v_sub_f32_e32 v21, v18, v20
	s_delay_alu instid0(VALU_DEP_1) | instskip(NEXT) | instid1(VALU_DEP_1)
	v_sub_f32_e32 v15, v15, v21
	v_dual_add_f32 v15, v16, v15 :: v_dual_sub_f32 v16, v17, v5
	s_delay_alu instid0(VALU_DEP_1) | instskip(SKIP_1) | instid1(VALU_DEP_2)
	v_dual_add_f32 v15, v17, v15 :: v_dual_sub_f32 v6, v6, v16
	v_sub_f32_e32 v17, v17, v16
	v_add_f32_e32 v19, v18, v15
	s_delay_alu instid0(VALU_DEP_1) | instskip(NEXT) | instid1(VALU_DEP_1)
	v_dual_sub_f32 v5, v5, v17 :: v_dual_sub_f32 v16, v19, v18
	v_dual_add_f32 v5, v6, v5 :: v_dual_sub_f32 v6, v15, v16
	s_delay_alu instid0(VALU_DEP_1) | instskip(NEXT) | instid1(VALU_DEP_1)
	v_add_f32_e32 v5, v5, v6
	v_add_f32_e32 v5, v19, v5
	s_delay_alu instid0(VALU_DEP_1) | instskip(NEXT) | instid1(VALU_DEP_1)
	v_cndmask_b32_e64 v0, v5, v0, s0
	v_add_f32_e32 v0, v2, v0
.LBB173_74:
	s_or_b32 exec_lo, exec_lo, s1
	s_delay_alu instid0(VALU_DEP_1) | instskip(SKIP_1) | instid1(VALU_DEP_2)
	v_max_f32_e32 v2, v0, v0
	v_cmp_u_f32_e64 s0, v0, v0
	v_min_f32_e32 v5, v2, v13
	v_max_f32_e32 v2, v2, v13
	s_delay_alu instid0(VALU_DEP_2) | instskip(NEXT) | instid1(VALU_DEP_2)
	v_cndmask_b32_e64 v5, v5, v0, s0
	v_cndmask_b32_e64 v2, v2, v0, s0
	s_delay_alu instid0(VALU_DEP_2) | instskip(NEXT) | instid1(VALU_DEP_2)
	v_cndmask_b32_e64 v5, v5, v3, s6
	v_cndmask_b32_e64 v3, v2, v3, s6
	v_mov_b32_e32 v2, v0
	s_delay_alu instid0(VALU_DEP_3) | instskip(NEXT) | instid1(VALU_DEP_3)
	v_cmp_class_f32_e64 s1, v5, 0x1f8
	v_cmp_neq_f32_e64 s0, v5, v3
	s_delay_alu instid0(VALU_DEP_1) | instskip(NEXT) | instid1(SALU_CYCLE_1)
	s_or_b32 s0, s0, s1
	s_and_saveexec_b32 s1, s0
	s_cbranch_execz .LBB173_76
; %bb.75:
	v_sub_f32_e32 v2, v5, v3
	s_delay_alu instid0(VALU_DEP_1) | instskip(SKIP_1) | instid1(VALU_DEP_2)
	v_mul_f32_e32 v5, 0x3fb8aa3b, v2
	v_cmp_ngt_f32_e64 s0, 0xc2ce8ed0, v2
	v_fma_f32 v6, 0x3fb8aa3b, v2, -v5
	v_rndne_f32_e32 v13, v5
	s_delay_alu instid0(VALU_DEP_1) | instskip(NEXT) | instid1(VALU_DEP_1)
	v_dual_fmamk_f32 v6, v2, 0x32a5705f, v6 :: v_dual_sub_f32 v5, v5, v13
	v_add_f32_e32 v5, v5, v6
	v_cvt_i32_f32_e32 v6, v13
	s_delay_alu instid0(VALU_DEP_2) | instskip(SKIP_2) | instid1(VALU_DEP_1)
	v_exp_f32_e32 v5, v5
	s_waitcnt_depctr 0xfff
	v_ldexp_f32 v5, v5, v6
	v_cndmask_b32_e64 v5, 0, v5, s0
	v_cmp_nlt_f32_e64 s0, 0x42b17218, v2
	s_delay_alu instid0(VALU_DEP_1) | instskip(NEXT) | instid1(VALU_DEP_1)
	v_cndmask_b32_e64 v2, 0x7f800000, v5, s0
	v_add_f32_e32 v13, 1.0, v2
	v_cmp_gt_f32_e64 s5, 0x33800000, |v2|
	s_delay_alu instid0(VALU_DEP_2) | instskip(NEXT) | instid1(VALU_DEP_1)
	v_cvt_f64_f32_e32 v[5:6], v13
	v_frexp_exp_i32_f64_e32 v5, v[5:6]
	v_frexp_mant_f32_e32 v6, v13
	s_delay_alu instid0(VALU_DEP_1) | instskip(SKIP_1) | instid1(VALU_DEP_1)
	v_cmp_gt_f32_e64 s0, 0x3f2aaaab, v6
	v_add_f32_e32 v6, -1.0, v13
	v_sub_f32_e32 v16, v6, v13
	s_delay_alu instid0(VALU_DEP_1) | instskip(NEXT) | instid1(VALU_DEP_4)
	v_add_f32_e32 v16, 1.0, v16
	v_subrev_co_ci_u32_e64 v5, s0, 0, v5, s0
	s_mov_b32 s0, 0x3e9b6dac
	s_delay_alu instid0(VALU_DEP_1) | instskip(SKIP_1) | instid1(VALU_DEP_2)
	v_sub_nc_u32_e32 v15, 0, v5
	v_cvt_f32_i32_e32 v5, v5
	v_ldexp_f32 v13, v13, v15
	s_delay_alu instid0(VALU_DEP_1) | instskip(NEXT) | instid1(VALU_DEP_1)
	v_dual_sub_f32 v6, v2, v6 :: v_dual_add_f32 v17, 1.0, v13
	v_add_f32_e32 v6, v6, v16
	s_delay_alu instid0(VALU_DEP_1) | instskip(SKIP_1) | instid1(VALU_DEP_4)
	v_ldexp_f32 v6, v6, v15
	v_add_f32_e32 v15, -1.0, v13
	v_add_f32_e32 v16, -1.0, v17
	s_delay_alu instid0(VALU_DEP_2) | instskip(NEXT) | instid1(VALU_DEP_2)
	v_add_f32_e32 v18, 1.0, v15
	v_sub_f32_e32 v16, v13, v16
	s_delay_alu instid0(VALU_DEP_1) | instskip(NEXT) | instid1(VALU_DEP_1)
	v_dual_sub_f32 v13, v13, v18 :: v_dual_add_f32 v16, v6, v16
	v_add_f32_e32 v6, v6, v13
	s_waitcnt lgkmcnt(0)
	s_delay_alu instid0(VALU_DEP_1) | instskip(NEXT) | instid1(VALU_DEP_1)
	v_dual_add_f32 v19, v15, v6 :: v_dual_add_f32 v18, v17, v16
	v_sub_f32_e32 v15, v15, v19
	s_delay_alu instid0(VALU_DEP_2) | instskip(SKIP_1) | instid1(VALU_DEP_1)
	v_rcp_f32_e32 v13, v18
	v_sub_f32_e32 v17, v17, v18
	v_add_f32_e32 v16, v16, v17
	s_waitcnt_depctr 0xfff
	v_mul_f32_e32 v20, v19, v13
	s_delay_alu instid0(VALU_DEP_1) | instskip(NEXT) | instid1(VALU_DEP_1)
	v_mul_f32_e32 v21, v18, v20
	v_fma_f32 v17, v20, v18, -v21
	s_delay_alu instid0(VALU_DEP_1) | instskip(NEXT) | instid1(VALU_DEP_1)
	v_fmac_f32_e32 v17, v20, v16
	v_add_f32_e32 v22, v21, v17
	s_delay_alu instid0(VALU_DEP_1) | instskip(NEXT) | instid1(VALU_DEP_1)
	v_sub_f32_e32 v23, v19, v22
	v_sub_f32_e32 v19, v19, v23
	v_add_f32_e32 v6, v6, v15
	v_sub_f32_e32 v15, v22, v21
	s_delay_alu instid0(VALU_DEP_3) | instskip(NEXT) | instid1(VALU_DEP_1)
	v_sub_f32_e32 v19, v19, v22
	v_dual_sub_f32 v15, v15, v17 :: v_dual_add_f32 v6, v6, v19
	s_delay_alu instid0(VALU_DEP_1) | instskip(NEXT) | instid1(VALU_DEP_1)
	v_add_f32_e32 v6, v15, v6
	v_add_f32_e32 v15, v23, v6
	s_delay_alu instid0(VALU_DEP_1) | instskip(NEXT) | instid1(VALU_DEP_1)
	v_mul_f32_e32 v17, v13, v15
	v_dual_sub_f32 v22, v23, v15 :: v_dual_mul_f32 v19, v18, v17
	s_delay_alu instid0(VALU_DEP_1) | instskip(NEXT) | instid1(VALU_DEP_2)
	v_add_f32_e32 v6, v6, v22
	v_fma_f32 v18, v17, v18, -v19
	s_delay_alu instid0(VALU_DEP_1) | instskip(NEXT) | instid1(VALU_DEP_1)
	v_fmac_f32_e32 v18, v17, v16
	v_add_f32_e32 v16, v19, v18
	s_delay_alu instid0(VALU_DEP_1) | instskip(NEXT) | instid1(VALU_DEP_1)
	v_sub_f32_e32 v21, v15, v16
	v_sub_f32_e32 v15, v15, v21
	s_delay_alu instid0(VALU_DEP_1) | instskip(NEXT) | instid1(VALU_DEP_1)
	v_sub_f32_e32 v15, v15, v16
	v_dual_add_f32 v6, v6, v15 :: v_dual_add_f32 v15, v20, v17
	v_sub_f32_e32 v19, v16, v19
	s_delay_alu instid0(VALU_DEP_1) | instskip(NEXT) | instid1(VALU_DEP_1)
	v_sub_f32_e32 v16, v19, v18
	v_add_f32_e32 v6, v16, v6
	s_delay_alu instid0(VALU_DEP_4) | instskip(NEXT) | instid1(VALU_DEP_2)
	v_sub_f32_e32 v16, v15, v20
	v_add_f32_e32 v6, v21, v6
	s_delay_alu instid0(VALU_DEP_2) | instskip(NEXT) | instid1(VALU_DEP_2)
	v_sub_f32_e32 v16, v17, v16
	v_mul_f32_e32 v6, v13, v6
	s_delay_alu instid0(VALU_DEP_1) | instskip(NEXT) | instid1(VALU_DEP_1)
	v_add_f32_e32 v6, v16, v6
	v_add_f32_e32 v13, v15, v6
	s_delay_alu instid0(VALU_DEP_1) | instskip(NEXT) | instid1(VALU_DEP_1)
	v_mul_f32_e32 v16, v13, v13
	v_fmaak_f32 v17, s0, v16, 0x3ecc95a3
	v_mul_f32_e32 v18, v13, v16
	v_cmp_eq_f32_e64 s0, 0x7f800000, v2
	s_delay_alu instid0(VALU_DEP_3) | instskip(SKIP_2) | instid1(VALU_DEP_4)
	v_fmaak_f32 v16, v16, v17, 0x3f2aaada
	v_ldexp_f32 v17, v13, 1
	v_sub_f32_e32 v13, v13, v15
	s_or_b32 s0, s0, s5
	s_delay_alu instid0(VALU_DEP_3) | instskip(NEXT) | instid1(VALU_DEP_1)
	v_mul_f32_e32 v16, v18, v16
	v_dual_add_f32 v15, v17, v16 :: v_dual_sub_f32 v6, v6, v13
	s_delay_alu instid0(VALU_DEP_1) | instskip(NEXT) | instid1(VALU_DEP_2)
	v_sub_f32_e32 v13, v15, v17
	v_ldexp_f32 v6, v6, 1
	s_delay_alu instid0(VALU_DEP_2) | instskip(NEXT) | instid1(VALU_DEP_1)
	v_sub_f32_e32 v13, v16, v13
	v_add_f32_e32 v6, v6, v13
	s_delay_alu instid0(VALU_DEP_1) | instskip(NEXT) | instid1(VALU_DEP_1)
	v_add_f32_e32 v16, v15, v6
	v_dual_mul_f32 v18, 0x3f317218, v5 :: v_dual_sub_f32 v15, v16, v15
	s_delay_alu instid0(VALU_DEP_1) | instskip(NEXT) | instid1(VALU_DEP_1)
	v_fma_f32 v17, 0x3f317218, v5, -v18
	v_fmamk_f32 v5, v5, 0xb102e308, v17
	s_delay_alu instid0(VALU_DEP_1) | instskip(NEXT) | instid1(VALU_DEP_1)
	v_add_f32_e32 v13, v18, v5
	v_add_f32_e32 v17, v13, v16
	s_delay_alu instid0(VALU_DEP_1) | instskip(NEXT) | instid1(VALU_DEP_1)
	v_sub_f32_e32 v19, v17, v13
	v_sub_f32_e32 v20, v17, v19
	;; [unrolled: 1-line block ×3, first 2 shown]
	s_delay_alu instid0(VALU_DEP_2) | instskip(SKIP_1) | instid1(VALU_DEP_3)
	v_dual_sub_f32 v13, v13, v20 :: v_dual_sub_f32 v6, v6, v15
	v_sub_f32_e32 v15, v16, v19
	v_sub_f32_e32 v5, v5, v18
	s_delay_alu instid0(VALU_DEP_1) | instskip(NEXT) | instid1(VALU_DEP_1)
	v_dual_add_f32 v13, v15, v13 :: v_dual_add_f32 v16, v5, v6
	v_sub_f32_e32 v15, v16, v5
	s_delay_alu instid0(VALU_DEP_1) | instskip(SKIP_1) | instid1(VALU_DEP_2)
	v_dual_add_f32 v13, v16, v13 :: v_dual_sub_f32 v6, v6, v15
	v_sub_f32_e32 v16, v16, v15
	v_add_f32_e32 v18, v17, v13
	s_delay_alu instid0(VALU_DEP_2) | instskip(NEXT) | instid1(VALU_DEP_2)
	v_sub_f32_e32 v5, v5, v16
	v_sub_f32_e32 v15, v18, v17
	s_delay_alu instid0(VALU_DEP_1) | instskip(NEXT) | instid1(VALU_DEP_1)
	v_dual_add_f32 v5, v6, v5 :: v_dual_sub_f32 v6, v13, v15
	v_add_f32_e32 v5, v5, v6
	s_delay_alu instid0(VALU_DEP_1) | instskip(NEXT) | instid1(VALU_DEP_1)
	v_add_f32_e32 v5, v18, v5
	v_cndmask_b32_e64 v2, v5, v2, s0
	s_delay_alu instid0(VALU_DEP_1)
	v_add_f32_e32 v2, v3, v2
.LBB173_76:
	s_or_b32 exec_lo, exec_lo, s1
	s_delay_alu instid0(VALU_DEP_1) | instskip(SKIP_1) | instid1(VALU_DEP_2)
	v_max_f32_e32 v3, v2, v2
	v_cmp_u_f32_e64 s0, v2, v2
	v_min_f32_e32 v5, v3, v14
	v_max_f32_e32 v3, v3, v14
	s_delay_alu instid0(VALU_DEP_2) | instskip(NEXT) | instid1(VALU_DEP_2)
	v_cndmask_b32_e64 v5, v5, v2, s0
	v_cndmask_b32_e64 v3, v3, v2, s0
	s_delay_alu instid0(VALU_DEP_2) | instskip(NEXT) | instid1(VALU_DEP_2)
	v_cndmask_b32_e64 v5, v5, v4, s7
	v_cndmask_b32_e64 v3, v3, v4, s7
	v_mov_b32_e32 v4, v2
	s_delay_alu instid0(VALU_DEP_3) | instskip(NEXT) | instid1(VALU_DEP_3)
	v_cmp_class_f32_e64 s1, v5, 0x1f8
	v_cmp_neq_f32_e64 s0, v5, v3
	s_delay_alu instid0(VALU_DEP_1) | instskip(NEXT) | instid1(SALU_CYCLE_1)
	s_or_b32 s0, s0, s1
	s_and_saveexec_b32 s1, s0
	s_cbranch_execz .LBB173_78
; %bb.77:
	v_sub_f32_e32 v4, v5, v3
	s_delay_alu instid0(VALU_DEP_1) | instskip(SKIP_1) | instid1(VALU_DEP_2)
	v_mul_f32_e32 v5, 0x3fb8aa3b, v4
	v_cmp_ngt_f32_e64 s0, 0xc2ce8ed0, v4
	v_fma_f32 v6, 0x3fb8aa3b, v4, -v5
	v_rndne_f32_e32 v13, v5
	s_delay_alu instid0(VALU_DEP_1) | instskip(NEXT) | instid1(VALU_DEP_1)
	v_dual_fmamk_f32 v6, v4, 0x32a5705f, v6 :: v_dual_sub_f32 v5, v5, v13
	v_add_f32_e32 v5, v5, v6
	v_cvt_i32_f32_e32 v6, v13
	s_delay_alu instid0(VALU_DEP_2) | instskip(SKIP_2) | instid1(VALU_DEP_1)
	v_exp_f32_e32 v5, v5
	s_waitcnt_depctr 0xfff
	v_ldexp_f32 v5, v5, v6
	v_cndmask_b32_e64 v5, 0, v5, s0
	v_cmp_nlt_f32_e64 s0, 0x42b17218, v4
	s_delay_alu instid0(VALU_DEP_1) | instskip(NEXT) | instid1(VALU_DEP_1)
	v_cndmask_b32_e64 v6, 0x7f800000, v5, s0
	v_add_f32_e32 v13, 1.0, v6
	v_cmp_gt_f32_e64 s5, 0x33800000, |v6|
	s_delay_alu instid0(VALU_DEP_2) | instskip(NEXT) | instid1(VALU_DEP_1)
	v_cvt_f64_f32_e32 v[4:5], v13
	v_frexp_exp_i32_f64_e32 v4, v[4:5]
	v_frexp_mant_f32_e32 v5, v13
	s_delay_alu instid0(VALU_DEP_1) | instskip(SKIP_1) | instid1(VALU_DEP_1)
	v_cmp_gt_f32_e64 s0, 0x3f2aaaab, v5
	v_add_f32_e32 v5, -1.0, v13
	v_sub_f32_e32 v15, v5, v13
	v_sub_f32_e32 v5, v6, v5
	s_delay_alu instid0(VALU_DEP_2) | instskip(SKIP_2) | instid1(VALU_DEP_1)
	v_add_f32_e32 v15, 1.0, v15
	v_subrev_co_ci_u32_e64 v4, s0, 0, v4, s0
	s_mov_b32 s0, 0x3e9b6dac
	v_sub_nc_u32_e32 v14, 0, v4
	v_cvt_f32_i32_e32 v4, v4
	s_delay_alu instid0(VALU_DEP_2) | instskip(NEXT) | instid1(VALU_DEP_1)
	v_ldexp_f32 v13, v13, v14
	v_dual_add_f32 v16, 1.0, v13 :: v_dual_add_f32 v5, v5, v15
	s_delay_alu instid0(VALU_DEP_1) | instskip(NEXT) | instid1(VALU_DEP_2)
	v_add_f32_e32 v15, -1.0, v16
	v_ldexp_f32 v5, v5, v14
	s_delay_alu instid0(VALU_DEP_2) | instskip(NEXT) | instid1(VALU_DEP_1)
	v_dual_add_f32 v14, -1.0, v13 :: v_dual_sub_f32 v15, v13, v15
	v_add_f32_e32 v17, 1.0, v14
	s_delay_alu instid0(VALU_DEP_2) | instskip(NEXT) | instid1(VALU_DEP_2)
	v_add_f32_e32 v15, v5, v15
	v_sub_f32_e32 v13, v13, v17
	s_delay_alu instid0(VALU_DEP_2) | instskip(NEXT) | instid1(VALU_DEP_2)
	v_add_f32_e32 v17, v16, v15
	v_add_f32_e32 v5, v5, v13
	s_delay_alu instid0(VALU_DEP_2) | instskip(SKIP_1) | instid1(VALU_DEP_1)
	v_rcp_f32_e32 v13, v17
	v_sub_f32_e32 v16, v16, v17
	v_dual_add_f32 v18, v14, v5 :: v_dual_add_f32 v15, v15, v16
	s_delay_alu instid0(VALU_DEP_1) | instskip(SKIP_4) | instid1(VALU_DEP_2)
	v_sub_f32_e32 v14, v14, v18
	s_waitcnt lgkmcnt(0)
	s_waitcnt_depctr 0xfff
	v_mul_f32_e32 v19, v18, v13
	v_add_f32_e32 v5, v5, v14
	v_mul_f32_e32 v20, v17, v19
	s_delay_alu instid0(VALU_DEP_1) | instskip(NEXT) | instid1(VALU_DEP_1)
	v_fma_f32 v16, v19, v17, -v20
	v_fmac_f32_e32 v16, v19, v15
	s_delay_alu instid0(VALU_DEP_1) | instskip(NEXT) | instid1(VALU_DEP_1)
	v_add_f32_e32 v21, v20, v16
	v_sub_f32_e32 v22, v18, v21
	v_sub_f32_e32 v14, v21, v20
	s_delay_alu instid0(VALU_DEP_2) | instskip(NEXT) | instid1(VALU_DEP_2)
	v_sub_f32_e32 v18, v18, v22
	v_sub_f32_e32 v14, v14, v16
	s_delay_alu instid0(VALU_DEP_2) | instskip(NEXT) | instid1(VALU_DEP_1)
	v_sub_f32_e32 v18, v18, v21
	v_add_f32_e32 v5, v5, v18
	s_delay_alu instid0(VALU_DEP_1) | instskip(NEXT) | instid1(VALU_DEP_1)
	v_add_f32_e32 v5, v14, v5
	v_add_f32_e32 v14, v22, v5
	s_delay_alu instid0(VALU_DEP_1) | instskip(NEXT) | instid1(VALU_DEP_1)
	v_mul_f32_e32 v16, v13, v14
	v_dual_sub_f32 v21, v22, v14 :: v_dual_mul_f32 v18, v17, v16
	s_delay_alu instid0(VALU_DEP_1) | instskip(NEXT) | instid1(VALU_DEP_2)
	v_add_f32_e32 v5, v5, v21
	v_fma_f32 v17, v16, v17, -v18
	s_delay_alu instid0(VALU_DEP_1) | instskip(NEXT) | instid1(VALU_DEP_1)
	v_fmac_f32_e32 v17, v16, v15
	v_add_f32_e32 v15, v18, v17
	s_delay_alu instid0(VALU_DEP_1) | instskip(SKIP_1) | instid1(VALU_DEP_2)
	v_sub_f32_e32 v20, v14, v15
	v_sub_f32_e32 v18, v15, v18
	v_sub_f32_e32 v14, v14, v20
	s_delay_alu instid0(VALU_DEP_1) | instskip(NEXT) | instid1(VALU_DEP_1)
	v_sub_f32_e32 v14, v14, v15
	v_dual_add_f32 v5, v5, v14 :: v_dual_add_f32 v14, v19, v16
	s_delay_alu instid0(VALU_DEP_4) | instskip(NEXT) | instid1(VALU_DEP_1)
	v_sub_f32_e32 v15, v18, v17
	v_add_f32_e32 v5, v15, v5
	s_delay_alu instid0(VALU_DEP_3) | instskip(NEXT) | instid1(VALU_DEP_2)
	v_sub_f32_e32 v15, v14, v19
	v_add_f32_e32 v5, v20, v5
	s_delay_alu instid0(VALU_DEP_2) | instskip(NEXT) | instid1(VALU_DEP_2)
	v_sub_f32_e32 v15, v16, v15
	v_mul_f32_e32 v5, v13, v5
	s_delay_alu instid0(VALU_DEP_1) | instskip(NEXT) | instid1(VALU_DEP_1)
	v_add_f32_e32 v5, v15, v5
	v_add_f32_e32 v13, v14, v5
	s_delay_alu instid0(VALU_DEP_1) | instskip(NEXT) | instid1(VALU_DEP_1)
	v_mul_f32_e32 v15, v13, v13
	v_fmaak_f32 v16, s0, v15, 0x3ecc95a3
	v_mul_f32_e32 v17, v13, v15
	v_cmp_eq_f32_e64 s0, 0x7f800000, v6
	s_delay_alu instid0(VALU_DEP_3) | instskip(SKIP_2) | instid1(VALU_DEP_4)
	v_fmaak_f32 v15, v15, v16, 0x3f2aaada
	v_ldexp_f32 v16, v13, 1
	v_sub_f32_e32 v13, v13, v14
	s_or_b32 s0, s0, s5
	s_delay_alu instid0(VALU_DEP_3) | instskip(SKIP_1) | instid1(VALU_DEP_2)
	v_mul_f32_e32 v15, v17, v15
	v_mul_f32_e32 v17, 0x3f317218, v4
	v_dual_sub_f32 v5, v5, v13 :: v_dual_add_f32 v14, v16, v15
	s_delay_alu instid0(VALU_DEP_1) | instskip(NEXT) | instid1(VALU_DEP_2)
	v_ldexp_f32 v5, v5, 1
	v_sub_f32_e32 v13, v14, v16
	s_delay_alu instid0(VALU_DEP_4) | instskip(NEXT) | instid1(VALU_DEP_1)
	v_fma_f32 v16, 0x3f317218, v4, -v17
	v_dual_sub_f32 v13, v15, v13 :: v_dual_fmamk_f32 v4, v4, 0xb102e308, v16
	s_delay_alu instid0(VALU_DEP_1) | instskip(NEXT) | instid1(VALU_DEP_2)
	v_add_f32_e32 v5, v5, v13
	v_add_f32_e32 v13, v17, v4
	s_delay_alu instid0(VALU_DEP_2) | instskip(NEXT) | instid1(VALU_DEP_2)
	v_add_f32_e32 v15, v14, v5
	v_sub_f32_e32 v17, v13, v17
	s_delay_alu instid0(VALU_DEP_2) | instskip(SKIP_1) | instid1(VALU_DEP_3)
	v_add_f32_e32 v16, v13, v15
	v_sub_f32_e32 v14, v15, v14
	v_sub_f32_e32 v4, v4, v17
	s_delay_alu instid0(VALU_DEP_2) | instskip(NEXT) | instid1(VALU_DEP_1)
	v_dual_sub_f32 v18, v16, v13 :: v_dual_sub_f32 v5, v5, v14
	v_sub_f32_e32 v19, v16, v18
	s_delay_alu instid0(VALU_DEP_2) | instskip(NEXT) | instid1(VALU_DEP_2)
	v_dual_sub_f32 v14, v15, v18 :: v_dual_add_f32 v15, v4, v5
	v_sub_f32_e32 v13, v13, v19
	s_delay_alu instid0(VALU_DEP_1) | instskip(NEXT) | instid1(VALU_DEP_1)
	v_dual_add_f32 v13, v14, v13 :: v_dual_sub_f32 v14, v15, v4
	v_add_f32_e32 v13, v15, v13
	s_delay_alu instid0(VALU_DEP_2) | instskip(SKIP_1) | instid1(VALU_DEP_3)
	v_sub_f32_e32 v15, v15, v14
	v_sub_f32_e32 v5, v5, v14
	v_add_f32_e32 v17, v16, v13
	s_delay_alu instid0(VALU_DEP_3) | instskip(NEXT) | instid1(VALU_DEP_2)
	v_sub_f32_e32 v4, v4, v15
	v_sub_f32_e32 v14, v17, v16
	s_delay_alu instid0(VALU_DEP_2) | instskip(NEXT) | instid1(VALU_DEP_2)
	v_add_f32_e32 v4, v5, v4
	v_sub_f32_e32 v5, v13, v14
	s_delay_alu instid0(VALU_DEP_1) | instskip(NEXT) | instid1(VALU_DEP_1)
	v_add_f32_e32 v4, v4, v5
	v_add_f32_e32 v4, v17, v4
	s_delay_alu instid0(VALU_DEP_1) | instskip(NEXT) | instid1(VALU_DEP_1)
	v_cndmask_b32_e64 v4, v4, v6, s0
	v_add_f32_e32 v4, v3, v4
.LBB173_78:
	s_or_b32 exec_lo, exec_lo, s1
	s_waitcnt lgkmcnt(0)
	s_barrier
	buffer_gl0_inv
	ds_store_2addr_b32 v12, v1, v0 offset1:1
	ds_store_2addr_b32 v12, v2, v4 offset0:2 offset1:3
	s_waitcnt lgkmcnt(0)
	s_barrier
	buffer_gl0_inv
	ds_load_b32 v4, v9 offset:1024
	ds_load_b32 v3, v10 offset:2048
	ds_load_b32 v2, v11 offset:3072
	v_add_co_u32 v0, s0, s10, v7
	s_delay_alu instid0(VALU_DEP_1)
	v_add_co_ci_u32_e64 v1, null, s11, 0, s0
	s_and_saveexec_b32 s0, vcc_lo
	s_cbranch_execnz .LBB173_83
; %bb.79:
	s_or_b32 exec_lo, exec_lo, s0
	s_and_saveexec_b32 s0, s2
	s_cbranch_execnz .LBB173_84
.LBB173_80:
	s_or_b32 exec_lo, exec_lo, s0
	s_and_saveexec_b32 s0, s3
	s_cbranch_execnz .LBB173_85
.LBB173_81:
	s_or_b32 exec_lo, exec_lo, s0
	s_and_saveexec_b32 s0, s4
	s_cbranch_execnz .LBB173_86
.LBB173_82:
	s_nop 0
	s_sendmsg sendmsg(MSG_DEALLOC_VGPRS)
	s_endpgm
.LBB173_83:
	ds_load_b32 v5, v8
	s_waitcnt lgkmcnt(0)
	global_store_b32 v[0:1], v5, off
	s_or_b32 exec_lo, exec_lo, s0
	s_and_saveexec_b32 s0, s2
	s_cbranch_execz .LBB173_80
.LBB173_84:
	s_waitcnt lgkmcnt(2)
	global_store_b32 v[0:1], v4, off offset:1024
	s_or_b32 exec_lo, exec_lo, s0
	s_and_saveexec_b32 s0, s3
	s_cbranch_execz .LBB173_81
.LBB173_85:
	s_waitcnt lgkmcnt(1)
	global_store_b32 v[0:1], v3, off offset:2048
	s_or_b32 exec_lo, exec_lo, s0
	s_and_saveexec_b32 s0, s4
	s_cbranch_execz .LBB173_82
.LBB173_86:
	s_waitcnt lgkmcnt(0)
	global_store_b32 v[0:1], v2, off offset:3072
	s_nop 0
	s_sendmsg sendmsg(MSG_DEALLOC_VGPRS)
	s_endpgm
	.section	.rodata,"a",@progbits
	.p2align	6, 0x0
	.amdhsa_kernel _ZN7rocprim17ROCPRIM_400000_NS6detail17trampoline_kernelINS0_14default_configENS1_20scan_config_selectorIfEEZZNS1_9scan_implILNS1_25lookback_scan_determinismE0ELb0ELb0ES3_PKfPffZZZN2at6native31launch_logcumsumexp_cuda_kernelERKNSB_10TensorBaseESF_lENKUlvE_clEvENKUlvE0_clEvEUlffE_fEEDaPvRmT3_T4_T5_mT6_P12ihipStream_tbENKUlT_T0_E_clISt17integral_constantIbLb0EESV_IbLb1EEEEDaSR_SS_EUlSR_E0_NS1_11comp_targetILNS1_3genE9ELNS1_11target_archE1100ELNS1_3gpuE3ELNS1_3repE0EEENS1_30default_config_static_selectorELNS0_4arch9wavefront6targetE0EEEvT1_
		.amdhsa_group_segment_fixed_size 4224
		.amdhsa_private_segment_fixed_size 0
		.amdhsa_kernarg_size 32
		.amdhsa_user_sgpr_count 15
		.amdhsa_user_sgpr_dispatch_ptr 0
		.amdhsa_user_sgpr_queue_ptr 0
		.amdhsa_user_sgpr_kernarg_segment_ptr 1
		.amdhsa_user_sgpr_dispatch_id 0
		.amdhsa_user_sgpr_private_segment_size 0
		.amdhsa_wavefront_size32 1
		.amdhsa_uses_dynamic_stack 0
		.amdhsa_enable_private_segment 0
		.amdhsa_system_sgpr_workgroup_id_x 1
		.amdhsa_system_sgpr_workgroup_id_y 0
		.amdhsa_system_sgpr_workgroup_id_z 0
		.amdhsa_system_sgpr_workgroup_info 0
		.amdhsa_system_vgpr_workitem_id 0
		.amdhsa_next_free_vgpr 37
		.amdhsa_next_free_sgpr 15
		.amdhsa_reserve_vcc 1
		.amdhsa_float_round_mode_32 0
		.amdhsa_float_round_mode_16_64 0
		.amdhsa_float_denorm_mode_32 3
		.amdhsa_float_denorm_mode_16_64 3
		.amdhsa_dx10_clamp 1
		.amdhsa_ieee_mode 1
		.amdhsa_fp16_overflow 0
		.amdhsa_workgroup_processor_mode 1
		.amdhsa_memory_ordered 1
		.amdhsa_forward_progress 0
		.amdhsa_shared_vgpr_count 0
		.amdhsa_exception_fp_ieee_invalid_op 0
		.amdhsa_exception_fp_denorm_src 0
		.amdhsa_exception_fp_ieee_div_zero 0
		.amdhsa_exception_fp_ieee_overflow 0
		.amdhsa_exception_fp_ieee_underflow 0
		.amdhsa_exception_fp_ieee_inexact 0
		.amdhsa_exception_int_div_zero 0
	.end_amdhsa_kernel
	.section	.text._ZN7rocprim17ROCPRIM_400000_NS6detail17trampoline_kernelINS0_14default_configENS1_20scan_config_selectorIfEEZZNS1_9scan_implILNS1_25lookback_scan_determinismE0ELb0ELb0ES3_PKfPffZZZN2at6native31launch_logcumsumexp_cuda_kernelERKNSB_10TensorBaseESF_lENKUlvE_clEvENKUlvE0_clEvEUlffE_fEEDaPvRmT3_T4_T5_mT6_P12ihipStream_tbENKUlT_T0_E_clISt17integral_constantIbLb0EESV_IbLb1EEEEDaSR_SS_EUlSR_E0_NS1_11comp_targetILNS1_3genE9ELNS1_11target_archE1100ELNS1_3gpuE3ELNS1_3repE0EEENS1_30default_config_static_selectorELNS0_4arch9wavefront6targetE0EEEvT1_,"axG",@progbits,_ZN7rocprim17ROCPRIM_400000_NS6detail17trampoline_kernelINS0_14default_configENS1_20scan_config_selectorIfEEZZNS1_9scan_implILNS1_25lookback_scan_determinismE0ELb0ELb0ES3_PKfPffZZZN2at6native31launch_logcumsumexp_cuda_kernelERKNSB_10TensorBaseESF_lENKUlvE_clEvENKUlvE0_clEvEUlffE_fEEDaPvRmT3_T4_T5_mT6_P12ihipStream_tbENKUlT_T0_E_clISt17integral_constantIbLb0EESV_IbLb1EEEEDaSR_SS_EUlSR_E0_NS1_11comp_targetILNS1_3genE9ELNS1_11target_archE1100ELNS1_3gpuE3ELNS1_3repE0EEENS1_30default_config_static_selectorELNS0_4arch9wavefront6targetE0EEEvT1_,comdat
.Lfunc_end173:
	.size	_ZN7rocprim17ROCPRIM_400000_NS6detail17trampoline_kernelINS0_14default_configENS1_20scan_config_selectorIfEEZZNS1_9scan_implILNS1_25lookback_scan_determinismE0ELb0ELb0ES3_PKfPffZZZN2at6native31launch_logcumsumexp_cuda_kernelERKNSB_10TensorBaseESF_lENKUlvE_clEvENKUlvE0_clEvEUlffE_fEEDaPvRmT3_T4_T5_mT6_P12ihipStream_tbENKUlT_T0_E_clISt17integral_constantIbLb0EESV_IbLb1EEEEDaSR_SS_EUlSR_E0_NS1_11comp_targetILNS1_3genE9ELNS1_11target_archE1100ELNS1_3gpuE3ELNS1_3repE0EEENS1_30default_config_static_selectorELNS0_4arch9wavefront6targetE0EEEvT1_, .Lfunc_end173-_ZN7rocprim17ROCPRIM_400000_NS6detail17trampoline_kernelINS0_14default_configENS1_20scan_config_selectorIfEEZZNS1_9scan_implILNS1_25lookback_scan_determinismE0ELb0ELb0ES3_PKfPffZZZN2at6native31launch_logcumsumexp_cuda_kernelERKNSB_10TensorBaseESF_lENKUlvE_clEvENKUlvE0_clEvEUlffE_fEEDaPvRmT3_T4_T5_mT6_P12ihipStream_tbENKUlT_T0_E_clISt17integral_constantIbLb0EESV_IbLb1EEEEDaSR_SS_EUlSR_E0_NS1_11comp_targetILNS1_3genE9ELNS1_11target_archE1100ELNS1_3gpuE3ELNS1_3repE0EEENS1_30default_config_static_selectorELNS0_4arch9wavefront6targetE0EEEvT1_
                                        ; -- End function
	.section	.AMDGPU.csdata,"",@progbits
; Kernel info:
; codeLenInByte = 26408
; NumSgprs: 17
; NumVgprs: 37
; ScratchSize: 0
; MemoryBound: 0
; FloatMode: 240
; IeeeMode: 1
; LDSByteSize: 4224 bytes/workgroup (compile time only)
; SGPRBlocks: 2
; VGPRBlocks: 4
; NumSGPRsForWavesPerEU: 17
; NumVGPRsForWavesPerEU: 37
; Occupancy: 16
; WaveLimiterHint : 0
; COMPUTE_PGM_RSRC2:SCRATCH_EN: 0
; COMPUTE_PGM_RSRC2:USER_SGPR: 15
; COMPUTE_PGM_RSRC2:TRAP_HANDLER: 0
; COMPUTE_PGM_RSRC2:TGID_X_EN: 1
; COMPUTE_PGM_RSRC2:TGID_Y_EN: 0
; COMPUTE_PGM_RSRC2:TGID_Z_EN: 0
; COMPUTE_PGM_RSRC2:TIDIG_COMP_CNT: 0
	.section	.text._ZN7rocprim17ROCPRIM_400000_NS6detail17trampoline_kernelINS0_14default_configENS1_20scan_config_selectorIfEEZZNS1_9scan_implILNS1_25lookback_scan_determinismE0ELb0ELb0ES3_PKfPffZZZN2at6native31launch_logcumsumexp_cuda_kernelERKNSB_10TensorBaseESF_lENKUlvE_clEvENKUlvE0_clEvEUlffE_fEEDaPvRmT3_T4_T5_mT6_P12ihipStream_tbENKUlT_T0_E_clISt17integral_constantIbLb0EESV_IbLb1EEEEDaSR_SS_EUlSR_E0_NS1_11comp_targetILNS1_3genE8ELNS1_11target_archE1030ELNS1_3gpuE2ELNS1_3repE0EEENS1_30default_config_static_selectorELNS0_4arch9wavefront6targetE0EEEvT1_,"axG",@progbits,_ZN7rocprim17ROCPRIM_400000_NS6detail17trampoline_kernelINS0_14default_configENS1_20scan_config_selectorIfEEZZNS1_9scan_implILNS1_25lookback_scan_determinismE0ELb0ELb0ES3_PKfPffZZZN2at6native31launch_logcumsumexp_cuda_kernelERKNSB_10TensorBaseESF_lENKUlvE_clEvENKUlvE0_clEvEUlffE_fEEDaPvRmT3_T4_T5_mT6_P12ihipStream_tbENKUlT_T0_E_clISt17integral_constantIbLb0EESV_IbLb1EEEEDaSR_SS_EUlSR_E0_NS1_11comp_targetILNS1_3genE8ELNS1_11target_archE1030ELNS1_3gpuE2ELNS1_3repE0EEENS1_30default_config_static_selectorELNS0_4arch9wavefront6targetE0EEEvT1_,comdat
	.globl	_ZN7rocprim17ROCPRIM_400000_NS6detail17trampoline_kernelINS0_14default_configENS1_20scan_config_selectorIfEEZZNS1_9scan_implILNS1_25lookback_scan_determinismE0ELb0ELb0ES3_PKfPffZZZN2at6native31launch_logcumsumexp_cuda_kernelERKNSB_10TensorBaseESF_lENKUlvE_clEvENKUlvE0_clEvEUlffE_fEEDaPvRmT3_T4_T5_mT6_P12ihipStream_tbENKUlT_T0_E_clISt17integral_constantIbLb0EESV_IbLb1EEEEDaSR_SS_EUlSR_E0_NS1_11comp_targetILNS1_3genE8ELNS1_11target_archE1030ELNS1_3gpuE2ELNS1_3repE0EEENS1_30default_config_static_selectorELNS0_4arch9wavefront6targetE0EEEvT1_ ; -- Begin function _ZN7rocprim17ROCPRIM_400000_NS6detail17trampoline_kernelINS0_14default_configENS1_20scan_config_selectorIfEEZZNS1_9scan_implILNS1_25lookback_scan_determinismE0ELb0ELb0ES3_PKfPffZZZN2at6native31launch_logcumsumexp_cuda_kernelERKNSB_10TensorBaseESF_lENKUlvE_clEvENKUlvE0_clEvEUlffE_fEEDaPvRmT3_T4_T5_mT6_P12ihipStream_tbENKUlT_T0_E_clISt17integral_constantIbLb0EESV_IbLb1EEEEDaSR_SS_EUlSR_E0_NS1_11comp_targetILNS1_3genE8ELNS1_11target_archE1030ELNS1_3gpuE2ELNS1_3repE0EEENS1_30default_config_static_selectorELNS0_4arch9wavefront6targetE0EEEvT1_
	.p2align	8
	.type	_ZN7rocprim17ROCPRIM_400000_NS6detail17trampoline_kernelINS0_14default_configENS1_20scan_config_selectorIfEEZZNS1_9scan_implILNS1_25lookback_scan_determinismE0ELb0ELb0ES3_PKfPffZZZN2at6native31launch_logcumsumexp_cuda_kernelERKNSB_10TensorBaseESF_lENKUlvE_clEvENKUlvE0_clEvEUlffE_fEEDaPvRmT3_T4_T5_mT6_P12ihipStream_tbENKUlT_T0_E_clISt17integral_constantIbLb0EESV_IbLb1EEEEDaSR_SS_EUlSR_E0_NS1_11comp_targetILNS1_3genE8ELNS1_11target_archE1030ELNS1_3gpuE2ELNS1_3repE0EEENS1_30default_config_static_selectorELNS0_4arch9wavefront6targetE0EEEvT1_,@function
_ZN7rocprim17ROCPRIM_400000_NS6detail17trampoline_kernelINS0_14default_configENS1_20scan_config_selectorIfEEZZNS1_9scan_implILNS1_25lookback_scan_determinismE0ELb0ELb0ES3_PKfPffZZZN2at6native31launch_logcumsumexp_cuda_kernelERKNSB_10TensorBaseESF_lENKUlvE_clEvENKUlvE0_clEvEUlffE_fEEDaPvRmT3_T4_T5_mT6_P12ihipStream_tbENKUlT_T0_E_clISt17integral_constantIbLb0EESV_IbLb1EEEEDaSR_SS_EUlSR_E0_NS1_11comp_targetILNS1_3genE8ELNS1_11target_archE1030ELNS1_3gpuE2ELNS1_3repE0EEENS1_30default_config_static_selectorELNS0_4arch9wavefront6targetE0EEEvT1_: ; @_ZN7rocprim17ROCPRIM_400000_NS6detail17trampoline_kernelINS0_14default_configENS1_20scan_config_selectorIfEEZZNS1_9scan_implILNS1_25lookback_scan_determinismE0ELb0ELb0ES3_PKfPffZZZN2at6native31launch_logcumsumexp_cuda_kernelERKNSB_10TensorBaseESF_lENKUlvE_clEvENKUlvE0_clEvEUlffE_fEEDaPvRmT3_T4_T5_mT6_P12ihipStream_tbENKUlT_T0_E_clISt17integral_constantIbLb0EESV_IbLb1EEEEDaSR_SS_EUlSR_E0_NS1_11comp_targetILNS1_3genE8ELNS1_11target_archE1030ELNS1_3gpuE2ELNS1_3repE0EEENS1_30default_config_static_selectorELNS0_4arch9wavefront6targetE0EEEvT1_
; %bb.0:
	.section	.rodata,"a",@progbits
	.p2align	6, 0x0
	.amdhsa_kernel _ZN7rocprim17ROCPRIM_400000_NS6detail17trampoline_kernelINS0_14default_configENS1_20scan_config_selectorIfEEZZNS1_9scan_implILNS1_25lookback_scan_determinismE0ELb0ELb0ES3_PKfPffZZZN2at6native31launch_logcumsumexp_cuda_kernelERKNSB_10TensorBaseESF_lENKUlvE_clEvENKUlvE0_clEvEUlffE_fEEDaPvRmT3_T4_T5_mT6_P12ihipStream_tbENKUlT_T0_E_clISt17integral_constantIbLb0EESV_IbLb1EEEEDaSR_SS_EUlSR_E0_NS1_11comp_targetILNS1_3genE8ELNS1_11target_archE1030ELNS1_3gpuE2ELNS1_3repE0EEENS1_30default_config_static_selectorELNS0_4arch9wavefront6targetE0EEEvT1_
		.amdhsa_group_segment_fixed_size 0
		.amdhsa_private_segment_fixed_size 0
		.amdhsa_kernarg_size 32
		.amdhsa_user_sgpr_count 15
		.amdhsa_user_sgpr_dispatch_ptr 0
		.amdhsa_user_sgpr_queue_ptr 0
		.amdhsa_user_sgpr_kernarg_segment_ptr 1
		.amdhsa_user_sgpr_dispatch_id 0
		.amdhsa_user_sgpr_private_segment_size 0
		.amdhsa_wavefront_size32 1
		.amdhsa_uses_dynamic_stack 0
		.amdhsa_enable_private_segment 0
		.amdhsa_system_sgpr_workgroup_id_x 1
		.amdhsa_system_sgpr_workgroup_id_y 0
		.amdhsa_system_sgpr_workgroup_id_z 0
		.amdhsa_system_sgpr_workgroup_info 0
		.amdhsa_system_vgpr_workitem_id 0
		.amdhsa_next_free_vgpr 1
		.amdhsa_next_free_sgpr 1
		.amdhsa_reserve_vcc 0
		.amdhsa_float_round_mode_32 0
		.amdhsa_float_round_mode_16_64 0
		.amdhsa_float_denorm_mode_32 3
		.amdhsa_float_denorm_mode_16_64 3
		.amdhsa_dx10_clamp 1
		.amdhsa_ieee_mode 1
		.amdhsa_fp16_overflow 0
		.amdhsa_workgroup_processor_mode 1
		.amdhsa_memory_ordered 1
		.amdhsa_forward_progress 0
		.amdhsa_shared_vgpr_count 0
		.amdhsa_exception_fp_ieee_invalid_op 0
		.amdhsa_exception_fp_denorm_src 0
		.amdhsa_exception_fp_ieee_div_zero 0
		.amdhsa_exception_fp_ieee_overflow 0
		.amdhsa_exception_fp_ieee_underflow 0
		.amdhsa_exception_fp_ieee_inexact 0
		.amdhsa_exception_int_div_zero 0
	.end_amdhsa_kernel
	.section	.text._ZN7rocprim17ROCPRIM_400000_NS6detail17trampoline_kernelINS0_14default_configENS1_20scan_config_selectorIfEEZZNS1_9scan_implILNS1_25lookback_scan_determinismE0ELb0ELb0ES3_PKfPffZZZN2at6native31launch_logcumsumexp_cuda_kernelERKNSB_10TensorBaseESF_lENKUlvE_clEvENKUlvE0_clEvEUlffE_fEEDaPvRmT3_T4_T5_mT6_P12ihipStream_tbENKUlT_T0_E_clISt17integral_constantIbLb0EESV_IbLb1EEEEDaSR_SS_EUlSR_E0_NS1_11comp_targetILNS1_3genE8ELNS1_11target_archE1030ELNS1_3gpuE2ELNS1_3repE0EEENS1_30default_config_static_selectorELNS0_4arch9wavefront6targetE0EEEvT1_,"axG",@progbits,_ZN7rocprim17ROCPRIM_400000_NS6detail17trampoline_kernelINS0_14default_configENS1_20scan_config_selectorIfEEZZNS1_9scan_implILNS1_25lookback_scan_determinismE0ELb0ELb0ES3_PKfPffZZZN2at6native31launch_logcumsumexp_cuda_kernelERKNSB_10TensorBaseESF_lENKUlvE_clEvENKUlvE0_clEvEUlffE_fEEDaPvRmT3_T4_T5_mT6_P12ihipStream_tbENKUlT_T0_E_clISt17integral_constantIbLb0EESV_IbLb1EEEEDaSR_SS_EUlSR_E0_NS1_11comp_targetILNS1_3genE8ELNS1_11target_archE1030ELNS1_3gpuE2ELNS1_3repE0EEENS1_30default_config_static_selectorELNS0_4arch9wavefront6targetE0EEEvT1_,comdat
.Lfunc_end174:
	.size	_ZN7rocprim17ROCPRIM_400000_NS6detail17trampoline_kernelINS0_14default_configENS1_20scan_config_selectorIfEEZZNS1_9scan_implILNS1_25lookback_scan_determinismE0ELb0ELb0ES3_PKfPffZZZN2at6native31launch_logcumsumexp_cuda_kernelERKNSB_10TensorBaseESF_lENKUlvE_clEvENKUlvE0_clEvEUlffE_fEEDaPvRmT3_T4_T5_mT6_P12ihipStream_tbENKUlT_T0_E_clISt17integral_constantIbLb0EESV_IbLb1EEEEDaSR_SS_EUlSR_E0_NS1_11comp_targetILNS1_3genE8ELNS1_11target_archE1030ELNS1_3gpuE2ELNS1_3repE0EEENS1_30default_config_static_selectorELNS0_4arch9wavefront6targetE0EEEvT1_, .Lfunc_end174-_ZN7rocprim17ROCPRIM_400000_NS6detail17trampoline_kernelINS0_14default_configENS1_20scan_config_selectorIfEEZZNS1_9scan_implILNS1_25lookback_scan_determinismE0ELb0ELb0ES3_PKfPffZZZN2at6native31launch_logcumsumexp_cuda_kernelERKNSB_10TensorBaseESF_lENKUlvE_clEvENKUlvE0_clEvEUlffE_fEEDaPvRmT3_T4_T5_mT6_P12ihipStream_tbENKUlT_T0_E_clISt17integral_constantIbLb0EESV_IbLb1EEEEDaSR_SS_EUlSR_E0_NS1_11comp_targetILNS1_3genE8ELNS1_11target_archE1030ELNS1_3gpuE2ELNS1_3repE0EEENS1_30default_config_static_selectorELNS0_4arch9wavefront6targetE0EEEvT1_
                                        ; -- End function
	.section	.AMDGPU.csdata,"",@progbits
; Kernel info:
; codeLenInByte = 0
; NumSgprs: 0
; NumVgprs: 0
; ScratchSize: 0
; MemoryBound: 0
; FloatMode: 240
; IeeeMode: 1
; LDSByteSize: 0 bytes/workgroup (compile time only)
; SGPRBlocks: 0
; VGPRBlocks: 0
; NumSGPRsForWavesPerEU: 1
; NumVGPRsForWavesPerEU: 1
; Occupancy: 16
; WaveLimiterHint : 0
; COMPUTE_PGM_RSRC2:SCRATCH_EN: 0
; COMPUTE_PGM_RSRC2:USER_SGPR: 15
; COMPUTE_PGM_RSRC2:TRAP_HANDLER: 0
; COMPUTE_PGM_RSRC2:TGID_X_EN: 1
; COMPUTE_PGM_RSRC2:TGID_Y_EN: 0
; COMPUTE_PGM_RSRC2:TGID_Z_EN: 0
; COMPUTE_PGM_RSRC2:TIDIG_COMP_CNT: 0
	.section	.text._ZN2at6native32tensor_kernel_scan_innermost_dimIfZZZNS0_31launch_logcumsumexp_cuda_kernelERKNS_10TensorBaseES4_lENKUlvE_clEvENKUlvE0_clEvEUlffE_EEvPT_PKS8_jjjS8_T0_,"axG",@progbits,_ZN2at6native32tensor_kernel_scan_innermost_dimIfZZZNS0_31launch_logcumsumexp_cuda_kernelERKNS_10TensorBaseES4_lENKUlvE_clEvENKUlvE0_clEvEUlffE_EEvPT_PKS8_jjjS8_T0_,comdat
	.globl	_ZN2at6native32tensor_kernel_scan_innermost_dimIfZZZNS0_31launch_logcumsumexp_cuda_kernelERKNS_10TensorBaseES4_lENKUlvE_clEvENKUlvE0_clEvEUlffE_EEvPT_PKS8_jjjS8_T0_ ; -- Begin function _ZN2at6native32tensor_kernel_scan_innermost_dimIfZZZNS0_31launch_logcumsumexp_cuda_kernelERKNS_10TensorBaseES4_lENKUlvE_clEvENKUlvE0_clEvEUlffE_EEvPT_PKS8_jjjS8_T0_
	.p2align	8
	.type	_ZN2at6native32tensor_kernel_scan_innermost_dimIfZZZNS0_31launch_logcumsumexp_cuda_kernelERKNS_10TensorBaseES4_lENKUlvE_clEvENKUlvE0_clEvEUlffE_EEvPT_PKS8_jjjS8_T0_,@function
_ZN2at6native32tensor_kernel_scan_innermost_dimIfZZZNS0_31launch_logcumsumexp_cuda_kernelERKNS_10TensorBaseES4_lENKUlvE_clEvENKUlvE0_clEvEUlffE_EEvPT_PKS8_jjjS8_T0_: ; @_ZN2at6native32tensor_kernel_scan_innermost_dimIfZZZNS0_31launch_logcumsumexp_cuda_kernelERKNS_10TensorBaseES4_lENKUlvE_clEvENKUlvE0_clEvEUlffE_EEvPT_PKS8_jjjS8_T0_
; %bb.0:
	s_load_b256 s[16:23], s[0:1], 0x0
	v_bfe_u32 v9, v0, 10, 10
	s_waitcnt lgkmcnt(0)
	s_lshl_b32 s5, 2, s22
	s_mul_hi_u32 s2, s20, s21
	s_delay_alu instid0(VALU_DEP_1) | instskip(SKIP_3) | instid1(VALU_DEP_1)
	v_mul_lo_u32 v1, s5, v9
	s_mov_b32 s6, s20
	s_cmp_lg_u32 s2, 0
	s_mov_b32 s2, -1
	v_lshl_add_u32 v10, v1, 2, 0
	s_cbranch_scc1 .LBB175_30
; %bb.1:
	s_load_b32 s4, s[0:1], 0x34
	s_add_u32 s2, s0, 40
	s_addc_u32 s3, s1, 0
	s_waitcnt lgkmcnt(0)
	s_lshr_b32 s4, s4, 16
	s_delay_alu instid0(SALU_CYCLE_1) | instskip(NEXT) | instid1(SALU_CYCLE_1)
	s_mul_i32 s7, s15, s4
	s_cmp_ge_u32 s7, s20
	s_cbranch_scc1 .LBB175_29
; %bb.2:
	s_load_b32 s11, s[2:3], 0x0
	v_dual_mov_b32 v2, 0 :: v_dual_and_b32 v5, 0x3ff, v0
	v_add_nc_u32_e32 v6, -4, v10
	s_lshl_b32 s8, 1, s22
	s_cmp_lg_u32 s21, 0
	s_delay_alu instid0(VALU_DEP_2)
	v_lshl_add_u32 v7, v5, 2, v10
	v_cmp_eq_u32_e64 s2, 0, v5
	v_lshl_add_u32 v8, s5, 2, v6
	s_cselect_b32 s9, -1, 0
	s_add_i32 s10, s22, 1
	v_lshl_add_u32 v11, s8, 2, v7
	s_mov_b32 s12, 0x3e9b6dac
	s_waitcnt lgkmcnt(0)
	s_mul_i32 s11, s11, s4
	s_branch .LBB175_4
.LBB175_3:                              ;   in Loop: Header=BB175_4 Depth=1
	s_add_i32 s7, s7, s11
	s_delay_alu instid0(SALU_CYCLE_1)
	s_cmp_ge_u32 s7, s20
	s_cbranch_scc1 .LBB175_29
.LBB175_4:                              ; =>This Loop Header: Depth=1
                                        ;     Child Loop BB175_7 Depth 2
                                        ;       Child Loop BB175_19 Depth 3
	s_and_not1_b32 vcc_lo, exec_lo, s9
	s_cbranch_vccnz .LBB175_3
; %bb.5:                                ;   in Loop: Header=BB175_4 Depth=1
	v_add_nc_u32_e32 v12, s7, v9
	v_mov_b32_e32 v16, s23
	s_mov_b32 s13, 0
	s_delay_alu instid0(VALU_DEP_2) | instskip(SKIP_2) | instid1(VALU_DEP_3)
	v_mul_lo_u32 v1, v12, s21
	v_cmp_gt_u32_e32 vcc_lo, s20, v12
	v_cmp_le_u32_e64 s3, s20, v12
	v_lshlrev_b64 v[3:4], 2, v[1:2]
	s_delay_alu instid0(VALU_DEP_1) | instskip(NEXT) | instid1(VALU_DEP_1)
	v_add_co_u32 v12, s4, s18, v3
	v_add_co_ci_u32_e64 v13, s4, s19, v4, s4
	v_add_co_u32 v14, s4, s16, v3
	s_delay_alu instid0(VALU_DEP_1)
	v_add_co_ci_u32_e64 v15, s4, s17, v4, s4
	s_branch .LBB175_7
.LBB175_6:                              ;   in Loop: Header=BB175_7 Depth=2
	s_or_b32 exec_lo, exec_lo, s14
	ds_load_b32 v16, v8
	s_add_i32 s13, s13, s5
	s_waitcnt lgkmcnt(0)
	s_waitcnt_vscnt null, 0x0
	s_cmp_ge_u32 s13, s21
	s_barrier
	buffer_gl0_inv
	s_cbranch_scc1 .LBB175_3
.LBB175_7:                              ;   Parent Loop BB175_4 Depth=1
                                        ; =>  This Loop Header: Depth=2
                                        ;       Child Loop BB175_19 Depth 3
	v_add_nc_u32_e32 v1, s13, v5
	s_delay_alu instid0(VALU_DEP_1)
	v_add_nc_u32_e32 v3, s8, v1
	s_and_saveexec_b32 s14, vcc_lo
	s_cbranch_execz .LBB175_16
; %bb.8:                                ;   in Loop: Header=BB175_7 Depth=2
	v_mov_b32_e32 v4, s23
	s_mov_b32 s24, exec_lo
	v_cmpx_gt_u32_e64 s21, v1
	s_cbranch_execz .LBB175_10
; %bb.9:                                ;   in Loop: Header=BB175_7 Depth=2
	v_lshlrev_b64 v[17:18], 2, v[1:2]
	s_delay_alu instid0(VALU_DEP_1) | instskip(NEXT) | instid1(VALU_DEP_1)
	v_add_co_u32 v17, s4, v12, v17
	v_add_co_ci_u32_e64 v18, s4, v13, v18, s4
	global_load_b32 v4, v[17:18], off
.LBB175_10:                             ;   in Loop: Header=BB175_7 Depth=2
	s_or_b32 exec_lo, exec_lo, s24
	v_mov_b32_e32 v17, s23
	s_mov_b32 s24, exec_lo
	s_waitcnt vmcnt(0)
	ds_store_b32 v7, v4
	v_cmpx_gt_u32_e64 s21, v3
	s_cbranch_execz .LBB175_12
; %bb.11:                               ;   in Loop: Header=BB175_7 Depth=2
	v_mov_b32_e32 v4, v2
	s_delay_alu instid0(VALU_DEP_1) | instskip(NEXT) | instid1(VALU_DEP_1)
	v_lshlrev_b64 v[17:18], 2, v[3:4]
	v_add_co_u32 v17, s4, v12, v17
	s_delay_alu instid0(VALU_DEP_1)
	v_add_co_ci_u32_e64 v18, s4, v13, v18, s4
	global_load_b32 v17, v[17:18], off
.LBB175_12:                             ;   in Loop: Header=BB175_7 Depth=2
	s_or_b32 exec_lo, exec_lo, s24
	s_waitcnt vmcnt(0)
	ds_store_b32 v11, v17
	s_and_b32 exec_lo, exec_lo, s2
	s_cbranch_execz .LBB175_16
; %bb.13:                               ;   in Loop: Header=BB175_7 Depth=2
	ds_load_b32 v17, v10
	v_max_f32_e32 v4, v16, v16
	s_waitcnt lgkmcnt(0)
	v_max_f32_e32 v18, v17, v17
	v_cmp_u_f32_e64 s4, v17, v17
	s_delay_alu instid0(VALU_DEP_2) | instskip(SKIP_1) | instid1(VALU_DEP_2)
	v_min_f32_e32 v19, v18, v4
	v_max_f32_e32 v4, v18, v4
	v_cndmask_b32_e64 v18, v19, v17, s4
	s_delay_alu instid0(VALU_DEP_2) | instskip(SKIP_1) | instid1(VALU_DEP_1)
	v_cndmask_b32_e64 v4, v4, v17, s4
	v_cmp_u_f32_e64 s4, v16, v16
	v_cndmask_b32_e64 v18, v18, v16, s4
	s_delay_alu instid0(VALU_DEP_3) | instskip(NEXT) | instid1(VALU_DEP_2)
	v_cndmask_b32_e64 v4, v4, v16, s4
	v_cmp_class_f32_e64 s24, v18, 0x1f8
	s_delay_alu instid0(VALU_DEP_2) | instskip(NEXT) | instid1(VALU_DEP_1)
	v_cmp_neq_f32_e64 s4, v18, v4
	s_or_b32 s4, s4, s24
	s_delay_alu instid0(SALU_CYCLE_1)
	s_and_saveexec_b32 s24, s4
	s_cbranch_execz .LBB175_15
; %bb.14:                               ;   in Loop: Header=BB175_7 Depth=2
	v_sub_f32_e32 v16, v18, v4
	s_delay_alu instid0(VALU_DEP_1) | instskip(NEXT) | instid1(VALU_DEP_1)
	v_mul_f32_e32 v17, 0x3fb8aa3b, v16
	v_fma_f32 v18, 0x3fb8aa3b, v16, -v17
	v_rndne_f32_e32 v19, v17
	s_delay_alu instid0(VALU_DEP_1) | instskip(SKIP_1) | instid1(VALU_DEP_2)
	v_dual_sub_f32 v17, v17, v19 :: v_dual_fmac_f32 v18, 0x32a5705f, v16
	v_cmp_ngt_f32_e64 s4, 0xc2ce8ed0, v16
	v_add_f32_e32 v17, v17, v18
	v_cvt_i32_f32_e32 v18, v19
	s_delay_alu instid0(VALU_DEP_2) | instskip(SKIP_2) | instid1(VALU_DEP_1)
	v_exp_f32_e32 v17, v17
	s_waitcnt_depctr 0xfff
	v_ldexp_f32 v17, v17, v18
	v_cndmask_b32_e64 v17, 0, v17, s4
	v_cmp_nlt_f32_e64 s4, 0x42b17218, v16
	s_delay_alu instid0(VALU_DEP_1) | instskip(NEXT) | instid1(VALU_DEP_1)
	v_cndmask_b32_e64 v18, 0x7f800000, v17, s4
	v_add_f32_e32 v19, 1.0, v18
	v_cmp_gt_f32_e64 s25, 0x33800000, |v18|
	s_delay_alu instid0(VALU_DEP_2) | instskip(NEXT) | instid1(VALU_DEP_1)
	v_cvt_f64_f32_e32 v[16:17], v19
	v_frexp_exp_i32_f64_e32 v16, v[16:17]
	v_frexp_mant_f32_e32 v17, v19
	s_delay_alu instid0(VALU_DEP_1) | instskip(SKIP_1) | instid1(VALU_DEP_1)
	v_cmp_gt_f32_e64 s4, 0x3f2aaaab, v17
	v_add_f32_e32 v17, -1.0, v19
	v_sub_f32_e32 v21, v17, v19
	v_sub_f32_e32 v17, v18, v17
	s_delay_alu instid0(VALU_DEP_4) | instskip(SKIP_1) | instid1(VALU_DEP_2)
	v_subrev_co_ci_u32_e64 v16, s4, 0, v16, s4
	v_cmp_eq_f32_e64 s4, 0x7f800000, v18
	v_sub_nc_u32_e32 v20, 0, v16
	v_cvt_f32_i32_e32 v16, v16
	s_delay_alu instid0(VALU_DEP_3) | instskip(NEXT) | instid1(VALU_DEP_2)
	s_or_b32 s4, s4, s25
	v_ldexp_f32 v19, v19, v20
	s_delay_alu instid0(VALU_DEP_1) | instskip(NEXT) | instid1(VALU_DEP_1)
	v_dual_add_f32 v22, 1.0, v19 :: v_dual_add_f32 v21, 1.0, v21
	v_add_f32_e32 v17, v17, v21
	s_delay_alu instid0(VALU_DEP_2) | instskip(NEXT) | instid1(VALU_DEP_2)
	v_add_f32_e32 v21, -1.0, v22
	v_ldexp_f32 v17, v17, v20
	s_delay_alu instid0(VALU_DEP_2) | instskip(NEXT) | instid1(VALU_DEP_1)
	v_dual_add_f32 v20, -1.0, v19 :: v_dual_sub_f32 v21, v19, v21
	v_add_f32_e32 v23, 1.0, v20
	s_delay_alu instid0(VALU_DEP_2) | instskip(NEXT) | instid1(VALU_DEP_2)
	v_add_f32_e32 v21, v17, v21
	v_sub_f32_e32 v19, v19, v23
	s_delay_alu instid0(VALU_DEP_2) | instskip(NEXT) | instid1(VALU_DEP_2)
	v_add_f32_e32 v23, v22, v21
	v_add_f32_e32 v17, v17, v19
	s_delay_alu instid0(VALU_DEP_2) | instskip(SKIP_1) | instid1(VALU_DEP_1)
	v_rcp_f32_e32 v19, v23
	v_sub_f32_e32 v22, v22, v23
	v_dual_add_f32 v24, v20, v17 :: v_dual_add_f32 v21, v21, v22
	s_delay_alu instid0(VALU_DEP_1) | instskip(SKIP_2) | instid1(VALU_DEP_1)
	v_sub_f32_e32 v20, v20, v24
	s_waitcnt_depctr 0xfff
	v_mul_f32_e32 v25, v24, v19
	v_dual_add_f32 v17, v17, v20 :: v_dual_mul_f32 v26, v23, v25
	s_delay_alu instid0(VALU_DEP_1) | instskip(NEXT) | instid1(VALU_DEP_1)
	v_fma_f32 v22, v25, v23, -v26
	v_fmac_f32_e32 v22, v25, v21
	s_delay_alu instid0(VALU_DEP_1) | instskip(NEXT) | instid1(VALU_DEP_1)
	v_add_f32_e32 v27, v26, v22
	v_sub_f32_e32 v28, v24, v27
	v_sub_f32_e32 v20, v27, v26
	s_delay_alu instid0(VALU_DEP_2) | instskip(NEXT) | instid1(VALU_DEP_2)
	v_sub_f32_e32 v24, v24, v28
	v_sub_f32_e32 v20, v20, v22
	s_delay_alu instid0(VALU_DEP_2) | instskip(NEXT) | instid1(VALU_DEP_1)
	v_sub_f32_e32 v24, v24, v27
	v_add_f32_e32 v17, v17, v24
	s_delay_alu instid0(VALU_DEP_1) | instskip(NEXT) | instid1(VALU_DEP_1)
	v_add_f32_e32 v17, v20, v17
	v_add_f32_e32 v20, v28, v17
	s_delay_alu instid0(VALU_DEP_1) | instskip(NEXT) | instid1(VALU_DEP_1)
	v_mul_f32_e32 v22, v19, v20
	v_dual_sub_f32 v27, v28, v20 :: v_dual_mul_f32 v24, v23, v22
	s_delay_alu instid0(VALU_DEP_1) | instskip(NEXT) | instid1(VALU_DEP_2)
	v_add_f32_e32 v17, v17, v27
	v_fma_f32 v23, v22, v23, -v24
	s_delay_alu instid0(VALU_DEP_1) | instskip(NEXT) | instid1(VALU_DEP_1)
	v_fmac_f32_e32 v23, v22, v21
	v_add_f32_e32 v21, v24, v23
	s_delay_alu instid0(VALU_DEP_1) | instskip(SKIP_1) | instid1(VALU_DEP_2)
	v_sub_f32_e32 v26, v20, v21
	v_sub_f32_e32 v24, v21, v24
	;; [unrolled: 1-line block ×3, first 2 shown]
	s_delay_alu instid0(VALU_DEP_1) | instskip(NEXT) | instid1(VALU_DEP_3)
	v_sub_f32_e32 v20, v20, v21
	v_sub_f32_e32 v21, v24, v23
	s_delay_alu instid0(VALU_DEP_2) | instskip(SKIP_1) | instid1(VALU_DEP_2)
	v_add_f32_e32 v17, v17, v20
	v_add_f32_e32 v20, v25, v22
	;; [unrolled: 1-line block ×3, first 2 shown]
	s_delay_alu instid0(VALU_DEP_2) | instskip(NEXT) | instid1(VALU_DEP_2)
	v_sub_f32_e32 v21, v20, v25
	v_add_f32_e32 v17, v26, v17
	s_delay_alu instid0(VALU_DEP_2) | instskip(NEXT) | instid1(VALU_DEP_2)
	v_sub_f32_e32 v21, v22, v21
	v_mul_f32_e32 v17, v19, v17
	s_delay_alu instid0(VALU_DEP_1) | instskip(NEXT) | instid1(VALU_DEP_1)
	v_add_f32_e32 v17, v21, v17
	v_add_f32_e32 v19, v20, v17
	s_delay_alu instid0(VALU_DEP_1) | instskip(NEXT) | instid1(VALU_DEP_1)
	v_mul_f32_e32 v21, v19, v19
	v_fmaak_f32 v22, s12, v21, 0x3ecc95a3
	v_mul_f32_e32 v23, v19, v21
	s_delay_alu instid0(VALU_DEP_2) | instskip(SKIP_2) | instid1(VALU_DEP_3)
	v_fmaak_f32 v21, v21, v22, 0x3f2aaada
	v_ldexp_f32 v22, v19, 1
	v_sub_f32_e32 v19, v19, v20
	v_mul_f32_e32 v21, v23, v21
	v_mul_f32_e32 v23, 0x3f317218, v16
	s_delay_alu instid0(VALU_DEP_2) | instskip(NEXT) | instid1(VALU_DEP_1)
	v_dual_sub_f32 v17, v17, v19 :: v_dual_add_f32 v20, v22, v21
	v_ldexp_f32 v17, v17, 1
	s_delay_alu instid0(VALU_DEP_2) | instskip(NEXT) | instid1(VALU_DEP_4)
	v_sub_f32_e32 v19, v20, v22
	v_fma_f32 v22, 0x3f317218, v16, -v23
	s_delay_alu instid0(VALU_DEP_1) | instskip(NEXT) | instid1(VALU_DEP_1)
	v_dual_sub_f32 v19, v21, v19 :: v_dual_fmac_f32 v22, 0xb102e308, v16
	v_dual_add_f32 v16, v17, v19 :: v_dual_add_f32 v17, v23, v22
	s_delay_alu instid0(VALU_DEP_1) | instskip(NEXT) | instid1(VALU_DEP_2)
	v_add_f32_e32 v19, v20, v16
	v_sub_f32_e32 v23, v17, v23
	s_delay_alu instid0(VALU_DEP_2) | instskip(NEXT) | instid1(VALU_DEP_2)
	v_dual_add_f32 v21, v17, v19 :: v_dual_sub_f32 v20, v19, v20
	v_sub_f32_e32 v22, v22, v23
	s_delay_alu instid0(VALU_DEP_2) | instskip(NEXT) | instid1(VALU_DEP_3)
	v_sub_f32_e32 v24, v21, v17
	v_sub_f32_e32 v16, v16, v20
	s_delay_alu instid0(VALU_DEP_2) | instskip(SKIP_1) | instid1(VALU_DEP_2)
	v_sub_f32_e32 v25, v21, v24
	v_sub_f32_e32 v19, v19, v24
	v_dual_add_f32 v20, v22, v16 :: v_dual_sub_f32 v17, v17, v25
	s_delay_alu instid0(VALU_DEP_1) | instskip(NEXT) | instid1(VALU_DEP_2)
	v_add_f32_e32 v17, v19, v17
	v_sub_f32_e32 v19, v20, v22
	s_delay_alu instid0(VALU_DEP_2) | instskip(NEXT) | instid1(VALU_DEP_2)
	v_add_f32_e32 v17, v20, v17
	v_sub_f32_e32 v20, v20, v19
	s_delay_alu instid0(VALU_DEP_2) | instskip(NEXT) | instid1(VALU_DEP_1)
	v_dual_sub_f32 v16, v16, v19 :: v_dual_add_f32 v23, v21, v17
	v_dual_sub_f32 v20, v22, v20 :: v_dual_sub_f32 v19, v23, v21
	s_delay_alu instid0(VALU_DEP_1) | instskip(NEXT) | instid1(VALU_DEP_1)
	v_dual_add_f32 v16, v16, v20 :: v_dual_sub_f32 v17, v17, v19
	v_add_f32_e32 v16, v16, v17
	s_delay_alu instid0(VALU_DEP_1) | instskip(NEXT) | instid1(VALU_DEP_1)
	v_add_f32_e32 v16, v23, v16
	v_cndmask_b32_e64 v16, v16, v18, s4
	s_delay_alu instid0(VALU_DEP_1)
	v_add_f32_e32 v17, v4, v16
.LBB175_15:                             ;   in Loop: Header=BB175_7 Depth=2
	s_or_b32 exec_lo, exec_lo, s24
	ds_store_b32 v10, v17
.LBB175_16:                             ;   in Loop: Header=BB175_7 Depth=2
	s_or_b32 exec_lo, exec_lo, s14
	v_mov_b32_e32 v16, 0
	s_mov_b32 s14, 0
	s_waitcnt lgkmcnt(0)
	s_barrier
	buffer_gl0_inv
	s_branch .LBB175_19
.LBB175_17:                             ;   in Loop: Header=BB175_19 Depth=3
	s_or_b32 exec_lo, exec_lo, s25
	ds_store_b32 v16, v18
.LBB175_18:                             ;   in Loop: Header=BB175_19 Depth=3
	s_or_b32 exec_lo, exec_lo, s24
	s_delay_alu instid0(VALU_DEP_1)
	v_cmp_eq_u32_e64 s4, s10, v4
	v_mov_b32_e32 v16, v4
	s_waitcnt lgkmcnt(0)
	s_barrier
	buffer_gl0_inv
	s_or_b32 s14, s4, s14
	s_delay_alu instid0(SALU_CYCLE_1)
	s_and_not1_b32 exec_lo, exec_lo, s14
	s_cbranch_execz .LBB175_24
.LBB175_19:                             ;   Parent Loop BB175_4 Depth=1
                                        ;     Parent Loop BB175_7 Depth=2
                                        ; =>    This Inner Loop Header: Depth=3
	v_add_nc_u32_e32 v4, 1, v16
	s_and_saveexec_b32 s4, s3
	s_delay_alu instid0(SALU_CYCLE_1)
	s_xor_b32 s4, exec_lo, s4
; %bb.20:                               ;   in Loop: Header=BB175_19 Depth=3
	v_add_nc_u32_e32 v4, 1, v16
                                        ; implicit-def: $vgpr16
; %bb.21:                               ;   in Loop: Header=BB175_19 Depth=3
	s_and_not1_saveexec_b32 s24, s4
	s_cbranch_execz .LBB175_18
; %bb.22:                               ;   in Loop: Header=BB175_19 Depth=3
	v_lshlrev_b32_e64 v17, v16, 1
	v_lshrrev_b32_e32 v18, v16, v5
	v_bfm_b32 v16, v16, 0
	s_delay_alu instid0(VALU_DEP_2) | instskip(NEXT) | instid1(VALU_DEP_2)
	v_lshl_or_b32 v17, v18, v4, v17
	v_and_b32_e32 v16, v16, v5
	s_delay_alu instid0(VALU_DEP_2) | instskip(NEXT) | instid1(VALU_DEP_2)
	v_lshlrev_b32_e32 v17, 2, v17
	v_lshlrev_b32_e32 v16, 2, v16
	s_delay_alu instid0(VALU_DEP_2) | instskip(NEXT) | instid1(VALU_DEP_2)
	v_add_nc_u32_e32 v18, v6, v17
	v_add3_u32 v16, v10, v17, v16
	ds_load_b32 v17, v18
	ds_load_b32 v18, v16
	s_waitcnt lgkmcnt(0)
	v_dual_max_f32 v19, v17, v17 :: v_dual_max_f32 v20, v18, v18
	v_cmp_u_f32_e64 s4, v18, v18
	s_delay_alu instid0(VALU_DEP_2) | instskip(SKIP_1) | instid1(VALU_DEP_2)
	v_min_f32_e32 v21, v20, v19
	v_max_f32_e32 v19, v20, v19
	v_cndmask_b32_e64 v20, v21, v18, s4
	s_delay_alu instid0(VALU_DEP_2) | instskip(SKIP_1) | instid1(VALU_DEP_1)
	v_cndmask_b32_e64 v21, v19, v18, s4
	v_cmp_u_f32_e64 s4, v17, v17
	v_cndmask_b32_e64 v19, v20, v17, s4
	s_delay_alu instid0(VALU_DEP_3) | instskip(NEXT) | instid1(VALU_DEP_2)
	v_cndmask_b32_e64 v17, v21, v17, s4
	v_cmp_class_f32_e64 s25, v19, 0x1f8
	s_delay_alu instid0(VALU_DEP_2) | instskip(NEXT) | instid1(VALU_DEP_1)
	v_cmp_neq_f32_e64 s4, v19, v17
	s_or_b32 s4, s4, s25
	s_delay_alu instid0(SALU_CYCLE_1)
	s_and_saveexec_b32 s25, s4
	s_cbranch_execz .LBB175_17
; %bb.23:                               ;   in Loop: Header=BB175_19 Depth=3
	v_sub_f32_e32 v18, v19, v17
	s_delay_alu instid0(VALU_DEP_1) | instskip(SKIP_1) | instid1(VALU_DEP_2)
	v_mul_f32_e32 v19, 0x3fb8aa3b, v18
	v_cmp_ngt_f32_e64 s4, 0xc2ce8ed0, v18
	v_fma_f32 v20, 0x3fb8aa3b, v18, -v19
	v_rndne_f32_e32 v21, v19
	s_delay_alu instid0(VALU_DEP_1) | instskip(NEXT) | instid1(VALU_DEP_1)
	v_dual_fmac_f32 v20, 0x32a5705f, v18 :: v_dual_sub_f32 v19, v19, v21
	v_add_f32_e32 v19, v19, v20
	v_cvt_i32_f32_e32 v20, v21
	s_delay_alu instid0(VALU_DEP_2) | instskip(SKIP_2) | instid1(VALU_DEP_1)
	v_exp_f32_e32 v19, v19
	s_waitcnt_depctr 0xfff
	v_ldexp_f32 v19, v19, v20
	v_cndmask_b32_e64 v19, 0, v19, s4
	v_cmp_nlt_f32_e64 s4, 0x42b17218, v18
	s_delay_alu instid0(VALU_DEP_1) | instskip(NEXT) | instid1(VALU_DEP_1)
	v_cndmask_b32_e64 v20, 0x7f800000, v19, s4
	v_add_f32_e32 v21, 1.0, v20
	v_cmp_gt_f32_e64 s26, 0x33800000, |v20|
	s_delay_alu instid0(VALU_DEP_2) | instskip(NEXT) | instid1(VALU_DEP_1)
	v_cvt_f64_f32_e32 v[18:19], v21
	v_frexp_exp_i32_f64_e32 v18, v[18:19]
	v_frexp_mant_f32_e32 v19, v21
	s_delay_alu instid0(VALU_DEP_1) | instskip(SKIP_1) | instid1(VALU_DEP_1)
	v_cmp_gt_f32_e64 s4, 0x3f2aaaab, v19
	v_add_f32_e32 v19, -1.0, v21
	v_sub_f32_e32 v23, v19, v21
	v_sub_f32_e32 v19, v20, v19
	s_delay_alu instid0(VALU_DEP_4) | instskip(SKIP_1) | instid1(VALU_DEP_2)
	v_subrev_co_ci_u32_e64 v18, s4, 0, v18, s4
	v_cmp_eq_f32_e64 s4, 0x7f800000, v20
	v_sub_nc_u32_e32 v22, 0, v18
	v_cvt_f32_i32_e32 v18, v18
	s_delay_alu instid0(VALU_DEP_3) | instskip(NEXT) | instid1(VALU_DEP_2)
	s_or_b32 s4, s4, s26
	v_ldexp_f32 v21, v21, v22
	s_delay_alu instid0(VALU_DEP_1) | instskip(NEXT) | instid1(VALU_DEP_1)
	v_dual_add_f32 v24, 1.0, v21 :: v_dual_add_f32 v23, 1.0, v23
	v_add_f32_e32 v19, v19, v23
	s_delay_alu instid0(VALU_DEP_2) | instskip(NEXT) | instid1(VALU_DEP_2)
	v_add_f32_e32 v23, -1.0, v24
	v_ldexp_f32 v19, v19, v22
	s_delay_alu instid0(VALU_DEP_2) | instskip(NEXT) | instid1(VALU_DEP_1)
	v_dual_add_f32 v22, -1.0, v21 :: v_dual_sub_f32 v23, v21, v23
	v_add_f32_e32 v25, 1.0, v22
	s_delay_alu instid0(VALU_DEP_2) | instskip(NEXT) | instid1(VALU_DEP_2)
	v_add_f32_e32 v23, v19, v23
	v_sub_f32_e32 v21, v21, v25
	s_delay_alu instid0(VALU_DEP_2) | instskip(NEXT) | instid1(VALU_DEP_2)
	v_add_f32_e32 v25, v24, v23
	v_add_f32_e32 v19, v19, v21
	s_delay_alu instid0(VALU_DEP_2) | instskip(SKIP_1) | instid1(VALU_DEP_1)
	v_rcp_f32_e32 v21, v25
	v_sub_f32_e32 v24, v24, v25
	v_dual_add_f32 v26, v22, v19 :: v_dual_add_f32 v23, v23, v24
	s_delay_alu instid0(VALU_DEP_1) | instskip(SKIP_2) | instid1(VALU_DEP_1)
	v_sub_f32_e32 v22, v22, v26
	s_waitcnt_depctr 0xfff
	v_mul_f32_e32 v27, v26, v21
	v_dual_add_f32 v19, v19, v22 :: v_dual_mul_f32 v28, v25, v27
	s_delay_alu instid0(VALU_DEP_1) | instskip(NEXT) | instid1(VALU_DEP_1)
	v_fma_f32 v24, v27, v25, -v28
	v_fmac_f32_e32 v24, v27, v23
	s_delay_alu instid0(VALU_DEP_1) | instskip(NEXT) | instid1(VALU_DEP_1)
	v_add_f32_e32 v29, v28, v24
	v_sub_f32_e32 v30, v26, v29
	v_sub_f32_e32 v22, v29, v28
	s_delay_alu instid0(VALU_DEP_2) | instskip(NEXT) | instid1(VALU_DEP_2)
	v_sub_f32_e32 v26, v26, v30
	v_sub_f32_e32 v22, v22, v24
	s_delay_alu instid0(VALU_DEP_2) | instskip(NEXT) | instid1(VALU_DEP_1)
	v_sub_f32_e32 v26, v26, v29
	v_add_f32_e32 v19, v19, v26
	s_delay_alu instid0(VALU_DEP_1) | instskip(NEXT) | instid1(VALU_DEP_1)
	v_add_f32_e32 v19, v22, v19
	v_add_f32_e32 v22, v30, v19
	s_delay_alu instid0(VALU_DEP_1) | instskip(NEXT) | instid1(VALU_DEP_1)
	v_mul_f32_e32 v24, v21, v22
	v_dual_sub_f32 v29, v30, v22 :: v_dual_mul_f32 v26, v25, v24
	s_delay_alu instid0(VALU_DEP_1) | instskip(NEXT) | instid1(VALU_DEP_2)
	v_add_f32_e32 v19, v19, v29
	v_fma_f32 v25, v24, v25, -v26
	s_delay_alu instid0(VALU_DEP_1) | instskip(NEXT) | instid1(VALU_DEP_1)
	v_fmac_f32_e32 v25, v24, v23
	v_add_f32_e32 v23, v26, v25
	s_delay_alu instid0(VALU_DEP_1) | instskip(SKIP_1) | instid1(VALU_DEP_2)
	v_sub_f32_e32 v28, v22, v23
	v_sub_f32_e32 v26, v23, v26
	;; [unrolled: 1-line block ×3, first 2 shown]
	s_delay_alu instid0(VALU_DEP_1) | instskip(NEXT) | instid1(VALU_DEP_3)
	v_sub_f32_e32 v22, v22, v23
	v_sub_f32_e32 v23, v26, v25
	s_delay_alu instid0(VALU_DEP_2) | instskip(SKIP_1) | instid1(VALU_DEP_2)
	v_add_f32_e32 v19, v19, v22
	v_add_f32_e32 v22, v27, v24
	;; [unrolled: 1-line block ×3, first 2 shown]
	s_delay_alu instid0(VALU_DEP_2) | instskip(NEXT) | instid1(VALU_DEP_2)
	v_sub_f32_e32 v23, v22, v27
	v_add_f32_e32 v19, v28, v19
	s_delay_alu instid0(VALU_DEP_2) | instskip(NEXT) | instid1(VALU_DEP_2)
	v_sub_f32_e32 v23, v24, v23
	v_mul_f32_e32 v19, v21, v19
	s_delay_alu instid0(VALU_DEP_1) | instskip(NEXT) | instid1(VALU_DEP_1)
	v_add_f32_e32 v19, v23, v19
	v_add_f32_e32 v21, v22, v19
	s_delay_alu instid0(VALU_DEP_1) | instskip(NEXT) | instid1(VALU_DEP_1)
	v_mul_f32_e32 v23, v21, v21
	v_fmaak_f32 v24, s12, v23, 0x3ecc95a3
	v_mul_f32_e32 v25, v21, v23
	s_delay_alu instid0(VALU_DEP_2) | instskip(SKIP_2) | instid1(VALU_DEP_3)
	v_fmaak_f32 v23, v23, v24, 0x3f2aaada
	v_ldexp_f32 v24, v21, 1
	v_sub_f32_e32 v21, v21, v22
	v_mul_f32_e32 v23, v25, v23
	v_mul_f32_e32 v25, 0x3f317218, v18
	s_delay_alu instid0(VALU_DEP_2) | instskip(NEXT) | instid1(VALU_DEP_1)
	v_dual_sub_f32 v19, v19, v21 :: v_dual_add_f32 v22, v24, v23
	v_ldexp_f32 v19, v19, 1
	s_delay_alu instid0(VALU_DEP_2) | instskip(NEXT) | instid1(VALU_DEP_4)
	v_sub_f32_e32 v21, v22, v24
	v_fma_f32 v24, 0x3f317218, v18, -v25
	s_delay_alu instid0(VALU_DEP_1) | instskip(NEXT) | instid1(VALU_DEP_1)
	v_dual_sub_f32 v21, v23, v21 :: v_dual_fmac_f32 v24, 0xb102e308, v18
	v_dual_add_f32 v18, v19, v21 :: v_dual_add_f32 v19, v25, v24
	s_delay_alu instid0(VALU_DEP_1) | instskip(NEXT) | instid1(VALU_DEP_2)
	v_add_f32_e32 v21, v22, v18
	v_sub_f32_e32 v25, v19, v25
	s_delay_alu instid0(VALU_DEP_2) | instskip(NEXT) | instid1(VALU_DEP_2)
	v_dual_add_f32 v23, v19, v21 :: v_dual_sub_f32 v22, v21, v22
	v_sub_f32_e32 v24, v24, v25
	s_delay_alu instid0(VALU_DEP_2) | instskip(NEXT) | instid1(VALU_DEP_3)
	v_sub_f32_e32 v26, v23, v19
	v_sub_f32_e32 v18, v18, v22
	s_delay_alu instid0(VALU_DEP_2) | instskip(SKIP_1) | instid1(VALU_DEP_2)
	v_sub_f32_e32 v27, v23, v26
	v_sub_f32_e32 v21, v21, v26
	v_dual_add_f32 v22, v24, v18 :: v_dual_sub_f32 v19, v19, v27
	s_delay_alu instid0(VALU_DEP_1) | instskip(NEXT) | instid1(VALU_DEP_2)
	v_add_f32_e32 v19, v21, v19
	v_sub_f32_e32 v21, v22, v24
	s_delay_alu instid0(VALU_DEP_2) | instskip(NEXT) | instid1(VALU_DEP_2)
	v_add_f32_e32 v19, v22, v19
	v_sub_f32_e32 v22, v22, v21
	s_delay_alu instid0(VALU_DEP_2) | instskip(NEXT) | instid1(VALU_DEP_1)
	v_dual_sub_f32 v18, v18, v21 :: v_dual_add_f32 v25, v23, v19
	v_dual_sub_f32 v22, v24, v22 :: v_dual_sub_f32 v21, v25, v23
	s_delay_alu instid0(VALU_DEP_1) | instskip(NEXT) | instid1(VALU_DEP_1)
	v_dual_add_f32 v18, v18, v22 :: v_dual_sub_f32 v19, v19, v21
	v_add_f32_e32 v18, v18, v19
	s_delay_alu instid0(VALU_DEP_1) | instskip(NEXT) | instid1(VALU_DEP_1)
	v_add_f32_e32 v18, v25, v18
	v_cndmask_b32_e64 v18, v18, v20, s4
	s_delay_alu instid0(VALU_DEP_1)
	v_add_f32_e32 v18, v17, v18
	s_branch .LBB175_17
.LBB175_24:                             ;   in Loop: Header=BB175_7 Depth=2
	s_or_b32 exec_lo, exec_lo, s14
	s_and_saveexec_b32 s14, vcc_lo
	s_cbranch_execz .LBB175_6
; %bb.25:                               ;   in Loop: Header=BB175_7 Depth=2
	s_mov_b32 s24, exec_lo
	v_cmpx_gt_u32_e64 s21, v1
	s_cbranch_execz .LBB175_27
; %bb.26:                               ;   in Loop: Header=BB175_7 Depth=2
	ds_load_b32 v4, v7
	v_lshlrev_b64 v[16:17], 2, v[1:2]
	s_delay_alu instid0(VALU_DEP_1) | instskip(NEXT) | instid1(VALU_DEP_1)
	v_add_co_u32 v16, s4, v14, v16
	v_add_co_ci_u32_e64 v17, s4, v15, v17, s4
	s_waitcnt lgkmcnt(0)
	global_store_b32 v[16:17], v4, off
.LBB175_27:                             ;   in Loop: Header=BB175_7 Depth=2
	s_or_b32 exec_lo, exec_lo, s24
	v_cmp_gt_u32_e64 s4, s21, v3
	s_delay_alu instid0(VALU_DEP_1)
	s_and_b32 exec_lo, exec_lo, s4
	s_cbranch_execz .LBB175_6
; %bb.28:                               ;   in Loop: Header=BB175_7 Depth=2
	ds_load_b32 v1, v11
	v_mov_b32_e32 v4, v2
	s_delay_alu instid0(VALU_DEP_1) | instskip(NEXT) | instid1(VALU_DEP_1)
	v_lshlrev_b64 v[3:4], 2, v[3:4]
	v_add_co_u32 v3, s4, v14, v3
	s_delay_alu instid0(VALU_DEP_1)
	v_add_co_ci_u32_e64 v4, s4, v15, v4, s4
	s_waitcnt lgkmcnt(0)
	global_store_b32 v[3:4], v1, off
	s_branch .LBB175_6
.LBB175_29:
	s_mov_b32 s2, 0
.LBB175_30:
	s_delay_alu instid0(SALU_CYCLE_1)
	s_and_not1_b32 vcc_lo, exec_lo, s2
	s_cbranch_vccnz .LBB175_61
; %bb.31:
	s_load_b32 s2, s[0:1], 0x34
	s_add_u32 s0, s0, 40
	s_addc_u32 s1, s1, 0
	s_mov_b32 s7, 0
	s_waitcnt lgkmcnt(0)
	s_lshr_b32 s2, s2, 16
	s_delay_alu instid0(SALU_CYCLE_1) | instskip(SKIP_1) | instid1(SALU_CYCLE_1)
	s_mul_hi_u32 s5, s2, s15
	s_mul_i32 s4, s2, s15
	v_cmp_ge_u64_e64 s3, s[4:5], s[6:7]
	s_delay_alu instid0(VALU_DEP_1)
	s_and_b32 vcc_lo, exec_lo, s3
	s_cbranch_vccnz .LBB175_61
; %bb.32:
	s_load_b32 s1, s[0:1], 0x0
	v_dual_mov_b32 v1, 0 :: v_dual_and_b32 v0, 0x3ff, v0
	s_lshl_b32 s8, 1, s22
	s_and_b32 s2, 0xffff, s2
	s_ashr_i32 s9, s8, 31
	s_cmp_lg_u32 s21, 0
	v_lshl_add_u32 v11, v0, 2, v10
	s_cselect_b32 s3, -1, 0
	s_lshl_b64 s[12:13], s[8:9], 1
	v_cmp_eq_u32_e64 s0, 0, v0
	s_lshl_b32 s14, s12, 2
	v_lshl_add_u32 v13, s8, 2, v11
	v_add3_u32 v12, v10, s14, -4
	s_mov_b32 s10, s21
	s_mov_b32 s11, s7
	s_add_i32 s20, s22, 1
	s_mov_b32 s22, 0x3e9b6dac
	s_waitcnt lgkmcnt(0)
	s_mul_i32 s21, s1, s2
	s_branch .LBB175_34
.LBB175_33:                             ;   in Loop: Header=BB175_34 Depth=1
	s_add_u32 s4, s4, s21
	s_addc_u32 s5, s5, 0
	s_delay_alu instid0(SALU_CYCLE_1) | instskip(NEXT) | instid1(VALU_DEP_1)
	v_cmp_ge_u64_e64 s1, s[4:5], s[6:7]
	s_and_b32 vcc_lo, exec_lo, s1
	s_cbranch_vccnz .LBB175_61
.LBB175_34:                             ; =>This Loop Header: Depth=1
                                        ;     Child Loop BB175_37 Depth 2
                                        ;       Child Loop BB175_49 Depth 3
	s_and_not1_b32 vcc_lo, exec_lo, s3
	s_cbranch_vccnz .LBB175_33
; %bb.35:                               ;   in Loop: Header=BB175_34 Depth=1
	v_add_co_u32 v2, s1, s4, v9
	s_delay_alu instid0(VALU_DEP_1) | instskip(SKIP_1) | instid1(VALU_DEP_2)
	v_add_co_ci_u32_e64 v3, null, s5, 0, s1
	s_mov_b64 s[14:15], 0
	v_mad_u64_u32 v[4:5], null, v2, s10, 0
	s_delay_alu instid0(VALU_DEP_2) | instskip(SKIP_1) | instid1(VALU_DEP_3)
	v_cmp_gt_u64_e64 s1, s[6:7], v[2:3]
	v_cmp_le_u64_e64 s2, s[6:7], v[2:3]
	v_mad_u64_u32 v[6:7], null, v3, s10, v[5:6]
	s_delay_alu instid0(VALU_DEP_1) | instskip(NEXT) | instid1(VALU_DEP_1)
	v_dual_mov_b32 v5, v6 :: v_dual_mov_b32 v6, s23
	v_lshlrev_b64 v[4:5], 2, v[4:5]
	s_delay_alu instid0(VALU_DEP_1) | instskip(NEXT) | instid1(VALU_DEP_2)
	v_add_co_u32 v14, vcc_lo, s18, v4
	v_add_co_ci_u32_e32 v15, vcc_lo, s19, v5, vcc_lo
	v_add_co_u32 v16, vcc_lo, s16, v4
	v_add_co_ci_u32_e32 v17, vcc_lo, s17, v5, vcc_lo
	s_branch .LBB175_37
.LBB175_36:                             ;   in Loop: Header=BB175_37 Depth=2
	s_or_b32 exec_lo, exec_lo, s24
	ds_load_b32 v6, v12
	s_add_u32 s14, s14, s12
	s_addc_u32 s15, s15, s13
	s_waitcnt lgkmcnt(0)
	s_waitcnt_vscnt null, 0x0
	v_cmp_ge_u64_e64 s24, s[14:15], s[10:11]
	s_barrier
	buffer_gl0_inv
	s_and_b32 vcc_lo, exec_lo, s24
	s_cbranch_vccnz .LBB175_33
.LBB175_37:                             ;   Parent Loop BB175_34 Depth=1
                                        ; =>  This Loop Header: Depth=2
                                        ;       Child Loop BB175_49 Depth 3
	v_add_co_u32 v4, s24, s14, v0
	s_delay_alu instid0(VALU_DEP_1) | instskip(NEXT) | instid1(VALU_DEP_2)
	v_add_co_ci_u32_e64 v5, null, s15, 0, s24
	v_add_co_u32 v2, vcc_lo, v4, s8
	s_delay_alu instid0(VALU_DEP_2)
	v_add_co_ci_u32_e32 v3, vcc_lo, s9, v5, vcc_lo
	s_and_saveexec_b32 s24, s1
	s_cbranch_execz .LBB175_46
; %bb.38:                               ;   in Loop: Header=BB175_37 Depth=2
	v_mov_b32_e32 v7, s23
	s_mov_b32 s25, exec_lo
	v_cmpx_gt_u64_e64 s[10:11], v[4:5]
	s_cbranch_execz .LBB175_40
; %bb.39:                               ;   in Loop: Header=BB175_37 Depth=2
	v_lshlrev_b64 v[7:8], 2, v[4:5]
	s_delay_alu instid0(VALU_DEP_1) | instskip(NEXT) | instid1(VALU_DEP_2)
	v_add_co_u32 v7, vcc_lo, v14, v7
	v_add_co_ci_u32_e32 v8, vcc_lo, v15, v8, vcc_lo
	global_load_b32 v7, v[7:8], off
.LBB175_40:                             ;   in Loop: Header=BB175_37 Depth=2
	s_or_b32 exec_lo, exec_lo, s25
	v_mov_b32_e32 v8, s23
	s_mov_b32 s25, exec_lo
	s_waitcnt vmcnt(0)
	ds_store_b32 v11, v7
	v_cmpx_gt_u64_e64 s[10:11], v[2:3]
	s_cbranch_execz .LBB175_42
; %bb.41:                               ;   in Loop: Header=BB175_37 Depth=2
	v_lshlrev_b64 v[7:8], 2, v[2:3]
	s_delay_alu instid0(VALU_DEP_1) | instskip(NEXT) | instid1(VALU_DEP_2)
	v_add_co_u32 v7, vcc_lo, v14, v7
	v_add_co_ci_u32_e32 v8, vcc_lo, v15, v8, vcc_lo
	global_load_b32 v8, v[7:8], off
.LBB175_42:                             ;   in Loop: Header=BB175_37 Depth=2
	s_or_b32 exec_lo, exec_lo, s25
	s_waitcnt vmcnt(0)
	ds_store_b32 v13, v8
	s_and_b32 exec_lo, exec_lo, s0
	s_cbranch_execz .LBB175_46
; %bb.43:                               ;   in Loop: Header=BB175_37 Depth=2
	ds_load_b32 v7, v10
	v_max_f32_e32 v8, v6, v6
	s_waitcnt lgkmcnt(0)
	v_max_f32_e32 v18, v7, v7
	v_cmp_u_f32_e32 vcc_lo, v7, v7
	s_delay_alu instid0(VALU_DEP_2) | instskip(SKIP_1) | instid1(VALU_DEP_2)
	v_min_f32_e32 v19, v18, v8
	v_max_f32_e32 v8, v18, v8
	v_cndmask_b32_e32 v18, v19, v7, vcc_lo
	s_delay_alu instid0(VALU_DEP_2) | instskip(SKIP_1) | instid1(VALU_DEP_3)
	v_cndmask_b32_e32 v19, v8, v7, vcc_lo
	v_cmp_u_f32_e32 vcc_lo, v6, v6
	v_cndmask_b32_e32 v8, v18, v6, vcc_lo
	s_delay_alu instid0(VALU_DEP_3) | instskip(NEXT) | instid1(VALU_DEP_2)
	v_cndmask_b32_e32 v6, v19, v6, vcc_lo
	v_cmp_class_f32_e64 s25, v8, 0x1f8
	s_delay_alu instid0(VALU_DEP_2) | instskip(NEXT) | instid1(VALU_DEP_2)
	v_cmp_neq_f32_e32 vcc_lo, v8, v6
	s_or_b32 s26, vcc_lo, s25
	s_delay_alu instid0(SALU_CYCLE_1)
	s_and_saveexec_b32 s25, s26
	s_cbranch_execz .LBB175_45
; %bb.44:                               ;   in Loop: Header=BB175_37 Depth=2
	v_sub_f32_e32 v7, v8, v6
	s_delay_alu instid0(VALU_DEP_1) | instskip(SKIP_1) | instid1(VALU_DEP_2)
	v_mul_f32_e32 v8, 0x3fb8aa3b, v7
	v_cmp_ngt_f32_e32 vcc_lo, 0xc2ce8ed0, v7
	v_fma_f32 v18, 0x3fb8aa3b, v7, -v8
	v_rndne_f32_e32 v19, v8
	s_delay_alu instid0(VALU_DEP_2) | instskip(NEXT) | instid1(VALU_DEP_2)
	v_fmac_f32_e32 v18, 0x32a5705f, v7
	v_sub_f32_e32 v8, v8, v19
	s_delay_alu instid0(VALU_DEP_1) | instskip(SKIP_1) | instid1(VALU_DEP_2)
	v_add_f32_e32 v8, v8, v18
	v_cvt_i32_f32_e32 v18, v19
	v_exp_f32_e32 v8, v8
	s_waitcnt_depctr 0xfff
	v_ldexp_f32 v8, v8, v18
	s_delay_alu instid0(VALU_DEP_1) | instskip(SKIP_1) | instid1(VALU_DEP_2)
	v_cndmask_b32_e32 v8, 0, v8, vcc_lo
	v_cmp_nlt_f32_e32 vcc_lo, 0x42b17218, v7
	v_cndmask_b32_e32 v18, 0x7f800000, v8, vcc_lo
	s_delay_alu instid0(VALU_DEP_1) | instskip(NEXT) | instid1(VALU_DEP_1)
	v_add_f32_e32 v19, 1.0, v18
	v_cvt_f64_f32_e32 v[7:8], v19
	s_delay_alu instid0(VALU_DEP_1) | instskip(SKIP_1) | instid1(VALU_DEP_1)
	v_frexp_exp_i32_f64_e32 v7, v[7:8]
	v_frexp_mant_f32_e32 v8, v19
	v_cmp_gt_f32_e32 vcc_lo, 0x3f2aaaab, v8
	v_add_f32_e32 v8, -1.0, v19
	s_delay_alu instid0(VALU_DEP_1) | instskip(SKIP_1) | instid1(VALU_DEP_2)
	v_sub_f32_e32 v21, v8, v19
	v_cmp_gt_f32_e64 s26, 0x33800000, |v18|
	v_add_f32_e32 v21, 1.0, v21
	v_subrev_co_ci_u32_e32 v7, vcc_lo, 0, v7, vcc_lo
	v_cmp_eq_f32_e32 vcc_lo, 0x7f800000, v18
	s_delay_alu instid0(VALU_DEP_2) | instskip(SKIP_2) | instid1(VALU_DEP_2)
	v_sub_nc_u32_e32 v20, 0, v7
	v_cvt_f32_i32_e32 v7, v7
	s_or_b32 vcc_lo, vcc_lo, s26
	v_ldexp_f32 v19, v19, v20
	v_sub_f32_e32 v8, v18, v8
	s_delay_alu instid0(VALU_DEP_1) | instskip(NEXT) | instid1(VALU_DEP_1)
	v_add_f32_e32 v8, v8, v21
	v_ldexp_f32 v8, v8, v20
	s_delay_alu instid0(VALU_DEP_4) | instskip(NEXT) | instid1(VALU_DEP_1)
	v_add_f32_e32 v22, 1.0, v19
	v_add_f32_e32 v21, -1.0, v22
	s_delay_alu instid0(VALU_DEP_1) | instskip(NEXT) | instid1(VALU_DEP_1)
	v_sub_f32_e32 v21, v19, v21
	v_dual_add_f32 v21, v8, v21 :: v_dual_add_f32 v20, -1.0, v19
	s_delay_alu instid0(VALU_DEP_1) | instskip(NEXT) | instid1(VALU_DEP_1)
	v_add_f32_e32 v23, 1.0, v20
	v_sub_f32_e32 v19, v19, v23
	s_delay_alu instid0(VALU_DEP_1) | instskip(NEXT) | instid1(VALU_DEP_1)
	v_dual_add_f32 v23, v22, v21 :: v_dual_add_f32 v8, v8, v19
	v_rcp_f32_e32 v19, v23
	v_sub_f32_e32 v22, v22, v23
	s_delay_alu instid0(VALU_DEP_1) | instskip(SKIP_3) | instid1(VALU_DEP_2)
	v_dual_add_f32 v21, v21, v22 :: v_dual_add_f32 v24, v20, v8
	s_waitcnt_depctr 0xfff
	v_mul_f32_e32 v25, v24, v19
	v_sub_f32_e32 v20, v20, v24
	v_mul_f32_e32 v26, v23, v25
	s_delay_alu instid0(VALU_DEP_1) | instskip(NEXT) | instid1(VALU_DEP_1)
	v_fma_f32 v22, v25, v23, -v26
	v_fmac_f32_e32 v22, v25, v21
	s_delay_alu instid0(VALU_DEP_1) | instskip(NEXT) | instid1(VALU_DEP_1)
	v_dual_add_f32 v27, v26, v22 :: v_dual_add_f32 v8, v8, v20
	v_sub_f32_e32 v28, v24, v27
	v_sub_f32_e32 v20, v27, v26
	s_delay_alu instid0(VALU_DEP_2) | instskip(NEXT) | instid1(VALU_DEP_2)
	v_sub_f32_e32 v24, v24, v28
	v_sub_f32_e32 v20, v20, v22
	s_delay_alu instid0(VALU_DEP_2) | instskip(NEXT) | instid1(VALU_DEP_1)
	v_sub_f32_e32 v24, v24, v27
	v_add_f32_e32 v8, v8, v24
	s_delay_alu instid0(VALU_DEP_1) | instskip(NEXT) | instid1(VALU_DEP_1)
	v_add_f32_e32 v8, v20, v8
	v_add_f32_e32 v20, v28, v8
	s_delay_alu instid0(VALU_DEP_1) | instskip(NEXT) | instid1(VALU_DEP_1)
	v_mul_f32_e32 v22, v19, v20
	v_dual_sub_f32 v27, v28, v20 :: v_dual_mul_f32 v24, v23, v22
	s_delay_alu instid0(VALU_DEP_1) | instskip(NEXT) | instid1(VALU_DEP_2)
	v_add_f32_e32 v8, v8, v27
	v_fma_f32 v23, v22, v23, -v24
	s_delay_alu instid0(VALU_DEP_1) | instskip(NEXT) | instid1(VALU_DEP_1)
	v_fmac_f32_e32 v23, v22, v21
	v_add_f32_e32 v21, v24, v23
	s_delay_alu instid0(VALU_DEP_1) | instskip(SKIP_1) | instid1(VALU_DEP_2)
	v_sub_f32_e32 v26, v20, v21
	v_sub_f32_e32 v24, v21, v24
	;; [unrolled: 1-line block ×3, first 2 shown]
	s_delay_alu instid0(VALU_DEP_1) | instskip(NEXT) | instid1(VALU_DEP_3)
	v_sub_f32_e32 v20, v20, v21
	v_sub_f32_e32 v21, v24, v23
	s_delay_alu instid0(VALU_DEP_2) | instskip(SKIP_1) | instid1(VALU_DEP_1)
	v_add_f32_e32 v8, v8, v20
	v_add_f32_e32 v20, v25, v22
	v_dual_add_f32 v8, v21, v8 :: v_dual_sub_f32 v21, v20, v25
	s_delay_alu instid0(VALU_DEP_1) | instskip(NEXT) | instid1(VALU_DEP_1)
	v_add_f32_e32 v8, v26, v8
	v_dual_sub_f32 v21, v22, v21 :: v_dual_mul_f32 v8, v19, v8
	s_delay_alu instid0(VALU_DEP_1) | instskip(NEXT) | instid1(VALU_DEP_1)
	v_add_f32_e32 v8, v21, v8
	v_add_f32_e32 v19, v20, v8
	s_delay_alu instid0(VALU_DEP_1) | instskip(NEXT) | instid1(VALU_DEP_1)
	v_mul_f32_e32 v21, v19, v19
	v_fmaak_f32 v22, s22, v21, 0x3ecc95a3
	v_mul_f32_e32 v23, v19, v21
	s_delay_alu instid0(VALU_DEP_2) | instskip(SKIP_2) | instid1(VALU_DEP_3)
	v_fmaak_f32 v21, v21, v22, 0x3f2aaada
	v_ldexp_f32 v22, v19, 1
	v_sub_f32_e32 v19, v19, v20
	v_mul_f32_e32 v21, v23, v21
	v_mul_f32_e32 v23, 0x3f317218, v7
	s_delay_alu instid0(VALU_DEP_3) | instskip(NEXT) | instid1(VALU_DEP_3)
	v_sub_f32_e32 v8, v8, v19
	v_add_f32_e32 v20, v22, v21
	s_delay_alu instid0(VALU_DEP_2) | instskip(NEXT) | instid1(VALU_DEP_2)
	v_ldexp_f32 v8, v8, 1
	v_sub_f32_e32 v19, v20, v22
	v_fma_f32 v22, 0x3f317218, v7, -v23
	s_delay_alu instid0(VALU_DEP_2) | instskip(NEXT) | instid1(VALU_DEP_2)
	v_sub_f32_e32 v19, v21, v19
	v_fmac_f32_e32 v22, 0xb102e308, v7
	s_delay_alu instid0(VALU_DEP_1) | instskip(NEXT) | instid1(VALU_DEP_1)
	v_dual_add_f32 v7, v8, v19 :: v_dual_add_f32 v8, v23, v22
	v_sub_f32_e32 v23, v8, v23
	s_delay_alu instid0(VALU_DEP_2) | instskip(NEXT) | instid1(VALU_DEP_2)
	v_add_f32_e32 v19, v20, v7
	v_sub_f32_e32 v22, v22, v23
	s_delay_alu instid0(VALU_DEP_2) | instskip(NEXT) | instid1(VALU_DEP_1)
	v_dual_add_f32 v21, v8, v19 :: v_dual_sub_f32 v20, v19, v20
	v_sub_f32_e32 v24, v21, v8
	s_delay_alu instid0(VALU_DEP_2) | instskip(NEXT) | instid1(VALU_DEP_2)
	v_sub_f32_e32 v7, v7, v20
	v_sub_f32_e32 v25, v21, v24
	s_delay_alu instid0(VALU_DEP_2) | instskip(NEXT) | instid1(VALU_DEP_2)
	v_dual_sub_f32 v19, v19, v24 :: v_dual_add_f32 v20, v22, v7
	v_sub_f32_e32 v8, v8, v25
	s_delay_alu instid0(VALU_DEP_1) | instskip(NEXT) | instid1(VALU_DEP_1)
	v_dual_add_f32 v8, v19, v8 :: v_dual_sub_f32 v19, v20, v22
	v_add_f32_e32 v8, v20, v8
	s_delay_alu instid0(VALU_DEP_2) | instskip(SKIP_1) | instid1(VALU_DEP_3)
	v_sub_f32_e32 v20, v20, v19
	v_sub_f32_e32 v7, v7, v19
	v_add_f32_e32 v23, v21, v8
	s_delay_alu instid0(VALU_DEP_1) | instskip(NEXT) | instid1(VALU_DEP_1)
	v_dual_sub_f32 v20, v22, v20 :: v_dual_sub_f32 v19, v23, v21
	v_dual_add_f32 v7, v7, v20 :: v_dual_sub_f32 v8, v8, v19
	s_delay_alu instid0(VALU_DEP_1) | instskip(NEXT) | instid1(VALU_DEP_1)
	v_add_f32_e32 v7, v7, v8
	v_add_f32_e32 v7, v23, v7
	s_delay_alu instid0(VALU_DEP_1) | instskip(NEXT) | instid1(VALU_DEP_1)
	v_cndmask_b32_e32 v7, v7, v18, vcc_lo
	v_add_f32_e32 v7, v6, v7
.LBB175_45:                             ;   in Loop: Header=BB175_37 Depth=2
	s_or_b32 exec_lo, exec_lo, s25
	ds_store_b32 v10, v7
.LBB175_46:                             ;   in Loop: Header=BB175_37 Depth=2
	s_or_b32 exec_lo, exec_lo, s24
	v_mov_b32_e32 v19, 0
	s_mov_b32 s24, 0
	s_waitcnt lgkmcnt(0)
	s_barrier
	buffer_gl0_inv
	s_branch .LBB175_49
.LBB175_47:                             ;   in Loop: Header=BB175_49 Depth=3
	s_or_b32 exec_lo, exec_lo, s26
	ds_store_b32 v6, v8
.LBB175_48:                             ;   in Loop: Header=BB175_49 Depth=3
	s_or_b32 exec_lo, exec_lo, s25
	s_delay_alu instid0(VALU_DEP_1)
	v_cmp_eq_u32_e32 vcc_lo, s20, v18
	v_mov_b32_e32 v19, v18
	s_waitcnt lgkmcnt(0)
	s_barrier
	buffer_gl0_inv
	s_or_b32 s24, vcc_lo, s24
	s_delay_alu instid0(SALU_CYCLE_1)
	s_and_not1_b32 exec_lo, exec_lo, s24
	s_cbranch_execz .LBB175_56
.LBB175_49:                             ;   Parent Loop BB175_34 Depth=1
                                        ;     Parent Loop BB175_37 Depth=2
                                        ; =>    This Inner Loop Header: Depth=3
	v_add_nc_u32_e32 v18, 1, v19
	s_and_saveexec_b32 s25, s2
	s_delay_alu instid0(SALU_CYCLE_1)
	s_xor_b32 s25, exec_lo, s25
; %bb.50:                               ;   in Loop: Header=BB175_49 Depth=3
	v_add_nc_u32_e32 v18, 1, v19
                                        ; implicit-def: $vgpr19
; %bb.51:                               ;   in Loop: Header=BB175_49 Depth=3
	s_and_not1_saveexec_b32 s25, s25
	s_cbranch_execz .LBB175_48
; %bb.52:                               ;   in Loop: Header=BB175_49 Depth=3
	v_lshlrev_b32_e64 v6, v19, 1
	s_delay_alu instid0(VALU_DEP_1) | instskip(NEXT) | instid1(VALU_DEP_1)
	v_ashrrev_i32_e32 v7, 31, v6
	v_cmp_ge_u64_e32 vcc_lo, v[0:1], v[6:7]
	v_dual_mov_b32 v8, v1 :: v_dual_mov_b32 v7, v0
	s_and_saveexec_b32 s26, vcc_lo
	s_cbranch_execz .LBB175_54
; %bb.53:                               ;   in Loop: Header=BB175_49 Depth=3
	v_cvt_f32_u32_e32 v7, v6
	v_sub_nc_u32_e32 v8, 0, v6
	s_delay_alu instid0(VALU_DEP_2) | instskip(SKIP_2) | instid1(VALU_DEP_1)
	v_rcp_iflag_f32_e32 v7, v7
	s_waitcnt_depctr 0xfff
	v_mul_f32_e32 v7, 0x4f7ffffe, v7
	v_cvt_u32_f32_e32 v7, v7
	s_delay_alu instid0(VALU_DEP_1) | instskip(NEXT) | instid1(VALU_DEP_1)
	v_mul_lo_u32 v8, v8, v7
	v_mul_hi_u32 v8, v7, v8
	s_delay_alu instid0(VALU_DEP_1) | instskip(NEXT) | instid1(VALU_DEP_1)
	v_add_nc_u32_e32 v7, v7, v8
	v_mul_hi_u32 v7, v0, v7
	s_delay_alu instid0(VALU_DEP_1) | instskip(NEXT) | instid1(VALU_DEP_1)
	v_mul_lo_u32 v7, v7, v6
	v_sub_nc_u32_e32 v7, v0, v7
	s_delay_alu instid0(VALU_DEP_1) | instskip(SKIP_1) | instid1(VALU_DEP_2)
	v_sub_nc_u32_e32 v8, v7, v6
	v_cmp_ge_u32_e32 vcc_lo, v7, v6
	v_cndmask_b32_e32 v7, v7, v8, vcc_lo
	s_delay_alu instid0(VALU_DEP_1) | instskip(SKIP_1) | instid1(VALU_DEP_2)
	v_sub_nc_u32_e32 v8, v7, v6
	v_cmp_ge_u32_e32 vcc_lo, v7, v6
	v_cndmask_b32_e32 v7, v7, v8, vcc_lo
.LBB175_54:                             ;   in Loop: Header=BB175_49 Depth=3
	s_or_b32 exec_lo, exec_lo, s26
	v_lshrrev_b32_e32 v8, v19, v0
	s_delay_alu instid0(VALU_DEP_1) | instskip(NEXT) | instid1(VALU_DEP_1)
	v_lshl_or_b32 v6, v8, v18, v6
	v_lshl_add_u32 v6, v6, 2, v10
	s_delay_alu instid0(VALU_DEP_1)
	v_add_nc_u32_e32 v8, -4, v6
	v_lshl_add_u32 v6, v7, 2, v6
	ds_load_b32 v7, v8
	ds_load_b32 v8, v6
	s_waitcnt lgkmcnt(0)
	v_dual_max_f32 v19, v7, v7 :: v_dual_max_f32 v20, v8, v8
	v_cmp_u_f32_e32 vcc_lo, v8, v8
	s_delay_alu instid0(VALU_DEP_2) | instskip(NEXT) | instid1(VALU_DEP_1)
	v_min_f32_e32 v21, v20, v19
	v_dual_max_f32 v19, v20, v19 :: v_dual_cndmask_b32 v20, v21, v8
	s_delay_alu instid0(VALU_DEP_1) | instskip(SKIP_1) | instid1(VALU_DEP_3)
	v_cndmask_b32_e32 v21, v19, v8, vcc_lo
	v_cmp_u_f32_e32 vcc_lo, v7, v7
	v_cndmask_b32_e32 v19, v20, v7, vcc_lo
	s_delay_alu instid0(VALU_DEP_3) | instskip(NEXT) | instid1(VALU_DEP_2)
	v_cndmask_b32_e32 v7, v21, v7, vcc_lo
	v_cmp_class_f32_e64 s26, v19, 0x1f8
	s_delay_alu instid0(VALU_DEP_2) | instskip(NEXT) | instid1(VALU_DEP_2)
	v_cmp_neq_f32_e32 vcc_lo, v19, v7
	s_or_b32 s27, vcc_lo, s26
	s_delay_alu instid0(SALU_CYCLE_1)
	s_and_saveexec_b32 s26, s27
	s_cbranch_execz .LBB175_47
; %bb.55:                               ;   in Loop: Header=BB175_49 Depth=3
	v_sub_f32_e32 v8, v19, v7
	s_delay_alu instid0(VALU_DEP_1) | instskip(SKIP_1) | instid1(VALU_DEP_2)
	v_mul_f32_e32 v19, 0x3fb8aa3b, v8
	v_cmp_ngt_f32_e32 vcc_lo, 0xc2ce8ed0, v8
	v_fma_f32 v20, 0x3fb8aa3b, v8, -v19
	v_rndne_f32_e32 v21, v19
	s_delay_alu instid0(VALU_DEP_1) | instskip(NEXT) | instid1(VALU_DEP_1)
	v_dual_fmac_f32 v20, 0x32a5705f, v8 :: v_dual_sub_f32 v19, v19, v21
	v_add_f32_e32 v19, v19, v20
	v_cvt_i32_f32_e32 v20, v21
	s_delay_alu instid0(VALU_DEP_2) | instskip(SKIP_2) | instid1(VALU_DEP_1)
	v_exp_f32_e32 v19, v19
	s_waitcnt_depctr 0xfff
	v_ldexp_f32 v19, v19, v20
	v_cndmask_b32_e32 v19, 0, v19, vcc_lo
	v_cmp_nlt_f32_e32 vcc_lo, 0x42b17218, v8
	s_delay_alu instid0(VALU_DEP_2) | instskip(NEXT) | instid1(VALU_DEP_1)
	v_cndmask_b32_e32 v8, 0x7f800000, v19, vcc_lo
	v_add_f32_e32 v21, 1.0, v8
	s_delay_alu instid0(VALU_DEP_1) | instskip(NEXT) | instid1(VALU_DEP_1)
	v_cvt_f64_f32_e32 v[19:20], v21
	v_frexp_exp_i32_f64_e32 v19, v[19:20]
	v_frexp_mant_f32_e32 v20, v21
	s_delay_alu instid0(VALU_DEP_1) | instskip(SKIP_1) | instid1(VALU_DEP_1)
	v_cmp_gt_f32_e32 vcc_lo, 0x3f2aaaab, v20
	v_add_f32_e32 v20, -1.0, v21
	v_sub_f32_e32 v23, v20, v21
	s_delay_alu instid0(VALU_DEP_1) | instskip(NEXT) | instid1(VALU_DEP_1)
	v_dual_sub_f32 v20, v8, v20 :: v_dual_add_f32 v23, 1.0, v23
	v_add_f32_e32 v20, v20, v23
	v_subrev_co_ci_u32_e32 v19, vcc_lo, 0, v19, vcc_lo
	s_delay_alu instid0(VALU_DEP_1) | instskip(SKIP_1) | instid1(VALU_DEP_2)
	v_sub_nc_u32_e32 v22, 0, v19
	v_cvt_f32_i32_e32 v19, v19
	v_ldexp_f32 v21, v21, v22
	v_ldexp_f32 v20, v20, v22
	s_delay_alu instid0(VALU_DEP_2) | instskip(NEXT) | instid1(VALU_DEP_1)
	v_add_f32_e32 v22, -1.0, v21
	v_dual_add_f32 v24, 1.0, v21 :: v_dual_add_f32 v25, 1.0, v22
	s_delay_alu instid0(VALU_DEP_1) | instskip(SKIP_2) | instid1(VALU_DEP_3)
	v_add_f32_e32 v23, -1.0, v24
	v_cmp_eq_f32_e32 vcc_lo, 0x7f800000, v8
	v_cmp_gt_f32_e64 s27, 0x33800000, |v8|
	v_sub_f32_e32 v23, v21, v23
	v_sub_f32_e32 v21, v21, v25
	s_delay_alu instid0(VALU_DEP_3) | instskip(NEXT) | instid1(VALU_DEP_2)
	s_or_b32 vcc_lo, vcc_lo, s27
	v_add_f32_e32 v23, v20, v23
	s_delay_alu instid0(VALU_DEP_2) | instskip(NEXT) | instid1(VALU_DEP_1)
	v_add_f32_e32 v20, v20, v21
	v_dual_add_f32 v26, v22, v20 :: v_dual_add_f32 v25, v24, v23
	s_delay_alu instid0(VALU_DEP_1) | instskip(NEXT) | instid1(VALU_DEP_2)
	v_sub_f32_e32 v22, v22, v26
	v_rcp_f32_e32 v21, v25
	v_sub_f32_e32 v24, v24, v25
	s_delay_alu instid0(VALU_DEP_1) | instskip(SKIP_2) | instid1(VALU_DEP_1)
	v_dual_add_f32 v20, v20, v22 :: v_dual_add_f32 v23, v23, v24
	s_waitcnt_depctr 0xfff
	v_mul_f32_e32 v27, v26, v21
	v_mul_f32_e32 v28, v25, v27
	s_delay_alu instid0(VALU_DEP_1) | instskip(NEXT) | instid1(VALU_DEP_1)
	v_fma_f32 v24, v27, v25, -v28
	v_fmac_f32_e32 v24, v27, v23
	s_delay_alu instid0(VALU_DEP_1) | instskip(NEXT) | instid1(VALU_DEP_1)
	v_add_f32_e32 v29, v28, v24
	v_sub_f32_e32 v30, v26, v29
	s_delay_alu instid0(VALU_DEP_1) | instskip(SKIP_1) | instid1(VALU_DEP_2)
	v_sub_f32_e32 v26, v26, v30
	v_sub_f32_e32 v22, v29, v28
	;; [unrolled: 1-line block ×3, first 2 shown]
	s_delay_alu instid0(VALU_DEP_2) | instskip(NEXT) | instid1(VALU_DEP_2)
	v_sub_f32_e32 v22, v22, v24
	v_add_f32_e32 v20, v20, v26
	s_delay_alu instid0(VALU_DEP_1) | instskip(NEXT) | instid1(VALU_DEP_1)
	v_add_f32_e32 v20, v22, v20
	v_add_f32_e32 v22, v30, v20
	s_delay_alu instid0(VALU_DEP_1) | instskip(NEXT) | instid1(VALU_DEP_1)
	v_mul_f32_e32 v24, v21, v22
	v_dual_sub_f32 v29, v30, v22 :: v_dual_mul_f32 v26, v25, v24
	s_delay_alu instid0(VALU_DEP_1) | instskip(NEXT) | instid1(VALU_DEP_2)
	v_add_f32_e32 v20, v20, v29
	v_fma_f32 v25, v24, v25, -v26
	s_delay_alu instid0(VALU_DEP_1) | instskip(NEXT) | instid1(VALU_DEP_1)
	v_fmac_f32_e32 v25, v24, v23
	v_add_f32_e32 v23, v26, v25
	s_delay_alu instid0(VALU_DEP_1) | instskip(SKIP_1) | instid1(VALU_DEP_2)
	v_sub_f32_e32 v28, v22, v23
	v_sub_f32_e32 v26, v23, v26
	;; [unrolled: 1-line block ×3, first 2 shown]
	s_delay_alu instid0(VALU_DEP_1) | instskip(NEXT) | instid1(VALU_DEP_1)
	v_sub_f32_e32 v22, v22, v23
	v_dual_sub_f32 v23, v26, v25 :: v_dual_add_f32 v20, v20, v22
	v_add_f32_e32 v22, v27, v24
	s_delay_alu instid0(VALU_DEP_1) | instskip(NEXT) | instid1(VALU_DEP_1)
	v_dual_add_f32 v20, v23, v20 :: v_dual_sub_f32 v23, v22, v27
	v_add_f32_e32 v20, v28, v20
	s_delay_alu instid0(VALU_DEP_1) | instskip(NEXT) | instid1(VALU_DEP_1)
	v_dual_sub_f32 v23, v24, v23 :: v_dual_mul_f32 v20, v21, v20
	v_add_f32_e32 v20, v23, v20
	s_delay_alu instid0(VALU_DEP_1) | instskip(NEXT) | instid1(VALU_DEP_1)
	v_add_f32_e32 v21, v22, v20
	v_mul_f32_e32 v23, v21, v21
	s_delay_alu instid0(VALU_DEP_1) | instskip(SKIP_1) | instid1(VALU_DEP_2)
	v_fmaak_f32 v24, s22, v23, 0x3ecc95a3
	v_mul_f32_e32 v25, v21, v23
	v_fmaak_f32 v23, v23, v24, 0x3f2aaada
	v_ldexp_f32 v24, v21, 1
	v_sub_f32_e32 v21, v21, v22
	s_delay_alu instid0(VALU_DEP_3) | instskip(NEXT) | instid1(VALU_DEP_2)
	v_mul_f32_e32 v23, v25, v23
	v_dual_mul_f32 v25, 0x3f317218, v19 :: v_dual_sub_f32 v20, v20, v21
	s_delay_alu instid0(VALU_DEP_2) | instskip(NEXT) | instid1(VALU_DEP_2)
	v_add_f32_e32 v22, v24, v23
	v_ldexp_f32 v20, v20, 1
	s_delay_alu instid0(VALU_DEP_2) | instskip(NEXT) | instid1(VALU_DEP_4)
	v_sub_f32_e32 v21, v22, v24
	v_fma_f32 v24, 0x3f317218, v19, -v25
	s_delay_alu instid0(VALU_DEP_1) | instskip(NEXT) | instid1(VALU_DEP_1)
	v_dual_sub_f32 v21, v23, v21 :: v_dual_fmac_f32 v24, 0xb102e308, v19
	v_add_f32_e32 v19, v20, v21
	s_delay_alu instid0(VALU_DEP_1) | instskip(NEXT) | instid1(VALU_DEP_1)
	v_add_f32_e32 v21, v22, v19
	v_sub_f32_e32 v22, v21, v22
	s_delay_alu instid0(VALU_DEP_1) | instskip(NEXT) | instid1(VALU_DEP_1)
	v_dual_sub_f32 v19, v19, v22 :: v_dual_add_f32 v20, v25, v24
	v_add_f32_e32 v23, v20, v21
	s_delay_alu instid0(VALU_DEP_1) | instskip(NEXT) | instid1(VALU_DEP_1)
	v_dual_sub_f32 v25, v20, v25 :: v_dual_sub_f32 v26, v23, v20
	v_dual_sub_f32 v24, v24, v25 :: v_dual_sub_f32 v27, v23, v26
	s_delay_alu instid0(VALU_DEP_1) | instskip(NEXT) | instid1(VALU_DEP_2)
	v_dual_sub_f32 v21, v21, v26 :: v_dual_add_f32 v22, v24, v19
	v_sub_f32_e32 v20, v20, v27
	s_delay_alu instid0(VALU_DEP_1) | instskip(NEXT) | instid1(VALU_DEP_3)
	v_add_f32_e32 v20, v21, v20
	v_sub_f32_e32 v21, v22, v24
	s_delay_alu instid0(VALU_DEP_2) | instskip(NEXT) | instid1(VALU_DEP_2)
	v_add_f32_e32 v20, v22, v20
	v_sub_f32_e32 v22, v22, v21
	v_sub_f32_e32 v19, v19, v21
	s_delay_alu instid0(VALU_DEP_2) | instskip(NEXT) | instid1(VALU_DEP_1)
	v_dual_add_f32 v25, v23, v20 :: v_dual_sub_f32 v22, v24, v22
	v_sub_f32_e32 v21, v25, v23
	s_delay_alu instid0(VALU_DEP_1) | instskip(NEXT) | instid1(VALU_DEP_1)
	v_dual_add_f32 v19, v19, v22 :: v_dual_sub_f32 v20, v20, v21
	v_add_f32_e32 v19, v19, v20
	s_delay_alu instid0(VALU_DEP_1) | instskip(NEXT) | instid1(VALU_DEP_1)
	v_add_f32_e32 v19, v25, v19
	v_cndmask_b32_e32 v8, v19, v8, vcc_lo
	s_delay_alu instid0(VALU_DEP_1)
	v_add_f32_e32 v8, v7, v8
	s_branch .LBB175_47
.LBB175_56:                             ;   in Loop: Header=BB175_37 Depth=2
	s_or_b32 exec_lo, exec_lo, s24
	s_and_saveexec_b32 s24, s1
	s_cbranch_execz .LBB175_36
; %bb.57:                               ;   in Loop: Header=BB175_37 Depth=2
	s_mov_b32 s25, exec_lo
	v_cmpx_gt_u64_e64 s[10:11], v[4:5]
	s_cbranch_execz .LBB175_59
; %bb.58:                               ;   in Loop: Header=BB175_37 Depth=2
	ds_load_b32 v6, v11
	v_lshlrev_b64 v[4:5], 2, v[4:5]
	s_delay_alu instid0(VALU_DEP_1) | instskip(NEXT) | instid1(VALU_DEP_2)
	v_add_co_u32 v4, vcc_lo, v16, v4
	v_add_co_ci_u32_e32 v5, vcc_lo, v17, v5, vcc_lo
	s_waitcnt lgkmcnt(0)
	global_store_b32 v[4:5], v6, off
.LBB175_59:                             ;   in Loop: Header=BB175_37 Depth=2
	s_or_b32 exec_lo, exec_lo, s25
	v_cmp_gt_u64_e32 vcc_lo, s[10:11], v[2:3]
	s_and_b32 exec_lo, exec_lo, vcc_lo
	s_cbranch_execz .LBB175_36
; %bb.60:                               ;   in Loop: Header=BB175_37 Depth=2
	ds_load_b32 v4, v13
	v_lshlrev_b64 v[2:3], 2, v[2:3]
	s_delay_alu instid0(VALU_DEP_1) | instskip(NEXT) | instid1(VALU_DEP_2)
	v_add_co_u32 v2, vcc_lo, v16, v2
	v_add_co_ci_u32_e32 v3, vcc_lo, v17, v3, vcc_lo
	s_waitcnt lgkmcnt(0)
	global_store_b32 v[2:3], v4, off
	s_branch .LBB175_36
.LBB175_61:
	s_endpgm
	.section	.rodata,"a",@progbits
	.p2align	6, 0x0
	.amdhsa_kernel _ZN2at6native32tensor_kernel_scan_innermost_dimIfZZZNS0_31launch_logcumsumexp_cuda_kernelERKNS_10TensorBaseES4_lENKUlvE_clEvENKUlvE0_clEvEUlffE_EEvPT_PKS8_jjjS8_T0_
		.amdhsa_group_segment_fixed_size 0
		.amdhsa_private_segment_fixed_size 0
		.amdhsa_kernarg_size 296
		.amdhsa_user_sgpr_count 15
		.amdhsa_user_sgpr_dispatch_ptr 0
		.amdhsa_user_sgpr_queue_ptr 0
		.amdhsa_user_sgpr_kernarg_segment_ptr 1
		.amdhsa_user_sgpr_dispatch_id 0
		.amdhsa_user_sgpr_private_segment_size 0
		.amdhsa_wavefront_size32 1
		.amdhsa_uses_dynamic_stack 0
		.amdhsa_enable_private_segment 0
		.amdhsa_system_sgpr_workgroup_id_x 1
		.amdhsa_system_sgpr_workgroup_id_y 0
		.amdhsa_system_sgpr_workgroup_id_z 0
		.amdhsa_system_sgpr_workgroup_info 0
		.amdhsa_system_vgpr_workitem_id 1
		.amdhsa_next_free_vgpr 31
		.amdhsa_next_free_sgpr 28
		.amdhsa_reserve_vcc 1
		.amdhsa_float_round_mode_32 0
		.amdhsa_float_round_mode_16_64 0
		.amdhsa_float_denorm_mode_32 3
		.amdhsa_float_denorm_mode_16_64 3
		.amdhsa_dx10_clamp 1
		.amdhsa_ieee_mode 1
		.amdhsa_fp16_overflow 0
		.amdhsa_workgroup_processor_mode 1
		.amdhsa_memory_ordered 1
		.amdhsa_forward_progress 0
		.amdhsa_shared_vgpr_count 0
		.amdhsa_exception_fp_ieee_invalid_op 0
		.amdhsa_exception_fp_denorm_src 0
		.amdhsa_exception_fp_ieee_div_zero 0
		.amdhsa_exception_fp_ieee_overflow 0
		.amdhsa_exception_fp_ieee_underflow 0
		.amdhsa_exception_fp_ieee_inexact 0
		.amdhsa_exception_int_div_zero 0
	.end_amdhsa_kernel
	.section	.text._ZN2at6native32tensor_kernel_scan_innermost_dimIfZZZNS0_31launch_logcumsumexp_cuda_kernelERKNS_10TensorBaseES4_lENKUlvE_clEvENKUlvE0_clEvEUlffE_EEvPT_PKS8_jjjS8_T0_,"axG",@progbits,_ZN2at6native32tensor_kernel_scan_innermost_dimIfZZZNS0_31launch_logcumsumexp_cuda_kernelERKNS_10TensorBaseES4_lENKUlvE_clEvENKUlvE0_clEvEUlffE_EEvPT_PKS8_jjjS8_T0_,comdat
.Lfunc_end175:
	.size	_ZN2at6native32tensor_kernel_scan_innermost_dimIfZZZNS0_31launch_logcumsumexp_cuda_kernelERKNS_10TensorBaseES4_lENKUlvE_clEvENKUlvE0_clEvEUlffE_EEvPT_PKS8_jjjS8_T0_, .Lfunc_end175-_ZN2at6native32tensor_kernel_scan_innermost_dimIfZZZNS0_31launch_logcumsumexp_cuda_kernelERKNS_10TensorBaseES4_lENKUlvE_clEvENKUlvE0_clEvEUlffE_EEvPT_PKS8_jjjS8_T0_
                                        ; -- End function
	.section	.AMDGPU.csdata,"",@progbits
; Kernel info:
; codeLenInByte = 5564
; NumSgprs: 30
; NumVgprs: 31
; ScratchSize: 0
; MemoryBound: 0
; FloatMode: 240
; IeeeMode: 1
; LDSByteSize: 0 bytes/workgroup (compile time only)
; SGPRBlocks: 3
; VGPRBlocks: 3
; NumSGPRsForWavesPerEU: 30
; NumVGPRsForWavesPerEU: 31
; Occupancy: 16
; WaveLimiterHint : 0
; COMPUTE_PGM_RSRC2:SCRATCH_EN: 0
; COMPUTE_PGM_RSRC2:USER_SGPR: 15
; COMPUTE_PGM_RSRC2:TRAP_HANDLER: 0
; COMPUTE_PGM_RSRC2:TGID_X_EN: 1
; COMPUTE_PGM_RSRC2:TGID_Y_EN: 0
; COMPUTE_PGM_RSRC2:TGID_Z_EN: 0
; COMPUTE_PGM_RSRC2:TIDIG_COMP_CNT: 1
	.section	.text._ZN2at6native28tensor_kernel_scan_outer_dimIfjZZZNS0_31launch_logcumsumexp_cuda_kernelERKNS_10TensorBaseES4_lENKUlvE_clEvENKUlvE0_clEvEUlffE_EEvPT_PKS8_jjjS8_T1_,"axG",@progbits,_ZN2at6native28tensor_kernel_scan_outer_dimIfjZZZNS0_31launch_logcumsumexp_cuda_kernelERKNS_10TensorBaseES4_lENKUlvE_clEvENKUlvE0_clEvEUlffE_EEvPT_PKS8_jjjS8_T1_,comdat
	.globl	_ZN2at6native28tensor_kernel_scan_outer_dimIfjZZZNS0_31launch_logcumsumexp_cuda_kernelERKNS_10TensorBaseES4_lENKUlvE_clEvENKUlvE0_clEvEUlffE_EEvPT_PKS8_jjjS8_T1_ ; -- Begin function _ZN2at6native28tensor_kernel_scan_outer_dimIfjZZZNS0_31launch_logcumsumexp_cuda_kernelERKNS_10TensorBaseES4_lENKUlvE_clEvENKUlvE0_clEvEUlffE_EEvPT_PKS8_jjjS8_T1_
	.p2align	8
	.type	_ZN2at6native28tensor_kernel_scan_outer_dimIfjZZZNS0_31launch_logcumsumexp_cuda_kernelERKNS_10TensorBaseES4_lENKUlvE_clEvENKUlvE0_clEvEUlffE_EEvPT_PKS8_jjjS8_T1_,@function
_ZN2at6native28tensor_kernel_scan_outer_dimIfjZZZNS0_31launch_logcumsumexp_cuda_kernelERKNS_10TensorBaseES4_lENKUlvE_clEvENKUlvE0_clEvEUlffE_EEvPT_PKS8_jjjS8_T1_: ; @_ZN2at6native28tensor_kernel_scan_outer_dimIfjZZZNS0_31launch_logcumsumexp_cuda_kernelERKNS_10TensorBaseES4_lENKUlvE_clEvENKUlvE0_clEvEUlffE_EEvPT_PKS8_jjjS8_T1_
; %bb.0:
	s_load_b128 s[4:7], s[0:1], 0x10
	s_waitcnt lgkmcnt(0)
	s_cmp_ge_u32 s14, s4
	s_cbranch_scc1 .LBB176_11
; %bb.1:
	s_clause 0x2
	s_load_b32 s12, s[0:1], 0x34
	s_load_b32 s20, s[0:1], 0x28
	s_load_b128 s[8:11], s[0:1], 0x0
	s_add_u32 s2, s0, 40
	s_addc_u32 s3, s1, 0
	s_mul_i32 s0, s14, s6
	v_mov_b32_e32 v3, 0
	s_mul_i32 s18, s0, s5
	s_mov_b32 s13, 0
	s_mov_b32 s22, 0x3e9b6dac
	s_waitcnt lgkmcnt(0)
	s_and_b32 s1, s12, 0xffff
	s_mov_b32 s12, s5
	v_mad_u64_u32 v[1:2], null, s15, s1, v[0:1]
	s_mul_i32 s15, s20, s6
	s_cmp_lg_u32 s6, 0
	s_mul_i32 s15, s15, s5
	s_cselect_b32 s21, -1, 0
	s_lshl_b64 s[16:17], s[12:13], 2
	s_mov_b32 s12, s18
	s_delay_alu instid0(VALU_DEP_1)
	v_cmp_gt_u32_e64 s0, s5, v1
	s_branch .LBB176_3
.LBB176_2:                              ;   in Loop: Header=BB176_3 Depth=1
	s_or_b32 exec_lo, exec_lo, s23
	s_add_i32 s14, s20, s14
	s_add_i32 s12, s12, s15
	s_cmp_ge_u32 s14, s4
	s_cbranch_scc1 .LBB176_11
.LBB176_3:                              ; =>This Loop Header: Depth=1
                                        ;     Child Loop BB176_6 Depth 2
                                        ;       Child Loop BB176_9 Depth 3
	s_delay_alu instid0(VALU_DEP_1)
	s_and_saveexec_b32 s23, s0
	s_cbranch_execz .LBB176_2
; %bb.4:                                ;   in Loop: Header=BB176_3 Depth=1
	s_load_b32 s24, s[2:3], 0x4
	v_mov_b32_e32 v2, v1
	s_lshl_b64 s[18:19], s[12:13], 2
	s_mov_b32 s25, 0
	s_waitcnt lgkmcnt(0)
	s_mul_i32 s24, s24, s1
	s_branch .LBB176_6
.LBB176_5:                              ;   in Loop: Header=BB176_6 Depth=2
	v_add_nc_u32_e32 v2, s24, v2
	s_delay_alu instid0(VALU_DEP_1) | instskip(SKIP_1) | instid1(SALU_CYCLE_1)
	v_cmp_le_u32_e32 vcc_lo, s5, v2
	s_or_b32 s25, vcc_lo, s25
	s_and_not1_b32 exec_lo, exec_lo, s25
	s_cbranch_execz .LBB176_2
.LBB176_6:                              ;   Parent Loop BB176_3 Depth=1
                                        ; =>  This Loop Header: Depth=2
                                        ;       Child Loop BB176_9 Depth 3
	s_and_not1_b32 vcc_lo, exec_lo, s21
	s_cbranch_vccnz .LBB176_5
; %bb.7:                                ;   in Loop: Header=BB176_6 Depth=2
	v_lshlrev_b64 v[4:5], 2, v[2:3]
	v_mov_b32_e32 v6, s7
	s_mov_b32 s26, s6
	s_delay_alu instid0(VALU_DEP_2) | instskip(NEXT) | instid1(VALU_DEP_3)
	v_add_co_u32 v0, vcc_lo, s18, v4
	v_add_co_ci_u32_e32 v4, vcc_lo, s19, v5, vcc_lo
	s_branch .LBB176_9
.LBB176_8:                              ;   in Loop: Header=BB176_9 Depth=3
	s_or_b32 exec_lo, exec_lo, s27
	v_add_co_u32 v7, vcc_lo, s8, v0
	v_add_co_ci_u32_e32 v8, vcc_lo, s9, v4, vcc_lo
	v_add_co_u32 v0, vcc_lo, v0, s16
	v_add_co_ci_u32_e32 v4, vcc_lo, s17, v4, vcc_lo
	s_add_i32 s26, s26, -1
	global_store_b32 v[7:8], v6, off
	s_cmp_eq_u32 s26, 0
	s_cbranch_scc1 .LBB176_5
.LBB176_9:                              ;   Parent Loop BB176_3 Depth=1
                                        ;     Parent Loop BB176_6 Depth=2
                                        ; =>    This Inner Loop Header: Depth=3
	s_delay_alu instid0(VALU_DEP_2) | instskip(NEXT) | instid1(VALU_DEP_2)
	v_add_co_u32 v7, vcc_lo, s10, v0
	v_add_co_ci_u32_e32 v8, vcc_lo, s11, v4, vcc_lo
	v_cmp_u_f32_e32 vcc_lo, v6, v6
	global_load_b32 v5, v[7:8], off
	s_waitcnt vmcnt(0)
	v_dual_max_f32 v7, v6, v6 :: v_dual_max_f32 v8, v5, v5
	s_delay_alu instid0(VALU_DEP_1) | instskip(NEXT) | instid1(VALU_DEP_1)
	v_min_f32_e32 v9, v7, v8
	v_dual_max_f32 v7, v7, v8 :: v_dual_cndmask_b32 v8, v9, v6
	s_delay_alu instid0(VALU_DEP_1) | instskip(SKIP_1) | instid1(VALU_DEP_3)
	v_cndmask_b32_e32 v9, v7, v6, vcc_lo
	v_cmp_u_f32_e32 vcc_lo, v5, v5
	v_cndmask_b32_e32 v7, v8, v5, vcc_lo
	s_delay_alu instid0(VALU_DEP_3) | instskip(NEXT) | instid1(VALU_DEP_2)
	v_cndmask_b32_e32 v5, v9, v5, vcc_lo
	v_cmp_class_f32_e64 s27, v7, 0x1f8
	s_delay_alu instid0(VALU_DEP_2) | instskip(NEXT) | instid1(VALU_DEP_2)
	v_cmp_neq_f32_e32 vcc_lo, v7, v5
	s_or_b32 s28, vcc_lo, s27
	s_delay_alu instid0(SALU_CYCLE_1)
	s_and_saveexec_b32 s27, s28
	s_cbranch_execz .LBB176_8
; %bb.10:                               ;   in Loop: Header=BB176_9 Depth=3
	v_sub_f32_e32 v6, v7, v5
	s_delay_alu instid0(VALU_DEP_1) | instskip(SKIP_1) | instid1(VALU_DEP_2)
	v_mul_f32_e32 v7, 0x3fb8aa3b, v6
	v_cmp_ngt_f32_e32 vcc_lo, 0xc2ce8ed0, v6
	v_fma_f32 v8, 0x3fb8aa3b, v6, -v7
	v_rndne_f32_e32 v9, v7
	s_delay_alu instid0(VALU_DEP_1) | instskip(NEXT) | instid1(VALU_DEP_1)
	v_dual_fmac_f32 v8, 0x32a5705f, v6 :: v_dual_sub_f32 v7, v7, v9
	v_add_f32_e32 v7, v7, v8
	v_cvt_i32_f32_e32 v8, v9
	s_delay_alu instid0(VALU_DEP_2) | instskip(SKIP_2) | instid1(VALU_DEP_1)
	v_exp_f32_e32 v7, v7
	s_waitcnt_depctr 0xfff
	v_ldexp_f32 v7, v7, v8
	v_cndmask_b32_e32 v7, 0, v7, vcc_lo
	v_cmp_nlt_f32_e32 vcc_lo, 0x42b17218, v6
	s_delay_alu instid0(VALU_DEP_2) | instskip(NEXT) | instid1(VALU_DEP_1)
	v_cndmask_b32_e32 v8, 0x7f800000, v7, vcc_lo
	v_add_f32_e32 v9, 1.0, v8
	s_delay_alu instid0(VALU_DEP_1) | instskip(NEXT) | instid1(VALU_DEP_1)
	v_cvt_f64_f32_e32 v[6:7], v9
	v_frexp_exp_i32_f64_e32 v6, v[6:7]
	v_frexp_mant_f32_e32 v7, v9
	s_delay_alu instid0(VALU_DEP_1) | instskip(SKIP_2) | instid1(VALU_DEP_2)
	v_cmp_gt_f32_e32 vcc_lo, 0x3f2aaaab, v7
	v_add_f32_e32 v7, -1.0, v9
	v_cmp_gt_f32_e64 s28, 0x33800000, |v8|
	v_sub_f32_e32 v11, v7, v9
	v_sub_f32_e32 v7, v8, v7
	v_subrev_co_ci_u32_e32 v6, vcc_lo, 0, v6, vcc_lo
	v_cmp_eq_f32_e32 vcc_lo, 0x7f800000, v8
	s_delay_alu instid0(VALU_DEP_2) | instskip(SKIP_2) | instid1(VALU_DEP_2)
	v_sub_nc_u32_e32 v10, 0, v6
	v_cvt_f32_i32_e32 v6, v6
	s_or_b32 vcc_lo, vcc_lo, s28
	v_ldexp_f32 v9, v9, v10
	s_delay_alu instid0(VALU_DEP_1) | instskip(NEXT) | instid1(VALU_DEP_1)
	v_dual_add_f32 v12, 1.0, v9 :: v_dual_add_f32 v11, 1.0, v11
	v_add_f32_e32 v7, v7, v11
	s_delay_alu instid0(VALU_DEP_2) | instskip(NEXT) | instid1(VALU_DEP_2)
	v_add_f32_e32 v11, -1.0, v12
	v_ldexp_f32 v7, v7, v10
	s_delay_alu instid0(VALU_DEP_2) | instskip(NEXT) | instid1(VALU_DEP_1)
	v_dual_add_f32 v10, -1.0, v9 :: v_dual_sub_f32 v11, v9, v11
	v_add_f32_e32 v13, 1.0, v10
	s_delay_alu instid0(VALU_DEP_2) | instskip(NEXT) | instid1(VALU_DEP_2)
	v_add_f32_e32 v11, v7, v11
	v_sub_f32_e32 v9, v9, v13
	s_delay_alu instid0(VALU_DEP_2) | instskip(NEXT) | instid1(VALU_DEP_2)
	v_add_f32_e32 v13, v12, v11
	v_add_f32_e32 v7, v7, v9
	s_delay_alu instid0(VALU_DEP_2) | instskip(SKIP_1) | instid1(VALU_DEP_1)
	v_rcp_f32_e32 v9, v13
	v_sub_f32_e32 v12, v12, v13
	v_dual_add_f32 v14, v10, v7 :: v_dual_add_f32 v11, v11, v12
	s_delay_alu instid0(VALU_DEP_1) | instskip(SKIP_2) | instid1(VALU_DEP_1)
	v_sub_f32_e32 v10, v10, v14
	s_waitcnt_depctr 0xfff
	v_mul_f32_e32 v15, v14, v9
	v_dual_add_f32 v7, v7, v10 :: v_dual_mul_f32 v16, v13, v15
	s_delay_alu instid0(VALU_DEP_1) | instskip(NEXT) | instid1(VALU_DEP_1)
	v_fma_f32 v12, v15, v13, -v16
	v_fmac_f32_e32 v12, v15, v11
	s_delay_alu instid0(VALU_DEP_1) | instskip(NEXT) | instid1(VALU_DEP_1)
	v_add_f32_e32 v17, v16, v12
	v_sub_f32_e32 v18, v14, v17
	v_sub_f32_e32 v10, v17, v16
	s_delay_alu instid0(VALU_DEP_2) | instskip(NEXT) | instid1(VALU_DEP_2)
	v_sub_f32_e32 v14, v14, v18
	v_sub_f32_e32 v10, v10, v12
	s_delay_alu instid0(VALU_DEP_2) | instskip(NEXT) | instid1(VALU_DEP_1)
	v_sub_f32_e32 v14, v14, v17
	v_add_f32_e32 v7, v7, v14
	s_delay_alu instid0(VALU_DEP_1) | instskip(NEXT) | instid1(VALU_DEP_1)
	v_add_f32_e32 v7, v10, v7
	v_add_f32_e32 v10, v18, v7
	s_delay_alu instid0(VALU_DEP_1) | instskip(NEXT) | instid1(VALU_DEP_1)
	v_mul_f32_e32 v12, v9, v10
	v_dual_sub_f32 v17, v18, v10 :: v_dual_mul_f32 v14, v13, v12
	s_delay_alu instid0(VALU_DEP_1) | instskip(NEXT) | instid1(VALU_DEP_2)
	v_add_f32_e32 v7, v7, v17
	v_fma_f32 v13, v12, v13, -v14
	s_delay_alu instid0(VALU_DEP_1) | instskip(NEXT) | instid1(VALU_DEP_1)
	v_fmac_f32_e32 v13, v12, v11
	v_add_f32_e32 v11, v14, v13
	s_delay_alu instid0(VALU_DEP_1) | instskip(SKIP_1) | instid1(VALU_DEP_2)
	v_sub_f32_e32 v16, v10, v11
	v_sub_f32_e32 v14, v11, v14
	;; [unrolled: 1-line block ×3, first 2 shown]
	s_delay_alu instid0(VALU_DEP_1) | instskip(NEXT) | instid1(VALU_DEP_3)
	v_sub_f32_e32 v10, v10, v11
	v_sub_f32_e32 v11, v14, v13
	s_delay_alu instid0(VALU_DEP_2) | instskip(SKIP_1) | instid1(VALU_DEP_2)
	v_add_f32_e32 v7, v7, v10
	v_add_f32_e32 v10, v15, v12
	;; [unrolled: 1-line block ×3, first 2 shown]
	s_delay_alu instid0(VALU_DEP_2) | instskip(NEXT) | instid1(VALU_DEP_2)
	v_sub_f32_e32 v11, v10, v15
	v_add_f32_e32 v7, v16, v7
	s_delay_alu instid0(VALU_DEP_2) | instskip(NEXT) | instid1(VALU_DEP_2)
	v_sub_f32_e32 v11, v12, v11
	v_mul_f32_e32 v7, v9, v7
	s_delay_alu instid0(VALU_DEP_1) | instskip(NEXT) | instid1(VALU_DEP_1)
	v_add_f32_e32 v7, v11, v7
	v_add_f32_e32 v9, v10, v7
	s_delay_alu instid0(VALU_DEP_1) | instskip(NEXT) | instid1(VALU_DEP_1)
	v_mul_f32_e32 v11, v9, v9
	v_fmaak_f32 v12, s22, v11, 0x3ecc95a3
	v_mul_f32_e32 v13, v9, v11
	s_delay_alu instid0(VALU_DEP_2) | instskip(SKIP_2) | instid1(VALU_DEP_3)
	v_fmaak_f32 v11, v11, v12, 0x3f2aaada
	v_ldexp_f32 v12, v9, 1
	v_sub_f32_e32 v9, v9, v10
	v_mul_f32_e32 v11, v13, v11
	v_mul_f32_e32 v13, 0x3f317218, v6
	s_delay_alu instid0(VALU_DEP_2) | instskip(NEXT) | instid1(VALU_DEP_1)
	v_dual_sub_f32 v7, v7, v9 :: v_dual_add_f32 v10, v12, v11
	v_ldexp_f32 v7, v7, 1
	s_delay_alu instid0(VALU_DEP_2) | instskip(NEXT) | instid1(VALU_DEP_4)
	v_sub_f32_e32 v9, v10, v12
	v_fma_f32 v12, 0x3f317218, v6, -v13
	s_delay_alu instid0(VALU_DEP_1) | instskip(NEXT) | instid1(VALU_DEP_1)
	v_dual_sub_f32 v9, v11, v9 :: v_dual_fmac_f32 v12, 0xb102e308, v6
	v_dual_add_f32 v6, v7, v9 :: v_dual_add_f32 v7, v13, v12
	s_delay_alu instid0(VALU_DEP_1) | instskip(NEXT) | instid1(VALU_DEP_2)
	v_add_f32_e32 v9, v10, v6
	v_sub_f32_e32 v13, v7, v13
	s_delay_alu instid0(VALU_DEP_2) | instskip(NEXT) | instid1(VALU_DEP_2)
	v_dual_add_f32 v11, v7, v9 :: v_dual_sub_f32 v10, v9, v10
	v_sub_f32_e32 v12, v12, v13
	s_delay_alu instid0(VALU_DEP_2) | instskip(NEXT) | instid1(VALU_DEP_3)
	v_sub_f32_e32 v14, v11, v7
	v_sub_f32_e32 v6, v6, v10
	s_delay_alu instid0(VALU_DEP_2) | instskip(SKIP_1) | instid1(VALU_DEP_2)
	v_sub_f32_e32 v15, v11, v14
	v_sub_f32_e32 v9, v9, v14
	v_dual_add_f32 v10, v12, v6 :: v_dual_sub_f32 v7, v7, v15
	s_delay_alu instid0(VALU_DEP_1) | instskip(NEXT) | instid1(VALU_DEP_2)
	v_add_f32_e32 v7, v9, v7
	v_sub_f32_e32 v9, v10, v12
	s_delay_alu instid0(VALU_DEP_2) | instskip(NEXT) | instid1(VALU_DEP_2)
	v_add_f32_e32 v7, v10, v7
	v_sub_f32_e32 v10, v10, v9
	s_delay_alu instid0(VALU_DEP_2) | instskip(NEXT) | instid1(VALU_DEP_1)
	v_dual_sub_f32 v6, v6, v9 :: v_dual_add_f32 v13, v11, v7
	v_dual_sub_f32 v10, v12, v10 :: v_dual_sub_f32 v9, v13, v11
	s_delay_alu instid0(VALU_DEP_1) | instskip(NEXT) | instid1(VALU_DEP_1)
	v_dual_add_f32 v6, v6, v10 :: v_dual_sub_f32 v7, v7, v9
	v_add_f32_e32 v6, v6, v7
	s_delay_alu instid0(VALU_DEP_1) | instskip(NEXT) | instid1(VALU_DEP_1)
	v_add_f32_e32 v6, v13, v6
	v_cndmask_b32_e32 v6, v6, v8, vcc_lo
	s_delay_alu instid0(VALU_DEP_1)
	v_add_f32_e32 v6, v5, v6
	s_branch .LBB176_8
.LBB176_11:
	s_nop 0
	s_sendmsg sendmsg(MSG_DEALLOC_VGPRS)
	s_endpgm
	.section	.rodata,"a",@progbits
	.p2align	6, 0x0
	.amdhsa_kernel _ZN2at6native28tensor_kernel_scan_outer_dimIfjZZZNS0_31launch_logcumsumexp_cuda_kernelERKNS_10TensorBaseES4_lENKUlvE_clEvENKUlvE0_clEvEUlffE_EEvPT_PKS8_jjjS8_T1_
		.amdhsa_group_segment_fixed_size 0
		.amdhsa_private_segment_fixed_size 0
		.amdhsa_kernarg_size 296
		.amdhsa_user_sgpr_count 14
		.amdhsa_user_sgpr_dispatch_ptr 0
		.amdhsa_user_sgpr_queue_ptr 0
		.amdhsa_user_sgpr_kernarg_segment_ptr 1
		.amdhsa_user_sgpr_dispatch_id 0
		.amdhsa_user_sgpr_private_segment_size 0
		.amdhsa_wavefront_size32 1
		.amdhsa_uses_dynamic_stack 0
		.amdhsa_enable_private_segment 0
		.amdhsa_system_sgpr_workgroup_id_x 1
		.amdhsa_system_sgpr_workgroup_id_y 1
		.amdhsa_system_sgpr_workgroup_id_z 0
		.amdhsa_system_sgpr_workgroup_info 0
		.amdhsa_system_vgpr_workitem_id 0
		.amdhsa_next_free_vgpr 19
		.amdhsa_next_free_sgpr 29
		.amdhsa_reserve_vcc 1
		.amdhsa_float_round_mode_32 0
		.amdhsa_float_round_mode_16_64 0
		.amdhsa_float_denorm_mode_32 3
		.amdhsa_float_denorm_mode_16_64 3
		.amdhsa_dx10_clamp 1
		.amdhsa_ieee_mode 1
		.amdhsa_fp16_overflow 0
		.amdhsa_workgroup_processor_mode 1
		.amdhsa_memory_ordered 1
		.amdhsa_forward_progress 0
		.amdhsa_shared_vgpr_count 0
		.amdhsa_exception_fp_ieee_invalid_op 0
		.amdhsa_exception_fp_denorm_src 0
		.amdhsa_exception_fp_ieee_div_zero 0
		.amdhsa_exception_fp_ieee_overflow 0
		.amdhsa_exception_fp_ieee_underflow 0
		.amdhsa_exception_fp_ieee_inexact 0
		.amdhsa_exception_int_div_zero 0
	.end_amdhsa_kernel
	.section	.text._ZN2at6native28tensor_kernel_scan_outer_dimIfjZZZNS0_31launch_logcumsumexp_cuda_kernelERKNS_10TensorBaseES4_lENKUlvE_clEvENKUlvE0_clEvEUlffE_EEvPT_PKS8_jjjS8_T1_,"axG",@progbits,_ZN2at6native28tensor_kernel_scan_outer_dimIfjZZZNS0_31launch_logcumsumexp_cuda_kernelERKNS_10TensorBaseES4_lENKUlvE_clEvENKUlvE0_clEvEUlffE_EEvPT_PKS8_jjjS8_T1_,comdat
.Lfunc_end176:
	.size	_ZN2at6native28tensor_kernel_scan_outer_dimIfjZZZNS0_31launch_logcumsumexp_cuda_kernelERKNS_10TensorBaseES4_lENKUlvE_clEvENKUlvE0_clEvEUlffE_EEvPT_PKS8_jjjS8_T1_, .Lfunc_end176-_ZN2at6native28tensor_kernel_scan_outer_dimIfjZZZNS0_31launch_logcumsumexp_cuda_kernelERKNS_10TensorBaseES4_lENKUlvE_clEvENKUlvE0_clEvEUlffE_EEvPT_PKS8_jjjS8_T1_
                                        ; -- End function
	.section	.AMDGPU.csdata,"",@progbits
; Kernel info:
; codeLenInByte = 1224
; NumSgprs: 31
; NumVgprs: 19
; ScratchSize: 0
; MemoryBound: 0
; FloatMode: 240
; IeeeMode: 1
; LDSByteSize: 0 bytes/workgroup (compile time only)
; SGPRBlocks: 3
; VGPRBlocks: 2
; NumSGPRsForWavesPerEU: 31
; NumVGPRsForWavesPerEU: 19
; Occupancy: 16
; WaveLimiterHint : 0
; COMPUTE_PGM_RSRC2:SCRATCH_EN: 0
; COMPUTE_PGM_RSRC2:USER_SGPR: 14
; COMPUTE_PGM_RSRC2:TRAP_HANDLER: 0
; COMPUTE_PGM_RSRC2:TGID_X_EN: 1
; COMPUTE_PGM_RSRC2:TGID_Y_EN: 1
; COMPUTE_PGM_RSRC2:TGID_Z_EN: 0
; COMPUTE_PGM_RSRC2:TIDIG_COMP_CNT: 0
	.section	.text._ZN2at6native28tensor_kernel_scan_outer_dimIfmZZZNS0_31launch_logcumsumexp_cuda_kernelERKNS_10TensorBaseES4_lENKUlvE_clEvENKUlvE0_clEvEUlffE_EEvPT_PKS8_jjjS8_T1_,"axG",@progbits,_ZN2at6native28tensor_kernel_scan_outer_dimIfmZZZNS0_31launch_logcumsumexp_cuda_kernelERKNS_10TensorBaseES4_lENKUlvE_clEvENKUlvE0_clEvEUlffE_EEvPT_PKS8_jjjS8_T1_,comdat
	.globl	_ZN2at6native28tensor_kernel_scan_outer_dimIfmZZZNS0_31launch_logcumsumexp_cuda_kernelERKNS_10TensorBaseES4_lENKUlvE_clEvENKUlvE0_clEvEUlffE_EEvPT_PKS8_jjjS8_T1_ ; -- Begin function _ZN2at6native28tensor_kernel_scan_outer_dimIfmZZZNS0_31launch_logcumsumexp_cuda_kernelERKNS_10TensorBaseES4_lENKUlvE_clEvENKUlvE0_clEvEUlffE_EEvPT_PKS8_jjjS8_T1_
	.p2align	8
	.type	_ZN2at6native28tensor_kernel_scan_outer_dimIfmZZZNS0_31launch_logcumsumexp_cuda_kernelERKNS_10TensorBaseES4_lENKUlvE_clEvENKUlvE0_clEvEUlffE_EEvPT_PKS8_jjjS8_T1_,@function
_ZN2at6native28tensor_kernel_scan_outer_dimIfmZZZNS0_31launch_logcumsumexp_cuda_kernelERKNS_10TensorBaseES4_lENKUlvE_clEvENKUlvE0_clEvEUlffE_EEvPT_PKS8_jjjS8_T1_: ; @_ZN2at6native28tensor_kernel_scan_outer_dimIfmZZZNS0_31launch_logcumsumexp_cuda_kernelERKNS_10TensorBaseES4_lENKUlvE_clEvENKUlvE0_clEvEUlffE_EEvPT_PKS8_jjjS8_T1_
; %bb.0:
	s_load_b128 s[4:7], s[0:1], 0x10
	s_waitcnt lgkmcnt(0)
	s_cmp_ge_u32 s14, s4
	s_cbranch_scc1 .LBB177_11
; %bb.1:
	s_clause 0x2
	s_load_b32 s12, s[0:1], 0x34
	s_load_b128 s[8:11], s[0:1], 0x0
	s_load_b32 s18, s[0:1], 0x28
	s_add_u32 s2, s0, 40
	s_addc_u32 s3, s1, 0
	v_mov_b32_e32 v3, 0
	s_mov_b32 s17, 0
	s_mov_b32 s16, s5
	s_mul_hi_u32 s13, s6, s5
	s_mov_b32 s19, 0x3e9b6dac
	s_waitcnt lgkmcnt(0)
	s_and_b32 s1, s12, 0xffff
	s_cmp_lg_u32 s6, 0
	v_mad_u64_u32 v[1:2], null, s15, s1, v[0:1]
	s_mul_i32 s12, s6, s5
	s_cselect_b32 s15, -1, 0
	s_lshl_b64 s[12:13], s[12:13], 2
	s_lshl_b64 s[16:17], s[16:17], 2
	s_delay_alu instid0(VALU_DEP_1)
	v_cmp_gt_u32_e64 s0, s5, v1
	s_branch .LBB177_3
.LBB177_2:                              ;   in Loop: Header=BB177_3 Depth=1
	s_or_b32 exec_lo, exec_lo, s20
	s_add_i32 s14, s14, s18
	s_delay_alu instid0(SALU_CYCLE_1)
	s_cmp_ge_u32 s14, s4
	s_cbranch_scc1 .LBB177_11
.LBB177_3:                              ; =>This Loop Header: Depth=1
                                        ;     Child Loop BB177_6 Depth 2
                                        ;       Child Loop BB177_9 Depth 3
	s_delay_alu instid0(VALU_DEP_1)
	s_and_saveexec_b32 s20, s0
	s_cbranch_execz .LBB177_2
; %bb.4:                                ;   in Loop: Header=BB177_3 Depth=1
	s_load_b32 s23, s[2:3], 0x4
	v_mov_b32_e32 v2, v1
	s_mul_i32 s22, s13, s14
	s_mul_hi_u32 s24, s12, s14
	s_mul_i32 s21, s12, s14
	s_add_i32 s22, s24, s22
	s_mov_b32 s24, 0
	s_waitcnt lgkmcnt(0)
	s_mul_i32 s23, s23, s1
	s_branch .LBB177_6
.LBB177_5:                              ;   in Loop: Header=BB177_6 Depth=2
	v_add_nc_u32_e32 v2, s23, v2
	s_delay_alu instid0(VALU_DEP_1) | instskip(SKIP_1) | instid1(SALU_CYCLE_1)
	v_cmp_le_u32_e32 vcc_lo, s5, v2
	s_or_b32 s24, vcc_lo, s24
	s_and_not1_b32 exec_lo, exec_lo, s24
	s_cbranch_execz .LBB177_2
.LBB177_6:                              ;   Parent Loop BB177_3 Depth=1
                                        ; =>  This Loop Header: Depth=2
                                        ;       Child Loop BB177_9 Depth 3
	s_and_not1_b32 vcc_lo, exec_lo, s15
	s_cbranch_vccnz .LBB177_5
; %bb.7:                                ;   in Loop: Header=BB177_6 Depth=2
	v_lshlrev_b64 v[4:5], 2, v[2:3]
	v_mov_b32_e32 v6, s7
	s_mov_b32 s25, s6
	s_delay_alu instid0(VALU_DEP_2) | instskip(NEXT) | instid1(VALU_DEP_3)
	v_add_co_u32 v0, vcc_lo, s21, v4
	v_add_co_ci_u32_e32 v4, vcc_lo, s22, v5, vcc_lo
	s_branch .LBB177_9
.LBB177_8:                              ;   in Loop: Header=BB177_9 Depth=3
	s_or_b32 exec_lo, exec_lo, s26
	v_add_co_u32 v7, vcc_lo, s8, v0
	v_add_co_ci_u32_e32 v8, vcc_lo, s9, v4, vcc_lo
	v_add_co_u32 v0, vcc_lo, v0, s16
	v_add_co_ci_u32_e32 v4, vcc_lo, s17, v4, vcc_lo
	s_add_i32 s25, s25, -1
	global_store_b32 v[7:8], v6, off
	s_cmp_eq_u32 s25, 0
	s_cbranch_scc1 .LBB177_5
.LBB177_9:                              ;   Parent Loop BB177_3 Depth=1
                                        ;     Parent Loop BB177_6 Depth=2
                                        ; =>    This Inner Loop Header: Depth=3
	s_delay_alu instid0(VALU_DEP_2) | instskip(NEXT) | instid1(VALU_DEP_2)
	v_add_co_u32 v7, vcc_lo, s10, v0
	v_add_co_ci_u32_e32 v8, vcc_lo, s11, v4, vcc_lo
	v_cmp_u_f32_e32 vcc_lo, v6, v6
	global_load_b32 v5, v[7:8], off
	s_waitcnt vmcnt(0)
	v_dual_max_f32 v7, v6, v6 :: v_dual_max_f32 v8, v5, v5
	s_delay_alu instid0(VALU_DEP_1) | instskip(NEXT) | instid1(VALU_DEP_1)
	v_min_f32_e32 v9, v7, v8
	v_dual_max_f32 v7, v7, v8 :: v_dual_cndmask_b32 v8, v9, v6
	s_delay_alu instid0(VALU_DEP_1) | instskip(SKIP_1) | instid1(VALU_DEP_3)
	v_cndmask_b32_e32 v9, v7, v6, vcc_lo
	v_cmp_u_f32_e32 vcc_lo, v5, v5
	v_cndmask_b32_e32 v7, v8, v5, vcc_lo
	s_delay_alu instid0(VALU_DEP_3) | instskip(NEXT) | instid1(VALU_DEP_2)
	v_cndmask_b32_e32 v5, v9, v5, vcc_lo
	v_cmp_class_f32_e64 s26, v7, 0x1f8
	s_delay_alu instid0(VALU_DEP_2) | instskip(NEXT) | instid1(VALU_DEP_2)
	v_cmp_neq_f32_e32 vcc_lo, v7, v5
	s_or_b32 s27, vcc_lo, s26
	s_delay_alu instid0(SALU_CYCLE_1)
	s_and_saveexec_b32 s26, s27
	s_cbranch_execz .LBB177_8
; %bb.10:                               ;   in Loop: Header=BB177_9 Depth=3
	v_sub_f32_e32 v6, v7, v5
	s_delay_alu instid0(VALU_DEP_1) | instskip(SKIP_1) | instid1(VALU_DEP_2)
	v_mul_f32_e32 v7, 0x3fb8aa3b, v6
	v_cmp_ngt_f32_e32 vcc_lo, 0xc2ce8ed0, v6
	v_fma_f32 v8, 0x3fb8aa3b, v6, -v7
	v_rndne_f32_e32 v9, v7
	s_delay_alu instid0(VALU_DEP_1) | instskip(NEXT) | instid1(VALU_DEP_1)
	v_dual_fmac_f32 v8, 0x32a5705f, v6 :: v_dual_sub_f32 v7, v7, v9
	v_add_f32_e32 v7, v7, v8
	v_cvt_i32_f32_e32 v8, v9
	s_delay_alu instid0(VALU_DEP_2) | instskip(SKIP_2) | instid1(VALU_DEP_1)
	v_exp_f32_e32 v7, v7
	s_waitcnt_depctr 0xfff
	v_ldexp_f32 v7, v7, v8
	v_cndmask_b32_e32 v7, 0, v7, vcc_lo
	v_cmp_nlt_f32_e32 vcc_lo, 0x42b17218, v6
	s_delay_alu instid0(VALU_DEP_2) | instskip(NEXT) | instid1(VALU_DEP_1)
	v_cndmask_b32_e32 v8, 0x7f800000, v7, vcc_lo
	v_add_f32_e32 v9, 1.0, v8
	s_delay_alu instid0(VALU_DEP_1) | instskip(NEXT) | instid1(VALU_DEP_1)
	v_cvt_f64_f32_e32 v[6:7], v9
	v_frexp_exp_i32_f64_e32 v6, v[6:7]
	v_frexp_mant_f32_e32 v7, v9
	s_delay_alu instid0(VALU_DEP_1) | instskip(SKIP_2) | instid1(VALU_DEP_2)
	v_cmp_gt_f32_e32 vcc_lo, 0x3f2aaaab, v7
	v_add_f32_e32 v7, -1.0, v9
	v_cmp_gt_f32_e64 s27, 0x33800000, |v8|
	v_sub_f32_e32 v11, v7, v9
	v_sub_f32_e32 v7, v8, v7
	v_subrev_co_ci_u32_e32 v6, vcc_lo, 0, v6, vcc_lo
	v_cmp_eq_f32_e32 vcc_lo, 0x7f800000, v8
	s_delay_alu instid0(VALU_DEP_2) | instskip(SKIP_2) | instid1(VALU_DEP_2)
	v_sub_nc_u32_e32 v10, 0, v6
	v_cvt_f32_i32_e32 v6, v6
	s_or_b32 vcc_lo, vcc_lo, s27
	v_ldexp_f32 v9, v9, v10
	s_delay_alu instid0(VALU_DEP_1) | instskip(NEXT) | instid1(VALU_DEP_1)
	v_dual_add_f32 v12, 1.0, v9 :: v_dual_add_f32 v11, 1.0, v11
	v_add_f32_e32 v7, v7, v11
	s_delay_alu instid0(VALU_DEP_2) | instskip(NEXT) | instid1(VALU_DEP_2)
	v_add_f32_e32 v11, -1.0, v12
	v_ldexp_f32 v7, v7, v10
	s_delay_alu instid0(VALU_DEP_2) | instskip(NEXT) | instid1(VALU_DEP_1)
	v_dual_add_f32 v10, -1.0, v9 :: v_dual_sub_f32 v11, v9, v11
	v_add_f32_e32 v13, 1.0, v10
	s_delay_alu instid0(VALU_DEP_2) | instskip(NEXT) | instid1(VALU_DEP_2)
	v_add_f32_e32 v11, v7, v11
	v_sub_f32_e32 v9, v9, v13
	s_delay_alu instid0(VALU_DEP_2) | instskip(NEXT) | instid1(VALU_DEP_2)
	v_add_f32_e32 v13, v12, v11
	v_add_f32_e32 v7, v7, v9
	s_delay_alu instid0(VALU_DEP_2) | instskip(SKIP_1) | instid1(VALU_DEP_1)
	v_rcp_f32_e32 v9, v13
	v_sub_f32_e32 v12, v12, v13
	v_dual_add_f32 v14, v10, v7 :: v_dual_add_f32 v11, v11, v12
	s_delay_alu instid0(VALU_DEP_1) | instskip(SKIP_2) | instid1(VALU_DEP_1)
	v_sub_f32_e32 v10, v10, v14
	s_waitcnt_depctr 0xfff
	v_mul_f32_e32 v15, v14, v9
	v_dual_add_f32 v7, v7, v10 :: v_dual_mul_f32 v16, v13, v15
	s_delay_alu instid0(VALU_DEP_1) | instskip(NEXT) | instid1(VALU_DEP_1)
	v_fma_f32 v12, v15, v13, -v16
	v_fmac_f32_e32 v12, v15, v11
	s_delay_alu instid0(VALU_DEP_1) | instskip(NEXT) | instid1(VALU_DEP_1)
	v_add_f32_e32 v17, v16, v12
	v_sub_f32_e32 v18, v14, v17
	v_sub_f32_e32 v10, v17, v16
	s_delay_alu instid0(VALU_DEP_2) | instskip(NEXT) | instid1(VALU_DEP_2)
	v_sub_f32_e32 v14, v14, v18
	v_sub_f32_e32 v10, v10, v12
	s_delay_alu instid0(VALU_DEP_2) | instskip(NEXT) | instid1(VALU_DEP_1)
	v_sub_f32_e32 v14, v14, v17
	v_add_f32_e32 v7, v7, v14
	s_delay_alu instid0(VALU_DEP_1) | instskip(NEXT) | instid1(VALU_DEP_1)
	v_add_f32_e32 v7, v10, v7
	v_add_f32_e32 v10, v18, v7
	s_delay_alu instid0(VALU_DEP_1) | instskip(NEXT) | instid1(VALU_DEP_1)
	v_mul_f32_e32 v12, v9, v10
	v_dual_sub_f32 v17, v18, v10 :: v_dual_mul_f32 v14, v13, v12
	s_delay_alu instid0(VALU_DEP_1) | instskip(NEXT) | instid1(VALU_DEP_2)
	v_add_f32_e32 v7, v7, v17
	v_fma_f32 v13, v12, v13, -v14
	s_delay_alu instid0(VALU_DEP_1) | instskip(NEXT) | instid1(VALU_DEP_1)
	v_fmac_f32_e32 v13, v12, v11
	v_add_f32_e32 v11, v14, v13
	s_delay_alu instid0(VALU_DEP_1) | instskip(SKIP_1) | instid1(VALU_DEP_2)
	v_sub_f32_e32 v16, v10, v11
	v_sub_f32_e32 v14, v11, v14
	;; [unrolled: 1-line block ×3, first 2 shown]
	s_delay_alu instid0(VALU_DEP_1) | instskip(NEXT) | instid1(VALU_DEP_3)
	v_sub_f32_e32 v10, v10, v11
	v_sub_f32_e32 v11, v14, v13
	s_delay_alu instid0(VALU_DEP_2) | instskip(SKIP_1) | instid1(VALU_DEP_2)
	v_add_f32_e32 v7, v7, v10
	v_add_f32_e32 v10, v15, v12
	;; [unrolled: 1-line block ×3, first 2 shown]
	s_delay_alu instid0(VALU_DEP_2) | instskip(NEXT) | instid1(VALU_DEP_2)
	v_sub_f32_e32 v11, v10, v15
	v_add_f32_e32 v7, v16, v7
	s_delay_alu instid0(VALU_DEP_2) | instskip(NEXT) | instid1(VALU_DEP_2)
	v_sub_f32_e32 v11, v12, v11
	v_mul_f32_e32 v7, v9, v7
	s_delay_alu instid0(VALU_DEP_1) | instskip(NEXT) | instid1(VALU_DEP_1)
	v_add_f32_e32 v7, v11, v7
	v_add_f32_e32 v9, v10, v7
	s_delay_alu instid0(VALU_DEP_1) | instskip(NEXT) | instid1(VALU_DEP_1)
	v_mul_f32_e32 v11, v9, v9
	v_fmaak_f32 v12, s19, v11, 0x3ecc95a3
	v_mul_f32_e32 v13, v9, v11
	s_delay_alu instid0(VALU_DEP_2) | instskip(SKIP_2) | instid1(VALU_DEP_3)
	v_fmaak_f32 v11, v11, v12, 0x3f2aaada
	v_ldexp_f32 v12, v9, 1
	v_sub_f32_e32 v9, v9, v10
	v_mul_f32_e32 v11, v13, v11
	v_mul_f32_e32 v13, 0x3f317218, v6
	s_delay_alu instid0(VALU_DEP_2) | instskip(NEXT) | instid1(VALU_DEP_1)
	v_dual_sub_f32 v7, v7, v9 :: v_dual_add_f32 v10, v12, v11
	v_ldexp_f32 v7, v7, 1
	s_delay_alu instid0(VALU_DEP_2) | instskip(NEXT) | instid1(VALU_DEP_4)
	v_sub_f32_e32 v9, v10, v12
	v_fma_f32 v12, 0x3f317218, v6, -v13
	s_delay_alu instid0(VALU_DEP_1) | instskip(NEXT) | instid1(VALU_DEP_1)
	v_dual_sub_f32 v9, v11, v9 :: v_dual_fmac_f32 v12, 0xb102e308, v6
	v_dual_add_f32 v6, v7, v9 :: v_dual_add_f32 v7, v13, v12
	s_delay_alu instid0(VALU_DEP_1) | instskip(NEXT) | instid1(VALU_DEP_2)
	v_add_f32_e32 v9, v10, v6
	v_sub_f32_e32 v13, v7, v13
	s_delay_alu instid0(VALU_DEP_2) | instskip(NEXT) | instid1(VALU_DEP_2)
	v_dual_add_f32 v11, v7, v9 :: v_dual_sub_f32 v10, v9, v10
	v_sub_f32_e32 v12, v12, v13
	s_delay_alu instid0(VALU_DEP_2) | instskip(NEXT) | instid1(VALU_DEP_3)
	v_sub_f32_e32 v14, v11, v7
	v_sub_f32_e32 v6, v6, v10
	s_delay_alu instid0(VALU_DEP_2) | instskip(SKIP_1) | instid1(VALU_DEP_2)
	v_sub_f32_e32 v15, v11, v14
	v_sub_f32_e32 v9, v9, v14
	v_dual_add_f32 v10, v12, v6 :: v_dual_sub_f32 v7, v7, v15
	s_delay_alu instid0(VALU_DEP_1) | instskip(NEXT) | instid1(VALU_DEP_2)
	v_add_f32_e32 v7, v9, v7
	v_sub_f32_e32 v9, v10, v12
	s_delay_alu instid0(VALU_DEP_2) | instskip(NEXT) | instid1(VALU_DEP_2)
	v_add_f32_e32 v7, v10, v7
	v_sub_f32_e32 v10, v10, v9
	s_delay_alu instid0(VALU_DEP_2) | instskip(NEXT) | instid1(VALU_DEP_1)
	v_dual_sub_f32 v6, v6, v9 :: v_dual_add_f32 v13, v11, v7
	v_dual_sub_f32 v10, v12, v10 :: v_dual_sub_f32 v9, v13, v11
	s_delay_alu instid0(VALU_DEP_1) | instskip(NEXT) | instid1(VALU_DEP_1)
	v_dual_add_f32 v6, v6, v10 :: v_dual_sub_f32 v7, v7, v9
	v_add_f32_e32 v6, v6, v7
	s_delay_alu instid0(VALU_DEP_1) | instskip(NEXT) | instid1(VALU_DEP_1)
	v_add_f32_e32 v6, v13, v6
	v_cndmask_b32_e32 v6, v6, v8, vcc_lo
	s_delay_alu instid0(VALU_DEP_1)
	v_add_f32_e32 v6, v5, v6
	s_branch .LBB177_8
.LBB177_11:
	s_nop 0
	s_sendmsg sendmsg(MSG_DEALLOC_VGPRS)
	s_endpgm
	.section	.rodata,"a",@progbits
	.p2align	6, 0x0
	.amdhsa_kernel _ZN2at6native28tensor_kernel_scan_outer_dimIfmZZZNS0_31launch_logcumsumexp_cuda_kernelERKNS_10TensorBaseES4_lENKUlvE_clEvENKUlvE0_clEvEUlffE_EEvPT_PKS8_jjjS8_T1_
		.amdhsa_group_segment_fixed_size 0
		.amdhsa_private_segment_fixed_size 0
		.amdhsa_kernarg_size 296
		.amdhsa_user_sgpr_count 14
		.amdhsa_user_sgpr_dispatch_ptr 0
		.amdhsa_user_sgpr_queue_ptr 0
		.amdhsa_user_sgpr_kernarg_segment_ptr 1
		.amdhsa_user_sgpr_dispatch_id 0
		.amdhsa_user_sgpr_private_segment_size 0
		.amdhsa_wavefront_size32 1
		.amdhsa_uses_dynamic_stack 0
		.amdhsa_enable_private_segment 0
		.amdhsa_system_sgpr_workgroup_id_x 1
		.amdhsa_system_sgpr_workgroup_id_y 1
		.amdhsa_system_sgpr_workgroup_id_z 0
		.amdhsa_system_sgpr_workgroup_info 0
		.amdhsa_system_vgpr_workitem_id 0
		.amdhsa_next_free_vgpr 19
		.amdhsa_next_free_sgpr 28
		.amdhsa_reserve_vcc 1
		.amdhsa_float_round_mode_32 0
		.amdhsa_float_round_mode_16_64 0
		.amdhsa_float_denorm_mode_32 3
		.amdhsa_float_denorm_mode_16_64 3
		.amdhsa_dx10_clamp 1
		.amdhsa_ieee_mode 1
		.amdhsa_fp16_overflow 0
		.amdhsa_workgroup_processor_mode 1
		.amdhsa_memory_ordered 1
		.amdhsa_forward_progress 0
		.amdhsa_shared_vgpr_count 0
		.amdhsa_exception_fp_ieee_invalid_op 0
		.amdhsa_exception_fp_denorm_src 0
		.amdhsa_exception_fp_ieee_div_zero 0
		.amdhsa_exception_fp_ieee_overflow 0
		.amdhsa_exception_fp_ieee_underflow 0
		.amdhsa_exception_fp_ieee_inexact 0
		.amdhsa_exception_int_div_zero 0
	.end_amdhsa_kernel
	.section	.text._ZN2at6native28tensor_kernel_scan_outer_dimIfmZZZNS0_31launch_logcumsumexp_cuda_kernelERKNS_10TensorBaseES4_lENKUlvE_clEvENKUlvE0_clEvEUlffE_EEvPT_PKS8_jjjS8_T1_,"axG",@progbits,_ZN2at6native28tensor_kernel_scan_outer_dimIfmZZZNS0_31launch_logcumsumexp_cuda_kernelERKNS_10TensorBaseES4_lENKUlvE_clEvENKUlvE0_clEvEUlffE_EEvPT_PKS8_jjjS8_T1_,comdat
.Lfunc_end177:
	.size	_ZN2at6native28tensor_kernel_scan_outer_dimIfmZZZNS0_31launch_logcumsumexp_cuda_kernelERKNS_10TensorBaseES4_lENKUlvE_clEvENKUlvE0_clEvEUlffE_EEvPT_PKS8_jjjS8_T1_, .Lfunc_end177-_ZN2at6native28tensor_kernel_scan_outer_dimIfmZZZNS0_31launch_logcumsumexp_cuda_kernelERKNS_10TensorBaseES4_lENKUlvE_clEvENKUlvE0_clEvEUlffE_EEvPT_PKS8_jjjS8_T1_
                                        ; -- End function
	.section	.AMDGPU.csdata,"",@progbits
; Kernel info:
; codeLenInByte = 1228
; NumSgprs: 30
; NumVgprs: 19
; ScratchSize: 0
; MemoryBound: 0
; FloatMode: 240
; IeeeMode: 1
; LDSByteSize: 0 bytes/workgroup (compile time only)
; SGPRBlocks: 3
; VGPRBlocks: 2
; NumSGPRsForWavesPerEU: 30
; NumVGPRsForWavesPerEU: 19
; Occupancy: 16
; WaveLimiterHint : 0
; COMPUTE_PGM_RSRC2:SCRATCH_EN: 0
; COMPUTE_PGM_RSRC2:USER_SGPR: 14
; COMPUTE_PGM_RSRC2:TRAP_HANDLER: 0
; COMPUTE_PGM_RSRC2:TGID_X_EN: 1
; COMPUTE_PGM_RSRC2:TGID_Y_EN: 1
; COMPUTE_PGM_RSRC2:TGID_Z_EN: 0
; COMPUTE_PGM_RSRC2:TIDIG_COMP_CNT: 0
	.section	.text._ZN7rocprim17ROCPRIM_400000_NS6detail31init_lookback_scan_state_kernelINS1_19lookback_scan_stateIN3c107complexIdEELb0ELb0EEENS1_16block_id_wrapperIjLb0EEEEEvT_jT0_jPNSA_10value_typeE,"axG",@progbits,_ZN7rocprim17ROCPRIM_400000_NS6detail31init_lookback_scan_state_kernelINS1_19lookback_scan_stateIN3c107complexIdEELb0ELb0EEENS1_16block_id_wrapperIjLb0EEEEEvT_jT0_jPNSA_10value_typeE,comdat
	.protected	_ZN7rocprim17ROCPRIM_400000_NS6detail31init_lookback_scan_state_kernelINS1_19lookback_scan_stateIN3c107complexIdEELb0ELb0EEENS1_16block_id_wrapperIjLb0EEEEEvT_jT0_jPNSA_10value_typeE ; -- Begin function _ZN7rocprim17ROCPRIM_400000_NS6detail31init_lookback_scan_state_kernelINS1_19lookback_scan_stateIN3c107complexIdEELb0ELb0EEENS1_16block_id_wrapperIjLb0EEEEEvT_jT0_jPNSA_10value_typeE
	.globl	_ZN7rocprim17ROCPRIM_400000_NS6detail31init_lookback_scan_state_kernelINS1_19lookback_scan_stateIN3c107complexIdEELb0ELb0EEENS1_16block_id_wrapperIjLb0EEEEEvT_jT0_jPNSA_10value_typeE
	.p2align	8
	.type	_ZN7rocprim17ROCPRIM_400000_NS6detail31init_lookback_scan_state_kernelINS1_19lookback_scan_stateIN3c107complexIdEELb0ELb0EEENS1_16block_id_wrapperIjLb0EEEEEvT_jT0_jPNSA_10value_typeE,@function
_ZN7rocprim17ROCPRIM_400000_NS6detail31init_lookback_scan_state_kernelINS1_19lookback_scan_stateIN3c107complexIdEELb0ELb0EEENS1_16block_id_wrapperIjLb0EEEEEvT_jT0_jPNSA_10value_typeE: ; @_ZN7rocprim17ROCPRIM_400000_NS6detail31init_lookback_scan_state_kernelINS1_19lookback_scan_stateIN3c107complexIdEELb0ELb0EEENS1_16block_id_wrapperIjLb0EEEEEvT_jT0_jPNSA_10value_typeE
; %bb.0:
	s_clause 0x3
	s_load_b32 s2, s[0:1], 0x3c
	s_load_b64 s[6:7], s[0:1], 0x28
	s_load_b64 s[4:5], s[0:1], 0x10
	s_load_b32 s12, s[0:1], 0x18
	s_waitcnt lgkmcnt(0)
	s_and_b32 s2, s2, 0xffff
	s_cmp_eq_u64 s[6:7], 0
	v_mad_u64_u32 v[1:2], null, s15, s2, v[0:1]
	s_cbranch_scc1 .LBB178_7
; %bb.1:
	s_load_b32 s2, s[0:1], 0x20
	s_mov_b32 s9, 0
	s_mov_b32 s13, exec_lo
	s_waitcnt lgkmcnt(0)
	s_cmp_lt_u32 s2, s12
	s_cselect_b32 s3, s2, 0
	s_delay_alu instid0(SALU_CYCLE_1)
	v_cmpx_eq_u32_e64 s3, v1
	s_cbranch_execz .LBB178_6
; %bb.2:
	s_add_i32 s8, s2, 32
	s_load_b128 s[0:3], s[0:1], 0x0
	v_mov_b32_e32 v0, s8
	s_add_u32 s10, s4, s8
	s_addc_u32 s11, s5, 0
	global_load_u8 v0, v0, s[4:5] glc
	s_waitcnt vmcnt(0)
	v_cmp_ne_u16_e32 vcc_lo, 0, v0
	v_readfirstlane_b32 s14, v0
	s_cbranch_vccnz .LBB178_5
; %bb.3:
	v_mov_b32_e32 v0, 0
.LBB178_4:                              ; =>This Inner Loop Header: Depth=1
	global_load_u8 v2, v0, s[10:11] glc
	s_waitcnt vmcnt(0)
	v_cmp_eq_u16_e32 vcc_lo, 0, v2
	v_readfirstlane_b32 s14, v2
	s_cbranch_vccnz .LBB178_4
.LBB178_5:
	s_delay_alu instid0(VALU_DEP_1)
	s_and_b32 s10, 0xffff, s14
	v_mov_b32_e32 v0, 0
	s_cmp_eq_u32 s10, 1
	s_waitcnt lgkmcnt(0)
	buffer_gl1_inv
	buffer_gl0_inv
	s_cselect_b32 s3, s1, s3
	s_cselect_b32 s2, s0, s2
	s_lshl_b64 s[0:1], s[8:9], 4
	s_delay_alu instid0(SALU_CYCLE_1)
	s_add_u32 s0, s2, s0
	s_addc_u32 s1, s3, s1
	global_load_b128 v[2:5], v0, s[0:1]
	s_waitcnt vmcnt(0)
	global_store_b128 v0, v[2:5], s[6:7]
.LBB178_6:
	s_or_b32 exec_lo, exec_lo, s13
.LBB178_7:
	s_delay_alu instid0(SALU_CYCLE_1) | instskip(NEXT) | instid1(VALU_DEP_1)
	s_mov_b32 s0, exec_lo
	v_cmpx_gt_u32_e64 s12, v1
	s_cbranch_execz .LBB178_9
; %bb.8:
	v_add_nc_u32_e32 v0, 32, v1
	v_mov_b32_e32 v2, 0
	global_store_b8 v0, v2, s[4:5]
.LBB178_9:
	s_or_b32 exec_lo, exec_lo, s0
	s_delay_alu instid0(SALU_CYCLE_1)
	s_mov_b32 s0, exec_lo
	v_cmpx_gt_u32_e32 32, v1
	s_cbranch_execz .LBB178_11
; %bb.10:
	v_mov_b32_e32 v0, 0xff
	global_store_b8 v1, v0, s[4:5]
.LBB178_11:
	s_nop 0
	s_sendmsg sendmsg(MSG_DEALLOC_VGPRS)
	s_endpgm
	.section	.rodata,"a",@progbits
	.p2align	6, 0x0
	.amdhsa_kernel _ZN7rocprim17ROCPRIM_400000_NS6detail31init_lookback_scan_state_kernelINS1_19lookback_scan_stateIN3c107complexIdEELb0ELb0EEENS1_16block_id_wrapperIjLb0EEEEEvT_jT0_jPNSA_10value_typeE
		.amdhsa_group_segment_fixed_size 0
		.amdhsa_private_segment_fixed_size 0
		.amdhsa_kernarg_size 304
		.amdhsa_user_sgpr_count 15
		.amdhsa_user_sgpr_dispatch_ptr 0
		.amdhsa_user_sgpr_queue_ptr 0
		.amdhsa_user_sgpr_kernarg_segment_ptr 1
		.amdhsa_user_sgpr_dispatch_id 0
		.amdhsa_user_sgpr_private_segment_size 0
		.amdhsa_wavefront_size32 1
		.amdhsa_uses_dynamic_stack 0
		.amdhsa_enable_private_segment 0
		.amdhsa_system_sgpr_workgroup_id_x 1
		.amdhsa_system_sgpr_workgroup_id_y 0
		.amdhsa_system_sgpr_workgroup_id_z 0
		.amdhsa_system_sgpr_workgroup_info 0
		.amdhsa_system_vgpr_workitem_id 0
		.amdhsa_next_free_vgpr 6
		.amdhsa_next_free_sgpr 16
		.amdhsa_reserve_vcc 1
		.amdhsa_float_round_mode_32 0
		.amdhsa_float_round_mode_16_64 0
		.amdhsa_float_denorm_mode_32 3
		.amdhsa_float_denorm_mode_16_64 3
		.amdhsa_dx10_clamp 1
		.amdhsa_ieee_mode 1
		.amdhsa_fp16_overflow 0
		.amdhsa_workgroup_processor_mode 1
		.amdhsa_memory_ordered 1
		.amdhsa_forward_progress 0
		.amdhsa_shared_vgpr_count 0
		.amdhsa_exception_fp_ieee_invalid_op 0
		.amdhsa_exception_fp_denorm_src 0
		.amdhsa_exception_fp_ieee_div_zero 0
		.amdhsa_exception_fp_ieee_overflow 0
		.amdhsa_exception_fp_ieee_underflow 0
		.amdhsa_exception_fp_ieee_inexact 0
		.amdhsa_exception_int_div_zero 0
	.end_amdhsa_kernel
	.section	.text._ZN7rocprim17ROCPRIM_400000_NS6detail31init_lookback_scan_state_kernelINS1_19lookback_scan_stateIN3c107complexIdEELb0ELb0EEENS1_16block_id_wrapperIjLb0EEEEEvT_jT0_jPNSA_10value_typeE,"axG",@progbits,_ZN7rocprim17ROCPRIM_400000_NS6detail31init_lookback_scan_state_kernelINS1_19lookback_scan_stateIN3c107complexIdEELb0ELb0EEENS1_16block_id_wrapperIjLb0EEEEEvT_jT0_jPNSA_10value_typeE,comdat
.Lfunc_end178:
	.size	_ZN7rocprim17ROCPRIM_400000_NS6detail31init_lookback_scan_state_kernelINS1_19lookback_scan_stateIN3c107complexIdEELb0ELb0EEENS1_16block_id_wrapperIjLb0EEEEEvT_jT0_jPNSA_10value_typeE, .Lfunc_end178-_ZN7rocprim17ROCPRIM_400000_NS6detail31init_lookback_scan_state_kernelINS1_19lookback_scan_stateIN3c107complexIdEELb0ELb0EEENS1_16block_id_wrapperIjLb0EEEEEvT_jT0_jPNSA_10value_typeE
                                        ; -- End function
	.section	.AMDGPU.csdata,"",@progbits
; Kernel info:
; codeLenInByte = 356
; NumSgprs: 18
; NumVgprs: 6
; ScratchSize: 0
; MemoryBound: 0
; FloatMode: 240
; IeeeMode: 1
; LDSByteSize: 0 bytes/workgroup (compile time only)
; SGPRBlocks: 2
; VGPRBlocks: 0
; NumSGPRsForWavesPerEU: 18
; NumVGPRsForWavesPerEU: 6
; Occupancy: 16
; WaveLimiterHint : 0
; COMPUTE_PGM_RSRC2:SCRATCH_EN: 0
; COMPUTE_PGM_RSRC2:USER_SGPR: 15
; COMPUTE_PGM_RSRC2:TRAP_HANDLER: 0
; COMPUTE_PGM_RSRC2:TGID_X_EN: 1
; COMPUTE_PGM_RSRC2:TGID_Y_EN: 0
; COMPUTE_PGM_RSRC2:TGID_Z_EN: 0
; COMPUTE_PGM_RSRC2:TIDIG_COMP_CNT: 0
	.section	.text._ZN7rocprim17ROCPRIM_400000_NS6detail17trampoline_kernelINS0_14default_configENS1_20scan_config_selectorIN3c107complexIdEEEEZZNS1_9scan_implILNS1_25lookback_scan_determinismE0ELb0ELb0ES3_PKS7_PS7_S7_ZZZN2at6native31launch_logcumsumexp_cuda_kernelERKNSE_10TensorBaseESI_lENKUlvE_clEvENKUlvE1_clEvEUlS7_S7_E_S7_EEDaPvRmT3_T4_T5_mT6_P12ihipStream_tbENKUlT_T0_E_clISt17integral_constantIbLb0EESZ_EEDaSU_SV_EUlSU_E_NS1_11comp_targetILNS1_3genE0ELNS1_11target_archE4294967295ELNS1_3gpuE0ELNS1_3repE0EEENS1_30default_config_static_selectorELNS0_4arch9wavefront6targetE0EEEvT1_,"axG",@progbits,_ZN7rocprim17ROCPRIM_400000_NS6detail17trampoline_kernelINS0_14default_configENS1_20scan_config_selectorIN3c107complexIdEEEEZZNS1_9scan_implILNS1_25lookback_scan_determinismE0ELb0ELb0ES3_PKS7_PS7_S7_ZZZN2at6native31launch_logcumsumexp_cuda_kernelERKNSE_10TensorBaseESI_lENKUlvE_clEvENKUlvE1_clEvEUlS7_S7_E_S7_EEDaPvRmT3_T4_T5_mT6_P12ihipStream_tbENKUlT_T0_E_clISt17integral_constantIbLb0EESZ_EEDaSU_SV_EUlSU_E_NS1_11comp_targetILNS1_3genE0ELNS1_11target_archE4294967295ELNS1_3gpuE0ELNS1_3repE0EEENS1_30default_config_static_selectorELNS0_4arch9wavefront6targetE0EEEvT1_,comdat
	.globl	_ZN7rocprim17ROCPRIM_400000_NS6detail17trampoline_kernelINS0_14default_configENS1_20scan_config_selectorIN3c107complexIdEEEEZZNS1_9scan_implILNS1_25lookback_scan_determinismE0ELb0ELb0ES3_PKS7_PS7_S7_ZZZN2at6native31launch_logcumsumexp_cuda_kernelERKNSE_10TensorBaseESI_lENKUlvE_clEvENKUlvE1_clEvEUlS7_S7_E_S7_EEDaPvRmT3_T4_T5_mT6_P12ihipStream_tbENKUlT_T0_E_clISt17integral_constantIbLb0EESZ_EEDaSU_SV_EUlSU_E_NS1_11comp_targetILNS1_3genE0ELNS1_11target_archE4294967295ELNS1_3gpuE0ELNS1_3repE0EEENS1_30default_config_static_selectorELNS0_4arch9wavefront6targetE0EEEvT1_ ; -- Begin function _ZN7rocprim17ROCPRIM_400000_NS6detail17trampoline_kernelINS0_14default_configENS1_20scan_config_selectorIN3c107complexIdEEEEZZNS1_9scan_implILNS1_25lookback_scan_determinismE0ELb0ELb0ES3_PKS7_PS7_S7_ZZZN2at6native31launch_logcumsumexp_cuda_kernelERKNSE_10TensorBaseESI_lENKUlvE_clEvENKUlvE1_clEvEUlS7_S7_E_S7_EEDaPvRmT3_T4_T5_mT6_P12ihipStream_tbENKUlT_T0_E_clISt17integral_constantIbLb0EESZ_EEDaSU_SV_EUlSU_E_NS1_11comp_targetILNS1_3genE0ELNS1_11target_archE4294967295ELNS1_3gpuE0ELNS1_3repE0EEENS1_30default_config_static_selectorELNS0_4arch9wavefront6targetE0EEEvT1_
	.p2align	8
	.type	_ZN7rocprim17ROCPRIM_400000_NS6detail17trampoline_kernelINS0_14default_configENS1_20scan_config_selectorIN3c107complexIdEEEEZZNS1_9scan_implILNS1_25lookback_scan_determinismE0ELb0ELb0ES3_PKS7_PS7_S7_ZZZN2at6native31launch_logcumsumexp_cuda_kernelERKNSE_10TensorBaseESI_lENKUlvE_clEvENKUlvE1_clEvEUlS7_S7_E_S7_EEDaPvRmT3_T4_T5_mT6_P12ihipStream_tbENKUlT_T0_E_clISt17integral_constantIbLb0EESZ_EEDaSU_SV_EUlSU_E_NS1_11comp_targetILNS1_3genE0ELNS1_11target_archE4294967295ELNS1_3gpuE0ELNS1_3repE0EEENS1_30default_config_static_selectorELNS0_4arch9wavefront6targetE0EEEvT1_,@function
_ZN7rocprim17ROCPRIM_400000_NS6detail17trampoline_kernelINS0_14default_configENS1_20scan_config_selectorIN3c107complexIdEEEEZZNS1_9scan_implILNS1_25lookback_scan_determinismE0ELb0ELb0ES3_PKS7_PS7_S7_ZZZN2at6native31launch_logcumsumexp_cuda_kernelERKNSE_10TensorBaseESI_lENKUlvE_clEvENKUlvE1_clEvEUlS7_S7_E_S7_EEDaPvRmT3_T4_T5_mT6_P12ihipStream_tbENKUlT_T0_E_clISt17integral_constantIbLb0EESZ_EEDaSU_SV_EUlSU_E_NS1_11comp_targetILNS1_3genE0ELNS1_11target_archE4294967295ELNS1_3gpuE0ELNS1_3repE0EEENS1_30default_config_static_selectorELNS0_4arch9wavefront6targetE0EEEvT1_: ; @_ZN7rocprim17ROCPRIM_400000_NS6detail17trampoline_kernelINS0_14default_configENS1_20scan_config_selectorIN3c107complexIdEEEEZZNS1_9scan_implILNS1_25lookback_scan_determinismE0ELb0ELb0ES3_PKS7_PS7_S7_ZZZN2at6native31launch_logcumsumexp_cuda_kernelERKNSE_10TensorBaseESI_lENKUlvE_clEvENKUlvE1_clEvEUlS7_S7_E_S7_EEDaPvRmT3_T4_T5_mT6_P12ihipStream_tbENKUlT_T0_E_clISt17integral_constantIbLb0EESZ_EEDaSU_SV_EUlSU_E_NS1_11comp_targetILNS1_3genE0ELNS1_11target_archE4294967295ELNS1_3gpuE0ELNS1_3repE0EEENS1_30default_config_static_selectorELNS0_4arch9wavefront6targetE0EEEvT1_
; %bb.0:
	.section	.rodata,"a",@progbits
	.p2align	6, 0x0
	.amdhsa_kernel _ZN7rocprim17ROCPRIM_400000_NS6detail17trampoline_kernelINS0_14default_configENS1_20scan_config_selectorIN3c107complexIdEEEEZZNS1_9scan_implILNS1_25lookback_scan_determinismE0ELb0ELb0ES3_PKS7_PS7_S7_ZZZN2at6native31launch_logcumsumexp_cuda_kernelERKNSE_10TensorBaseESI_lENKUlvE_clEvENKUlvE1_clEvEUlS7_S7_E_S7_EEDaPvRmT3_T4_T5_mT6_P12ihipStream_tbENKUlT_T0_E_clISt17integral_constantIbLb0EESZ_EEDaSU_SV_EUlSU_E_NS1_11comp_targetILNS1_3genE0ELNS1_11target_archE4294967295ELNS1_3gpuE0ELNS1_3repE0EEENS1_30default_config_static_selectorELNS0_4arch9wavefront6targetE0EEEvT1_
		.amdhsa_group_segment_fixed_size 0
		.amdhsa_private_segment_fixed_size 0
		.amdhsa_kernarg_size 128
		.amdhsa_user_sgpr_count 15
		.amdhsa_user_sgpr_dispatch_ptr 0
		.amdhsa_user_sgpr_queue_ptr 0
		.amdhsa_user_sgpr_kernarg_segment_ptr 1
		.amdhsa_user_sgpr_dispatch_id 0
		.amdhsa_user_sgpr_private_segment_size 0
		.amdhsa_wavefront_size32 1
		.amdhsa_uses_dynamic_stack 0
		.amdhsa_enable_private_segment 0
		.amdhsa_system_sgpr_workgroup_id_x 1
		.amdhsa_system_sgpr_workgroup_id_y 0
		.amdhsa_system_sgpr_workgroup_id_z 0
		.amdhsa_system_sgpr_workgroup_info 0
		.amdhsa_system_vgpr_workitem_id 0
		.amdhsa_next_free_vgpr 1
		.amdhsa_next_free_sgpr 1
		.amdhsa_reserve_vcc 0
		.amdhsa_float_round_mode_32 0
		.amdhsa_float_round_mode_16_64 0
		.amdhsa_float_denorm_mode_32 3
		.amdhsa_float_denorm_mode_16_64 3
		.amdhsa_dx10_clamp 1
		.amdhsa_ieee_mode 1
		.amdhsa_fp16_overflow 0
		.amdhsa_workgroup_processor_mode 1
		.amdhsa_memory_ordered 1
		.amdhsa_forward_progress 0
		.amdhsa_shared_vgpr_count 0
		.amdhsa_exception_fp_ieee_invalid_op 0
		.amdhsa_exception_fp_denorm_src 0
		.amdhsa_exception_fp_ieee_div_zero 0
		.amdhsa_exception_fp_ieee_overflow 0
		.amdhsa_exception_fp_ieee_underflow 0
		.amdhsa_exception_fp_ieee_inexact 0
		.amdhsa_exception_int_div_zero 0
	.end_amdhsa_kernel
	.section	.text._ZN7rocprim17ROCPRIM_400000_NS6detail17trampoline_kernelINS0_14default_configENS1_20scan_config_selectorIN3c107complexIdEEEEZZNS1_9scan_implILNS1_25lookback_scan_determinismE0ELb0ELb0ES3_PKS7_PS7_S7_ZZZN2at6native31launch_logcumsumexp_cuda_kernelERKNSE_10TensorBaseESI_lENKUlvE_clEvENKUlvE1_clEvEUlS7_S7_E_S7_EEDaPvRmT3_T4_T5_mT6_P12ihipStream_tbENKUlT_T0_E_clISt17integral_constantIbLb0EESZ_EEDaSU_SV_EUlSU_E_NS1_11comp_targetILNS1_3genE0ELNS1_11target_archE4294967295ELNS1_3gpuE0ELNS1_3repE0EEENS1_30default_config_static_selectorELNS0_4arch9wavefront6targetE0EEEvT1_,"axG",@progbits,_ZN7rocprim17ROCPRIM_400000_NS6detail17trampoline_kernelINS0_14default_configENS1_20scan_config_selectorIN3c107complexIdEEEEZZNS1_9scan_implILNS1_25lookback_scan_determinismE0ELb0ELb0ES3_PKS7_PS7_S7_ZZZN2at6native31launch_logcumsumexp_cuda_kernelERKNSE_10TensorBaseESI_lENKUlvE_clEvENKUlvE1_clEvEUlS7_S7_E_S7_EEDaPvRmT3_T4_T5_mT6_P12ihipStream_tbENKUlT_T0_E_clISt17integral_constantIbLb0EESZ_EEDaSU_SV_EUlSU_E_NS1_11comp_targetILNS1_3genE0ELNS1_11target_archE4294967295ELNS1_3gpuE0ELNS1_3repE0EEENS1_30default_config_static_selectorELNS0_4arch9wavefront6targetE0EEEvT1_,comdat
.Lfunc_end179:
	.size	_ZN7rocprim17ROCPRIM_400000_NS6detail17trampoline_kernelINS0_14default_configENS1_20scan_config_selectorIN3c107complexIdEEEEZZNS1_9scan_implILNS1_25lookback_scan_determinismE0ELb0ELb0ES3_PKS7_PS7_S7_ZZZN2at6native31launch_logcumsumexp_cuda_kernelERKNSE_10TensorBaseESI_lENKUlvE_clEvENKUlvE1_clEvEUlS7_S7_E_S7_EEDaPvRmT3_T4_T5_mT6_P12ihipStream_tbENKUlT_T0_E_clISt17integral_constantIbLb0EESZ_EEDaSU_SV_EUlSU_E_NS1_11comp_targetILNS1_3genE0ELNS1_11target_archE4294967295ELNS1_3gpuE0ELNS1_3repE0EEENS1_30default_config_static_selectorELNS0_4arch9wavefront6targetE0EEEvT1_, .Lfunc_end179-_ZN7rocprim17ROCPRIM_400000_NS6detail17trampoline_kernelINS0_14default_configENS1_20scan_config_selectorIN3c107complexIdEEEEZZNS1_9scan_implILNS1_25lookback_scan_determinismE0ELb0ELb0ES3_PKS7_PS7_S7_ZZZN2at6native31launch_logcumsumexp_cuda_kernelERKNSE_10TensorBaseESI_lENKUlvE_clEvENKUlvE1_clEvEUlS7_S7_E_S7_EEDaPvRmT3_T4_T5_mT6_P12ihipStream_tbENKUlT_T0_E_clISt17integral_constantIbLb0EESZ_EEDaSU_SV_EUlSU_E_NS1_11comp_targetILNS1_3genE0ELNS1_11target_archE4294967295ELNS1_3gpuE0ELNS1_3repE0EEENS1_30default_config_static_selectorELNS0_4arch9wavefront6targetE0EEEvT1_
                                        ; -- End function
	.section	.AMDGPU.csdata,"",@progbits
; Kernel info:
; codeLenInByte = 0
; NumSgprs: 0
; NumVgprs: 0
; ScratchSize: 0
; MemoryBound: 0
; FloatMode: 240
; IeeeMode: 1
; LDSByteSize: 0 bytes/workgroup (compile time only)
; SGPRBlocks: 0
; VGPRBlocks: 0
; NumSGPRsForWavesPerEU: 1
; NumVGPRsForWavesPerEU: 1
; Occupancy: 16
; WaveLimiterHint : 0
; COMPUTE_PGM_RSRC2:SCRATCH_EN: 0
; COMPUTE_PGM_RSRC2:USER_SGPR: 15
; COMPUTE_PGM_RSRC2:TRAP_HANDLER: 0
; COMPUTE_PGM_RSRC2:TGID_X_EN: 1
; COMPUTE_PGM_RSRC2:TGID_Y_EN: 0
; COMPUTE_PGM_RSRC2:TGID_Z_EN: 0
; COMPUTE_PGM_RSRC2:TIDIG_COMP_CNT: 0
	.section	.text._ZN7rocprim17ROCPRIM_400000_NS6detail17trampoline_kernelINS0_14default_configENS1_20scan_config_selectorIN3c107complexIdEEEEZZNS1_9scan_implILNS1_25lookback_scan_determinismE0ELb0ELb0ES3_PKS7_PS7_S7_ZZZN2at6native31launch_logcumsumexp_cuda_kernelERKNSE_10TensorBaseESI_lENKUlvE_clEvENKUlvE1_clEvEUlS7_S7_E_S7_EEDaPvRmT3_T4_T5_mT6_P12ihipStream_tbENKUlT_T0_E_clISt17integral_constantIbLb0EESZ_EEDaSU_SV_EUlSU_E_NS1_11comp_targetILNS1_3genE5ELNS1_11target_archE942ELNS1_3gpuE9ELNS1_3repE0EEENS1_30default_config_static_selectorELNS0_4arch9wavefront6targetE0EEEvT1_,"axG",@progbits,_ZN7rocprim17ROCPRIM_400000_NS6detail17trampoline_kernelINS0_14default_configENS1_20scan_config_selectorIN3c107complexIdEEEEZZNS1_9scan_implILNS1_25lookback_scan_determinismE0ELb0ELb0ES3_PKS7_PS7_S7_ZZZN2at6native31launch_logcumsumexp_cuda_kernelERKNSE_10TensorBaseESI_lENKUlvE_clEvENKUlvE1_clEvEUlS7_S7_E_S7_EEDaPvRmT3_T4_T5_mT6_P12ihipStream_tbENKUlT_T0_E_clISt17integral_constantIbLb0EESZ_EEDaSU_SV_EUlSU_E_NS1_11comp_targetILNS1_3genE5ELNS1_11target_archE942ELNS1_3gpuE9ELNS1_3repE0EEENS1_30default_config_static_selectorELNS0_4arch9wavefront6targetE0EEEvT1_,comdat
	.globl	_ZN7rocprim17ROCPRIM_400000_NS6detail17trampoline_kernelINS0_14default_configENS1_20scan_config_selectorIN3c107complexIdEEEEZZNS1_9scan_implILNS1_25lookback_scan_determinismE0ELb0ELb0ES3_PKS7_PS7_S7_ZZZN2at6native31launch_logcumsumexp_cuda_kernelERKNSE_10TensorBaseESI_lENKUlvE_clEvENKUlvE1_clEvEUlS7_S7_E_S7_EEDaPvRmT3_T4_T5_mT6_P12ihipStream_tbENKUlT_T0_E_clISt17integral_constantIbLb0EESZ_EEDaSU_SV_EUlSU_E_NS1_11comp_targetILNS1_3genE5ELNS1_11target_archE942ELNS1_3gpuE9ELNS1_3repE0EEENS1_30default_config_static_selectorELNS0_4arch9wavefront6targetE0EEEvT1_ ; -- Begin function _ZN7rocprim17ROCPRIM_400000_NS6detail17trampoline_kernelINS0_14default_configENS1_20scan_config_selectorIN3c107complexIdEEEEZZNS1_9scan_implILNS1_25lookback_scan_determinismE0ELb0ELb0ES3_PKS7_PS7_S7_ZZZN2at6native31launch_logcumsumexp_cuda_kernelERKNSE_10TensorBaseESI_lENKUlvE_clEvENKUlvE1_clEvEUlS7_S7_E_S7_EEDaPvRmT3_T4_T5_mT6_P12ihipStream_tbENKUlT_T0_E_clISt17integral_constantIbLb0EESZ_EEDaSU_SV_EUlSU_E_NS1_11comp_targetILNS1_3genE5ELNS1_11target_archE942ELNS1_3gpuE9ELNS1_3repE0EEENS1_30default_config_static_selectorELNS0_4arch9wavefront6targetE0EEEvT1_
	.p2align	8
	.type	_ZN7rocprim17ROCPRIM_400000_NS6detail17trampoline_kernelINS0_14default_configENS1_20scan_config_selectorIN3c107complexIdEEEEZZNS1_9scan_implILNS1_25lookback_scan_determinismE0ELb0ELb0ES3_PKS7_PS7_S7_ZZZN2at6native31launch_logcumsumexp_cuda_kernelERKNSE_10TensorBaseESI_lENKUlvE_clEvENKUlvE1_clEvEUlS7_S7_E_S7_EEDaPvRmT3_T4_T5_mT6_P12ihipStream_tbENKUlT_T0_E_clISt17integral_constantIbLb0EESZ_EEDaSU_SV_EUlSU_E_NS1_11comp_targetILNS1_3genE5ELNS1_11target_archE942ELNS1_3gpuE9ELNS1_3repE0EEENS1_30default_config_static_selectorELNS0_4arch9wavefront6targetE0EEEvT1_,@function
_ZN7rocprim17ROCPRIM_400000_NS6detail17trampoline_kernelINS0_14default_configENS1_20scan_config_selectorIN3c107complexIdEEEEZZNS1_9scan_implILNS1_25lookback_scan_determinismE0ELb0ELb0ES3_PKS7_PS7_S7_ZZZN2at6native31launch_logcumsumexp_cuda_kernelERKNSE_10TensorBaseESI_lENKUlvE_clEvENKUlvE1_clEvEUlS7_S7_E_S7_EEDaPvRmT3_T4_T5_mT6_P12ihipStream_tbENKUlT_T0_E_clISt17integral_constantIbLb0EESZ_EEDaSU_SV_EUlSU_E_NS1_11comp_targetILNS1_3genE5ELNS1_11target_archE942ELNS1_3gpuE9ELNS1_3repE0EEENS1_30default_config_static_selectorELNS0_4arch9wavefront6targetE0EEEvT1_: ; @_ZN7rocprim17ROCPRIM_400000_NS6detail17trampoline_kernelINS0_14default_configENS1_20scan_config_selectorIN3c107complexIdEEEEZZNS1_9scan_implILNS1_25lookback_scan_determinismE0ELb0ELb0ES3_PKS7_PS7_S7_ZZZN2at6native31launch_logcumsumexp_cuda_kernelERKNSE_10TensorBaseESI_lENKUlvE_clEvENKUlvE1_clEvEUlS7_S7_E_S7_EEDaPvRmT3_T4_T5_mT6_P12ihipStream_tbENKUlT_T0_E_clISt17integral_constantIbLb0EESZ_EEDaSU_SV_EUlSU_E_NS1_11comp_targetILNS1_3genE5ELNS1_11target_archE942ELNS1_3gpuE9ELNS1_3repE0EEENS1_30default_config_static_selectorELNS0_4arch9wavefront6targetE0EEEvT1_
; %bb.0:
	.section	.rodata,"a",@progbits
	.p2align	6, 0x0
	.amdhsa_kernel _ZN7rocprim17ROCPRIM_400000_NS6detail17trampoline_kernelINS0_14default_configENS1_20scan_config_selectorIN3c107complexIdEEEEZZNS1_9scan_implILNS1_25lookback_scan_determinismE0ELb0ELb0ES3_PKS7_PS7_S7_ZZZN2at6native31launch_logcumsumexp_cuda_kernelERKNSE_10TensorBaseESI_lENKUlvE_clEvENKUlvE1_clEvEUlS7_S7_E_S7_EEDaPvRmT3_T4_T5_mT6_P12ihipStream_tbENKUlT_T0_E_clISt17integral_constantIbLb0EESZ_EEDaSU_SV_EUlSU_E_NS1_11comp_targetILNS1_3genE5ELNS1_11target_archE942ELNS1_3gpuE9ELNS1_3repE0EEENS1_30default_config_static_selectorELNS0_4arch9wavefront6targetE0EEEvT1_
		.amdhsa_group_segment_fixed_size 0
		.amdhsa_private_segment_fixed_size 0
		.amdhsa_kernarg_size 128
		.amdhsa_user_sgpr_count 15
		.amdhsa_user_sgpr_dispatch_ptr 0
		.amdhsa_user_sgpr_queue_ptr 0
		.amdhsa_user_sgpr_kernarg_segment_ptr 1
		.amdhsa_user_sgpr_dispatch_id 0
		.amdhsa_user_sgpr_private_segment_size 0
		.amdhsa_wavefront_size32 1
		.amdhsa_uses_dynamic_stack 0
		.amdhsa_enable_private_segment 0
		.amdhsa_system_sgpr_workgroup_id_x 1
		.amdhsa_system_sgpr_workgroup_id_y 0
		.amdhsa_system_sgpr_workgroup_id_z 0
		.amdhsa_system_sgpr_workgroup_info 0
		.amdhsa_system_vgpr_workitem_id 0
		.amdhsa_next_free_vgpr 1
		.amdhsa_next_free_sgpr 1
		.amdhsa_reserve_vcc 0
		.amdhsa_float_round_mode_32 0
		.amdhsa_float_round_mode_16_64 0
		.amdhsa_float_denorm_mode_32 3
		.amdhsa_float_denorm_mode_16_64 3
		.amdhsa_dx10_clamp 1
		.amdhsa_ieee_mode 1
		.amdhsa_fp16_overflow 0
		.amdhsa_workgroup_processor_mode 1
		.amdhsa_memory_ordered 1
		.amdhsa_forward_progress 0
		.amdhsa_shared_vgpr_count 0
		.amdhsa_exception_fp_ieee_invalid_op 0
		.amdhsa_exception_fp_denorm_src 0
		.amdhsa_exception_fp_ieee_div_zero 0
		.amdhsa_exception_fp_ieee_overflow 0
		.amdhsa_exception_fp_ieee_underflow 0
		.amdhsa_exception_fp_ieee_inexact 0
		.amdhsa_exception_int_div_zero 0
	.end_amdhsa_kernel
	.section	.text._ZN7rocprim17ROCPRIM_400000_NS6detail17trampoline_kernelINS0_14default_configENS1_20scan_config_selectorIN3c107complexIdEEEEZZNS1_9scan_implILNS1_25lookback_scan_determinismE0ELb0ELb0ES3_PKS7_PS7_S7_ZZZN2at6native31launch_logcumsumexp_cuda_kernelERKNSE_10TensorBaseESI_lENKUlvE_clEvENKUlvE1_clEvEUlS7_S7_E_S7_EEDaPvRmT3_T4_T5_mT6_P12ihipStream_tbENKUlT_T0_E_clISt17integral_constantIbLb0EESZ_EEDaSU_SV_EUlSU_E_NS1_11comp_targetILNS1_3genE5ELNS1_11target_archE942ELNS1_3gpuE9ELNS1_3repE0EEENS1_30default_config_static_selectorELNS0_4arch9wavefront6targetE0EEEvT1_,"axG",@progbits,_ZN7rocprim17ROCPRIM_400000_NS6detail17trampoline_kernelINS0_14default_configENS1_20scan_config_selectorIN3c107complexIdEEEEZZNS1_9scan_implILNS1_25lookback_scan_determinismE0ELb0ELb0ES3_PKS7_PS7_S7_ZZZN2at6native31launch_logcumsumexp_cuda_kernelERKNSE_10TensorBaseESI_lENKUlvE_clEvENKUlvE1_clEvEUlS7_S7_E_S7_EEDaPvRmT3_T4_T5_mT6_P12ihipStream_tbENKUlT_T0_E_clISt17integral_constantIbLb0EESZ_EEDaSU_SV_EUlSU_E_NS1_11comp_targetILNS1_3genE5ELNS1_11target_archE942ELNS1_3gpuE9ELNS1_3repE0EEENS1_30default_config_static_selectorELNS0_4arch9wavefront6targetE0EEEvT1_,comdat
.Lfunc_end180:
	.size	_ZN7rocprim17ROCPRIM_400000_NS6detail17trampoline_kernelINS0_14default_configENS1_20scan_config_selectorIN3c107complexIdEEEEZZNS1_9scan_implILNS1_25lookback_scan_determinismE0ELb0ELb0ES3_PKS7_PS7_S7_ZZZN2at6native31launch_logcumsumexp_cuda_kernelERKNSE_10TensorBaseESI_lENKUlvE_clEvENKUlvE1_clEvEUlS7_S7_E_S7_EEDaPvRmT3_T4_T5_mT6_P12ihipStream_tbENKUlT_T0_E_clISt17integral_constantIbLb0EESZ_EEDaSU_SV_EUlSU_E_NS1_11comp_targetILNS1_3genE5ELNS1_11target_archE942ELNS1_3gpuE9ELNS1_3repE0EEENS1_30default_config_static_selectorELNS0_4arch9wavefront6targetE0EEEvT1_, .Lfunc_end180-_ZN7rocprim17ROCPRIM_400000_NS6detail17trampoline_kernelINS0_14default_configENS1_20scan_config_selectorIN3c107complexIdEEEEZZNS1_9scan_implILNS1_25lookback_scan_determinismE0ELb0ELb0ES3_PKS7_PS7_S7_ZZZN2at6native31launch_logcumsumexp_cuda_kernelERKNSE_10TensorBaseESI_lENKUlvE_clEvENKUlvE1_clEvEUlS7_S7_E_S7_EEDaPvRmT3_T4_T5_mT6_P12ihipStream_tbENKUlT_T0_E_clISt17integral_constantIbLb0EESZ_EEDaSU_SV_EUlSU_E_NS1_11comp_targetILNS1_3genE5ELNS1_11target_archE942ELNS1_3gpuE9ELNS1_3repE0EEENS1_30default_config_static_selectorELNS0_4arch9wavefront6targetE0EEEvT1_
                                        ; -- End function
	.section	.AMDGPU.csdata,"",@progbits
; Kernel info:
; codeLenInByte = 0
; NumSgprs: 0
; NumVgprs: 0
; ScratchSize: 0
; MemoryBound: 0
; FloatMode: 240
; IeeeMode: 1
; LDSByteSize: 0 bytes/workgroup (compile time only)
; SGPRBlocks: 0
; VGPRBlocks: 0
; NumSGPRsForWavesPerEU: 1
; NumVGPRsForWavesPerEU: 1
; Occupancy: 16
; WaveLimiterHint : 0
; COMPUTE_PGM_RSRC2:SCRATCH_EN: 0
; COMPUTE_PGM_RSRC2:USER_SGPR: 15
; COMPUTE_PGM_RSRC2:TRAP_HANDLER: 0
; COMPUTE_PGM_RSRC2:TGID_X_EN: 1
; COMPUTE_PGM_RSRC2:TGID_Y_EN: 0
; COMPUTE_PGM_RSRC2:TGID_Z_EN: 0
; COMPUTE_PGM_RSRC2:TIDIG_COMP_CNT: 0
	.section	.text._ZN7rocprim17ROCPRIM_400000_NS6detail17trampoline_kernelINS0_14default_configENS1_20scan_config_selectorIN3c107complexIdEEEEZZNS1_9scan_implILNS1_25lookback_scan_determinismE0ELb0ELb0ES3_PKS7_PS7_S7_ZZZN2at6native31launch_logcumsumexp_cuda_kernelERKNSE_10TensorBaseESI_lENKUlvE_clEvENKUlvE1_clEvEUlS7_S7_E_S7_EEDaPvRmT3_T4_T5_mT6_P12ihipStream_tbENKUlT_T0_E_clISt17integral_constantIbLb0EESZ_EEDaSU_SV_EUlSU_E_NS1_11comp_targetILNS1_3genE4ELNS1_11target_archE910ELNS1_3gpuE8ELNS1_3repE0EEENS1_30default_config_static_selectorELNS0_4arch9wavefront6targetE0EEEvT1_,"axG",@progbits,_ZN7rocprim17ROCPRIM_400000_NS6detail17trampoline_kernelINS0_14default_configENS1_20scan_config_selectorIN3c107complexIdEEEEZZNS1_9scan_implILNS1_25lookback_scan_determinismE0ELb0ELb0ES3_PKS7_PS7_S7_ZZZN2at6native31launch_logcumsumexp_cuda_kernelERKNSE_10TensorBaseESI_lENKUlvE_clEvENKUlvE1_clEvEUlS7_S7_E_S7_EEDaPvRmT3_T4_T5_mT6_P12ihipStream_tbENKUlT_T0_E_clISt17integral_constantIbLb0EESZ_EEDaSU_SV_EUlSU_E_NS1_11comp_targetILNS1_3genE4ELNS1_11target_archE910ELNS1_3gpuE8ELNS1_3repE0EEENS1_30default_config_static_selectorELNS0_4arch9wavefront6targetE0EEEvT1_,comdat
	.globl	_ZN7rocprim17ROCPRIM_400000_NS6detail17trampoline_kernelINS0_14default_configENS1_20scan_config_selectorIN3c107complexIdEEEEZZNS1_9scan_implILNS1_25lookback_scan_determinismE0ELb0ELb0ES3_PKS7_PS7_S7_ZZZN2at6native31launch_logcumsumexp_cuda_kernelERKNSE_10TensorBaseESI_lENKUlvE_clEvENKUlvE1_clEvEUlS7_S7_E_S7_EEDaPvRmT3_T4_T5_mT6_P12ihipStream_tbENKUlT_T0_E_clISt17integral_constantIbLb0EESZ_EEDaSU_SV_EUlSU_E_NS1_11comp_targetILNS1_3genE4ELNS1_11target_archE910ELNS1_3gpuE8ELNS1_3repE0EEENS1_30default_config_static_selectorELNS0_4arch9wavefront6targetE0EEEvT1_ ; -- Begin function _ZN7rocprim17ROCPRIM_400000_NS6detail17trampoline_kernelINS0_14default_configENS1_20scan_config_selectorIN3c107complexIdEEEEZZNS1_9scan_implILNS1_25lookback_scan_determinismE0ELb0ELb0ES3_PKS7_PS7_S7_ZZZN2at6native31launch_logcumsumexp_cuda_kernelERKNSE_10TensorBaseESI_lENKUlvE_clEvENKUlvE1_clEvEUlS7_S7_E_S7_EEDaPvRmT3_T4_T5_mT6_P12ihipStream_tbENKUlT_T0_E_clISt17integral_constantIbLb0EESZ_EEDaSU_SV_EUlSU_E_NS1_11comp_targetILNS1_3genE4ELNS1_11target_archE910ELNS1_3gpuE8ELNS1_3repE0EEENS1_30default_config_static_selectorELNS0_4arch9wavefront6targetE0EEEvT1_
	.p2align	8
	.type	_ZN7rocprim17ROCPRIM_400000_NS6detail17trampoline_kernelINS0_14default_configENS1_20scan_config_selectorIN3c107complexIdEEEEZZNS1_9scan_implILNS1_25lookback_scan_determinismE0ELb0ELb0ES3_PKS7_PS7_S7_ZZZN2at6native31launch_logcumsumexp_cuda_kernelERKNSE_10TensorBaseESI_lENKUlvE_clEvENKUlvE1_clEvEUlS7_S7_E_S7_EEDaPvRmT3_T4_T5_mT6_P12ihipStream_tbENKUlT_T0_E_clISt17integral_constantIbLb0EESZ_EEDaSU_SV_EUlSU_E_NS1_11comp_targetILNS1_3genE4ELNS1_11target_archE910ELNS1_3gpuE8ELNS1_3repE0EEENS1_30default_config_static_selectorELNS0_4arch9wavefront6targetE0EEEvT1_,@function
_ZN7rocprim17ROCPRIM_400000_NS6detail17trampoline_kernelINS0_14default_configENS1_20scan_config_selectorIN3c107complexIdEEEEZZNS1_9scan_implILNS1_25lookback_scan_determinismE0ELb0ELb0ES3_PKS7_PS7_S7_ZZZN2at6native31launch_logcumsumexp_cuda_kernelERKNSE_10TensorBaseESI_lENKUlvE_clEvENKUlvE1_clEvEUlS7_S7_E_S7_EEDaPvRmT3_T4_T5_mT6_P12ihipStream_tbENKUlT_T0_E_clISt17integral_constantIbLb0EESZ_EEDaSU_SV_EUlSU_E_NS1_11comp_targetILNS1_3genE4ELNS1_11target_archE910ELNS1_3gpuE8ELNS1_3repE0EEENS1_30default_config_static_selectorELNS0_4arch9wavefront6targetE0EEEvT1_: ; @_ZN7rocprim17ROCPRIM_400000_NS6detail17trampoline_kernelINS0_14default_configENS1_20scan_config_selectorIN3c107complexIdEEEEZZNS1_9scan_implILNS1_25lookback_scan_determinismE0ELb0ELb0ES3_PKS7_PS7_S7_ZZZN2at6native31launch_logcumsumexp_cuda_kernelERKNSE_10TensorBaseESI_lENKUlvE_clEvENKUlvE1_clEvEUlS7_S7_E_S7_EEDaPvRmT3_T4_T5_mT6_P12ihipStream_tbENKUlT_T0_E_clISt17integral_constantIbLb0EESZ_EEDaSU_SV_EUlSU_E_NS1_11comp_targetILNS1_3genE4ELNS1_11target_archE910ELNS1_3gpuE8ELNS1_3repE0EEENS1_30default_config_static_selectorELNS0_4arch9wavefront6targetE0EEEvT1_
; %bb.0:
	.section	.rodata,"a",@progbits
	.p2align	6, 0x0
	.amdhsa_kernel _ZN7rocprim17ROCPRIM_400000_NS6detail17trampoline_kernelINS0_14default_configENS1_20scan_config_selectorIN3c107complexIdEEEEZZNS1_9scan_implILNS1_25lookback_scan_determinismE0ELb0ELb0ES3_PKS7_PS7_S7_ZZZN2at6native31launch_logcumsumexp_cuda_kernelERKNSE_10TensorBaseESI_lENKUlvE_clEvENKUlvE1_clEvEUlS7_S7_E_S7_EEDaPvRmT3_T4_T5_mT6_P12ihipStream_tbENKUlT_T0_E_clISt17integral_constantIbLb0EESZ_EEDaSU_SV_EUlSU_E_NS1_11comp_targetILNS1_3genE4ELNS1_11target_archE910ELNS1_3gpuE8ELNS1_3repE0EEENS1_30default_config_static_selectorELNS0_4arch9wavefront6targetE0EEEvT1_
		.amdhsa_group_segment_fixed_size 0
		.amdhsa_private_segment_fixed_size 0
		.amdhsa_kernarg_size 128
		.amdhsa_user_sgpr_count 15
		.amdhsa_user_sgpr_dispatch_ptr 0
		.amdhsa_user_sgpr_queue_ptr 0
		.amdhsa_user_sgpr_kernarg_segment_ptr 1
		.amdhsa_user_sgpr_dispatch_id 0
		.amdhsa_user_sgpr_private_segment_size 0
		.amdhsa_wavefront_size32 1
		.amdhsa_uses_dynamic_stack 0
		.amdhsa_enable_private_segment 0
		.amdhsa_system_sgpr_workgroup_id_x 1
		.amdhsa_system_sgpr_workgroup_id_y 0
		.amdhsa_system_sgpr_workgroup_id_z 0
		.amdhsa_system_sgpr_workgroup_info 0
		.amdhsa_system_vgpr_workitem_id 0
		.amdhsa_next_free_vgpr 1
		.amdhsa_next_free_sgpr 1
		.amdhsa_reserve_vcc 0
		.amdhsa_float_round_mode_32 0
		.amdhsa_float_round_mode_16_64 0
		.amdhsa_float_denorm_mode_32 3
		.amdhsa_float_denorm_mode_16_64 3
		.amdhsa_dx10_clamp 1
		.amdhsa_ieee_mode 1
		.amdhsa_fp16_overflow 0
		.amdhsa_workgroup_processor_mode 1
		.amdhsa_memory_ordered 1
		.amdhsa_forward_progress 0
		.amdhsa_shared_vgpr_count 0
		.amdhsa_exception_fp_ieee_invalid_op 0
		.amdhsa_exception_fp_denorm_src 0
		.amdhsa_exception_fp_ieee_div_zero 0
		.amdhsa_exception_fp_ieee_overflow 0
		.amdhsa_exception_fp_ieee_underflow 0
		.amdhsa_exception_fp_ieee_inexact 0
		.amdhsa_exception_int_div_zero 0
	.end_amdhsa_kernel
	.section	.text._ZN7rocprim17ROCPRIM_400000_NS6detail17trampoline_kernelINS0_14default_configENS1_20scan_config_selectorIN3c107complexIdEEEEZZNS1_9scan_implILNS1_25lookback_scan_determinismE0ELb0ELb0ES3_PKS7_PS7_S7_ZZZN2at6native31launch_logcumsumexp_cuda_kernelERKNSE_10TensorBaseESI_lENKUlvE_clEvENKUlvE1_clEvEUlS7_S7_E_S7_EEDaPvRmT3_T4_T5_mT6_P12ihipStream_tbENKUlT_T0_E_clISt17integral_constantIbLb0EESZ_EEDaSU_SV_EUlSU_E_NS1_11comp_targetILNS1_3genE4ELNS1_11target_archE910ELNS1_3gpuE8ELNS1_3repE0EEENS1_30default_config_static_selectorELNS0_4arch9wavefront6targetE0EEEvT1_,"axG",@progbits,_ZN7rocprim17ROCPRIM_400000_NS6detail17trampoline_kernelINS0_14default_configENS1_20scan_config_selectorIN3c107complexIdEEEEZZNS1_9scan_implILNS1_25lookback_scan_determinismE0ELb0ELb0ES3_PKS7_PS7_S7_ZZZN2at6native31launch_logcumsumexp_cuda_kernelERKNSE_10TensorBaseESI_lENKUlvE_clEvENKUlvE1_clEvEUlS7_S7_E_S7_EEDaPvRmT3_T4_T5_mT6_P12ihipStream_tbENKUlT_T0_E_clISt17integral_constantIbLb0EESZ_EEDaSU_SV_EUlSU_E_NS1_11comp_targetILNS1_3genE4ELNS1_11target_archE910ELNS1_3gpuE8ELNS1_3repE0EEENS1_30default_config_static_selectorELNS0_4arch9wavefront6targetE0EEEvT1_,comdat
.Lfunc_end181:
	.size	_ZN7rocprim17ROCPRIM_400000_NS6detail17trampoline_kernelINS0_14default_configENS1_20scan_config_selectorIN3c107complexIdEEEEZZNS1_9scan_implILNS1_25lookback_scan_determinismE0ELb0ELb0ES3_PKS7_PS7_S7_ZZZN2at6native31launch_logcumsumexp_cuda_kernelERKNSE_10TensorBaseESI_lENKUlvE_clEvENKUlvE1_clEvEUlS7_S7_E_S7_EEDaPvRmT3_T4_T5_mT6_P12ihipStream_tbENKUlT_T0_E_clISt17integral_constantIbLb0EESZ_EEDaSU_SV_EUlSU_E_NS1_11comp_targetILNS1_3genE4ELNS1_11target_archE910ELNS1_3gpuE8ELNS1_3repE0EEENS1_30default_config_static_selectorELNS0_4arch9wavefront6targetE0EEEvT1_, .Lfunc_end181-_ZN7rocprim17ROCPRIM_400000_NS6detail17trampoline_kernelINS0_14default_configENS1_20scan_config_selectorIN3c107complexIdEEEEZZNS1_9scan_implILNS1_25lookback_scan_determinismE0ELb0ELb0ES3_PKS7_PS7_S7_ZZZN2at6native31launch_logcumsumexp_cuda_kernelERKNSE_10TensorBaseESI_lENKUlvE_clEvENKUlvE1_clEvEUlS7_S7_E_S7_EEDaPvRmT3_T4_T5_mT6_P12ihipStream_tbENKUlT_T0_E_clISt17integral_constantIbLb0EESZ_EEDaSU_SV_EUlSU_E_NS1_11comp_targetILNS1_3genE4ELNS1_11target_archE910ELNS1_3gpuE8ELNS1_3repE0EEENS1_30default_config_static_selectorELNS0_4arch9wavefront6targetE0EEEvT1_
                                        ; -- End function
	.section	.AMDGPU.csdata,"",@progbits
; Kernel info:
; codeLenInByte = 0
; NumSgprs: 0
; NumVgprs: 0
; ScratchSize: 0
; MemoryBound: 0
; FloatMode: 240
; IeeeMode: 1
; LDSByteSize: 0 bytes/workgroup (compile time only)
; SGPRBlocks: 0
; VGPRBlocks: 0
; NumSGPRsForWavesPerEU: 1
; NumVGPRsForWavesPerEU: 1
; Occupancy: 16
; WaveLimiterHint : 0
; COMPUTE_PGM_RSRC2:SCRATCH_EN: 0
; COMPUTE_PGM_RSRC2:USER_SGPR: 15
; COMPUTE_PGM_RSRC2:TRAP_HANDLER: 0
; COMPUTE_PGM_RSRC2:TGID_X_EN: 1
; COMPUTE_PGM_RSRC2:TGID_Y_EN: 0
; COMPUTE_PGM_RSRC2:TGID_Z_EN: 0
; COMPUTE_PGM_RSRC2:TIDIG_COMP_CNT: 0
	.section	.text._ZN7rocprim17ROCPRIM_400000_NS6detail17trampoline_kernelINS0_14default_configENS1_20scan_config_selectorIN3c107complexIdEEEEZZNS1_9scan_implILNS1_25lookback_scan_determinismE0ELb0ELb0ES3_PKS7_PS7_S7_ZZZN2at6native31launch_logcumsumexp_cuda_kernelERKNSE_10TensorBaseESI_lENKUlvE_clEvENKUlvE1_clEvEUlS7_S7_E_S7_EEDaPvRmT3_T4_T5_mT6_P12ihipStream_tbENKUlT_T0_E_clISt17integral_constantIbLb0EESZ_EEDaSU_SV_EUlSU_E_NS1_11comp_targetILNS1_3genE3ELNS1_11target_archE908ELNS1_3gpuE7ELNS1_3repE0EEENS1_30default_config_static_selectorELNS0_4arch9wavefront6targetE0EEEvT1_,"axG",@progbits,_ZN7rocprim17ROCPRIM_400000_NS6detail17trampoline_kernelINS0_14default_configENS1_20scan_config_selectorIN3c107complexIdEEEEZZNS1_9scan_implILNS1_25lookback_scan_determinismE0ELb0ELb0ES3_PKS7_PS7_S7_ZZZN2at6native31launch_logcumsumexp_cuda_kernelERKNSE_10TensorBaseESI_lENKUlvE_clEvENKUlvE1_clEvEUlS7_S7_E_S7_EEDaPvRmT3_T4_T5_mT6_P12ihipStream_tbENKUlT_T0_E_clISt17integral_constantIbLb0EESZ_EEDaSU_SV_EUlSU_E_NS1_11comp_targetILNS1_3genE3ELNS1_11target_archE908ELNS1_3gpuE7ELNS1_3repE0EEENS1_30default_config_static_selectorELNS0_4arch9wavefront6targetE0EEEvT1_,comdat
	.globl	_ZN7rocprim17ROCPRIM_400000_NS6detail17trampoline_kernelINS0_14default_configENS1_20scan_config_selectorIN3c107complexIdEEEEZZNS1_9scan_implILNS1_25lookback_scan_determinismE0ELb0ELb0ES3_PKS7_PS7_S7_ZZZN2at6native31launch_logcumsumexp_cuda_kernelERKNSE_10TensorBaseESI_lENKUlvE_clEvENKUlvE1_clEvEUlS7_S7_E_S7_EEDaPvRmT3_T4_T5_mT6_P12ihipStream_tbENKUlT_T0_E_clISt17integral_constantIbLb0EESZ_EEDaSU_SV_EUlSU_E_NS1_11comp_targetILNS1_3genE3ELNS1_11target_archE908ELNS1_3gpuE7ELNS1_3repE0EEENS1_30default_config_static_selectorELNS0_4arch9wavefront6targetE0EEEvT1_ ; -- Begin function _ZN7rocprim17ROCPRIM_400000_NS6detail17trampoline_kernelINS0_14default_configENS1_20scan_config_selectorIN3c107complexIdEEEEZZNS1_9scan_implILNS1_25lookback_scan_determinismE0ELb0ELb0ES3_PKS7_PS7_S7_ZZZN2at6native31launch_logcumsumexp_cuda_kernelERKNSE_10TensorBaseESI_lENKUlvE_clEvENKUlvE1_clEvEUlS7_S7_E_S7_EEDaPvRmT3_T4_T5_mT6_P12ihipStream_tbENKUlT_T0_E_clISt17integral_constantIbLb0EESZ_EEDaSU_SV_EUlSU_E_NS1_11comp_targetILNS1_3genE3ELNS1_11target_archE908ELNS1_3gpuE7ELNS1_3repE0EEENS1_30default_config_static_selectorELNS0_4arch9wavefront6targetE0EEEvT1_
	.p2align	8
	.type	_ZN7rocprim17ROCPRIM_400000_NS6detail17trampoline_kernelINS0_14default_configENS1_20scan_config_selectorIN3c107complexIdEEEEZZNS1_9scan_implILNS1_25lookback_scan_determinismE0ELb0ELb0ES3_PKS7_PS7_S7_ZZZN2at6native31launch_logcumsumexp_cuda_kernelERKNSE_10TensorBaseESI_lENKUlvE_clEvENKUlvE1_clEvEUlS7_S7_E_S7_EEDaPvRmT3_T4_T5_mT6_P12ihipStream_tbENKUlT_T0_E_clISt17integral_constantIbLb0EESZ_EEDaSU_SV_EUlSU_E_NS1_11comp_targetILNS1_3genE3ELNS1_11target_archE908ELNS1_3gpuE7ELNS1_3repE0EEENS1_30default_config_static_selectorELNS0_4arch9wavefront6targetE0EEEvT1_,@function
_ZN7rocprim17ROCPRIM_400000_NS6detail17trampoline_kernelINS0_14default_configENS1_20scan_config_selectorIN3c107complexIdEEEEZZNS1_9scan_implILNS1_25lookback_scan_determinismE0ELb0ELb0ES3_PKS7_PS7_S7_ZZZN2at6native31launch_logcumsumexp_cuda_kernelERKNSE_10TensorBaseESI_lENKUlvE_clEvENKUlvE1_clEvEUlS7_S7_E_S7_EEDaPvRmT3_T4_T5_mT6_P12ihipStream_tbENKUlT_T0_E_clISt17integral_constantIbLb0EESZ_EEDaSU_SV_EUlSU_E_NS1_11comp_targetILNS1_3genE3ELNS1_11target_archE908ELNS1_3gpuE7ELNS1_3repE0EEENS1_30default_config_static_selectorELNS0_4arch9wavefront6targetE0EEEvT1_: ; @_ZN7rocprim17ROCPRIM_400000_NS6detail17trampoline_kernelINS0_14default_configENS1_20scan_config_selectorIN3c107complexIdEEEEZZNS1_9scan_implILNS1_25lookback_scan_determinismE0ELb0ELb0ES3_PKS7_PS7_S7_ZZZN2at6native31launch_logcumsumexp_cuda_kernelERKNSE_10TensorBaseESI_lENKUlvE_clEvENKUlvE1_clEvEUlS7_S7_E_S7_EEDaPvRmT3_T4_T5_mT6_P12ihipStream_tbENKUlT_T0_E_clISt17integral_constantIbLb0EESZ_EEDaSU_SV_EUlSU_E_NS1_11comp_targetILNS1_3genE3ELNS1_11target_archE908ELNS1_3gpuE7ELNS1_3repE0EEENS1_30default_config_static_selectorELNS0_4arch9wavefront6targetE0EEEvT1_
; %bb.0:
	.section	.rodata,"a",@progbits
	.p2align	6, 0x0
	.amdhsa_kernel _ZN7rocprim17ROCPRIM_400000_NS6detail17trampoline_kernelINS0_14default_configENS1_20scan_config_selectorIN3c107complexIdEEEEZZNS1_9scan_implILNS1_25lookback_scan_determinismE0ELb0ELb0ES3_PKS7_PS7_S7_ZZZN2at6native31launch_logcumsumexp_cuda_kernelERKNSE_10TensorBaseESI_lENKUlvE_clEvENKUlvE1_clEvEUlS7_S7_E_S7_EEDaPvRmT3_T4_T5_mT6_P12ihipStream_tbENKUlT_T0_E_clISt17integral_constantIbLb0EESZ_EEDaSU_SV_EUlSU_E_NS1_11comp_targetILNS1_3genE3ELNS1_11target_archE908ELNS1_3gpuE7ELNS1_3repE0EEENS1_30default_config_static_selectorELNS0_4arch9wavefront6targetE0EEEvT1_
		.amdhsa_group_segment_fixed_size 0
		.amdhsa_private_segment_fixed_size 0
		.amdhsa_kernarg_size 128
		.amdhsa_user_sgpr_count 15
		.amdhsa_user_sgpr_dispatch_ptr 0
		.amdhsa_user_sgpr_queue_ptr 0
		.amdhsa_user_sgpr_kernarg_segment_ptr 1
		.amdhsa_user_sgpr_dispatch_id 0
		.amdhsa_user_sgpr_private_segment_size 0
		.amdhsa_wavefront_size32 1
		.amdhsa_uses_dynamic_stack 0
		.amdhsa_enable_private_segment 0
		.amdhsa_system_sgpr_workgroup_id_x 1
		.amdhsa_system_sgpr_workgroup_id_y 0
		.amdhsa_system_sgpr_workgroup_id_z 0
		.amdhsa_system_sgpr_workgroup_info 0
		.amdhsa_system_vgpr_workitem_id 0
		.amdhsa_next_free_vgpr 1
		.amdhsa_next_free_sgpr 1
		.amdhsa_reserve_vcc 0
		.amdhsa_float_round_mode_32 0
		.amdhsa_float_round_mode_16_64 0
		.amdhsa_float_denorm_mode_32 3
		.amdhsa_float_denorm_mode_16_64 3
		.amdhsa_dx10_clamp 1
		.amdhsa_ieee_mode 1
		.amdhsa_fp16_overflow 0
		.amdhsa_workgroup_processor_mode 1
		.amdhsa_memory_ordered 1
		.amdhsa_forward_progress 0
		.amdhsa_shared_vgpr_count 0
		.amdhsa_exception_fp_ieee_invalid_op 0
		.amdhsa_exception_fp_denorm_src 0
		.amdhsa_exception_fp_ieee_div_zero 0
		.amdhsa_exception_fp_ieee_overflow 0
		.amdhsa_exception_fp_ieee_underflow 0
		.amdhsa_exception_fp_ieee_inexact 0
		.amdhsa_exception_int_div_zero 0
	.end_amdhsa_kernel
	.section	.text._ZN7rocprim17ROCPRIM_400000_NS6detail17trampoline_kernelINS0_14default_configENS1_20scan_config_selectorIN3c107complexIdEEEEZZNS1_9scan_implILNS1_25lookback_scan_determinismE0ELb0ELb0ES3_PKS7_PS7_S7_ZZZN2at6native31launch_logcumsumexp_cuda_kernelERKNSE_10TensorBaseESI_lENKUlvE_clEvENKUlvE1_clEvEUlS7_S7_E_S7_EEDaPvRmT3_T4_T5_mT6_P12ihipStream_tbENKUlT_T0_E_clISt17integral_constantIbLb0EESZ_EEDaSU_SV_EUlSU_E_NS1_11comp_targetILNS1_3genE3ELNS1_11target_archE908ELNS1_3gpuE7ELNS1_3repE0EEENS1_30default_config_static_selectorELNS0_4arch9wavefront6targetE0EEEvT1_,"axG",@progbits,_ZN7rocprim17ROCPRIM_400000_NS6detail17trampoline_kernelINS0_14default_configENS1_20scan_config_selectorIN3c107complexIdEEEEZZNS1_9scan_implILNS1_25lookback_scan_determinismE0ELb0ELb0ES3_PKS7_PS7_S7_ZZZN2at6native31launch_logcumsumexp_cuda_kernelERKNSE_10TensorBaseESI_lENKUlvE_clEvENKUlvE1_clEvEUlS7_S7_E_S7_EEDaPvRmT3_T4_T5_mT6_P12ihipStream_tbENKUlT_T0_E_clISt17integral_constantIbLb0EESZ_EEDaSU_SV_EUlSU_E_NS1_11comp_targetILNS1_3genE3ELNS1_11target_archE908ELNS1_3gpuE7ELNS1_3repE0EEENS1_30default_config_static_selectorELNS0_4arch9wavefront6targetE0EEEvT1_,comdat
.Lfunc_end182:
	.size	_ZN7rocprim17ROCPRIM_400000_NS6detail17trampoline_kernelINS0_14default_configENS1_20scan_config_selectorIN3c107complexIdEEEEZZNS1_9scan_implILNS1_25lookback_scan_determinismE0ELb0ELb0ES3_PKS7_PS7_S7_ZZZN2at6native31launch_logcumsumexp_cuda_kernelERKNSE_10TensorBaseESI_lENKUlvE_clEvENKUlvE1_clEvEUlS7_S7_E_S7_EEDaPvRmT3_T4_T5_mT6_P12ihipStream_tbENKUlT_T0_E_clISt17integral_constantIbLb0EESZ_EEDaSU_SV_EUlSU_E_NS1_11comp_targetILNS1_3genE3ELNS1_11target_archE908ELNS1_3gpuE7ELNS1_3repE0EEENS1_30default_config_static_selectorELNS0_4arch9wavefront6targetE0EEEvT1_, .Lfunc_end182-_ZN7rocprim17ROCPRIM_400000_NS6detail17trampoline_kernelINS0_14default_configENS1_20scan_config_selectorIN3c107complexIdEEEEZZNS1_9scan_implILNS1_25lookback_scan_determinismE0ELb0ELb0ES3_PKS7_PS7_S7_ZZZN2at6native31launch_logcumsumexp_cuda_kernelERKNSE_10TensorBaseESI_lENKUlvE_clEvENKUlvE1_clEvEUlS7_S7_E_S7_EEDaPvRmT3_T4_T5_mT6_P12ihipStream_tbENKUlT_T0_E_clISt17integral_constantIbLb0EESZ_EEDaSU_SV_EUlSU_E_NS1_11comp_targetILNS1_3genE3ELNS1_11target_archE908ELNS1_3gpuE7ELNS1_3repE0EEENS1_30default_config_static_selectorELNS0_4arch9wavefront6targetE0EEEvT1_
                                        ; -- End function
	.section	.AMDGPU.csdata,"",@progbits
; Kernel info:
; codeLenInByte = 0
; NumSgprs: 0
; NumVgprs: 0
; ScratchSize: 0
; MemoryBound: 0
; FloatMode: 240
; IeeeMode: 1
; LDSByteSize: 0 bytes/workgroup (compile time only)
; SGPRBlocks: 0
; VGPRBlocks: 0
; NumSGPRsForWavesPerEU: 1
; NumVGPRsForWavesPerEU: 1
; Occupancy: 16
; WaveLimiterHint : 0
; COMPUTE_PGM_RSRC2:SCRATCH_EN: 0
; COMPUTE_PGM_RSRC2:USER_SGPR: 15
; COMPUTE_PGM_RSRC2:TRAP_HANDLER: 0
; COMPUTE_PGM_RSRC2:TGID_X_EN: 1
; COMPUTE_PGM_RSRC2:TGID_Y_EN: 0
; COMPUTE_PGM_RSRC2:TGID_Z_EN: 0
; COMPUTE_PGM_RSRC2:TIDIG_COMP_CNT: 0
	.section	.text._ZN7rocprim17ROCPRIM_400000_NS6detail17trampoline_kernelINS0_14default_configENS1_20scan_config_selectorIN3c107complexIdEEEEZZNS1_9scan_implILNS1_25lookback_scan_determinismE0ELb0ELb0ES3_PKS7_PS7_S7_ZZZN2at6native31launch_logcumsumexp_cuda_kernelERKNSE_10TensorBaseESI_lENKUlvE_clEvENKUlvE1_clEvEUlS7_S7_E_S7_EEDaPvRmT3_T4_T5_mT6_P12ihipStream_tbENKUlT_T0_E_clISt17integral_constantIbLb0EESZ_EEDaSU_SV_EUlSU_E_NS1_11comp_targetILNS1_3genE2ELNS1_11target_archE906ELNS1_3gpuE6ELNS1_3repE0EEENS1_30default_config_static_selectorELNS0_4arch9wavefront6targetE0EEEvT1_,"axG",@progbits,_ZN7rocprim17ROCPRIM_400000_NS6detail17trampoline_kernelINS0_14default_configENS1_20scan_config_selectorIN3c107complexIdEEEEZZNS1_9scan_implILNS1_25lookback_scan_determinismE0ELb0ELb0ES3_PKS7_PS7_S7_ZZZN2at6native31launch_logcumsumexp_cuda_kernelERKNSE_10TensorBaseESI_lENKUlvE_clEvENKUlvE1_clEvEUlS7_S7_E_S7_EEDaPvRmT3_T4_T5_mT6_P12ihipStream_tbENKUlT_T0_E_clISt17integral_constantIbLb0EESZ_EEDaSU_SV_EUlSU_E_NS1_11comp_targetILNS1_3genE2ELNS1_11target_archE906ELNS1_3gpuE6ELNS1_3repE0EEENS1_30default_config_static_selectorELNS0_4arch9wavefront6targetE0EEEvT1_,comdat
	.globl	_ZN7rocprim17ROCPRIM_400000_NS6detail17trampoline_kernelINS0_14default_configENS1_20scan_config_selectorIN3c107complexIdEEEEZZNS1_9scan_implILNS1_25lookback_scan_determinismE0ELb0ELb0ES3_PKS7_PS7_S7_ZZZN2at6native31launch_logcumsumexp_cuda_kernelERKNSE_10TensorBaseESI_lENKUlvE_clEvENKUlvE1_clEvEUlS7_S7_E_S7_EEDaPvRmT3_T4_T5_mT6_P12ihipStream_tbENKUlT_T0_E_clISt17integral_constantIbLb0EESZ_EEDaSU_SV_EUlSU_E_NS1_11comp_targetILNS1_3genE2ELNS1_11target_archE906ELNS1_3gpuE6ELNS1_3repE0EEENS1_30default_config_static_selectorELNS0_4arch9wavefront6targetE0EEEvT1_ ; -- Begin function _ZN7rocprim17ROCPRIM_400000_NS6detail17trampoline_kernelINS0_14default_configENS1_20scan_config_selectorIN3c107complexIdEEEEZZNS1_9scan_implILNS1_25lookback_scan_determinismE0ELb0ELb0ES3_PKS7_PS7_S7_ZZZN2at6native31launch_logcumsumexp_cuda_kernelERKNSE_10TensorBaseESI_lENKUlvE_clEvENKUlvE1_clEvEUlS7_S7_E_S7_EEDaPvRmT3_T4_T5_mT6_P12ihipStream_tbENKUlT_T0_E_clISt17integral_constantIbLb0EESZ_EEDaSU_SV_EUlSU_E_NS1_11comp_targetILNS1_3genE2ELNS1_11target_archE906ELNS1_3gpuE6ELNS1_3repE0EEENS1_30default_config_static_selectorELNS0_4arch9wavefront6targetE0EEEvT1_
	.p2align	8
	.type	_ZN7rocprim17ROCPRIM_400000_NS6detail17trampoline_kernelINS0_14default_configENS1_20scan_config_selectorIN3c107complexIdEEEEZZNS1_9scan_implILNS1_25lookback_scan_determinismE0ELb0ELb0ES3_PKS7_PS7_S7_ZZZN2at6native31launch_logcumsumexp_cuda_kernelERKNSE_10TensorBaseESI_lENKUlvE_clEvENKUlvE1_clEvEUlS7_S7_E_S7_EEDaPvRmT3_T4_T5_mT6_P12ihipStream_tbENKUlT_T0_E_clISt17integral_constantIbLb0EESZ_EEDaSU_SV_EUlSU_E_NS1_11comp_targetILNS1_3genE2ELNS1_11target_archE906ELNS1_3gpuE6ELNS1_3repE0EEENS1_30default_config_static_selectorELNS0_4arch9wavefront6targetE0EEEvT1_,@function
_ZN7rocprim17ROCPRIM_400000_NS6detail17trampoline_kernelINS0_14default_configENS1_20scan_config_selectorIN3c107complexIdEEEEZZNS1_9scan_implILNS1_25lookback_scan_determinismE0ELb0ELb0ES3_PKS7_PS7_S7_ZZZN2at6native31launch_logcumsumexp_cuda_kernelERKNSE_10TensorBaseESI_lENKUlvE_clEvENKUlvE1_clEvEUlS7_S7_E_S7_EEDaPvRmT3_T4_T5_mT6_P12ihipStream_tbENKUlT_T0_E_clISt17integral_constantIbLb0EESZ_EEDaSU_SV_EUlSU_E_NS1_11comp_targetILNS1_3genE2ELNS1_11target_archE906ELNS1_3gpuE6ELNS1_3repE0EEENS1_30default_config_static_selectorELNS0_4arch9wavefront6targetE0EEEvT1_: ; @_ZN7rocprim17ROCPRIM_400000_NS6detail17trampoline_kernelINS0_14default_configENS1_20scan_config_selectorIN3c107complexIdEEEEZZNS1_9scan_implILNS1_25lookback_scan_determinismE0ELb0ELb0ES3_PKS7_PS7_S7_ZZZN2at6native31launch_logcumsumexp_cuda_kernelERKNSE_10TensorBaseESI_lENKUlvE_clEvENKUlvE1_clEvEUlS7_S7_E_S7_EEDaPvRmT3_T4_T5_mT6_P12ihipStream_tbENKUlT_T0_E_clISt17integral_constantIbLb0EESZ_EEDaSU_SV_EUlSU_E_NS1_11comp_targetILNS1_3genE2ELNS1_11target_archE906ELNS1_3gpuE6ELNS1_3repE0EEENS1_30default_config_static_selectorELNS0_4arch9wavefront6targetE0EEEvT1_
; %bb.0:
	.section	.rodata,"a",@progbits
	.p2align	6, 0x0
	.amdhsa_kernel _ZN7rocprim17ROCPRIM_400000_NS6detail17trampoline_kernelINS0_14default_configENS1_20scan_config_selectorIN3c107complexIdEEEEZZNS1_9scan_implILNS1_25lookback_scan_determinismE0ELb0ELb0ES3_PKS7_PS7_S7_ZZZN2at6native31launch_logcumsumexp_cuda_kernelERKNSE_10TensorBaseESI_lENKUlvE_clEvENKUlvE1_clEvEUlS7_S7_E_S7_EEDaPvRmT3_T4_T5_mT6_P12ihipStream_tbENKUlT_T0_E_clISt17integral_constantIbLb0EESZ_EEDaSU_SV_EUlSU_E_NS1_11comp_targetILNS1_3genE2ELNS1_11target_archE906ELNS1_3gpuE6ELNS1_3repE0EEENS1_30default_config_static_selectorELNS0_4arch9wavefront6targetE0EEEvT1_
		.amdhsa_group_segment_fixed_size 0
		.amdhsa_private_segment_fixed_size 0
		.amdhsa_kernarg_size 128
		.amdhsa_user_sgpr_count 15
		.amdhsa_user_sgpr_dispatch_ptr 0
		.amdhsa_user_sgpr_queue_ptr 0
		.amdhsa_user_sgpr_kernarg_segment_ptr 1
		.amdhsa_user_sgpr_dispatch_id 0
		.amdhsa_user_sgpr_private_segment_size 0
		.amdhsa_wavefront_size32 1
		.amdhsa_uses_dynamic_stack 0
		.amdhsa_enable_private_segment 0
		.amdhsa_system_sgpr_workgroup_id_x 1
		.amdhsa_system_sgpr_workgroup_id_y 0
		.amdhsa_system_sgpr_workgroup_id_z 0
		.amdhsa_system_sgpr_workgroup_info 0
		.amdhsa_system_vgpr_workitem_id 0
		.amdhsa_next_free_vgpr 1
		.amdhsa_next_free_sgpr 1
		.amdhsa_reserve_vcc 0
		.amdhsa_float_round_mode_32 0
		.amdhsa_float_round_mode_16_64 0
		.amdhsa_float_denorm_mode_32 3
		.amdhsa_float_denorm_mode_16_64 3
		.amdhsa_dx10_clamp 1
		.amdhsa_ieee_mode 1
		.amdhsa_fp16_overflow 0
		.amdhsa_workgroup_processor_mode 1
		.amdhsa_memory_ordered 1
		.amdhsa_forward_progress 0
		.amdhsa_shared_vgpr_count 0
		.amdhsa_exception_fp_ieee_invalid_op 0
		.amdhsa_exception_fp_denorm_src 0
		.amdhsa_exception_fp_ieee_div_zero 0
		.amdhsa_exception_fp_ieee_overflow 0
		.amdhsa_exception_fp_ieee_underflow 0
		.amdhsa_exception_fp_ieee_inexact 0
		.amdhsa_exception_int_div_zero 0
	.end_amdhsa_kernel
	.section	.text._ZN7rocprim17ROCPRIM_400000_NS6detail17trampoline_kernelINS0_14default_configENS1_20scan_config_selectorIN3c107complexIdEEEEZZNS1_9scan_implILNS1_25lookback_scan_determinismE0ELb0ELb0ES3_PKS7_PS7_S7_ZZZN2at6native31launch_logcumsumexp_cuda_kernelERKNSE_10TensorBaseESI_lENKUlvE_clEvENKUlvE1_clEvEUlS7_S7_E_S7_EEDaPvRmT3_T4_T5_mT6_P12ihipStream_tbENKUlT_T0_E_clISt17integral_constantIbLb0EESZ_EEDaSU_SV_EUlSU_E_NS1_11comp_targetILNS1_3genE2ELNS1_11target_archE906ELNS1_3gpuE6ELNS1_3repE0EEENS1_30default_config_static_selectorELNS0_4arch9wavefront6targetE0EEEvT1_,"axG",@progbits,_ZN7rocprim17ROCPRIM_400000_NS6detail17trampoline_kernelINS0_14default_configENS1_20scan_config_selectorIN3c107complexIdEEEEZZNS1_9scan_implILNS1_25lookback_scan_determinismE0ELb0ELb0ES3_PKS7_PS7_S7_ZZZN2at6native31launch_logcumsumexp_cuda_kernelERKNSE_10TensorBaseESI_lENKUlvE_clEvENKUlvE1_clEvEUlS7_S7_E_S7_EEDaPvRmT3_T4_T5_mT6_P12ihipStream_tbENKUlT_T0_E_clISt17integral_constantIbLb0EESZ_EEDaSU_SV_EUlSU_E_NS1_11comp_targetILNS1_3genE2ELNS1_11target_archE906ELNS1_3gpuE6ELNS1_3repE0EEENS1_30default_config_static_selectorELNS0_4arch9wavefront6targetE0EEEvT1_,comdat
.Lfunc_end183:
	.size	_ZN7rocprim17ROCPRIM_400000_NS6detail17trampoline_kernelINS0_14default_configENS1_20scan_config_selectorIN3c107complexIdEEEEZZNS1_9scan_implILNS1_25lookback_scan_determinismE0ELb0ELb0ES3_PKS7_PS7_S7_ZZZN2at6native31launch_logcumsumexp_cuda_kernelERKNSE_10TensorBaseESI_lENKUlvE_clEvENKUlvE1_clEvEUlS7_S7_E_S7_EEDaPvRmT3_T4_T5_mT6_P12ihipStream_tbENKUlT_T0_E_clISt17integral_constantIbLb0EESZ_EEDaSU_SV_EUlSU_E_NS1_11comp_targetILNS1_3genE2ELNS1_11target_archE906ELNS1_3gpuE6ELNS1_3repE0EEENS1_30default_config_static_selectorELNS0_4arch9wavefront6targetE0EEEvT1_, .Lfunc_end183-_ZN7rocprim17ROCPRIM_400000_NS6detail17trampoline_kernelINS0_14default_configENS1_20scan_config_selectorIN3c107complexIdEEEEZZNS1_9scan_implILNS1_25lookback_scan_determinismE0ELb0ELb0ES3_PKS7_PS7_S7_ZZZN2at6native31launch_logcumsumexp_cuda_kernelERKNSE_10TensorBaseESI_lENKUlvE_clEvENKUlvE1_clEvEUlS7_S7_E_S7_EEDaPvRmT3_T4_T5_mT6_P12ihipStream_tbENKUlT_T0_E_clISt17integral_constantIbLb0EESZ_EEDaSU_SV_EUlSU_E_NS1_11comp_targetILNS1_3genE2ELNS1_11target_archE906ELNS1_3gpuE6ELNS1_3repE0EEENS1_30default_config_static_selectorELNS0_4arch9wavefront6targetE0EEEvT1_
                                        ; -- End function
	.section	.AMDGPU.csdata,"",@progbits
; Kernel info:
; codeLenInByte = 0
; NumSgprs: 0
; NumVgprs: 0
; ScratchSize: 0
; MemoryBound: 0
; FloatMode: 240
; IeeeMode: 1
; LDSByteSize: 0 bytes/workgroup (compile time only)
; SGPRBlocks: 0
; VGPRBlocks: 0
; NumSGPRsForWavesPerEU: 1
; NumVGPRsForWavesPerEU: 1
; Occupancy: 16
; WaveLimiterHint : 0
; COMPUTE_PGM_RSRC2:SCRATCH_EN: 0
; COMPUTE_PGM_RSRC2:USER_SGPR: 15
; COMPUTE_PGM_RSRC2:TRAP_HANDLER: 0
; COMPUTE_PGM_RSRC2:TGID_X_EN: 1
; COMPUTE_PGM_RSRC2:TGID_Y_EN: 0
; COMPUTE_PGM_RSRC2:TGID_Z_EN: 0
; COMPUTE_PGM_RSRC2:TIDIG_COMP_CNT: 0
	.section	.text._ZN7rocprim17ROCPRIM_400000_NS6detail17trampoline_kernelINS0_14default_configENS1_20scan_config_selectorIN3c107complexIdEEEEZZNS1_9scan_implILNS1_25lookback_scan_determinismE0ELb0ELb0ES3_PKS7_PS7_S7_ZZZN2at6native31launch_logcumsumexp_cuda_kernelERKNSE_10TensorBaseESI_lENKUlvE_clEvENKUlvE1_clEvEUlS7_S7_E_S7_EEDaPvRmT3_T4_T5_mT6_P12ihipStream_tbENKUlT_T0_E_clISt17integral_constantIbLb0EESZ_EEDaSU_SV_EUlSU_E_NS1_11comp_targetILNS1_3genE10ELNS1_11target_archE1201ELNS1_3gpuE5ELNS1_3repE0EEENS1_30default_config_static_selectorELNS0_4arch9wavefront6targetE0EEEvT1_,"axG",@progbits,_ZN7rocprim17ROCPRIM_400000_NS6detail17trampoline_kernelINS0_14default_configENS1_20scan_config_selectorIN3c107complexIdEEEEZZNS1_9scan_implILNS1_25lookback_scan_determinismE0ELb0ELb0ES3_PKS7_PS7_S7_ZZZN2at6native31launch_logcumsumexp_cuda_kernelERKNSE_10TensorBaseESI_lENKUlvE_clEvENKUlvE1_clEvEUlS7_S7_E_S7_EEDaPvRmT3_T4_T5_mT6_P12ihipStream_tbENKUlT_T0_E_clISt17integral_constantIbLb0EESZ_EEDaSU_SV_EUlSU_E_NS1_11comp_targetILNS1_3genE10ELNS1_11target_archE1201ELNS1_3gpuE5ELNS1_3repE0EEENS1_30default_config_static_selectorELNS0_4arch9wavefront6targetE0EEEvT1_,comdat
	.globl	_ZN7rocprim17ROCPRIM_400000_NS6detail17trampoline_kernelINS0_14default_configENS1_20scan_config_selectorIN3c107complexIdEEEEZZNS1_9scan_implILNS1_25lookback_scan_determinismE0ELb0ELb0ES3_PKS7_PS7_S7_ZZZN2at6native31launch_logcumsumexp_cuda_kernelERKNSE_10TensorBaseESI_lENKUlvE_clEvENKUlvE1_clEvEUlS7_S7_E_S7_EEDaPvRmT3_T4_T5_mT6_P12ihipStream_tbENKUlT_T0_E_clISt17integral_constantIbLb0EESZ_EEDaSU_SV_EUlSU_E_NS1_11comp_targetILNS1_3genE10ELNS1_11target_archE1201ELNS1_3gpuE5ELNS1_3repE0EEENS1_30default_config_static_selectorELNS0_4arch9wavefront6targetE0EEEvT1_ ; -- Begin function _ZN7rocprim17ROCPRIM_400000_NS6detail17trampoline_kernelINS0_14default_configENS1_20scan_config_selectorIN3c107complexIdEEEEZZNS1_9scan_implILNS1_25lookback_scan_determinismE0ELb0ELb0ES3_PKS7_PS7_S7_ZZZN2at6native31launch_logcumsumexp_cuda_kernelERKNSE_10TensorBaseESI_lENKUlvE_clEvENKUlvE1_clEvEUlS7_S7_E_S7_EEDaPvRmT3_T4_T5_mT6_P12ihipStream_tbENKUlT_T0_E_clISt17integral_constantIbLb0EESZ_EEDaSU_SV_EUlSU_E_NS1_11comp_targetILNS1_3genE10ELNS1_11target_archE1201ELNS1_3gpuE5ELNS1_3repE0EEENS1_30default_config_static_selectorELNS0_4arch9wavefront6targetE0EEEvT1_
	.p2align	8
	.type	_ZN7rocprim17ROCPRIM_400000_NS6detail17trampoline_kernelINS0_14default_configENS1_20scan_config_selectorIN3c107complexIdEEEEZZNS1_9scan_implILNS1_25lookback_scan_determinismE0ELb0ELb0ES3_PKS7_PS7_S7_ZZZN2at6native31launch_logcumsumexp_cuda_kernelERKNSE_10TensorBaseESI_lENKUlvE_clEvENKUlvE1_clEvEUlS7_S7_E_S7_EEDaPvRmT3_T4_T5_mT6_P12ihipStream_tbENKUlT_T0_E_clISt17integral_constantIbLb0EESZ_EEDaSU_SV_EUlSU_E_NS1_11comp_targetILNS1_3genE10ELNS1_11target_archE1201ELNS1_3gpuE5ELNS1_3repE0EEENS1_30default_config_static_selectorELNS0_4arch9wavefront6targetE0EEEvT1_,@function
_ZN7rocprim17ROCPRIM_400000_NS6detail17trampoline_kernelINS0_14default_configENS1_20scan_config_selectorIN3c107complexIdEEEEZZNS1_9scan_implILNS1_25lookback_scan_determinismE0ELb0ELb0ES3_PKS7_PS7_S7_ZZZN2at6native31launch_logcumsumexp_cuda_kernelERKNSE_10TensorBaseESI_lENKUlvE_clEvENKUlvE1_clEvEUlS7_S7_E_S7_EEDaPvRmT3_T4_T5_mT6_P12ihipStream_tbENKUlT_T0_E_clISt17integral_constantIbLb0EESZ_EEDaSU_SV_EUlSU_E_NS1_11comp_targetILNS1_3genE10ELNS1_11target_archE1201ELNS1_3gpuE5ELNS1_3repE0EEENS1_30default_config_static_selectorELNS0_4arch9wavefront6targetE0EEEvT1_: ; @_ZN7rocprim17ROCPRIM_400000_NS6detail17trampoline_kernelINS0_14default_configENS1_20scan_config_selectorIN3c107complexIdEEEEZZNS1_9scan_implILNS1_25lookback_scan_determinismE0ELb0ELb0ES3_PKS7_PS7_S7_ZZZN2at6native31launch_logcumsumexp_cuda_kernelERKNSE_10TensorBaseESI_lENKUlvE_clEvENKUlvE1_clEvEUlS7_S7_E_S7_EEDaPvRmT3_T4_T5_mT6_P12ihipStream_tbENKUlT_T0_E_clISt17integral_constantIbLb0EESZ_EEDaSU_SV_EUlSU_E_NS1_11comp_targetILNS1_3genE10ELNS1_11target_archE1201ELNS1_3gpuE5ELNS1_3repE0EEENS1_30default_config_static_selectorELNS0_4arch9wavefront6targetE0EEEvT1_
; %bb.0:
	.section	.rodata,"a",@progbits
	.p2align	6, 0x0
	.amdhsa_kernel _ZN7rocprim17ROCPRIM_400000_NS6detail17trampoline_kernelINS0_14default_configENS1_20scan_config_selectorIN3c107complexIdEEEEZZNS1_9scan_implILNS1_25lookback_scan_determinismE0ELb0ELb0ES3_PKS7_PS7_S7_ZZZN2at6native31launch_logcumsumexp_cuda_kernelERKNSE_10TensorBaseESI_lENKUlvE_clEvENKUlvE1_clEvEUlS7_S7_E_S7_EEDaPvRmT3_T4_T5_mT6_P12ihipStream_tbENKUlT_T0_E_clISt17integral_constantIbLb0EESZ_EEDaSU_SV_EUlSU_E_NS1_11comp_targetILNS1_3genE10ELNS1_11target_archE1201ELNS1_3gpuE5ELNS1_3repE0EEENS1_30default_config_static_selectorELNS0_4arch9wavefront6targetE0EEEvT1_
		.amdhsa_group_segment_fixed_size 0
		.amdhsa_private_segment_fixed_size 0
		.amdhsa_kernarg_size 128
		.amdhsa_user_sgpr_count 15
		.amdhsa_user_sgpr_dispatch_ptr 0
		.amdhsa_user_sgpr_queue_ptr 0
		.amdhsa_user_sgpr_kernarg_segment_ptr 1
		.amdhsa_user_sgpr_dispatch_id 0
		.amdhsa_user_sgpr_private_segment_size 0
		.amdhsa_wavefront_size32 1
		.amdhsa_uses_dynamic_stack 0
		.amdhsa_enable_private_segment 0
		.amdhsa_system_sgpr_workgroup_id_x 1
		.amdhsa_system_sgpr_workgroup_id_y 0
		.amdhsa_system_sgpr_workgroup_id_z 0
		.amdhsa_system_sgpr_workgroup_info 0
		.amdhsa_system_vgpr_workitem_id 0
		.amdhsa_next_free_vgpr 1
		.amdhsa_next_free_sgpr 1
		.amdhsa_reserve_vcc 0
		.amdhsa_float_round_mode_32 0
		.amdhsa_float_round_mode_16_64 0
		.amdhsa_float_denorm_mode_32 3
		.amdhsa_float_denorm_mode_16_64 3
		.amdhsa_dx10_clamp 1
		.amdhsa_ieee_mode 1
		.amdhsa_fp16_overflow 0
		.amdhsa_workgroup_processor_mode 1
		.amdhsa_memory_ordered 1
		.amdhsa_forward_progress 0
		.amdhsa_shared_vgpr_count 0
		.amdhsa_exception_fp_ieee_invalid_op 0
		.amdhsa_exception_fp_denorm_src 0
		.amdhsa_exception_fp_ieee_div_zero 0
		.amdhsa_exception_fp_ieee_overflow 0
		.amdhsa_exception_fp_ieee_underflow 0
		.amdhsa_exception_fp_ieee_inexact 0
		.amdhsa_exception_int_div_zero 0
	.end_amdhsa_kernel
	.section	.text._ZN7rocprim17ROCPRIM_400000_NS6detail17trampoline_kernelINS0_14default_configENS1_20scan_config_selectorIN3c107complexIdEEEEZZNS1_9scan_implILNS1_25lookback_scan_determinismE0ELb0ELb0ES3_PKS7_PS7_S7_ZZZN2at6native31launch_logcumsumexp_cuda_kernelERKNSE_10TensorBaseESI_lENKUlvE_clEvENKUlvE1_clEvEUlS7_S7_E_S7_EEDaPvRmT3_T4_T5_mT6_P12ihipStream_tbENKUlT_T0_E_clISt17integral_constantIbLb0EESZ_EEDaSU_SV_EUlSU_E_NS1_11comp_targetILNS1_3genE10ELNS1_11target_archE1201ELNS1_3gpuE5ELNS1_3repE0EEENS1_30default_config_static_selectorELNS0_4arch9wavefront6targetE0EEEvT1_,"axG",@progbits,_ZN7rocprim17ROCPRIM_400000_NS6detail17trampoline_kernelINS0_14default_configENS1_20scan_config_selectorIN3c107complexIdEEEEZZNS1_9scan_implILNS1_25lookback_scan_determinismE0ELb0ELb0ES3_PKS7_PS7_S7_ZZZN2at6native31launch_logcumsumexp_cuda_kernelERKNSE_10TensorBaseESI_lENKUlvE_clEvENKUlvE1_clEvEUlS7_S7_E_S7_EEDaPvRmT3_T4_T5_mT6_P12ihipStream_tbENKUlT_T0_E_clISt17integral_constantIbLb0EESZ_EEDaSU_SV_EUlSU_E_NS1_11comp_targetILNS1_3genE10ELNS1_11target_archE1201ELNS1_3gpuE5ELNS1_3repE0EEENS1_30default_config_static_selectorELNS0_4arch9wavefront6targetE0EEEvT1_,comdat
.Lfunc_end184:
	.size	_ZN7rocprim17ROCPRIM_400000_NS6detail17trampoline_kernelINS0_14default_configENS1_20scan_config_selectorIN3c107complexIdEEEEZZNS1_9scan_implILNS1_25lookback_scan_determinismE0ELb0ELb0ES3_PKS7_PS7_S7_ZZZN2at6native31launch_logcumsumexp_cuda_kernelERKNSE_10TensorBaseESI_lENKUlvE_clEvENKUlvE1_clEvEUlS7_S7_E_S7_EEDaPvRmT3_T4_T5_mT6_P12ihipStream_tbENKUlT_T0_E_clISt17integral_constantIbLb0EESZ_EEDaSU_SV_EUlSU_E_NS1_11comp_targetILNS1_3genE10ELNS1_11target_archE1201ELNS1_3gpuE5ELNS1_3repE0EEENS1_30default_config_static_selectorELNS0_4arch9wavefront6targetE0EEEvT1_, .Lfunc_end184-_ZN7rocprim17ROCPRIM_400000_NS6detail17trampoline_kernelINS0_14default_configENS1_20scan_config_selectorIN3c107complexIdEEEEZZNS1_9scan_implILNS1_25lookback_scan_determinismE0ELb0ELb0ES3_PKS7_PS7_S7_ZZZN2at6native31launch_logcumsumexp_cuda_kernelERKNSE_10TensorBaseESI_lENKUlvE_clEvENKUlvE1_clEvEUlS7_S7_E_S7_EEDaPvRmT3_T4_T5_mT6_P12ihipStream_tbENKUlT_T0_E_clISt17integral_constantIbLb0EESZ_EEDaSU_SV_EUlSU_E_NS1_11comp_targetILNS1_3genE10ELNS1_11target_archE1201ELNS1_3gpuE5ELNS1_3repE0EEENS1_30default_config_static_selectorELNS0_4arch9wavefront6targetE0EEEvT1_
                                        ; -- End function
	.section	.AMDGPU.csdata,"",@progbits
; Kernel info:
; codeLenInByte = 0
; NumSgprs: 0
; NumVgprs: 0
; ScratchSize: 0
; MemoryBound: 0
; FloatMode: 240
; IeeeMode: 1
; LDSByteSize: 0 bytes/workgroup (compile time only)
; SGPRBlocks: 0
; VGPRBlocks: 0
; NumSGPRsForWavesPerEU: 1
; NumVGPRsForWavesPerEU: 1
; Occupancy: 16
; WaveLimiterHint : 0
; COMPUTE_PGM_RSRC2:SCRATCH_EN: 0
; COMPUTE_PGM_RSRC2:USER_SGPR: 15
; COMPUTE_PGM_RSRC2:TRAP_HANDLER: 0
; COMPUTE_PGM_RSRC2:TGID_X_EN: 1
; COMPUTE_PGM_RSRC2:TGID_Y_EN: 0
; COMPUTE_PGM_RSRC2:TGID_Z_EN: 0
; COMPUTE_PGM_RSRC2:TIDIG_COMP_CNT: 0
	.section	.text._ZN7rocprim17ROCPRIM_400000_NS6detail17trampoline_kernelINS0_14default_configENS1_20scan_config_selectorIN3c107complexIdEEEEZZNS1_9scan_implILNS1_25lookback_scan_determinismE0ELb0ELb0ES3_PKS7_PS7_S7_ZZZN2at6native31launch_logcumsumexp_cuda_kernelERKNSE_10TensorBaseESI_lENKUlvE_clEvENKUlvE1_clEvEUlS7_S7_E_S7_EEDaPvRmT3_T4_T5_mT6_P12ihipStream_tbENKUlT_T0_E_clISt17integral_constantIbLb0EESZ_EEDaSU_SV_EUlSU_E_NS1_11comp_targetILNS1_3genE10ELNS1_11target_archE1200ELNS1_3gpuE4ELNS1_3repE0EEENS1_30default_config_static_selectorELNS0_4arch9wavefront6targetE0EEEvT1_,"axG",@progbits,_ZN7rocprim17ROCPRIM_400000_NS6detail17trampoline_kernelINS0_14default_configENS1_20scan_config_selectorIN3c107complexIdEEEEZZNS1_9scan_implILNS1_25lookback_scan_determinismE0ELb0ELb0ES3_PKS7_PS7_S7_ZZZN2at6native31launch_logcumsumexp_cuda_kernelERKNSE_10TensorBaseESI_lENKUlvE_clEvENKUlvE1_clEvEUlS7_S7_E_S7_EEDaPvRmT3_T4_T5_mT6_P12ihipStream_tbENKUlT_T0_E_clISt17integral_constantIbLb0EESZ_EEDaSU_SV_EUlSU_E_NS1_11comp_targetILNS1_3genE10ELNS1_11target_archE1200ELNS1_3gpuE4ELNS1_3repE0EEENS1_30default_config_static_selectorELNS0_4arch9wavefront6targetE0EEEvT1_,comdat
	.globl	_ZN7rocprim17ROCPRIM_400000_NS6detail17trampoline_kernelINS0_14default_configENS1_20scan_config_selectorIN3c107complexIdEEEEZZNS1_9scan_implILNS1_25lookback_scan_determinismE0ELb0ELb0ES3_PKS7_PS7_S7_ZZZN2at6native31launch_logcumsumexp_cuda_kernelERKNSE_10TensorBaseESI_lENKUlvE_clEvENKUlvE1_clEvEUlS7_S7_E_S7_EEDaPvRmT3_T4_T5_mT6_P12ihipStream_tbENKUlT_T0_E_clISt17integral_constantIbLb0EESZ_EEDaSU_SV_EUlSU_E_NS1_11comp_targetILNS1_3genE10ELNS1_11target_archE1200ELNS1_3gpuE4ELNS1_3repE0EEENS1_30default_config_static_selectorELNS0_4arch9wavefront6targetE0EEEvT1_ ; -- Begin function _ZN7rocprim17ROCPRIM_400000_NS6detail17trampoline_kernelINS0_14default_configENS1_20scan_config_selectorIN3c107complexIdEEEEZZNS1_9scan_implILNS1_25lookback_scan_determinismE0ELb0ELb0ES3_PKS7_PS7_S7_ZZZN2at6native31launch_logcumsumexp_cuda_kernelERKNSE_10TensorBaseESI_lENKUlvE_clEvENKUlvE1_clEvEUlS7_S7_E_S7_EEDaPvRmT3_T4_T5_mT6_P12ihipStream_tbENKUlT_T0_E_clISt17integral_constantIbLb0EESZ_EEDaSU_SV_EUlSU_E_NS1_11comp_targetILNS1_3genE10ELNS1_11target_archE1200ELNS1_3gpuE4ELNS1_3repE0EEENS1_30default_config_static_selectorELNS0_4arch9wavefront6targetE0EEEvT1_
	.p2align	8
	.type	_ZN7rocprim17ROCPRIM_400000_NS6detail17trampoline_kernelINS0_14default_configENS1_20scan_config_selectorIN3c107complexIdEEEEZZNS1_9scan_implILNS1_25lookback_scan_determinismE0ELb0ELb0ES3_PKS7_PS7_S7_ZZZN2at6native31launch_logcumsumexp_cuda_kernelERKNSE_10TensorBaseESI_lENKUlvE_clEvENKUlvE1_clEvEUlS7_S7_E_S7_EEDaPvRmT3_T4_T5_mT6_P12ihipStream_tbENKUlT_T0_E_clISt17integral_constantIbLb0EESZ_EEDaSU_SV_EUlSU_E_NS1_11comp_targetILNS1_3genE10ELNS1_11target_archE1200ELNS1_3gpuE4ELNS1_3repE0EEENS1_30default_config_static_selectorELNS0_4arch9wavefront6targetE0EEEvT1_,@function
_ZN7rocprim17ROCPRIM_400000_NS6detail17trampoline_kernelINS0_14default_configENS1_20scan_config_selectorIN3c107complexIdEEEEZZNS1_9scan_implILNS1_25lookback_scan_determinismE0ELb0ELb0ES3_PKS7_PS7_S7_ZZZN2at6native31launch_logcumsumexp_cuda_kernelERKNSE_10TensorBaseESI_lENKUlvE_clEvENKUlvE1_clEvEUlS7_S7_E_S7_EEDaPvRmT3_T4_T5_mT6_P12ihipStream_tbENKUlT_T0_E_clISt17integral_constantIbLb0EESZ_EEDaSU_SV_EUlSU_E_NS1_11comp_targetILNS1_3genE10ELNS1_11target_archE1200ELNS1_3gpuE4ELNS1_3repE0EEENS1_30default_config_static_selectorELNS0_4arch9wavefront6targetE0EEEvT1_: ; @_ZN7rocprim17ROCPRIM_400000_NS6detail17trampoline_kernelINS0_14default_configENS1_20scan_config_selectorIN3c107complexIdEEEEZZNS1_9scan_implILNS1_25lookback_scan_determinismE0ELb0ELb0ES3_PKS7_PS7_S7_ZZZN2at6native31launch_logcumsumexp_cuda_kernelERKNSE_10TensorBaseESI_lENKUlvE_clEvENKUlvE1_clEvEUlS7_S7_E_S7_EEDaPvRmT3_T4_T5_mT6_P12ihipStream_tbENKUlT_T0_E_clISt17integral_constantIbLb0EESZ_EEDaSU_SV_EUlSU_E_NS1_11comp_targetILNS1_3genE10ELNS1_11target_archE1200ELNS1_3gpuE4ELNS1_3repE0EEENS1_30default_config_static_selectorELNS0_4arch9wavefront6targetE0EEEvT1_
; %bb.0:
	.section	.rodata,"a",@progbits
	.p2align	6, 0x0
	.amdhsa_kernel _ZN7rocprim17ROCPRIM_400000_NS6detail17trampoline_kernelINS0_14default_configENS1_20scan_config_selectorIN3c107complexIdEEEEZZNS1_9scan_implILNS1_25lookback_scan_determinismE0ELb0ELb0ES3_PKS7_PS7_S7_ZZZN2at6native31launch_logcumsumexp_cuda_kernelERKNSE_10TensorBaseESI_lENKUlvE_clEvENKUlvE1_clEvEUlS7_S7_E_S7_EEDaPvRmT3_T4_T5_mT6_P12ihipStream_tbENKUlT_T0_E_clISt17integral_constantIbLb0EESZ_EEDaSU_SV_EUlSU_E_NS1_11comp_targetILNS1_3genE10ELNS1_11target_archE1200ELNS1_3gpuE4ELNS1_3repE0EEENS1_30default_config_static_selectorELNS0_4arch9wavefront6targetE0EEEvT1_
		.amdhsa_group_segment_fixed_size 0
		.amdhsa_private_segment_fixed_size 0
		.amdhsa_kernarg_size 128
		.amdhsa_user_sgpr_count 15
		.amdhsa_user_sgpr_dispatch_ptr 0
		.amdhsa_user_sgpr_queue_ptr 0
		.amdhsa_user_sgpr_kernarg_segment_ptr 1
		.amdhsa_user_sgpr_dispatch_id 0
		.amdhsa_user_sgpr_private_segment_size 0
		.amdhsa_wavefront_size32 1
		.amdhsa_uses_dynamic_stack 0
		.amdhsa_enable_private_segment 0
		.amdhsa_system_sgpr_workgroup_id_x 1
		.amdhsa_system_sgpr_workgroup_id_y 0
		.amdhsa_system_sgpr_workgroup_id_z 0
		.amdhsa_system_sgpr_workgroup_info 0
		.amdhsa_system_vgpr_workitem_id 0
		.amdhsa_next_free_vgpr 1
		.amdhsa_next_free_sgpr 1
		.amdhsa_reserve_vcc 0
		.amdhsa_float_round_mode_32 0
		.amdhsa_float_round_mode_16_64 0
		.amdhsa_float_denorm_mode_32 3
		.amdhsa_float_denorm_mode_16_64 3
		.amdhsa_dx10_clamp 1
		.amdhsa_ieee_mode 1
		.amdhsa_fp16_overflow 0
		.amdhsa_workgroup_processor_mode 1
		.amdhsa_memory_ordered 1
		.amdhsa_forward_progress 0
		.amdhsa_shared_vgpr_count 0
		.amdhsa_exception_fp_ieee_invalid_op 0
		.amdhsa_exception_fp_denorm_src 0
		.amdhsa_exception_fp_ieee_div_zero 0
		.amdhsa_exception_fp_ieee_overflow 0
		.amdhsa_exception_fp_ieee_underflow 0
		.amdhsa_exception_fp_ieee_inexact 0
		.amdhsa_exception_int_div_zero 0
	.end_amdhsa_kernel
	.section	.text._ZN7rocprim17ROCPRIM_400000_NS6detail17trampoline_kernelINS0_14default_configENS1_20scan_config_selectorIN3c107complexIdEEEEZZNS1_9scan_implILNS1_25lookback_scan_determinismE0ELb0ELb0ES3_PKS7_PS7_S7_ZZZN2at6native31launch_logcumsumexp_cuda_kernelERKNSE_10TensorBaseESI_lENKUlvE_clEvENKUlvE1_clEvEUlS7_S7_E_S7_EEDaPvRmT3_T4_T5_mT6_P12ihipStream_tbENKUlT_T0_E_clISt17integral_constantIbLb0EESZ_EEDaSU_SV_EUlSU_E_NS1_11comp_targetILNS1_3genE10ELNS1_11target_archE1200ELNS1_3gpuE4ELNS1_3repE0EEENS1_30default_config_static_selectorELNS0_4arch9wavefront6targetE0EEEvT1_,"axG",@progbits,_ZN7rocprim17ROCPRIM_400000_NS6detail17trampoline_kernelINS0_14default_configENS1_20scan_config_selectorIN3c107complexIdEEEEZZNS1_9scan_implILNS1_25lookback_scan_determinismE0ELb0ELb0ES3_PKS7_PS7_S7_ZZZN2at6native31launch_logcumsumexp_cuda_kernelERKNSE_10TensorBaseESI_lENKUlvE_clEvENKUlvE1_clEvEUlS7_S7_E_S7_EEDaPvRmT3_T4_T5_mT6_P12ihipStream_tbENKUlT_T0_E_clISt17integral_constantIbLb0EESZ_EEDaSU_SV_EUlSU_E_NS1_11comp_targetILNS1_3genE10ELNS1_11target_archE1200ELNS1_3gpuE4ELNS1_3repE0EEENS1_30default_config_static_selectorELNS0_4arch9wavefront6targetE0EEEvT1_,comdat
.Lfunc_end185:
	.size	_ZN7rocprim17ROCPRIM_400000_NS6detail17trampoline_kernelINS0_14default_configENS1_20scan_config_selectorIN3c107complexIdEEEEZZNS1_9scan_implILNS1_25lookback_scan_determinismE0ELb0ELb0ES3_PKS7_PS7_S7_ZZZN2at6native31launch_logcumsumexp_cuda_kernelERKNSE_10TensorBaseESI_lENKUlvE_clEvENKUlvE1_clEvEUlS7_S7_E_S7_EEDaPvRmT3_T4_T5_mT6_P12ihipStream_tbENKUlT_T0_E_clISt17integral_constantIbLb0EESZ_EEDaSU_SV_EUlSU_E_NS1_11comp_targetILNS1_3genE10ELNS1_11target_archE1200ELNS1_3gpuE4ELNS1_3repE0EEENS1_30default_config_static_selectorELNS0_4arch9wavefront6targetE0EEEvT1_, .Lfunc_end185-_ZN7rocprim17ROCPRIM_400000_NS6detail17trampoline_kernelINS0_14default_configENS1_20scan_config_selectorIN3c107complexIdEEEEZZNS1_9scan_implILNS1_25lookback_scan_determinismE0ELb0ELb0ES3_PKS7_PS7_S7_ZZZN2at6native31launch_logcumsumexp_cuda_kernelERKNSE_10TensorBaseESI_lENKUlvE_clEvENKUlvE1_clEvEUlS7_S7_E_S7_EEDaPvRmT3_T4_T5_mT6_P12ihipStream_tbENKUlT_T0_E_clISt17integral_constantIbLb0EESZ_EEDaSU_SV_EUlSU_E_NS1_11comp_targetILNS1_3genE10ELNS1_11target_archE1200ELNS1_3gpuE4ELNS1_3repE0EEENS1_30default_config_static_selectorELNS0_4arch9wavefront6targetE0EEEvT1_
                                        ; -- End function
	.section	.AMDGPU.csdata,"",@progbits
; Kernel info:
; codeLenInByte = 0
; NumSgprs: 0
; NumVgprs: 0
; ScratchSize: 0
; MemoryBound: 0
; FloatMode: 240
; IeeeMode: 1
; LDSByteSize: 0 bytes/workgroup (compile time only)
; SGPRBlocks: 0
; VGPRBlocks: 0
; NumSGPRsForWavesPerEU: 1
; NumVGPRsForWavesPerEU: 1
; Occupancy: 16
; WaveLimiterHint : 0
; COMPUTE_PGM_RSRC2:SCRATCH_EN: 0
; COMPUTE_PGM_RSRC2:USER_SGPR: 15
; COMPUTE_PGM_RSRC2:TRAP_HANDLER: 0
; COMPUTE_PGM_RSRC2:TGID_X_EN: 1
; COMPUTE_PGM_RSRC2:TGID_Y_EN: 0
; COMPUTE_PGM_RSRC2:TGID_Z_EN: 0
; COMPUTE_PGM_RSRC2:TIDIG_COMP_CNT: 0
	.text
	.p2align	2                               ; -- Begin function _ZZZZN2at6native31launch_logcumsumexp_cuda_kernelERKNS_10TensorBaseES3_lENKUlvE_clEvENKUlvE1_clEvENKUlN3c107complexIdEES8_E_clES8_S8_
	.type	_ZZZZN2at6native31launch_logcumsumexp_cuda_kernelERKNS_10TensorBaseES3_lENKUlvE_clEvENKUlvE1_clEvENKUlN3c107complexIdEES8_E_clES8_S8_,@function
_ZZZZN2at6native31launch_logcumsumexp_cuda_kernelERKNS_10TensorBaseES3_lENKUlvE_clEvENKUlvE1_clEvENKUlN3c107complexIdEES8_E_clES8_S8_: ; @_ZZZZN2at6native31launch_logcumsumexp_cuda_kernelERKNS_10TensorBaseES3_lENKUlvE_clEvENKUlvE1_clEvENKUlN3c107complexIdEES8_E_clES8_S8_
; %bb.0:
	s_waitcnt vmcnt(0) expcnt(0) lgkmcnt(0)
	v_cmp_o_f64_e32 vcc_lo, v[4:5], v[4:5]
	v_cmp_o_f64_e64 s0, v[6:7], v[6:7]
	v_dual_mov_b32 v9, v7 :: v_dual_mov_b32 v8, v6
	v_dual_mov_b32 v11, v5 :: v_dual_mov_b32 v10, v4
	s_delay_alu instid0(VALU_DEP_3) | instskip(NEXT) | instid1(SALU_CYCLE_1)
	s_and_b32 s2, vcc_lo, s0
	s_and_saveexec_b32 s3, s2
; %bb.1:
	v_cmp_u_f64_e32 vcc_lo, v[0:1], v[0:1]
	v_cmp_u_f64_e64 s0, v[2:3], v[2:3]
	v_cmp_lt_f64_e64 s1, v[0:1], v[4:5]
	s_delay_alu instid0(VALU_DEP_2)
	s_or_b32 s0, vcc_lo, s0
	s_delay_alu instid0(VALU_DEP_1) | instid1(SALU_CYCLE_1)
	s_or_b32 vcc_lo, s1, s0
	v_dual_cndmask_b32 v11, v5, v1 :: v_dual_cndmask_b32 v10, v4, v0
	v_dual_cndmask_b32 v9, v7, v3 :: v_dual_cndmask_b32 v8, v6, v2
; %bb.2:
	s_or_b32 exec_lo, exec_lo, s3
	s_and_saveexec_b32 s3, s2
; %bb.3:
	v_cmp_u_f64_e32 vcc_lo, v[0:1], v[0:1]
	v_cmp_u_f64_e64 s0, v[2:3], v[2:3]
	v_cmp_ge_f64_e64 s1, v[0:1], v[4:5]
	s_delay_alu instid0(VALU_DEP_2)
	s_or_b32 s0, vcc_lo, s0
	s_delay_alu instid0(VALU_DEP_1) | instid1(SALU_CYCLE_1)
	s_or_b32 vcc_lo, s1, s0
	v_dual_cndmask_b32 v5, v5, v1 :: v_dual_cndmask_b32 v4, v4, v0
	v_dual_cndmask_b32 v7, v7, v3 :: v_dual_cndmask_b32 v6, v6, v2
; %bb.4:
	s_or_b32 exec_lo, exec_lo, s3
	v_cmp_o_f64_e32 vcc_lo, v[10:11], v[10:11]
	v_cmp_o_f64_e64 s0, v[8:9], v[8:9]
	s_mov_b32 s2, 0
	s_mov_b32 s3, 0x7ff80000
	v_mov_b32_e32 v0, s2
	v_mov_b32_e32 v1, s3
	s_delay_alu instid0(VALU_DEP_1) | instskip(NEXT) | instid1(VALU_DEP_4)
	v_dual_mov_b32 v3, v1 :: v_dual_mov_b32 v2, v0
	s_and_b32 s0, vcc_lo, s0
	s_delay_alu instid0(SALU_CYCLE_1)
	s_and_saveexec_b32 s10, s0
	s_cbranch_execz .LBB186_48
; %bb.5:
	v_cmp_class_f64_e64 s0, v[10:11], 0x1f8
	v_cmp_neq_f64_e32 vcc_lo, v[10:11], v[4:5]
	s_delay_alu instid0(VALU_DEP_2) | instskip(NEXT) | instid1(SALU_CYCLE_1)
	s_or_b32 s0, s0, vcc_lo
	s_and_saveexec_b32 s1, s0
	s_delay_alu instid0(SALU_CYCLE_1)
	s_xor_b32 s11, exec_lo, s1
	s_cbranch_execz .LBB186_21
; %bb.6:
	v_add_f64 v[0:1], v[8:9], -v[6:7]
                                        ; implicit-def: $vgpr24
                                        ; implicit-def: $vgpr2_vgpr3
                                        ; implicit-def: $vgpr8_vgpr9
	s_delay_alu instid0(VALU_DEP_1)
	v_cmp_ngt_f64_e64 s1, 0x41d00000, |v[0:1]|
	v_trig_preop_f64 v[20:21], |v[0:1]|, 0
	v_trig_preop_f64 v[18:19], |v[0:1]|, 1
	v_ldexp_f64 v[22:23], |v[0:1]|, 0xffffff80
	v_trig_preop_f64 v[14:15], |v[0:1]|, 2
	v_and_b32_e32 v26, 0x7fffffff, v1
	s_and_saveexec_b32 s0, s1
	s_delay_alu instid0(SALU_CYCLE_1)
	s_xor_b32 s2, exec_lo, s0
	s_cbranch_execz .LBB186_8
; %bb.7:
	v_cmp_le_f64_e64 vcc_lo, 0x7b000000, |v[0:1]|
	v_mov_b32_e32 v37, 0
	s_mov_b32 s4, 0x54442d18
	s_mov_b32 s5, 0x3ff921fb
	;; [unrolled: 1-line block ×4, first 2 shown]
	v_dual_cndmask_b32 v3, v26, v23 :: v_dual_cndmask_b32 v2, v0, v22
	s_delay_alu instid0(VALU_DEP_1) | instskip(SKIP_2) | instid1(VALU_DEP_3)
	v_mul_f64 v[8:9], v[20:21], v[2:3]
	v_mul_f64 v[12:13], v[18:19], v[2:3]
	;; [unrolled: 1-line block ×3, first 2 shown]
	v_fma_f64 v[16:17], v[20:21], v[2:3], -v[8:9]
	s_delay_alu instid0(VALU_DEP_3) | instskip(NEXT) | instid1(VALU_DEP_3)
	v_fma_f64 v[35:36], v[18:19], v[2:3], -v[12:13]
	v_fma_f64 v[2:3], v[14:15], v[2:3], -v[33:34]
	s_delay_alu instid0(VALU_DEP_3) | instskip(NEXT) | instid1(VALU_DEP_1)
	v_add_f64 v[24:25], v[12:13], v[16:17]
	v_add_f64 v[27:28], v[24:25], -v[12:13]
	v_add_f64 v[31:32], v[8:9], v[24:25]
	s_delay_alu instid0(VALU_DEP_2) | instskip(SKIP_1) | instid1(VALU_DEP_3)
	v_add_f64 v[29:30], v[24:25], -v[27:28]
	v_add_f64 v[16:17], v[16:17], -v[27:28]
	v_ldexp_f64 v[27:28], v[31:32], -2
	v_add_f64 v[8:9], v[31:32], -v[8:9]
	s_delay_alu instid0(VALU_DEP_4) | instskip(SKIP_1) | instid1(VALU_DEP_4)
	v_add_f64 v[12:13], v[12:13], -v[29:30]
	v_add_f64 v[29:30], v[33:34], v[35:36]
	v_cmp_neq_f64_e64 vcc_lo, 0x7ff00000, |v[27:28]|
	s_delay_alu instid0(VALU_DEP_4) | instskip(NEXT) | instid1(VALU_DEP_4)
	v_add_f64 v[8:9], v[24:25], -v[8:9]
	v_add_f64 v[12:13], v[16:17], v[12:13]
	v_fract_f64_e32 v[16:17], v[27:28]
	s_delay_alu instid0(VALU_DEP_2) | instskip(NEXT) | instid1(VALU_DEP_2)
	v_add_f64 v[24:25], v[29:30], v[12:13]
	v_dual_cndmask_b32 v17, 0, v17 :: v_dual_cndmask_b32 v16, 0, v16
	s_delay_alu instid0(VALU_DEP_1) | instskip(NEXT) | instid1(VALU_DEP_3)
	v_ldexp_f64 v[16:17], v[16:17], 2
	v_add_f64 v[27:28], v[8:9], v[24:25]
	s_delay_alu instid0(VALU_DEP_1) | instskip(SKIP_1) | instid1(VALU_DEP_2)
	v_add_f64 v[31:32], v[27:28], v[16:17]
	v_add_f64 v[8:9], v[27:28], -v[8:9]
	v_cmp_gt_f64_e32 vcc_lo, 0, v[31:32]
	v_add_f64 v[31:32], v[29:30], -v[33:34]
	s_delay_alu instid0(VALU_DEP_3) | instskip(SKIP_1) | instid1(VALU_DEP_3)
	v_add_f64 v[8:9], v[24:25], -v[8:9]
	v_cndmask_b32_e64 v38, 0, 0x40100000, vcc_lo
	v_add_f64 v[50:51], v[29:30], -v[31:32]
	v_add_f64 v[31:32], v[35:36], -v[31:32]
	s_delay_alu instid0(VALU_DEP_3) | instskip(SKIP_1) | instid1(VALU_DEP_4)
	v_add_f64 v[16:17], v[16:17], v[37:38]
	v_add_f64 v[38:39], v[24:25], -v[29:30]
	v_add_f64 v[35:36], v[33:34], -v[50:51]
	s_delay_alu instid0(VALU_DEP_3) | instskip(NEXT) | instid1(VALU_DEP_3)
	v_add_f64 v[48:49], v[27:28], v[16:17]
	v_add_f64 v[52:53], v[24:25], -v[38:39]
	v_add_f64 v[12:13], v[12:13], -v[38:39]
	s_delay_alu instid0(VALU_DEP_4) | instskip(NEXT) | instid1(VALU_DEP_4)
	v_add_f64 v[31:32], v[31:32], v[35:36]
	v_cvt_i32_f64_e32 v48, v[48:49]
	s_delay_alu instid0(VALU_DEP_4) | instskip(NEXT) | instid1(VALU_DEP_2)
	v_add_f64 v[29:30], v[29:30], -v[52:53]
	v_cvt_f64_i32_e32 v[38:39], v48
	s_delay_alu instid0(VALU_DEP_2) | instskip(NEXT) | instid1(VALU_DEP_2)
	v_add_f64 v[12:13], v[12:13], v[29:30]
	v_add_f64 v[16:17], v[16:17], -v[38:39]
	s_delay_alu instid0(VALU_DEP_2) | instskip(NEXT) | instid1(VALU_DEP_2)
	v_add_f64 v[12:13], v[31:32], v[12:13]
	v_add_f64 v[29:30], v[27:28], v[16:17]
	s_delay_alu instid0(VALU_DEP_2) | instskip(NEXT) | instid1(VALU_DEP_2)
	v_add_f64 v[2:3], v[2:3], v[12:13]
	v_add_f64 v[12:13], v[29:30], -v[16:17]
	v_cmp_le_f64_e32 vcc_lo, 0.5, v[29:30]
	s_delay_alu instid0(VALU_DEP_3) | instskip(NEXT) | instid1(VALU_DEP_3)
	v_add_f64 v[2:3], v[8:9], v[2:3]
	v_add_f64 v[8:9], v[27:28], -v[12:13]
	v_cndmask_b32_e64 v38, 0, 0x3ff00000, vcc_lo
	v_add_co_ci_u32_e64 v24, s0, 0, v48, vcc_lo
	s_delay_alu instid0(VALU_DEP_3) | instskip(NEXT) | instid1(VALU_DEP_3)
	v_add_f64 v[2:3], v[2:3], v[8:9]
	v_add_f64 v[8:9], v[29:30], -v[37:38]
	s_delay_alu instid0(VALU_DEP_1) | instskip(NEXT) | instid1(VALU_DEP_1)
	v_add_f64 v[12:13], v[8:9], v[2:3]
	v_mul_f64 v[16:17], v[12:13], s[4:5]
	v_add_f64 v[8:9], v[12:13], -v[8:9]
	s_delay_alu instid0(VALU_DEP_2) | instskip(NEXT) | instid1(VALU_DEP_2)
	v_fma_f64 v[27:28], v[12:13], s[4:5], -v[16:17]
	v_add_f64 v[2:3], v[2:3], -v[8:9]
	s_delay_alu instid0(VALU_DEP_2) | instskip(NEXT) | instid1(VALU_DEP_1)
	v_fma_f64 v[8:9], v[12:13], s[6:7], v[27:28]
	v_fma_f64 v[8:9], v[2:3], s[4:5], v[8:9]
	s_delay_alu instid0(VALU_DEP_1) | instskip(NEXT) | instid1(VALU_DEP_1)
	v_add_f64 v[2:3], v[16:17], v[8:9]
	v_add_f64 v[12:13], v[2:3], -v[16:17]
	s_delay_alu instid0(VALU_DEP_1)
	v_add_f64 v[8:9], v[8:9], -v[12:13]
	s_and_not1_saveexec_b32 s0, s2
	s_cbranch_execz .LBB186_10
	s_branch .LBB186_9
.LBB186_8:
	s_and_not1_saveexec_b32 s0, s2
	s_cbranch_execz .LBB186_10
.LBB186_9:
	s_mov_b32 s2, 0x6dc9c883
	s_mov_b32 s3, 0x3fe45f30
	;; [unrolled: 1-line block ×3, first 2 shown]
	v_mul_f64 v[2:3], |v[0:1]|, s[2:3]
	s_mov_b32 s2, 0x54442d18
	s_mov_b32 s3, 0xbff921fb
	;; [unrolled: 1-line block ×3, first 2 shown]
	s_delay_alu instid0(VALU_DEP_1) | instskip(NEXT) | instid1(VALU_DEP_1)
	v_rndne_f64_e32 v[12:13], v[2:3]
	v_fma_f64 v[2:3], v[12:13], s[2:3], |v[0:1]|
	v_mul_f64 v[8:9], v[12:13], s[4:5]
	s_mov_b32 s2, 0x252049c0
	s_mov_b32 s3, 0xb97b839a
	s_delay_alu instid0(VALU_DEP_2) | instskip(NEXT) | instid1(VALU_DEP_2)
	v_fma_f64 v[24:25], v[12:13], s[4:5], v[2:3]
	v_add_f64 v[16:17], v[2:3], v[8:9]
	s_mov_b32 s5, 0x3c91a626
	s_delay_alu instid0(VALU_DEP_1) | instskip(NEXT) | instid1(VALU_DEP_3)
	v_add_f64 v[2:3], v[2:3], -v[16:17]
	v_add_f64 v[16:17], v[16:17], -v[24:25]
	s_delay_alu instid0(VALU_DEP_2) | instskip(SKIP_1) | instid1(VALU_DEP_2)
	v_add_f64 v[2:3], v[2:3], v[8:9]
	v_fma_f64 v[8:9], v[12:13], s[4:5], v[8:9]
	v_add_f64 v[2:3], v[16:17], v[2:3]
	s_delay_alu instid0(VALU_DEP_1) | instskip(NEXT) | instid1(VALU_DEP_1)
	v_add_f64 v[2:3], v[2:3], -v[8:9]
	v_fma_f64 v[8:9], v[12:13], s[2:3], v[2:3]
	s_delay_alu instid0(VALU_DEP_1) | instskip(NEXT) | instid1(VALU_DEP_1)
	v_add_f64 v[2:3], v[24:25], v[8:9]
	v_add_f64 v[16:17], v[2:3], -v[24:25]
	v_cvt_i32_f64_e32 v24, v[12:13]
	s_delay_alu instid0(VALU_DEP_2)
	v_add_f64 v[8:9], v[8:9], -v[16:17]
.LBB186_10:
	s_or_b32 exec_lo, exec_lo, s0
                                        ; implicit-def: $vgpr25
                                        ; implicit-def: $vgpr12_vgpr13
                                        ; implicit-def: $vgpr16_vgpr17
	s_and_saveexec_b32 s0, s1
	s_delay_alu instid0(SALU_CYCLE_1)
	s_xor_b32 s1, exec_lo, s0
	s_cbranch_execz .LBB186_12
; %bb.11:
	v_cmp_le_f64_e64 vcc_lo, 0x7b000000, |v[0:1]|
	v_mov_b32_e32 v35, 0
	s_mov_b32 s2, 0x54442d18
	s_mov_b32 s3, 0x3ff921fb
	;; [unrolled: 1-line block ×4, first 2 shown]
	v_dual_cndmask_b32 v13, v26, v23 :: v_dual_cndmask_b32 v12, v0, v22
	s_delay_alu instid0(VALU_DEP_1) | instskip(SKIP_2) | instid1(VALU_DEP_3)
	v_mul_f64 v[16:17], v[20:21], v[12:13]
	v_mul_f64 v[22:23], v[18:19], v[12:13]
	;; [unrolled: 1-line block ×3, first 2 shown]
	v_fma_f64 v[20:21], v[20:21], v[12:13], -v[16:17]
	s_delay_alu instid0(VALU_DEP_3) | instskip(NEXT) | instid1(VALU_DEP_3)
	v_fma_f64 v[18:19], v[18:19], v[12:13], -v[22:23]
	v_fma_f64 v[12:13], v[14:15], v[12:13], -v[33:34]
	s_delay_alu instid0(VALU_DEP_3) | instskip(NEXT) | instid1(VALU_DEP_1)
	v_add_f64 v[25:26], v[22:23], v[20:21]
	v_add_f64 v[27:28], v[25:26], -v[22:23]
	v_add_f64 v[31:32], v[16:17], v[25:26]
	s_delay_alu instid0(VALU_DEP_2) | instskip(SKIP_1) | instid1(VALU_DEP_3)
	v_add_f64 v[29:30], v[25:26], -v[27:28]
	v_add_f64 v[20:21], v[20:21], -v[27:28]
	v_ldexp_f64 v[27:28], v[31:32], -2
	v_add_f64 v[16:17], v[31:32], -v[16:17]
	s_delay_alu instid0(VALU_DEP_4) | instskip(SKIP_1) | instid1(VALU_DEP_4)
	v_add_f64 v[22:23], v[22:23], -v[29:30]
	v_add_f64 v[29:30], v[33:34], v[18:19]
	v_cmp_neq_f64_e64 vcc_lo, 0x7ff00000, |v[27:28]|
	s_delay_alu instid0(VALU_DEP_4) | instskip(NEXT) | instid1(VALU_DEP_4)
	v_add_f64 v[16:17], v[25:26], -v[16:17]
	v_add_f64 v[20:21], v[20:21], v[22:23]
	v_fract_f64_e32 v[22:23], v[27:28]
	s_delay_alu instid0(VALU_DEP_2) | instskip(NEXT) | instid1(VALU_DEP_2)
	v_add_f64 v[25:26], v[29:30], v[20:21]
	v_dual_cndmask_b32 v23, 0, v23 :: v_dual_cndmask_b32 v22, 0, v22
	s_delay_alu instid0(VALU_DEP_1) | instskip(NEXT) | instid1(VALU_DEP_3)
	v_ldexp_f64 v[22:23], v[22:23], 2
	v_add_f64 v[27:28], v[16:17], v[25:26]
	s_delay_alu instid0(VALU_DEP_1) | instskip(SKIP_1) | instid1(VALU_DEP_2)
	v_add_f64 v[31:32], v[27:28], v[22:23]
	v_add_f64 v[14:15], v[27:28], -v[16:17]
	v_cmp_gt_f64_e32 vcc_lo, 0, v[31:32]
	v_add_f64 v[31:32], v[29:30], -v[33:34]
	s_delay_alu instid0(VALU_DEP_3) | instskip(SKIP_1) | instid1(VALU_DEP_3)
	v_add_f64 v[14:15], v[25:26], -v[14:15]
	v_cndmask_b32_e64 v36, 0, 0x40100000, vcc_lo
	v_add_f64 v[48:49], v[29:30], -v[31:32]
	v_add_f64 v[18:19], v[18:19], -v[31:32]
	s_delay_alu instid0(VALU_DEP_3) | instskip(SKIP_1) | instid1(VALU_DEP_4)
	v_add_f64 v[22:23], v[22:23], v[35:36]
	v_add_f64 v[36:37], v[25:26], -v[29:30]
	v_add_f64 v[31:32], v[33:34], -v[48:49]
	s_delay_alu instid0(VALU_DEP_3) | instskip(NEXT) | instid1(VALU_DEP_3)
	v_add_f64 v[38:39], v[27:28], v[22:23]
	v_add_f64 v[50:51], v[25:26], -v[36:37]
	v_add_f64 v[20:21], v[20:21], -v[36:37]
	s_delay_alu instid0(VALU_DEP_4) | instskip(NEXT) | instid1(VALU_DEP_4)
	v_add_f64 v[18:19], v[18:19], v[31:32]
	v_cvt_i32_f64_e32 v38, v[38:39]
	s_delay_alu instid0(VALU_DEP_4) | instskip(NEXT) | instid1(VALU_DEP_2)
	v_add_f64 v[29:30], v[29:30], -v[50:51]
	v_cvt_f64_i32_e32 v[36:37], v38
	s_delay_alu instid0(VALU_DEP_2) | instskip(NEXT) | instid1(VALU_DEP_2)
	v_add_f64 v[20:21], v[20:21], v[29:30]
	v_add_f64 v[22:23], v[22:23], -v[36:37]
	s_delay_alu instid0(VALU_DEP_2) | instskip(NEXT) | instid1(VALU_DEP_2)
	v_add_f64 v[16:17], v[18:19], v[20:21]
	v_add_f64 v[18:19], v[27:28], v[22:23]
	s_delay_alu instid0(VALU_DEP_2) | instskip(NEXT) | instid1(VALU_DEP_2)
	v_add_f64 v[12:13], v[12:13], v[16:17]
	v_add_f64 v[16:17], v[18:19], -v[22:23]
	v_cmp_le_f64_e32 vcc_lo, 0.5, v[18:19]
	s_delay_alu instid0(VALU_DEP_3) | instskip(NEXT) | instid1(VALU_DEP_3)
	v_add_f64 v[12:13], v[14:15], v[12:13]
	v_add_f64 v[14:15], v[27:28], -v[16:17]
	v_cndmask_b32_e64 v36, 0, 0x3ff00000, vcc_lo
	v_add_co_ci_u32_e64 v25, s0, 0, v38, vcc_lo
	s_delay_alu instid0(VALU_DEP_3) | instskip(NEXT) | instid1(VALU_DEP_3)
	v_add_f64 v[12:13], v[12:13], v[14:15]
	v_add_f64 v[14:15], v[18:19], -v[35:36]
	s_delay_alu instid0(VALU_DEP_1) | instskip(NEXT) | instid1(VALU_DEP_1)
	v_add_f64 v[16:17], v[14:15], v[12:13]
	v_mul_f64 v[18:19], v[16:17], s[2:3]
	v_add_f64 v[14:15], v[16:17], -v[14:15]
	s_delay_alu instid0(VALU_DEP_2) | instskip(NEXT) | instid1(VALU_DEP_2)
	v_fma_f64 v[20:21], v[16:17], s[2:3], -v[18:19]
	v_add_f64 v[12:13], v[12:13], -v[14:15]
	s_delay_alu instid0(VALU_DEP_2) | instskip(NEXT) | instid1(VALU_DEP_1)
	v_fma_f64 v[14:15], v[16:17], s[4:5], v[20:21]
	v_fma_f64 v[14:15], v[12:13], s[2:3], v[14:15]
	s_delay_alu instid0(VALU_DEP_1) | instskip(NEXT) | instid1(VALU_DEP_1)
	v_add_f64 v[12:13], v[18:19], v[14:15]
	v_add_f64 v[16:17], v[12:13], -v[18:19]
	s_delay_alu instid0(VALU_DEP_1)
	v_add_f64 v[16:17], v[14:15], -v[16:17]
	s_and_not1_saveexec_b32 s0, s1
	s_cbranch_execnz .LBB186_13
	s_branch .LBB186_14
.LBB186_12:
	s_and_not1_saveexec_b32 s0, s1
	s_cbranch_execz .LBB186_14
.LBB186_13:
	s_mov_b32 s2, 0x6dc9c883
	s_mov_b32 s3, 0x3fe45f30
	;; [unrolled: 1-line block ×3, first 2 shown]
	v_mul_f64 v[12:13], |v[0:1]|, s[2:3]
	s_mov_b32 s2, 0x54442d18
	s_mov_b32 s3, 0xbff921fb
	;; [unrolled: 1-line block ×3, first 2 shown]
	s_delay_alu instid0(VALU_DEP_1) | instskip(NEXT) | instid1(VALU_DEP_1)
	v_rndne_f64_e32 v[14:15], v[12:13]
	v_fma_f64 v[12:13], v[14:15], s[2:3], |v[0:1]|
	v_mul_f64 v[16:17], v[14:15], s[4:5]
	s_mov_b32 s2, 0x252049c0
	s_mov_b32 s3, 0xb97b839a
	v_cvt_i32_f64_e32 v25, v[14:15]
	s_delay_alu instid0(VALU_DEP_3) | instskip(NEXT) | instid1(VALU_DEP_3)
	v_fma_f64 v[20:21], v[14:15], s[4:5], v[12:13]
	v_add_f64 v[18:19], v[12:13], v[16:17]
	s_mov_b32 s5, 0x3c91a626
	s_delay_alu instid0(VALU_DEP_1) | instskip(NEXT) | instid1(VALU_DEP_3)
	v_add_f64 v[12:13], v[12:13], -v[18:19]
	v_add_f64 v[18:19], v[18:19], -v[20:21]
	s_delay_alu instid0(VALU_DEP_2) | instskip(SKIP_1) | instid1(VALU_DEP_2)
	v_add_f64 v[12:13], v[12:13], v[16:17]
	v_fma_f64 v[16:17], v[14:15], s[4:5], v[16:17]
	v_add_f64 v[12:13], v[18:19], v[12:13]
	s_delay_alu instid0(VALU_DEP_1) | instskip(NEXT) | instid1(VALU_DEP_1)
	v_add_f64 v[12:13], v[12:13], -v[16:17]
	v_fma_f64 v[16:17], v[14:15], s[2:3], v[12:13]
	s_delay_alu instid0(VALU_DEP_1) | instskip(NEXT) | instid1(VALU_DEP_1)
	v_add_f64 v[12:13], v[20:21], v[16:17]
	v_add_f64 v[18:19], v[12:13], -v[20:21]
	s_delay_alu instid0(VALU_DEP_1)
	v_add_f64 v[16:17], v[16:17], -v[18:19]
.LBB186_14:
	s_or_b32 exec_lo, exec_lo, s0
	v_add_f64 v[10:11], v[10:11], -v[4:5]
	s_mov_b32 s0, 0x652b82fe
	s_mov_b32 s1, 0x3ff71547
	;; [unrolled: 1-line block ×8, first 2 shown]
	v_mul_f64 v[22:23], v[2:3], v[2:3]
	v_mul_f64 v[26:27], v[12:13], v[12:13]
	s_mov_b32 s8, 0x1852b7b0
	s_mov_b32 s9, 0x3f56c16c
	;; [unrolled: 1-line block ×6, first 2 shown]
	s_delay_alu instid0(VALU_DEP_4)
	v_mul_f64 v[52:53], v[8:9], 0.5
	v_mul_f64 v[66:67], v[16:17], 0.5
	v_mul_f64 v[14:15], v[10:11], s[0:1]
	s_mov_b32 s0, 0xfca7ab0c
	s_mov_b32 s1, 0x3e928af3
	v_mul_f64 v[34:35], v[22:23], 0.5
	v_mul_f64 v[36:37], v[26:27], 0.5
	v_mul_f64 v[54:55], v[2:3], -v[22:23]
	v_mul_f64 v[68:69], v[12:13], -v[26:27]
	v_rndne_f64_e32 v[14:15], v[14:15]
	v_add_f64 v[48:49], -v[34:35], 1.0
	v_add_f64 v[50:51], -v[36:37], 1.0
	s_delay_alu instid0(VALU_DEP_3) | instskip(NEXT) | instid1(VALU_DEP_3)
	v_fma_f64 v[18:19], v[14:15], s[6:7], v[10:11]
	v_add_f64 v[64:65], -v[48:49], 1.0
	s_delay_alu instid0(VALU_DEP_3) | instskip(NEXT) | instid1(VALU_DEP_3)
	v_add_f64 v[70:71], -v[50:51], 1.0
	v_fma_f64 v[18:19], v[14:15], s[4:5], v[18:19]
	s_delay_alu instid0(VALU_DEP_3) | instskip(NEXT) | instid1(VALU_DEP_3)
	v_add_f64 v[34:35], v[64:65], -v[34:35]
	v_add_f64 v[36:37], v[70:71], -v[36:37]
	s_delay_alu instid0(VALU_DEP_3) | instskip(SKIP_4) | instid1(VALU_DEP_3)
	v_fma_f64 v[20:21], v[18:19], s[2:3], s[0:1]
	s_mov_b32 s0, 0x623fde64
	s_mov_b32 s1, 0x3ec71dee
	;; [unrolled: 1-line block ×4, first 2 shown]
	v_fma_f64 v[34:35], v[2:3], -v[8:9], v[34:35]
	s_delay_alu instid0(VALU_DEP_2)
	v_fma_f64 v[20:21], v[18:19], v[20:21], s[0:1]
	s_mov_b32 s0, 0x7c89e6b0
	s_mov_b32 s1, 0x3efa0199
	s_delay_alu instid0(VALU_DEP_1) | instid1(SALU_CYCLE_1)
	v_fma_f64 v[20:21], v[18:19], v[20:21], s[0:1]
	s_mov_b32 s0, 0x14761f6e
	s_mov_b32 s1, 0x3f2a01a0
	s_delay_alu instid0(VALU_DEP_1) | instid1(SALU_CYCLE_1)
	v_fma_f64 v[20:21], v[18:19], v[20:21], s[0:1]
	s_mov_b32 s0, 0xb42fdfa7
	s_mov_b32 s1, 0xbe5ae600
	s_delay_alu instid0(SALU_CYCLE_1)
	v_fma_f64 v[28:29], v[22:23], s[2:3], s[0:1]
	v_fma_f64 v[30:31], v[26:27], s[2:3], s[0:1]
	s_mov_b32 s0, 0x796cde01
	s_mov_b32 s1, 0x3ec71de3
	;; [unrolled: 1-line block ×4, first 2 shown]
	s_delay_alu instid0(VALU_DEP_3) | instskip(SKIP_2) | instid1(VALU_DEP_3)
	v_fma_f64 v[20:21], v[18:19], v[20:21], s[8:9]
	s_mov_b32 s8, 0x9037ab78
	s_mov_b32 s9, 0x3e21eeb6
	v_fma_f64 v[28:29], v[22:23], v[28:29], s[0:1]
	v_fma_f64 v[32:33], v[22:23], s[12:13], s[8:9]
	;; [unrolled: 1-line block ×4, first 2 shown]
	s_mov_b32 s0, 0x19e83e5c
	s_mov_b32 s1, 0xbf2a01a0
	;; [unrolled: 1-line block ×6, first 2 shown]
	v_fma_f64 v[20:21], v[18:19], v[20:21], s[2:3]
	s_mov_b32 s2, 0x11110bb3
	v_fma_f64 v[28:29], v[22:23], v[28:29], s[0:1]
	v_fma_f64 v[32:33], v[22:23], v[32:33], s[14:15]
	;; [unrolled: 1-line block ×4, first 2 shown]
	s_mov_b32 s0, 0x55555511
	s_mov_b32 s1, 0x3fc55555
	v_fma_f64 v[20:21], v[18:19], v[20:21], s[8:9]
	s_mov_b32 s8, 0x55555555
	v_fma_f64 v[28:29], v[22:23], v[28:29], s[2:3]
	v_fma_f64 v[32:33], v[22:23], v[32:33], s[12:13]
	;; [unrolled: 1-line block ×4, first 2 shown]
	s_mov_b32 s2, 11
	s_mov_b32 s3, 0x3fe00000
	v_fma_f64 v[20:21], v[18:19], v[20:21], s[0:1]
	s_mov_b32 s0, 0x16c16967
	s_mov_b32 s1, 0xbf56c16c
	v_fma_f64 v[28:29], v[54:55], v[28:29], v[52:53]
	v_fma_f64 v[32:33], v[22:23], v[32:33], s[0:1]
	;; [unrolled: 1-line block ×4, first 2 shown]
	v_mul_f64 v[52:53], v[22:23], v[22:23]
	s_mov_b32 s1, 0xbfc55555
	s_mov_b32 s0, s8
	v_fma_f64 v[20:21], v[18:19], v[20:21], s[2:3]
	v_cmp_ngt_f64_e64 s2, 0xc090cc00, v[10:11]
	v_fma_f64 v[8:9], v[22:23], v[28:29], -v[8:9]
	v_fma_f64 v[32:33], v[22:23], v[32:33], s[8:9]
	v_mul_f64 v[22:23], v[26:27], v[26:27]
	v_fma_f64 v[28:29], v[12:13], -v[16:17], v[36:37]
	v_fma_f64 v[36:37], v[26:27], v[38:39], s[8:9]
	v_fma_f64 v[16:17], v[26:27], v[30:31], -v[16:17]
	v_cvt_i32_f64_e32 v30, v[14:15]
	v_fma_f64 v[20:21], v[18:19], v[20:21], 1.0
	v_fma_f64 v[8:9], v[54:55], s[0:1], v[8:9]
	v_fma_f64 v[26:27], v[52:53], v[32:33], v[34:35]
	;; [unrolled: 1-line block ×3, first 2 shown]
	v_cmp_nlt_f64_e64 s1, 0x40900000, v[10:11]
	v_cmp_class_f64_e64 s0, v[0:1], 0x1f8
	v_lshlrev_b32_e32 v0, 30, v25
	v_lshlrev_b32_e32 v10, 30, v24
	v_and_b32_e32 v11, 1, v25
	s_delay_alu instid0(VALU_DEP_3) | instskip(NEXT) | instid1(VALU_DEP_2)
	v_xor_b32_e32 v0, v0, v1
	v_cmp_eq_u32_e64 s3, 0, v11
	v_fma_f64 v[14:15], v[18:19], v[20:21], 1.0
	v_fma_f64 v[18:19], v[22:23], v[36:37], v[28:29]
	v_add_f64 v[2:3], v[2:3], -v[8:9]
	v_add_f64 v[20:21], v[48:49], v[26:27]
	v_add_f64 v[12:13], v[12:13], -v[16:17]
	v_ldexp_f64 v[8:9], v[14:15], v30
	v_add_f64 v[14:15], v[50:51], v[18:19]
	v_xor_b32_e32 v3, 0x80000000, v3
	v_and_b32_e32 v22, 1, v24
	s_delay_alu instid0(VALU_DEP_1) | instskip(NEXT) | instid1(VALU_DEP_3)
	v_cmp_eq_u32_e32 vcc_lo, 0, v22
	v_dual_cndmask_b32 v3, v3, v21 :: v_dual_cndmask_b32 v2, v2, v20
	s_and_b32 vcc_lo, s2, s1
	v_and_b32_e32 v1, 0x80000000, v10
	v_and_b32_e32 v10, 0x80000000, v0
	s_delay_alu instid0(VALU_DEP_3)
	v_cndmask_b32_e64 v0, 0, v2, s0
	v_cndmask_b32_e32 v8, 0, v8, vcc_lo
	v_cndmask_b32_e64 v11, v14, v12, s3
	v_cndmask_b32_e64 v12, v15, v13, s3
	;; [unrolled: 1-line block ×3, first 2 shown]
	v_xor_b32_e32 v1, v3, v1
	s_delay_alu instid0(VALU_DEP_4) | instskip(NEXT) | instid1(VALU_DEP_4)
	v_cndmask_b32_e64 v2, 0, v11, s0
	v_xor_b32_e32 v3, v12, v10
	s_delay_alu instid0(VALU_DEP_4) | instskip(NEXT) | instid1(VALU_DEP_4)
	v_cndmask_b32_e64 v9, 0, v9, s2
	v_cndmask_b32_e64 v1, 0x7ff80000, v1, s0
	s_delay_alu instid0(VALU_DEP_3) | instskip(NEXT) | instid1(VALU_DEP_2)
	v_cndmask_b32_e64 v3, 0x7ff80000, v3, s0
	v_mul_f64 v[12:13], v[8:9], v[0:1]
	s_delay_alu instid0(VALU_DEP_2) | instskip(NEXT) | instid1(VALU_DEP_2)
	v_mul_f64 v[0:1], v[8:9], v[2:3]
	v_max_f64 v[2:3], |v[12:13]|, |v[12:13]|
	v_cmp_class_f64_e64 s2, v[12:13], 0x204
	s_delay_alu instid0(VALU_DEP_3) | instskip(SKIP_1) | instid1(VALU_DEP_2)
	v_max_f64 v[8:9], |v[0:1]|, |v[0:1]|
	v_cmp_class_f64_e64 s12, v[0:1], 0x204
	v_max_f64 v[2:3], v[2:3], v[8:9]
	s_delay_alu instid0(VALU_DEP_2) | instskip(NEXT) | instid1(VALU_DEP_1)
	s_or_b32 s2, s2, s12
	v_frexp_exp_i32_f64_e32 v18, v[2:3]
	s_delay_alu instid0(VALU_DEP_1) | instskip(NEXT) | instid1(VALU_DEP_1)
	v_sub_nc_u32_e32 v10, 0, v18
	v_ldexp_f64 v[2:3], |v[0:1]|, v10
	v_ldexp_f64 v[10:11], |v[12:13]|, v10
	s_delay_alu instid0(VALU_DEP_2) | instskip(NEXT) | instid1(VALU_DEP_1)
	v_mul_f64 v[2:3], v[2:3], v[2:3]
	v_fma_f64 v[2:3], v[10:11], v[10:11], v[2:3]
	s_delay_alu instid0(VALU_DEP_1) | instskip(SKIP_4) | instid1(VALU_DEP_1)
	v_rsq_f64_e32 v[10:11], v[2:3]
	v_cmp_eq_f64_e32 vcc_lo, 0, v[2:3]
	s_waitcnt_depctr 0xfff
	v_mul_f64 v[14:15], v[2:3], v[10:11]
	v_mul_f64 v[10:11], v[10:11], 0.5
	v_fma_f64 v[16:17], -v[10:11], v[14:15], 0.5
	s_delay_alu instid0(VALU_DEP_1) | instskip(SKIP_1) | instid1(VALU_DEP_2)
	v_fma_f64 v[14:15], v[14:15], v[16:17], v[14:15]
	v_fma_f64 v[10:11], v[10:11], v[16:17], v[10:11]
	v_fma_f64 v[16:17], -v[14:15], v[14:15], v[2:3]
	s_delay_alu instid0(VALU_DEP_1) | instskip(NEXT) | instid1(VALU_DEP_1)
	v_fma_f64 v[10:11], v[16:17], v[10:11], v[14:15]
	v_dual_cndmask_b32 v3, v11, v3 :: v_dual_cndmask_b32 v2, v10, v2
	v_cmp_u_f64_e32 vcc_lo, v[12:13], v[0:1]
	s_delay_alu instid0(VALU_DEP_2) | instskip(SKIP_2) | instid1(VALU_DEP_2)
	v_ldexp_f64 v[10:11], v[2:3], v18
	v_add_f64 v[2:3], v[12:13], 1.0
	s_or_b32 s2, s2, vcc_lo
	v_cmp_ngt_f64_e64 s1, 0.5, v[10:11]
	s_delay_alu instid0(VALU_DEP_2) | instskip(SKIP_2) | instid1(VALU_DEP_4)
	v_max_f64 v[10:11], |v[2:3]|, v[8:9]
	v_cmp_o_f64_e64 s0, v[2:3], v[0:1]
	v_cmp_class_f64_e64 s13, v[2:3], 0x204
	s_or_b32 s1, s2, s1
	s_delay_alu instid0(SALU_CYCLE_1) | instskip(NEXT) | instid1(SALU_CYCLE_1)
	s_and_saveexec_b32 s2, s1
	s_xor_b32 s1, exec_lo, s2
	s_cbranch_execz .LBB186_16
; %bb.15:
	s_delay_alu instid0(VALU_DEP_3) | instskip(NEXT) | instid1(VALU_DEP_2)
	v_frexp_exp_i32_f64_e32 v20, v[10:11]
	s_or_b32 s16, s13, s12
	s_mov_b32 s9, 0x3fe55555
	s_mov_b32 s2, 0x6b47b09a
	;; [unrolled: 1-line block ×7, first 2 shown]
	s_delay_alu instid0(VALU_DEP_1) | instskip(NEXT) | instid1(VALU_DEP_1)
	v_sub_nc_u32_e32 v14, 0, v20
	v_ldexp_f64 v[12:13], |v[0:1]|, v14
	v_ldexp_f64 v[14:15], |v[2:3]|, v14
	s_delay_alu instid0(VALU_DEP_2) | instskip(NEXT) | instid1(VALU_DEP_1)
	v_mul_f64 v[12:13], v[12:13], v[12:13]
	v_fma_f64 v[12:13], v[14:15], v[14:15], v[12:13]
	s_delay_alu instid0(VALU_DEP_1) | instskip(SKIP_4) | instid1(VALU_DEP_1)
	v_rsq_f64_e32 v[14:15], v[12:13]
	v_cmp_eq_f64_e32 vcc_lo, 0, v[12:13]
	s_waitcnt_depctr 0xfff
	v_mul_f64 v[16:17], v[12:13], v[14:15]
	v_mul_f64 v[14:15], v[14:15], 0.5
	v_fma_f64 v[18:19], -v[14:15], v[16:17], 0.5
	s_delay_alu instid0(VALU_DEP_1) | instskip(SKIP_1) | instid1(VALU_DEP_2)
	v_fma_f64 v[16:17], v[16:17], v[18:19], v[16:17]
	v_fma_f64 v[14:15], v[14:15], v[18:19], v[14:15]
	v_fma_f64 v[18:19], -v[16:17], v[16:17], v[12:13]
	s_delay_alu instid0(VALU_DEP_1) | instskip(NEXT) | instid1(VALU_DEP_1)
	v_fma_f64 v[14:15], v[18:19], v[14:15], v[16:17]
	v_dual_cndmask_b32 v13, v15, v13 :: v_dual_cndmask_b32 v12, v14, v12
	s_delay_alu instid0(VALU_DEP_1) | instskip(SKIP_1) | instid1(VALU_DEP_2)
	v_ldexp_f64 v[12:13], v[12:13], v20
	v_mov_b32_e32 v18, 0
	v_cndmask_b32_e64 v34, 0x7ff80000, v13, s0
	v_and_b32_e32 v13, 0x7fffffff, v13
	s_delay_alu instid0(VALU_DEP_4) | instskip(NEXT) | instid1(VALU_DEP_3)
	v_cndmask_b32_e64 v35, 0, v12, s0
	v_cndmask_b32_e64 v15, v34, 0x7ff00000, s16
	s_delay_alu instid0(VALU_DEP_2) | instskip(NEXT) | instid1(VALU_DEP_1)
	v_cndmask_b32_e64 v14, v35, 0, s16
	v_frexp_mant_f64_e32 v[16:17], v[14:15]
	s_delay_alu instid0(VALU_DEP_1) | instskip(SKIP_2) | instid1(VALU_DEP_1)
	v_cmp_gt_f64_e32 vcc_lo, s[8:9], v[16:17]
	s_mov_b32 s8, 0x55555780
	v_cndmask_b32_e64 v19, 0x3ff00000, 2.0, vcc_lo
	v_mul_f64 v[16:17], v[16:17], v[18:19]
	s_delay_alu instid0(VALU_DEP_1) | instskip(SKIP_1) | instid1(VALU_DEP_2)
	v_add_f64 v[18:19], v[16:17], 1.0
	v_add_f64 v[24:25], v[16:17], -1.0
	v_rcp_f64_e32 v[20:21], v[18:19]
	v_add_f64 v[26:27], v[18:19], -1.0
	s_delay_alu instid0(VALU_DEP_1) | instskip(SKIP_2) | instid1(VALU_DEP_1)
	v_add_f64 v[16:17], v[16:17], -v[26:27]
	s_waitcnt_depctr 0xfff
	v_fma_f64 v[22:23], -v[18:19], v[20:21], 1.0
	v_fma_f64 v[20:21], v[22:23], v[20:21], v[20:21]
	s_delay_alu instid0(VALU_DEP_1) | instskip(NEXT) | instid1(VALU_DEP_1)
	v_fma_f64 v[22:23], -v[18:19], v[20:21], 1.0
	v_fma_f64 v[20:21], v[22:23], v[20:21], v[20:21]
	s_delay_alu instid0(VALU_DEP_1) | instskip(NEXT) | instid1(VALU_DEP_1)
	v_mul_f64 v[22:23], v[24:25], v[20:21]
	v_mul_f64 v[28:29], v[18:19], v[22:23]
	s_delay_alu instid0(VALU_DEP_1) | instskip(NEXT) | instid1(VALU_DEP_1)
	v_fma_f64 v[18:19], v[22:23], v[18:19], -v[28:29]
	v_fma_f64 v[16:17], v[22:23], v[16:17], v[18:19]
	s_delay_alu instid0(VALU_DEP_1) | instskip(NEXT) | instid1(VALU_DEP_1)
	v_add_f64 v[18:19], v[28:29], v[16:17]
	v_add_f64 v[26:27], v[24:25], -v[18:19]
	v_add_f64 v[28:29], v[18:19], -v[28:29]
	s_delay_alu instid0(VALU_DEP_2) | instskip(NEXT) | instid1(VALU_DEP_2)
	v_add_f64 v[24:25], v[24:25], -v[26:27]
	v_add_f64 v[16:17], v[28:29], -v[16:17]
	v_frexp_exp_i32_f64_e32 v28, v[14:15]
	s_delay_alu instid0(VALU_DEP_3) | instskip(NEXT) | instid1(VALU_DEP_1)
	v_add_f64 v[18:19], v[24:25], -v[18:19]
	v_add_f64 v[16:17], v[16:17], v[18:19]
	s_delay_alu instid0(VALU_DEP_1) | instskip(NEXT) | instid1(VALU_DEP_1)
	v_add_f64 v[16:17], v[26:27], v[16:17]
	v_mul_f64 v[16:17], v[20:21], v[16:17]
	s_delay_alu instid0(VALU_DEP_1) | instskip(NEXT) | instid1(VALU_DEP_1)
	v_add_f64 v[18:19], v[22:23], v[16:17]
	v_mul_f64 v[20:21], v[18:19], v[18:19]
	s_delay_alu instid0(VALU_DEP_1) | instskip(SKIP_3) | instid1(VALU_DEP_2)
	v_fma_f64 v[24:25], v[20:21], s[14:15], s[2:3]
	s_mov_b32 s2, 0xd7f4df2e
	s_mov_b32 s3, 0x3fc7474d
	v_mul_f64 v[26:27], v[18:19], v[20:21]
	v_fma_f64 v[24:25], v[20:21], v[24:25], s[2:3]
	s_mov_b32 s2, 0x16291751
	s_mov_b32 s3, 0x3fcc71c0
	s_delay_alu instid0(VALU_DEP_1) | instid1(SALU_CYCLE_1)
	v_fma_f64 v[24:25], v[20:21], v[24:25], s[2:3]
	s_mov_b32 s2, 0x9b27acf1
	s_mov_b32 s3, 0x3fd24924
	s_delay_alu instid0(VALU_DEP_1) | instid1(SALU_CYCLE_1)
	;; [unrolled: 4-line block ×3, first 2 shown]
	v_fma_f64 v[24:25], v[20:21], v[24:25], s[2:3]
	s_delay_alu instid0(VALU_DEP_1) | instskip(SKIP_2) | instid1(VALU_DEP_3)
	v_fma_f64 v[20:21], v[20:21], v[24:25], s[8:9]
	v_ldexp_f64 v[24:25], v[18:19], 1
	v_add_f64 v[18:19], v[18:19], -v[22:23]
	v_mul_f64 v[20:21], v[26:27], v[20:21]
	v_subrev_co_ci_u32_e32 v26, vcc_lo, 0, v28, vcc_lo
	s_delay_alu instid0(VALU_DEP_3) | instskip(SKIP_1) | instid1(VALU_DEP_3)
	v_add_f64 v[16:17], v[16:17], -v[18:19]
	v_cmp_eq_f64_e32 vcc_lo, 0x7ff00000, v[12:13]
	v_cvt_f64_i32_e32 v[26:27], v26
	v_add_f64 v[22:23], v[24:25], v[20:21]
	s_delay_alu instid0(VALU_DEP_4) | instskip(SKIP_1) | instid1(VALU_DEP_3)
	v_ldexp_f64 v[16:17], v[16:17], 1
	s_and_b32 vcc_lo, s0, vcc_lo
	v_mul_f64 v[28:29], v[26:27], s[6:7]
	s_delay_alu instid0(VALU_DEP_3) | instskip(NEXT) | instid1(VALU_DEP_2)
	v_add_f64 v[18:19], v[22:23], -v[24:25]
	v_fma_f64 v[24:25], v[26:27], s[6:7], -v[28:29]
	s_delay_alu instid0(VALU_DEP_2) | instskip(NEXT) | instid1(VALU_DEP_2)
	v_add_f64 v[18:19], v[20:21], -v[18:19]
	v_fma_f64 v[20:21], v[26:27], s[4:5], v[24:25]
	s_delay_alu instid0(VALU_DEP_2) | instskip(NEXT) | instid1(VALU_DEP_2)
	v_add_f64 v[16:17], v[16:17], v[18:19]
	v_add_f64 v[18:19], v[28:29], v[20:21]
	s_delay_alu instid0(VALU_DEP_2) | instskip(NEXT) | instid1(VALU_DEP_2)
	v_add_f64 v[24:25], v[22:23], v[16:17]
	v_add_f64 v[28:29], v[18:19], -v[28:29]
	s_delay_alu instid0(VALU_DEP_2) | instskip(SKIP_1) | instid1(VALU_DEP_3)
	v_add_f64 v[26:27], v[18:19], v[24:25]
	v_add_f64 v[22:23], v[24:25], -v[22:23]
	v_add_f64 v[20:21], v[20:21], -v[28:29]
	s_delay_alu instid0(VALU_DEP_3) | instskip(NEXT) | instid1(VALU_DEP_3)
	v_add_f64 v[30:31], v[26:27], -v[18:19]
	v_add_f64 v[16:17], v[16:17], -v[22:23]
	s_delay_alu instid0(VALU_DEP_2) | instskip(SKIP_1) | instid1(VALU_DEP_3)
	v_add_f64 v[32:33], v[26:27], -v[30:31]
	v_add_f64 v[22:23], v[24:25], -v[30:31]
	v_add_f64 v[24:25], v[20:21], v[16:17]
	s_delay_alu instid0(VALU_DEP_3) | instskip(NEXT) | instid1(VALU_DEP_1)
	v_add_f64 v[18:19], v[18:19], -v[32:33]
	v_add_f64 v[18:19], v[22:23], v[18:19]
	s_delay_alu instid0(VALU_DEP_3) | instskip(NEXT) | instid1(VALU_DEP_2)
	v_add_f64 v[22:23], v[24:25], -v[20:21]
	v_add_f64 v[18:19], v[24:25], v[18:19]
	s_delay_alu instid0(VALU_DEP_2) | instskip(SKIP_1) | instid1(VALU_DEP_3)
	v_add_f64 v[24:25], v[24:25], -v[22:23]
	v_add_f64 v[16:17], v[16:17], -v[22:23]
	v_add_f64 v[28:29], v[26:27], v[18:19]
	s_delay_alu instid0(VALU_DEP_3) | instskip(NEXT) | instid1(VALU_DEP_2)
	v_add_f64 v[20:21], v[20:21], -v[24:25]
	v_add_f64 v[22:23], v[28:29], -v[26:27]
	s_delay_alu instid0(VALU_DEP_2) | instskip(NEXT) | instid1(VALU_DEP_2)
	v_add_f64 v[16:17], v[16:17], v[20:21]
	v_add_f64 v[18:19], v[18:19], -v[22:23]
	s_delay_alu instid0(VALU_DEP_1) | instskip(NEXT) | instid1(VALU_DEP_1)
	v_add_f64 v[16:17], v[16:17], v[18:19]
	v_add_f64 v[12:13], v[28:29], v[16:17]
	s_delay_alu instid0(VALU_DEP_1) | instskip(SKIP_1) | instid1(VALU_DEP_2)
	v_dual_cndmask_b32 v13, v13, v34 :: v_dual_cndmask_b32 v12, v12, v35
	v_cmp_ngt_f64_e32 vcc_lo, 0, v[14:15]
	v_cndmask_b32_e64 v13, v13, 0x7ff00000, s16
	s_delay_alu instid0(VALU_DEP_3) | instskip(NEXT) | instid1(VALU_DEP_2)
	v_cndmask_b32_e64 v12, v12, 0, s16
	v_cndmask_b32_e32 v13, 0x7ff80000, v13, vcc_lo
	v_cmp_nge_f64_e32 vcc_lo, 0, v[14:15]
	s_delay_alu instid0(VALU_DEP_3) | instskip(SKIP_1) | instid1(VALU_DEP_4)
	v_cndmask_b32_e32 v12, 0, v12, vcc_lo
	v_cmp_neq_f64_e32 vcc_lo, 0, v[14:15]
	v_cndmask_b32_e32 v13, 0xfff00000, v13, vcc_lo
.LBB186_16:
	s_and_not1_saveexec_b32 s1, s1
	s_cbranch_execz .LBB186_20
; %bb.17:
	s_delay_alu instid0(VALU_DEP_1) | instskip(SKIP_2) | instid1(VALU_DEP_1)
	v_add_f64 v[14:15], v[12:13], 2.0
	v_mul_f64 v[16:17], v[0:1], v[0:1]
	s_mov_b32 s4, exec_lo
	v_fma_f64 v[14:15], v[12:13], v[14:15], v[16:17]
	s_delay_alu instid0(VALU_DEP_1)
	v_cmpx_neq_f64_e32 0, v[14:15]
	s_cbranch_execz .LBB186_19
; %bb.18:
	v_add_f64 v[12:13], v[14:15], 1.0
	s_mov_b32 s3, 0x3fe55555
	s_mov_b32 s2, 0x55555555
	s_mov_b32 s6, 0x6b47b09a
	s_mov_b32 s8, 0xbf559e2b
	s_mov_b32 s7, 0x3fc38538
	s_mov_b32 s9, 0x3fc3ab76
	s_delay_alu instid0(VALU_DEP_1) | instskip(SKIP_2) | instid1(VALU_DEP_3)
	v_frexp_mant_f64_e32 v[16:17], v[12:13]
	v_frexp_exp_i32_f64_e32 v20, v[12:13]
	v_add_f64 v[18:19], v[12:13], -1.0
	v_cmp_gt_f64_e32 vcc_lo, s[2:3], v[16:17]
	s_mov_b32 s2, 0x55555780
	s_delay_alu instid0(VALU_DEP_2) | instskip(SKIP_2) | instid1(VALU_DEP_3)
	v_add_f64 v[16:17], v[18:19], -v[12:13]
	v_add_f64 v[18:19], v[14:15], -v[18:19]
	v_subrev_co_ci_u32_e32 v36, vcc_lo, 0, v20, vcc_lo
	v_add_f64 v[16:17], v[16:17], 1.0
	v_cmp_eq_f64_e32 vcc_lo, 0x7ff00000, v[14:15]
	s_delay_alu instid0(VALU_DEP_3) | instskip(NEXT) | instid1(VALU_DEP_1)
	v_sub_nc_u32_e32 v22, 0, v36
	v_ldexp_f64 v[12:13], v[12:13], v22
	s_delay_alu instid0(VALU_DEP_4) | instskip(NEXT) | instid1(VALU_DEP_2)
	v_add_f64 v[16:17], v[18:19], v[16:17]
	v_add_f64 v[20:21], v[12:13], 1.0
	v_add_f64 v[26:27], v[12:13], -1.0
	s_delay_alu instid0(VALU_DEP_3) | instskip(NEXT) | instid1(VALU_DEP_3)
	v_ldexp_f64 v[16:17], v[16:17], v22
	v_add_f64 v[18:19], v[20:21], -1.0
	s_delay_alu instid0(VALU_DEP_3) | instskip(NEXT) | instid1(VALU_DEP_2)
	v_add_f64 v[28:29], v[26:27], 1.0
	v_add_f64 v[18:19], v[12:13], -v[18:19]
	s_delay_alu instid0(VALU_DEP_2) | instskip(NEXT) | instid1(VALU_DEP_2)
	v_add_f64 v[12:13], v[12:13], -v[28:29]
	v_add_f64 v[18:19], v[16:17], v[18:19]
	s_delay_alu instid0(VALU_DEP_2) | instskip(NEXT) | instid1(VALU_DEP_2)
	v_add_f64 v[12:13], v[16:17], v[12:13]
	v_add_f64 v[22:23], v[20:21], v[18:19]
	s_delay_alu instid0(VALU_DEP_2) | instskip(NEXT) | instid1(VALU_DEP_2)
	v_add_f64 v[28:29], v[26:27], v[12:13]
	v_rcp_f64_e32 v[24:25], v[22:23]
	v_add_f64 v[20:21], v[22:23], -v[20:21]
	s_delay_alu instid0(VALU_DEP_2) | instskip(NEXT) | instid1(VALU_DEP_2)
	v_add_f64 v[26:27], v[28:29], -v[26:27]
	v_add_f64 v[18:19], v[18:19], -v[20:21]
	s_waitcnt_depctr 0xfff
	v_fma_f64 v[30:31], -v[22:23], v[24:25], 1.0
	v_add_f64 v[12:13], v[12:13], -v[26:27]
	s_delay_alu instid0(VALU_DEP_2) | instskip(NEXT) | instid1(VALU_DEP_1)
	v_fma_f64 v[24:25], v[30:31], v[24:25], v[24:25]
	v_fma_f64 v[16:17], -v[22:23], v[24:25], 1.0
	s_delay_alu instid0(VALU_DEP_1) | instskip(NEXT) | instid1(VALU_DEP_1)
	v_fma_f64 v[16:17], v[16:17], v[24:25], v[24:25]
	v_mul_f64 v[24:25], v[28:29], v[16:17]
	s_delay_alu instid0(VALU_DEP_1) | instskip(NEXT) | instid1(VALU_DEP_1)
	v_mul_f64 v[30:31], v[22:23], v[24:25]
	v_fma_f64 v[20:21], v[24:25], v[22:23], -v[30:31]
	s_delay_alu instid0(VALU_DEP_1) | instskip(NEXT) | instid1(VALU_DEP_1)
	v_fma_f64 v[20:21], v[24:25], v[18:19], v[20:21]
	v_add_f64 v[32:33], v[30:31], v[20:21]
	s_delay_alu instid0(VALU_DEP_1) | instskip(SKIP_1) | instid1(VALU_DEP_2)
	v_add_f64 v[34:35], v[28:29], -v[32:33]
	v_add_f64 v[26:27], v[32:33], -v[30:31]
	;; [unrolled: 1-line block ×3, first 2 shown]
	s_delay_alu instid0(VALU_DEP_2) | instskip(NEXT) | instid1(VALU_DEP_2)
	v_add_f64 v[20:21], v[26:27], -v[20:21]
	v_add_f64 v[28:29], v[28:29], -v[32:33]
	s_delay_alu instid0(VALU_DEP_1) | instskip(NEXT) | instid1(VALU_DEP_1)
	v_add_f64 v[12:13], v[12:13], v[28:29]
	v_add_f64 v[12:13], v[20:21], v[12:13]
	s_delay_alu instid0(VALU_DEP_1) | instskip(NEXT) | instid1(VALU_DEP_1)
	v_add_f64 v[20:21], v[34:35], v[12:13]
	v_mul_f64 v[26:27], v[16:17], v[20:21]
	v_add_f64 v[32:33], v[34:35], -v[20:21]
	s_delay_alu instid0(VALU_DEP_2) | instskip(NEXT) | instid1(VALU_DEP_2)
	v_mul_f64 v[28:29], v[22:23], v[26:27]
	v_add_f64 v[12:13], v[12:13], v[32:33]
	s_delay_alu instid0(VALU_DEP_2) | instskip(NEXT) | instid1(VALU_DEP_1)
	v_fma_f64 v[22:23], v[26:27], v[22:23], -v[28:29]
	v_fma_f64 v[18:19], v[26:27], v[18:19], v[22:23]
	s_delay_alu instid0(VALU_DEP_1) | instskip(NEXT) | instid1(VALU_DEP_1)
	v_add_f64 v[22:23], v[28:29], v[18:19]
	v_add_f64 v[30:31], v[20:21], -v[22:23]
	v_add_f64 v[28:29], v[22:23], -v[28:29]
	s_delay_alu instid0(VALU_DEP_2) | instskip(NEXT) | instid1(VALU_DEP_2)
	v_add_f64 v[20:21], v[20:21], -v[30:31]
	v_add_f64 v[18:19], v[28:29], -v[18:19]
	s_delay_alu instid0(VALU_DEP_2) | instskip(NEXT) | instid1(VALU_DEP_1)
	v_add_f64 v[20:21], v[20:21], -v[22:23]
	v_add_f64 v[12:13], v[12:13], v[20:21]
	v_add_f64 v[20:21], v[24:25], v[26:27]
	s_delay_alu instid0(VALU_DEP_2) | instskip(NEXT) | instid1(VALU_DEP_2)
	v_add_f64 v[12:13], v[18:19], v[12:13]
	v_add_f64 v[18:19], v[20:21], -v[24:25]
	s_delay_alu instid0(VALU_DEP_2) | instskip(NEXT) | instid1(VALU_DEP_2)
	v_add_f64 v[12:13], v[30:31], v[12:13]
	v_add_f64 v[18:19], v[26:27], -v[18:19]
	s_delay_alu instid0(VALU_DEP_2) | instskip(NEXT) | instid1(VALU_DEP_1)
	v_mul_f64 v[12:13], v[16:17], v[12:13]
	v_add_f64 v[12:13], v[18:19], v[12:13]
	s_delay_alu instid0(VALU_DEP_1) | instskip(NEXT) | instid1(VALU_DEP_1)
	v_add_f64 v[16:17], v[20:21], v[12:13]
	v_mul_f64 v[18:19], v[16:17], v[16:17]
	s_delay_alu instid0(VALU_DEP_1) | instskip(SKIP_3) | instid1(VALU_DEP_2)
	v_fma_f64 v[22:23], v[18:19], s[8:9], s[6:7]
	s_mov_b32 s6, 0xd7f4df2e
	s_mov_b32 s7, 0x3fc7474d
	v_mul_f64 v[24:25], v[16:17], v[18:19]
	v_fma_f64 v[22:23], v[18:19], v[22:23], s[6:7]
	s_mov_b32 s6, 0x16291751
	s_mov_b32 s7, 0x3fcc71c0
	s_delay_alu instid0(VALU_DEP_1) | instid1(SALU_CYCLE_1)
	v_fma_f64 v[22:23], v[18:19], v[22:23], s[6:7]
	s_mov_b32 s6, 0x9b27acf1
	s_mov_b32 s7, 0x3fd24924
	s_delay_alu instid0(VALU_DEP_1) | instid1(SALU_CYCLE_1)
	;; [unrolled: 4-line block ×3, first 2 shown]
	v_fma_f64 v[22:23], v[18:19], v[22:23], s[6:7]
	s_delay_alu instid0(VALU_DEP_1) | instskip(SKIP_4) | instid1(VALU_DEP_3)
	v_fma_f64 v[18:19], v[18:19], v[22:23], s[2:3]
	v_ldexp_f64 v[22:23], v[16:17], 1
	v_add_f64 v[16:17], v[16:17], -v[20:21]
	s_mov_b32 s2, 0xfefa39ef
	s_mov_b32 s3, 0x3fe62e42
	v_mul_f64 v[18:19], v[24:25], v[18:19]
	v_cvt_f64_i32_e32 v[24:25], v36
	s_delay_alu instid0(VALU_DEP_3) | instskip(NEXT) | instid1(VALU_DEP_3)
	v_add_f64 v[12:13], v[12:13], -v[16:17]
	v_add_f64 v[20:21], v[22:23], v[18:19]
	s_delay_alu instid0(VALU_DEP_3) | instskip(NEXT) | instid1(VALU_DEP_3)
	v_mul_f64 v[26:27], v[24:25], s[2:3]
	v_ldexp_f64 v[12:13], v[12:13], 1
	s_delay_alu instid0(VALU_DEP_3) | instskip(NEXT) | instid1(VALU_DEP_3)
	v_add_f64 v[16:17], v[20:21], -v[22:23]
	v_fma_f64 v[22:23], v[24:25], s[2:3], -v[26:27]
	s_mov_b32 s2, 0x3b39803f
	s_mov_b32 s3, 0x3c7abc9e
	s_delay_alu instid0(VALU_DEP_2) | instskip(NEXT) | instid1(VALU_DEP_2)
	v_add_f64 v[16:17], v[18:19], -v[16:17]
	v_fma_f64 v[18:19], v[24:25], s[2:3], v[22:23]
	s_delay_alu instid0(VALU_DEP_2) | instskip(NEXT) | instid1(VALU_DEP_2)
	v_add_f64 v[12:13], v[12:13], v[16:17]
	v_add_f64 v[16:17], v[26:27], v[18:19]
	s_delay_alu instid0(VALU_DEP_2) | instskip(NEXT) | instid1(VALU_DEP_2)
	v_add_f64 v[22:23], v[20:21], v[12:13]
	v_add_f64 v[26:27], v[16:17], -v[26:27]
	s_delay_alu instid0(VALU_DEP_2) | instskip(SKIP_1) | instid1(VALU_DEP_3)
	v_add_f64 v[24:25], v[16:17], v[22:23]
	v_add_f64 v[20:21], v[22:23], -v[20:21]
	v_add_f64 v[18:19], v[18:19], -v[26:27]
	s_delay_alu instid0(VALU_DEP_3) | instskip(NEXT) | instid1(VALU_DEP_3)
	v_add_f64 v[28:29], v[24:25], -v[16:17]
	v_add_f64 v[12:13], v[12:13], -v[20:21]
	s_delay_alu instid0(VALU_DEP_2) | instskip(SKIP_1) | instid1(VALU_DEP_3)
	v_add_f64 v[30:31], v[24:25], -v[28:29]
	v_add_f64 v[20:21], v[22:23], -v[28:29]
	v_add_f64 v[22:23], v[18:19], v[12:13]
	s_delay_alu instid0(VALU_DEP_3) | instskip(NEXT) | instid1(VALU_DEP_1)
	v_add_f64 v[16:17], v[16:17], -v[30:31]
	v_add_f64 v[16:17], v[20:21], v[16:17]
	s_delay_alu instid0(VALU_DEP_3) | instskip(NEXT) | instid1(VALU_DEP_2)
	v_add_f64 v[20:21], v[22:23], -v[18:19]
	v_add_f64 v[16:17], v[22:23], v[16:17]
	s_delay_alu instid0(VALU_DEP_2) | instskip(SKIP_1) | instid1(VALU_DEP_3)
	v_add_f64 v[22:23], v[22:23], -v[20:21]
	v_add_f64 v[12:13], v[12:13], -v[20:21]
	v_add_f64 v[26:27], v[24:25], v[16:17]
	s_delay_alu instid0(VALU_DEP_3) | instskip(NEXT) | instid1(VALU_DEP_2)
	v_add_f64 v[18:19], v[18:19], -v[22:23]
	v_add_f64 v[20:21], v[26:27], -v[24:25]
	s_delay_alu instid0(VALU_DEP_2) | instskip(NEXT) | instid1(VALU_DEP_2)
	v_add_f64 v[12:13], v[12:13], v[18:19]
	v_add_f64 v[16:17], v[16:17], -v[20:21]
	s_delay_alu instid0(VALU_DEP_1) | instskip(NEXT) | instid1(VALU_DEP_1)
	v_add_f64 v[12:13], v[12:13], v[16:17]
	v_add_f64 v[12:13], v[26:27], v[12:13]
	s_delay_alu instid0(VALU_DEP_1) | instskip(SKIP_1) | instid1(VALU_DEP_2)
	v_dual_cndmask_b32 v13, v13, v15 :: v_dual_cndmask_b32 v12, v12, v14
	v_cmp_ngt_f64_e32 vcc_lo, -1.0, v[14:15]
	v_mul_f64 v[12:13], v[12:13], 0.5
	s_delay_alu instid0(VALU_DEP_1) | instskip(SKIP_1) | instid1(VALU_DEP_3)
	v_cndmask_b32_e32 v13, 0x7ff80000, v13, vcc_lo
	v_cmp_nge_f64_e32 vcc_lo, -1.0, v[14:15]
	v_cndmask_b32_e32 v12, 0, v12, vcc_lo
	v_cmp_neq_f64_e32 vcc_lo, -1.0, v[14:15]
	s_delay_alu instid0(VALU_DEP_4)
	v_cndmask_b32_e32 v13, 0xfff00000, v13, vcc_lo
.LBB186_19:
	s_or_b32 exec_lo, exec_lo, s4
.LBB186_20:
	s_delay_alu instid0(SALU_CYCLE_1)
	s_or_b32 exec_lo, exec_lo, s1
	v_max_f64 v[14:15], |v[2:3]|, |v[2:3]|
	s_mov_b32 s2, 0xbd3237f4
	s_mov_b32 s4, 0xb5e68a13
	;; [unrolled: 1-line block ×4, first 2 shown]
	v_cmp_eq_f64_e64 s1, 0, v[0:1]
	s_delay_alu instid0(VALU_DEP_2) | instskip(NEXT) | instid1(VALU_DEP_1)
	v_min_f64 v[8:9], v[14:15], v[8:9]
	v_div_scale_f64 v[14:15], null, v[10:11], v[10:11], v[8:9]
	v_div_scale_f64 v[20:21], vcc_lo, v[8:9], v[10:11], v[8:9]
	s_delay_alu instid0(VALU_DEP_2) | instskip(SKIP_2) | instid1(VALU_DEP_1)
	v_rcp_f64_e32 v[16:17], v[14:15]
	s_waitcnt_depctr 0xfff
	v_fma_f64 v[18:19], -v[14:15], v[16:17], 1.0
	v_fma_f64 v[16:17], v[16:17], v[18:19], v[16:17]
	s_delay_alu instid0(VALU_DEP_1) | instskip(NEXT) | instid1(VALU_DEP_1)
	v_fma_f64 v[18:19], -v[14:15], v[16:17], 1.0
	v_fma_f64 v[16:17], v[16:17], v[18:19], v[16:17]
	s_delay_alu instid0(VALU_DEP_1) | instskip(NEXT) | instid1(VALU_DEP_1)
	v_mul_f64 v[18:19], v[20:21], v[16:17]
	v_fma_f64 v[14:15], -v[14:15], v[18:19], v[20:21]
	s_delay_alu instid0(VALU_DEP_1) | instskip(SKIP_2) | instid1(VALU_DEP_3)
	v_div_fmas_f64 v[14:15], v[14:15], v[16:17], v[18:19]
	v_cmp_lt_f64_e64 vcc_lo, |v[2:3]|, |v[0:1]|
	v_mov_b32_e32 v0, 0x4002d97c
	v_div_fixup_f64 v[8:9], v[14:15], v[10:11], v[8:9]
	s_delay_alu instid0(VALU_DEP_1) | instskip(NEXT) | instid1(VALU_DEP_1)
	v_mul_f64 v[10:11], v[8:9], v[8:9]
	v_fma_f64 v[14:15], v[10:11], s[4:5], s[2:3]
	s_mov_b32 s2, 0x69efb384
	s_mov_b32 s3, 0x3f4b2bb0
	s_delay_alu instid0(VALU_DEP_1) | instid1(SALU_CYCLE_1)
	v_fma_f64 v[14:15], v[10:11], v[14:15], s[2:3]
	s_mov_b32 s2, 0xaf56de9b
	s_mov_b32 s3, 0xbf67952d
	s_delay_alu instid0(VALU_DEP_1) | instid1(SALU_CYCLE_1)
	;; [unrolled: 4-line block ×18, first 2 shown]
	v_fma_f64 v[14:15], v[10:11], v[14:15], s[2:3]
	s_mov_b32 s2, 0x54442d18
	s_mov_b32 s3, 0x3ff921fb
	s_delay_alu instid0(VALU_DEP_1) | instskip(SKIP_1) | instid1(VALU_DEP_2)
	v_mul_f64 v[10:11], v[10:11], v[14:15]
	v_ashrrev_i32_e32 v14, 31, v3
	v_fma_f64 v[8:9], v[8:9], v[10:11], v[8:9]
	s_delay_alu instid0(VALU_DEP_1) | instskip(SKIP_1) | instid1(VALU_DEP_1)
	v_add_f64 v[10:11], -v[8:9], s[2:3]
	s_mov_b32 s3, 0x400921fb
	v_dual_cndmask_b32 v9, v9, v11 :: v_dual_cndmask_b32 v8, v8, v10
	v_cmp_gt_i32_e32 vcc_lo, 0, v3
	s_delay_alu instid0(VALU_DEP_2) | instskip(SKIP_2) | instid1(VALU_DEP_1)
	v_add_f64 v[10:11], -v[8:9], s[2:3]
	v_mov_b32_e32 v2, 0x7f3321d2
	v_cndmask_b32_e32 v0, 0x3fe921fb, v0, vcc_lo
	v_bfi_b32 v0, 0x7fffffff, v0, v1
	s_delay_alu instid0(VALU_DEP_4) | instskip(NEXT) | instid1(VALU_DEP_4)
	v_cndmask_b32_e32 v9, v9, v11, vcc_lo
	v_cndmask_b32_e32 v2, 0x54442d18, v2, vcc_lo
	;; [unrolled: 1-line block ×3, first 2 shown]
	v_and_b32_e32 v10, 0x400921fb, v14
	s_and_b32 vcc_lo, s13, s12
	v_and_b32_e32 v3, 0x54442d18, v14
	s_delay_alu instid0(VALU_DEP_1) | instskip(NEXT) | instid1(VALU_DEP_3)
	v_cndmask_b32_e64 v3, v8, v3, s1
	v_cndmask_b32_e64 v8, v9, v10, s1
	v_add_f64 v[10:11], v[4:5], v[12:13]
	s_delay_alu instid0(VALU_DEP_3) | instskip(NEXT) | instid1(VALU_DEP_3)
	v_cndmask_b32_e32 v2, v3, v2, vcc_lo
	v_cndmask_b32_e32 v0, v8, v0, vcc_lo
	s_delay_alu instid0(VALU_DEP_1) | instskip(NEXT) | instid1(VALU_DEP_3)
	v_cndmask_b32_e64 v3, 0x7ff80000, v0, s0
	v_cndmask_b32_e64 v0, 0, v2, s0
	s_delay_alu instid0(VALU_DEP_2) | instskip(NEXT) | instid1(VALU_DEP_1)
	v_bfi_b32 v1, 0x7fffffff, v3, v1
	v_add_f64 v[8:9], v[6:7], v[0:1]
                                        ; implicit-def: $vgpr6_vgpr7
.LBB186_21:
	s_and_not1_saveexec_b32 s5, s11
	s_cbranch_execz .LBB186_47
; %bb.22:
	s_mov_b32 s8, exec_lo
	v_cmpx_ngt_f64_e32 0, v[10:11]
	s_cbranch_execz .LBB186_46
; %bb.23:
	s_delay_alu instid0(VALU_DEP_2)
	v_cmp_ngt_f64_e64 s1, 0x41d00000, |v[8:9]|
	v_trig_preop_f64 v[16:17], |v[8:9]|, 0
	v_trig_preop_f64 v[14:15], |v[8:9]|, 1
	v_ldexp_f64 v[18:19], |v[8:9]|, 0xffffff80
	v_trig_preop_f64 v[12:13], |v[8:9]|, 2
	v_and_b32_e32 v20, 0x7fffffff, v9
                                        ; implicit-def: $vgpr28
                                        ; implicit-def: $vgpr0_vgpr1
                                        ; implicit-def: $vgpr2_vgpr3
	s_and_saveexec_b32 s0, s1
	s_delay_alu instid0(SALU_CYCLE_1)
	s_xor_b32 s2, exec_lo, s0
	s_cbranch_execz .LBB186_25
; %bb.24:
	v_cmp_le_f64_e64 vcc_lo, 0x7b000000, |v[8:9]|
	v_mov_b32_e32 v33, 0
	s_mov_b32 s6, 0x54442d18
	s_mov_b32 s7, 0x3ff921fb
	;; [unrolled: 1-line block ×4, first 2 shown]
	v_cndmask_b32_e32 v1, v20, v19, vcc_lo
	v_cndmask_b32_e32 v0, v8, v18, vcc_lo
	s_delay_alu instid0(VALU_DEP_1) | instskip(SKIP_1) | instid1(VALU_DEP_2)
	v_mul_f64 v[2:3], v[16:17], v[0:1]
	v_mul_f64 v[4:5], v[14:15], v[0:1]
	v_fma_f64 v[10:11], v[16:17], v[0:1], -v[2:3]
	s_delay_alu instid0(VALU_DEP_2) | instskip(NEXT) | instid1(VALU_DEP_2)
	v_fma_f64 v[31:32], v[14:15], v[0:1], -v[4:5]
	v_add_f64 v[21:22], v[4:5], v[10:11]
	s_delay_alu instid0(VALU_DEP_1) | instskip(SKIP_1) | instid1(VALU_DEP_2)
	v_add_f64 v[23:24], v[21:22], -v[4:5]
	v_add_f64 v[27:28], v[2:3], v[21:22]
	v_add_f64 v[25:26], v[21:22], -v[23:24]
	v_add_f64 v[10:11], v[10:11], -v[23:24]
	s_delay_alu instid0(VALU_DEP_3) | instskip(SKIP_1) | instid1(VALU_DEP_4)
	v_ldexp_f64 v[23:24], v[27:28], -2
	v_add_f64 v[2:3], v[27:28], -v[2:3]
	v_add_f64 v[4:5], v[4:5], -v[25:26]
	s_delay_alu instid0(VALU_DEP_3) | instskip(NEXT) | instid1(VALU_DEP_3)
	v_cmp_neq_f64_e64 vcc_lo, 0x7ff00000, |v[23:24]|
	v_add_f64 v[2:3], v[21:22], -v[2:3]
	s_delay_alu instid0(VALU_DEP_3) | instskip(SKIP_1) | instid1(VALU_DEP_1)
	v_add_f64 v[4:5], v[10:11], v[4:5]
	v_fract_f64_e32 v[10:11], v[23:24]
	v_dual_cndmask_b32 v11, 0, v11 :: v_dual_cndmask_b32 v10, 0, v10
	v_mul_f64 v[29:30], v[12:13], v[0:1]
	s_delay_alu instid0(VALU_DEP_2) | instskip(NEXT) | instid1(VALU_DEP_2)
	v_ldexp_f64 v[10:11], v[10:11], 2
	v_add_f64 v[25:26], v[29:30], v[31:32]
	v_fma_f64 v[0:1], v[12:13], v[0:1], -v[29:30]
	s_delay_alu instid0(VALU_DEP_2) | instskip(NEXT) | instid1(VALU_DEP_1)
	v_add_f64 v[21:22], v[25:26], v[4:5]
	v_add_f64 v[23:24], v[2:3], v[21:22]
	s_delay_alu instid0(VALU_DEP_1) | instskip(SKIP_1) | instid1(VALU_DEP_2)
	v_add_f64 v[27:28], v[23:24], v[10:11]
	v_add_f64 v[2:3], v[23:24], -v[2:3]
	v_cmp_gt_f64_e32 vcc_lo, 0, v[27:28]
	v_add_f64 v[27:28], v[25:26], -v[29:30]
	s_delay_alu instid0(VALU_DEP_3) | instskip(SKIP_1) | instid1(VALU_DEP_3)
	v_add_f64 v[2:3], v[21:22], -v[2:3]
	v_cndmask_b32_e64 v34, 0, 0x40100000, vcc_lo
	v_add_f64 v[38:39], v[25:26], -v[27:28]
	v_add_f64 v[27:28], v[31:32], -v[27:28]
	s_delay_alu instid0(VALU_DEP_3) | instskip(SKIP_1) | instid1(VALU_DEP_4)
	v_add_f64 v[10:11], v[10:11], v[33:34]
	v_add_f64 v[34:35], v[21:22], -v[25:26]
	v_add_f64 v[31:32], v[29:30], -v[38:39]
	s_delay_alu instid0(VALU_DEP_3) | instskip(NEXT) | instid1(VALU_DEP_3)
	v_add_f64 v[36:37], v[23:24], v[10:11]
	v_add_f64 v[48:49], v[21:22], -v[34:35]
	v_add_f64 v[4:5], v[4:5], -v[34:35]
	s_delay_alu instid0(VALU_DEP_4) | instskip(NEXT) | instid1(VALU_DEP_4)
	v_add_f64 v[27:28], v[27:28], v[31:32]
	v_cvt_i32_f64_e32 v36, v[36:37]
	s_delay_alu instid0(VALU_DEP_4) | instskip(NEXT) | instid1(VALU_DEP_2)
	v_add_f64 v[25:26], v[25:26], -v[48:49]
	v_cvt_f64_i32_e32 v[34:35], v36
	s_delay_alu instid0(VALU_DEP_2) | instskip(NEXT) | instid1(VALU_DEP_2)
	v_add_f64 v[4:5], v[4:5], v[25:26]
	v_add_f64 v[10:11], v[10:11], -v[34:35]
	s_delay_alu instid0(VALU_DEP_2) | instskip(NEXT) | instid1(VALU_DEP_2)
	v_add_f64 v[4:5], v[27:28], v[4:5]
	v_add_f64 v[25:26], v[23:24], v[10:11]
	s_delay_alu instid0(VALU_DEP_2) | instskip(NEXT) | instid1(VALU_DEP_2)
	v_add_f64 v[0:1], v[0:1], v[4:5]
	v_add_f64 v[4:5], v[25:26], -v[10:11]
	v_cmp_le_f64_e32 vcc_lo, 0.5, v[25:26]
	s_delay_alu instid0(VALU_DEP_3) | instskip(NEXT) | instid1(VALU_DEP_3)
	v_add_f64 v[0:1], v[2:3], v[0:1]
	v_add_f64 v[2:3], v[23:24], -v[4:5]
	v_cndmask_b32_e64 v34, 0, 0x3ff00000, vcc_lo
	v_add_co_ci_u32_e64 v28, s0, 0, v36, vcc_lo
	s_delay_alu instid0(VALU_DEP_3) | instskip(NEXT) | instid1(VALU_DEP_3)
	v_add_f64 v[0:1], v[0:1], v[2:3]
	v_add_f64 v[2:3], v[25:26], -v[33:34]
	s_delay_alu instid0(VALU_DEP_1) | instskip(NEXT) | instid1(VALU_DEP_1)
	v_add_f64 v[4:5], v[2:3], v[0:1]
	v_mul_f64 v[10:11], v[4:5], s[6:7]
	v_add_f64 v[2:3], v[4:5], -v[2:3]
	s_delay_alu instid0(VALU_DEP_2) | instskip(NEXT) | instid1(VALU_DEP_2)
	v_fma_f64 v[21:22], v[4:5], s[6:7], -v[10:11]
	v_add_f64 v[0:1], v[0:1], -v[2:3]
	s_delay_alu instid0(VALU_DEP_2) | instskip(NEXT) | instid1(VALU_DEP_1)
	v_fma_f64 v[2:3], v[4:5], s[12:13], v[21:22]
	v_fma_f64 v[2:3], v[0:1], s[6:7], v[2:3]
	s_delay_alu instid0(VALU_DEP_1) | instskip(NEXT) | instid1(VALU_DEP_1)
	v_add_f64 v[0:1], v[10:11], v[2:3]
	v_add_f64 v[4:5], v[0:1], -v[10:11]
	s_delay_alu instid0(VALU_DEP_1)
	v_add_f64 v[2:3], v[2:3], -v[4:5]
	s_and_not1_saveexec_b32 s0, s2
	s_cbranch_execz .LBB186_27
	s_branch .LBB186_26
.LBB186_25:
	s_and_not1_saveexec_b32 s0, s2
	s_cbranch_execz .LBB186_27
.LBB186_26:
	s_mov_b32 s2, 0x6dc9c883
	s_mov_b32 s3, 0x3fe45f30
	;; [unrolled: 1-line block ×3, first 2 shown]
	v_mul_f64 v[0:1], |v[8:9]|, s[2:3]
	s_mov_b32 s2, 0x54442d18
	s_mov_b32 s3, 0xbff921fb
	s_mov_b32 s6, 0x33145c00
	s_delay_alu instid0(VALU_DEP_1) | instskip(NEXT) | instid1(VALU_DEP_1)
	v_rndne_f64_e32 v[4:5], v[0:1]
	v_fma_f64 v[0:1], v[4:5], s[2:3], |v[8:9]|
	v_mul_f64 v[2:3], v[4:5], s[6:7]
	s_mov_b32 s2, 0x252049c0
	s_mov_b32 s3, 0xb97b839a
	v_cvt_i32_f64_e32 v28, v[4:5]
	s_delay_alu instid0(VALU_DEP_3) | instskip(NEXT) | instid1(VALU_DEP_3)
	v_fma_f64 v[21:22], v[4:5], s[6:7], v[0:1]
	v_add_f64 v[10:11], v[0:1], v[2:3]
	s_mov_b32 s7, 0x3c91a626
	s_delay_alu instid0(VALU_DEP_1) | instskip(NEXT) | instid1(VALU_DEP_3)
	v_add_f64 v[0:1], v[0:1], -v[10:11]
	v_add_f64 v[10:11], v[10:11], -v[21:22]
	s_delay_alu instid0(VALU_DEP_2) | instskip(SKIP_1) | instid1(VALU_DEP_2)
	v_add_f64 v[0:1], v[0:1], v[2:3]
	v_fma_f64 v[2:3], v[4:5], s[6:7], v[2:3]
	v_add_f64 v[0:1], v[10:11], v[0:1]
	s_delay_alu instid0(VALU_DEP_1) | instskip(NEXT) | instid1(VALU_DEP_1)
	v_add_f64 v[0:1], v[0:1], -v[2:3]
	v_fma_f64 v[2:3], v[4:5], s[2:3], v[0:1]
	s_delay_alu instid0(VALU_DEP_1) | instskip(NEXT) | instid1(VALU_DEP_1)
	v_add_f64 v[0:1], v[21:22], v[2:3]
	v_add_f64 v[10:11], v[0:1], -v[21:22]
	s_delay_alu instid0(VALU_DEP_1)
	v_add_f64 v[2:3], v[2:3], -v[10:11]
.LBB186_27:
	s_or_b32 exec_lo, exec_lo, s0
                                        ; implicit-def: $vgpr29
                                        ; implicit-def: $vgpr4_vgpr5
                                        ; implicit-def: $vgpr10_vgpr11
	s_and_saveexec_b32 s0, s1
	s_delay_alu instid0(SALU_CYCLE_1)
	s_xor_b32 s1, exec_lo, s0
	s_cbranch_execz .LBB186_29
; %bb.28:
	v_cmp_le_f64_e64 vcc_lo, 0x7b000000, |v[8:9]|
	v_mov_b32_e32 v31, 0
	s_mov_b32 s2, 0x54442d18
	s_mov_b32 s3, 0x3ff921fb
	;; [unrolled: 1-line block ×4, first 2 shown]
	v_cndmask_b32_e32 v5, v20, v19, vcc_lo
	v_cndmask_b32_e32 v4, v8, v18, vcc_lo
	s_delay_alu instid0(VALU_DEP_1) | instskip(SKIP_1) | instid1(VALU_DEP_2)
	v_mul_f64 v[10:11], v[16:17], v[4:5]
	v_mul_f64 v[18:19], v[14:15], v[4:5]
	v_fma_f64 v[16:17], v[16:17], v[4:5], -v[10:11]
	s_delay_alu instid0(VALU_DEP_2) | instskip(NEXT) | instid1(VALU_DEP_2)
	v_fma_f64 v[14:15], v[14:15], v[4:5], -v[18:19]
	v_add_f64 v[20:21], v[18:19], v[16:17]
	s_delay_alu instid0(VALU_DEP_1) | instskip(SKIP_1) | instid1(VALU_DEP_2)
	v_add_f64 v[22:23], v[20:21], -v[18:19]
	v_add_f64 v[26:27], v[10:11], v[20:21]
	v_add_f64 v[24:25], v[20:21], -v[22:23]
	v_add_f64 v[16:17], v[16:17], -v[22:23]
	s_delay_alu instid0(VALU_DEP_3) | instskip(SKIP_1) | instid1(VALU_DEP_4)
	v_ldexp_f64 v[22:23], v[26:27], -2
	v_add_f64 v[10:11], v[26:27], -v[10:11]
	v_add_f64 v[18:19], v[18:19], -v[24:25]
	s_delay_alu instid0(VALU_DEP_3) | instskip(NEXT) | instid1(VALU_DEP_3)
	v_cmp_neq_f64_e64 vcc_lo, 0x7ff00000, |v[22:23]|
	v_add_f64 v[10:11], v[20:21], -v[10:11]
	s_delay_alu instid0(VALU_DEP_3) | instskip(SKIP_1) | instid1(VALU_DEP_1)
	v_add_f64 v[16:17], v[16:17], v[18:19]
	v_fract_f64_e32 v[18:19], v[22:23]
	v_dual_cndmask_b32 v19, 0, v19 :: v_dual_cndmask_b32 v18, 0, v18
	v_mul_f64 v[29:30], v[12:13], v[4:5]
	s_delay_alu instid0(VALU_DEP_2) | instskip(NEXT) | instid1(VALU_DEP_2)
	v_ldexp_f64 v[18:19], v[18:19], 2
	v_add_f64 v[24:25], v[29:30], v[14:15]
	v_fma_f64 v[4:5], v[12:13], v[4:5], -v[29:30]
	s_delay_alu instid0(VALU_DEP_2) | instskip(NEXT) | instid1(VALU_DEP_1)
	v_add_f64 v[20:21], v[24:25], v[16:17]
	v_add_f64 v[22:23], v[10:11], v[20:21]
	s_delay_alu instid0(VALU_DEP_1) | instskip(SKIP_1) | instid1(VALU_DEP_2)
	v_add_f64 v[26:27], v[22:23], v[18:19]
	v_add_f64 v[10:11], v[22:23], -v[10:11]
	v_cmp_gt_f64_e32 vcc_lo, 0, v[26:27]
	v_add_f64 v[26:27], v[24:25], -v[29:30]
	s_delay_alu instid0(VALU_DEP_3) | instskip(SKIP_1) | instid1(VALU_DEP_3)
	v_add_f64 v[10:11], v[20:21], -v[10:11]
	v_cndmask_b32_e64 v32, 0, 0x40100000, vcc_lo
	v_add_f64 v[36:37], v[24:25], -v[26:27]
	v_add_f64 v[14:15], v[14:15], -v[26:27]
	s_delay_alu instid0(VALU_DEP_3) | instskip(SKIP_1) | instid1(VALU_DEP_4)
	v_add_f64 v[18:19], v[18:19], v[31:32]
	v_add_f64 v[32:33], v[20:21], -v[24:25]
	v_add_f64 v[26:27], v[29:30], -v[36:37]
	s_delay_alu instid0(VALU_DEP_3) | instskip(NEXT) | instid1(VALU_DEP_3)
	v_add_f64 v[34:35], v[22:23], v[18:19]
	v_add_f64 v[38:39], v[20:21], -v[32:33]
	v_add_f64 v[16:17], v[16:17], -v[32:33]
	s_delay_alu instid0(VALU_DEP_4) | instskip(NEXT) | instid1(VALU_DEP_4)
	v_add_f64 v[14:15], v[14:15], v[26:27]
	v_cvt_i32_f64_e32 v34, v[34:35]
	s_delay_alu instid0(VALU_DEP_4) | instskip(NEXT) | instid1(VALU_DEP_2)
	v_add_f64 v[24:25], v[24:25], -v[38:39]
	v_cvt_f64_i32_e32 v[32:33], v34
	s_delay_alu instid0(VALU_DEP_2) | instskip(NEXT) | instid1(VALU_DEP_2)
	v_add_f64 v[16:17], v[16:17], v[24:25]
	v_add_f64 v[18:19], v[18:19], -v[32:33]
	s_delay_alu instid0(VALU_DEP_2) | instskip(NEXT) | instid1(VALU_DEP_2)
	v_add_f64 v[12:13], v[14:15], v[16:17]
	v_add_f64 v[14:15], v[22:23], v[18:19]
	s_delay_alu instid0(VALU_DEP_2) | instskip(NEXT) | instid1(VALU_DEP_2)
	v_add_f64 v[4:5], v[4:5], v[12:13]
	v_add_f64 v[12:13], v[14:15], -v[18:19]
	v_cmp_le_f64_e32 vcc_lo, 0.5, v[14:15]
	s_delay_alu instid0(VALU_DEP_3) | instskip(NEXT) | instid1(VALU_DEP_3)
	v_add_f64 v[4:5], v[10:11], v[4:5]
	v_add_f64 v[10:11], v[22:23], -v[12:13]
	v_cndmask_b32_e64 v32, 0, 0x3ff00000, vcc_lo
	v_add_co_ci_u32_e64 v29, s0, 0, v34, vcc_lo
	s_delay_alu instid0(VALU_DEP_3) | instskip(NEXT) | instid1(VALU_DEP_3)
	v_add_f64 v[4:5], v[4:5], v[10:11]
	v_add_f64 v[10:11], v[14:15], -v[31:32]
	s_delay_alu instid0(VALU_DEP_1) | instskip(NEXT) | instid1(VALU_DEP_1)
	v_add_f64 v[12:13], v[10:11], v[4:5]
	v_mul_f64 v[14:15], v[12:13], s[2:3]
	v_add_f64 v[10:11], v[12:13], -v[10:11]
	s_delay_alu instid0(VALU_DEP_2) | instskip(NEXT) | instid1(VALU_DEP_2)
	v_fma_f64 v[16:17], v[12:13], s[2:3], -v[14:15]
	v_add_f64 v[4:5], v[4:5], -v[10:11]
	s_delay_alu instid0(VALU_DEP_2) | instskip(NEXT) | instid1(VALU_DEP_1)
	v_fma_f64 v[10:11], v[12:13], s[6:7], v[16:17]
	v_fma_f64 v[10:11], v[4:5], s[2:3], v[10:11]
	s_delay_alu instid0(VALU_DEP_1) | instskip(NEXT) | instid1(VALU_DEP_1)
	v_add_f64 v[4:5], v[14:15], v[10:11]
	v_add_f64 v[12:13], v[4:5], -v[14:15]
	s_delay_alu instid0(VALU_DEP_1)
	v_add_f64 v[10:11], v[10:11], -v[12:13]
	s_and_not1_saveexec_b32 s0, s1
	s_cbranch_execnz .LBB186_30
	s_branch .LBB186_31
.LBB186_29:
	s_and_not1_saveexec_b32 s0, s1
	s_cbranch_execz .LBB186_31
.LBB186_30:
	s_mov_b32 s2, 0x6dc9c883
	s_mov_b32 s3, 0x3fe45f30
	;; [unrolled: 1-line block ×3, first 2 shown]
	v_mul_f64 v[4:5], |v[8:9]|, s[2:3]
	s_mov_b32 s2, 0x54442d18
	s_mov_b32 s3, 0xbff921fb
	;; [unrolled: 1-line block ×3, first 2 shown]
	s_delay_alu instid0(VALU_DEP_1) | instskip(NEXT) | instid1(VALU_DEP_1)
	v_rndne_f64_e32 v[12:13], v[4:5]
	v_fma_f64 v[4:5], v[12:13], s[2:3], |v[8:9]|
	v_mul_f64 v[10:11], v[12:13], s[6:7]
	s_mov_b32 s2, 0x252049c0
	s_mov_b32 s3, 0xb97b839a
	v_cvt_i32_f64_e32 v29, v[12:13]
	s_delay_alu instid0(VALU_DEP_3) | instskip(NEXT) | instid1(VALU_DEP_3)
	v_fma_f64 v[16:17], v[12:13], s[6:7], v[4:5]
	v_add_f64 v[14:15], v[4:5], v[10:11]
	s_mov_b32 s7, 0x3c91a626
	s_delay_alu instid0(VALU_DEP_1) | instskip(NEXT) | instid1(VALU_DEP_3)
	v_add_f64 v[4:5], v[4:5], -v[14:15]
	v_add_f64 v[14:15], v[14:15], -v[16:17]
	s_delay_alu instid0(VALU_DEP_2) | instskip(SKIP_1) | instid1(VALU_DEP_2)
	v_add_f64 v[4:5], v[4:5], v[10:11]
	v_fma_f64 v[10:11], v[12:13], s[6:7], v[10:11]
	v_add_f64 v[4:5], v[14:15], v[4:5]
	s_delay_alu instid0(VALU_DEP_1) | instskip(NEXT) | instid1(VALU_DEP_1)
	v_add_f64 v[4:5], v[4:5], -v[10:11]
	v_fma_f64 v[10:11], v[12:13], s[2:3], v[4:5]
	s_delay_alu instid0(VALU_DEP_1) | instskip(NEXT) | instid1(VALU_DEP_1)
	v_add_f64 v[4:5], v[16:17], v[10:11]
	v_add_f64 v[14:15], v[4:5], -v[16:17]
	s_delay_alu instid0(VALU_DEP_1)
	v_add_f64 v[10:11], v[10:11], -v[14:15]
.LBB186_31:
	s_or_b32 exec_lo, exec_lo, s0
	v_cmp_ngt_f64_e64 s1, 0x41d00000, |v[6:7]|
	v_trig_preop_f64 v[24:25], |v[6:7]|, 0
	v_trig_preop_f64 v[22:23], |v[6:7]|, 1
	v_ldexp_f64 v[26:27], |v[6:7]|, 0xffffff80
	v_trig_preop_f64 v[20:21], |v[6:7]|, 2
	v_and_b32_e32 v32, 0x7fffffff, v7
                                        ; implicit-def: $vgpr30
                                        ; implicit-def: $vgpr12_vgpr13
                                        ; implicit-def: $vgpr14_vgpr15
	s_and_saveexec_b32 s0, s1
	s_delay_alu instid0(SALU_CYCLE_1)
	s_xor_b32 s2, exec_lo, s0
	s_cbranch_execz .LBB186_33
; %bb.32:
	v_cmp_le_f64_e64 vcc_lo, 0x7b000000, |v[6:7]|
	v_mov_b32_e32 v52, 0
	s_mov_b32 s6, 0x54442d18
	s_mov_b32 s7, 0x3ff921fb
	;; [unrolled: 1-line block ×4, first 2 shown]
	v_dual_cndmask_b32 v13, v32, v27 :: v_dual_cndmask_b32 v12, v6, v26
	s_delay_alu instid0(VALU_DEP_1) | instskip(SKIP_2) | instid1(VALU_DEP_3)
	v_mul_f64 v[14:15], v[24:25], v[12:13]
	v_mul_f64 v[16:17], v[22:23], v[12:13]
	;; [unrolled: 1-line block ×3, first 2 shown]
	v_fma_f64 v[18:19], v[24:25], v[12:13], -v[14:15]
	s_delay_alu instid0(VALU_DEP_3) | instskip(NEXT) | instid1(VALU_DEP_3)
	v_fma_f64 v[50:51], v[22:23], v[12:13], -v[16:17]
	v_fma_f64 v[12:13], v[20:21], v[12:13], -v[48:49]
	s_delay_alu instid0(VALU_DEP_3) | instskip(NEXT) | instid1(VALU_DEP_1)
	v_add_f64 v[30:31], v[16:17], v[18:19]
	v_add_f64 v[33:34], v[30:31], -v[16:17]
	v_add_f64 v[37:38], v[14:15], v[30:31]
	s_delay_alu instid0(VALU_DEP_2) | instskip(SKIP_1) | instid1(VALU_DEP_3)
	v_add_f64 v[35:36], v[30:31], -v[33:34]
	v_add_f64 v[18:19], v[18:19], -v[33:34]
	v_ldexp_f64 v[33:34], v[37:38], -2
	v_add_f64 v[14:15], v[37:38], -v[14:15]
	s_delay_alu instid0(VALU_DEP_4) | instskip(SKIP_1) | instid1(VALU_DEP_4)
	v_add_f64 v[16:17], v[16:17], -v[35:36]
	v_add_f64 v[35:36], v[48:49], v[50:51]
	v_cmp_neq_f64_e64 vcc_lo, 0x7ff00000, |v[33:34]|
	s_delay_alu instid0(VALU_DEP_4) | instskip(NEXT) | instid1(VALU_DEP_4)
	v_add_f64 v[14:15], v[30:31], -v[14:15]
	v_add_f64 v[16:17], v[18:19], v[16:17]
	v_fract_f64_e32 v[18:19], v[33:34]
	s_delay_alu instid0(VALU_DEP_2) | instskip(NEXT) | instid1(VALU_DEP_2)
	v_add_f64 v[30:31], v[35:36], v[16:17]
	v_dual_cndmask_b32 v19, 0, v19 :: v_dual_cndmask_b32 v18, 0, v18
	s_delay_alu instid0(VALU_DEP_1) | instskip(NEXT) | instid1(VALU_DEP_3)
	v_ldexp_f64 v[18:19], v[18:19], 2
	v_add_f64 v[33:34], v[14:15], v[30:31]
	s_delay_alu instid0(VALU_DEP_1) | instskip(SKIP_1) | instid1(VALU_DEP_2)
	v_add_f64 v[37:38], v[33:34], v[18:19]
	v_add_f64 v[14:15], v[33:34], -v[14:15]
	v_cmp_gt_f64_e32 vcc_lo, 0, v[37:38]
	v_add_f64 v[37:38], v[35:36], -v[48:49]
	s_delay_alu instid0(VALU_DEP_3) | instskip(SKIP_1) | instid1(VALU_DEP_3)
	v_add_f64 v[14:15], v[30:31], -v[14:15]
	v_cndmask_b32_e64 v53, 0, 0x40100000, vcc_lo
	v_add_f64 v[66:67], v[35:36], -v[37:38]
	v_add_f64 v[37:38], v[50:51], -v[37:38]
	s_delay_alu instid0(VALU_DEP_3) | instskip(SKIP_1) | instid1(VALU_DEP_4)
	v_add_f64 v[18:19], v[18:19], v[52:53]
	v_add_f64 v[53:54], v[30:31], -v[35:36]
	v_add_f64 v[50:51], v[48:49], -v[66:67]
	s_delay_alu instid0(VALU_DEP_3) | instskip(NEXT) | instid1(VALU_DEP_3)
	v_add_f64 v[64:65], v[33:34], v[18:19]
	v_add_f64 v[68:69], v[30:31], -v[53:54]
	v_add_f64 v[16:17], v[16:17], -v[53:54]
	s_delay_alu instid0(VALU_DEP_4) | instskip(NEXT) | instid1(VALU_DEP_4)
	v_add_f64 v[37:38], v[37:38], v[50:51]
	v_cvt_i32_f64_e32 v39, v[64:65]
	s_delay_alu instid0(VALU_DEP_4) | instskip(NEXT) | instid1(VALU_DEP_2)
	v_add_f64 v[35:36], v[35:36], -v[68:69]
	v_cvt_f64_i32_e32 v[53:54], v39
	s_delay_alu instid0(VALU_DEP_2) | instskip(NEXT) | instid1(VALU_DEP_2)
	v_add_f64 v[16:17], v[16:17], v[35:36]
	v_add_f64 v[18:19], v[18:19], -v[53:54]
	s_delay_alu instid0(VALU_DEP_2) | instskip(NEXT) | instid1(VALU_DEP_2)
	v_add_f64 v[16:17], v[37:38], v[16:17]
	v_add_f64 v[35:36], v[33:34], v[18:19]
	s_delay_alu instid0(VALU_DEP_2) | instskip(NEXT) | instid1(VALU_DEP_2)
	v_add_f64 v[12:13], v[12:13], v[16:17]
	v_add_f64 v[16:17], v[35:36], -v[18:19]
	v_cmp_le_f64_e32 vcc_lo, 0.5, v[35:36]
	s_delay_alu instid0(VALU_DEP_3) | instskip(NEXT) | instid1(VALU_DEP_3)
	v_add_f64 v[12:13], v[14:15], v[12:13]
	v_add_f64 v[14:15], v[33:34], -v[16:17]
	v_cndmask_b32_e64 v53, 0, 0x3ff00000, vcc_lo
	v_add_co_ci_u32_e64 v30, s0, 0, v39, vcc_lo
	s_delay_alu instid0(VALU_DEP_3) | instskip(NEXT) | instid1(VALU_DEP_3)
	v_add_f64 v[12:13], v[12:13], v[14:15]
	v_add_f64 v[14:15], v[35:36], -v[52:53]
	s_delay_alu instid0(VALU_DEP_1) | instskip(NEXT) | instid1(VALU_DEP_1)
	v_add_f64 v[16:17], v[14:15], v[12:13]
	v_mul_f64 v[18:19], v[16:17], s[6:7]
	v_add_f64 v[14:15], v[16:17], -v[14:15]
	s_delay_alu instid0(VALU_DEP_2) | instskip(NEXT) | instid1(VALU_DEP_2)
	v_fma_f64 v[33:34], v[16:17], s[6:7], -v[18:19]
	v_add_f64 v[12:13], v[12:13], -v[14:15]
	s_delay_alu instid0(VALU_DEP_2) | instskip(NEXT) | instid1(VALU_DEP_1)
	v_fma_f64 v[14:15], v[16:17], s[12:13], v[33:34]
	v_fma_f64 v[14:15], v[12:13], s[6:7], v[14:15]
	s_delay_alu instid0(VALU_DEP_1) | instskip(NEXT) | instid1(VALU_DEP_1)
	v_add_f64 v[12:13], v[18:19], v[14:15]
	v_add_f64 v[16:17], v[12:13], -v[18:19]
	s_delay_alu instid0(VALU_DEP_1)
	v_add_f64 v[14:15], v[14:15], -v[16:17]
	s_and_not1_saveexec_b32 s0, s2
	s_cbranch_execz .LBB186_35
	s_branch .LBB186_34
.LBB186_33:
	s_and_not1_saveexec_b32 s0, s2
	s_cbranch_execz .LBB186_35
.LBB186_34:
	s_mov_b32 s2, 0x6dc9c883
	s_mov_b32 s3, 0x3fe45f30
	s_mov_b32 s7, 0xbc91a626
	v_mul_f64 v[12:13], |v[6:7]|, s[2:3]
	s_mov_b32 s2, 0x54442d18
	s_mov_b32 s3, 0xbff921fb
	;; [unrolled: 1-line block ×3, first 2 shown]
	s_delay_alu instid0(VALU_DEP_1) | instskip(NEXT) | instid1(VALU_DEP_1)
	v_rndne_f64_e32 v[16:17], v[12:13]
	v_fma_f64 v[12:13], v[16:17], s[2:3], |v[6:7]|
	v_mul_f64 v[14:15], v[16:17], s[6:7]
	s_mov_b32 s2, 0x252049c0
	s_mov_b32 s3, 0xb97b839a
	s_delay_alu instid0(VALU_DEP_2) | instskip(NEXT) | instid1(VALU_DEP_2)
	v_fma_f64 v[30:31], v[16:17], s[6:7], v[12:13]
	v_add_f64 v[18:19], v[12:13], v[14:15]
	s_mov_b32 s7, 0x3c91a626
	s_delay_alu instid0(VALU_DEP_1) | instskip(NEXT) | instid1(VALU_DEP_3)
	v_add_f64 v[12:13], v[12:13], -v[18:19]
	v_add_f64 v[18:19], v[18:19], -v[30:31]
	s_delay_alu instid0(VALU_DEP_2) | instskip(SKIP_1) | instid1(VALU_DEP_2)
	v_add_f64 v[12:13], v[12:13], v[14:15]
	v_fma_f64 v[14:15], v[16:17], s[6:7], v[14:15]
	v_add_f64 v[12:13], v[18:19], v[12:13]
	s_delay_alu instid0(VALU_DEP_1) | instskip(NEXT) | instid1(VALU_DEP_1)
	v_add_f64 v[12:13], v[12:13], -v[14:15]
	v_fma_f64 v[14:15], v[16:17], s[2:3], v[12:13]
	s_delay_alu instid0(VALU_DEP_1) | instskip(NEXT) | instid1(VALU_DEP_1)
	v_add_f64 v[12:13], v[30:31], v[14:15]
	v_add_f64 v[18:19], v[12:13], -v[30:31]
	v_cvt_i32_f64_e32 v30, v[16:17]
	s_delay_alu instid0(VALU_DEP_2)
	v_add_f64 v[14:15], v[14:15], -v[18:19]
.LBB186_35:
	s_or_b32 exec_lo, exec_lo, s0
                                        ; implicit-def: $vgpr31
                                        ; implicit-def: $vgpr16_vgpr17
                                        ; implicit-def: $vgpr18_vgpr19
	s_and_saveexec_b32 s0, s1
	s_delay_alu instid0(SALU_CYCLE_1)
	s_xor_b32 s1, exec_lo, s0
	s_cbranch_execz .LBB186_37
; %bb.36:
	v_cmp_le_f64_e64 vcc_lo, 0x7b000000, |v[6:7]|
	v_mov_b32_e32 v50, 0
	s_mov_b32 s2, 0x54442d18
	s_mov_b32 s3, 0x3ff921fb
	;; [unrolled: 1-line block ×4, first 2 shown]
	v_dual_cndmask_b32 v17, v32, v27 :: v_dual_cndmask_b32 v16, v6, v26
	s_delay_alu instid0(VALU_DEP_1) | instskip(SKIP_2) | instid1(VALU_DEP_3)
	v_mul_f64 v[18:19], v[24:25], v[16:17]
	v_mul_f64 v[26:27], v[22:23], v[16:17]
	;; [unrolled: 1-line block ×3, first 2 shown]
	v_fma_f64 v[24:25], v[24:25], v[16:17], -v[18:19]
	s_delay_alu instid0(VALU_DEP_3) | instskip(NEXT) | instid1(VALU_DEP_3)
	v_fma_f64 v[22:23], v[22:23], v[16:17], -v[26:27]
	v_fma_f64 v[16:17], v[20:21], v[16:17], -v[48:49]
	s_delay_alu instid0(VALU_DEP_3) | instskip(NEXT) | instid1(VALU_DEP_1)
	v_add_f64 v[31:32], v[26:27], v[24:25]
	v_add_f64 v[33:34], v[31:32], -v[26:27]
	v_add_f64 v[37:38], v[18:19], v[31:32]
	s_delay_alu instid0(VALU_DEP_2) | instskip(SKIP_1) | instid1(VALU_DEP_3)
	v_add_f64 v[35:36], v[31:32], -v[33:34]
	v_add_f64 v[24:25], v[24:25], -v[33:34]
	v_ldexp_f64 v[33:34], v[37:38], -2
	v_add_f64 v[18:19], v[37:38], -v[18:19]
	s_delay_alu instid0(VALU_DEP_4) | instskip(SKIP_1) | instid1(VALU_DEP_4)
	v_add_f64 v[26:27], v[26:27], -v[35:36]
	v_add_f64 v[35:36], v[48:49], v[22:23]
	v_cmp_neq_f64_e64 vcc_lo, 0x7ff00000, |v[33:34]|
	s_delay_alu instid0(VALU_DEP_4) | instskip(NEXT) | instid1(VALU_DEP_4)
	v_add_f64 v[18:19], v[31:32], -v[18:19]
	v_add_f64 v[24:25], v[24:25], v[26:27]
	v_fract_f64_e32 v[26:27], v[33:34]
	s_delay_alu instid0(VALU_DEP_2) | instskip(NEXT) | instid1(VALU_DEP_2)
	v_add_f64 v[31:32], v[35:36], v[24:25]
	v_dual_cndmask_b32 v27, 0, v27 :: v_dual_cndmask_b32 v26, 0, v26
	s_delay_alu instid0(VALU_DEP_1) | instskip(NEXT) | instid1(VALU_DEP_3)
	v_ldexp_f64 v[26:27], v[26:27], 2
	v_add_f64 v[33:34], v[18:19], v[31:32]
	s_delay_alu instid0(VALU_DEP_1) | instskip(SKIP_1) | instid1(VALU_DEP_2)
	v_add_f64 v[37:38], v[33:34], v[26:27]
	v_add_f64 v[18:19], v[33:34], -v[18:19]
	v_cmp_gt_f64_e32 vcc_lo, 0, v[37:38]
	v_add_f64 v[37:38], v[35:36], -v[48:49]
	s_delay_alu instid0(VALU_DEP_3) | instskip(SKIP_1) | instid1(VALU_DEP_3)
	v_add_f64 v[18:19], v[31:32], -v[18:19]
	v_cndmask_b32_e64 v51, 0, 0x40100000, vcc_lo
	v_add_f64 v[64:65], v[35:36], -v[37:38]
	v_add_f64 v[22:23], v[22:23], -v[37:38]
	s_delay_alu instid0(VALU_DEP_3) | instskip(SKIP_1) | instid1(VALU_DEP_4)
	v_add_f64 v[26:27], v[26:27], v[50:51]
	v_add_f64 v[51:52], v[31:32], -v[35:36]
	v_add_f64 v[37:38], v[48:49], -v[64:65]
	s_delay_alu instid0(VALU_DEP_3) | instskip(NEXT) | instid1(VALU_DEP_3)
	v_add_f64 v[53:54], v[33:34], v[26:27]
	v_add_f64 v[66:67], v[31:32], -v[51:52]
	v_add_f64 v[24:25], v[24:25], -v[51:52]
	s_delay_alu instid0(VALU_DEP_4) | instskip(NEXT) | instid1(VALU_DEP_4)
	v_add_f64 v[22:23], v[22:23], v[37:38]
	v_cvt_i32_f64_e32 v39, v[53:54]
	s_delay_alu instid0(VALU_DEP_4) | instskip(NEXT) | instid1(VALU_DEP_2)
	v_add_f64 v[35:36], v[35:36], -v[66:67]
	v_cvt_f64_i32_e32 v[51:52], v39
	s_delay_alu instid0(VALU_DEP_2) | instskip(NEXT) | instid1(VALU_DEP_2)
	v_add_f64 v[24:25], v[24:25], v[35:36]
	v_add_f64 v[26:27], v[26:27], -v[51:52]
	s_delay_alu instid0(VALU_DEP_2) | instskip(NEXT) | instid1(VALU_DEP_2)
	v_add_f64 v[20:21], v[22:23], v[24:25]
	v_add_f64 v[22:23], v[33:34], v[26:27]
	s_delay_alu instid0(VALU_DEP_2) | instskip(NEXT) | instid1(VALU_DEP_2)
	v_add_f64 v[16:17], v[16:17], v[20:21]
	v_add_f64 v[20:21], v[22:23], -v[26:27]
	v_cmp_le_f64_e32 vcc_lo, 0.5, v[22:23]
	s_delay_alu instid0(VALU_DEP_3) | instskip(NEXT) | instid1(VALU_DEP_3)
	v_add_f64 v[16:17], v[18:19], v[16:17]
	v_add_f64 v[18:19], v[33:34], -v[20:21]
	v_cndmask_b32_e64 v51, 0, 0x3ff00000, vcc_lo
	v_add_co_ci_u32_e64 v31, s0, 0, v39, vcc_lo
	s_delay_alu instid0(VALU_DEP_3) | instskip(NEXT) | instid1(VALU_DEP_3)
	v_add_f64 v[16:17], v[16:17], v[18:19]
	v_add_f64 v[18:19], v[22:23], -v[50:51]
	s_delay_alu instid0(VALU_DEP_1) | instskip(NEXT) | instid1(VALU_DEP_1)
	v_add_f64 v[20:21], v[18:19], v[16:17]
	v_mul_f64 v[22:23], v[20:21], s[2:3]
	v_add_f64 v[18:19], v[20:21], -v[18:19]
	s_delay_alu instid0(VALU_DEP_2) | instskip(NEXT) | instid1(VALU_DEP_2)
	v_fma_f64 v[24:25], v[20:21], s[2:3], -v[22:23]
	v_add_f64 v[16:17], v[16:17], -v[18:19]
	s_delay_alu instid0(VALU_DEP_2) | instskip(NEXT) | instid1(VALU_DEP_1)
	v_fma_f64 v[18:19], v[20:21], s[6:7], v[24:25]
	v_fma_f64 v[18:19], v[16:17], s[2:3], v[18:19]
	s_delay_alu instid0(VALU_DEP_1) | instskip(NEXT) | instid1(VALU_DEP_1)
	v_add_f64 v[16:17], v[22:23], v[18:19]
	v_add_f64 v[20:21], v[16:17], -v[22:23]
	s_delay_alu instid0(VALU_DEP_1)
	v_add_f64 v[18:19], v[18:19], -v[20:21]
	s_and_not1_saveexec_b32 s0, s1
	s_cbranch_execnz .LBB186_38
	s_branch .LBB186_39
.LBB186_37:
	s_and_not1_saveexec_b32 s0, s1
	s_cbranch_execz .LBB186_39
.LBB186_38:
	s_mov_b32 s2, 0x6dc9c883
	s_mov_b32 s3, 0x3fe45f30
	;; [unrolled: 1-line block ×3, first 2 shown]
	v_mul_f64 v[16:17], |v[6:7]|, s[2:3]
	s_mov_b32 s2, 0x54442d18
	s_mov_b32 s3, 0xbff921fb
	;; [unrolled: 1-line block ×3, first 2 shown]
	s_delay_alu instid0(VALU_DEP_1) | instskip(NEXT) | instid1(VALU_DEP_1)
	v_rndne_f64_e32 v[20:21], v[16:17]
	v_fma_f64 v[16:17], v[20:21], s[2:3], |v[6:7]|
	v_mul_f64 v[18:19], v[20:21], s[6:7]
	s_mov_b32 s2, 0x252049c0
	s_mov_b32 s3, 0xb97b839a
	v_cvt_i32_f64_e32 v31, v[20:21]
	s_delay_alu instid0(VALU_DEP_3) | instskip(NEXT) | instid1(VALU_DEP_3)
	v_fma_f64 v[24:25], v[20:21], s[6:7], v[16:17]
	v_add_f64 v[22:23], v[16:17], v[18:19]
	s_mov_b32 s7, 0x3c91a626
	s_delay_alu instid0(VALU_DEP_1) | instskip(NEXT) | instid1(VALU_DEP_3)
	v_add_f64 v[16:17], v[16:17], -v[22:23]
	v_add_f64 v[22:23], v[22:23], -v[24:25]
	s_delay_alu instid0(VALU_DEP_2) | instskip(SKIP_1) | instid1(VALU_DEP_2)
	v_add_f64 v[16:17], v[16:17], v[18:19]
	v_fma_f64 v[18:19], v[20:21], s[6:7], v[18:19]
	v_add_f64 v[16:17], v[22:23], v[16:17]
	s_delay_alu instid0(VALU_DEP_1) | instskip(NEXT) | instid1(VALU_DEP_1)
	v_add_f64 v[16:17], v[16:17], -v[18:19]
	v_fma_f64 v[18:19], v[20:21], s[2:3], v[16:17]
	s_delay_alu instid0(VALU_DEP_1) | instskip(NEXT) | instid1(VALU_DEP_1)
	v_add_f64 v[16:17], v[24:25], v[18:19]
	v_add_f64 v[22:23], v[16:17], -v[24:25]
	s_delay_alu instid0(VALU_DEP_1)
	v_add_f64 v[18:19], v[18:19], -v[22:23]
.LBB186_39:
	s_or_b32 exec_lo, exec_lo, s0
	v_mul_f64 v[20:21], v[0:1], v[0:1]
	v_mul_f64 v[22:23], v[12:13], v[12:13]
	;; [unrolled: 1-line block ×4, first 2 shown]
	s_mov_b32 s0, 0xb42fdfa7
	s_mov_b32 s2, 0xf9a43bb8
	;; [unrolled: 1-line block ×8, first 2 shown]
	v_mul_f64 v[84:85], v[2:3], 0.5
	v_mul_f64 v[98:99], v[14:15], 0.5
	;; [unrolled: 1-line block ×4, first 2 shown]
	v_fma_f64 v[32:33], v[20:21], s[2:3], s[0:1]
	v_fma_f64 v[34:35], v[22:23], s[2:3], s[0:1]
	;; [unrolled: 1-line block ×4, first 2 shown]
	s_mov_b32 s0, 0x9037ab78
	s_mov_b32 s2, 0x46cc5e42
	;; [unrolled: 1-line block ×4, first 2 shown]
	v_mul_f64 v[50:51], v[20:21], 0.5
	v_fma_f64 v[48:49], v[20:21], s[2:3], s[0:1]
	v_fma_f64 v[52:53], v[22:23], s[2:3], s[0:1]
	v_mul_f64 v[54:55], v[22:23], 0.5
	v_mul_f64 v[64:65], v[24:25], 0.5
	v_fma_f64 v[66:67], v[24:25], s[2:3], s[0:1]
	v_mul_f64 v[68:69], v[26:27], 0.5
	v_fma_f64 v[70:71], v[26:27], s[2:3], s[0:1]
	s_mov_b32 s0, 0xa17f65f6
	s_mov_b32 s2, 0x19e83e5c
	;; [unrolled: 1-line block ×4, first 2 shown]
	v_mul_f64 v[100:101], v[0:1], -v[20:21]
	v_mul_f64 v[102:103], v[12:13], -v[22:23]
	;; [unrolled: 1-line block ×4, first 2 shown]
	v_fma_f64 v[32:33], v[20:21], v[32:33], s[6:7]
	v_fma_f64 v[34:35], v[22:23], v[34:35], s[6:7]
	;; [unrolled: 1-line block ×4, first 2 shown]
	s_mov_b32 s6, 0x11110bb3
	s_mov_b32 s7, 0x3f811111
	v_add_f64 v[80:81], -v[50:51], 1.0
	v_fma_f64 v[48:49], v[20:21], v[48:49], s[0:1]
	v_fma_f64 v[52:53], v[22:23], v[52:53], s[0:1]
	v_add_f64 v[82:83], -v[54:55], 1.0
	v_add_f64 v[86:87], -v[64:65], 1.0
	v_fma_f64 v[66:67], v[24:25], v[66:67], s[0:1]
	v_add_f64 v[96:97], -v[68:69], 1.0
	v_fma_f64 v[70:71], v[26:27], v[70:71], s[0:1]
	s_mov_b32 s0, 0x16c16967
	s_mov_b32 s1, 0xbf56c16c
	v_fma_f64 v[32:33], v[20:21], v[32:33], s[2:3]
	v_fma_f64 v[34:35], v[22:23], v[34:35], s[2:3]
	;; [unrolled: 1-line block ×4, first 2 shown]
	s_mov_b32 s3, 0x3fa55555
	v_add_f64 v[112:113], -v[80:81], 1.0
	v_fma_f64 v[48:49], v[20:21], v[48:49], s[12:13]
	v_fma_f64 v[52:53], v[22:23], v[52:53], s[12:13]
	v_add_f64 v[114:115], -v[82:83], 1.0
	v_add_f64 v[132:133], -v[86:87], 1.0
	v_fma_f64 v[66:67], v[24:25], v[66:67], s[12:13]
	v_add_f64 v[134:135], -v[96:97], 1.0
	v_fma_f64 v[70:71], v[26:27], v[70:71], s[12:13]
	v_fma_f64 v[32:33], v[20:21], v[32:33], s[6:7]
	;; [unrolled: 1-line block ×5, first 2 shown]
	s_mov_b32 s6, 0x55555555
	s_mov_b32 s7, 0xbfc55555
	;; [unrolled: 1-line block ×3, first 2 shown]
	v_add_f64 v[50:51], v[112:113], -v[50:51]
	v_fma_f64 v[48:49], v[20:21], v[48:49], s[0:1]
	v_fma_f64 v[52:53], v[22:23], v[52:53], s[0:1]
	v_add_f64 v[54:55], v[114:115], -v[54:55]
	v_add_f64 v[64:65], v[132:133], -v[64:65]
	v_fma_f64 v[66:67], v[24:25], v[66:67], s[0:1]
	v_add_f64 v[68:69], v[134:135], -v[68:69]
	v_fma_f64 v[70:71], v[26:27], v[70:71], s[0:1]
	v_cmp_class_f64_e64 s0, v[8:9], 0x1f8
	v_and_b32_e32 v8, 1, v29
	v_fma_f64 v[32:33], v[100:101], v[32:33], v[84:85]
	v_fma_f64 v[34:35], v[102:103], v[34:35], v[98:99]
	v_fma_f64 v[36:37], v[118:119], v[36:37], v[116:117]
	v_fma_f64 v[38:39], v[130:131], v[38:39], v[128:129]
	v_mul_f64 v[84:85], v[20:21], v[20:21]
	v_mul_f64 v[98:99], v[22:23], v[22:23]
	v_fma_f64 v[50:51], v[0:1], -v[2:3], v[50:51]
	v_fma_f64 v[48:49], v[20:21], v[48:49], s[2:3]
	v_fma_f64 v[2:3], v[20:21], v[32:33], -v[2:3]
	v_fma_f64 v[20:21], v[22:23], v[52:53], s[2:3]
	v_fma_f64 v[32:33], v[12:13], -v[14:15], v[54:55]
	v_fma_f64 v[14:15], v[22:23], v[34:35], -v[14:15]
	v_fma_f64 v[22:23], v[24:25], v[36:37], -v[10:11]
	v_fma_f64 v[38:39], v[26:27], v[38:39], -v[18:19]
	v_mul_f64 v[34:35], v[24:25], v[24:25]
	v_mul_f64 v[36:37], v[26:27], v[26:27]
	v_fma_f64 v[24:25], v[24:25], v[66:67], s[2:3]
	v_fma_f64 v[10:11], v[4:5], -v[10:11], v[64:65]
	v_fma_f64 v[26:27], v[26:27], v[70:71], s[2:3]
	v_fma_f64 v[18:19], v[16:17], -v[18:19], v[68:69]
	v_fma_f64 v[48:49], v[84:85], v[48:49], v[50:51]
	v_cmp_class_f64_e64 s2, v[6:7], 0x1f8
	v_lshlrev_b32_e32 v6, 30, v29
	v_cmp_eq_u32_e64 s3, 0, v8
	s_delay_alu instid0(VALU_DEP_2)
	v_and_b32_e32 v6, 0x80000000, v6
	v_fma_f64 v[2:3], v[100:101], s[6:7], v[2:3]
	v_fma_f64 v[20:21], v[98:99], v[20:21], v[32:33]
	v_fma_f64 v[14:15], v[102:103], s[6:7], v[14:15]
	v_fma_f64 v[22:23], v[118:119], s[6:7], v[22:23]
	v_fma_f64 v[32:33], v[130:131], s[6:7], v[38:39]
	v_fma_f64 v[10:11], v[34:35], v[24:25], v[10:11]
	v_fma_f64 v[18:19], v[36:37], v[26:27], v[18:19]
	v_add_f64 v[24:25], v[80:81], v[48:49]
	v_add_f64 v[0:1], v[0:1], -v[2:3]
	v_add_f64 v[2:3], v[82:83], v[20:21]
	v_add_f64 v[12:13], v[12:13], -v[14:15]
	v_add_f64 v[4:5], v[4:5], -v[22:23]
	;; [unrolled: 1-line block ×3, first 2 shown]
	v_and_b32_e32 v20, 1, v28
	v_add_f64 v[10:11], v[86:87], v[10:11]
	v_add_f64 v[16:17], v[96:97], v[18:19]
	v_and_b32_e32 v18, 1, v30
	s_delay_alu instid0(VALU_DEP_4) | instskip(NEXT) | instid1(VALU_DEP_2)
	v_cmp_eq_u32_e32 vcc_lo, 0, v20
	v_cmp_eq_u32_e64 s1, 0, v18
	v_dual_cndmask_b32 v1, v25, v1 :: v_dual_lshlrev_b32 v18, 30, v31
	s_delay_alu instid0(VALU_DEP_2)
	v_cndmask_b32_e64 v2, v2, v12, s1
	v_and_b32_e32 v12, 1, v31
	v_xor_b32_e32 v5, 0x80000000, v5
	v_xor_b32_e32 v8, 0x80000000, v15
	v_cndmask_b32_e64 v3, v3, v13, s1
	v_cndmask_b32_e64 v2, 0, v2, s2
	v_cmp_eq_u32_e64 s4, 0, v12
	v_and_b32_e32 v12, 0x80000000, v18
	v_cndmask_b32_e64 v5, v5, v11, s3
	v_cndmask_b32_e64 v4, v4, v10, s3
	s_delay_alu instid0(VALU_DEP_4) | instskip(SKIP_1) | instid1(VALU_DEP_4)
	v_cndmask_b32_e64 v8, v8, v17, s4
	v_cndmask_b32_e64 v10, v14, v16, s4
	v_xor_b32_e32 v5, v5, v6
	s_delay_alu instid0(VALU_DEP_4) | instskip(NEXT) | instid1(VALU_DEP_4)
	v_cndmask_b32_e64 v4, 0, v4, s0
	v_xor_b32_e32 v6, v8, v12
	s_delay_alu instid0(VALU_DEP_4) | instskip(NEXT) | instid1(VALU_DEP_4)
	v_cndmask_b32_e64 v10, 0, v10, s2
	v_cndmask_b32_e64 v5, 0x7ff80000, v5, s0
	v_lshlrev_b32_e32 v8, 30, v30
	s_delay_alu instid0(VALU_DEP_4) | instskip(SKIP_1) | instid1(VALU_DEP_4)
	v_cndmask_b32_e64 v11, 0x7ff80000, v6, s2
	v_lshlrev_b32_e32 v6, 30, v28
	v_mul_f64 v[14:15], 0x7ff00000, v[4:5]
	v_cmp_neq_f64_e64 s3, 0, v[4:5]
	v_xor_b32_e32 v7, v8, v7
	v_mul_f64 v[4:5], 0x7ff00000, v[10:11]
	v_cmp_neq_f64_e64 s4, 0, v[10:11]
	v_xor_b32_e32 v6, v6, v9
	s_delay_alu instid0(VALU_DEP_4) | instskip(NEXT) | instid1(VALU_DEP_2)
	v_dual_cndmask_b32 v0, v24, v0 :: v_dual_and_b32 v7, 0x80000000, v7
	v_and_b32_e32 v6, 0x80000000, v6
	s_delay_alu instid0(VALU_DEP_2) | instskip(NEXT) | instid1(VALU_DEP_3)
	v_cndmask_b32_e64 v0, 0, v0, s0
	v_xor_b32_e32 v3, v3, v7
	s_delay_alu instid0(VALU_DEP_3) | instskip(NEXT) | instid1(VALU_DEP_2)
	v_xor_b32_e32 v1, v1, v6
	v_cndmask_b32_e64 v3, 0x7ff80000, v3, s2
	s_delay_alu instid0(VALU_DEP_2) | instskip(NEXT) | instid1(VALU_DEP_2)
	v_cndmask_b32_e64 v1, 0x7ff80000, v1, s0
	v_cmp_neq_f64_e64 s0, 0, v[2:3]
	s_delay_alu instid0(VALU_DEP_2)
	v_mul_f64 v[6:7], 0x7ff00000, v[0:1]
	v_cmp_neq_f64_e32 vcc_lo, 0, v[0:1]
	v_mul_f64 v[0:1], 0x7ff00000, v[2:3]
	v_cndmask_b32_e64 v3, 0, v15, s3
	v_cndmask_b32_e64 v2, 0, v14, s3
	;; [unrolled: 1-line block ×4, first 2 shown]
	s_delay_alu instid0(VALU_DEP_1) | instskip(SKIP_3) | instid1(VALU_DEP_1)
	v_add_f64 v[2:3], v[2:3], v[4:5]
	v_dual_cndmask_b32 v5, 0, v7 :: v_dual_cndmask_b32 v4, 0, v6
	v_cndmask_b32_e64 v1, 0, v1, s0
	v_cndmask_b32_e64 v0, 0, v0, s0
	v_add_f64 v[0:1], v[4:5], v[0:1]
	v_add_f64 v[10:11], v[2:3], -1.0
	s_delay_alu instid0(VALU_DEP_2) | instskip(SKIP_1) | instid1(VALU_DEP_3)
	v_max_f64 v[4:5], |v[0:1]|, |v[0:1]|
	v_cmp_class_f64_e64 s4, v[0:1], 0x204
	v_max_f64 v[2:3], |v[10:11]|, |v[10:11]|
	v_cmp_class_f64_e64 s2, v[10:11], 0x204
	s_delay_alu instid0(VALU_DEP_2) | instskip(NEXT) | instid1(VALU_DEP_2)
	v_max_f64 v[2:3], v[2:3], v[4:5]
	s_or_b32 s2, s4, s2
	s_delay_alu instid0(VALU_DEP_1) | instskip(NEXT) | instid1(VALU_DEP_1)
	v_frexp_exp_i32_f64_e32 v14, v[2:3]
	v_sub_nc_u32_e32 v6, 0, v14
	s_delay_alu instid0(VALU_DEP_1) | instskip(SKIP_1) | instid1(VALU_DEP_2)
	v_ldexp_f64 v[2:3], |v[0:1]|, v6
	v_ldexp_f64 v[6:7], |v[10:11]|, v6
	v_mul_f64 v[2:3], v[2:3], v[2:3]
	s_delay_alu instid0(VALU_DEP_1) | instskip(NEXT) | instid1(VALU_DEP_1)
	v_fma_f64 v[2:3], v[6:7], v[6:7], v[2:3]
	v_rsq_f64_e32 v[6:7], v[2:3]
	v_cmp_eq_f64_e32 vcc_lo, 0, v[2:3]
	s_waitcnt_depctr 0xfff
	v_mul_f64 v[8:9], v[2:3], v[6:7]
	v_mul_f64 v[6:7], v[6:7], 0.5
	s_delay_alu instid0(VALU_DEP_1) | instskip(NEXT) | instid1(VALU_DEP_1)
	v_fma_f64 v[12:13], -v[6:7], v[8:9], 0.5
	v_fma_f64 v[8:9], v[8:9], v[12:13], v[8:9]
	v_fma_f64 v[6:7], v[6:7], v[12:13], v[6:7]
	s_delay_alu instid0(VALU_DEP_2) | instskip(NEXT) | instid1(VALU_DEP_1)
	v_fma_f64 v[12:13], -v[8:9], v[8:9], v[2:3]
	v_fma_f64 v[6:7], v[12:13], v[6:7], v[8:9]
	s_delay_alu instid0(VALU_DEP_1) | instskip(SKIP_1) | instid1(VALU_DEP_2)
	v_dual_cndmask_b32 v3, v7, v3 :: v_dual_cndmask_b32 v2, v6, v2
	v_cmp_u_f64_e32 vcc_lo, v[10:11], v[0:1]
	v_ldexp_f64 v[6:7], v[2:3], v14
	v_add_f64 v[2:3], v[10:11], 1.0
	s_or_b32 s2, s2, vcc_lo
	s_delay_alu instid0(VALU_DEP_2) | instskip(NEXT) | instid1(VALU_DEP_2)
	v_cmp_ngt_f64_e64 s1, 0.5, v[6:7]
	v_max_f64 v[6:7], |v[2:3]|, v[4:5]
	v_cmp_o_f64_e64 s0, v[2:3], v[0:1]
	v_cmp_class_f64_e64 s9, v[2:3], 0x204
	s_delay_alu instid0(VALU_DEP_4) | instskip(NEXT) | instid1(SALU_CYCLE_1)
	s_or_b32 s1, s2, s1
	s_and_saveexec_b32 s2, s1
	s_delay_alu instid0(SALU_CYCLE_1)
	s_xor_b32 s1, exec_lo, s2
	s_cbranch_execz .LBB186_41
; %bb.40:
	s_delay_alu instid0(VALU_DEP_3) | instskip(NEXT) | instid1(VALU_DEP_2)
	v_frexp_exp_i32_f64_e32 v16, v[6:7]
	s_or_b32 s11, s4, s9
	s_mov_b32 s7, 0x3fe55555
	s_mov_b32 s2, 0x6b47b09a
	;; [unrolled: 1-line block ×5, first 2 shown]
	s_delay_alu instid0(VALU_DEP_1) | instskip(NEXT) | instid1(VALU_DEP_1)
	v_sub_nc_u32_e32 v10, 0, v16
	v_ldexp_f64 v[8:9], |v[0:1]|, v10
	v_ldexp_f64 v[10:11], |v[2:3]|, v10
	s_delay_alu instid0(VALU_DEP_2) | instskip(NEXT) | instid1(VALU_DEP_1)
	v_mul_f64 v[8:9], v[8:9], v[8:9]
	v_fma_f64 v[8:9], v[10:11], v[10:11], v[8:9]
	s_delay_alu instid0(VALU_DEP_1) | instskip(SKIP_4) | instid1(VALU_DEP_1)
	v_rsq_f64_e32 v[10:11], v[8:9]
	v_cmp_eq_f64_e32 vcc_lo, 0, v[8:9]
	s_waitcnt_depctr 0xfff
	v_mul_f64 v[12:13], v[8:9], v[10:11]
	v_mul_f64 v[10:11], v[10:11], 0.5
	v_fma_f64 v[14:15], -v[10:11], v[12:13], 0.5
	s_delay_alu instid0(VALU_DEP_1) | instskip(SKIP_1) | instid1(VALU_DEP_2)
	v_fma_f64 v[12:13], v[12:13], v[14:15], v[12:13]
	v_fma_f64 v[10:11], v[10:11], v[14:15], v[10:11]
	v_fma_f64 v[14:15], -v[12:13], v[12:13], v[8:9]
	s_delay_alu instid0(VALU_DEP_1) | instskip(NEXT) | instid1(VALU_DEP_1)
	v_fma_f64 v[10:11], v[14:15], v[10:11], v[12:13]
	v_dual_cndmask_b32 v9, v11, v9 :: v_dual_cndmask_b32 v8, v10, v8
	s_delay_alu instid0(VALU_DEP_1) | instskip(NEXT) | instid1(VALU_DEP_1)
	v_ldexp_f64 v[8:9], v[8:9], v16
	v_cndmask_b32_e64 v10, 0x7ff80000, v9, s0
	s_delay_alu instid0(VALU_DEP_2) | instskip(SKIP_2) | instid1(VALU_DEP_4)
	v_cndmask_b32_e64 v31, 0, v8, s0
	v_mov_b32_e32 v15, 0
	v_and_b32_e32 v9, 0x7fffffff, v9
	v_cndmask_b32_e64 v12, v10, 0x7ff00000, s11
	s_delay_alu instid0(VALU_DEP_4) | instskip(NEXT) | instid1(VALU_DEP_1)
	v_cndmask_b32_e64 v11, v31, 0, s11
	v_frexp_mant_f64_e32 v[13:14], v[11:12]
	s_delay_alu instid0(VALU_DEP_1) | instskip(SKIP_2) | instid1(VALU_DEP_1)
	v_cmp_gt_f64_e32 vcc_lo, s[6:7], v[13:14]
	s_mov_b32 s6, 0x55555780
	v_cndmask_b32_e64 v16, 0x3ff00000, 2.0, vcc_lo
	v_mul_f64 v[13:14], v[13:14], v[15:16]
	s_delay_alu instid0(VALU_DEP_1) | instskip(SKIP_1) | instid1(VALU_DEP_2)
	v_add_f64 v[15:16], v[13:14], 1.0
	v_add_f64 v[21:22], v[13:14], -1.0
	v_rcp_f64_e32 v[17:18], v[15:16]
	v_add_f64 v[23:24], v[15:16], -1.0
	s_delay_alu instid0(VALU_DEP_1) | instskip(SKIP_2) | instid1(VALU_DEP_1)
	v_add_f64 v[13:14], v[13:14], -v[23:24]
	s_waitcnt_depctr 0xfff
	v_fma_f64 v[19:20], -v[15:16], v[17:18], 1.0
	v_fma_f64 v[17:18], v[19:20], v[17:18], v[17:18]
	s_delay_alu instid0(VALU_DEP_1) | instskip(NEXT) | instid1(VALU_DEP_1)
	v_fma_f64 v[19:20], -v[15:16], v[17:18], 1.0
	v_fma_f64 v[17:18], v[19:20], v[17:18], v[17:18]
	s_delay_alu instid0(VALU_DEP_1) | instskip(NEXT) | instid1(VALU_DEP_1)
	v_mul_f64 v[19:20], v[21:22], v[17:18]
	v_mul_f64 v[25:26], v[15:16], v[19:20]
	s_delay_alu instid0(VALU_DEP_1) | instskip(NEXT) | instid1(VALU_DEP_1)
	v_fma_f64 v[15:16], v[19:20], v[15:16], -v[25:26]
	v_fma_f64 v[13:14], v[19:20], v[13:14], v[15:16]
	s_delay_alu instid0(VALU_DEP_1) | instskip(NEXT) | instid1(VALU_DEP_1)
	v_add_f64 v[15:16], v[25:26], v[13:14]
	v_add_f64 v[23:24], v[21:22], -v[15:16]
	v_add_f64 v[25:26], v[15:16], -v[25:26]
	s_delay_alu instid0(VALU_DEP_2) | instskip(NEXT) | instid1(VALU_DEP_2)
	v_add_f64 v[21:22], v[21:22], -v[23:24]
	v_add_f64 v[13:14], v[25:26], -v[13:14]
	v_frexp_exp_i32_f64_e32 v25, v[11:12]
	s_delay_alu instid0(VALU_DEP_3) | instskip(NEXT) | instid1(VALU_DEP_1)
	v_add_f64 v[15:16], v[21:22], -v[15:16]
	v_add_f64 v[13:14], v[13:14], v[15:16]
	s_delay_alu instid0(VALU_DEP_1) | instskip(NEXT) | instid1(VALU_DEP_1)
	v_add_f64 v[13:14], v[23:24], v[13:14]
	v_mul_f64 v[13:14], v[17:18], v[13:14]
	s_delay_alu instid0(VALU_DEP_1) | instskip(NEXT) | instid1(VALU_DEP_1)
	v_add_f64 v[15:16], v[19:20], v[13:14]
	v_mul_f64 v[17:18], v[15:16], v[15:16]
	s_delay_alu instid0(VALU_DEP_1) | instskip(SKIP_3) | instid1(VALU_DEP_2)
	v_fma_f64 v[21:22], v[17:18], s[12:13], s[2:3]
	s_mov_b32 s2, 0xd7f4df2e
	s_mov_b32 s3, 0x3fc7474d
	v_mul_f64 v[23:24], v[15:16], v[17:18]
	v_fma_f64 v[21:22], v[17:18], v[21:22], s[2:3]
	s_mov_b32 s2, 0x16291751
	s_mov_b32 s3, 0x3fcc71c0
	s_delay_alu instid0(VALU_DEP_1) | instid1(SALU_CYCLE_1)
	v_fma_f64 v[21:22], v[17:18], v[21:22], s[2:3]
	s_mov_b32 s2, 0x9b27acf1
	s_mov_b32 s3, 0x3fd24924
	s_delay_alu instid0(VALU_DEP_1) | instid1(SALU_CYCLE_1)
	;; [unrolled: 4-line block ×3, first 2 shown]
	v_fma_f64 v[21:22], v[17:18], v[21:22], s[2:3]
	s_mov_b32 s2, 0xfefa39ef
	s_mov_b32 s3, 0x3fe62e42
	s_delay_alu instid0(VALU_DEP_1) | instskip(SKIP_2) | instid1(VALU_DEP_3)
	v_fma_f64 v[17:18], v[17:18], v[21:22], s[6:7]
	v_ldexp_f64 v[21:22], v[15:16], 1
	v_add_f64 v[15:16], v[15:16], -v[19:20]
	v_mul_f64 v[17:18], v[23:24], v[17:18]
	v_subrev_co_ci_u32_e32 v23, vcc_lo, 0, v25, vcc_lo
	s_delay_alu instid0(VALU_DEP_3) | instskip(SKIP_1) | instid1(VALU_DEP_3)
	v_add_f64 v[13:14], v[13:14], -v[15:16]
	v_cmp_eq_f64_e32 vcc_lo, 0x7ff00000, v[8:9]
	v_cvt_f64_i32_e32 v[23:24], v23
	v_add_f64 v[19:20], v[21:22], v[17:18]
	s_delay_alu instid0(VALU_DEP_4) | instskip(SKIP_1) | instid1(VALU_DEP_3)
	v_ldexp_f64 v[13:14], v[13:14], 1
	s_and_b32 vcc_lo, s0, vcc_lo
	v_mul_f64 v[25:26], v[23:24], s[2:3]
	s_delay_alu instid0(VALU_DEP_3) | instskip(NEXT) | instid1(VALU_DEP_2)
	v_add_f64 v[15:16], v[19:20], -v[21:22]
	v_fma_f64 v[21:22], v[23:24], s[2:3], -v[25:26]
	s_mov_b32 s2, 0x3b39803f
	s_mov_b32 s3, 0x3c7abc9e
	s_delay_alu instid0(VALU_DEP_2) | instskip(NEXT) | instid1(VALU_DEP_2)
	v_add_f64 v[15:16], v[17:18], -v[15:16]
	v_fma_f64 v[17:18], v[23:24], s[2:3], v[21:22]
	s_delay_alu instid0(VALU_DEP_2) | instskip(NEXT) | instid1(VALU_DEP_2)
	v_add_f64 v[13:14], v[13:14], v[15:16]
	v_add_f64 v[15:16], v[25:26], v[17:18]
	s_delay_alu instid0(VALU_DEP_2) | instskip(NEXT) | instid1(VALU_DEP_2)
	v_add_f64 v[21:22], v[19:20], v[13:14]
	v_add_f64 v[25:26], v[15:16], -v[25:26]
	s_delay_alu instid0(VALU_DEP_2) | instskip(SKIP_1) | instid1(VALU_DEP_3)
	v_add_f64 v[23:24], v[15:16], v[21:22]
	v_add_f64 v[19:20], v[21:22], -v[19:20]
	v_add_f64 v[17:18], v[17:18], -v[25:26]
	s_delay_alu instid0(VALU_DEP_3) | instskip(NEXT) | instid1(VALU_DEP_3)
	v_add_f64 v[27:28], v[23:24], -v[15:16]
	v_add_f64 v[13:14], v[13:14], -v[19:20]
	s_delay_alu instid0(VALU_DEP_2) | instskip(SKIP_1) | instid1(VALU_DEP_3)
	v_add_f64 v[29:30], v[23:24], -v[27:28]
	v_add_f64 v[19:20], v[21:22], -v[27:28]
	v_add_f64 v[21:22], v[17:18], v[13:14]
	s_delay_alu instid0(VALU_DEP_3) | instskip(NEXT) | instid1(VALU_DEP_1)
	v_add_f64 v[15:16], v[15:16], -v[29:30]
	v_add_f64 v[15:16], v[19:20], v[15:16]
	s_delay_alu instid0(VALU_DEP_3) | instskip(NEXT) | instid1(VALU_DEP_2)
	v_add_f64 v[19:20], v[21:22], -v[17:18]
	v_add_f64 v[15:16], v[21:22], v[15:16]
	s_delay_alu instid0(VALU_DEP_2) | instskip(SKIP_1) | instid1(VALU_DEP_3)
	v_add_f64 v[21:22], v[21:22], -v[19:20]
	v_add_f64 v[13:14], v[13:14], -v[19:20]
	v_add_f64 v[25:26], v[23:24], v[15:16]
	s_delay_alu instid0(VALU_DEP_3) | instskip(NEXT) | instid1(VALU_DEP_2)
	v_add_f64 v[17:18], v[17:18], -v[21:22]
	v_add_f64 v[19:20], v[25:26], -v[23:24]
	s_delay_alu instid0(VALU_DEP_2) | instskip(NEXT) | instid1(VALU_DEP_2)
	v_add_f64 v[13:14], v[13:14], v[17:18]
	v_add_f64 v[15:16], v[15:16], -v[19:20]
	s_delay_alu instid0(VALU_DEP_1) | instskip(NEXT) | instid1(VALU_DEP_1)
	v_add_f64 v[13:14], v[13:14], v[15:16]
	v_add_f64 v[8:9], v[25:26], v[13:14]
	s_delay_alu instid0(VALU_DEP_1) | instskip(SKIP_1) | instid1(VALU_DEP_2)
	v_dual_cndmask_b32 v9, v9, v10 :: v_dual_cndmask_b32 v8, v8, v31
	v_cmp_ngt_f64_e32 vcc_lo, 0, v[11:12]
	v_cndmask_b32_e64 v9, v9, 0x7ff00000, s11
	s_delay_alu instid0(VALU_DEP_3) | instskip(NEXT) | instid1(VALU_DEP_2)
	v_cndmask_b32_e64 v8, v8, 0, s11
	v_cndmask_b32_e32 v9, 0x7ff80000, v9, vcc_lo
	v_cmp_nge_f64_e32 vcc_lo, 0, v[11:12]
	s_delay_alu instid0(VALU_DEP_3) | instskip(SKIP_1) | instid1(VALU_DEP_4)
	v_cndmask_b32_e32 v10, 0, v8, vcc_lo
	v_cmp_neq_f64_e32 vcc_lo, 0, v[11:12]
	v_cndmask_b32_e32 v11, 0xfff00000, v9, vcc_lo
.LBB186_41:
	s_and_not1_saveexec_b32 s1, s1
	s_cbranch_execz .LBB186_45
; %bb.42:
	s_delay_alu instid0(VALU_DEP_1) | instskip(SKIP_1) | instid1(VALU_DEP_1)
	v_add_f64 v[8:9], v[10:11], 2.0
	s_mov_b32 s6, exec_lo
	v_mul_f64 v[8:9], v[10:11], v[8:9]
	s_delay_alu instid0(VALU_DEP_1) | instskip(NEXT) | instid1(VALU_DEP_1)
	v_fma_f64 v[8:9], v[0:1], v[0:1], v[8:9]
	v_cmpx_neq_f64_e32 0, v[8:9]
	s_cbranch_execz .LBB186_44
; %bb.43:
	v_add_f64 v[10:11], v[8:9], 1.0
	s_mov_b32 s3, 0x3fe55555
	s_mov_b32 s2, 0x55555555
	;; [unrolled: 1-line block ×6, first 2 shown]
	s_delay_alu instid0(VALU_DEP_1) | instskip(SKIP_2) | instid1(VALU_DEP_3)
	v_frexp_mant_f64_e32 v[12:13], v[10:11]
	v_frexp_exp_i32_f64_e32 v16, v[10:11]
	v_add_f64 v[14:15], v[10:11], -1.0
	v_cmp_gt_f64_e32 vcc_lo, s[2:3], v[12:13]
	s_mov_b32 s2, 0x55555780
	s_delay_alu instid0(VALU_DEP_2) | instskip(SKIP_2) | instid1(VALU_DEP_3)
	v_add_f64 v[12:13], v[14:15], -v[10:11]
	v_add_f64 v[14:15], v[8:9], -v[14:15]
	v_subrev_co_ci_u32_e32 v32, vcc_lo, 0, v16, vcc_lo
	v_add_f64 v[12:13], v[12:13], 1.0
	v_cmp_eq_f64_e32 vcc_lo, 0x7ff00000, v[8:9]
	s_delay_alu instid0(VALU_DEP_3) | instskip(NEXT) | instid1(VALU_DEP_1)
	v_sub_nc_u32_e32 v18, 0, v32
	v_ldexp_f64 v[10:11], v[10:11], v18
	s_delay_alu instid0(VALU_DEP_4) | instskip(NEXT) | instid1(VALU_DEP_2)
	v_add_f64 v[12:13], v[14:15], v[12:13]
	v_add_f64 v[16:17], v[10:11], 1.0
	v_add_f64 v[22:23], v[10:11], -1.0
	s_delay_alu instid0(VALU_DEP_3) | instskip(NEXT) | instid1(VALU_DEP_3)
	v_ldexp_f64 v[12:13], v[12:13], v18
	v_add_f64 v[14:15], v[16:17], -1.0
	s_delay_alu instid0(VALU_DEP_3) | instskip(NEXT) | instid1(VALU_DEP_2)
	v_add_f64 v[24:25], v[22:23], 1.0
	v_add_f64 v[14:15], v[10:11], -v[14:15]
	s_delay_alu instid0(VALU_DEP_2) | instskip(NEXT) | instid1(VALU_DEP_2)
	v_add_f64 v[10:11], v[10:11], -v[24:25]
	v_add_f64 v[14:15], v[12:13], v[14:15]
	s_delay_alu instid0(VALU_DEP_2) | instskip(NEXT) | instid1(VALU_DEP_2)
	v_add_f64 v[10:11], v[12:13], v[10:11]
	v_add_f64 v[18:19], v[16:17], v[14:15]
	s_delay_alu instid0(VALU_DEP_2) | instskip(NEXT) | instid1(VALU_DEP_2)
	v_add_f64 v[24:25], v[22:23], v[10:11]
	v_rcp_f64_e32 v[20:21], v[18:19]
	v_add_f64 v[16:17], v[18:19], -v[16:17]
	s_delay_alu instid0(VALU_DEP_2) | instskip(NEXT) | instid1(VALU_DEP_2)
	v_add_f64 v[22:23], v[24:25], -v[22:23]
	v_add_f64 v[14:15], v[14:15], -v[16:17]
	s_waitcnt_depctr 0xfff
	v_fma_f64 v[26:27], -v[18:19], v[20:21], 1.0
	v_add_f64 v[10:11], v[10:11], -v[22:23]
	s_delay_alu instid0(VALU_DEP_2) | instskip(NEXT) | instid1(VALU_DEP_1)
	v_fma_f64 v[20:21], v[26:27], v[20:21], v[20:21]
	v_fma_f64 v[12:13], -v[18:19], v[20:21], 1.0
	s_delay_alu instid0(VALU_DEP_1) | instskip(NEXT) | instid1(VALU_DEP_1)
	v_fma_f64 v[12:13], v[12:13], v[20:21], v[20:21]
	v_mul_f64 v[20:21], v[24:25], v[12:13]
	s_delay_alu instid0(VALU_DEP_1) | instskip(NEXT) | instid1(VALU_DEP_1)
	v_mul_f64 v[26:27], v[18:19], v[20:21]
	v_fma_f64 v[16:17], v[20:21], v[18:19], -v[26:27]
	s_delay_alu instid0(VALU_DEP_1) | instskip(NEXT) | instid1(VALU_DEP_1)
	v_fma_f64 v[16:17], v[20:21], v[14:15], v[16:17]
	v_add_f64 v[28:29], v[26:27], v[16:17]
	s_delay_alu instid0(VALU_DEP_1) | instskip(SKIP_1) | instid1(VALU_DEP_2)
	v_add_f64 v[30:31], v[24:25], -v[28:29]
	v_add_f64 v[22:23], v[28:29], -v[26:27]
	;; [unrolled: 1-line block ×3, first 2 shown]
	s_delay_alu instid0(VALU_DEP_2) | instskip(NEXT) | instid1(VALU_DEP_2)
	v_add_f64 v[16:17], v[22:23], -v[16:17]
	v_add_f64 v[24:25], v[24:25], -v[28:29]
	s_delay_alu instid0(VALU_DEP_1) | instskip(NEXT) | instid1(VALU_DEP_1)
	v_add_f64 v[10:11], v[10:11], v[24:25]
	v_add_f64 v[10:11], v[16:17], v[10:11]
	s_delay_alu instid0(VALU_DEP_1) | instskip(NEXT) | instid1(VALU_DEP_1)
	v_add_f64 v[16:17], v[30:31], v[10:11]
	v_mul_f64 v[22:23], v[12:13], v[16:17]
	v_add_f64 v[28:29], v[30:31], -v[16:17]
	s_delay_alu instid0(VALU_DEP_2) | instskip(NEXT) | instid1(VALU_DEP_2)
	v_mul_f64 v[24:25], v[18:19], v[22:23]
	v_add_f64 v[10:11], v[10:11], v[28:29]
	s_delay_alu instid0(VALU_DEP_2) | instskip(NEXT) | instid1(VALU_DEP_1)
	v_fma_f64 v[18:19], v[22:23], v[18:19], -v[24:25]
	v_fma_f64 v[14:15], v[22:23], v[14:15], v[18:19]
	s_delay_alu instid0(VALU_DEP_1) | instskip(NEXT) | instid1(VALU_DEP_1)
	v_add_f64 v[18:19], v[24:25], v[14:15]
	v_add_f64 v[26:27], v[16:17], -v[18:19]
	v_add_f64 v[24:25], v[18:19], -v[24:25]
	s_delay_alu instid0(VALU_DEP_2) | instskip(NEXT) | instid1(VALU_DEP_2)
	v_add_f64 v[16:17], v[16:17], -v[26:27]
	v_add_f64 v[14:15], v[24:25], -v[14:15]
	s_delay_alu instid0(VALU_DEP_2) | instskip(NEXT) | instid1(VALU_DEP_1)
	v_add_f64 v[16:17], v[16:17], -v[18:19]
	v_add_f64 v[10:11], v[10:11], v[16:17]
	v_add_f64 v[16:17], v[20:21], v[22:23]
	s_delay_alu instid0(VALU_DEP_2) | instskip(NEXT) | instid1(VALU_DEP_2)
	v_add_f64 v[10:11], v[14:15], v[10:11]
	v_add_f64 v[14:15], v[16:17], -v[20:21]
	s_delay_alu instid0(VALU_DEP_2) | instskip(NEXT) | instid1(VALU_DEP_2)
	v_add_f64 v[10:11], v[26:27], v[10:11]
	v_add_f64 v[14:15], v[22:23], -v[14:15]
	s_delay_alu instid0(VALU_DEP_2) | instskip(NEXT) | instid1(VALU_DEP_1)
	v_mul_f64 v[10:11], v[12:13], v[10:11]
	v_add_f64 v[10:11], v[14:15], v[10:11]
	s_delay_alu instid0(VALU_DEP_1) | instskip(NEXT) | instid1(VALU_DEP_1)
	v_add_f64 v[12:13], v[16:17], v[10:11]
	v_mul_f64 v[14:15], v[12:13], v[12:13]
	s_delay_alu instid0(VALU_DEP_1) | instskip(SKIP_3) | instid1(VALU_DEP_2)
	v_fma_f64 v[18:19], v[14:15], s[14:15], s[12:13]
	s_mov_b32 s12, 0xd7f4df2e
	s_mov_b32 s13, 0x3fc7474d
	v_mul_f64 v[20:21], v[12:13], v[14:15]
	v_fma_f64 v[18:19], v[14:15], v[18:19], s[12:13]
	s_mov_b32 s12, 0x16291751
	s_mov_b32 s13, 0x3fcc71c0
	s_delay_alu instid0(VALU_DEP_1) | instid1(SALU_CYCLE_1)
	v_fma_f64 v[18:19], v[14:15], v[18:19], s[12:13]
	s_mov_b32 s12, 0x9b27acf1
	s_mov_b32 s13, 0x3fd24924
	s_delay_alu instid0(VALU_DEP_1) | instid1(SALU_CYCLE_1)
	;; [unrolled: 4-line block ×3, first 2 shown]
	v_fma_f64 v[18:19], v[14:15], v[18:19], s[12:13]
	s_delay_alu instid0(VALU_DEP_1) | instskip(SKIP_4) | instid1(VALU_DEP_3)
	v_fma_f64 v[14:15], v[14:15], v[18:19], s[2:3]
	v_ldexp_f64 v[18:19], v[12:13], 1
	v_add_f64 v[12:13], v[12:13], -v[16:17]
	s_mov_b32 s2, 0xfefa39ef
	s_mov_b32 s3, 0x3fe62e42
	v_mul_f64 v[14:15], v[20:21], v[14:15]
	v_cvt_f64_i32_e32 v[20:21], v32
	s_delay_alu instid0(VALU_DEP_3) | instskip(NEXT) | instid1(VALU_DEP_3)
	v_add_f64 v[10:11], v[10:11], -v[12:13]
	v_add_f64 v[16:17], v[18:19], v[14:15]
	s_delay_alu instid0(VALU_DEP_3) | instskip(NEXT) | instid1(VALU_DEP_3)
	v_mul_f64 v[22:23], v[20:21], s[2:3]
	v_ldexp_f64 v[10:11], v[10:11], 1
	s_delay_alu instid0(VALU_DEP_3) | instskip(NEXT) | instid1(VALU_DEP_3)
	v_add_f64 v[12:13], v[16:17], -v[18:19]
	v_fma_f64 v[18:19], v[20:21], s[2:3], -v[22:23]
	s_mov_b32 s2, 0x3b39803f
	s_mov_b32 s3, 0x3c7abc9e
	s_delay_alu instid0(VALU_DEP_2) | instskip(NEXT) | instid1(VALU_DEP_2)
	v_add_f64 v[12:13], v[14:15], -v[12:13]
	v_fma_f64 v[14:15], v[20:21], s[2:3], v[18:19]
	s_delay_alu instid0(VALU_DEP_2) | instskip(NEXT) | instid1(VALU_DEP_2)
	v_add_f64 v[10:11], v[10:11], v[12:13]
	v_add_f64 v[12:13], v[22:23], v[14:15]
	s_delay_alu instid0(VALU_DEP_2) | instskip(NEXT) | instid1(VALU_DEP_2)
	v_add_f64 v[18:19], v[16:17], v[10:11]
	v_add_f64 v[22:23], v[12:13], -v[22:23]
	s_delay_alu instid0(VALU_DEP_2) | instskip(SKIP_1) | instid1(VALU_DEP_3)
	v_add_f64 v[20:21], v[12:13], v[18:19]
	v_add_f64 v[16:17], v[18:19], -v[16:17]
	v_add_f64 v[14:15], v[14:15], -v[22:23]
	s_delay_alu instid0(VALU_DEP_3) | instskip(NEXT) | instid1(VALU_DEP_3)
	v_add_f64 v[24:25], v[20:21], -v[12:13]
	v_add_f64 v[10:11], v[10:11], -v[16:17]
	s_delay_alu instid0(VALU_DEP_2) | instskip(SKIP_1) | instid1(VALU_DEP_3)
	v_add_f64 v[26:27], v[20:21], -v[24:25]
	v_add_f64 v[16:17], v[18:19], -v[24:25]
	v_add_f64 v[18:19], v[14:15], v[10:11]
	s_delay_alu instid0(VALU_DEP_3) | instskip(NEXT) | instid1(VALU_DEP_1)
	v_add_f64 v[12:13], v[12:13], -v[26:27]
	v_add_f64 v[12:13], v[16:17], v[12:13]
	s_delay_alu instid0(VALU_DEP_3) | instskip(NEXT) | instid1(VALU_DEP_2)
	v_add_f64 v[16:17], v[18:19], -v[14:15]
	v_add_f64 v[12:13], v[18:19], v[12:13]
	s_delay_alu instid0(VALU_DEP_2) | instskip(SKIP_1) | instid1(VALU_DEP_3)
	v_add_f64 v[18:19], v[18:19], -v[16:17]
	v_add_f64 v[10:11], v[10:11], -v[16:17]
	v_add_f64 v[22:23], v[20:21], v[12:13]
	s_delay_alu instid0(VALU_DEP_3) | instskip(NEXT) | instid1(VALU_DEP_2)
	v_add_f64 v[14:15], v[14:15], -v[18:19]
	v_add_f64 v[16:17], v[22:23], -v[20:21]
	s_delay_alu instid0(VALU_DEP_2) | instskip(NEXT) | instid1(VALU_DEP_2)
	v_add_f64 v[10:11], v[10:11], v[14:15]
	v_add_f64 v[12:13], v[12:13], -v[16:17]
	s_delay_alu instid0(VALU_DEP_1) | instskip(NEXT) | instid1(VALU_DEP_1)
	v_add_f64 v[10:11], v[10:11], v[12:13]
	v_add_f64 v[10:11], v[22:23], v[10:11]
	s_delay_alu instid0(VALU_DEP_1) | instskip(SKIP_1) | instid1(VALU_DEP_2)
	v_dual_cndmask_b32 v11, v11, v9 :: v_dual_cndmask_b32 v10, v10, v8
	v_cmp_ngt_f64_e32 vcc_lo, -1.0, v[8:9]
	v_mul_f64 v[10:11], v[10:11], 0.5
	s_delay_alu instid0(VALU_DEP_1) | instskip(SKIP_1) | instid1(VALU_DEP_3)
	v_cndmask_b32_e32 v11, 0x7ff80000, v11, vcc_lo
	v_cmp_nge_f64_e32 vcc_lo, -1.0, v[8:9]
	v_cndmask_b32_e32 v10, 0, v10, vcc_lo
	v_cmp_neq_f64_e32 vcc_lo, -1.0, v[8:9]
	s_delay_alu instid0(VALU_DEP_4)
	v_cndmask_b32_e32 v11, 0xfff00000, v11, vcc_lo
.LBB186_44:
	s_or_b32 exec_lo, exec_lo, s6
.LBB186_45:
	s_delay_alu instid0(SALU_CYCLE_1)
	s_or_b32 exec_lo, exec_lo, s1
	v_max_f64 v[8:9], |v[2:3]|, |v[2:3]|
	s_mov_b32 s2, 0xbd3237f4
	s_mov_b32 s6, 0xb5e68a13
	;; [unrolled: 1-line block ×4, first 2 shown]
	v_cmp_eq_f64_e64 s1, 0, v[0:1]
	s_delay_alu instid0(VALU_DEP_2) | instskip(NEXT) | instid1(VALU_DEP_1)
	v_min_f64 v[4:5], v[8:9], v[4:5]
	v_div_scale_f64 v[8:9], null, v[6:7], v[6:7], v[4:5]
	v_div_scale_f64 v[16:17], vcc_lo, v[4:5], v[6:7], v[4:5]
	s_delay_alu instid0(VALU_DEP_2) | instskip(SKIP_2) | instid1(VALU_DEP_1)
	v_rcp_f64_e32 v[12:13], v[8:9]
	s_waitcnt_depctr 0xfff
	v_fma_f64 v[14:15], -v[8:9], v[12:13], 1.0
	v_fma_f64 v[12:13], v[12:13], v[14:15], v[12:13]
	s_delay_alu instid0(VALU_DEP_1) | instskip(NEXT) | instid1(VALU_DEP_1)
	v_fma_f64 v[14:15], -v[8:9], v[12:13], 1.0
	v_fma_f64 v[12:13], v[12:13], v[14:15], v[12:13]
	s_delay_alu instid0(VALU_DEP_1) | instskip(NEXT) | instid1(VALU_DEP_1)
	v_mul_f64 v[14:15], v[16:17], v[12:13]
	v_fma_f64 v[8:9], -v[8:9], v[14:15], v[16:17]
	s_delay_alu instid0(VALU_DEP_1) | instskip(SKIP_2) | instid1(VALU_DEP_3)
	v_div_fmas_f64 v[8:9], v[8:9], v[12:13], v[14:15]
	v_cmp_lt_f64_e64 vcc_lo, |v[2:3]|, |v[0:1]|
	v_mov_b32_e32 v0, 0x4002d97c
	v_div_fixup_f64 v[4:5], v[8:9], v[6:7], v[4:5]
	s_delay_alu instid0(VALU_DEP_1) | instskip(NEXT) | instid1(VALU_DEP_1)
	v_mul_f64 v[6:7], v[4:5], v[4:5]
	v_fma_f64 v[8:9], v[6:7], s[6:7], s[2:3]
	s_mov_b32 s2, 0x69efb384
	s_mov_b32 s3, 0x3f4b2bb0
	s_delay_alu instid0(VALU_DEP_1) | instid1(SALU_CYCLE_1)
	v_fma_f64 v[8:9], v[6:7], v[8:9], s[2:3]
	s_mov_b32 s2, 0xaf56de9b
	s_mov_b32 s3, 0xbf67952d
	s_delay_alu instid0(VALU_DEP_1) | instid1(SALU_CYCLE_1)
	;; [unrolled: 4-line block ×18, first 2 shown]
	v_fma_f64 v[8:9], v[6:7], v[8:9], s[2:3]
	s_mov_b32 s2, 0x54442d18
	s_mov_b32 s3, 0x3ff921fb
	s_delay_alu instid0(VALU_DEP_1) | instskip(SKIP_1) | instid1(VALU_DEP_2)
	v_mul_f64 v[6:7], v[6:7], v[8:9]
	v_ashrrev_i32_e32 v8, 31, v3
	v_fma_f64 v[4:5], v[4:5], v[6:7], v[4:5]
	s_delay_alu instid0(VALU_DEP_1) | instskip(SKIP_1) | instid1(VALU_DEP_1)
	v_add_f64 v[6:7], -v[4:5], s[2:3]
	s_mov_b32 s3, 0x400921fb
	v_dual_cndmask_b32 v5, v5, v7 :: v_dual_cndmask_b32 v4, v4, v6
	v_cmp_gt_i32_e32 vcc_lo, 0, v3
	v_and_b32_e32 v3, 0x54442d18, v8
	s_delay_alu instid0(VALU_DEP_3) | instskip(SKIP_2) | instid1(VALU_DEP_1)
	v_add_f64 v[6:7], -v[4:5], s[2:3]
	v_mov_b32_e32 v2, 0x7f3321d2
	v_cndmask_b32_e32 v0, 0x3fe921fb, v0, vcc_lo
	v_bfi_b32 v0, 0x7fffffff, v0, v1
	s_delay_alu instid0(VALU_DEP_4) | instskip(NEXT) | instid1(VALU_DEP_4)
	v_cndmask_b32_e32 v5, v5, v7, vcc_lo
	v_cndmask_b32_e32 v2, 0x54442d18, v2, vcc_lo
	;; [unrolled: 1-line block ×3, first 2 shown]
	v_and_b32_e32 v6, 0x400921fb, v8
	s_and_b32 vcc_lo, s4, s9
	s_delay_alu instid0(VALU_DEP_2) | instskip(NEXT) | instid1(VALU_DEP_2)
	v_cndmask_b32_e64 v3, v4, v3, s1
	v_cndmask_b32_e64 v4, v5, v6, s1
	s_delay_alu instid0(VALU_DEP_2) | instskip(NEXT) | instid1(VALU_DEP_2)
	v_cndmask_b32_e32 v2, v3, v2, vcc_lo
	v_cndmask_b32_e32 v0, v4, v0, vcc_lo
	s_delay_alu instid0(VALU_DEP_2) | instskip(NEXT) | instid1(VALU_DEP_2)
	v_cndmask_b32_e64 v8, 0, v2, s0
	v_cndmask_b32_e64 v0, 0x7ff80000, v0, s0
	s_delay_alu instid0(VALU_DEP_1)
	v_bfi_b32 v9, 0x7fffffff, v0, v1
.LBB186_46:
	s_or_b32 exec_lo, exec_lo, s8
.LBB186_47:
	s_delay_alu instid0(SALU_CYCLE_1) | instskip(SKIP_1) | instid1(VALU_DEP_2)
	s_or_b32 exec_lo, exec_lo, s5
	v_dual_mov_b32 v0, v10 :: v_dual_mov_b32 v1, v11
	v_dual_mov_b32 v2, v8 :: v_dual_mov_b32 v3, v9
.LBB186_48:
	s_or_b32 exec_lo, exec_lo, s10
	s_setpc_b64 s[30:31]
.Lfunc_end186:
	.size	_ZZZZN2at6native31launch_logcumsumexp_cuda_kernelERKNS_10TensorBaseES3_lENKUlvE_clEvENKUlvE1_clEvENKUlN3c107complexIdEES8_E_clES8_S8_, .Lfunc_end186-_ZZZZN2at6native31launch_logcumsumexp_cuda_kernelERKNS_10TensorBaseES3_lENKUlvE_clEvENKUlvE1_clEvENKUlN3c107complexIdEES8_E_clES8_S8_
                                        ; -- End function
	.section	.AMDGPU.csdata,"",@progbits
; Function info:
; codeLenInByte = 16060
; NumSgprs: 34
; NumVgprs: 136
; ScratchSize: 0
; MemoryBound: 0
	.section	.text._ZN7rocprim17ROCPRIM_400000_NS6detail17trampoline_kernelINS0_14default_configENS1_20scan_config_selectorIN3c107complexIdEEEEZZNS1_9scan_implILNS1_25lookback_scan_determinismE0ELb0ELb0ES3_PKS7_PS7_S7_ZZZN2at6native31launch_logcumsumexp_cuda_kernelERKNSE_10TensorBaseESI_lENKUlvE_clEvENKUlvE1_clEvEUlS7_S7_E_S7_EEDaPvRmT3_T4_T5_mT6_P12ihipStream_tbENKUlT_T0_E_clISt17integral_constantIbLb0EESZ_EEDaSU_SV_EUlSU_E_NS1_11comp_targetILNS1_3genE9ELNS1_11target_archE1100ELNS1_3gpuE3ELNS1_3repE0EEENS1_30default_config_static_selectorELNS0_4arch9wavefront6targetE0EEEvT1_,"axG",@progbits,_ZN7rocprim17ROCPRIM_400000_NS6detail17trampoline_kernelINS0_14default_configENS1_20scan_config_selectorIN3c107complexIdEEEEZZNS1_9scan_implILNS1_25lookback_scan_determinismE0ELb0ELb0ES3_PKS7_PS7_S7_ZZZN2at6native31launch_logcumsumexp_cuda_kernelERKNSE_10TensorBaseESI_lENKUlvE_clEvENKUlvE1_clEvEUlS7_S7_E_S7_EEDaPvRmT3_T4_T5_mT6_P12ihipStream_tbENKUlT_T0_E_clISt17integral_constantIbLb0EESZ_EEDaSU_SV_EUlSU_E_NS1_11comp_targetILNS1_3genE9ELNS1_11target_archE1100ELNS1_3gpuE3ELNS1_3repE0EEENS1_30default_config_static_selectorELNS0_4arch9wavefront6targetE0EEEvT1_,comdat
	.globl	_ZN7rocprim17ROCPRIM_400000_NS6detail17trampoline_kernelINS0_14default_configENS1_20scan_config_selectorIN3c107complexIdEEEEZZNS1_9scan_implILNS1_25lookback_scan_determinismE0ELb0ELb0ES3_PKS7_PS7_S7_ZZZN2at6native31launch_logcumsumexp_cuda_kernelERKNSE_10TensorBaseESI_lENKUlvE_clEvENKUlvE1_clEvEUlS7_S7_E_S7_EEDaPvRmT3_T4_T5_mT6_P12ihipStream_tbENKUlT_T0_E_clISt17integral_constantIbLb0EESZ_EEDaSU_SV_EUlSU_E_NS1_11comp_targetILNS1_3genE9ELNS1_11target_archE1100ELNS1_3gpuE3ELNS1_3repE0EEENS1_30default_config_static_selectorELNS0_4arch9wavefront6targetE0EEEvT1_ ; -- Begin function _ZN7rocprim17ROCPRIM_400000_NS6detail17trampoline_kernelINS0_14default_configENS1_20scan_config_selectorIN3c107complexIdEEEEZZNS1_9scan_implILNS1_25lookback_scan_determinismE0ELb0ELb0ES3_PKS7_PS7_S7_ZZZN2at6native31launch_logcumsumexp_cuda_kernelERKNSE_10TensorBaseESI_lENKUlvE_clEvENKUlvE1_clEvEUlS7_S7_E_S7_EEDaPvRmT3_T4_T5_mT6_P12ihipStream_tbENKUlT_T0_E_clISt17integral_constantIbLb0EESZ_EEDaSU_SV_EUlSU_E_NS1_11comp_targetILNS1_3genE9ELNS1_11target_archE1100ELNS1_3gpuE3ELNS1_3repE0EEENS1_30default_config_static_selectorELNS0_4arch9wavefront6targetE0EEEvT1_
	.p2align	8
	.type	_ZN7rocprim17ROCPRIM_400000_NS6detail17trampoline_kernelINS0_14default_configENS1_20scan_config_selectorIN3c107complexIdEEEEZZNS1_9scan_implILNS1_25lookback_scan_determinismE0ELb0ELb0ES3_PKS7_PS7_S7_ZZZN2at6native31launch_logcumsumexp_cuda_kernelERKNSE_10TensorBaseESI_lENKUlvE_clEvENKUlvE1_clEvEUlS7_S7_E_S7_EEDaPvRmT3_T4_T5_mT6_P12ihipStream_tbENKUlT_T0_E_clISt17integral_constantIbLb0EESZ_EEDaSU_SV_EUlSU_E_NS1_11comp_targetILNS1_3genE9ELNS1_11target_archE1100ELNS1_3gpuE3ELNS1_3repE0EEENS1_30default_config_static_selectorELNS0_4arch9wavefront6targetE0EEEvT1_,@function
_ZN7rocprim17ROCPRIM_400000_NS6detail17trampoline_kernelINS0_14default_configENS1_20scan_config_selectorIN3c107complexIdEEEEZZNS1_9scan_implILNS1_25lookback_scan_determinismE0ELb0ELb0ES3_PKS7_PS7_S7_ZZZN2at6native31launch_logcumsumexp_cuda_kernelERKNSE_10TensorBaseESI_lENKUlvE_clEvENKUlvE1_clEvEUlS7_S7_E_S7_EEDaPvRmT3_T4_T5_mT6_P12ihipStream_tbENKUlT_T0_E_clISt17integral_constantIbLb0EESZ_EEDaSU_SV_EUlSU_E_NS1_11comp_targetILNS1_3genE9ELNS1_11target_archE1100ELNS1_3gpuE3ELNS1_3repE0EEENS1_30default_config_static_selectorELNS0_4arch9wavefront6targetE0EEEvT1_: ; @_ZN7rocprim17ROCPRIM_400000_NS6detail17trampoline_kernelINS0_14default_configENS1_20scan_config_selectorIN3c107complexIdEEEEZZNS1_9scan_implILNS1_25lookback_scan_determinismE0ELb0ELb0ES3_PKS7_PS7_S7_ZZZN2at6native31launch_logcumsumexp_cuda_kernelERKNSE_10TensorBaseESI_lENKUlvE_clEvENKUlvE1_clEvEUlS7_S7_E_S7_EEDaPvRmT3_T4_T5_mT6_P12ihipStream_tbENKUlT_T0_E_clISt17integral_constantIbLb0EESZ_EEDaSU_SV_EUlSU_E_NS1_11comp_targetILNS1_3genE9ELNS1_11target_archE1100ELNS1_3gpuE3ELNS1_3repE0EEENS1_30default_config_static_selectorELNS0_4arch9wavefront6targetE0EEEvT1_
; %bb.0:
	s_mov_b64 s[18:19], s[0:1]
	s_clause 0x3
	s_load_b256 s[20:27], s[0:1], 0x0
	s_load_b32 s0, s[0:1], 0x50
	s_load_b128 s[44:47], s[18:19], 0x38
	s_load_b64 s[28:29], s[18:19], 0x48
	v_mov_b32_e32 v156, v0
	s_mov_b32 s1, 0
	s_mov_b32 s17, s15
	;; [unrolled: 1-line block ×3, first 2 shown]
	s_delay_alu instid0(VALU_DEP_1)
	v_lshlrev_b32_e32 v165, 4, v156
	v_lshrrev_b32_e32 v32, 1, v156
	v_or_b32_e32 v164, 0x100, v156
	v_or_b32_e32 v163, 0x200, v156
	v_or_b32_e32 v162, 0x300, v156
	v_or_b32_e32 v161, 0x400, v156
	v_or_b32_e32 v160, 0x500, v156
	v_or_b32_e32 v159, 0x600, v156
	v_or_b32_e32 v158, 0x700, v156
	s_waitcnt lgkmcnt(0)
	s_lshl_b64 s[22:23], s[22:23], 4
	s_delay_alu instid0(SALU_CYCLE_1) | instskip(SKIP_4) | instid1(SALU_CYCLE_1)
	s_add_u32 s2, s20, s22
	s_addc_u32 s3, s21, s23
	s_add_i32 s4, s0, -1
	s_lshl_b32 s0, s15, 11
	s_lshl_b32 s5, s4, 11
	s_sub_u32 s33, s26, s5
	s_subb_u32 s34, s27, 0
	s_cmp_lg_u32 s15, s4
	s_cselect_b32 s35, -1, 0
	s_lshl_b64 s[26:27], s[0:1], 4
	s_mov_b32 s1, -1
	s_add_u32 s2, s2, s26
	s_addc_u32 s3, s3, s27
	s_and_b32 vcc_lo, exec_lo, s35
	s_cbranch_vccz .LBB187_2
; %bb.1:
	v_add_co_u32 v10, s0, s2, v165
	s_delay_alu instid0(VALU_DEP_1) | instskip(SKIP_1) | instid1(VALU_DEP_3)
	v_add_co_ci_u32_e64 v11, null, s3, 0, s0
	v_lshrrev_b32_e32 v34, 1, v164
	v_add_co_u32 v8, vcc_lo, v10, 0x2000
	s_delay_alu instid0(VALU_DEP_3)
	v_add_co_ci_u32_e32 v9, vcc_lo, 0, v11, vcc_lo
	v_add_co_u32 v16, vcc_lo, v10, 0x4000
	v_add_co_ci_u32_e32 v17, vcc_lo, 0, v11, vcc_lo
	v_add_co_u32 v24, vcc_lo, v10, 0x6000
	;; [unrolled: 2-line block ×3, first 2 shown]
	v_add_co_ci_u32_e32 v29, vcc_lo, 0, v11, vcc_lo
	s_clause 0x7
	global_load_b128 v[0:3], v165, s[2:3]
	global_load_b128 v[4:7], v[8:9], off offset:-4096
	global_load_b128 v[8:11], v[8:9], off
	global_load_b128 v[12:15], v[16:17], off offset:-4096
	global_load_b128 v[16:19], v[16:17], off
	;; [unrolled: 2-line block ×3, first 2 shown]
	global_load_b128 v[28:31], v[28:29], off
	v_lshrrev_b32_e32 v35, 1, v163
	v_lshrrev_b32_e32 v36, 1, v162
	;; [unrolled: 1-line block ×3, first 2 shown]
	v_and_b32_e32 v33, 0x70, v32
	v_lshrrev_b32_e32 v38, 1, v160
	v_lshrrev_b32_e32 v39, 1, v159
	;; [unrolled: 1-line block ×3, first 2 shown]
	v_and_b32_e32 v34, 0xf0, v34
	v_and_b32_e32 v35, 0x170, v35
	;; [unrolled: 1-line block ×4, first 2 shown]
	v_add_nc_u32_e32 v33, v33, v165
	v_and_b32_e32 v38, 0x2f0, v38
	v_and_b32_e32 v39, 0x370, v39
	;; [unrolled: 1-line block ×3, first 2 shown]
	v_add_nc_u32_e32 v34, v34, v165
	v_add_nc_u32_e32 v35, v35, v165
	;; [unrolled: 1-line block ×4, first 2 shown]
	s_mov_b32 s1, 0
	v_add_nc_u32_e32 v38, v38, v165
	v_add_nc_u32_e32 v39, v39, v165
	;; [unrolled: 1-line block ×3, first 2 shown]
	s_waitcnt vmcnt(7)
	ds_store_b128 v33, v[0:3]
	s_waitcnt vmcnt(6)
	ds_store_b128 v34, v[4:7] offset:4096
	s_waitcnt vmcnt(5)
	ds_store_b128 v35, v[8:11] offset:8192
	s_waitcnt vmcnt(4)
	ds_store_b128 v36, v[12:15] offset:12288
	s_waitcnt vmcnt(3)
	ds_store_b128 v37, v[16:19] offset:16384
	s_waitcnt vmcnt(2)
	ds_store_b128 v38, v[20:23] offset:20480
	s_waitcnt vmcnt(1)
	ds_store_b128 v39, v[24:27] offset:24576
	s_waitcnt vmcnt(0)
	ds_store_b128 v40, v[28:31] offset:28672
	s_waitcnt lgkmcnt(0)
	s_barrier
.LBB187_2:
	v_cmp_gt_u32_e64 s0, s33, v156
	s_and_not1_b32 vcc_lo, exec_lo, s1
	s_cbranch_vccnz .LBB187_20
; %bb.3:
	s_load_b128 s[4:7], s[2:3], 0x0
	s_waitcnt lgkmcnt(0)
	v_dual_mov_b32 v2, s6 :: v_dual_mov_b32 v3, s7
	v_dual_mov_b32 v0, s4 :: v_dual_mov_b32 v1, s5
	s_and_saveexec_b32 s1, s0
	s_cbranch_execz .LBB187_5
; %bb.4:
	global_load_b128 v[0:3], v165, s[2:3]
.LBB187_5:
	s_or_b32 exec_lo, exec_lo, s1
	v_dual_mov_b32 v6, s6 :: v_dual_mov_b32 v7, s7
	v_dual_mov_b32 v4, s4 :: v_dual_mov_b32 v5, s5
	s_mov_b32 s0, exec_lo
	v_cmpx_gt_u32_e64 s33, v164
	s_cbranch_execz .LBB187_7
; %bb.6:
	v_lshlrev_b32_e32 v4, 4, v164
	global_load_b128 v[4:7], v4, s[2:3]
.LBB187_7:
	s_or_b32 exec_lo, exec_lo, s0
	v_dual_mov_b32 v11, s7 :: v_dual_mov_b32 v10, s6
	v_dual_mov_b32 v9, s5 :: v_dual_mov_b32 v8, s4
	s_mov_b32 s0, exec_lo
	v_cmpx_gt_u32_e64 s33, v163
	s_cbranch_execz .LBB187_9
; %bb.8:
	v_lshlrev_b32_e32 v8, 4, v163
	global_load_b128 v[8:11], v8, s[2:3]
.LBB187_9:
	;; [unrolled: 10-line block ×7, first 2 shown]
	s_or_b32 exec_lo, exec_lo, s0
	v_lshrrev_b32_e32 v33, 1, v164
	v_and_b32_e32 v32, 0x70, v32
	v_lshrrev_b32_e32 v34, 1, v163
	v_lshrrev_b32_e32 v35, 1, v162
	;; [unrolled: 1-line block ×3, first 2 shown]
	v_and_b32_e32 v33, 0xf0, v33
	v_add_nc_u32_e32 v32, v32, v165
	v_lshrrev_b32_e32 v37, 1, v160
	v_lshrrev_b32_e32 v38, 1, v159
	v_and_b32_e32 v34, 0x1f0, v34
	v_add_nc_u32_e32 v33, v33, v165
	v_lshrrev_b32_e32 v39, 1, v158
	v_and_b32_e32 v35, 0x1f0, v35
	s_waitcnt vmcnt(0)
	ds_store_b128 v32, v[0:3]
	ds_store_b128 v33, v[4:7] offset:4096
	v_and_b32_e32 v0, 0x3f0, v36
	v_and_b32_e32 v1, 0x3f0, v37
	;; [unrolled: 1-line block ×3, first 2 shown]
	v_add_nc_u32_e32 v34, v34, v165
	v_and_b32_e32 v3, 0x3f0, v39
	v_add_nc_u32_e32 v4, v35, v165
	v_add_nc_u32_e32 v0, v0, v165
	;; [unrolled: 1-line block ×5, first 2 shown]
	ds_store_b128 v34, v[8:11] offset:8192
	ds_store_b128 v4, v[12:15] offset:12288
	;; [unrolled: 1-line block ×6, first 2 shown]
	s_waitcnt lgkmcnt(0)
	s_barrier
.LBB187_20:
	v_lshlrev_b32_e32 v0, 3, v156
	v_lshrrev_b32_e32 v157, 2, v156
	buffer_gl0_inv
	s_cmp_lg_u32 s17, 0
	v_add_lshl_u32 v0, v157, v0, 4
	ds_load_b128 v[40:43], v0
	ds_load_b128 v[92:95], v0 offset:16
	ds_load_b128 v[88:91], v0 offset:32
	;; [unrolled: 1-line block ×7, first 2 shown]
	s_waitcnt lgkmcnt(0)
	s_barrier
	buffer_gl0_inv
	s_cbranch_scc0 .LBB187_85
; %bb.21:
	v_dual_mov_b32 v0, v40 :: v_dual_mov_b32 v1, v41
	v_dual_mov_b32 v2, v42 :: v_dual_mov_b32 v3, v43
	;; [unrolled: 1-line block ×4, first 2 shown]
	s_getpc_b64 s[20:21]
	s_add_u32 s20, s20, _ZZZZN2at6native31launch_logcumsumexp_cuda_kernelERKNS_10TensorBaseES3_lENKUlvE_clEvENKUlvE1_clEvENKUlN3c107complexIdEES8_E_clES8_S8_@rel32@lo+4
	s_addc_u32 s21, s21, _ZZZZN2at6native31launch_logcumsumexp_cuda_kernelERKNS_10TensorBaseES3_lENKUlvE_clEvENKUlvE1_clEvENKUlN3c107complexIdEES8_E_clES8_S8_@rel32@hi+12
	s_delay_alu instid0(SALU_CYCLE_1)
	s_swappc_b64 s[30:31], s[20:21]
	v_dual_mov_b32 v4, v88 :: v_dual_mov_b32 v5, v89
	v_dual_mov_b32 v6, v90 :: v_dual_mov_b32 v7, v91
	s_swappc_b64 s[30:31], s[20:21]
	v_dual_mov_b32 v4, v76 :: v_dual_mov_b32 v5, v77
	v_dual_mov_b32 v6, v78 :: v_dual_mov_b32 v7, v79
	;; [unrolled: 3-line block ×7, first 2 shown]
	v_mbcnt_lo_u32_b32 v126, -1, 0
	s_delay_alu instid0(VALU_DEP_3) | instskip(NEXT) | instid1(VALU_DEP_4)
	v_mov_b32_dpp v0, v108 row_shr:1 row_mask:0xf bank_mask:0xf
	v_mov_b32_dpp v1, v109 row_shr:1 row_mask:0xf bank_mask:0xf
	s_delay_alu instid0(VALU_DEP_4) | instskip(SKIP_3) | instid1(VALU_DEP_1)
	v_mov_b32_dpp v2, v110 row_shr:1 row_mask:0xf bank_mask:0xf
	v_mov_b32_dpp v3, v111 row_shr:1 row_mask:0xf bank_mask:0xf
	v_and_b32_e32 v104, 15, v126
	s_mov_b32 s36, exec_lo
	v_cmpx_ne_u32_e32 0, v104
	s_cbranch_execz .LBB187_23
; %bb.22:
	v_dual_mov_b32 v4, v108 :: v_dual_mov_b32 v5, v109
	v_dual_mov_b32 v6, v110 :: v_dual_mov_b32 v7, v111
	s_swappc_b64 s[30:31], s[20:21]
	v_dual_mov_b32 v108, v0 :: v_dual_mov_b32 v109, v1
	v_dual_mov_b32 v110, v2 :: v_dual_mov_b32 v111, v3
.LBB187_23:
	s_or_b32 exec_lo, exec_lo, s36
	s_delay_alu instid0(VALU_DEP_2) | instskip(NEXT) | instid1(VALU_DEP_3)
	v_mov_b32_dpp v0, v108 row_shr:2 row_mask:0xf bank_mask:0xf
	v_mov_b32_dpp v1, v109 row_shr:2 row_mask:0xf bank_mask:0xf
	s_delay_alu instid0(VALU_DEP_3)
	v_mov_b32_dpp v2, v110 row_shr:2 row_mask:0xf bank_mask:0xf
	v_mov_b32_dpp v3, v111 row_shr:2 row_mask:0xf bank_mask:0xf
	s_mov_b32 s20, exec_lo
	v_cmpx_lt_u32_e32 1, v104
	s_cbranch_execz .LBB187_25
; %bb.24:
	v_dual_mov_b32 v4, v108 :: v_dual_mov_b32 v5, v109
	v_dual_mov_b32 v6, v110 :: v_dual_mov_b32 v7, v111
	s_getpc_b64 s[0:1]
	s_add_u32 s0, s0, _ZZZZN2at6native31launch_logcumsumexp_cuda_kernelERKNS_10TensorBaseES3_lENKUlvE_clEvENKUlvE1_clEvENKUlN3c107complexIdEES8_E_clES8_S8_@rel32@lo+4
	s_addc_u32 s1, s1, _ZZZZN2at6native31launch_logcumsumexp_cuda_kernelERKNS_10TensorBaseES3_lENKUlvE_clEvENKUlvE1_clEvENKUlN3c107complexIdEES8_E_clES8_S8_@rel32@hi+12
	s_delay_alu instid0(SALU_CYCLE_1)
	s_swappc_b64 s[30:31], s[0:1]
	v_dual_mov_b32 v108, v0 :: v_dual_mov_b32 v109, v1
	v_dual_mov_b32 v110, v2 :: v_dual_mov_b32 v111, v3
.LBB187_25:
	s_or_b32 exec_lo, exec_lo, s20
	s_delay_alu instid0(VALU_DEP_2) | instskip(NEXT) | instid1(VALU_DEP_3)
	v_mov_b32_dpp v0, v108 row_shr:4 row_mask:0xf bank_mask:0xf
	v_mov_b32_dpp v1, v109 row_shr:4 row_mask:0xf bank_mask:0xf
	s_delay_alu instid0(VALU_DEP_3)
	v_mov_b32_dpp v2, v110 row_shr:4 row_mask:0xf bank_mask:0xf
	v_mov_b32_dpp v3, v111 row_shr:4 row_mask:0xf bank_mask:0xf
	s_mov_b32 s20, exec_lo
	v_cmpx_lt_u32_e32 3, v104
	s_cbranch_execz .LBB187_27
; %bb.26:
	v_dual_mov_b32 v4, v108 :: v_dual_mov_b32 v5, v109
	v_dual_mov_b32 v6, v110 :: v_dual_mov_b32 v7, v111
	s_getpc_b64 s[0:1]
	s_add_u32 s0, s0, _ZZZZN2at6native31launch_logcumsumexp_cuda_kernelERKNS_10TensorBaseES3_lENKUlvE_clEvENKUlvE1_clEvENKUlN3c107complexIdEES8_E_clES8_S8_@rel32@lo+4
	s_addc_u32 s1, s1, _ZZZZN2at6native31launch_logcumsumexp_cuda_kernelERKNS_10TensorBaseES3_lENKUlvE_clEvENKUlvE1_clEvENKUlN3c107complexIdEES8_E_clES8_S8_@rel32@hi+12
	s_delay_alu instid0(SALU_CYCLE_1)
	s_swappc_b64 s[30:31], s[0:1]
	v_dual_mov_b32 v108, v0 :: v_dual_mov_b32 v109, v1
	v_dual_mov_b32 v110, v2 :: v_dual_mov_b32 v111, v3
.LBB187_27:
	;; [unrolled: 21-line block ×3, first 2 shown]
	s_or_b32 exec_lo, exec_lo, s20
	ds_swizzle_b32 v0, v108 offset:swizzle(BROADCAST,32,15)
	ds_swizzle_b32 v1, v109 offset:swizzle(BROADCAST,32,15)
	;; [unrolled: 1-line block ×4, first 2 shown]
	v_and_b32_e32 v4, 16, v126
	s_mov_b32 s20, exec_lo
	s_delay_alu instid0(VALU_DEP_1)
	v_cmpx_ne_u32_e32 0, v4
	s_cbranch_execz .LBB187_31
; %bb.30:
	v_dual_mov_b32 v4, v108 :: v_dual_mov_b32 v5, v109
	v_dual_mov_b32 v6, v110 :: v_dual_mov_b32 v7, v111
	s_getpc_b64 s[0:1]
	s_add_u32 s0, s0, _ZZZZN2at6native31launch_logcumsumexp_cuda_kernelERKNS_10TensorBaseES3_lENKUlvE_clEvENKUlvE1_clEvENKUlN3c107complexIdEES8_E_clES8_S8_@rel32@lo+4
	s_addc_u32 s1, s1, _ZZZZN2at6native31launch_logcumsumexp_cuda_kernelERKNS_10TensorBaseES3_lENKUlvE_clEvENKUlvE1_clEvENKUlN3c107complexIdEES8_E_clES8_S8_@rel32@hi+12
	s_delay_alu instid0(SALU_CYCLE_1)
	s_swappc_b64 s[30:31], s[0:1]
	v_dual_mov_b32 v108, v0 :: v_dual_mov_b32 v109, v1
	v_dual_mov_b32 v110, v2 :: v_dual_mov_b32 v111, v3
.LBB187_31:
	s_or_b32 exec_lo, exec_lo, s20
	s_waitcnt lgkmcnt(3)
	v_or_b32_e32 v0, 31, v156
	v_lshrrev_b32_e32 v120, 5, v156
	s_mov_b32 s0, exec_lo
	s_delay_alu instid0(VALU_DEP_2)
	v_cmpx_eq_u32_e64 v0, v156
	s_cbranch_execz .LBB187_33
; %bb.32:
	s_delay_alu instid0(VALU_DEP_2)
	v_lshlrev_b32_e32 v0, 4, v120
	ds_store_b128 v0, v[108:111]
.LBB187_33:
	s_or_b32 exec_lo, exec_lo, s0
	s_delay_alu instid0(SALU_CYCLE_1)
	s_mov_b32 s20, exec_lo
	s_waitcnt lgkmcnt(0)
	s_waitcnt_vscnt null, 0x0
	s_barrier
	buffer_gl0_inv
	v_cmpx_gt_u32_e32 8, v156
	s_cbranch_execz .LBB187_41
; %bb.34:
	ds_load_b128 v[4:7], v165
	v_and_b32_e32 v104, 7, v126
	s_mov_b32 s21, exec_lo
	s_waitcnt lgkmcnt(0)
	v_mov_b32_dpp v0, v4 row_shr:1 row_mask:0xf bank_mask:0xf
	v_mov_b32_dpp v1, v5 row_shr:1 row_mask:0xf bank_mask:0xf
	;; [unrolled: 1-line block ×4, first 2 shown]
	v_cmpx_ne_u32_e32 0, v104
	s_cbranch_execz .LBB187_36
; %bb.35:
	s_getpc_b64 s[0:1]
	s_add_u32 s0, s0, _ZZZZN2at6native31launch_logcumsumexp_cuda_kernelERKNS_10TensorBaseES3_lENKUlvE_clEvENKUlvE1_clEvENKUlN3c107complexIdEES8_E_clES8_S8_@rel32@lo+4
	s_addc_u32 s1, s1, _ZZZZN2at6native31launch_logcumsumexp_cuda_kernelERKNS_10TensorBaseES3_lENKUlvE_clEvENKUlvE1_clEvENKUlN3c107complexIdEES8_E_clES8_S8_@rel32@hi+12
	s_delay_alu instid0(SALU_CYCLE_1)
	s_swappc_b64 s[30:31], s[0:1]
	v_dual_mov_b32 v4, v0 :: v_dual_mov_b32 v5, v1
	v_dual_mov_b32 v6, v2 :: v_dual_mov_b32 v7, v3
.LBB187_36:
	s_or_b32 exec_lo, exec_lo, s21
	s_delay_alu instid0(VALU_DEP_2) | instskip(NEXT) | instid1(VALU_DEP_3)
	v_mov_b32_dpp v0, v4 row_shr:2 row_mask:0xf bank_mask:0xf
	v_mov_b32_dpp v1, v5 row_shr:2 row_mask:0xf bank_mask:0xf
	s_delay_alu instid0(VALU_DEP_3)
	v_mov_b32_dpp v2, v6 row_shr:2 row_mask:0xf bank_mask:0xf
	v_mov_b32_dpp v3, v7 row_shr:2 row_mask:0xf bank_mask:0xf
	s_mov_b32 s21, exec_lo
	v_cmpx_lt_u32_e32 1, v104
	s_cbranch_execz .LBB187_38
; %bb.37:
	s_getpc_b64 s[0:1]
	s_add_u32 s0, s0, _ZZZZN2at6native31launch_logcumsumexp_cuda_kernelERKNS_10TensorBaseES3_lENKUlvE_clEvENKUlvE1_clEvENKUlN3c107complexIdEES8_E_clES8_S8_@rel32@lo+4
	s_addc_u32 s1, s1, _ZZZZN2at6native31launch_logcumsumexp_cuda_kernelERKNS_10TensorBaseES3_lENKUlvE_clEvENKUlvE1_clEvENKUlN3c107complexIdEES8_E_clES8_S8_@rel32@hi+12
	s_delay_alu instid0(SALU_CYCLE_1)
	s_swappc_b64 s[30:31], s[0:1]
	v_dual_mov_b32 v4, v0 :: v_dual_mov_b32 v5, v1
	v_dual_mov_b32 v6, v2 :: v_dual_mov_b32 v7, v3
.LBB187_38:
	s_or_b32 exec_lo, exec_lo, s21
	s_delay_alu instid0(VALU_DEP_2) | instskip(NEXT) | instid1(VALU_DEP_3)
	v_mov_b32_dpp v0, v4 row_shr:4 row_mask:0xf bank_mask:0xf
	v_mov_b32_dpp v1, v5 row_shr:4 row_mask:0xf bank_mask:0xf
	s_delay_alu instid0(VALU_DEP_3)
	v_mov_b32_dpp v2, v6 row_shr:4 row_mask:0xf bank_mask:0xf
	v_mov_b32_dpp v3, v7 row_shr:4 row_mask:0xf bank_mask:0xf
	s_mov_b32 s21, exec_lo
	v_cmpx_lt_u32_e32 3, v104
	s_cbranch_execz .LBB187_40
; %bb.39:
	s_getpc_b64 s[0:1]
	s_add_u32 s0, s0, _ZZZZN2at6native31launch_logcumsumexp_cuda_kernelERKNS_10TensorBaseES3_lENKUlvE_clEvENKUlvE1_clEvENKUlN3c107complexIdEES8_E_clES8_S8_@rel32@lo+4
	s_addc_u32 s1, s1, _ZZZZN2at6native31launch_logcumsumexp_cuda_kernelERKNS_10TensorBaseES3_lENKUlvE_clEvENKUlvE1_clEvENKUlN3c107complexIdEES8_E_clES8_S8_@rel32@hi+12
	s_delay_alu instid0(SALU_CYCLE_1)
	s_swappc_b64 s[30:31], s[0:1]
	v_dual_mov_b32 v4, v0 :: v_dual_mov_b32 v5, v1
	v_dual_mov_b32 v6, v2 :: v_dual_mov_b32 v7, v3
.LBB187_40:
	s_or_b32 exec_lo, exec_lo, s21
	ds_store_b128 v165, v[4:7]
.LBB187_41:
	s_or_b32 exec_lo, exec_lo, s20
	v_mov_b32_e32 v106, 0
	v_mov_b32_e32 v107, 0
	v_cmp_gt_u32_e64 s21, 32, v156
	s_delay_alu instid0(VALU_DEP_3)
	v_mov_b32_e32 v104, v106
	s_mov_b32 s20, exec_lo
	s_waitcnt lgkmcnt(0)
	s_waitcnt_vscnt null, 0x0
	v_mov_b32_e32 v105, v107
	s_barrier
	buffer_gl0_inv
	v_cmpx_lt_u32_e32 31, v156
	s_cbranch_execz .LBB187_43
; %bb.42:
	v_lshl_add_u32 v0, v120, 4, -16
	v_dual_mov_b32 v4, v108 :: v_dual_mov_b32 v5, v109
	s_getpc_b64 s[0:1]
	s_add_u32 s0, s0, _ZZZZN2at6native31launch_logcumsumexp_cuda_kernelERKNS_10TensorBaseES3_lENKUlvE_clEvENKUlvE1_clEvENKUlN3c107complexIdEES8_E_clES8_S8_@rel32@lo+4
	s_addc_u32 s1, s1, _ZZZZN2at6native31launch_logcumsumexp_cuda_kernelERKNS_10TensorBaseES3_lENKUlvE_clEvENKUlvE1_clEvENKUlN3c107complexIdEES8_E_clES8_S8_@rel32@hi+12
	v_mov_b32_e32 v7, v111
	ds_load_b128 v[104:107], v0
	s_waitcnt lgkmcnt(0)
	v_dual_mov_b32 v6, v110 :: v_dual_mov_b32 v1, v105
	v_dual_mov_b32 v0, v104 :: v_dual_mov_b32 v3, v107
	v_mov_b32_e32 v2, v106
	s_swappc_b64 s[30:31], s[0:1]
	s_delay_alu instid0(VALU_DEP_2) | instskip(NEXT) | instid1(VALU_DEP_2)
	v_dual_mov_b32 v108, v0 :: v_dual_mov_b32 v109, v1
	v_dual_mov_b32 v110, v2 :: v_dual_mov_b32 v111, v3
.LBB187_43:
	s_or_b32 exec_lo, exec_lo, s20
	v_add_nc_u32_e32 v0, -1, v126
	v_cmp_eq_u32_e64 s20, 0, v126
	s_delay_alu instid0(VALU_DEP_2) | instskip(SKIP_1) | instid1(VALU_DEP_1)
	v_cmp_gt_i32_e32 vcc_lo, 0, v0
	v_cndmask_b32_e32 v0, v0, v126, vcc_lo
	v_lshlrev_b32_e32 v0, 2, v0
	ds_bpermute_b32 v127, v0, v108
	ds_bpermute_b32 v136, v0, v109
	ds_bpermute_b32 v138, v0, v110
	ds_bpermute_b32 v137, v0, v111
	s_and_saveexec_b32 s36, s21
	s_cbranch_execz .LBB187_82
; %bb.44:
	v_mov_b32_e32 v1, 0
	ds_load_b128 v[108:111], v1 offset:112
	s_and_saveexec_b32 s0, s20
	s_cbranch_execz .LBB187_46
; %bb.45:
	s_add_i32 s2, s17, 32
	s_mov_b32 s3, 0
	v_mov_b32_e32 v0, s2
	s_lshl_b64 s[4:5], s[2:3], 4
	v_mov_b32_e32 v2, 1
	s_add_u32 s2, s44, s4
	s_addc_u32 s3, s45, s5
	s_waitcnt lgkmcnt(0)
	global_store_b128 v1, v[108:111], s[2:3]
	s_waitcnt_vscnt null, 0x0
	buffer_gl1_inv
	buffer_gl0_inv
	global_store_b8 v0, v2, s[28:29]
.LBB187_46:
	s_or_b32 exec_lo, exec_lo, s0
	v_xad_u32 v124, v126, -1, s17
	s_mov_b32 s1, 0
	s_mov_b32 s0, exec_lo
	s_delay_alu instid0(VALU_DEP_1)
	v_add_nc_u32_e32 v0, 32, v124
	global_load_u8 v139, v0, s[28:29] glc
	s_waitcnt vmcnt(0)
	v_cmpx_eq_u16_e64 0, v139
	s_cbranch_execz .LBB187_50
; %bb.47:
	v_add_co_u32 v2, s2, s28, v0
	s_delay_alu instid0(VALU_DEP_1)
	v_add_co_ci_u32_e64 v3, null, s29, 0, s2
.LBB187_48:                             ; =>This Inner Loop Header: Depth=1
	global_load_u8 v139, v[2:3], off glc
	s_waitcnt vmcnt(0)
	v_cmp_ne_u16_e64 vcc_lo, 0, v139
	s_delay_alu instid0(VALU_DEP_1) | instskip(NEXT) | instid1(SALU_CYCLE_1)
	s_or_b32 s1, vcc_lo, s1
	s_and_not1_b32 exec_lo, exec_lo, s1
	s_cbranch_execnz .LBB187_48
; %bb.49:
	s_or_b32 exec_lo, exec_lo, s1
.LBB187_50:
	s_delay_alu instid0(SALU_CYCLE_1)
	s_or_b32 exec_lo, exec_lo, s0
	v_dual_mov_b32 v2, s45 :: v_dual_mov_b32 v3, s44
	v_cmp_eq_u16_e64 vcc_lo, 1, v139
	v_lshlrev_b64 v[0:1], 4, v[0:1]
	s_waitcnt lgkmcnt(0)
	s_waitcnt_vscnt null, 0x0
	buffer_gl1_inv
	buffer_gl0_inv
	v_lshlrev_b32_e64 v141, v126, -1
	s_mov_b32 s21, exec_lo
	v_cndmask_b32_e32 v3, s46, v3, vcc_lo
	v_cndmask_b32_e32 v2, s47, v2, vcc_lo
	s_delay_alu instid0(VALU_DEP_2) | instskip(NEXT) | instid1(VALU_DEP_2)
	v_add_co_u32 v0, vcc_lo, v3, v0
	v_add_co_ci_u32_e32 v1, vcc_lo, v2, v1, vcc_lo
	v_cmp_ne_u32_e32 vcc_lo, 31, v126
	global_load_b128 v[4:7], v[0:1], off
	v_add_co_ci_u32_e32 v0, vcc_lo, 0, v126, vcc_lo
	v_cmp_eq_u16_e64 vcc_lo, 2, v139
	s_delay_alu instid0(VALU_DEP_2) | instskip(NEXT) | instid1(VALU_DEP_2)
	v_lshlrev_b32_e32 v140, 2, v0
	v_and_or_b32 v8, vcc_lo, v141, 0x80000000
	s_delay_alu instid0(VALU_DEP_1)
	v_ctz_i32_b32_e32 v120, v8
	s_waitcnt vmcnt(0)
	ds_bpermute_b32 v0, v140, v4
	ds_bpermute_b32 v1, v140, v5
	;; [unrolled: 1-line block ×4, first 2 shown]
	v_cmpx_lt_u32_e64 v126, v120
	s_cbranch_execz .LBB187_52
; %bb.51:
	s_getpc_b64 s[0:1]
	s_add_u32 s0, s0, _ZZZZN2at6native31launch_logcumsumexp_cuda_kernelERKNS_10TensorBaseES3_lENKUlvE_clEvENKUlvE1_clEvENKUlN3c107complexIdEES8_E_clES8_S8_@rel32@lo+4
	s_addc_u32 s1, s1, _ZZZZN2at6native31launch_logcumsumexp_cuda_kernelERKNS_10TensorBaseES3_lENKUlvE_clEvENKUlvE1_clEvENKUlN3c107complexIdEES8_E_clES8_S8_@rel32@hi+12
	s_delay_alu instid0(SALU_CYCLE_1)
	s_swappc_b64 s[30:31], s[0:1]
	v_dual_mov_b32 v4, v0 :: v_dual_mov_b32 v5, v1
	v_dual_mov_b32 v6, v2 :: v_dual_mov_b32 v7, v3
.LBB187_52:
	s_or_b32 exec_lo, exec_lo, s21
	v_cmp_gt_u32_e32 vcc_lo, 30, v126
	v_add_nc_u32_e32 v143, 2, v126
	s_mov_b32 s21, exec_lo
	s_waitcnt lgkmcnt(3)
	v_cndmask_b32_e64 v0, 0, 1, vcc_lo
	s_delay_alu instid0(VALU_DEP_1) | instskip(NEXT) | instid1(VALU_DEP_1)
	v_lshlrev_b32_e32 v0, 1, v0
	v_add_lshl_u32 v142, v0, v126, 2
	ds_bpermute_b32 v0, v142, v4
	s_waitcnt lgkmcnt(3)
	ds_bpermute_b32 v1, v142, v5
	s_waitcnt lgkmcnt(3)
	ds_bpermute_b32 v2, v142, v6
	s_waitcnt lgkmcnt(3)
	ds_bpermute_b32 v3, v142, v7
	v_cmpx_le_u32_e64 v143, v120
	s_cbranch_execz .LBB187_54
; %bb.53:
	s_getpc_b64 s[0:1]
	s_add_u32 s0, s0, _ZZZZN2at6native31launch_logcumsumexp_cuda_kernelERKNS_10TensorBaseES3_lENKUlvE_clEvENKUlvE1_clEvENKUlN3c107complexIdEES8_E_clES8_S8_@rel32@lo+4
	s_addc_u32 s1, s1, _ZZZZN2at6native31launch_logcumsumexp_cuda_kernelERKNS_10TensorBaseES3_lENKUlvE_clEvENKUlvE1_clEvENKUlN3c107complexIdEES8_E_clES8_S8_@rel32@hi+12
	s_delay_alu instid0(SALU_CYCLE_1)
	s_swappc_b64 s[30:31], s[0:1]
	v_dual_mov_b32 v4, v0 :: v_dual_mov_b32 v5, v1
	v_dual_mov_b32 v6, v2 :: v_dual_mov_b32 v7, v3
.LBB187_54:
	s_or_b32 exec_lo, exec_lo, s21
	v_cmp_gt_u32_e32 vcc_lo, 28, v126
	v_add_nc_u32_e32 v145, 4, v126
	s_mov_b32 s21, exec_lo
	s_waitcnt lgkmcnt(3)
	v_cndmask_b32_e64 v0, 0, 1, vcc_lo
	s_delay_alu instid0(VALU_DEP_1) | instskip(NEXT) | instid1(VALU_DEP_1)
	v_lshlrev_b32_e32 v0, 2, v0
	v_add_lshl_u32 v144, v0, v126, 2
	ds_bpermute_b32 v0, v144, v4
	s_waitcnt lgkmcnt(3)
	ds_bpermute_b32 v1, v144, v5
	s_waitcnt lgkmcnt(3)
	ds_bpermute_b32 v2, v144, v6
	s_waitcnt lgkmcnt(3)
	ds_bpermute_b32 v3, v144, v7
	v_cmpx_le_u32_e64 v145, v120
	;; [unrolled: 27-line block ×4, first 2 shown]
	s_cbranch_execz .LBB187_60
; %bb.59:
	s_getpc_b64 s[0:1]
	s_add_u32 s0, s0, _ZZZZN2at6native31launch_logcumsumexp_cuda_kernelERKNS_10TensorBaseES3_lENKUlvE_clEvENKUlvE1_clEvENKUlN3c107complexIdEES8_E_clES8_S8_@rel32@lo+4
	s_addc_u32 s1, s1, _ZZZZN2at6native31launch_logcumsumexp_cuda_kernelERKNS_10TensorBaseES3_lENKUlvE_clEvENKUlvE1_clEvENKUlN3c107complexIdEES8_E_clES8_S8_@rel32@hi+12
	s_delay_alu instid0(SALU_CYCLE_1)
	s_swappc_b64 s[30:31], s[0:1]
	v_dual_mov_b32 v4, v0 :: v_dual_mov_b32 v5, v1
	v_dual_mov_b32 v6, v2 :: v_dual_mov_b32 v7, v3
.LBB187_60:
	s_or_b32 exec_lo, exec_lo, s21
	v_mov_b32_e32 v125, 0
	s_branch .LBB187_62
.LBB187_61:                             ;   in Loop: Header=BB187_62 Depth=1
	s_or_b32 exec_lo, exec_lo, s21
	s_waitcnt lgkmcnt(2)
	v_dual_mov_b32 v0, v4 :: v_dual_mov_b32 v1, v5
	s_waitcnt lgkmcnt(0)
	v_dual_mov_b32 v2, v6 :: v_dual_mov_b32 v3, v7
	v_dual_mov_b32 v4, v120 :: v_dual_mov_b32 v5, v121
	v_dual_mov_b32 v6, v122 :: v_dual_mov_b32 v7, v123
	v_subrev_nc_u32_e32 v124, 32, v124
	s_getpc_b64 s[0:1]
	s_add_u32 s0, s0, _ZZZZN2at6native31launch_logcumsumexp_cuda_kernelERKNS_10TensorBaseES3_lENKUlvE_clEvENKUlvE1_clEvENKUlN3c107complexIdEES8_E_clES8_S8_@rel32@lo+4
	s_addc_u32 s1, s1, _ZZZZN2at6native31launch_logcumsumexp_cuda_kernelERKNS_10TensorBaseES3_lENKUlvE_clEvENKUlvE1_clEvENKUlN3c107complexIdEES8_E_clES8_S8_@rel32@hi+12
	s_delay_alu instid0(SALU_CYCLE_1)
	s_swappc_b64 s[30:31], s[0:1]
	v_dual_mov_b32 v4, v0 :: v_dual_mov_b32 v5, v1
	v_dual_mov_b32 v6, v2 :: v_dual_mov_b32 v7, v3
.LBB187_62:                             ; =>This Loop Header: Depth=1
                                        ;     Child Loop BB187_65 Depth 2
	s_waitcnt lgkmcnt(3)
	s_delay_alu instid0(VALU_DEP_1) | instskip(NEXT) | instid1(VALU_DEP_2)
	v_dual_mov_b32 v123, v7 :: v_dual_and_b32 v0, 0xff, v139
	v_dual_mov_b32 v122, v6 :: v_dual_mov_b32 v121, v5
	v_mov_b32_e32 v120, v4
	s_delay_alu instid0(VALU_DEP_3) | instskip(SKIP_2) | instid1(VALU_DEP_1)
	v_cmp_ne_u16_e32 vcc_lo, 2, v0
	v_cndmask_b32_e64 v0, 0, 1, vcc_lo
	;;#ASMSTART
	;;#ASMEND
	v_cmp_ne_u32_e32 vcc_lo, 0, v0
	s_cmp_lg_u32 vcc_lo, exec_lo
	s_cbranch_scc1 .LBB187_77
; %bb.63:                               ;   in Loop: Header=BB187_62 Depth=1
	global_load_u8 v139, v124, s[28:29] glc
	s_mov_b32 s0, exec_lo
	s_waitcnt vmcnt(0)
	v_cmpx_eq_u16_e64 0, v139
	s_cbranch_execz .LBB187_67
; %bb.64:                               ;   in Loop: Header=BB187_62 Depth=1
	v_add_co_u32 v0, s1, s28, v124
	s_waitcnt lgkmcnt(2)
	v_add_co_ci_u32_e64 v1, null, s29, 0, s1
	s_mov_b32 s1, 0
.LBB187_65:                             ;   Parent Loop BB187_62 Depth=1
                                        ; =>  This Inner Loop Header: Depth=2
	global_load_u8 v139, v[0:1], off glc
	s_waitcnt vmcnt(0)
	v_cmp_ne_u16_e64 vcc_lo, 0, v139
	s_delay_alu instid0(VALU_DEP_1) | instskip(NEXT) | instid1(SALU_CYCLE_1)
	s_or_b32 s1, vcc_lo, s1
	s_and_not1_b32 exec_lo, exec_lo, s1
	s_cbranch_execnz .LBB187_65
; %bb.66:                               ;   in Loop: Header=BB187_62 Depth=1
	s_or_b32 exec_lo, exec_lo, s1
.LBB187_67:                             ;   in Loop: Header=BB187_62 Depth=1
	s_delay_alu instid0(SALU_CYCLE_1)
	s_or_b32 exec_lo, exec_lo, s0
	s_waitcnt lgkmcnt(0)
	v_dual_mov_b32 v2, s45 :: v_dual_mov_b32 v3, s44
	v_cmp_eq_u16_e64 vcc_lo, 1, v139
	v_lshlrev_b64 v[0:1], 4, v[124:125]
	s_waitcnt_vscnt null, 0x0
	buffer_gl1_inv
	buffer_gl0_inv
	s_mov_b32 s21, exec_lo
	v_cndmask_b32_e32 v3, s46, v3, vcc_lo
	v_cndmask_b32_e32 v2, s47, v2, vcc_lo
	s_delay_alu instid0(VALU_DEP_2) | instskip(NEXT) | instid1(VALU_DEP_2)
	v_add_co_u32 v0, vcc_lo, v3, v0
	v_add_co_ci_u32_e32 v1, vcc_lo, v2, v1, vcc_lo
	v_cmp_eq_u16_e64 vcc_lo, 2, v139
	global_load_b128 v[4:7], v[0:1], off
	v_and_or_b32 v8, vcc_lo, v141, 0x80000000
	s_delay_alu instid0(VALU_DEP_1)
	v_ctz_i32_b32_e32 v150, v8
	s_waitcnt vmcnt(0)
	ds_bpermute_b32 v0, v140, v4
	ds_bpermute_b32 v1, v140, v5
	;; [unrolled: 1-line block ×4, first 2 shown]
	v_cmpx_lt_u32_e64 v126, v150
	s_cbranch_execz .LBB187_69
; %bb.68:                               ;   in Loop: Header=BB187_62 Depth=1
	s_getpc_b64 s[0:1]
	s_add_u32 s0, s0, _ZZZZN2at6native31launch_logcumsumexp_cuda_kernelERKNS_10TensorBaseES3_lENKUlvE_clEvENKUlvE1_clEvENKUlN3c107complexIdEES8_E_clES8_S8_@rel32@lo+4
	s_addc_u32 s1, s1, _ZZZZN2at6native31launch_logcumsumexp_cuda_kernelERKNS_10TensorBaseES3_lENKUlvE_clEvENKUlvE1_clEvENKUlN3c107complexIdEES8_E_clES8_S8_@rel32@hi+12
	s_delay_alu instid0(SALU_CYCLE_1)
	s_swappc_b64 s[30:31], s[0:1]
	v_dual_mov_b32 v4, v0 :: v_dual_mov_b32 v5, v1
	v_dual_mov_b32 v6, v2 :: v_dual_mov_b32 v7, v3
.LBB187_69:                             ;   in Loop: Header=BB187_62 Depth=1
	s_or_b32 exec_lo, exec_lo, s21
	s_waitcnt lgkmcnt(3)
	ds_bpermute_b32 v0, v142, v4
	s_waitcnt lgkmcnt(3)
	ds_bpermute_b32 v1, v142, v5
	s_waitcnt lgkmcnt(3)
	ds_bpermute_b32 v2, v142, v6
	s_waitcnt lgkmcnt(3)
	ds_bpermute_b32 v3, v142, v7
	s_mov_b32 s21, exec_lo
	v_cmpx_le_u32_e64 v143, v150
	s_cbranch_execz .LBB187_71
; %bb.70:                               ;   in Loop: Header=BB187_62 Depth=1
	s_getpc_b64 s[0:1]
	s_add_u32 s0, s0, _ZZZZN2at6native31launch_logcumsumexp_cuda_kernelERKNS_10TensorBaseES3_lENKUlvE_clEvENKUlvE1_clEvENKUlN3c107complexIdEES8_E_clES8_S8_@rel32@lo+4
	s_addc_u32 s1, s1, _ZZZZN2at6native31launch_logcumsumexp_cuda_kernelERKNS_10TensorBaseES3_lENKUlvE_clEvENKUlvE1_clEvENKUlN3c107complexIdEES8_E_clES8_S8_@rel32@hi+12
	s_delay_alu instid0(SALU_CYCLE_1)
	s_swappc_b64 s[30:31], s[0:1]
	v_dual_mov_b32 v4, v0 :: v_dual_mov_b32 v5, v1
	v_dual_mov_b32 v6, v2 :: v_dual_mov_b32 v7, v3
.LBB187_71:                             ;   in Loop: Header=BB187_62 Depth=1
	s_or_b32 exec_lo, exec_lo, s21
	s_waitcnt lgkmcnt(3)
	ds_bpermute_b32 v0, v144, v4
	s_waitcnt lgkmcnt(3)
	ds_bpermute_b32 v1, v144, v5
	s_waitcnt lgkmcnt(3)
	ds_bpermute_b32 v2, v144, v6
	s_waitcnt lgkmcnt(3)
	ds_bpermute_b32 v3, v144, v7
	s_mov_b32 s21, exec_lo
	v_cmpx_le_u32_e64 v145, v150
	;; [unrolled: 21-line block ×4, first 2 shown]
	s_cbranch_execz .LBB187_61
; %bb.76:                               ;   in Loop: Header=BB187_62 Depth=1
	s_getpc_b64 s[0:1]
	s_add_u32 s0, s0, _ZZZZN2at6native31launch_logcumsumexp_cuda_kernelERKNS_10TensorBaseES3_lENKUlvE_clEvENKUlvE1_clEvENKUlN3c107complexIdEES8_E_clES8_S8_@rel32@lo+4
	s_addc_u32 s1, s1, _ZZZZN2at6native31launch_logcumsumexp_cuda_kernelERKNS_10TensorBaseES3_lENKUlvE_clEvENKUlvE1_clEvENKUlN3c107complexIdEES8_E_clES8_S8_@rel32@hi+12
	s_delay_alu instid0(SALU_CYCLE_1)
	s_swappc_b64 s[30:31], s[0:1]
	v_dual_mov_b32 v4, v0 :: v_dual_mov_b32 v5, v1
	v_dual_mov_b32 v6, v2 :: v_dual_mov_b32 v7, v3
	s_branch .LBB187_61
.LBB187_77:                             ;   in Loop: Header=BB187_62 Depth=1
                                        ; implicit-def: $vgpr6_vgpr7
                                        ; implicit-def: $vgpr139
	s_cbranch_execz .LBB187_62
; %bb.78:
	s_and_saveexec_b32 s21, s20
	s_cbranch_execz .LBB187_80
; %bb.79:
	s_waitcnt lgkmcnt(2)
	v_dual_mov_b32 v0, v120 :: v_dual_mov_b32 v1, v121
	s_waitcnt lgkmcnt(0)
	v_dual_mov_b32 v2, v122 :: v_dual_mov_b32 v3, v123
	v_dual_mov_b32 v4, v108 :: v_dual_mov_b32 v5, v109
	;; [unrolled: 1-line block ×3, first 2 shown]
	s_getpc_b64 s[0:1]
	s_add_u32 s0, s0, _ZZZZN2at6native31launch_logcumsumexp_cuda_kernelERKNS_10TensorBaseES3_lENKUlvE_clEvENKUlvE1_clEvENKUlN3c107complexIdEES8_E_clES8_S8_@rel32@lo+4
	s_addc_u32 s1, s1, _ZZZZN2at6native31launch_logcumsumexp_cuda_kernelERKNS_10TensorBaseES3_lENKUlvE_clEvENKUlvE1_clEvENKUlN3c107complexIdEES8_E_clES8_S8_@rel32@hi+12
	s_delay_alu instid0(SALU_CYCLE_1)
	s_swappc_b64 s[30:31], s[0:1]
	s_add_i32 s0, s17, 32
	s_mov_b32 s1, 0
	v_dual_mov_b32 v4, 0 :: v_dual_mov_b32 v5, s0
	s_lshl_b64 s[2:3], s[0:1], 4
	v_mov_b32_e32 v6, 2
	s_add_u32 s2, s46, s2
	s_addc_u32 s3, s47, s3
	global_store_b128 v4, v[0:3], s[2:3]
	s_waitcnt_vscnt null, 0x0
	buffer_gl1_inv
	buffer_gl0_inv
	global_store_b8 v5, v6, s[28:29]
.LBB187_80:
	s_or_b32 exec_lo, exec_lo, s21
	v_cmp_eq_u32_e32 vcc_lo, 0, v156
	s_and_b32 exec_lo, exec_lo, vcc_lo
	s_cbranch_execz .LBB187_82
; %bb.81:
	v_mov_b32_e32 v0, 0
	ds_store_b128 v0, v[120:123] offset:112
.LBB187_82:
	s_or_b32 exec_lo, exec_lo, s36
	v_mov_b32_e32 v0, 0
	v_mov_b32_e32 v6, v42
	s_waitcnt lgkmcnt(0)
	s_waitcnt_vscnt null, 0x0
	s_barrier
	buffer_gl0_inv
	v_mov_b32_e32 v7, v43
	ds_load_b128 v[108:111], v0 offset:112
	v_dual_mov_b32 v4, v40 :: v_dual_mov_b32 v5, v41
	s_mov_b32 s17, 0
	s_mov_b32 s21, exec_lo
	v_cmpx_ne_u32_e32 0, v156
	s_cbranch_execz .LBB187_84
; %bb.83:
	v_cndmask_b32_e64 v2, v138, v106, s20
	v_cndmask_b32_e64 v0, v127, v104, s20
	;; [unrolled: 1-line block ×4, first 2 shown]
	v_dual_mov_b32 v4, v40 :: v_dual_mov_b32 v5, v41
	v_dual_mov_b32 v6, v42 :: v_dual_mov_b32 v7, v43
	s_getpc_b64 s[0:1]
	s_add_u32 s0, s0, _ZZZZN2at6native31launch_logcumsumexp_cuda_kernelERKNS_10TensorBaseES3_lENKUlvE_clEvENKUlvE1_clEvENKUlN3c107complexIdEES8_E_clES8_S8_@rel32@lo+4
	s_addc_u32 s1, s1, _ZZZZN2at6native31launch_logcumsumexp_cuda_kernelERKNS_10TensorBaseES3_lENKUlvE_clEvENKUlvE1_clEvENKUlN3c107complexIdEES8_E_clES8_S8_@rel32@hi+12
	s_delay_alu instid0(SALU_CYCLE_1)
	s_swappc_b64 s[30:31], s[0:1]
	v_dual_mov_b32 v4, v0 :: v_dual_mov_b32 v5, v1
	v_dual_mov_b32 v6, v2 :: v_dual_mov_b32 v7, v3
.LBB187_84:
	s_or_b32 exec_lo, exec_lo, s21
	s_waitcnt lgkmcnt(0)
	v_dual_mov_b32 v0, v108 :: v_dual_mov_b32 v1, v109
	v_dual_mov_b32 v2, v110 :: v_dual_mov_b32 v3, v111
	s_getpc_b64 s[20:21]
	s_add_u32 s20, s20, _ZZZZN2at6native31launch_logcumsumexp_cuda_kernelERKNS_10TensorBaseES3_lENKUlvE_clEvENKUlvE1_clEvENKUlN3c107complexIdEES8_E_clES8_S8_@rel32@lo+4
	s_addc_u32 s21, s21, _ZZZZN2at6native31launch_logcumsumexp_cuda_kernelERKNS_10TensorBaseES3_lENKUlvE_clEvENKUlvE1_clEvENKUlN3c107complexIdEES8_E_clES8_S8_@rel32@hi+12
	s_delay_alu instid0(SALU_CYCLE_1)
	s_swappc_b64 s[30:31], s[20:21]
	v_dual_mov_b32 v4, v92 :: v_dual_mov_b32 v5, v93
	v_dual_mov_b32 v6, v94 :: v_dual_mov_b32 v7, v95
	v_dual_mov_b32 v148, v0 :: v_dual_mov_b32 v149, v1
	v_dual_mov_b32 v150, v2 :: v_dual_mov_b32 v151, v3
	s_swappc_b64 s[30:31], s[20:21]
	v_dual_mov_b32 v4, v88 :: v_dual_mov_b32 v5, v89
	v_dual_mov_b32 v6, v90 :: v_dual_mov_b32 v7, v91
	v_dual_mov_b32 v104, v0 :: v_dual_mov_b32 v105, v1
	v_dual_mov_b32 v106, v2 :: v_dual_mov_b32 v107, v3
	;; [unrolled: 5-line block ×7, first 2 shown]
	s_swappc_b64 s[30:31], s[20:21]
	v_dual_mov_b32 v144, v0 :: v_dual_mov_b32 v145, v1
	v_dual_mov_b32 v146, v2 :: v_dual_mov_b32 v147, v3
	s_load_b256 s[36:43], s[18:19], 0x58
	s_and_b32 vcc_lo, exec_lo, s17
	s_cbranch_vccnz .LBB187_86
	s_branch .LBB187_115
.LBB187_85:
                                        ; implicit-def: $vgpr148_vgpr149
                                        ; implicit-def: $vgpr104_vgpr105
                                        ; implicit-def: $vgpr108_vgpr109
                                        ; implicit-def: $vgpr120_vgpr121
                                        ; implicit-def: $vgpr124_vgpr125
                                        ; implicit-def: $vgpr136_vgpr137
                                        ; implicit-def: $vgpr140_vgpr141
                                        ; implicit-def: $vgpr144_vgpr145
	s_load_b256 s[36:43], s[18:19], 0x58
	s_cbranch_execz .LBB187_115
.LBB187_86:
	v_cmp_eq_u32_e32 vcc_lo, 0, v156
	s_waitcnt lgkmcnt(0)
	s_cmp_lg_u64 s[40:41], 0
	v_cmp_ne_u32_e64 s17, 0, v156
	s_cselect_b32 s0, -1, 0
	s_delay_alu instid0(SALU_CYCLE_1) | instskip(NEXT) | instid1(SALU_CYCLE_1)
	s_and_b32 s0, vcc_lo, s0
	s_and_saveexec_b32 s18, s0
	s_cbranch_execz .LBB187_88
; %bb.87:
	v_dual_mov_b32 v0, 0 :: v_dual_mov_b32 v5, v41
	v_dual_mov_b32 v4, v40 :: v_dual_mov_b32 v7, v43
	v_mov_b32_e32 v6, v42
	global_load_b128 v[0:3], v0, s[36:37]
	s_getpc_b64 s[0:1]
	s_add_u32 s0, s0, _ZZZZN2at6native31launch_logcumsumexp_cuda_kernelERKNS_10TensorBaseES3_lENKUlvE_clEvENKUlvE1_clEvENKUlN3c107complexIdEES8_E_clES8_S8_@rel32@lo+4
	s_addc_u32 s1, s1, _ZZZZN2at6native31launch_logcumsumexp_cuda_kernelERKNS_10TensorBaseES3_lENKUlvE_clEvENKUlvE1_clEvENKUlN3c107complexIdEES8_E_clES8_S8_@rel32@hi+12
	s_delay_alu instid0(SALU_CYCLE_1)
	s_swappc_b64 s[30:31], s[0:1]
	v_dual_mov_b32 v40, v0 :: v_dual_mov_b32 v41, v1
	v_dual_mov_b32 v42, v2 :: v_dual_mov_b32 v43, v3
.LBB187_88:
	s_or_b32 exec_lo, exec_lo, s18
	s_delay_alu instid0(VALU_DEP_2) | instskip(NEXT) | instid1(VALU_DEP_2)
	v_dual_mov_b32 v0, v40 :: v_dual_mov_b32 v1, v41
	v_dual_mov_b32 v2, v42 :: v_dual_mov_b32 v3, v43
	;; [unrolled: 1-line block ×4, first 2 shown]
	s_getpc_b64 s[18:19]
	s_add_u32 s18, s18, _ZZZZN2at6native31launch_logcumsumexp_cuda_kernelERKNS_10TensorBaseES3_lENKUlvE_clEvENKUlvE1_clEvENKUlN3c107complexIdEES8_E_clES8_S8_@rel32@lo+4
	s_addc_u32 s19, s19, _ZZZZN2at6native31launch_logcumsumexp_cuda_kernelERKNS_10TensorBaseES3_lENKUlvE_clEvENKUlvE1_clEvENKUlN3c107complexIdEES8_E_clES8_S8_@rel32@hi+12
	s_delay_alu instid0(SALU_CYCLE_1)
	s_swappc_b64 s[30:31], s[18:19]
	v_dual_mov_b32 v4, v88 :: v_dual_mov_b32 v5, v89
	v_dual_mov_b32 v6, v90 :: v_dual_mov_b32 v7, v91
	v_dual_mov_b32 v104, v0 :: v_dual_mov_b32 v105, v1
	v_dual_mov_b32 v106, v2 :: v_dual_mov_b32 v107, v3
	s_swappc_b64 s[30:31], s[18:19]
	v_dual_mov_b32 v4, v76 :: v_dual_mov_b32 v5, v77
	v_dual_mov_b32 v6, v78 :: v_dual_mov_b32 v7, v79
	v_dual_mov_b32 v108, v0 :: v_dual_mov_b32 v109, v1
	v_dual_mov_b32 v110, v2 :: v_dual_mov_b32 v111, v3
	;; [unrolled: 5-line block ×6, first 2 shown]
	s_swappc_b64 s[30:31], s[18:19]
	v_dual_mov_b32 v146, v2 :: v_dual_mov_b32 v147, v3
	v_mbcnt_lo_u32_b32 v166, -1, 0
	v_dual_mov_b32 v144, v0 :: v_dual_mov_b32 v145, v1
	s_delay_alu instid0(VALU_DEP_3) | instskip(NEXT) | instid1(VALU_DEP_3)
	v_mov_b32_dpp v6, v146 row_shr:1 row_mask:0xf bank_mask:0xf
	v_dual_mov_b32 v151, v147 :: v_dual_and_b32 v152, 15, v166
	s_delay_alu instid0(VALU_DEP_3) | instskip(NEXT) | instid1(VALU_DEP_4)
	v_dual_mov_b32 v150, v146 :: v_dual_mov_b32 v149, v145
	v_mov_b32_dpp v4, v144 row_shr:1 row_mask:0xf bank_mask:0xf
	v_mov_b32_dpp v5, v145 row_shr:1 row_mask:0xf bank_mask:0xf
	;; [unrolled: 1-line block ×3, first 2 shown]
	v_mov_b32_e32 v148, v144
	s_mov_b32 s20, exec_lo
	v_cmpx_ne_u32_e32 0, v152
	s_cbranch_execz .LBB187_90
; %bb.89:
	v_dual_mov_b32 v0, v4 :: v_dual_mov_b32 v1, v5
	v_dual_mov_b32 v2, v6 :: v_dual_mov_b32 v3, v7
	v_dual_mov_b32 v4, v144 :: v_dual_mov_b32 v5, v145
	v_dual_mov_b32 v6, v146 :: v_dual_mov_b32 v7, v147
	s_swappc_b64 s[30:31], s[18:19]
	v_dual_mov_b32 v148, v0 :: v_dual_mov_b32 v149, v1
	v_dual_mov_b32 v150, v2 :: v_dual_mov_b32 v151, v3
.LBB187_90:
	s_or_b32 exec_lo, exec_lo, s20
	v_mov_b32_dpp v4, v0 row_shr:2 row_mask:0xf bank_mask:0xf
	v_mov_b32_dpp v5, v1 row_shr:2 row_mask:0xf bank_mask:0xf
	v_mov_b32_dpp v6, v2 row_shr:2 row_mask:0xf bank_mask:0xf
	v_mov_b32_dpp v7, v3 row_shr:2 row_mask:0xf bank_mask:0xf
	s_mov_b32 s18, exec_lo
	v_cmpx_lt_u32_e32 1, v152
	s_cbranch_execz .LBB187_92
; %bb.91:
	v_dual_mov_b32 v0, v4 :: v_dual_mov_b32 v1, v5
	v_dual_mov_b32 v2, v6 :: v_dual_mov_b32 v3, v7
	v_dual_mov_b32 v4, v148 :: v_dual_mov_b32 v5, v149
	v_dual_mov_b32 v6, v150 :: v_dual_mov_b32 v7, v151
	s_getpc_b64 s[0:1]
	s_add_u32 s0, s0, _ZZZZN2at6native31launch_logcumsumexp_cuda_kernelERKNS_10TensorBaseES3_lENKUlvE_clEvENKUlvE1_clEvENKUlN3c107complexIdEES8_E_clES8_S8_@rel32@lo+4
	s_addc_u32 s1, s1, _ZZZZN2at6native31launch_logcumsumexp_cuda_kernelERKNS_10TensorBaseES3_lENKUlvE_clEvENKUlvE1_clEvENKUlN3c107complexIdEES8_E_clES8_S8_@rel32@hi+12
	s_delay_alu instid0(SALU_CYCLE_1)
	s_swappc_b64 s[30:31], s[0:1]
	v_dual_mov_b32 v151, v3 :: v_dual_mov_b32 v150, v2
	v_dual_mov_b32 v149, v1 :: v_dual_mov_b32 v148, v0
.LBB187_92:
	s_or_b32 exec_lo, exec_lo, s18
	v_mov_b32_dpp v4, v0 row_shr:4 row_mask:0xf bank_mask:0xf
	v_mov_b32_dpp v5, v1 row_shr:4 row_mask:0xf bank_mask:0xf
	v_mov_b32_dpp v6, v2 row_shr:4 row_mask:0xf bank_mask:0xf
	v_mov_b32_dpp v7, v3 row_shr:4 row_mask:0xf bank_mask:0xf
	s_mov_b32 s18, exec_lo
	v_cmpx_lt_u32_e32 3, v152
	s_cbranch_execz .LBB187_94
; %bb.93:
	v_dual_mov_b32 v0, v4 :: v_dual_mov_b32 v1, v5
	v_dual_mov_b32 v2, v6 :: v_dual_mov_b32 v3, v7
	v_dual_mov_b32 v4, v148 :: v_dual_mov_b32 v5, v149
	v_dual_mov_b32 v6, v150 :: v_dual_mov_b32 v7, v151
	s_getpc_b64 s[0:1]
	s_add_u32 s0, s0, _ZZZZN2at6native31launch_logcumsumexp_cuda_kernelERKNS_10TensorBaseES3_lENKUlvE_clEvENKUlvE1_clEvENKUlN3c107complexIdEES8_E_clES8_S8_@rel32@lo+4
	s_addc_u32 s1, s1, _ZZZZN2at6native31launch_logcumsumexp_cuda_kernelERKNS_10TensorBaseES3_lENKUlvE_clEvENKUlvE1_clEvENKUlN3c107complexIdEES8_E_clES8_S8_@rel32@hi+12
	s_delay_alu instid0(SALU_CYCLE_1)
	s_swappc_b64 s[30:31], s[0:1]
	v_dual_mov_b32 v151, v3 :: v_dual_mov_b32 v150, v2
	v_dual_mov_b32 v149, v1 :: v_dual_mov_b32 v148, v0
.LBB187_94:
	;; [unrolled: 21-line block ×3, first 2 shown]
	s_or_b32 exec_lo, exec_lo, s18
	ds_swizzle_b32 v0, v0 offset:swizzle(BROADCAST,32,15)
	ds_swizzle_b32 v1, v1 offset:swizzle(BROADCAST,32,15)
	;; [unrolled: 1-line block ×4, first 2 shown]
	v_and_b32_e32 v4, 16, v166
	s_mov_b32 s18, exec_lo
	s_delay_alu instid0(VALU_DEP_1)
	v_cmpx_ne_u32_e32 0, v4
	s_cbranch_execz .LBB187_98
; %bb.97:
	v_dual_mov_b32 v4, v148 :: v_dual_mov_b32 v5, v149
	v_dual_mov_b32 v6, v150 :: v_dual_mov_b32 v7, v151
	s_getpc_b64 s[0:1]
	s_add_u32 s0, s0, _ZZZZN2at6native31launch_logcumsumexp_cuda_kernelERKNS_10TensorBaseES3_lENKUlvE_clEvENKUlvE1_clEvENKUlN3c107complexIdEES8_E_clES8_S8_@rel32@lo+4
	s_addc_u32 s1, s1, _ZZZZN2at6native31launch_logcumsumexp_cuda_kernelERKNS_10TensorBaseES3_lENKUlvE_clEvENKUlvE1_clEvENKUlN3c107complexIdEES8_E_clES8_S8_@rel32@hi+12
	s_delay_alu instid0(SALU_CYCLE_1)
	s_swappc_b64 s[30:31], s[0:1]
	v_dual_mov_b32 v148, v0 :: v_dual_mov_b32 v149, v1
	v_dual_mov_b32 v150, v2 :: v_dual_mov_b32 v151, v3
.LBB187_98:
	s_or_b32 exec_lo, exec_lo, s18
	s_waitcnt lgkmcnt(3)
	v_or_b32_e32 v0, 31, v156
	v_lshrrev_b32_e32 v167, 5, v156
	s_mov_b32 s0, exec_lo
	s_delay_alu instid0(VALU_DEP_2)
	v_cmpx_eq_u32_e64 v0, v156
	s_cbranch_execz .LBB187_100
; %bb.99:
	s_delay_alu instid0(VALU_DEP_2)
	v_lshlrev_b32_e32 v0, 4, v167
	ds_store_b128 v0, v[148:151]
.LBB187_100:
	s_or_b32 exec_lo, exec_lo, s0
	s_delay_alu instid0(SALU_CYCLE_1)
	s_mov_b32 s18, exec_lo
	s_waitcnt lgkmcnt(0)
	s_waitcnt_vscnt null, 0x0
	s_barrier
	buffer_gl0_inv
	v_cmpx_gt_u32_e32 8, v156
	s_cbranch_execz .LBB187_108
; %bb.101:
	ds_load_b128 v[4:7], v165
	v_and_b32_e32 v152, 7, v166
	s_mov_b32 s19, exec_lo
	s_waitcnt lgkmcnt(0)
	v_mov_b32_dpp v0, v4 row_shr:1 row_mask:0xf bank_mask:0xf
	v_mov_b32_dpp v1, v5 row_shr:1 row_mask:0xf bank_mask:0xf
	;; [unrolled: 1-line block ×4, first 2 shown]
	v_cmpx_ne_u32_e32 0, v152
	s_cbranch_execz .LBB187_103
; %bb.102:
	s_getpc_b64 s[0:1]
	s_add_u32 s0, s0, _ZZZZN2at6native31launch_logcumsumexp_cuda_kernelERKNS_10TensorBaseES3_lENKUlvE_clEvENKUlvE1_clEvENKUlN3c107complexIdEES8_E_clES8_S8_@rel32@lo+4
	s_addc_u32 s1, s1, _ZZZZN2at6native31launch_logcumsumexp_cuda_kernelERKNS_10TensorBaseES3_lENKUlvE_clEvENKUlvE1_clEvENKUlN3c107complexIdEES8_E_clES8_S8_@rel32@hi+12
	s_delay_alu instid0(SALU_CYCLE_1)
	s_swappc_b64 s[30:31], s[0:1]
	v_dual_mov_b32 v4, v0 :: v_dual_mov_b32 v5, v1
	v_dual_mov_b32 v6, v2 :: v_dual_mov_b32 v7, v3
.LBB187_103:
	s_or_b32 exec_lo, exec_lo, s19
	s_delay_alu instid0(VALU_DEP_2) | instskip(NEXT) | instid1(VALU_DEP_3)
	v_mov_b32_dpp v0, v4 row_shr:2 row_mask:0xf bank_mask:0xf
	v_mov_b32_dpp v1, v5 row_shr:2 row_mask:0xf bank_mask:0xf
	s_delay_alu instid0(VALU_DEP_3)
	v_mov_b32_dpp v2, v6 row_shr:2 row_mask:0xf bank_mask:0xf
	v_mov_b32_dpp v3, v7 row_shr:2 row_mask:0xf bank_mask:0xf
	s_mov_b32 s19, exec_lo
	v_cmpx_lt_u32_e32 1, v152
	s_cbranch_execz .LBB187_105
; %bb.104:
	s_getpc_b64 s[0:1]
	s_add_u32 s0, s0, _ZZZZN2at6native31launch_logcumsumexp_cuda_kernelERKNS_10TensorBaseES3_lENKUlvE_clEvENKUlvE1_clEvENKUlN3c107complexIdEES8_E_clES8_S8_@rel32@lo+4
	s_addc_u32 s1, s1, _ZZZZN2at6native31launch_logcumsumexp_cuda_kernelERKNS_10TensorBaseES3_lENKUlvE_clEvENKUlvE1_clEvENKUlN3c107complexIdEES8_E_clES8_S8_@rel32@hi+12
	s_delay_alu instid0(SALU_CYCLE_1)
	s_swappc_b64 s[30:31], s[0:1]
	v_dual_mov_b32 v4, v0 :: v_dual_mov_b32 v5, v1
	v_dual_mov_b32 v6, v2 :: v_dual_mov_b32 v7, v3
.LBB187_105:
	s_or_b32 exec_lo, exec_lo, s19
	s_delay_alu instid0(VALU_DEP_2) | instskip(NEXT) | instid1(VALU_DEP_3)
	v_mov_b32_dpp v0, v4 row_shr:4 row_mask:0xf bank_mask:0xf
	v_mov_b32_dpp v1, v5 row_shr:4 row_mask:0xf bank_mask:0xf
	s_delay_alu instid0(VALU_DEP_3)
	v_mov_b32_dpp v2, v6 row_shr:4 row_mask:0xf bank_mask:0xf
	v_mov_b32_dpp v3, v7 row_shr:4 row_mask:0xf bank_mask:0xf
	s_mov_b32 s19, exec_lo
	v_cmpx_lt_u32_e32 3, v152
	s_cbranch_execz .LBB187_107
; %bb.106:
	s_getpc_b64 s[0:1]
	s_add_u32 s0, s0, _ZZZZN2at6native31launch_logcumsumexp_cuda_kernelERKNS_10TensorBaseES3_lENKUlvE_clEvENKUlvE1_clEvENKUlN3c107complexIdEES8_E_clES8_S8_@rel32@lo+4
	s_addc_u32 s1, s1, _ZZZZN2at6native31launch_logcumsumexp_cuda_kernelERKNS_10TensorBaseES3_lENKUlvE_clEvENKUlvE1_clEvENKUlN3c107complexIdEES8_E_clES8_S8_@rel32@hi+12
	s_delay_alu instid0(SALU_CYCLE_1)
	s_swappc_b64 s[30:31], s[0:1]
	v_dual_mov_b32 v4, v0 :: v_dual_mov_b32 v5, v1
	v_dual_mov_b32 v6, v2 :: v_dual_mov_b32 v7, v3
.LBB187_107:
	s_or_b32 exec_lo, exec_lo, s19
	ds_store_b128 v165, v[4:7]
.LBB187_108:
	s_or_b32 exec_lo, exec_lo, s18
	v_mov_b32_e32 v154, 0
	v_mov_b32_e32 v155, 0
	s_delay_alu instid0(VALU_DEP_2)
	v_mov_b32_e32 v152, v154
	s_mov_b32 s18, exec_lo
	s_waitcnt lgkmcnt(0)
	s_waitcnt_vscnt null, 0x0
	s_barrier
	v_mov_b32_e32 v153, v155
	buffer_gl0_inv
	v_cmpx_lt_u32_e32 31, v156
	s_cbranch_execz .LBB187_110
; %bb.109:
	v_lshl_add_u32 v0, v167, 4, -16
	v_dual_mov_b32 v4, v148 :: v_dual_mov_b32 v5, v149
	s_getpc_b64 s[0:1]
	s_add_u32 s0, s0, _ZZZZN2at6native31launch_logcumsumexp_cuda_kernelERKNS_10TensorBaseES3_lENKUlvE_clEvENKUlvE1_clEvENKUlN3c107complexIdEES8_E_clES8_S8_@rel32@lo+4
	s_addc_u32 s1, s1, _ZZZZN2at6native31launch_logcumsumexp_cuda_kernelERKNS_10TensorBaseES3_lENKUlvE_clEvENKUlvE1_clEvENKUlN3c107complexIdEES8_E_clES8_S8_@rel32@hi+12
	v_mov_b32_e32 v7, v151
	ds_load_b128 v[152:155], v0
	s_waitcnt lgkmcnt(0)
	v_dual_mov_b32 v6, v150 :: v_dual_mov_b32 v1, v153
	v_dual_mov_b32 v0, v152 :: v_dual_mov_b32 v3, v155
	v_mov_b32_e32 v2, v154
	s_swappc_b64 s[30:31], s[0:1]
	s_delay_alu instid0(VALU_DEP_2) | instskip(NEXT) | instid1(VALU_DEP_2)
	v_dual_mov_b32 v148, v0 :: v_dual_mov_b32 v149, v1
	v_dual_mov_b32 v150, v2 :: v_dual_mov_b32 v151, v3
.LBB187_110:
	s_or_b32 exec_lo, exec_lo, s18
	v_add_nc_u32_e32 v0, -1, v166
	s_delay_alu instid0(VALU_DEP_1) | instskip(SKIP_1) | instid1(VALU_DEP_1)
	v_cmp_gt_i32_e32 vcc_lo, 0, v0
	v_cndmask_b32_e32 v0, v0, v166, vcc_lo
	v_lshlrev_b32_e32 v3, 2, v0
	ds_bpermute_b32 v0, v3, v148
	ds_bpermute_b32 v1, v3, v149
	;; [unrolled: 1-line block ×4, first 2 shown]
	s_and_saveexec_b32 s20, s17
	s_cbranch_execz .LBB187_112
; %bb.111:
	v_cmp_eq_u32_e32 vcc_lo, 0, v166
	v_dual_mov_b32 v4, v40 :: v_dual_mov_b32 v5, v41
	v_dual_mov_b32 v6, v42 :: v_dual_mov_b32 v7, v43
	s_waitcnt lgkmcnt(2)
	v_dual_cndmask_b32 v0, v0, v152 :: v_dual_cndmask_b32 v1, v1, v153
	s_waitcnt lgkmcnt(0)
	v_dual_cndmask_b32 v2, v2, v154 :: v_dual_cndmask_b32 v3, v3, v155
	s_getpc_b64 s[18:19]
	s_add_u32 s18, s18, _ZZZZN2at6native31launch_logcumsumexp_cuda_kernelERKNS_10TensorBaseES3_lENKUlvE_clEvENKUlvE1_clEvENKUlN3c107complexIdEES8_E_clES8_S8_@rel32@lo+4
	s_addc_u32 s19, s19, _ZZZZN2at6native31launch_logcumsumexp_cuda_kernelERKNS_10TensorBaseES3_lENKUlvE_clEvENKUlvE1_clEvENKUlN3c107complexIdEES8_E_clES8_S8_@rel32@hi+12
	s_delay_alu instid0(SALU_CYCLE_1)
	s_swappc_b64 s[30:31], s[18:19]
	v_dual_mov_b32 v4, v92 :: v_dual_mov_b32 v5, v93
	v_dual_mov_b32 v6, v94 :: v_dual_mov_b32 v7, v95
	;; [unrolled: 1-line block ×4, first 2 shown]
	;;#ASMSTART
	;;#ASMEND
	s_swappc_b64 s[30:31], s[18:19]
	v_dual_mov_b32 v4, v88 :: v_dual_mov_b32 v5, v89
	v_dual_mov_b32 v6, v90 :: v_dual_mov_b32 v7, v91
	v_dual_mov_b32 v104, v0 :: v_dual_mov_b32 v105, v1
	v_dual_mov_b32 v106, v2 :: v_dual_mov_b32 v107, v3
	s_swappc_b64 s[30:31], s[18:19]
	v_dual_mov_b32 v4, v76 :: v_dual_mov_b32 v5, v77
	v_dual_mov_b32 v6, v78 :: v_dual_mov_b32 v7, v79
	v_dual_mov_b32 v108, v0 :: v_dual_mov_b32 v109, v1
	v_dual_mov_b32 v110, v2 :: v_dual_mov_b32 v111, v3
	;; [unrolled: 5-line block ×6, first 2 shown]
	s_swappc_b64 s[30:31], s[18:19]
	v_dual_mov_b32 v144, v0 :: v_dual_mov_b32 v145, v1
	v_dual_mov_b32 v146, v2 :: v_dual_mov_b32 v147, v3
.LBB187_112:
	s_or_b32 exec_lo, exec_lo, s20
	s_delay_alu instid0(SALU_CYCLE_1)
	s_mov_b32 s0, exec_lo
	v_cmpx_eq_u32_e32 0xff, v156
	s_cbranch_execz .LBB187_114
; %bb.113:
	s_waitcnt lgkmcnt(2)
	v_dual_mov_b32 v0, 0 :: v_dual_mov_b32 v1, 2
	global_store_b128 v0, v[144:147], s[46:47] offset:512
	s_waitcnt lgkmcnt(0)
	s_waitcnt_vscnt null, 0x0
	buffer_gl1_inv
	buffer_gl0_inv
	global_store_b8 v0, v1, s[28:29] offset:32
.LBB187_114:
	s_or_b32 exec_lo, exec_lo, s0
	v_dual_mov_b32 v149, v41 :: v_dual_mov_b32 v148, v40
	v_dual_mov_b32 v151, v43 :: v_dual_mov_b32 v150, v42
.LBB187_115:
	s_add_u32 s0, s24, s22
	s_waitcnt lgkmcnt(0)
	v_lshlrev_b32_e32 v1, 7, v156
	v_lshrrev_b32_e32 v0, 5, v156
	s_addc_u32 s1, s25, s23
	s_add_u32 s0, s0, s26
	s_addc_u32 s1, s1, s27
	s_and_b32 vcc_lo, exec_lo, s35
	s_mov_b32 s2, -1
	s_waitcnt_vscnt null, 0x0
	s_barrier
	buffer_gl0_inv
	s_cbranch_vccz .LBB187_117
; %bb.116:
	v_lshl_add_u32 v2, v157, 4, v1
	v_lshrrev_b32_e32 v10, 5, v163
	v_lshrrev_b32_e32 v11, 5, v162
	;; [unrolled: 1-line block ×4, first 2 shown]
	ds_store_b128 v2, v[148:151]
	ds_store_b128 v2, v[104:107] offset:16
	ds_store_b128 v2, v[108:111] offset:32
	;; [unrolled: 1-line block ×7, first 2 shown]
	v_lshrrev_b32_e32 v2, 5, v164
	v_lshrrev_b32_e32 v26, 5, v159
	v_add_lshl_u32 v3, v0, v156, 4
	v_add_lshl_u32 v10, v10, v156, 4
	v_lshrrev_b32_e32 v27, 5, v158
	v_add_lshl_u32 v6, v2, v156, 4
	v_add_lshl_u32 v14, v11, v156, 4
	;; [unrolled: 1-line block ×5, first 2 shown]
	s_waitcnt lgkmcnt(0)
	s_barrier
	buffer_gl0_inv
	ds_load_b128 v[2:5], v3
	ds_load_b128 v[6:9], v6 offset:4096
	ds_load_b128 v[10:13], v10 offset:8192
	;; [unrolled: 1-line block ×5, first 2 shown]
	v_add_lshl_u32 v30, v27, v156, 4
	v_add_co_u32 v38, s2, s0, v165
	ds_load_b128 v[26:29], v26 offset:24576
	ds_load_b128 v[30:33], v30 offset:28672
	v_add_co_ci_u32_e64 v39, null, s1, 0, s2
	v_add_co_u32 v34, vcc_lo, v38, 0x2000
	s_mov_b32 s2, 0
	s_delay_alu instid0(VALU_DEP_2)
	v_add_co_ci_u32_e32 v35, vcc_lo, 0, v39, vcc_lo
	v_add_co_u32 v36, vcc_lo, v38, 0x4000
	v_add_co_ci_u32_e32 v37, vcc_lo, 0, v39, vcc_lo
	s_waitcnt lgkmcnt(5)
	global_store_b128 v[34:35], v[10:13], off
	s_waitcnt lgkmcnt(4)
	global_store_b128 v[36:37], v[14:17], off offset:-4096
	v_add_co_u32 v10, vcc_lo, v38, 0x6000
	v_add_co_ci_u32_e32 v11, vcc_lo, 0, v39, vcc_lo
	v_add_co_u32 v12, vcc_lo, 0x7000, v38
	v_add_co_ci_u32_e32 v13, vcc_lo, 0, v39, vcc_lo
	s_waitcnt lgkmcnt(3)
	global_store_b128 v[36:37], v[18:21], off
	s_waitcnt lgkmcnt(2)
	s_clause 0x1
	global_store_b128 v[10:11], v[22:25], off offset:-4096
	global_store_b128 v165, v[2:5], s[0:1]
	s_waitcnt lgkmcnt(1)
	s_clause 0x1
	global_store_b128 v[10:11], v[26:29], off
	global_store_b128 v[34:35], v[6:9], off offset:-4096
	s_waitcnt lgkmcnt(0)
	global_store_b128 v[12:13], v[30:33], off
.LBB187_117:
	s_and_not1_b32 vcc_lo, exec_lo, s2
	s_cbranch_vccnz .LBB187_127
; %bb.118:
	v_lshrrev_b32_e32 v8, 5, v163
	v_lshl_add_u32 v1, v157, 4, v1
	v_lshrrev_b32_e32 v2, 5, v164
	v_lshrrev_b32_e32 v9, 5, v162
	;; [unrolled: 1-line block ×6, first 2 shown]
	v_add_lshl_u32 v0, v0, v156, 4
	v_add_lshl_u32 v8, v8, v156, 4
	ds_store_b128 v1, v[148:151]
	ds_store_b128 v1, v[104:107] offset:16
	ds_store_b128 v1, v[108:111] offset:32
	;; [unrolled: 1-line block ×7, first 2 shown]
	v_add_lshl_u32 v1, v2, v156, 4
	v_add_lshl_u32 v14, v9, v156, 4
	;; [unrolled: 1-line block ×6, first 2 shown]
	s_waitcnt lgkmcnt(0)
	s_waitcnt_vscnt null, 0x0
	s_barrier
	buffer_gl0_inv
	ds_load_b128 v[4:7], v0
	ds_load_b128 v[0:3], v1 offset:4096
	ds_load_b128 v[8:11], v8 offset:8192
	;; [unrolled: 1-line block ×7, first 2 shown]
	v_add_co_u32 v32, s0, s0, v165
	v_mov_b32_e32 v157, 0
	v_add_co_ci_u32_e64 v33, null, s1, 0, s0
	s_mov_b32 s0, exec_lo
	v_cmpx_gt_u32_e64 s33, v156
	s_cbranch_execnz .LBB187_128
; %bb.119:
	s_or_b32 exec_lo, exec_lo, s0
	s_delay_alu instid0(SALU_CYCLE_1)
	s_mov_b32 s0, exec_lo
	v_cmpx_gt_u32_e64 s33, v164
	s_cbranch_execnz .LBB187_129
.LBB187_120:
	s_or_b32 exec_lo, exec_lo, s0
	s_delay_alu instid0(SALU_CYCLE_1)
	s_mov_b32 s0, exec_lo
	v_cmpx_gt_u32_e64 s33, v163
	s_cbranch_execnz .LBB187_130
.LBB187_121:
	s_or_b32 exec_lo, exec_lo, s0
	s_delay_alu instid0(SALU_CYCLE_1)
	s_mov_b32 s0, exec_lo
	v_cmpx_gt_u32_e64 s33, v162
	s_cbranch_execnz .LBB187_131
.LBB187_122:
	s_or_b32 exec_lo, exec_lo, s0
	s_delay_alu instid0(SALU_CYCLE_1)
	s_mov_b32 s0, exec_lo
	v_cmpx_gt_u32_e64 s33, v161
	s_cbranch_execnz .LBB187_132
.LBB187_123:
	s_or_b32 exec_lo, exec_lo, s0
	s_delay_alu instid0(SALU_CYCLE_1)
	s_mov_b32 s0, exec_lo
	v_cmpx_gt_u32_e64 s33, v160
	s_cbranch_execnz .LBB187_133
.LBB187_124:
	s_or_b32 exec_lo, exec_lo, s0
	s_delay_alu instid0(SALU_CYCLE_1)
	s_mov_b32 s0, exec_lo
	v_cmpx_gt_u32_e64 s33, v159
	s_cbranch_execnz .LBB187_134
.LBB187_125:
	s_or_b32 exec_lo, exec_lo, s0
	s_delay_alu instid0(SALU_CYCLE_1)
	s_mov_b32 s0, exec_lo
	v_cmpx_gt_u32_e64 s33, v158
	s_cbranch_execnz .LBB187_135
.LBB187_126:
	s_or_b32 exec_lo, exec_lo, s0
	v_cmp_lt_u64_e64 s0, s[42:43], 2
	s_delay_alu instid0(VALU_DEP_1)
	s_and_b32 vcc_lo, exec_lo, s0
	s_cbranch_vccz .LBB187_136
.LBB187_127:
	s_nop 0
	s_sendmsg sendmsg(MSG_DEALLOC_VGPRS)
	s_endpgm
.LBB187_128:
	s_waitcnt lgkmcnt(7)
	global_store_b128 v[32:33], v[4:7], off
	s_or_b32 exec_lo, exec_lo, s0
	s_delay_alu instid0(SALU_CYCLE_1)
	s_mov_b32 s0, exec_lo
	v_cmpx_gt_u32_e64 s33, v164
	s_cbranch_execz .LBB187_120
.LBB187_129:
	v_add_co_u32 v34, vcc_lo, 0x1000, v32
	v_add_co_ci_u32_e32 v35, vcc_lo, 0, v33, vcc_lo
	s_waitcnt lgkmcnt(6)
	global_store_b128 v[34:35], v[0:3], off
	s_or_b32 exec_lo, exec_lo, s0
	s_delay_alu instid0(SALU_CYCLE_1)
	s_mov_b32 s0, exec_lo
	v_cmpx_gt_u32_e64 s33, v163
	s_cbranch_execz .LBB187_121
.LBB187_130:
	v_add_co_u32 v34, vcc_lo, 0x2000, v32
	v_add_co_ci_u32_e32 v35, vcc_lo, 0, v33, vcc_lo
	s_waitcnt lgkmcnt(5)
	global_store_b128 v[34:35], v[8:11], off
	s_or_b32 exec_lo, exec_lo, s0
	s_delay_alu instid0(SALU_CYCLE_1)
	s_mov_b32 s0, exec_lo
	v_cmpx_gt_u32_e64 s33, v162
	s_cbranch_execz .LBB187_122
.LBB187_131:
	v_add_co_u32 v34, vcc_lo, 0x3000, v32
	v_add_co_ci_u32_e32 v35, vcc_lo, 0, v33, vcc_lo
	s_waitcnt lgkmcnt(4)
	global_store_b128 v[34:35], v[12:15], off
	s_or_b32 exec_lo, exec_lo, s0
	s_delay_alu instid0(SALU_CYCLE_1)
	s_mov_b32 s0, exec_lo
	v_cmpx_gt_u32_e64 s33, v161
	s_cbranch_execz .LBB187_123
.LBB187_132:
	v_add_co_u32 v34, vcc_lo, 0x4000, v32
	v_add_co_ci_u32_e32 v35, vcc_lo, 0, v33, vcc_lo
	s_waitcnt lgkmcnt(3)
	global_store_b128 v[34:35], v[16:19], off
	s_or_b32 exec_lo, exec_lo, s0
	s_delay_alu instid0(SALU_CYCLE_1)
	s_mov_b32 s0, exec_lo
	v_cmpx_gt_u32_e64 s33, v160
	s_cbranch_execz .LBB187_124
.LBB187_133:
	v_add_co_u32 v34, vcc_lo, 0x5000, v32
	v_add_co_ci_u32_e32 v35, vcc_lo, 0, v33, vcc_lo
	s_waitcnt lgkmcnt(2)
	global_store_b128 v[34:35], v[20:23], off
	s_or_b32 exec_lo, exec_lo, s0
	s_delay_alu instid0(SALU_CYCLE_1)
	s_mov_b32 s0, exec_lo
	v_cmpx_gt_u32_e64 s33, v159
	s_cbranch_execz .LBB187_125
.LBB187_134:
	v_add_co_u32 v34, vcc_lo, 0x6000, v32
	v_add_co_ci_u32_e32 v35, vcc_lo, 0, v33, vcc_lo
	s_waitcnt lgkmcnt(1)
	global_store_b128 v[34:35], v[24:27], off
	s_or_b32 exec_lo, exec_lo, s0
	s_delay_alu instid0(SALU_CYCLE_1)
	s_mov_b32 s0, exec_lo
	v_cmpx_gt_u32_e64 s33, v158
	s_cbranch_execz .LBB187_126
.LBB187_135:
	v_add_co_u32 v32, vcc_lo, 0x7000, v32
	v_add_co_ci_u32_e32 v33, vcc_lo, 0, v33, vcc_lo
	s_waitcnt lgkmcnt(0)
	global_store_b128 v[32:33], v[28:31], off
	s_or_b32 exec_lo, exec_lo, s0
	v_cmp_lt_u64_e64 s0, s[42:43], 2
	s_delay_alu instid0(VALU_DEP_1)
	s_and_b32 vcc_lo, exec_lo, s0
	s_cbranch_vccnz .LBB187_127
.LBB187_136:
	s_add_u32 s0, s33, -1
	s_addc_u32 s1, s34, -1
	s_delay_alu instid0(SALU_CYCLE_1)
	s_lshr_b64 s[2:3], s[0:1], 3
	s_mov_b32 s1, exec_lo
	v_cmpx_eq_u64_e64 s[2:3], v[156:157]
	s_cbranch_execz .LBB187_127
; %bb.137:
	s_and_b32 s0, s0, 7
	s_mov_b32 s1, 0
	s_delay_alu instid0(SALU_CYCLE_1) | instskip(NEXT) | instid1(VALU_DEP_1)
	v_cmp_lt_i64_e64 s2, s[0:1], 4
	s_and_b32 vcc_lo, exec_lo, s2
	s_mov_b32 s2, -1
	s_cbranch_vccnz .LBB187_150
; %bb.138:
	v_cmp_lt_i64_e64 s2, s[0:1], 6
	s_delay_alu instid0(VALU_DEP_1)
	s_and_b32 vcc_lo, exec_lo, s2
	s_mov_b32 s2, -1
	s_cbranch_vccnz .LBB187_144
; %bb.139:
	v_cmp_gt_i64_e64 s2, s[0:1], 6
	s_delay_alu instid0(VALU_DEP_1)
	s_and_b32 vcc_lo, exec_lo, s2
	s_mov_b32 s2, -1
	s_cbranch_vccz .LBB187_141
; %bb.140:
	v_mov_b32_e32 v32, 0
	s_mov_b32 s2, 0
	s_waitcnt lgkmcnt(0)
	global_store_b128 v32, v[28:31], s[38:39]
.LBB187_141:
	s_and_not1_b32 vcc_lo, exec_lo, s2
	s_cbranch_vccnz .LBB187_143
; %bb.142:
	s_waitcnt lgkmcnt(0)
	v_mov_b32_e32 v28, 0
	global_store_b128 v28, v[24:27], s[38:39]
.LBB187_143:
	s_mov_b32 s2, 0
.LBB187_144:
	s_delay_alu instid0(SALU_CYCLE_1)
	s_and_not1_b32 vcc_lo, exec_lo, s2
	s_cbranch_vccnz .LBB187_149
; %bb.145:
	v_cmp_gt_i64_e64 s2, s[0:1], 4
	s_delay_alu instid0(VALU_DEP_1)
	s_and_b32 vcc_lo, exec_lo, s2
	s_mov_b32 s2, -1
	s_cbranch_vccz .LBB187_147
; %bb.146:
	s_waitcnt lgkmcnt(1)
	v_mov_b32_e32 v24, 0
	s_mov_b32 s2, 0
	global_store_b128 v24, v[20:23], s[38:39]
.LBB187_147:
	s_and_not1_b32 vcc_lo, exec_lo, s2
	s_cbranch_vccnz .LBB187_149
; %bb.148:
	s_waitcnt lgkmcnt(2)
	v_mov_b32_e32 v20, 0
	global_store_b128 v20, v[16:19], s[38:39]
.LBB187_149:
	s_mov_b32 s2, 0
.LBB187_150:
	s_delay_alu instid0(SALU_CYCLE_1)
	s_and_not1_b32 vcc_lo, exec_lo, s2
	s_cbranch_vccnz .LBB187_127
; %bb.151:
	v_cmp_lt_i64_e64 s2, s[0:1], 2
	s_delay_alu instid0(VALU_DEP_1)
	s_and_b32 vcc_lo, exec_lo, s2
	s_mov_b32 s2, -1
	s_cbranch_vccnz .LBB187_157
; %bb.152:
	v_cmp_gt_i64_e64 s2, s[0:1], 2
	s_delay_alu instid0(VALU_DEP_1)
	s_and_b32 vcc_lo, exec_lo, s2
	s_mov_b32 s2, -1
	s_cbranch_vccz .LBB187_154
; %bb.153:
	s_waitcnt lgkmcnt(3)
	v_mov_b32_e32 v16, 0
	s_mov_b32 s2, 0
	global_store_b128 v16, v[12:15], s[38:39]
.LBB187_154:
	s_and_not1_b32 vcc_lo, exec_lo, s2
	s_cbranch_vccnz .LBB187_156
; %bb.155:
	s_waitcnt lgkmcnt(4)
	v_mov_b32_e32 v12, 0
	global_store_b128 v12, v[8:11], s[38:39]
.LBB187_156:
	s_mov_b32 s2, 0
.LBB187_157:
	s_delay_alu instid0(SALU_CYCLE_1)
	s_and_not1_b32 vcc_lo, exec_lo, s2
	s_cbranch_vccnz .LBB187_127
; %bb.158:
	s_cmp_eq_u64 s[0:1], 1
	s_mov_b32 s0, -1
	s_cbranch_scc1 .LBB187_160
; %bb.159:
	s_waitcnt lgkmcnt(5)
	v_mov_b32_e32 v8, 0
	s_mov_b32 s0, 0
	global_store_b128 v8, v[4:7], s[38:39]
.LBB187_160:
	s_and_not1_b32 vcc_lo, exec_lo, s0
	s_cbranch_vccnz .LBB187_127
; %bb.161:
	s_waitcnt lgkmcnt(7)
	v_mov_b32_e32 v4, 0
	s_waitcnt lgkmcnt(6)
	global_store_b128 v4, v[0:3], s[38:39]
	s_nop 0
	s_sendmsg sendmsg(MSG_DEALLOC_VGPRS)
	s_endpgm
	.section	.rodata,"a",@progbits
	.p2align	6, 0x0
	.amdhsa_kernel _ZN7rocprim17ROCPRIM_400000_NS6detail17trampoline_kernelINS0_14default_configENS1_20scan_config_selectorIN3c107complexIdEEEEZZNS1_9scan_implILNS1_25lookback_scan_determinismE0ELb0ELb0ES3_PKS7_PS7_S7_ZZZN2at6native31launch_logcumsumexp_cuda_kernelERKNSE_10TensorBaseESI_lENKUlvE_clEvENKUlvE1_clEvEUlS7_S7_E_S7_EEDaPvRmT3_T4_T5_mT6_P12ihipStream_tbENKUlT_T0_E_clISt17integral_constantIbLb0EESZ_EEDaSU_SV_EUlSU_E_NS1_11comp_targetILNS1_3genE9ELNS1_11target_archE1100ELNS1_3gpuE3ELNS1_3repE0EEENS1_30default_config_static_selectorELNS0_4arch9wavefront6targetE0EEEvT1_
		.amdhsa_group_segment_fixed_size 33792
		.amdhsa_private_segment_fixed_size 0
		.amdhsa_kernarg_size 128
		.amdhsa_user_sgpr_count 15
		.amdhsa_user_sgpr_dispatch_ptr 0
		.amdhsa_user_sgpr_queue_ptr 0
		.amdhsa_user_sgpr_kernarg_segment_ptr 1
		.amdhsa_user_sgpr_dispatch_id 0
		.amdhsa_user_sgpr_private_segment_size 0
		.amdhsa_wavefront_size32 1
		.amdhsa_uses_dynamic_stack 0
		.amdhsa_enable_private_segment 0
		.amdhsa_system_sgpr_workgroup_id_x 1
		.amdhsa_system_sgpr_workgroup_id_y 0
		.amdhsa_system_sgpr_workgroup_id_z 0
		.amdhsa_system_sgpr_workgroup_info 0
		.amdhsa_system_vgpr_workitem_id 0
		.amdhsa_next_free_vgpr 168
		.amdhsa_next_free_sgpr 48
		.amdhsa_reserve_vcc 1
		.amdhsa_float_round_mode_32 0
		.amdhsa_float_round_mode_16_64 0
		.amdhsa_float_denorm_mode_32 3
		.amdhsa_float_denorm_mode_16_64 3
		.amdhsa_dx10_clamp 1
		.amdhsa_ieee_mode 1
		.amdhsa_fp16_overflow 0
		.amdhsa_workgroup_processor_mode 1
		.amdhsa_memory_ordered 1
		.amdhsa_forward_progress 0
		.amdhsa_shared_vgpr_count 0
		.amdhsa_exception_fp_ieee_invalid_op 0
		.amdhsa_exception_fp_denorm_src 0
		.amdhsa_exception_fp_ieee_div_zero 0
		.amdhsa_exception_fp_ieee_overflow 0
		.amdhsa_exception_fp_ieee_underflow 0
		.amdhsa_exception_fp_ieee_inexact 0
		.amdhsa_exception_int_div_zero 0
	.end_amdhsa_kernel
	.section	.text._ZN7rocprim17ROCPRIM_400000_NS6detail17trampoline_kernelINS0_14default_configENS1_20scan_config_selectorIN3c107complexIdEEEEZZNS1_9scan_implILNS1_25lookback_scan_determinismE0ELb0ELb0ES3_PKS7_PS7_S7_ZZZN2at6native31launch_logcumsumexp_cuda_kernelERKNSE_10TensorBaseESI_lENKUlvE_clEvENKUlvE1_clEvEUlS7_S7_E_S7_EEDaPvRmT3_T4_T5_mT6_P12ihipStream_tbENKUlT_T0_E_clISt17integral_constantIbLb0EESZ_EEDaSU_SV_EUlSU_E_NS1_11comp_targetILNS1_3genE9ELNS1_11target_archE1100ELNS1_3gpuE3ELNS1_3repE0EEENS1_30default_config_static_selectorELNS0_4arch9wavefront6targetE0EEEvT1_,"axG",@progbits,_ZN7rocprim17ROCPRIM_400000_NS6detail17trampoline_kernelINS0_14default_configENS1_20scan_config_selectorIN3c107complexIdEEEEZZNS1_9scan_implILNS1_25lookback_scan_determinismE0ELb0ELb0ES3_PKS7_PS7_S7_ZZZN2at6native31launch_logcumsumexp_cuda_kernelERKNSE_10TensorBaseESI_lENKUlvE_clEvENKUlvE1_clEvEUlS7_S7_E_S7_EEDaPvRmT3_T4_T5_mT6_P12ihipStream_tbENKUlT_T0_E_clISt17integral_constantIbLb0EESZ_EEDaSU_SV_EUlSU_E_NS1_11comp_targetILNS1_3genE9ELNS1_11target_archE1100ELNS1_3gpuE3ELNS1_3repE0EEENS1_30default_config_static_selectorELNS0_4arch9wavefront6targetE0EEEvT1_,comdat
.Lfunc_end187:
	.size	_ZN7rocprim17ROCPRIM_400000_NS6detail17trampoline_kernelINS0_14default_configENS1_20scan_config_selectorIN3c107complexIdEEEEZZNS1_9scan_implILNS1_25lookback_scan_determinismE0ELb0ELb0ES3_PKS7_PS7_S7_ZZZN2at6native31launch_logcumsumexp_cuda_kernelERKNSE_10TensorBaseESI_lENKUlvE_clEvENKUlvE1_clEvEUlS7_S7_E_S7_EEDaPvRmT3_T4_T5_mT6_P12ihipStream_tbENKUlT_T0_E_clISt17integral_constantIbLb0EESZ_EEDaSU_SV_EUlSU_E_NS1_11comp_targetILNS1_3genE9ELNS1_11target_archE1100ELNS1_3gpuE3ELNS1_3repE0EEENS1_30default_config_static_selectorELNS0_4arch9wavefront6targetE0EEEvT1_, .Lfunc_end187-_ZN7rocprim17ROCPRIM_400000_NS6detail17trampoline_kernelINS0_14default_configENS1_20scan_config_selectorIN3c107complexIdEEEEZZNS1_9scan_implILNS1_25lookback_scan_determinismE0ELb0ELb0ES3_PKS7_PS7_S7_ZZZN2at6native31launch_logcumsumexp_cuda_kernelERKNSE_10TensorBaseESI_lENKUlvE_clEvENKUlvE1_clEvEUlS7_S7_E_S7_EEDaPvRmT3_T4_T5_mT6_P12ihipStream_tbENKUlT_T0_E_clISt17integral_constantIbLb0EESZ_EEDaSU_SV_EUlSU_E_NS1_11comp_targetILNS1_3genE9ELNS1_11target_archE1100ELNS1_3gpuE3ELNS1_3repE0EEENS1_30default_config_static_selectorELNS0_4arch9wavefront6targetE0EEEvT1_
                                        ; -- End function
	.section	.AMDGPU.csdata,"",@progbits
; Kernel info:
; codeLenInByte = 9224
; NumSgprs: 50
; NumVgprs: 168
; ScratchSize: 0
; MemoryBound: 1
; FloatMode: 240
; IeeeMode: 1
; LDSByteSize: 33792 bytes/workgroup (compile time only)
; SGPRBlocks: 6
; VGPRBlocks: 20
; NumSGPRsForWavesPerEU: 50
; NumVGPRsForWavesPerEU: 168
; Occupancy: 6
; WaveLimiterHint : 0
; COMPUTE_PGM_RSRC2:SCRATCH_EN: 0
; COMPUTE_PGM_RSRC2:USER_SGPR: 15
; COMPUTE_PGM_RSRC2:TRAP_HANDLER: 0
; COMPUTE_PGM_RSRC2:TGID_X_EN: 1
; COMPUTE_PGM_RSRC2:TGID_Y_EN: 0
; COMPUTE_PGM_RSRC2:TGID_Z_EN: 0
; COMPUTE_PGM_RSRC2:TIDIG_COMP_CNT: 0
	.section	.text._ZN7rocprim17ROCPRIM_400000_NS6detail17trampoline_kernelINS0_14default_configENS1_20scan_config_selectorIN3c107complexIdEEEEZZNS1_9scan_implILNS1_25lookback_scan_determinismE0ELb0ELb0ES3_PKS7_PS7_S7_ZZZN2at6native31launch_logcumsumexp_cuda_kernelERKNSE_10TensorBaseESI_lENKUlvE_clEvENKUlvE1_clEvEUlS7_S7_E_S7_EEDaPvRmT3_T4_T5_mT6_P12ihipStream_tbENKUlT_T0_E_clISt17integral_constantIbLb0EESZ_EEDaSU_SV_EUlSU_E_NS1_11comp_targetILNS1_3genE8ELNS1_11target_archE1030ELNS1_3gpuE2ELNS1_3repE0EEENS1_30default_config_static_selectorELNS0_4arch9wavefront6targetE0EEEvT1_,"axG",@progbits,_ZN7rocprim17ROCPRIM_400000_NS6detail17trampoline_kernelINS0_14default_configENS1_20scan_config_selectorIN3c107complexIdEEEEZZNS1_9scan_implILNS1_25lookback_scan_determinismE0ELb0ELb0ES3_PKS7_PS7_S7_ZZZN2at6native31launch_logcumsumexp_cuda_kernelERKNSE_10TensorBaseESI_lENKUlvE_clEvENKUlvE1_clEvEUlS7_S7_E_S7_EEDaPvRmT3_T4_T5_mT6_P12ihipStream_tbENKUlT_T0_E_clISt17integral_constantIbLb0EESZ_EEDaSU_SV_EUlSU_E_NS1_11comp_targetILNS1_3genE8ELNS1_11target_archE1030ELNS1_3gpuE2ELNS1_3repE0EEENS1_30default_config_static_selectorELNS0_4arch9wavefront6targetE0EEEvT1_,comdat
	.globl	_ZN7rocprim17ROCPRIM_400000_NS6detail17trampoline_kernelINS0_14default_configENS1_20scan_config_selectorIN3c107complexIdEEEEZZNS1_9scan_implILNS1_25lookback_scan_determinismE0ELb0ELb0ES3_PKS7_PS7_S7_ZZZN2at6native31launch_logcumsumexp_cuda_kernelERKNSE_10TensorBaseESI_lENKUlvE_clEvENKUlvE1_clEvEUlS7_S7_E_S7_EEDaPvRmT3_T4_T5_mT6_P12ihipStream_tbENKUlT_T0_E_clISt17integral_constantIbLb0EESZ_EEDaSU_SV_EUlSU_E_NS1_11comp_targetILNS1_3genE8ELNS1_11target_archE1030ELNS1_3gpuE2ELNS1_3repE0EEENS1_30default_config_static_selectorELNS0_4arch9wavefront6targetE0EEEvT1_ ; -- Begin function _ZN7rocprim17ROCPRIM_400000_NS6detail17trampoline_kernelINS0_14default_configENS1_20scan_config_selectorIN3c107complexIdEEEEZZNS1_9scan_implILNS1_25lookback_scan_determinismE0ELb0ELb0ES3_PKS7_PS7_S7_ZZZN2at6native31launch_logcumsumexp_cuda_kernelERKNSE_10TensorBaseESI_lENKUlvE_clEvENKUlvE1_clEvEUlS7_S7_E_S7_EEDaPvRmT3_T4_T5_mT6_P12ihipStream_tbENKUlT_T0_E_clISt17integral_constantIbLb0EESZ_EEDaSU_SV_EUlSU_E_NS1_11comp_targetILNS1_3genE8ELNS1_11target_archE1030ELNS1_3gpuE2ELNS1_3repE0EEENS1_30default_config_static_selectorELNS0_4arch9wavefront6targetE0EEEvT1_
	.p2align	8
	.type	_ZN7rocprim17ROCPRIM_400000_NS6detail17trampoline_kernelINS0_14default_configENS1_20scan_config_selectorIN3c107complexIdEEEEZZNS1_9scan_implILNS1_25lookback_scan_determinismE0ELb0ELb0ES3_PKS7_PS7_S7_ZZZN2at6native31launch_logcumsumexp_cuda_kernelERKNSE_10TensorBaseESI_lENKUlvE_clEvENKUlvE1_clEvEUlS7_S7_E_S7_EEDaPvRmT3_T4_T5_mT6_P12ihipStream_tbENKUlT_T0_E_clISt17integral_constantIbLb0EESZ_EEDaSU_SV_EUlSU_E_NS1_11comp_targetILNS1_3genE8ELNS1_11target_archE1030ELNS1_3gpuE2ELNS1_3repE0EEENS1_30default_config_static_selectorELNS0_4arch9wavefront6targetE0EEEvT1_,@function
_ZN7rocprim17ROCPRIM_400000_NS6detail17trampoline_kernelINS0_14default_configENS1_20scan_config_selectorIN3c107complexIdEEEEZZNS1_9scan_implILNS1_25lookback_scan_determinismE0ELb0ELb0ES3_PKS7_PS7_S7_ZZZN2at6native31launch_logcumsumexp_cuda_kernelERKNSE_10TensorBaseESI_lENKUlvE_clEvENKUlvE1_clEvEUlS7_S7_E_S7_EEDaPvRmT3_T4_T5_mT6_P12ihipStream_tbENKUlT_T0_E_clISt17integral_constantIbLb0EESZ_EEDaSU_SV_EUlSU_E_NS1_11comp_targetILNS1_3genE8ELNS1_11target_archE1030ELNS1_3gpuE2ELNS1_3repE0EEENS1_30default_config_static_selectorELNS0_4arch9wavefront6targetE0EEEvT1_: ; @_ZN7rocprim17ROCPRIM_400000_NS6detail17trampoline_kernelINS0_14default_configENS1_20scan_config_selectorIN3c107complexIdEEEEZZNS1_9scan_implILNS1_25lookback_scan_determinismE0ELb0ELb0ES3_PKS7_PS7_S7_ZZZN2at6native31launch_logcumsumexp_cuda_kernelERKNSE_10TensorBaseESI_lENKUlvE_clEvENKUlvE1_clEvEUlS7_S7_E_S7_EEDaPvRmT3_T4_T5_mT6_P12ihipStream_tbENKUlT_T0_E_clISt17integral_constantIbLb0EESZ_EEDaSU_SV_EUlSU_E_NS1_11comp_targetILNS1_3genE8ELNS1_11target_archE1030ELNS1_3gpuE2ELNS1_3repE0EEENS1_30default_config_static_selectorELNS0_4arch9wavefront6targetE0EEEvT1_
; %bb.0:
	.section	.rodata,"a",@progbits
	.p2align	6, 0x0
	.amdhsa_kernel _ZN7rocprim17ROCPRIM_400000_NS6detail17trampoline_kernelINS0_14default_configENS1_20scan_config_selectorIN3c107complexIdEEEEZZNS1_9scan_implILNS1_25lookback_scan_determinismE0ELb0ELb0ES3_PKS7_PS7_S7_ZZZN2at6native31launch_logcumsumexp_cuda_kernelERKNSE_10TensorBaseESI_lENKUlvE_clEvENKUlvE1_clEvEUlS7_S7_E_S7_EEDaPvRmT3_T4_T5_mT6_P12ihipStream_tbENKUlT_T0_E_clISt17integral_constantIbLb0EESZ_EEDaSU_SV_EUlSU_E_NS1_11comp_targetILNS1_3genE8ELNS1_11target_archE1030ELNS1_3gpuE2ELNS1_3repE0EEENS1_30default_config_static_selectorELNS0_4arch9wavefront6targetE0EEEvT1_
		.amdhsa_group_segment_fixed_size 0
		.amdhsa_private_segment_fixed_size 0
		.amdhsa_kernarg_size 128
		.amdhsa_user_sgpr_count 15
		.amdhsa_user_sgpr_dispatch_ptr 0
		.amdhsa_user_sgpr_queue_ptr 0
		.amdhsa_user_sgpr_kernarg_segment_ptr 1
		.amdhsa_user_sgpr_dispatch_id 0
		.amdhsa_user_sgpr_private_segment_size 0
		.amdhsa_wavefront_size32 1
		.amdhsa_uses_dynamic_stack 0
		.amdhsa_enable_private_segment 0
		.amdhsa_system_sgpr_workgroup_id_x 1
		.amdhsa_system_sgpr_workgroup_id_y 0
		.amdhsa_system_sgpr_workgroup_id_z 0
		.amdhsa_system_sgpr_workgroup_info 0
		.amdhsa_system_vgpr_workitem_id 0
		.amdhsa_next_free_vgpr 1
		.amdhsa_next_free_sgpr 1
		.amdhsa_reserve_vcc 0
		.amdhsa_float_round_mode_32 0
		.amdhsa_float_round_mode_16_64 0
		.amdhsa_float_denorm_mode_32 3
		.amdhsa_float_denorm_mode_16_64 3
		.amdhsa_dx10_clamp 1
		.amdhsa_ieee_mode 1
		.amdhsa_fp16_overflow 0
		.amdhsa_workgroup_processor_mode 1
		.amdhsa_memory_ordered 1
		.amdhsa_forward_progress 0
		.amdhsa_shared_vgpr_count 0
		.amdhsa_exception_fp_ieee_invalid_op 0
		.amdhsa_exception_fp_denorm_src 0
		.amdhsa_exception_fp_ieee_div_zero 0
		.amdhsa_exception_fp_ieee_overflow 0
		.amdhsa_exception_fp_ieee_underflow 0
		.amdhsa_exception_fp_ieee_inexact 0
		.amdhsa_exception_int_div_zero 0
	.end_amdhsa_kernel
	.section	.text._ZN7rocprim17ROCPRIM_400000_NS6detail17trampoline_kernelINS0_14default_configENS1_20scan_config_selectorIN3c107complexIdEEEEZZNS1_9scan_implILNS1_25lookback_scan_determinismE0ELb0ELb0ES3_PKS7_PS7_S7_ZZZN2at6native31launch_logcumsumexp_cuda_kernelERKNSE_10TensorBaseESI_lENKUlvE_clEvENKUlvE1_clEvEUlS7_S7_E_S7_EEDaPvRmT3_T4_T5_mT6_P12ihipStream_tbENKUlT_T0_E_clISt17integral_constantIbLb0EESZ_EEDaSU_SV_EUlSU_E_NS1_11comp_targetILNS1_3genE8ELNS1_11target_archE1030ELNS1_3gpuE2ELNS1_3repE0EEENS1_30default_config_static_selectorELNS0_4arch9wavefront6targetE0EEEvT1_,"axG",@progbits,_ZN7rocprim17ROCPRIM_400000_NS6detail17trampoline_kernelINS0_14default_configENS1_20scan_config_selectorIN3c107complexIdEEEEZZNS1_9scan_implILNS1_25lookback_scan_determinismE0ELb0ELb0ES3_PKS7_PS7_S7_ZZZN2at6native31launch_logcumsumexp_cuda_kernelERKNSE_10TensorBaseESI_lENKUlvE_clEvENKUlvE1_clEvEUlS7_S7_E_S7_EEDaPvRmT3_T4_T5_mT6_P12ihipStream_tbENKUlT_T0_E_clISt17integral_constantIbLb0EESZ_EEDaSU_SV_EUlSU_E_NS1_11comp_targetILNS1_3genE8ELNS1_11target_archE1030ELNS1_3gpuE2ELNS1_3repE0EEENS1_30default_config_static_selectorELNS0_4arch9wavefront6targetE0EEEvT1_,comdat
.Lfunc_end188:
	.size	_ZN7rocprim17ROCPRIM_400000_NS6detail17trampoline_kernelINS0_14default_configENS1_20scan_config_selectorIN3c107complexIdEEEEZZNS1_9scan_implILNS1_25lookback_scan_determinismE0ELb0ELb0ES3_PKS7_PS7_S7_ZZZN2at6native31launch_logcumsumexp_cuda_kernelERKNSE_10TensorBaseESI_lENKUlvE_clEvENKUlvE1_clEvEUlS7_S7_E_S7_EEDaPvRmT3_T4_T5_mT6_P12ihipStream_tbENKUlT_T0_E_clISt17integral_constantIbLb0EESZ_EEDaSU_SV_EUlSU_E_NS1_11comp_targetILNS1_3genE8ELNS1_11target_archE1030ELNS1_3gpuE2ELNS1_3repE0EEENS1_30default_config_static_selectorELNS0_4arch9wavefront6targetE0EEEvT1_, .Lfunc_end188-_ZN7rocprim17ROCPRIM_400000_NS6detail17trampoline_kernelINS0_14default_configENS1_20scan_config_selectorIN3c107complexIdEEEEZZNS1_9scan_implILNS1_25lookback_scan_determinismE0ELb0ELb0ES3_PKS7_PS7_S7_ZZZN2at6native31launch_logcumsumexp_cuda_kernelERKNSE_10TensorBaseESI_lENKUlvE_clEvENKUlvE1_clEvEUlS7_S7_E_S7_EEDaPvRmT3_T4_T5_mT6_P12ihipStream_tbENKUlT_T0_E_clISt17integral_constantIbLb0EESZ_EEDaSU_SV_EUlSU_E_NS1_11comp_targetILNS1_3genE8ELNS1_11target_archE1030ELNS1_3gpuE2ELNS1_3repE0EEENS1_30default_config_static_selectorELNS0_4arch9wavefront6targetE0EEEvT1_
                                        ; -- End function
	.section	.AMDGPU.csdata,"",@progbits
; Kernel info:
; codeLenInByte = 0
; NumSgprs: 0
; NumVgprs: 0
; ScratchSize: 0
; MemoryBound: 0
; FloatMode: 240
; IeeeMode: 1
; LDSByteSize: 0 bytes/workgroup (compile time only)
; SGPRBlocks: 0
; VGPRBlocks: 0
; NumSGPRsForWavesPerEU: 1
; NumVGPRsForWavesPerEU: 1
; Occupancy: 16
; WaveLimiterHint : 0
; COMPUTE_PGM_RSRC2:SCRATCH_EN: 0
; COMPUTE_PGM_RSRC2:USER_SGPR: 15
; COMPUTE_PGM_RSRC2:TRAP_HANDLER: 0
; COMPUTE_PGM_RSRC2:TGID_X_EN: 1
; COMPUTE_PGM_RSRC2:TGID_Y_EN: 0
; COMPUTE_PGM_RSRC2:TGID_Z_EN: 0
; COMPUTE_PGM_RSRC2:TIDIG_COMP_CNT: 0
	.section	.text._ZN7rocprim17ROCPRIM_400000_NS6detail17trampoline_kernelINS0_14default_configENS1_25transform_config_selectorIN3c107complexIdEELb1EEEZNS1_14transform_implILb1ES3_S8_PS7_SA_NS0_8identityIS7_EEEE10hipError_tT2_T3_mT4_P12ihipStream_tbEUlT_E_NS1_11comp_targetILNS1_3genE0ELNS1_11target_archE4294967295ELNS1_3gpuE0ELNS1_3repE0EEENS1_30default_config_static_selectorELNS0_4arch9wavefront6targetE0EEEvT1_,"axG",@progbits,_ZN7rocprim17ROCPRIM_400000_NS6detail17trampoline_kernelINS0_14default_configENS1_25transform_config_selectorIN3c107complexIdEELb1EEEZNS1_14transform_implILb1ES3_S8_PS7_SA_NS0_8identityIS7_EEEE10hipError_tT2_T3_mT4_P12ihipStream_tbEUlT_E_NS1_11comp_targetILNS1_3genE0ELNS1_11target_archE4294967295ELNS1_3gpuE0ELNS1_3repE0EEENS1_30default_config_static_selectorELNS0_4arch9wavefront6targetE0EEEvT1_,comdat
	.protected	_ZN7rocprim17ROCPRIM_400000_NS6detail17trampoline_kernelINS0_14default_configENS1_25transform_config_selectorIN3c107complexIdEELb1EEEZNS1_14transform_implILb1ES3_S8_PS7_SA_NS0_8identityIS7_EEEE10hipError_tT2_T3_mT4_P12ihipStream_tbEUlT_E_NS1_11comp_targetILNS1_3genE0ELNS1_11target_archE4294967295ELNS1_3gpuE0ELNS1_3repE0EEENS1_30default_config_static_selectorELNS0_4arch9wavefront6targetE0EEEvT1_ ; -- Begin function _ZN7rocprim17ROCPRIM_400000_NS6detail17trampoline_kernelINS0_14default_configENS1_25transform_config_selectorIN3c107complexIdEELb1EEEZNS1_14transform_implILb1ES3_S8_PS7_SA_NS0_8identityIS7_EEEE10hipError_tT2_T3_mT4_P12ihipStream_tbEUlT_E_NS1_11comp_targetILNS1_3genE0ELNS1_11target_archE4294967295ELNS1_3gpuE0ELNS1_3repE0EEENS1_30default_config_static_selectorELNS0_4arch9wavefront6targetE0EEEvT1_
	.globl	_ZN7rocprim17ROCPRIM_400000_NS6detail17trampoline_kernelINS0_14default_configENS1_25transform_config_selectorIN3c107complexIdEELb1EEEZNS1_14transform_implILb1ES3_S8_PS7_SA_NS0_8identityIS7_EEEE10hipError_tT2_T3_mT4_P12ihipStream_tbEUlT_E_NS1_11comp_targetILNS1_3genE0ELNS1_11target_archE4294967295ELNS1_3gpuE0ELNS1_3repE0EEENS1_30default_config_static_selectorELNS0_4arch9wavefront6targetE0EEEvT1_
	.p2align	8
	.type	_ZN7rocprim17ROCPRIM_400000_NS6detail17trampoline_kernelINS0_14default_configENS1_25transform_config_selectorIN3c107complexIdEELb1EEEZNS1_14transform_implILb1ES3_S8_PS7_SA_NS0_8identityIS7_EEEE10hipError_tT2_T3_mT4_P12ihipStream_tbEUlT_E_NS1_11comp_targetILNS1_3genE0ELNS1_11target_archE4294967295ELNS1_3gpuE0ELNS1_3repE0EEENS1_30default_config_static_selectorELNS0_4arch9wavefront6targetE0EEEvT1_,@function
_ZN7rocprim17ROCPRIM_400000_NS6detail17trampoline_kernelINS0_14default_configENS1_25transform_config_selectorIN3c107complexIdEELb1EEEZNS1_14transform_implILb1ES3_S8_PS7_SA_NS0_8identityIS7_EEEE10hipError_tT2_T3_mT4_P12ihipStream_tbEUlT_E_NS1_11comp_targetILNS1_3genE0ELNS1_11target_archE4294967295ELNS1_3gpuE0ELNS1_3repE0EEENS1_30default_config_static_selectorELNS0_4arch9wavefront6targetE0EEEvT1_: ; @_ZN7rocprim17ROCPRIM_400000_NS6detail17trampoline_kernelINS0_14default_configENS1_25transform_config_selectorIN3c107complexIdEELb1EEEZNS1_14transform_implILb1ES3_S8_PS7_SA_NS0_8identityIS7_EEEE10hipError_tT2_T3_mT4_P12ihipStream_tbEUlT_E_NS1_11comp_targetILNS1_3genE0ELNS1_11target_archE4294967295ELNS1_3gpuE0ELNS1_3repE0EEENS1_30default_config_static_selectorELNS0_4arch9wavefront6targetE0EEEvT1_
; %bb.0:
	.section	.rodata,"a",@progbits
	.p2align	6, 0x0
	.amdhsa_kernel _ZN7rocprim17ROCPRIM_400000_NS6detail17trampoline_kernelINS0_14default_configENS1_25transform_config_selectorIN3c107complexIdEELb1EEEZNS1_14transform_implILb1ES3_S8_PS7_SA_NS0_8identityIS7_EEEE10hipError_tT2_T3_mT4_P12ihipStream_tbEUlT_E_NS1_11comp_targetILNS1_3genE0ELNS1_11target_archE4294967295ELNS1_3gpuE0ELNS1_3repE0EEENS1_30default_config_static_selectorELNS0_4arch9wavefront6targetE0EEEvT1_
		.amdhsa_group_segment_fixed_size 0
		.amdhsa_private_segment_fixed_size 0
		.amdhsa_kernarg_size 40
		.amdhsa_user_sgpr_count 15
		.amdhsa_user_sgpr_dispatch_ptr 0
		.amdhsa_user_sgpr_queue_ptr 0
		.amdhsa_user_sgpr_kernarg_segment_ptr 1
		.amdhsa_user_sgpr_dispatch_id 0
		.amdhsa_user_sgpr_private_segment_size 0
		.amdhsa_wavefront_size32 1
		.amdhsa_uses_dynamic_stack 0
		.amdhsa_enable_private_segment 0
		.amdhsa_system_sgpr_workgroup_id_x 1
		.amdhsa_system_sgpr_workgroup_id_y 0
		.amdhsa_system_sgpr_workgroup_id_z 0
		.amdhsa_system_sgpr_workgroup_info 0
		.amdhsa_system_vgpr_workitem_id 0
		.amdhsa_next_free_vgpr 1
		.amdhsa_next_free_sgpr 1
		.amdhsa_reserve_vcc 0
		.amdhsa_float_round_mode_32 0
		.amdhsa_float_round_mode_16_64 0
		.amdhsa_float_denorm_mode_32 3
		.amdhsa_float_denorm_mode_16_64 3
		.amdhsa_dx10_clamp 1
		.amdhsa_ieee_mode 1
		.amdhsa_fp16_overflow 0
		.amdhsa_workgroup_processor_mode 1
		.amdhsa_memory_ordered 1
		.amdhsa_forward_progress 0
		.amdhsa_shared_vgpr_count 0
		.amdhsa_exception_fp_ieee_invalid_op 0
		.amdhsa_exception_fp_denorm_src 0
		.amdhsa_exception_fp_ieee_div_zero 0
		.amdhsa_exception_fp_ieee_overflow 0
		.amdhsa_exception_fp_ieee_underflow 0
		.amdhsa_exception_fp_ieee_inexact 0
		.amdhsa_exception_int_div_zero 0
	.end_amdhsa_kernel
	.section	.text._ZN7rocprim17ROCPRIM_400000_NS6detail17trampoline_kernelINS0_14default_configENS1_25transform_config_selectorIN3c107complexIdEELb1EEEZNS1_14transform_implILb1ES3_S8_PS7_SA_NS0_8identityIS7_EEEE10hipError_tT2_T3_mT4_P12ihipStream_tbEUlT_E_NS1_11comp_targetILNS1_3genE0ELNS1_11target_archE4294967295ELNS1_3gpuE0ELNS1_3repE0EEENS1_30default_config_static_selectorELNS0_4arch9wavefront6targetE0EEEvT1_,"axG",@progbits,_ZN7rocprim17ROCPRIM_400000_NS6detail17trampoline_kernelINS0_14default_configENS1_25transform_config_selectorIN3c107complexIdEELb1EEEZNS1_14transform_implILb1ES3_S8_PS7_SA_NS0_8identityIS7_EEEE10hipError_tT2_T3_mT4_P12ihipStream_tbEUlT_E_NS1_11comp_targetILNS1_3genE0ELNS1_11target_archE4294967295ELNS1_3gpuE0ELNS1_3repE0EEENS1_30default_config_static_selectorELNS0_4arch9wavefront6targetE0EEEvT1_,comdat
.Lfunc_end189:
	.size	_ZN7rocprim17ROCPRIM_400000_NS6detail17trampoline_kernelINS0_14default_configENS1_25transform_config_selectorIN3c107complexIdEELb1EEEZNS1_14transform_implILb1ES3_S8_PS7_SA_NS0_8identityIS7_EEEE10hipError_tT2_T3_mT4_P12ihipStream_tbEUlT_E_NS1_11comp_targetILNS1_3genE0ELNS1_11target_archE4294967295ELNS1_3gpuE0ELNS1_3repE0EEENS1_30default_config_static_selectorELNS0_4arch9wavefront6targetE0EEEvT1_, .Lfunc_end189-_ZN7rocprim17ROCPRIM_400000_NS6detail17trampoline_kernelINS0_14default_configENS1_25transform_config_selectorIN3c107complexIdEELb1EEEZNS1_14transform_implILb1ES3_S8_PS7_SA_NS0_8identityIS7_EEEE10hipError_tT2_T3_mT4_P12ihipStream_tbEUlT_E_NS1_11comp_targetILNS1_3genE0ELNS1_11target_archE4294967295ELNS1_3gpuE0ELNS1_3repE0EEENS1_30default_config_static_selectorELNS0_4arch9wavefront6targetE0EEEvT1_
                                        ; -- End function
	.section	.AMDGPU.csdata,"",@progbits
; Kernel info:
; codeLenInByte = 0
; NumSgprs: 0
; NumVgprs: 0
; ScratchSize: 0
; MemoryBound: 0
; FloatMode: 240
; IeeeMode: 1
; LDSByteSize: 0 bytes/workgroup (compile time only)
; SGPRBlocks: 0
; VGPRBlocks: 0
; NumSGPRsForWavesPerEU: 1
; NumVGPRsForWavesPerEU: 1
; Occupancy: 16
; WaveLimiterHint : 0
; COMPUTE_PGM_RSRC2:SCRATCH_EN: 0
; COMPUTE_PGM_RSRC2:USER_SGPR: 15
; COMPUTE_PGM_RSRC2:TRAP_HANDLER: 0
; COMPUTE_PGM_RSRC2:TGID_X_EN: 1
; COMPUTE_PGM_RSRC2:TGID_Y_EN: 0
; COMPUTE_PGM_RSRC2:TGID_Z_EN: 0
; COMPUTE_PGM_RSRC2:TIDIG_COMP_CNT: 0
	.section	.text._ZN7rocprim17ROCPRIM_400000_NS6detail17trampoline_kernelINS0_14default_configENS1_25transform_config_selectorIN3c107complexIdEELb1EEEZNS1_14transform_implILb1ES3_S8_PS7_SA_NS0_8identityIS7_EEEE10hipError_tT2_T3_mT4_P12ihipStream_tbEUlT_E_NS1_11comp_targetILNS1_3genE10ELNS1_11target_archE1201ELNS1_3gpuE5ELNS1_3repE0EEENS1_30default_config_static_selectorELNS0_4arch9wavefront6targetE0EEEvT1_,"axG",@progbits,_ZN7rocprim17ROCPRIM_400000_NS6detail17trampoline_kernelINS0_14default_configENS1_25transform_config_selectorIN3c107complexIdEELb1EEEZNS1_14transform_implILb1ES3_S8_PS7_SA_NS0_8identityIS7_EEEE10hipError_tT2_T3_mT4_P12ihipStream_tbEUlT_E_NS1_11comp_targetILNS1_3genE10ELNS1_11target_archE1201ELNS1_3gpuE5ELNS1_3repE0EEENS1_30default_config_static_selectorELNS0_4arch9wavefront6targetE0EEEvT1_,comdat
	.protected	_ZN7rocprim17ROCPRIM_400000_NS6detail17trampoline_kernelINS0_14default_configENS1_25transform_config_selectorIN3c107complexIdEELb1EEEZNS1_14transform_implILb1ES3_S8_PS7_SA_NS0_8identityIS7_EEEE10hipError_tT2_T3_mT4_P12ihipStream_tbEUlT_E_NS1_11comp_targetILNS1_3genE10ELNS1_11target_archE1201ELNS1_3gpuE5ELNS1_3repE0EEENS1_30default_config_static_selectorELNS0_4arch9wavefront6targetE0EEEvT1_ ; -- Begin function _ZN7rocprim17ROCPRIM_400000_NS6detail17trampoline_kernelINS0_14default_configENS1_25transform_config_selectorIN3c107complexIdEELb1EEEZNS1_14transform_implILb1ES3_S8_PS7_SA_NS0_8identityIS7_EEEE10hipError_tT2_T3_mT4_P12ihipStream_tbEUlT_E_NS1_11comp_targetILNS1_3genE10ELNS1_11target_archE1201ELNS1_3gpuE5ELNS1_3repE0EEENS1_30default_config_static_selectorELNS0_4arch9wavefront6targetE0EEEvT1_
	.globl	_ZN7rocprim17ROCPRIM_400000_NS6detail17trampoline_kernelINS0_14default_configENS1_25transform_config_selectorIN3c107complexIdEELb1EEEZNS1_14transform_implILb1ES3_S8_PS7_SA_NS0_8identityIS7_EEEE10hipError_tT2_T3_mT4_P12ihipStream_tbEUlT_E_NS1_11comp_targetILNS1_3genE10ELNS1_11target_archE1201ELNS1_3gpuE5ELNS1_3repE0EEENS1_30default_config_static_selectorELNS0_4arch9wavefront6targetE0EEEvT1_
	.p2align	8
	.type	_ZN7rocprim17ROCPRIM_400000_NS6detail17trampoline_kernelINS0_14default_configENS1_25transform_config_selectorIN3c107complexIdEELb1EEEZNS1_14transform_implILb1ES3_S8_PS7_SA_NS0_8identityIS7_EEEE10hipError_tT2_T3_mT4_P12ihipStream_tbEUlT_E_NS1_11comp_targetILNS1_3genE10ELNS1_11target_archE1201ELNS1_3gpuE5ELNS1_3repE0EEENS1_30default_config_static_selectorELNS0_4arch9wavefront6targetE0EEEvT1_,@function
_ZN7rocprim17ROCPRIM_400000_NS6detail17trampoline_kernelINS0_14default_configENS1_25transform_config_selectorIN3c107complexIdEELb1EEEZNS1_14transform_implILb1ES3_S8_PS7_SA_NS0_8identityIS7_EEEE10hipError_tT2_T3_mT4_P12ihipStream_tbEUlT_E_NS1_11comp_targetILNS1_3genE10ELNS1_11target_archE1201ELNS1_3gpuE5ELNS1_3repE0EEENS1_30default_config_static_selectorELNS0_4arch9wavefront6targetE0EEEvT1_: ; @_ZN7rocprim17ROCPRIM_400000_NS6detail17trampoline_kernelINS0_14default_configENS1_25transform_config_selectorIN3c107complexIdEELb1EEEZNS1_14transform_implILb1ES3_S8_PS7_SA_NS0_8identityIS7_EEEE10hipError_tT2_T3_mT4_P12ihipStream_tbEUlT_E_NS1_11comp_targetILNS1_3genE10ELNS1_11target_archE1201ELNS1_3gpuE5ELNS1_3repE0EEENS1_30default_config_static_selectorELNS0_4arch9wavefront6targetE0EEEvT1_
; %bb.0:
	.section	.rodata,"a",@progbits
	.p2align	6, 0x0
	.amdhsa_kernel _ZN7rocprim17ROCPRIM_400000_NS6detail17trampoline_kernelINS0_14default_configENS1_25transform_config_selectorIN3c107complexIdEELb1EEEZNS1_14transform_implILb1ES3_S8_PS7_SA_NS0_8identityIS7_EEEE10hipError_tT2_T3_mT4_P12ihipStream_tbEUlT_E_NS1_11comp_targetILNS1_3genE10ELNS1_11target_archE1201ELNS1_3gpuE5ELNS1_3repE0EEENS1_30default_config_static_selectorELNS0_4arch9wavefront6targetE0EEEvT1_
		.amdhsa_group_segment_fixed_size 0
		.amdhsa_private_segment_fixed_size 0
		.amdhsa_kernarg_size 40
		.amdhsa_user_sgpr_count 15
		.amdhsa_user_sgpr_dispatch_ptr 0
		.amdhsa_user_sgpr_queue_ptr 0
		.amdhsa_user_sgpr_kernarg_segment_ptr 1
		.amdhsa_user_sgpr_dispatch_id 0
		.amdhsa_user_sgpr_private_segment_size 0
		.amdhsa_wavefront_size32 1
		.amdhsa_uses_dynamic_stack 0
		.amdhsa_enable_private_segment 0
		.amdhsa_system_sgpr_workgroup_id_x 1
		.amdhsa_system_sgpr_workgroup_id_y 0
		.amdhsa_system_sgpr_workgroup_id_z 0
		.amdhsa_system_sgpr_workgroup_info 0
		.amdhsa_system_vgpr_workitem_id 0
		.amdhsa_next_free_vgpr 1
		.amdhsa_next_free_sgpr 1
		.amdhsa_reserve_vcc 0
		.amdhsa_float_round_mode_32 0
		.amdhsa_float_round_mode_16_64 0
		.amdhsa_float_denorm_mode_32 3
		.amdhsa_float_denorm_mode_16_64 3
		.amdhsa_dx10_clamp 1
		.amdhsa_ieee_mode 1
		.amdhsa_fp16_overflow 0
		.amdhsa_workgroup_processor_mode 1
		.amdhsa_memory_ordered 1
		.amdhsa_forward_progress 0
		.amdhsa_shared_vgpr_count 0
		.amdhsa_exception_fp_ieee_invalid_op 0
		.amdhsa_exception_fp_denorm_src 0
		.amdhsa_exception_fp_ieee_div_zero 0
		.amdhsa_exception_fp_ieee_overflow 0
		.amdhsa_exception_fp_ieee_underflow 0
		.amdhsa_exception_fp_ieee_inexact 0
		.amdhsa_exception_int_div_zero 0
	.end_amdhsa_kernel
	.section	.text._ZN7rocprim17ROCPRIM_400000_NS6detail17trampoline_kernelINS0_14default_configENS1_25transform_config_selectorIN3c107complexIdEELb1EEEZNS1_14transform_implILb1ES3_S8_PS7_SA_NS0_8identityIS7_EEEE10hipError_tT2_T3_mT4_P12ihipStream_tbEUlT_E_NS1_11comp_targetILNS1_3genE10ELNS1_11target_archE1201ELNS1_3gpuE5ELNS1_3repE0EEENS1_30default_config_static_selectorELNS0_4arch9wavefront6targetE0EEEvT1_,"axG",@progbits,_ZN7rocprim17ROCPRIM_400000_NS6detail17trampoline_kernelINS0_14default_configENS1_25transform_config_selectorIN3c107complexIdEELb1EEEZNS1_14transform_implILb1ES3_S8_PS7_SA_NS0_8identityIS7_EEEE10hipError_tT2_T3_mT4_P12ihipStream_tbEUlT_E_NS1_11comp_targetILNS1_3genE10ELNS1_11target_archE1201ELNS1_3gpuE5ELNS1_3repE0EEENS1_30default_config_static_selectorELNS0_4arch9wavefront6targetE0EEEvT1_,comdat
.Lfunc_end190:
	.size	_ZN7rocprim17ROCPRIM_400000_NS6detail17trampoline_kernelINS0_14default_configENS1_25transform_config_selectorIN3c107complexIdEELb1EEEZNS1_14transform_implILb1ES3_S8_PS7_SA_NS0_8identityIS7_EEEE10hipError_tT2_T3_mT4_P12ihipStream_tbEUlT_E_NS1_11comp_targetILNS1_3genE10ELNS1_11target_archE1201ELNS1_3gpuE5ELNS1_3repE0EEENS1_30default_config_static_selectorELNS0_4arch9wavefront6targetE0EEEvT1_, .Lfunc_end190-_ZN7rocprim17ROCPRIM_400000_NS6detail17trampoline_kernelINS0_14default_configENS1_25transform_config_selectorIN3c107complexIdEELb1EEEZNS1_14transform_implILb1ES3_S8_PS7_SA_NS0_8identityIS7_EEEE10hipError_tT2_T3_mT4_P12ihipStream_tbEUlT_E_NS1_11comp_targetILNS1_3genE10ELNS1_11target_archE1201ELNS1_3gpuE5ELNS1_3repE0EEENS1_30default_config_static_selectorELNS0_4arch9wavefront6targetE0EEEvT1_
                                        ; -- End function
	.section	.AMDGPU.csdata,"",@progbits
; Kernel info:
; codeLenInByte = 0
; NumSgprs: 0
; NumVgprs: 0
; ScratchSize: 0
; MemoryBound: 0
; FloatMode: 240
; IeeeMode: 1
; LDSByteSize: 0 bytes/workgroup (compile time only)
; SGPRBlocks: 0
; VGPRBlocks: 0
; NumSGPRsForWavesPerEU: 1
; NumVGPRsForWavesPerEU: 1
; Occupancy: 16
; WaveLimiterHint : 0
; COMPUTE_PGM_RSRC2:SCRATCH_EN: 0
; COMPUTE_PGM_RSRC2:USER_SGPR: 15
; COMPUTE_PGM_RSRC2:TRAP_HANDLER: 0
; COMPUTE_PGM_RSRC2:TGID_X_EN: 1
; COMPUTE_PGM_RSRC2:TGID_Y_EN: 0
; COMPUTE_PGM_RSRC2:TGID_Z_EN: 0
; COMPUTE_PGM_RSRC2:TIDIG_COMP_CNT: 0
	.section	.text._ZN7rocprim17ROCPRIM_400000_NS6detail17trampoline_kernelINS0_14default_configENS1_25transform_config_selectorIN3c107complexIdEELb1EEEZNS1_14transform_implILb1ES3_S8_PS7_SA_NS0_8identityIS7_EEEE10hipError_tT2_T3_mT4_P12ihipStream_tbEUlT_E_NS1_11comp_targetILNS1_3genE5ELNS1_11target_archE942ELNS1_3gpuE9ELNS1_3repE0EEENS1_30default_config_static_selectorELNS0_4arch9wavefront6targetE0EEEvT1_,"axG",@progbits,_ZN7rocprim17ROCPRIM_400000_NS6detail17trampoline_kernelINS0_14default_configENS1_25transform_config_selectorIN3c107complexIdEELb1EEEZNS1_14transform_implILb1ES3_S8_PS7_SA_NS0_8identityIS7_EEEE10hipError_tT2_T3_mT4_P12ihipStream_tbEUlT_E_NS1_11comp_targetILNS1_3genE5ELNS1_11target_archE942ELNS1_3gpuE9ELNS1_3repE0EEENS1_30default_config_static_selectorELNS0_4arch9wavefront6targetE0EEEvT1_,comdat
	.protected	_ZN7rocprim17ROCPRIM_400000_NS6detail17trampoline_kernelINS0_14default_configENS1_25transform_config_selectorIN3c107complexIdEELb1EEEZNS1_14transform_implILb1ES3_S8_PS7_SA_NS0_8identityIS7_EEEE10hipError_tT2_T3_mT4_P12ihipStream_tbEUlT_E_NS1_11comp_targetILNS1_3genE5ELNS1_11target_archE942ELNS1_3gpuE9ELNS1_3repE0EEENS1_30default_config_static_selectorELNS0_4arch9wavefront6targetE0EEEvT1_ ; -- Begin function _ZN7rocprim17ROCPRIM_400000_NS6detail17trampoline_kernelINS0_14default_configENS1_25transform_config_selectorIN3c107complexIdEELb1EEEZNS1_14transform_implILb1ES3_S8_PS7_SA_NS0_8identityIS7_EEEE10hipError_tT2_T3_mT4_P12ihipStream_tbEUlT_E_NS1_11comp_targetILNS1_3genE5ELNS1_11target_archE942ELNS1_3gpuE9ELNS1_3repE0EEENS1_30default_config_static_selectorELNS0_4arch9wavefront6targetE0EEEvT1_
	.globl	_ZN7rocprim17ROCPRIM_400000_NS6detail17trampoline_kernelINS0_14default_configENS1_25transform_config_selectorIN3c107complexIdEELb1EEEZNS1_14transform_implILb1ES3_S8_PS7_SA_NS0_8identityIS7_EEEE10hipError_tT2_T3_mT4_P12ihipStream_tbEUlT_E_NS1_11comp_targetILNS1_3genE5ELNS1_11target_archE942ELNS1_3gpuE9ELNS1_3repE0EEENS1_30default_config_static_selectorELNS0_4arch9wavefront6targetE0EEEvT1_
	.p2align	8
	.type	_ZN7rocprim17ROCPRIM_400000_NS6detail17trampoline_kernelINS0_14default_configENS1_25transform_config_selectorIN3c107complexIdEELb1EEEZNS1_14transform_implILb1ES3_S8_PS7_SA_NS0_8identityIS7_EEEE10hipError_tT2_T3_mT4_P12ihipStream_tbEUlT_E_NS1_11comp_targetILNS1_3genE5ELNS1_11target_archE942ELNS1_3gpuE9ELNS1_3repE0EEENS1_30default_config_static_selectorELNS0_4arch9wavefront6targetE0EEEvT1_,@function
_ZN7rocprim17ROCPRIM_400000_NS6detail17trampoline_kernelINS0_14default_configENS1_25transform_config_selectorIN3c107complexIdEELb1EEEZNS1_14transform_implILb1ES3_S8_PS7_SA_NS0_8identityIS7_EEEE10hipError_tT2_T3_mT4_P12ihipStream_tbEUlT_E_NS1_11comp_targetILNS1_3genE5ELNS1_11target_archE942ELNS1_3gpuE9ELNS1_3repE0EEENS1_30default_config_static_selectorELNS0_4arch9wavefront6targetE0EEEvT1_: ; @_ZN7rocprim17ROCPRIM_400000_NS6detail17trampoline_kernelINS0_14default_configENS1_25transform_config_selectorIN3c107complexIdEELb1EEEZNS1_14transform_implILb1ES3_S8_PS7_SA_NS0_8identityIS7_EEEE10hipError_tT2_T3_mT4_P12ihipStream_tbEUlT_E_NS1_11comp_targetILNS1_3genE5ELNS1_11target_archE942ELNS1_3gpuE9ELNS1_3repE0EEENS1_30default_config_static_selectorELNS0_4arch9wavefront6targetE0EEEvT1_
; %bb.0:
	.section	.rodata,"a",@progbits
	.p2align	6, 0x0
	.amdhsa_kernel _ZN7rocprim17ROCPRIM_400000_NS6detail17trampoline_kernelINS0_14default_configENS1_25transform_config_selectorIN3c107complexIdEELb1EEEZNS1_14transform_implILb1ES3_S8_PS7_SA_NS0_8identityIS7_EEEE10hipError_tT2_T3_mT4_P12ihipStream_tbEUlT_E_NS1_11comp_targetILNS1_3genE5ELNS1_11target_archE942ELNS1_3gpuE9ELNS1_3repE0EEENS1_30default_config_static_selectorELNS0_4arch9wavefront6targetE0EEEvT1_
		.amdhsa_group_segment_fixed_size 0
		.amdhsa_private_segment_fixed_size 0
		.amdhsa_kernarg_size 40
		.amdhsa_user_sgpr_count 15
		.amdhsa_user_sgpr_dispatch_ptr 0
		.amdhsa_user_sgpr_queue_ptr 0
		.amdhsa_user_sgpr_kernarg_segment_ptr 1
		.amdhsa_user_sgpr_dispatch_id 0
		.amdhsa_user_sgpr_private_segment_size 0
		.amdhsa_wavefront_size32 1
		.amdhsa_uses_dynamic_stack 0
		.amdhsa_enable_private_segment 0
		.amdhsa_system_sgpr_workgroup_id_x 1
		.amdhsa_system_sgpr_workgroup_id_y 0
		.amdhsa_system_sgpr_workgroup_id_z 0
		.amdhsa_system_sgpr_workgroup_info 0
		.amdhsa_system_vgpr_workitem_id 0
		.amdhsa_next_free_vgpr 1
		.amdhsa_next_free_sgpr 1
		.amdhsa_reserve_vcc 0
		.amdhsa_float_round_mode_32 0
		.amdhsa_float_round_mode_16_64 0
		.amdhsa_float_denorm_mode_32 3
		.amdhsa_float_denorm_mode_16_64 3
		.amdhsa_dx10_clamp 1
		.amdhsa_ieee_mode 1
		.amdhsa_fp16_overflow 0
		.amdhsa_workgroup_processor_mode 1
		.amdhsa_memory_ordered 1
		.amdhsa_forward_progress 0
		.amdhsa_shared_vgpr_count 0
		.amdhsa_exception_fp_ieee_invalid_op 0
		.amdhsa_exception_fp_denorm_src 0
		.amdhsa_exception_fp_ieee_div_zero 0
		.amdhsa_exception_fp_ieee_overflow 0
		.amdhsa_exception_fp_ieee_underflow 0
		.amdhsa_exception_fp_ieee_inexact 0
		.amdhsa_exception_int_div_zero 0
	.end_amdhsa_kernel
	.section	.text._ZN7rocprim17ROCPRIM_400000_NS6detail17trampoline_kernelINS0_14default_configENS1_25transform_config_selectorIN3c107complexIdEELb1EEEZNS1_14transform_implILb1ES3_S8_PS7_SA_NS0_8identityIS7_EEEE10hipError_tT2_T3_mT4_P12ihipStream_tbEUlT_E_NS1_11comp_targetILNS1_3genE5ELNS1_11target_archE942ELNS1_3gpuE9ELNS1_3repE0EEENS1_30default_config_static_selectorELNS0_4arch9wavefront6targetE0EEEvT1_,"axG",@progbits,_ZN7rocprim17ROCPRIM_400000_NS6detail17trampoline_kernelINS0_14default_configENS1_25transform_config_selectorIN3c107complexIdEELb1EEEZNS1_14transform_implILb1ES3_S8_PS7_SA_NS0_8identityIS7_EEEE10hipError_tT2_T3_mT4_P12ihipStream_tbEUlT_E_NS1_11comp_targetILNS1_3genE5ELNS1_11target_archE942ELNS1_3gpuE9ELNS1_3repE0EEENS1_30default_config_static_selectorELNS0_4arch9wavefront6targetE0EEEvT1_,comdat
.Lfunc_end191:
	.size	_ZN7rocprim17ROCPRIM_400000_NS6detail17trampoline_kernelINS0_14default_configENS1_25transform_config_selectorIN3c107complexIdEELb1EEEZNS1_14transform_implILb1ES3_S8_PS7_SA_NS0_8identityIS7_EEEE10hipError_tT2_T3_mT4_P12ihipStream_tbEUlT_E_NS1_11comp_targetILNS1_3genE5ELNS1_11target_archE942ELNS1_3gpuE9ELNS1_3repE0EEENS1_30default_config_static_selectorELNS0_4arch9wavefront6targetE0EEEvT1_, .Lfunc_end191-_ZN7rocprim17ROCPRIM_400000_NS6detail17trampoline_kernelINS0_14default_configENS1_25transform_config_selectorIN3c107complexIdEELb1EEEZNS1_14transform_implILb1ES3_S8_PS7_SA_NS0_8identityIS7_EEEE10hipError_tT2_T3_mT4_P12ihipStream_tbEUlT_E_NS1_11comp_targetILNS1_3genE5ELNS1_11target_archE942ELNS1_3gpuE9ELNS1_3repE0EEENS1_30default_config_static_selectorELNS0_4arch9wavefront6targetE0EEEvT1_
                                        ; -- End function
	.section	.AMDGPU.csdata,"",@progbits
; Kernel info:
; codeLenInByte = 0
; NumSgprs: 0
; NumVgprs: 0
; ScratchSize: 0
; MemoryBound: 0
; FloatMode: 240
; IeeeMode: 1
; LDSByteSize: 0 bytes/workgroup (compile time only)
; SGPRBlocks: 0
; VGPRBlocks: 0
; NumSGPRsForWavesPerEU: 1
; NumVGPRsForWavesPerEU: 1
; Occupancy: 16
; WaveLimiterHint : 0
; COMPUTE_PGM_RSRC2:SCRATCH_EN: 0
; COMPUTE_PGM_RSRC2:USER_SGPR: 15
; COMPUTE_PGM_RSRC2:TRAP_HANDLER: 0
; COMPUTE_PGM_RSRC2:TGID_X_EN: 1
; COMPUTE_PGM_RSRC2:TGID_Y_EN: 0
; COMPUTE_PGM_RSRC2:TGID_Z_EN: 0
; COMPUTE_PGM_RSRC2:TIDIG_COMP_CNT: 0
	.section	.text._ZN7rocprim17ROCPRIM_400000_NS6detail17trampoline_kernelINS0_14default_configENS1_25transform_config_selectorIN3c107complexIdEELb1EEEZNS1_14transform_implILb1ES3_S8_PS7_SA_NS0_8identityIS7_EEEE10hipError_tT2_T3_mT4_P12ihipStream_tbEUlT_E_NS1_11comp_targetILNS1_3genE4ELNS1_11target_archE910ELNS1_3gpuE8ELNS1_3repE0EEENS1_30default_config_static_selectorELNS0_4arch9wavefront6targetE0EEEvT1_,"axG",@progbits,_ZN7rocprim17ROCPRIM_400000_NS6detail17trampoline_kernelINS0_14default_configENS1_25transform_config_selectorIN3c107complexIdEELb1EEEZNS1_14transform_implILb1ES3_S8_PS7_SA_NS0_8identityIS7_EEEE10hipError_tT2_T3_mT4_P12ihipStream_tbEUlT_E_NS1_11comp_targetILNS1_3genE4ELNS1_11target_archE910ELNS1_3gpuE8ELNS1_3repE0EEENS1_30default_config_static_selectorELNS0_4arch9wavefront6targetE0EEEvT1_,comdat
	.protected	_ZN7rocprim17ROCPRIM_400000_NS6detail17trampoline_kernelINS0_14default_configENS1_25transform_config_selectorIN3c107complexIdEELb1EEEZNS1_14transform_implILb1ES3_S8_PS7_SA_NS0_8identityIS7_EEEE10hipError_tT2_T3_mT4_P12ihipStream_tbEUlT_E_NS1_11comp_targetILNS1_3genE4ELNS1_11target_archE910ELNS1_3gpuE8ELNS1_3repE0EEENS1_30default_config_static_selectorELNS0_4arch9wavefront6targetE0EEEvT1_ ; -- Begin function _ZN7rocprim17ROCPRIM_400000_NS6detail17trampoline_kernelINS0_14default_configENS1_25transform_config_selectorIN3c107complexIdEELb1EEEZNS1_14transform_implILb1ES3_S8_PS7_SA_NS0_8identityIS7_EEEE10hipError_tT2_T3_mT4_P12ihipStream_tbEUlT_E_NS1_11comp_targetILNS1_3genE4ELNS1_11target_archE910ELNS1_3gpuE8ELNS1_3repE0EEENS1_30default_config_static_selectorELNS0_4arch9wavefront6targetE0EEEvT1_
	.globl	_ZN7rocprim17ROCPRIM_400000_NS6detail17trampoline_kernelINS0_14default_configENS1_25transform_config_selectorIN3c107complexIdEELb1EEEZNS1_14transform_implILb1ES3_S8_PS7_SA_NS0_8identityIS7_EEEE10hipError_tT2_T3_mT4_P12ihipStream_tbEUlT_E_NS1_11comp_targetILNS1_3genE4ELNS1_11target_archE910ELNS1_3gpuE8ELNS1_3repE0EEENS1_30default_config_static_selectorELNS0_4arch9wavefront6targetE0EEEvT1_
	.p2align	8
	.type	_ZN7rocprim17ROCPRIM_400000_NS6detail17trampoline_kernelINS0_14default_configENS1_25transform_config_selectorIN3c107complexIdEELb1EEEZNS1_14transform_implILb1ES3_S8_PS7_SA_NS0_8identityIS7_EEEE10hipError_tT2_T3_mT4_P12ihipStream_tbEUlT_E_NS1_11comp_targetILNS1_3genE4ELNS1_11target_archE910ELNS1_3gpuE8ELNS1_3repE0EEENS1_30default_config_static_selectorELNS0_4arch9wavefront6targetE0EEEvT1_,@function
_ZN7rocprim17ROCPRIM_400000_NS6detail17trampoline_kernelINS0_14default_configENS1_25transform_config_selectorIN3c107complexIdEELb1EEEZNS1_14transform_implILb1ES3_S8_PS7_SA_NS0_8identityIS7_EEEE10hipError_tT2_T3_mT4_P12ihipStream_tbEUlT_E_NS1_11comp_targetILNS1_3genE4ELNS1_11target_archE910ELNS1_3gpuE8ELNS1_3repE0EEENS1_30default_config_static_selectorELNS0_4arch9wavefront6targetE0EEEvT1_: ; @_ZN7rocprim17ROCPRIM_400000_NS6detail17trampoline_kernelINS0_14default_configENS1_25transform_config_selectorIN3c107complexIdEELb1EEEZNS1_14transform_implILb1ES3_S8_PS7_SA_NS0_8identityIS7_EEEE10hipError_tT2_T3_mT4_P12ihipStream_tbEUlT_E_NS1_11comp_targetILNS1_3genE4ELNS1_11target_archE910ELNS1_3gpuE8ELNS1_3repE0EEENS1_30default_config_static_selectorELNS0_4arch9wavefront6targetE0EEEvT1_
; %bb.0:
	.section	.rodata,"a",@progbits
	.p2align	6, 0x0
	.amdhsa_kernel _ZN7rocprim17ROCPRIM_400000_NS6detail17trampoline_kernelINS0_14default_configENS1_25transform_config_selectorIN3c107complexIdEELb1EEEZNS1_14transform_implILb1ES3_S8_PS7_SA_NS0_8identityIS7_EEEE10hipError_tT2_T3_mT4_P12ihipStream_tbEUlT_E_NS1_11comp_targetILNS1_3genE4ELNS1_11target_archE910ELNS1_3gpuE8ELNS1_3repE0EEENS1_30default_config_static_selectorELNS0_4arch9wavefront6targetE0EEEvT1_
		.amdhsa_group_segment_fixed_size 0
		.amdhsa_private_segment_fixed_size 0
		.amdhsa_kernarg_size 40
		.amdhsa_user_sgpr_count 15
		.amdhsa_user_sgpr_dispatch_ptr 0
		.amdhsa_user_sgpr_queue_ptr 0
		.amdhsa_user_sgpr_kernarg_segment_ptr 1
		.amdhsa_user_sgpr_dispatch_id 0
		.amdhsa_user_sgpr_private_segment_size 0
		.amdhsa_wavefront_size32 1
		.amdhsa_uses_dynamic_stack 0
		.amdhsa_enable_private_segment 0
		.amdhsa_system_sgpr_workgroup_id_x 1
		.amdhsa_system_sgpr_workgroup_id_y 0
		.amdhsa_system_sgpr_workgroup_id_z 0
		.amdhsa_system_sgpr_workgroup_info 0
		.amdhsa_system_vgpr_workitem_id 0
		.amdhsa_next_free_vgpr 1
		.amdhsa_next_free_sgpr 1
		.amdhsa_reserve_vcc 0
		.amdhsa_float_round_mode_32 0
		.amdhsa_float_round_mode_16_64 0
		.amdhsa_float_denorm_mode_32 3
		.amdhsa_float_denorm_mode_16_64 3
		.amdhsa_dx10_clamp 1
		.amdhsa_ieee_mode 1
		.amdhsa_fp16_overflow 0
		.amdhsa_workgroup_processor_mode 1
		.amdhsa_memory_ordered 1
		.amdhsa_forward_progress 0
		.amdhsa_shared_vgpr_count 0
		.amdhsa_exception_fp_ieee_invalid_op 0
		.amdhsa_exception_fp_denorm_src 0
		.amdhsa_exception_fp_ieee_div_zero 0
		.amdhsa_exception_fp_ieee_overflow 0
		.amdhsa_exception_fp_ieee_underflow 0
		.amdhsa_exception_fp_ieee_inexact 0
		.amdhsa_exception_int_div_zero 0
	.end_amdhsa_kernel
	.section	.text._ZN7rocprim17ROCPRIM_400000_NS6detail17trampoline_kernelINS0_14default_configENS1_25transform_config_selectorIN3c107complexIdEELb1EEEZNS1_14transform_implILb1ES3_S8_PS7_SA_NS0_8identityIS7_EEEE10hipError_tT2_T3_mT4_P12ihipStream_tbEUlT_E_NS1_11comp_targetILNS1_3genE4ELNS1_11target_archE910ELNS1_3gpuE8ELNS1_3repE0EEENS1_30default_config_static_selectorELNS0_4arch9wavefront6targetE0EEEvT1_,"axG",@progbits,_ZN7rocprim17ROCPRIM_400000_NS6detail17trampoline_kernelINS0_14default_configENS1_25transform_config_selectorIN3c107complexIdEELb1EEEZNS1_14transform_implILb1ES3_S8_PS7_SA_NS0_8identityIS7_EEEE10hipError_tT2_T3_mT4_P12ihipStream_tbEUlT_E_NS1_11comp_targetILNS1_3genE4ELNS1_11target_archE910ELNS1_3gpuE8ELNS1_3repE0EEENS1_30default_config_static_selectorELNS0_4arch9wavefront6targetE0EEEvT1_,comdat
.Lfunc_end192:
	.size	_ZN7rocprim17ROCPRIM_400000_NS6detail17trampoline_kernelINS0_14default_configENS1_25transform_config_selectorIN3c107complexIdEELb1EEEZNS1_14transform_implILb1ES3_S8_PS7_SA_NS0_8identityIS7_EEEE10hipError_tT2_T3_mT4_P12ihipStream_tbEUlT_E_NS1_11comp_targetILNS1_3genE4ELNS1_11target_archE910ELNS1_3gpuE8ELNS1_3repE0EEENS1_30default_config_static_selectorELNS0_4arch9wavefront6targetE0EEEvT1_, .Lfunc_end192-_ZN7rocprim17ROCPRIM_400000_NS6detail17trampoline_kernelINS0_14default_configENS1_25transform_config_selectorIN3c107complexIdEELb1EEEZNS1_14transform_implILb1ES3_S8_PS7_SA_NS0_8identityIS7_EEEE10hipError_tT2_T3_mT4_P12ihipStream_tbEUlT_E_NS1_11comp_targetILNS1_3genE4ELNS1_11target_archE910ELNS1_3gpuE8ELNS1_3repE0EEENS1_30default_config_static_selectorELNS0_4arch9wavefront6targetE0EEEvT1_
                                        ; -- End function
	.section	.AMDGPU.csdata,"",@progbits
; Kernel info:
; codeLenInByte = 0
; NumSgprs: 0
; NumVgprs: 0
; ScratchSize: 0
; MemoryBound: 0
; FloatMode: 240
; IeeeMode: 1
; LDSByteSize: 0 bytes/workgroup (compile time only)
; SGPRBlocks: 0
; VGPRBlocks: 0
; NumSGPRsForWavesPerEU: 1
; NumVGPRsForWavesPerEU: 1
; Occupancy: 16
; WaveLimiterHint : 0
; COMPUTE_PGM_RSRC2:SCRATCH_EN: 0
; COMPUTE_PGM_RSRC2:USER_SGPR: 15
; COMPUTE_PGM_RSRC2:TRAP_HANDLER: 0
; COMPUTE_PGM_RSRC2:TGID_X_EN: 1
; COMPUTE_PGM_RSRC2:TGID_Y_EN: 0
; COMPUTE_PGM_RSRC2:TGID_Z_EN: 0
; COMPUTE_PGM_RSRC2:TIDIG_COMP_CNT: 0
	.section	.text._ZN7rocprim17ROCPRIM_400000_NS6detail17trampoline_kernelINS0_14default_configENS1_25transform_config_selectorIN3c107complexIdEELb1EEEZNS1_14transform_implILb1ES3_S8_PS7_SA_NS0_8identityIS7_EEEE10hipError_tT2_T3_mT4_P12ihipStream_tbEUlT_E_NS1_11comp_targetILNS1_3genE3ELNS1_11target_archE908ELNS1_3gpuE7ELNS1_3repE0EEENS1_30default_config_static_selectorELNS0_4arch9wavefront6targetE0EEEvT1_,"axG",@progbits,_ZN7rocprim17ROCPRIM_400000_NS6detail17trampoline_kernelINS0_14default_configENS1_25transform_config_selectorIN3c107complexIdEELb1EEEZNS1_14transform_implILb1ES3_S8_PS7_SA_NS0_8identityIS7_EEEE10hipError_tT2_T3_mT4_P12ihipStream_tbEUlT_E_NS1_11comp_targetILNS1_3genE3ELNS1_11target_archE908ELNS1_3gpuE7ELNS1_3repE0EEENS1_30default_config_static_selectorELNS0_4arch9wavefront6targetE0EEEvT1_,comdat
	.protected	_ZN7rocprim17ROCPRIM_400000_NS6detail17trampoline_kernelINS0_14default_configENS1_25transform_config_selectorIN3c107complexIdEELb1EEEZNS1_14transform_implILb1ES3_S8_PS7_SA_NS0_8identityIS7_EEEE10hipError_tT2_T3_mT4_P12ihipStream_tbEUlT_E_NS1_11comp_targetILNS1_3genE3ELNS1_11target_archE908ELNS1_3gpuE7ELNS1_3repE0EEENS1_30default_config_static_selectorELNS0_4arch9wavefront6targetE0EEEvT1_ ; -- Begin function _ZN7rocprim17ROCPRIM_400000_NS6detail17trampoline_kernelINS0_14default_configENS1_25transform_config_selectorIN3c107complexIdEELb1EEEZNS1_14transform_implILb1ES3_S8_PS7_SA_NS0_8identityIS7_EEEE10hipError_tT2_T3_mT4_P12ihipStream_tbEUlT_E_NS1_11comp_targetILNS1_3genE3ELNS1_11target_archE908ELNS1_3gpuE7ELNS1_3repE0EEENS1_30default_config_static_selectorELNS0_4arch9wavefront6targetE0EEEvT1_
	.globl	_ZN7rocprim17ROCPRIM_400000_NS6detail17trampoline_kernelINS0_14default_configENS1_25transform_config_selectorIN3c107complexIdEELb1EEEZNS1_14transform_implILb1ES3_S8_PS7_SA_NS0_8identityIS7_EEEE10hipError_tT2_T3_mT4_P12ihipStream_tbEUlT_E_NS1_11comp_targetILNS1_3genE3ELNS1_11target_archE908ELNS1_3gpuE7ELNS1_3repE0EEENS1_30default_config_static_selectorELNS0_4arch9wavefront6targetE0EEEvT1_
	.p2align	8
	.type	_ZN7rocprim17ROCPRIM_400000_NS6detail17trampoline_kernelINS0_14default_configENS1_25transform_config_selectorIN3c107complexIdEELb1EEEZNS1_14transform_implILb1ES3_S8_PS7_SA_NS0_8identityIS7_EEEE10hipError_tT2_T3_mT4_P12ihipStream_tbEUlT_E_NS1_11comp_targetILNS1_3genE3ELNS1_11target_archE908ELNS1_3gpuE7ELNS1_3repE0EEENS1_30default_config_static_selectorELNS0_4arch9wavefront6targetE0EEEvT1_,@function
_ZN7rocprim17ROCPRIM_400000_NS6detail17trampoline_kernelINS0_14default_configENS1_25transform_config_selectorIN3c107complexIdEELb1EEEZNS1_14transform_implILb1ES3_S8_PS7_SA_NS0_8identityIS7_EEEE10hipError_tT2_T3_mT4_P12ihipStream_tbEUlT_E_NS1_11comp_targetILNS1_3genE3ELNS1_11target_archE908ELNS1_3gpuE7ELNS1_3repE0EEENS1_30default_config_static_selectorELNS0_4arch9wavefront6targetE0EEEvT1_: ; @_ZN7rocprim17ROCPRIM_400000_NS6detail17trampoline_kernelINS0_14default_configENS1_25transform_config_selectorIN3c107complexIdEELb1EEEZNS1_14transform_implILb1ES3_S8_PS7_SA_NS0_8identityIS7_EEEE10hipError_tT2_T3_mT4_P12ihipStream_tbEUlT_E_NS1_11comp_targetILNS1_3genE3ELNS1_11target_archE908ELNS1_3gpuE7ELNS1_3repE0EEENS1_30default_config_static_selectorELNS0_4arch9wavefront6targetE0EEEvT1_
; %bb.0:
	.section	.rodata,"a",@progbits
	.p2align	6, 0x0
	.amdhsa_kernel _ZN7rocprim17ROCPRIM_400000_NS6detail17trampoline_kernelINS0_14default_configENS1_25transform_config_selectorIN3c107complexIdEELb1EEEZNS1_14transform_implILb1ES3_S8_PS7_SA_NS0_8identityIS7_EEEE10hipError_tT2_T3_mT4_P12ihipStream_tbEUlT_E_NS1_11comp_targetILNS1_3genE3ELNS1_11target_archE908ELNS1_3gpuE7ELNS1_3repE0EEENS1_30default_config_static_selectorELNS0_4arch9wavefront6targetE0EEEvT1_
		.amdhsa_group_segment_fixed_size 0
		.amdhsa_private_segment_fixed_size 0
		.amdhsa_kernarg_size 40
		.amdhsa_user_sgpr_count 15
		.amdhsa_user_sgpr_dispatch_ptr 0
		.amdhsa_user_sgpr_queue_ptr 0
		.amdhsa_user_sgpr_kernarg_segment_ptr 1
		.amdhsa_user_sgpr_dispatch_id 0
		.amdhsa_user_sgpr_private_segment_size 0
		.amdhsa_wavefront_size32 1
		.amdhsa_uses_dynamic_stack 0
		.amdhsa_enable_private_segment 0
		.amdhsa_system_sgpr_workgroup_id_x 1
		.amdhsa_system_sgpr_workgroup_id_y 0
		.amdhsa_system_sgpr_workgroup_id_z 0
		.amdhsa_system_sgpr_workgroup_info 0
		.amdhsa_system_vgpr_workitem_id 0
		.amdhsa_next_free_vgpr 1
		.amdhsa_next_free_sgpr 1
		.amdhsa_reserve_vcc 0
		.amdhsa_float_round_mode_32 0
		.amdhsa_float_round_mode_16_64 0
		.amdhsa_float_denorm_mode_32 3
		.amdhsa_float_denorm_mode_16_64 3
		.amdhsa_dx10_clamp 1
		.amdhsa_ieee_mode 1
		.amdhsa_fp16_overflow 0
		.amdhsa_workgroup_processor_mode 1
		.amdhsa_memory_ordered 1
		.amdhsa_forward_progress 0
		.amdhsa_shared_vgpr_count 0
		.amdhsa_exception_fp_ieee_invalid_op 0
		.amdhsa_exception_fp_denorm_src 0
		.amdhsa_exception_fp_ieee_div_zero 0
		.amdhsa_exception_fp_ieee_overflow 0
		.amdhsa_exception_fp_ieee_underflow 0
		.amdhsa_exception_fp_ieee_inexact 0
		.amdhsa_exception_int_div_zero 0
	.end_amdhsa_kernel
	.section	.text._ZN7rocprim17ROCPRIM_400000_NS6detail17trampoline_kernelINS0_14default_configENS1_25transform_config_selectorIN3c107complexIdEELb1EEEZNS1_14transform_implILb1ES3_S8_PS7_SA_NS0_8identityIS7_EEEE10hipError_tT2_T3_mT4_P12ihipStream_tbEUlT_E_NS1_11comp_targetILNS1_3genE3ELNS1_11target_archE908ELNS1_3gpuE7ELNS1_3repE0EEENS1_30default_config_static_selectorELNS0_4arch9wavefront6targetE0EEEvT1_,"axG",@progbits,_ZN7rocprim17ROCPRIM_400000_NS6detail17trampoline_kernelINS0_14default_configENS1_25transform_config_selectorIN3c107complexIdEELb1EEEZNS1_14transform_implILb1ES3_S8_PS7_SA_NS0_8identityIS7_EEEE10hipError_tT2_T3_mT4_P12ihipStream_tbEUlT_E_NS1_11comp_targetILNS1_3genE3ELNS1_11target_archE908ELNS1_3gpuE7ELNS1_3repE0EEENS1_30default_config_static_selectorELNS0_4arch9wavefront6targetE0EEEvT1_,comdat
.Lfunc_end193:
	.size	_ZN7rocprim17ROCPRIM_400000_NS6detail17trampoline_kernelINS0_14default_configENS1_25transform_config_selectorIN3c107complexIdEELb1EEEZNS1_14transform_implILb1ES3_S8_PS7_SA_NS0_8identityIS7_EEEE10hipError_tT2_T3_mT4_P12ihipStream_tbEUlT_E_NS1_11comp_targetILNS1_3genE3ELNS1_11target_archE908ELNS1_3gpuE7ELNS1_3repE0EEENS1_30default_config_static_selectorELNS0_4arch9wavefront6targetE0EEEvT1_, .Lfunc_end193-_ZN7rocprim17ROCPRIM_400000_NS6detail17trampoline_kernelINS0_14default_configENS1_25transform_config_selectorIN3c107complexIdEELb1EEEZNS1_14transform_implILb1ES3_S8_PS7_SA_NS0_8identityIS7_EEEE10hipError_tT2_T3_mT4_P12ihipStream_tbEUlT_E_NS1_11comp_targetILNS1_3genE3ELNS1_11target_archE908ELNS1_3gpuE7ELNS1_3repE0EEENS1_30default_config_static_selectorELNS0_4arch9wavefront6targetE0EEEvT1_
                                        ; -- End function
	.section	.AMDGPU.csdata,"",@progbits
; Kernel info:
; codeLenInByte = 0
; NumSgprs: 0
; NumVgprs: 0
; ScratchSize: 0
; MemoryBound: 0
; FloatMode: 240
; IeeeMode: 1
; LDSByteSize: 0 bytes/workgroup (compile time only)
; SGPRBlocks: 0
; VGPRBlocks: 0
; NumSGPRsForWavesPerEU: 1
; NumVGPRsForWavesPerEU: 1
; Occupancy: 16
; WaveLimiterHint : 0
; COMPUTE_PGM_RSRC2:SCRATCH_EN: 0
; COMPUTE_PGM_RSRC2:USER_SGPR: 15
; COMPUTE_PGM_RSRC2:TRAP_HANDLER: 0
; COMPUTE_PGM_RSRC2:TGID_X_EN: 1
; COMPUTE_PGM_RSRC2:TGID_Y_EN: 0
; COMPUTE_PGM_RSRC2:TGID_Z_EN: 0
; COMPUTE_PGM_RSRC2:TIDIG_COMP_CNT: 0
	.section	.text._ZN7rocprim17ROCPRIM_400000_NS6detail17trampoline_kernelINS0_14default_configENS1_25transform_config_selectorIN3c107complexIdEELb1EEEZNS1_14transform_implILb1ES3_S8_PS7_SA_NS0_8identityIS7_EEEE10hipError_tT2_T3_mT4_P12ihipStream_tbEUlT_E_NS1_11comp_targetILNS1_3genE2ELNS1_11target_archE906ELNS1_3gpuE6ELNS1_3repE0EEENS1_30default_config_static_selectorELNS0_4arch9wavefront6targetE0EEEvT1_,"axG",@progbits,_ZN7rocprim17ROCPRIM_400000_NS6detail17trampoline_kernelINS0_14default_configENS1_25transform_config_selectorIN3c107complexIdEELb1EEEZNS1_14transform_implILb1ES3_S8_PS7_SA_NS0_8identityIS7_EEEE10hipError_tT2_T3_mT4_P12ihipStream_tbEUlT_E_NS1_11comp_targetILNS1_3genE2ELNS1_11target_archE906ELNS1_3gpuE6ELNS1_3repE0EEENS1_30default_config_static_selectorELNS0_4arch9wavefront6targetE0EEEvT1_,comdat
	.protected	_ZN7rocprim17ROCPRIM_400000_NS6detail17trampoline_kernelINS0_14default_configENS1_25transform_config_selectorIN3c107complexIdEELb1EEEZNS1_14transform_implILb1ES3_S8_PS7_SA_NS0_8identityIS7_EEEE10hipError_tT2_T3_mT4_P12ihipStream_tbEUlT_E_NS1_11comp_targetILNS1_3genE2ELNS1_11target_archE906ELNS1_3gpuE6ELNS1_3repE0EEENS1_30default_config_static_selectorELNS0_4arch9wavefront6targetE0EEEvT1_ ; -- Begin function _ZN7rocprim17ROCPRIM_400000_NS6detail17trampoline_kernelINS0_14default_configENS1_25transform_config_selectorIN3c107complexIdEELb1EEEZNS1_14transform_implILb1ES3_S8_PS7_SA_NS0_8identityIS7_EEEE10hipError_tT2_T3_mT4_P12ihipStream_tbEUlT_E_NS1_11comp_targetILNS1_3genE2ELNS1_11target_archE906ELNS1_3gpuE6ELNS1_3repE0EEENS1_30default_config_static_selectorELNS0_4arch9wavefront6targetE0EEEvT1_
	.globl	_ZN7rocprim17ROCPRIM_400000_NS6detail17trampoline_kernelINS0_14default_configENS1_25transform_config_selectorIN3c107complexIdEELb1EEEZNS1_14transform_implILb1ES3_S8_PS7_SA_NS0_8identityIS7_EEEE10hipError_tT2_T3_mT4_P12ihipStream_tbEUlT_E_NS1_11comp_targetILNS1_3genE2ELNS1_11target_archE906ELNS1_3gpuE6ELNS1_3repE0EEENS1_30default_config_static_selectorELNS0_4arch9wavefront6targetE0EEEvT1_
	.p2align	8
	.type	_ZN7rocprim17ROCPRIM_400000_NS6detail17trampoline_kernelINS0_14default_configENS1_25transform_config_selectorIN3c107complexIdEELb1EEEZNS1_14transform_implILb1ES3_S8_PS7_SA_NS0_8identityIS7_EEEE10hipError_tT2_T3_mT4_P12ihipStream_tbEUlT_E_NS1_11comp_targetILNS1_3genE2ELNS1_11target_archE906ELNS1_3gpuE6ELNS1_3repE0EEENS1_30default_config_static_selectorELNS0_4arch9wavefront6targetE0EEEvT1_,@function
_ZN7rocprim17ROCPRIM_400000_NS6detail17trampoline_kernelINS0_14default_configENS1_25transform_config_selectorIN3c107complexIdEELb1EEEZNS1_14transform_implILb1ES3_S8_PS7_SA_NS0_8identityIS7_EEEE10hipError_tT2_T3_mT4_P12ihipStream_tbEUlT_E_NS1_11comp_targetILNS1_3genE2ELNS1_11target_archE906ELNS1_3gpuE6ELNS1_3repE0EEENS1_30default_config_static_selectorELNS0_4arch9wavefront6targetE0EEEvT1_: ; @_ZN7rocprim17ROCPRIM_400000_NS6detail17trampoline_kernelINS0_14default_configENS1_25transform_config_selectorIN3c107complexIdEELb1EEEZNS1_14transform_implILb1ES3_S8_PS7_SA_NS0_8identityIS7_EEEE10hipError_tT2_T3_mT4_P12ihipStream_tbEUlT_E_NS1_11comp_targetILNS1_3genE2ELNS1_11target_archE906ELNS1_3gpuE6ELNS1_3repE0EEENS1_30default_config_static_selectorELNS0_4arch9wavefront6targetE0EEEvT1_
; %bb.0:
	.section	.rodata,"a",@progbits
	.p2align	6, 0x0
	.amdhsa_kernel _ZN7rocprim17ROCPRIM_400000_NS6detail17trampoline_kernelINS0_14default_configENS1_25transform_config_selectorIN3c107complexIdEELb1EEEZNS1_14transform_implILb1ES3_S8_PS7_SA_NS0_8identityIS7_EEEE10hipError_tT2_T3_mT4_P12ihipStream_tbEUlT_E_NS1_11comp_targetILNS1_3genE2ELNS1_11target_archE906ELNS1_3gpuE6ELNS1_3repE0EEENS1_30default_config_static_selectorELNS0_4arch9wavefront6targetE0EEEvT1_
		.amdhsa_group_segment_fixed_size 0
		.amdhsa_private_segment_fixed_size 0
		.amdhsa_kernarg_size 40
		.amdhsa_user_sgpr_count 15
		.amdhsa_user_sgpr_dispatch_ptr 0
		.amdhsa_user_sgpr_queue_ptr 0
		.amdhsa_user_sgpr_kernarg_segment_ptr 1
		.amdhsa_user_sgpr_dispatch_id 0
		.amdhsa_user_sgpr_private_segment_size 0
		.amdhsa_wavefront_size32 1
		.amdhsa_uses_dynamic_stack 0
		.amdhsa_enable_private_segment 0
		.amdhsa_system_sgpr_workgroup_id_x 1
		.amdhsa_system_sgpr_workgroup_id_y 0
		.amdhsa_system_sgpr_workgroup_id_z 0
		.amdhsa_system_sgpr_workgroup_info 0
		.amdhsa_system_vgpr_workitem_id 0
		.amdhsa_next_free_vgpr 1
		.amdhsa_next_free_sgpr 1
		.amdhsa_reserve_vcc 0
		.amdhsa_float_round_mode_32 0
		.amdhsa_float_round_mode_16_64 0
		.amdhsa_float_denorm_mode_32 3
		.amdhsa_float_denorm_mode_16_64 3
		.amdhsa_dx10_clamp 1
		.amdhsa_ieee_mode 1
		.amdhsa_fp16_overflow 0
		.amdhsa_workgroup_processor_mode 1
		.amdhsa_memory_ordered 1
		.amdhsa_forward_progress 0
		.amdhsa_shared_vgpr_count 0
		.amdhsa_exception_fp_ieee_invalid_op 0
		.amdhsa_exception_fp_denorm_src 0
		.amdhsa_exception_fp_ieee_div_zero 0
		.amdhsa_exception_fp_ieee_overflow 0
		.amdhsa_exception_fp_ieee_underflow 0
		.amdhsa_exception_fp_ieee_inexact 0
		.amdhsa_exception_int_div_zero 0
	.end_amdhsa_kernel
	.section	.text._ZN7rocprim17ROCPRIM_400000_NS6detail17trampoline_kernelINS0_14default_configENS1_25transform_config_selectorIN3c107complexIdEELb1EEEZNS1_14transform_implILb1ES3_S8_PS7_SA_NS0_8identityIS7_EEEE10hipError_tT2_T3_mT4_P12ihipStream_tbEUlT_E_NS1_11comp_targetILNS1_3genE2ELNS1_11target_archE906ELNS1_3gpuE6ELNS1_3repE0EEENS1_30default_config_static_selectorELNS0_4arch9wavefront6targetE0EEEvT1_,"axG",@progbits,_ZN7rocprim17ROCPRIM_400000_NS6detail17trampoline_kernelINS0_14default_configENS1_25transform_config_selectorIN3c107complexIdEELb1EEEZNS1_14transform_implILb1ES3_S8_PS7_SA_NS0_8identityIS7_EEEE10hipError_tT2_T3_mT4_P12ihipStream_tbEUlT_E_NS1_11comp_targetILNS1_3genE2ELNS1_11target_archE906ELNS1_3gpuE6ELNS1_3repE0EEENS1_30default_config_static_selectorELNS0_4arch9wavefront6targetE0EEEvT1_,comdat
.Lfunc_end194:
	.size	_ZN7rocprim17ROCPRIM_400000_NS6detail17trampoline_kernelINS0_14default_configENS1_25transform_config_selectorIN3c107complexIdEELb1EEEZNS1_14transform_implILb1ES3_S8_PS7_SA_NS0_8identityIS7_EEEE10hipError_tT2_T3_mT4_P12ihipStream_tbEUlT_E_NS1_11comp_targetILNS1_3genE2ELNS1_11target_archE906ELNS1_3gpuE6ELNS1_3repE0EEENS1_30default_config_static_selectorELNS0_4arch9wavefront6targetE0EEEvT1_, .Lfunc_end194-_ZN7rocprim17ROCPRIM_400000_NS6detail17trampoline_kernelINS0_14default_configENS1_25transform_config_selectorIN3c107complexIdEELb1EEEZNS1_14transform_implILb1ES3_S8_PS7_SA_NS0_8identityIS7_EEEE10hipError_tT2_T3_mT4_P12ihipStream_tbEUlT_E_NS1_11comp_targetILNS1_3genE2ELNS1_11target_archE906ELNS1_3gpuE6ELNS1_3repE0EEENS1_30default_config_static_selectorELNS0_4arch9wavefront6targetE0EEEvT1_
                                        ; -- End function
	.section	.AMDGPU.csdata,"",@progbits
; Kernel info:
; codeLenInByte = 0
; NumSgprs: 0
; NumVgprs: 0
; ScratchSize: 0
; MemoryBound: 0
; FloatMode: 240
; IeeeMode: 1
; LDSByteSize: 0 bytes/workgroup (compile time only)
; SGPRBlocks: 0
; VGPRBlocks: 0
; NumSGPRsForWavesPerEU: 1
; NumVGPRsForWavesPerEU: 1
; Occupancy: 16
; WaveLimiterHint : 0
; COMPUTE_PGM_RSRC2:SCRATCH_EN: 0
; COMPUTE_PGM_RSRC2:USER_SGPR: 15
; COMPUTE_PGM_RSRC2:TRAP_HANDLER: 0
; COMPUTE_PGM_RSRC2:TGID_X_EN: 1
; COMPUTE_PGM_RSRC2:TGID_Y_EN: 0
; COMPUTE_PGM_RSRC2:TGID_Z_EN: 0
; COMPUTE_PGM_RSRC2:TIDIG_COMP_CNT: 0
	.section	.text._ZN7rocprim17ROCPRIM_400000_NS6detail17trampoline_kernelINS0_14default_configENS1_25transform_config_selectorIN3c107complexIdEELb1EEEZNS1_14transform_implILb1ES3_S8_PS7_SA_NS0_8identityIS7_EEEE10hipError_tT2_T3_mT4_P12ihipStream_tbEUlT_E_NS1_11comp_targetILNS1_3genE9ELNS1_11target_archE1100ELNS1_3gpuE3ELNS1_3repE0EEENS1_30default_config_static_selectorELNS0_4arch9wavefront6targetE0EEEvT1_,"axG",@progbits,_ZN7rocprim17ROCPRIM_400000_NS6detail17trampoline_kernelINS0_14default_configENS1_25transform_config_selectorIN3c107complexIdEELb1EEEZNS1_14transform_implILb1ES3_S8_PS7_SA_NS0_8identityIS7_EEEE10hipError_tT2_T3_mT4_P12ihipStream_tbEUlT_E_NS1_11comp_targetILNS1_3genE9ELNS1_11target_archE1100ELNS1_3gpuE3ELNS1_3repE0EEENS1_30default_config_static_selectorELNS0_4arch9wavefront6targetE0EEEvT1_,comdat
	.protected	_ZN7rocprim17ROCPRIM_400000_NS6detail17trampoline_kernelINS0_14default_configENS1_25transform_config_selectorIN3c107complexIdEELb1EEEZNS1_14transform_implILb1ES3_S8_PS7_SA_NS0_8identityIS7_EEEE10hipError_tT2_T3_mT4_P12ihipStream_tbEUlT_E_NS1_11comp_targetILNS1_3genE9ELNS1_11target_archE1100ELNS1_3gpuE3ELNS1_3repE0EEENS1_30default_config_static_selectorELNS0_4arch9wavefront6targetE0EEEvT1_ ; -- Begin function _ZN7rocprim17ROCPRIM_400000_NS6detail17trampoline_kernelINS0_14default_configENS1_25transform_config_selectorIN3c107complexIdEELb1EEEZNS1_14transform_implILb1ES3_S8_PS7_SA_NS0_8identityIS7_EEEE10hipError_tT2_T3_mT4_P12ihipStream_tbEUlT_E_NS1_11comp_targetILNS1_3genE9ELNS1_11target_archE1100ELNS1_3gpuE3ELNS1_3repE0EEENS1_30default_config_static_selectorELNS0_4arch9wavefront6targetE0EEEvT1_
	.globl	_ZN7rocprim17ROCPRIM_400000_NS6detail17trampoline_kernelINS0_14default_configENS1_25transform_config_selectorIN3c107complexIdEELb1EEEZNS1_14transform_implILb1ES3_S8_PS7_SA_NS0_8identityIS7_EEEE10hipError_tT2_T3_mT4_P12ihipStream_tbEUlT_E_NS1_11comp_targetILNS1_3genE9ELNS1_11target_archE1100ELNS1_3gpuE3ELNS1_3repE0EEENS1_30default_config_static_selectorELNS0_4arch9wavefront6targetE0EEEvT1_
	.p2align	8
	.type	_ZN7rocprim17ROCPRIM_400000_NS6detail17trampoline_kernelINS0_14default_configENS1_25transform_config_selectorIN3c107complexIdEELb1EEEZNS1_14transform_implILb1ES3_S8_PS7_SA_NS0_8identityIS7_EEEE10hipError_tT2_T3_mT4_P12ihipStream_tbEUlT_E_NS1_11comp_targetILNS1_3genE9ELNS1_11target_archE1100ELNS1_3gpuE3ELNS1_3repE0EEENS1_30default_config_static_selectorELNS0_4arch9wavefront6targetE0EEEvT1_,@function
_ZN7rocprim17ROCPRIM_400000_NS6detail17trampoline_kernelINS0_14default_configENS1_25transform_config_selectorIN3c107complexIdEELb1EEEZNS1_14transform_implILb1ES3_S8_PS7_SA_NS0_8identityIS7_EEEE10hipError_tT2_T3_mT4_P12ihipStream_tbEUlT_E_NS1_11comp_targetILNS1_3genE9ELNS1_11target_archE1100ELNS1_3gpuE3ELNS1_3repE0EEENS1_30default_config_static_selectorELNS0_4arch9wavefront6targetE0EEEvT1_: ; @_ZN7rocprim17ROCPRIM_400000_NS6detail17trampoline_kernelINS0_14default_configENS1_25transform_config_selectorIN3c107complexIdEELb1EEEZNS1_14transform_implILb1ES3_S8_PS7_SA_NS0_8identityIS7_EEEE10hipError_tT2_T3_mT4_P12ihipStream_tbEUlT_E_NS1_11comp_targetILNS1_3genE9ELNS1_11target_archE1100ELNS1_3gpuE3ELNS1_3repE0EEENS1_30default_config_static_selectorELNS0_4arch9wavefront6targetE0EEEvT1_
; %bb.0:
	s_clause 0x1
	s_load_b32 s2, s[0:1], 0x28
	s_load_b32 s3, s[0:1], 0x10
	s_waitcnt lgkmcnt(0)
	s_add_i32 s4, s2, -1
	s_lshl_b32 s2, s15, 10
	s_cmp_lg_u32 s15, s4
	s_cselect_b32 s4, -1, 0
	s_sub_i32 s3, s3, s2
	s_delay_alu instid0(SALU_CYCLE_1) | instskip(SKIP_1) | instid1(SALU_CYCLE_1)
	v_cmp_gt_u32_e32 vcc_lo, s3, v0
	s_or_b32 s3, vcc_lo, s4
	s_and_saveexec_b32 s4, s3
	s_cbranch_execz .LBB195_2
; %bb.1:
	s_clause 0x1
	s_load_b128 s[4:7], s[0:1], 0x0
	s_load_b64 s[0:1], s[0:1], 0x18
	s_mov_b32 s3, 0
	v_lshlrev_b32_e32 v4, 4, v0
	s_waitcnt lgkmcnt(0)
	s_lshl_b64 s[6:7], s[6:7], 4
	s_delay_alu instid0(SALU_CYCLE_1) | instskip(SKIP_2) | instid1(SALU_CYCLE_1)
	s_add_u32 s4, s4, s6
	s_addc_u32 s5, s5, s7
	s_lshl_b64 s[2:3], s[2:3], 4
	s_add_u32 s4, s4, s2
	s_addc_u32 s5, s5, s3
	s_add_u32 s0, s0, s6
	global_load_b128 v[0:3], v4, s[4:5]
	s_addc_u32 s1, s1, s7
	s_add_u32 s0, s0, s2
	s_addc_u32 s1, s1, s3
	s_waitcnt vmcnt(0)
	global_store_b128 v4, v[0:3], s[0:1]
.LBB195_2:
	s_nop 0
	s_sendmsg sendmsg(MSG_DEALLOC_VGPRS)
	s_endpgm
	.section	.rodata,"a",@progbits
	.p2align	6, 0x0
	.amdhsa_kernel _ZN7rocprim17ROCPRIM_400000_NS6detail17trampoline_kernelINS0_14default_configENS1_25transform_config_selectorIN3c107complexIdEELb1EEEZNS1_14transform_implILb1ES3_S8_PS7_SA_NS0_8identityIS7_EEEE10hipError_tT2_T3_mT4_P12ihipStream_tbEUlT_E_NS1_11comp_targetILNS1_3genE9ELNS1_11target_archE1100ELNS1_3gpuE3ELNS1_3repE0EEENS1_30default_config_static_selectorELNS0_4arch9wavefront6targetE0EEEvT1_
		.amdhsa_group_segment_fixed_size 0
		.amdhsa_private_segment_fixed_size 0
		.amdhsa_kernarg_size 296
		.amdhsa_user_sgpr_count 15
		.amdhsa_user_sgpr_dispatch_ptr 0
		.amdhsa_user_sgpr_queue_ptr 0
		.amdhsa_user_sgpr_kernarg_segment_ptr 1
		.amdhsa_user_sgpr_dispatch_id 0
		.amdhsa_user_sgpr_private_segment_size 0
		.amdhsa_wavefront_size32 1
		.amdhsa_uses_dynamic_stack 0
		.amdhsa_enable_private_segment 0
		.amdhsa_system_sgpr_workgroup_id_x 1
		.amdhsa_system_sgpr_workgroup_id_y 0
		.amdhsa_system_sgpr_workgroup_id_z 0
		.amdhsa_system_sgpr_workgroup_info 0
		.amdhsa_system_vgpr_workitem_id 0
		.amdhsa_next_free_vgpr 5
		.amdhsa_next_free_sgpr 16
		.amdhsa_reserve_vcc 1
		.amdhsa_float_round_mode_32 0
		.amdhsa_float_round_mode_16_64 0
		.amdhsa_float_denorm_mode_32 3
		.amdhsa_float_denorm_mode_16_64 3
		.amdhsa_dx10_clamp 1
		.amdhsa_ieee_mode 1
		.amdhsa_fp16_overflow 0
		.amdhsa_workgroup_processor_mode 1
		.amdhsa_memory_ordered 1
		.amdhsa_forward_progress 0
		.amdhsa_shared_vgpr_count 0
		.amdhsa_exception_fp_ieee_invalid_op 0
		.amdhsa_exception_fp_denorm_src 0
		.amdhsa_exception_fp_ieee_div_zero 0
		.amdhsa_exception_fp_ieee_overflow 0
		.amdhsa_exception_fp_ieee_underflow 0
		.amdhsa_exception_fp_ieee_inexact 0
		.amdhsa_exception_int_div_zero 0
	.end_amdhsa_kernel
	.section	.text._ZN7rocprim17ROCPRIM_400000_NS6detail17trampoline_kernelINS0_14default_configENS1_25transform_config_selectorIN3c107complexIdEELb1EEEZNS1_14transform_implILb1ES3_S8_PS7_SA_NS0_8identityIS7_EEEE10hipError_tT2_T3_mT4_P12ihipStream_tbEUlT_E_NS1_11comp_targetILNS1_3genE9ELNS1_11target_archE1100ELNS1_3gpuE3ELNS1_3repE0EEENS1_30default_config_static_selectorELNS0_4arch9wavefront6targetE0EEEvT1_,"axG",@progbits,_ZN7rocprim17ROCPRIM_400000_NS6detail17trampoline_kernelINS0_14default_configENS1_25transform_config_selectorIN3c107complexIdEELb1EEEZNS1_14transform_implILb1ES3_S8_PS7_SA_NS0_8identityIS7_EEEE10hipError_tT2_T3_mT4_P12ihipStream_tbEUlT_E_NS1_11comp_targetILNS1_3genE9ELNS1_11target_archE1100ELNS1_3gpuE3ELNS1_3repE0EEENS1_30default_config_static_selectorELNS0_4arch9wavefront6targetE0EEEvT1_,comdat
.Lfunc_end195:
	.size	_ZN7rocprim17ROCPRIM_400000_NS6detail17trampoline_kernelINS0_14default_configENS1_25transform_config_selectorIN3c107complexIdEELb1EEEZNS1_14transform_implILb1ES3_S8_PS7_SA_NS0_8identityIS7_EEEE10hipError_tT2_T3_mT4_P12ihipStream_tbEUlT_E_NS1_11comp_targetILNS1_3genE9ELNS1_11target_archE1100ELNS1_3gpuE3ELNS1_3repE0EEENS1_30default_config_static_selectorELNS0_4arch9wavefront6targetE0EEEvT1_, .Lfunc_end195-_ZN7rocprim17ROCPRIM_400000_NS6detail17trampoline_kernelINS0_14default_configENS1_25transform_config_selectorIN3c107complexIdEELb1EEEZNS1_14transform_implILb1ES3_S8_PS7_SA_NS0_8identityIS7_EEEE10hipError_tT2_T3_mT4_P12ihipStream_tbEUlT_E_NS1_11comp_targetILNS1_3genE9ELNS1_11target_archE1100ELNS1_3gpuE3ELNS1_3repE0EEENS1_30default_config_static_selectorELNS0_4arch9wavefront6targetE0EEEvT1_
                                        ; -- End function
	.section	.AMDGPU.csdata,"",@progbits
; Kernel info:
; codeLenInByte = 172
; NumSgprs: 18
; NumVgprs: 5
; ScratchSize: 0
; MemoryBound: 0
; FloatMode: 240
; IeeeMode: 1
; LDSByteSize: 0 bytes/workgroup (compile time only)
; SGPRBlocks: 2
; VGPRBlocks: 0
; NumSGPRsForWavesPerEU: 18
; NumVGPRsForWavesPerEU: 5
; Occupancy: 16
; WaveLimiterHint : 0
; COMPUTE_PGM_RSRC2:SCRATCH_EN: 0
; COMPUTE_PGM_RSRC2:USER_SGPR: 15
; COMPUTE_PGM_RSRC2:TRAP_HANDLER: 0
; COMPUTE_PGM_RSRC2:TGID_X_EN: 1
; COMPUTE_PGM_RSRC2:TGID_Y_EN: 0
; COMPUTE_PGM_RSRC2:TGID_Z_EN: 0
; COMPUTE_PGM_RSRC2:TIDIG_COMP_CNT: 0
	.section	.text._ZN7rocprim17ROCPRIM_400000_NS6detail17trampoline_kernelINS0_14default_configENS1_25transform_config_selectorIN3c107complexIdEELb1EEEZNS1_14transform_implILb1ES3_S8_PS7_SA_NS0_8identityIS7_EEEE10hipError_tT2_T3_mT4_P12ihipStream_tbEUlT_E_NS1_11comp_targetILNS1_3genE8ELNS1_11target_archE1030ELNS1_3gpuE2ELNS1_3repE0EEENS1_30default_config_static_selectorELNS0_4arch9wavefront6targetE0EEEvT1_,"axG",@progbits,_ZN7rocprim17ROCPRIM_400000_NS6detail17trampoline_kernelINS0_14default_configENS1_25transform_config_selectorIN3c107complexIdEELb1EEEZNS1_14transform_implILb1ES3_S8_PS7_SA_NS0_8identityIS7_EEEE10hipError_tT2_T3_mT4_P12ihipStream_tbEUlT_E_NS1_11comp_targetILNS1_3genE8ELNS1_11target_archE1030ELNS1_3gpuE2ELNS1_3repE0EEENS1_30default_config_static_selectorELNS0_4arch9wavefront6targetE0EEEvT1_,comdat
	.protected	_ZN7rocprim17ROCPRIM_400000_NS6detail17trampoline_kernelINS0_14default_configENS1_25transform_config_selectorIN3c107complexIdEELb1EEEZNS1_14transform_implILb1ES3_S8_PS7_SA_NS0_8identityIS7_EEEE10hipError_tT2_T3_mT4_P12ihipStream_tbEUlT_E_NS1_11comp_targetILNS1_3genE8ELNS1_11target_archE1030ELNS1_3gpuE2ELNS1_3repE0EEENS1_30default_config_static_selectorELNS0_4arch9wavefront6targetE0EEEvT1_ ; -- Begin function _ZN7rocprim17ROCPRIM_400000_NS6detail17trampoline_kernelINS0_14default_configENS1_25transform_config_selectorIN3c107complexIdEELb1EEEZNS1_14transform_implILb1ES3_S8_PS7_SA_NS0_8identityIS7_EEEE10hipError_tT2_T3_mT4_P12ihipStream_tbEUlT_E_NS1_11comp_targetILNS1_3genE8ELNS1_11target_archE1030ELNS1_3gpuE2ELNS1_3repE0EEENS1_30default_config_static_selectorELNS0_4arch9wavefront6targetE0EEEvT1_
	.globl	_ZN7rocprim17ROCPRIM_400000_NS6detail17trampoline_kernelINS0_14default_configENS1_25transform_config_selectorIN3c107complexIdEELb1EEEZNS1_14transform_implILb1ES3_S8_PS7_SA_NS0_8identityIS7_EEEE10hipError_tT2_T3_mT4_P12ihipStream_tbEUlT_E_NS1_11comp_targetILNS1_3genE8ELNS1_11target_archE1030ELNS1_3gpuE2ELNS1_3repE0EEENS1_30default_config_static_selectorELNS0_4arch9wavefront6targetE0EEEvT1_
	.p2align	8
	.type	_ZN7rocprim17ROCPRIM_400000_NS6detail17trampoline_kernelINS0_14default_configENS1_25transform_config_selectorIN3c107complexIdEELb1EEEZNS1_14transform_implILb1ES3_S8_PS7_SA_NS0_8identityIS7_EEEE10hipError_tT2_T3_mT4_P12ihipStream_tbEUlT_E_NS1_11comp_targetILNS1_3genE8ELNS1_11target_archE1030ELNS1_3gpuE2ELNS1_3repE0EEENS1_30default_config_static_selectorELNS0_4arch9wavefront6targetE0EEEvT1_,@function
_ZN7rocprim17ROCPRIM_400000_NS6detail17trampoline_kernelINS0_14default_configENS1_25transform_config_selectorIN3c107complexIdEELb1EEEZNS1_14transform_implILb1ES3_S8_PS7_SA_NS0_8identityIS7_EEEE10hipError_tT2_T3_mT4_P12ihipStream_tbEUlT_E_NS1_11comp_targetILNS1_3genE8ELNS1_11target_archE1030ELNS1_3gpuE2ELNS1_3repE0EEENS1_30default_config_static_selectorELNS0_4arch9wavefront6targetE0EEEvT1_: ; @_ZN7rocprim17ROCPRIM_400000_NS6detail17trampoline_kernelINS0_14default_configENS1_25transform_config_selectorIN3c107complexIdEELb1EEEZNS1_14transform_implILb1ES3_S8_PS7_SA_NS0_8identityIS7_EEEE10hipError_tT2_T3_mT4_P12ihipStream_tbEUlT_E_NS1_11comp_targetILNS1_3genE8ELNS1_11target_archE1030ELNS1_3gpuE2ELNS1_3repE0EEENS1_30default_config_static_selectorELNS0_4arch9wavefront6targetE0EEEvT1_
; %bb.0:
	.section	.rodata,"a",@progbits
	.p2align	6, 0x0
	.amdhsa_kernel _ZN7rocprim17ROCPRIM_400000_NS6detail17trampoline_kernelINS0_14default_configENS1_25transform_config_selectorIN3c107complexIdEELb1EEEZNS1_14transform_implILb1ES3_S8_PS7_SA_NS0_8identityIS7_EEEE10hipError_tT2_T3_mT4_P12ihipStream_tbEUlT_E_NS1_11comp_targetILNS1_3genE8ELNS1_11target_archE1030ELNS1_3gpuE2ELNS1_3repE0EEENS1_30default_config_static_selectorELNS0_4arch9wavefront6targetE0EEEvT1_
		.amdhsa_group_segment_fixed_size 0
		.amdhsa_private_segment_fixed_size 0
		.amdhsa_kernarg_size 40
		.amdhsa_user_sgpr_count 15
		.amdhsa_user_sgpr_dispatch_ptr 0
		.amdhsa_user_sgpr_queue_ptr 0
		.amdhsa_user_sgpr_kernarg_segment_ptr 1
		.amdhsa_user_sgpr_dispatch_id 0
		.amdhsa_user_sgpr_private_segment_size 0
		.amdhsa_wavefront_size32 1
		.amdhsa_uses_dynamic_stack 0
		.amdhsa_enable_private_segment 0
		.amdhsa_system_sgpr_workgroup_id_x 1
		.amdhsa_system_sgpr_workgroup_id_y 0
		.amdhsa_system_sgpr_workgroup_id_z 0
		.amdhsa_system_sgpr_workgroup_info 0
		.amdhsa_system_vgpr_workitem_id 0
		.amdhsa_next_free_vgpr 1
		.amdhsa_next_free_sgpr 1
		.amdhsa_reserve_vcc 0
		.amdhsa_float_round_mode_32 0
		.amdhsa_float_round_mode_16_64 0
		.amdhsa_float_denorm_mode_32 3
		.amdhsa_float_denorm_mode_16_64 3
		.amdhsa_dx10_clamp 1
		.amdhsa_ieee_mode 1
		.amdhsa_fp16_overflow 0
		.amdhsa_workgroup_processor_mode 1
		.amdhsa_memory_ordered 1
		.amdhsa_forward_progress 0
		.amdhsa_shared_vgpr_count 0
		.amdhsa_exception_fp_ieee_invalid_op 0
		.amdhsa_exception_fp_denorm_src 0
		.amdhsa_exception_fp_ieee_div_zero 0
		.amdhsa_exception_fp_ieee_overflow 0
		.amdhsa_exception_fp_ieee_underflow 0
		.amdhsa_exception_fp_ieee_inexact 0
		.amdhsa_exception_int_div_zero 0
	.end_amdhsa_kernel
	.section	.text._ZN7rocprim17ROCPRIM_400000_NS6detail17trampoline_kernelINS0_14default_configENS1_25transform_config_selectorIN3c107complexIdEELb1EEEZNS1_14transform_implILb1ES3_S8_PS7_SA_NS0_8identityIS7_EEEE10hipError_tT2_T3_mT4_P12ihipStream_tbEUlT_E_NS1_11comp_targetILNS1_3genE8ELNS1_11target_archE1030ELNS1_3gpuE2ELNS1_3repE0EEENS1_30default_config_static_selectorELNS0_4arch9wavefront6targetE0EEEvT1_,"axG",@progbits,_ZN7rocprim17ROCPRIM_400000_NS6detail17trampoline_kernelINS0_14default_configENS1_25transform_config_selectorIN3c107complexIdEELb1EEEZNS1_14transform_implILb1ES3_S8_PS7_SA_NS0_8identityIS7_EEEE10hipError_tT2_T3_mT4_P12ihipStream_tbEUlT_E_NS1_11comp_targetILNS1_3genE8ELNS1_11target_archE1030ELNS1_3gpuE2ELNS1_3repE0EEENS1_30default_config_static_selectorELNS0_4arch9wavefront6targetE0EEEvT1_,comdat
.Lfunc_end196:
	.size	_ZN7rocprim17ROCPRIM_400000_NS6detail17trampoline_kernelINS0_14default_configENS1_25transform_config_selectorIN3c107complexIdEELb1EEEZNS1_14transform_implILb1ES3_S8_PS7_SA_NS0_8identityIS7_EEEE10hipError_tT2_T3_mT4_P12ihipStream_tbEUlT_E_NS1_11comp_targetILNS1_3genE8ELNS1_11target_archE1030ELNS1_3gpuE2ELNS1_3repE0EEENS1_30default_config_static_selectorELNS0_4arch9wavefront6targetE0EEEvT1_, .Lfunc_end196-_ZN7rocprim17ROCPRIM_400000_NS6detail17trampoline_kernelINS0_14default_configENS1_25transform_config_selectorIN3c107complexIdEELb1EEEZNS1_14transform_implILb1ES3_S8_PS7_SA_NS0_8identityIS7_EEEE10hipError_tT2_T3_mT4_P12ihipStream_tbEUlT_E_NS1_11comp_targetILNS1_3genE8ELNS1_11target_archE1030ELNS1_3gpuE2ELNS1_3repE0EEENS1_30default_config_static_selectorELNS0_4arch9wavefront6targetE0EEEvT1_
                                        ; -- End function
	.section	.AMDGPU.csdata,"",@progbits
; Kernel info:
; codeLenInByte = 0
; NumSgprs: 0
; NumVgprs: 0
; ScratchSize: 0
; MemoryBound: 0
; FloatMode: 240
; IeeeMode: 1
; LDSByteSize: 0 bytes/workgroup (compile time only)
; SGPRBlocks: 0
; VGPRBlocks: 0
; NumSGPRsForWavesPerEU: 1
; NumVGPRsForWavesPerEU: 1
; Occupancy: 16
; WaveLimiterHint : 0
; COMPUTE_PGM_RSRC2:SCRATCH_EN: 0
; COMPUTE_PGM_RSRC2:USER_SGPR: 15
; COMPUTE_PGM_RSRC2:TRAP_HANDLER: 0
; COMPUTE_PGM_RSRC2:TGID_X_EN: 1
; COMPUTE_PGM_RSRC2:TGID_Y_EN: 0
; COMPUTE_PGM_RSRC2:TGID_Z_EN: 0
; COMPUTE_PGM_RSRC2:TIDIG_COMP_CNT: 0
	.section	.text._ZN7rocprim17ROCPRIM_400000_NS6detail17trampoline_kernelINS0_14default_configENS1_20scan_config_selectorIN3c107complexIdEEEEZZNS1_9scan_implILNS1_25lookback_scan_determinismE0ELb0ELb0ES3_PKS7_PS7_S7_ZZZN2at6native31launch_logcumsumexp_cuda_kernelERKNSE_10TensorBaseESI_lENKUlvE_clEvENKUlvE1_clEvEUlS7_S7_E_S7_EEDaPvRmT3_T4_T5_mT6_P12ihipStream_tbENKUlT_T0_E_clISt17integral_constantIbLb0EESZ_EEDaSU_SV_EUlSU_E0_NS1_11comp_targetILNS1_3genE0ELNS1_11target_archE4294967295ELNS1_3gpuE0ELNS1_3repE0EEENS1_30default_config_static_selectorELNS0_4arch9wavefront6targetE0EEEvT1_,"axG",@progbits,_ZN7rocprim17ROCPRIM_400000_NS6detail17trampoline_kernelINS0_14default_configENS1_20scan_config_selectorIN3c107complexIdEEEEZZNS1_9scan_implILNS1_25lookback_scan_determinismE0ELb0ELb0ES3_PKS7_PS7_S7_ZZZN2at6native31launch_logcumsumexp_cuda_kernelERKNSE_10TensorBaseESI_lENKUlvE_clEvENKUlvE1_clEvEUlS7_S7_E_S7_EEDaPvRmT3_T4_T5_mT6_P12ihipStream_tbENKUlT_T0_E_clISt17integral_constantIbLb0EESZ_EEDaSU_SV_EUlSU_E0_NS1_11comp_targetILNS1_3genE0ELNS1_11target_archE4294967295ELNS1_3gpuE0ELNS1_3repE0EEENS1_30default_config_static_selectorELNS0_4arch9wavefront6targetE0EEEvT1_,comdat
	.globl	_ZN7rocprim17ROCPRIM_400000_NS6detail17trampoline_kernelINS0_14default_configENS1_20scan_config_selectorIN3c107complexIdEEEEZZNS1_9scan_implILNS1_25lookback_scan_determinismE0ELb0ELb0ES3_PKS7_PS7_S7_ZZZN2at6native31launch_logcumsumexp_cuda_kernelERKNSE_10TensorBaseESI_lENKUlvE_clEvENKUlvE1_clEvEUlS7_S7_E_S7_EEDaPvRmT3_T4_T5_mT6_P12ihipStream_tbENKUlT_T0_E_clISt17integral_constantIbLb0EESZ_EEDaSU_SV_EUlSU_E0_NS1_11comp_targetILNS1_3genE0ELNS1_11target_archE4294967295ELNS1_3gpuE0ELNS1_3repE0EEENS1_30default_config_static_selectorELNS0_4arch9wavefront6targetE0EEEvT1_ ; -- Begin function _ZN7rocprim17ROCPRIM_400000_NS6detail17trampoline_kernelINS0_14default_configENS1_20scan_config_selectorIN3c107complexIdEEEEZZNS1_9scan_implILNS1_25lookback_scan_determinismE0ELb0ELb0ES3_PKS7_PS7_S7_ZZZN2at6native31launch_logcumsumexp_cuda_kernelERKNSE_10TensorBaseESI_lENKUlvE_clEvENKUlvE1_clEvEUlS7_S7_E_S7_EEDaPvRmT3_T4_T5_mT6_P12ihipStream_tbENKUlT_T0_E_clISt17integral_constantIbLb0EESZ_EEDaSU_SV_EUlSU_E0_NS1_11comp_targetILNS1_3genE0ELNS1_11target_archE4294967295ELNS1_3gpuE0ELNS1_3repE0EEENS1_30default_config_static_selectorELNS0_4arch9wavefront6targetE0EEEvT1_
	.p2align	8
	.type	_ZN7rocprim17ROCPRIM_400000_NS6detail17trampoline_kernelINS0_14default_configENS1_20scan_config_selectorIN3c107complexIdEEEEZZNS1_9scan_implILNS1_25lookback_scan_determinismE0ELb0ELb0ES3_PKS7_PS7_S7_ZZZN2at6native31launch_logcumsumexp_cuda_kernelERKNSE_10TensorBaseESI_lENKUlvE_clEvENKUlvE1_clEvEUlS7_S7_E_S7_EEDaPvRmT3_T4_T5_mT6_P12ihipStream_tbENKUlT_T0_E_clISt17integral_constantIbLb0EESZ_EEDaSU_SV_EUlSU_E0_NS1_11comp_targetILNS1_3genE0ELNS1_11target_archE4294967295ELNS1_3gpuE0ELNS1_3repE0EEENS1_30default_config_static_selectorELNS0_4arch9wavefront6targetE0EEEvT1_,@function
_ZN7rocprim17ROCPRIM_400000_NS6detail17trampoline_kernelINS0_14default_configENS1_20scan_config_selectorIN3c107complexIdEEEEZZNS1_9scan_implILNS1_25lookback_scan_determinismE0ELb0ELb0ES3_PKS7_PS7_S7_ZZZN2at6native31launch_logcumsumexp_cuda_kernelERKNSE_10TensorBaseESI_lENKUlvE_clEvENKUlvE1_clEvEUlS7_S7_E_S7_EEDaPvRmT3_T4_T5_mT6_P12ihipStream_tbENKUlT_T0_E_clISt17integral_constantIbLb0EESZ_EEDaSU_SV_EUlSU_E0_NS1_11comp_targetILNS1_3genE0ELNS1_11target_archE4294967295ELNS1_3gpuE0ELNS1_3repE0EEENS1_30default_config_static_selectorELNS0_4arch9wavefront6targetE0EEEvT1_: ; @_ZN7rocprim17ROCPRIM_400000_NS6detail17trampoline_kernelINS0_14default_configENS1_20scan_config_selectorIN3c107complexIdEEEEZZNS1_9scan_implILNS1_25lookback_scan_determinismE0ELb0ELb0ES3_PKS7_PS7_S7_ZZZN2at6native31launch_logcumsumexp_cuda_kernelERKNSE_10TensorBaseESI_lENKUlvE_clEvENKUlvE1_clEvEUlS7_S7_E_S7_EEDaPvRmT3_T4_T5_mT6_P12ihipStream_tbENKUlT_T0_E_clISt17integral_constantIbLb0EESZ_EEDaSU_SV_EUlSU_E0_NS1_11comp_targetILNS1_3genE0ELNS1_11target_archE4294967295ELNS1_3gpuE0ELNS1_3repE0EEENS1_30default_config_static_selectorELNS0_4arch9wavefront6targetE0EEEvT1_
; %bb.0:
	.section	.rodata,"a",@progbits
	.p2align	6, 0x0
	.amdhsa_kernel _ZN7rocprim17ROCPRIM_400000_NS6detail17trampoline_kernelINS0_14default_configENS1_20scan_config_selectorIN3c107complexIdEEEEZZNS1_9scan_implILNS1_25lookback_scan_determinismE0ELb0ELb0ES3_PKS7_PS7_S7_ZZZN2at6native31launch_logcumsumexp_cuda_kernelERKNSE_10TensorBaseESI_lENKUlvE_clEvENKUlvE1_clEvEUlS7_S7_E_S7_EEDaPvRmT3_T4_T5_mT6_P12ihipStream_tbENKUlT_T0_E_clISt17integral_constantIbLb0EESZ_EEDaSU_SV_EUlSU_E0_NS1_11comp_targetILNS1_3genE0ELNS1_11target_archE4294967295ELNS1_3gpuE0ELNS1_3repE0EEENS1_30default_config_static_selectorELNS0_4arch9wavefront6targetE0EEEvT1_
		.amdhsa_group_segment_fixed_size 0
		.amdhsa_private_segment_fixed_size 0
		.amdhsa_kernarg_size 48
		.amdhsa_user_sgpr_count 15
		.amdhsa_user_sgpr_dispatch_ptr 0
		.amdhsa_user_sgpr_queue_ptr 0
		.amdhsa_user_sgpr_kernarg_segment_ptr 1
		.amdhsa_user_sgpr_dispatch_id 0
		.amdhsa_user_sgpr_private_segment_size 0
		.amdhsa_wavefront_size32 1
		.amdhsa_uses_dynamic_stack 0
		.amdhsa_enable_private_segment 0
		.amdhsa_system_sgpr_workgroup_id_x 1
		.amdhsa_system_sgpr_workgroup_id_y 0
		.amdhsa_system_sgpr_workgroup_id_z 0
		.amdhsa_system_sgpr_workgroup_info 0
		.amdhsa_system_vgpr_workitem_id 0
		.amdhsa_next_free_vgpr 1
		.amdhsa_next_free_sgpr 1
		.amdhsa_reserve_vcc 0
		.amdhsa_float_round_mode_32 0
		.amdhsa_float_round_mode_16_64 0
		.amdhsa_float_denorm_mode_32 3
		.amdhsa_float_denorm_mode_16_64 3
		.amdhsa_dx10_clamp 1
		.amdhsa_ieee_mode 1
		.amdhsa_fp16_overflow 0
		.amdhsa_workgroup_processor_mode 1
		.amdhsa_memory_ordered 1
		.amdhsa_forward_progress 0
		.amdhsa_shared_vgpr_count 0
		.amdhsa_exception_fp_ieee_invalid_op 0
		.amdhsa_exception_fp_denorm_src 0
		.amdhsa_exception_fp_ieee_div_zero 0
		.amdhsa_exception_fp_ieee_overflow 0
		.amdhsa_exception_fp_ieee_underflow 0
		.amdhsa_exception_fp_ieee_inexact 0
		.amdhsa_exception_int_div_zero 0
	.end_amdhsa_kernel
	.section	.text._ZN7rocprim17ROCPRIM_400000_NS6detail17trampoline_kernelINS0_14default_configENS1_20scan_config_selectorIN3c107complexIdEEEEZZNS1_9scan_implILNS1_25lookback_scan_determinismE0ELb0ELb0ES3_PKS7_PS7_S7_ZZZN2at6native31launch_logcumsumexp_cuda_kernelERKNSE_10TensorBaseESI_lENKUlvE_clEvENKUlvE1_clEvEUlS7_S7_E_S7_EEDaPvRmT3_T4_T5_mT6_P12ihipStream_tbENKUlT_T0_E_clISt17integral_constantIbLb0EESZ_EEDaSU_SV_EUlSU_E0_NS1_11comp_targetILNS1_3genE0ELNS1_11target_archE4294967295ELNS1_3gpuE0ELNS1_3repE0EEENS1_30default_config_static_selectorELNS0_4arch9wavefront6targetE0EEEvT1_,"axG",@progbits,_ZN7rocprim17ROCPRIM_400000_NS6detail17trampoline_kernelINS0_14default_configENS1_20scan_config_selectorIN3c107complexIdEEEEZZNS1_9scan_implILNS1_25lookback_scan_determinismE0ELb0ELb0ES3_PKS7_PS7_S7_ZZZN2at6native31launch_logcumsumexp_cuda_kernelERKNSE_10TensorBaseESI_lENKUlvE_clEvENKUlvE1_clEvEUlS7_S7_E_S7_EEDaPvRmT3_T4_T5_mT6_P12ihipStream_tbENKUlT_T0_E_clISt17integral_constantIbLb0EESZ_EEDaSU_SV_EUlSU_E0_NS1_11comp_targetILNS1_3genE0ELNS1_11target_archE4294967295ELNS1_3gpuE0ELNS1_3repE0EEENS1_30default_config_static_selectorELNS0_4arch9wavefront6targetE0EEEvT1_,comdat
.Lfunc_end197:
	.size	_ZN7rocprim17ROCPRIM_400000_NS6detail17trampoline_kernelINS0_14default_configENS1_20scan_config_selectorIN3c107complexIdEEEEZZNS1_9scan_implILNS1_25lookback_scan_determinismE0ELb0ELb0ES3_PKS7_PS7_S7_ZZZN2at6native31launch_logcumsumexp_cuda_kernelERKNSE_10TensorBaseESI_lENKUlvE_clEvENKUlvE1_clEvEUlS7_S7_E_S7_EEDaPvRmT3_T4_T5_mT6_P12ihipStream_tbENKUlT_T0_E_clISt17integral_constantIbLb0EESZ_EEDaSU_SV_EUlSU_E0_NS1_11comp_targetILNS1_3genE0ELNS1_11target_archE4294967295ELNS1_3gpuE0ELNS1_3repE0EEENS1_30default_config_static_selectorELNS0_4arch9wavefront6targetE0EEEvT1_, .Lfunc_end197-_ZN7rocprim17ROCPRIM_400000_NS6detail17trampoline_kernelINS0_14default_configENS1_20scan_config_selectorIN3c107complexIdEEEEZZNS1_9scan_implILNS1_25lookback_scan_determinismE0ELb0ELb0ES3_PKS7_PS7_S7_ZZZN2at6native31launch_logcumsumexp_cuda_kernelERKNSE_10TensorBaseESI_lENKUlvE_clEvENKUlvE1_clEvEUlS7_S7_E_S7_EEDaPvRmT3_T4_T5_mT6_P12ihipStream_tbENKUlT_T0_E_clISt17integral_constantIbLb0EESZ_EEDaSU_SV_EUlSU_E0_NS1_11comp_targetILNS1_3genE0ELNS1_11target_archE4294967295ELNS1_3gpuE0ELNS1_3repE0EEENS1_30default_config_static_selectorELNS0_4arch9wavefront6targetE0EEEvT1_
                                        ; -- End function
	.section	.AMDGPU.csdata,"",@progbits
; Kernel info:
; codeLenInByte = 0
; NumSgprs: 0
; NumVgprs: 0
; ScratchSize: 0
; MemoryBound: 0
; FloatMode: 240
; IeeeMode: 1
; LDSByteSize: 0 bytes/workgroup (compile time only)
; SGPRBlocks: 0
; VGPRBlocks: 0
; NumSGPRsForWavesPerEU: 1
; NumVGPRsForWavesPerEU: 1
; Occupancy: 16
; WaveLimiterHint : 0
; COMPUTE_PGM_RSRC2:SCRATCH_EN: 0
; COMPUTE_PGM_RSRC2:USER_SGPR: 15
; COMPUTE_PGM_RSRC2:TRAP_HANDLER: 0
; COMPUTE_PGM_RSRC2:TGID_X_EN: 1
; COMPUTE_PGM_RSRC2:TGID_Y_EN: 0
; COMPUTE_PGM_RSRC2:TGID_Z_EN: 0
; COMPUTE_PGM_RSRC2:TIDIG_COMP_CNT: 0
	.section	.text._ZN7rocprim17ROCPRIM_400000_NS6detail17trampoline_kernelINS0_14default_configENS1_20scan_config_selectorIN3c107complexIdEEEEZZNS1_9scan_implILNS1_25lookback_scan_determinismE0ELb0ELb0ES3_PKS7_PS7_S7_ZZZN2at6native31launch_logcumsumexp_cuda_kernelERKNSE_10TensorBaseESI_lENKUlvE_clEvENKUlvE1_clEvEUlS7_S7_E_S7_EEDaPvRmT3_T4_T5_mT6_P12ihipStream_tbENKUlT_T0_E_clISt17integral_constantIbLb0EESZ_EEDaSU_SV_EUlSU_E0_NS1_11comp_targetILNS1_3genE5ELNS1_11target_archE942ELNS1_3gpuE9ELNS1_3repE0EEENS1_30default_config_static_selectorELNS0_4arch9wavefront6targetE0EEEvT1_,"axG",@progbits,_ZN7rocprim17ROCPRIM_400000_NS6detail17trampoline_kernelINS0_14default_configENS1_20scan_config_selectorIN3c107complexIdEEEEZZNS1_9scan_implILNS1_25lookback_scan_determinismE0ELb0ELb0ES3_PKS7_PS7_S7_ZZZN2at6native31launch_logcumsumexp_cuda_kernelERKNSE_10TensorBaseESI_lENKUlvE_clEvENKUlvE1_clEvEUlS7_S7_E_S7_EEDaPvRmT3_T4_T5_mT6_P12ihipStream_tbENKUlT_T0_E_clISt17integral_constantIbLb0EESZ_EEDaSU_SV_EUlSU_E0_NS1_11comp_targetILNS1_3genE5ELNS1_11target_archE942ELNS1_3gpuE9ELNS1_3repE0EEENS1_30default_config_static_selectorELNS0_4arch9wavefront6targetE0EEEvT1_,comdat
	.globl	_ZN7rocprim17ROCPRIM_400000_NS6detail17trampoline_kernelINS0_14default_configENS1_20scan_config_selectorIN3c107complexIdEEEEZZNS1_9scan_implILNS1_25lookback_scan_determinismE0ELb0ELb0ES3_PKS7_PS7_S7_ZZZN2at6native31launch_logcumsumexp_cuda_kernelERKNSE_10TensorBaseESI_lENKUlvE_clEvENKUlvE1_clEvEUlS7_S7_E_S7_EEDaPvRmT3_T4_T5_mT6_P12ihipStream_tbENKUlT_T0_E_clISt17integral_constantIbLb0EESZ_EEDaSU_SV_EUlSU_E0_NS1_11comp_targetILNS1_3genE5ELNS1_11target_archE942ELNS1_3gpuE9ELNS1_3repE0EEENS1_30default_config_static_selectorELNS0_4arch9wavefront6targetE0EEEvT1_ ; -- Begin function _ZN7rocprim17ROCPRIM_400000_NS6detail17trampoline_kernelINS0_14default_configENS1_20scan_config_selectorIN3c107complexIdEEEEZZNS1_9scan_implILNS1_25lookback_scan_determinismE0ELb0ELb0ES3_PKS7_PS7_S7_ZZZN2at6native31launch_logcumsumexp_cuda_kernelERKNSE_10TensorBaseESI_lENKUlvE_clEvENKUlvE1_clEvEUlS7_S7_E_S7_EEDaPvRmT3_T4_T5_mT6_P12ihipStream_tbENKUlT_T0_E_clISt17integral_constantIbLb0EESZ_EEDaSU_SV_EUlSU_E0_NS1_11comp_targetILNS1_3genE5ELNS1_11target_archE942ELNS1_3gpuE9ELNS1_3repE0EEENS1_30default_config_static_selectorELNS0_4arch9wavefront6targetE0EEEvT1_
	.p2align	8
	.type	_ZN7rocprim17ROCPRIM_400000_NS6detail17trampoline_kernelINS0_14default_configENS1_20scan_config_selectorIN3c107complexIdEEEEZZNS1_9scan_implILNS1_25lookback_scan_determinismE0ELb0ELb0ES3_PKS7_PS7_S7_ZZZN2at6native31launch_logcumsumexp_cuda_kernelERKNSE_10TensorBaseESI_lENKUlvE_clEvENKUlvE1_clEvEUlS7_S7_E_S7_EEDaPvRmT3_T4_T5_mT6_P12ihipStream_tbENKUlT_T0_E_clISt17integral_constantIbLb0EESZ_EEDaSU_SV_EUlSU_E0_NS1_11comp_targetILNS1_3genE5ELNS1_11target_archE942ELNS1_3gpuE9ELNS1_3repE0EEENS1_30default_config_static_selectorELNS0_4arch9wavefront6targetE0EEEvT1_,@function
_ZN7rocprim17ROCPRIM_400000_NS6detail17trampoline_kernelINS0_14default_configENS1_20scan_config_selectorIN3c107complexIdEEEEZZNS1_9scan_implILNS1_25lookback_scan_determinismE0ELb0ELb0ES3_PKS7_PS7_S7_ZZZN2at6native31launch_logcumsumexp_cuda_kernelERKNSE_10TensorBaseESI_lENKUlvE_clEvENKUlvE1_clEvEUlS7_S7_E_S7_EEDaPvRmT3_T4_T5_mT6_P12ihipStream_tbENKUlT_T0_E_clISt17integral_constantIbLb0EESZ_EEDaSU_SV_EUlSU_E0_NS1_11comp_targetILNS1_3genE5ELNS1_11target_archE942ELNS1_3gpuE9ELNS1_3repE0EEENS1_30default_config_static_selectorELNS0_4arch9wavefront6targetE0EEEvT1_: ; @_ZN7rocprim17ROCPRIM_400000_NS6detail17trampoline_kernelINS0_14default_configENS1_20scan_config_selectorIN3c107complexIdEEEEZZNS1_9scan_implILNS1_25lookback_scan_determinismE0ELb0ELb0ES3_PKS7_PS7_S7_ZZZN2at6native31launch_logcumsumexp_cuda_kernelERKNSE_10TensorBaseESI_lENKUlvE_clEvENKUlvE1_clEvEUlS7_S7_E_S7_EEDaPvRmT3_T4_T5_mT6_P12ihipStream_tbENKUlT_T0_E_clISt17integral_constantIbLb0EESZ_EEDaSU_SV_EUlSU_E0_NS1_11comp_targetILNS1_3genE5ELNS1_11target_archE942ELNS1_3gpuE9ELNS1_3repE0EEENS1_30default_config_static_selectorELNS0_4arch9wavefront6targetE0EEEvT1_
; %bb.0:
	.section	.rodata,"a",@progbits
	.p2align	6, 0x0
	.amdhsa_kernel _ZN7rocprim17ROCPRIM_400000_NS6detail17trampoline_kernelINS0_14default_configENS1_20scan_config_selectorIN3c107complexIdEEEEZZNS1_9scan_implILNS1_25lookback_scan_determinismE0ELb0ELb0ES3_PKS7_PS7_S7_ZZZN2at6native31launch_logcumsumexp_cuda_kernelERKNSE_10TensorBaseESI_lENKUlvE_clEvENKUlvE1_clEvEUlS7_S7_E_S7_EEDaPvRmT3_T4_T5_mT6_P12ihipStream_tbENKUlT_T0_E_clISt17integral_constantIbLb0EESZ_EEDaSU_SV_EUlSU_E0_NS1_11comp_targetILNS1_3genE5ELNS1_11target_archE942ELNS1_3gpuE9ELNS1_3repE0EEENS1_30default_config_static_selectorELNS0_4arch9wavefront6targetE0EEEvT1_
		.amdhsa_group_segment_fixed_size 0
		.amdhsa_private_segment_fixed_size 0
		.amdhsa_kernarg_size 48
		.amdhsa_user_sgpr_count 15
		.amdhsa_user_sgpr_dispatch_ptr 0
		.amdhsa_user_sgpr_queue_ptr 0
		.amdhsa_user_sgpr_kernarg_segment_ptr 1
		.amdhsa_user_sgpr_dispatch_id 0
		.amdhsa_user_sgpr_private_segment_size 0
		.amdhsa_wavefront_size32 1
		.amdhsa_uses_dynamic_stack 0
		.amdhsa_enable_private_segment 0
		.amdhsa_system_sgpr_workgroup_id_x 1
		.amdhsa_system_sgpr_workgroup_id_y 0
		.amdhsa_system_sgpr_workgroup_id_z 0
		.amdhsa_system_sgpr_workgroup_info 0
		.amdhsa_system_vgpr_workitem_id 0
		.amdhsa_next_free_vgpr 1
		.amdhsa_next_free_sgpr 1
		.amdhsa_reserve_vcc 0
		.amdhsa_float_round_mode_32 0
		.amdhsa_float_round_mode_16_64 0
		.amdhsa_float_denorm_mode_32 3
		.amdhsa_float_denorm_mode_16_64 3
		.amdhsa_dx10_clamp 1
		.amdhsa_ieee_mode 1
		.amdhsa_fp16_overflow 0
		.amdhsa_workgroup_processor_mode 1
		.amdhsa_memory_ordered 1
		.amdhsa_forward_progress 0
		.amdhsa_shared_vgpr_count 0
		.amdhsa_exception_fp_ieee_invalid_op 0
		.amdhsa_exception_fp_denorm_src 0
		.amdhsa_exception_fp_ieee_div_zero 0
		.amdhsa_exception_fp_ieee_overflow 0
		.amdhsa_exception_fp_ieee_underflow 0
		.amdhsa_exception_fp_ieee_inexact 0
		.amdhsa_exception_int_div_zero 0
	.end_amdhsa_kernel
	.section	.text._ZN7rocprim17ROCPRIM_400000_NS6detail17trampoline_kernelINS0_14default_configENS1_20scan_config_selectorIN3c107complexIdEEEEZZNS1_9scan_implILNS1_25lookback_scan_determinismE0ELb0ELb0ES3_PKS7_PS7_S7_ZZZN2at6native31launch_logcumsumexp_cuda_kernelERKNSE_10TensorBaseESI_lENKUlvE_clEvENKUlvE1_clEvEUlS7_S7_E_S7_EEDaPvRmT3_T4_T5_mT6_P12ihipStream_tbENKUlT_T0_E_clISt17integral_constantIbLb0EESZ_EEDaSU_SV_EUlSU_E0_NS1_11comp_targetILNS1_3genE5ELNS1_11target_archE942ELNS1_3gpuE9ELNS1_3repE0EEENS1_30default_config_static_selectorELNS0_4arch9wavefront6targetE0EEEvT1_,"axG",@progbits,_ZN7rocprim17ROCPRIM_400000_NS6detail17trampoline_kernelINS0_14default_configENS1_20scan_config_selectorIN3c107complexIdEEEEZZNS1_9scan_implILNS1_25lookback_scan_determinismE0ELb0ELb0ES3_PKS7_PS7_S7_ZZZN2at6native31launch_logcumsumexp_cuda_kernelERKNSE_10TensorBaseESI_lENKUlvE_clEvENKUlvE1_clEvEUlS7_S7_E_S7_EEDaPvRmT3_T4_T5_mT6_P12ihipStream_tbENKUlT_T0_E_clISt17integral_constantIbLb0EESZ_EEDaSU_SV_EUlSU_E0_NS1_11comp_targetILNS1_3genE5ELNS1_11target_archE942ELNS1_3gpuE9ELNS1_3repE0EEENS1_30default_config_static_selectorELNS0_4arch9wavefront6targetE0EEEvT1_,comdat
.Lfunc_end198:
	.size	_ZN7rocprim17ROCPRIM_400000_NS6detail17trampoline_kernelINS0_14default_configENS1_20scan_config_selectorIN3c107complexIdEEEEZZNS1_9scan_implILNS1_25lookback_scan_determinismE0ELb0ELb0ES3_PKS7_PS7_S7_ZZZN2at6native31launch_logcumsumexp_cuda_kernelERKNSE_10TensorBaseESI_lENKUlvE_clEvENKUlvE1_clEvEUlS7_S7_E_S7_EEDaPvRmT3_T4_T5_mT6_P12ihipStream_tbENKUlT_T0_E_clISt17integral_constantIbLb0EESZ_EEDaSU_SV_EUlSU_E0_NS1_11comp_targetILNS1_3genE5ELNS1_11target_archE942ELNS1_3gpuE9ELNS1_3repE0EEENS1_30default_config_static_selectorELNS0_4arch9wavefront6targetE0EEEvT1_, .Lfunc_end198-_ZN7rocprim17ROCPRIM_400000_NS6detail17trampoline_kernelINS0_14default_configENS1_20scan_config_selectorIN3c107complexIdEEEEZZNS1_9scan_implILNS1_25lookback_scan_determinismE0ELb0ELb0ES3_PKS7_PS7_S7_ZZZN2at6native31launch_logcumsumexp_cuda_kernelERKNSE_10TensorBaseESI_lENKUlvE_clEvENKUlvE1_clEvEUlS7_S7_E_S7_EEDaPvRmT3_T4_T5_mT6_P12ihipStream_tbENKUlT_T0_E_clISt17integral_constantIbLb0EESZ_EEDaSU_SV_EUlSU_E0_NS1_11comp_targetILNS1_3genE5ELNS1_11target_archE942ELNS1_3gpuE9ELNS1_3repE0EEENS1_30default_config_static_selectorELNS0_4arch9wavefront6targetE0EEEvT1_
                                        ; -- End function
	.section	.AMDGPU.csdata,"",@progbits
; Kernel info:
; codeLenInByte = 0
; NumSgprs: 0
; NumVgprs: 0
; ScratchSize: 0
; MemoryBound: 0
; FloatMode: 240
; IeeeMode: 1
; LDSByteSize: 0 bytes/workgroup (compile time only)
; SGPRBlocks: 0
; VGPRBlocks: 0
; NumSGPRsForWavesPerEU: 1
; NumVGPRsForWavesPerEU: 1
; Occupancy: 16
; WaveLimiterHint : 0
; COMPUTE_PGM_RSRC2:SCRATCH_EN: 0
; COMPUTE_PGM_RSRC2:USER_SGPR: 15
; COMPUTE_PGM_RSRC2:TRAP_HANDLER: 0
; COMPUTE_PGM_RSRC2:TGID_X_EN: 1
; COMPUTE_PGM_RSRC2:TGID_Y_EN: 0
; COMPUTE_PGM_RSRC2:TGID_Z_EN: 0
; COMPUTE_PGM_RSRC2:TIDIG_COMP_CNT: 0
	.section	.text._ZN7rocprim17ROCPRIM_400000_NS6detail17trampoline_kernelINS0_14default_configENS1_20scan_config_selectorIN3c107complexIdEEEEZZNS1_9scan_implILNS1_25lookback_scan_determinismE0ELb0ELb0ES3_PKS7_PS7_S7_ZZZN2at6native31launch_logcumsumexp_cuda_kernelERKNSE_10TensorBaseESI_lENKUlvE_clEvENKUlvE1_clEvEUlS7_S7_E_S7_EEDaPvRmT3_T4_T5_mT6_P12ihipStream_tbENKUlT_T0_E_clISt17integral_constantIbLb0EESZ_EEDaSU_SV_EUlSU_E0_NS1_11comp_targetILNS1_3genE4ELNS1_11target_archE910ELNS1_3gpuE8ELNS1_3repE0EEENS1_30default_config_static_selectorELNS0_4arch9wavefront6targetE0EEEvT1_,"axG",@progbits,_ZN7rocprim17ROCPRIM_400000_NS6detail17trampoline_kernelINS0_14default_configENS1_20scan_config_selectorIN3c107complexIdEEEEZZNS1_9scan_implILNS1_25lookback_scan_determinismE0ELb0ELb0ES3_PKS7_PS7_S7_ZZZN2at6native31launch_logcumsumexp_cuda_kernelERKNSE_10TensorBaseESI_lENKUlvE_clEvENKUlvE1_clEvEUlS7_S7_E_S7_EEDaPvRmT3_T4_T5_mT6_P12ihipStream_tbENKUlT_T0_E_clISt17integral_constantIbLb0EESZ_EEDaSU_SV_EUlSU_E0_NS1_11comp_targetILNS1_3genE4ELNS1_11target_archE910ELNS1_3gpuE8ELNS1_3repE0EEENS1_30default_config_static_selectorELNS0_4arch9wavefront6targetE0EEEvT1_,comdat
	.globl	_ZN7rocprim17ROCPRIM_400000_NS6detail17trampoline_kernelINS0_14default_configENS1_20scan_config_selectorIN3c107complexIdEEEEZZNS1_9scan_implILNS1_25lookback_scan_determinismE0ELb0ELb0ES3_PKS7_PS7_S7_ZZZN2at6native31launch_logcumsumexp_cuda_kernelERKNSE_10TensorBaseESI_lENKUlvE_clEvENKUlvE1_clEvEUlS7_S7_E_S7_EEDaPvRmT3_T4_T5_mT6_P12ihipStream_tbENKUlT_T0_E_clISt17integral_constantIbLb0EESZ_EEDaSU_SV_EUlSU_E0_NS1_11comp_targetILNS1_3genE4ELNS1_11target_archE910ELNS1_3gpuE8ELNS1_3repE0EEENS1_30default_config_static_selectorELNS0_4arch9wavefront6targetE0EEEvT1_ ; -- Begin function _ZN7rocprim17ROCPRIM_400000_NS6detail17trampoline_kernelINS0_14default_configENS1_20scan_config_selectorIN3c107complexIdEEEEZZNS1_9scan_implILNS1_25lookback_scan_determinismE0ELb0ELb0ES3_PKS7_PS7_S7_ZZZN2at6native31launch_logcumsumexp_cuda_kernelERKNSE_10TensorBaseESI_lENKUlvE_clEvENKUlvE1_clEvEUlS7_S7_E_S7_EEDaPvRmT3_T4_T5_mT6_P12ihipStream_tbENKUlT_T0_E_clISt17integral_constantIbLb0EESZ_EEDaSU_SV_EUlSU_E0_NS1_11comp_targetILNS1_3genE4ELNS1_11target_archE910ELNS1_3gpuE8ELNS1_3repE0EEENS1_30default_config_static_selectorELNS0_4arch9wavefront6targetE0EEEvT1_
	.p2align	8
	.type	_ZN7rocprim17ROCPRIM_400000_NS6detail17trampoline_kernelINS0_14default_configENS1_20scan_config_selectorIN3c107complexIdEEEEZZNS1_9scan_implILNS1_25lookback_scan_determinismE0ELb0ELb0ES3_PKS7_PS7_S7_ZZZN2at6native31launch_logcumsumexp_cuda_kernelERKNSE_10TensorBaseESI_lENKUlvE_clEvENKUlvE1_clEvEUlS7_S7_E_S7_EEDaPvRmT3_T4_T5_mT6_P12ihipStream_tbENKUlT_T0_E_clISt17integral_constantIbLb0EESZ_EEDaSU_SV_EUlSU_E0_NS1_11comp_targetILNS1_3genE4ELNS1_11target_archE910ELNS1_3gpuE8ELNS1_3repE0EEENS1_30default_config_static_selectorELNS0_4arch9wavefront6targetE0EEEvT1_,@function
_ZN7rocprim17ROCPRIM_400000_NS6detail17trampoline_kernelINS0_14default_configENS1_20scan_config_selectorIN3c107complexIdEEEEZZNS1_9scan_implILNS1_25lookback_scan_determinismE0ELb0ELb0ES3_PKS7_PS7_S7_ZZZN2at6native31launch_logcumsumexp_cuda_kernelERKNSE_10TensorBaseESI_lENKUlvE_clEvENKUlvE1_clEvEUlS7_S7_E_S7_EEDaPvRmT3_T4_T5_mT6_P12ihipStream_tbENKUlT_T0_E_clISt17integral_constantIbLb0EESZ_EEDaSU_SV_EUlSU_E0_NS1_11comp_targetILNS1_3genE4ELNS1_11target_archE910ELNS1_3gpuE8ELNS1_3repE0EEENS1_30default_config_static_selectorELNS0_4arch9wavefront6targetE0EEEvT1_: ; @_ZN7rocprim17ROCPRIM_400000_NS6detail17trampoline_kernelINS0_14default_configENS1_20scan_config_selectorIN3c107complexIdEEEEZZNS1_9scan_implILNS1_25lookback_scan_determinismE0ELb0ELb0ES3_PKS7_PS7_S7_ZZZN2at6native31launch_logcumsumexp_cuda_kernelERKNSE_10TensorBaseESI_lENKUlvE_clEvENKUlvE1_clEvEUlS7_S7_E_S7_EEDaPvRmT3_T4_T5_mT6_P12ihipStream_tbENKUlT_T0_E_clISt17integral_constantIbLb0EESZ_EEDaSU_SV_EUlSU_E0_NS1_11comp_targetILNS1_3genE4ELNS1_11target_archE910ELNS1_3gpuE8ELNS1_3repE0EEENS1_30default_config_static_selectorELNS0_4arch9wavefront6targetE0EEEvT1_
; %bb.0:
	.section	.rodata,"a",@progbits
	.p2align	6, 0x0
	.amdhsa_kernel _ZN7rocprim17ROCPRIM_400000_NS6detail17trampoline_kernelINS0_14default_configENS1_20scan_config_selectorIN3c107complexIdEEEEZZNS1_9scan_implILNS1_25lookback_scan_determinismE0ELb0ELb0ES3_PKS7_PS7_S7_ZZZN2at6native31launch_logcumsumexp_cuda_kernelERKNSE_10TensorBaseESI_lENKUlvE_clEvENKUlvE1_clEvEUlS7_S7_E_S7_EEDaPvRmT3_T4_T5_mT6_P12ihipStream_tbENKUlT_T0_E_clISt17integral_constantIbLb0EESZ_EEDaSU_SV_EUlSU_E0_NS1_11comp_targetILNS1_3genE4ELNS1_11target_archE910ELNS1_3gpuE8ELNS1_3repE0EEENS1_30default_config_static_selectorELNS0_4arch9wavefront6targetE0EEEvT1_
		.amdhsa_group_segment_fixed_size 0
		.amdhsa_private_segment_fixed_size 0
		.amdhsa_kernarg_size 48
		.amdhsa_user_sgpr_count 15
		.amdhsa_user_sgpr_dispatch_ptr 0
		.amdhsa_user_sgpr_queue_ptr 0
		.amdhsa_user_sgpr_kernarg_segment_ptr 1
		.amdhsa_user_sgpr_dispatch_id 0
		.amdhsa_user_sgpr_private_segment_size 0
		.amdhsa_wavefront_size32 1
		.amdhsa_uses_dynamic_stack 0
		.amdhsa_enable_private_segment 0
		.amdhsa_system_sgpr_workgroup_id_x 1
		.amdhsa_system_sgpr_workgroup_id_y 0
		.amdhsa_system_sgpr_workgroup_id_z 0
		.amdhsa_system_sgpr_workgroup_info 0
		.amdhsa_system_vgpr_workitem_id 0
		.amdhsa_next_free_vgpr 1
		.amdhsa_next_free_sgpr 1
		.amdhsa_reserve_vcc 0
		.amdhsa_float_round_mode_32 0
		.amdhsa_float_round_mode_16_64 0
		.amdhsa_float_denorm_mode_32 3
		.amdhsa_float_denorm_mode_16_64 3
		.amdhsa_dx10_clamp 1
		.amdhsa_ieee_mode 1
		.amdhsa_fp16_overflow 0
		.amdhsa_workgroup_processor_mode 1
		.amdhsa_memory_ordered 1
		.amdhsa_forward_progress 0
		.amdhsa_shared_vgpr_count 0
		.amdhsa_exception_fp_ieee_invalid_op 0
		.amdhsa_exception_fp_denorm_src 0
		.amdhsa_exception_fp_ieee_div_zero 0
		.amdhsa_exception_fp_ieee_overflow 0
		.amdhsa_exception_fp_ieee_underflow 0
		.amdhsa_exception_fp_ieee_inexact 0
		.amdhsa_exception_int_div_zero 0
	.end_amdhsa_kernel
	.section	.text._ZN7rocprim17ROCPRIM_400000_NS6detail17trampoline_kernelINS0_14default_configENS1_20scan_config_selectorIN3c107complexIdEEEEZZNS1_9scan_implILNS1_25lookback_scan_determinismE0ELb0ELb0ES3_PKS7_PS7_S7_ZZZN2at6native31launch_logcumsumexp_cuda_kernelERKNSE_10TensorBaseESI_lENKUlvE_clEvENKUlvE1_clEvEUlS7_S7_E_S7_EEDaPvRmT3_T4_T5_mT6_P12ihipStream_tbENKUlT_T0_E_clISt17integral_constantIbLb0EESZ_EEDaSU_SV_EUlSU_E0_NS1_11comp_targetILNS1_3genE4ELNS1_11target_archE910ELNS1_3gpuE8ELNS1_3repE0EEENS1_30default_config_static_selectorELNS0_4arch9wavefront6targetE0EEEvT1_,"axG",@progbits,_ZN7rocprim17ROCPRIM_400000_NS6detail17trampoline_kernelINS0_14default_configENS1_20scan_config_selectorIN3c107complexIdEEEEZZNS1_9scan_implILNS1_25lookback_scan_determinismE0ELb0ELb0ES3_PKS7_PS7_S7_ZZZN2at6native31launch_logcumsumexp_cuda_kernelERKNSE_10TensorBaseESI_lENKUlvE_clEvENKUlvE1_clEvEUlS7_S7_E_S7_EEDaPvRmT3_T4_T5_mT6_P12ihipStream_tbENKUlT_T0_E_clISt17integral_constantIbLb0EESZ_EEDaSU_SV_EUlSU_E0_NS1_11comp_targetILNS1_3genE4ELNS1_11target_archE910ELNS1_3gpuE8ELNS1_3repE0EEENS1_30default_config_static_selectorELNS0_4arch9wavefront6targetE0EEEvT1_,comdat
.Lfunc_end199:
	.size	_ZN7rocprim17ROCPRIM_400000_NS6detail17trampoline_kernelINS0_14default_configENS1_20scan_config_selectorIN3c107complexIdEEEEZZNS1_9scan_implILNS1_25lookback_scan_determinismE0ELb0ELb0ES3_PKS7_PS7_S7_ZZZN2at6native31launch_logcumsumexp_cuda_kernelERKNSE_10TensorBaseESI_lENKUlvE_clEvENKUlvE1_clEvEUlS7_S7_E_S7_EEDaPvRmT3_T4_T5_mT6_P12ihipStream_tbENKUlT_T0_E_clISt17integral_constantIbLb0EESZ_EEDaSU_SV_EUlSU_E0_NS1_11comp_targetILNS1_3genE4ELNS1_11target_archE910ELNS1_3gpuE8ELNS1_3repE0EEENS1_30default_config_static_selectorELNS0_4arch9wavefront6targetE0EEEvT1_, .Lfunc_end199-_ZN7rocprim17ROCPRIM_400000_NS6detail17trampoline_kernelINS0_14default_configENS1_20scan_config_selectorIN3c107complexIdEEEEZZNS1_9scan_implILNS1_25lookback_scan_determinismE0ELb0ELb0ES3_PKS7_PS7_S7_ZZZN2at6native31launch_logcumsumexp_cuda_kernelERKNSE_10TensorBaseESI_lENKUlvE_clEvENKUlvE1_clEvEUlS7_S7_E_S7_EEDaPvRmT3_T4_T5_mT6_P12ihipStream_tbENKUlT_T0_E_clISt17integral_constantIbLb0EESZ_EEDaSU_SV_EUlSU_E0_NS1_11comp_targetILNS1_3genE4ELNS1_11target_archE910ELNS1_3gpuE8ELNS1_3repE0EEENS1_30default_config_static_selectorELNS0_4arch9wavefront6targetE0EEEvT1_
                                        ; -- End function
	.section	.AMDGPU.csdata,"",@progbits
; Kernel info:
; codeLenInByte = 0
; NumSgprs: 0
; NumVgprs: 0
; ScratchSize: 0
; MemoryBound: 0
; FloatMode: 240
; IeeeMode: 1
; LDSByteSize: 0 bytes/workgroup (compile time only)
; SGPRBlocks: 0
; VGPRBlocks: 0
; NumSGPRsForWavesPerEU: 1
; NumVGPRsForWavesPerEU: 1
; Occupancy: 16
; WaveLimiterHint : 0
; COMPUTE_PGM_RSRC2:SCRATCH_EN: 0
; COMPUTE_PGM_RSRC2:USER_SGPR: 15
; COMPUTE_PGM_RSRC2:TRAP_HANDLER: 0
; COMPUTE_PGM_RSRC2:TGID_X_EN: 1
; COMPUTE_PGM_RSRC2:TGID_Y_EN: 0
; COMPUTE_PGM_RSRC2:TGID_Z_EN: 0
; COMPUTE_PGM_RSRC2:TIDIG_COMP_CNT: 0
	.section	.text._ZN7rocprim17ROCPRIM_400000_NS6detail17trampoline_kernelINS0_14default_configENS1_20scan_config_selectorIN3c107complexIdEEEEZZNS1_9scan_implILNS1_25lookback_scan_determinismE0ELb0ELb0ES3_PKS7_PS7_S7_ZZZN2at6native31launch_logcumsumexp_cuda_kernelERKNSE_10TensorBaseESI_lENKUlvE_clEvENKUlvE1_clEvEUlS7_S7_E_S7_EEDaPvRmT3_T4_T5_mT6_P12ihipStream_tbENKUlT_T0_E_clISt17integral_constantIbLb0EESZ_EEDaSU_SV_EUlSU_E0_NS1_11comp_targetILNS1_3genE3ELNS1_11target_archE908ELNS1_3gpuE7ELNS1_3repE0EEENS1_30default_config_static_selectorELNS0_4arch9wavefront6targetE0EEEvT1_,"axG",@progbits,_ZN7rocprim17ROCPRIM_400000_NS6detail17trampoline_kernelINS0_14default_configENS1_20scan_config_selectorIN3c107complexIdEEEEZZNS1_9scan_implILNS1_25lookback_scan_determinismE0ELb0ELb0ES3_PKS7_PS7_S7_ZZZN2at6native31launch_logcumsumexp_cuda_kernelERKNSE_10TensorBaseESI_lENKUlvE_clEvENKUlvE1_clEvEUlS7_S7_E_S7_EEDaPvRmT3_T4_T5_mT6_P12ihipStream_tbENKUlT_T0_E_clISt17integral_constantIbLb0EESZ_EEDaSU_SV_EUlSU_E0_NS1_11comp_targetILNS1_3genE3ELNS1_11target_archE908ELNS1_3gpuE7ELNS1_3repE0EEENS1_30default_config_static_selectorELNS0_4arch9wavefront6targetE0EEEvT1_,comdat
	.globl	_ZN7rocprim17ROCPRIM_400000_NS6detail17trampoline_kernelINS0_14default_configENS1_20scan_config_selectorIN3c107complexIdEEEEZZNS1_9scan_implILNS1_25lookback_scan_determinismE0ELb0ELb0ES3_PKS7_PS7_S7_ZZZN2at6native31launch_logcumsumexp_cuda_kernelERKNSE_10TensorBaseESI_lENKUlvE_clEvENKUlvE1_clEvEUlS7_S7_E_S7_EEDaPvRmT3_T4_T5_mT6_P12ihipStream_tbENKUlT_T0_E_clISt17integral_constantIbLb0EESZ_EEDaSU_SV_EUlSU_E0_NS1_11comp_targetILNS1_3genE3ELNS1_11target_archE908ELNS1_3gpuE7ELNS1_3repE0EEENS1_30default_config_static_selectorELNS0_4arch9wavefront6targetE0EEEvT1_ ; -- Begin function _ZN7rocprim17ROCPRIM_400000_NS6detail17trampoline_kernelINS0_14default_configENS1_20scan_config_selectorIN3c107complexIdEEEEZZNS1_9scan_implILNS1_25lookback_scan_determinismE0ELb0ELb0ES3_PKS7_PS7_S7_ZZZN2at6native31launch_logcumsumexp_cuda_kernelERKNSE_10TensorBaseESI_lENKUlvE_clEvENKUlvE1_clEvEUlS7_S7_E_S7_EEDaPvRmT3_T4_T5_mT6_P12ihipStream_tbENKUlT_T0_E_clISt17integral_constantIbLb0EESZ_EEDaSU_SV_EUlSU_E0_NS1_11comp_targetILNS1_3genE3ELNS1_11target_archE908ELNS1_3gpuE7ELNS1_3repE0EEENS1_30default_config_static_selectorELNS0_4arch9wavefront6targetE0EEEvT1_
	.p2align	8
	.type	_ZN7rocprim17ROCPRIM_400000_NS6detail17trampoline_kernelINS0_14default_configENS1_20scan_config_selectorIN3c107complexIdEEEEZZNS1_9scan_implILNS1_25lookback_scan_determinismE0ELb0ELb0ES3_PKS7_PS7_S7_ZZZN2at6native31launch_logcumsumexp_cuda_kernelERKNSE_10TensorBaseESI_lENKUlvE_clEvENKUlvE1_clEvEUlS7_S7_E_S7_EEDaPvRmT3_T4_T5_mT6_P12ihipStream_tbENKUlT_T0_E_clISt17integral_constantIbLb0EESZ_EEDaSU_SV_EUlSU_E0_NS1_11comp_targetILNS1_3genE3ELNS1_11target_archE908ELNS1_3gpuE7ELNS1_3repE0EEENS1_30default_config_static_selectorELNS0_4arch9wavefront6targetE0EEEvT1_,@function
_ZN7rocprim17ROCPRIM_400000_NS6detail17trampoline_kernelINS0_14default_configENS1_20scan_config_selectorIN3c107complexIdEEEEZZNS1_9scan_implILNS1_25lookback_scan_determinismE0ELb0ELb0ES3_PKS7_PS7_S7_ZZZN2at6native31launch_logcumsumexp_cuda_kernelERKNSE_10TensorBaseESI_lENKUlvE_clEvENKUlvE1_clEvEUlS7_S7_E_S7_EEDaPvRmT3_T4_T5_mT6_P12ihipStream_tbENKUlT_T0_E_clISt17integral_constantIbLb0EESZ_EEDaSU_SV_EUlSU_E0_NS1_11comp_targetILNS1_3genE3ELNS1_11target_archE908ELNS1_3gpuE7ELNS1_3repE0EEENS1_30default_config_static_selectorELNS0_4arch9wavefront6targetE0EEEvT1_: ; @_ZN7rocprim17ROCPRIM_400000_NS6detail17trampoline_kernelINS0_14default_configENS1_20scan_config_selectorIN3c107complexIdEEEEZZNS1_9scan_implILNS1_25lookback_scan_determinismE0ELb0ELb0ES3_PKS7_PS7_S7_ZZZN2at6native31launch_logcumsumexp_cuda_kernelERKNSE_10TensorBaseESI_lENKUlvE_clEvENKUlvE1_clEvEUlS7_S7_E_S7_EEDaPvRmT3_T4_T5_mT6_P12ihipStream_tbENKUlT_T0_E_clISt17integral_constantIbLb0EESZ_EEDaSU_SV_EUlSU_E0_NS1_11comp_targetILNS1_3genE3ELNS1_11target_archE908ELNS1_3gpuE7ELNS1_3repE0EEENS1_30default_config_static_selectorELNS0_4arch9wavefront6targetE0EEEvT1_
; %bb.0:
	.section	.rodata,"a",@progbits
	.p2align	6, 0x0
	.amdhsa_kernel _ZN7rocprim17ROCPRIM_400000_NS6detail17trampoline_kernelINS0_14default_configENS1_20scan_config_selectorIN3c107complexIdEEEEZZNS1_9scan_implILNS1_25lookback_scan_determinismE0ELb0ELb0ES3_PKS7_PS7_S7_ZZZN2at6native31launch_logcumsumexp_cuda_kernelERKNSE_10TensorBaseESI_lENKUlvE_clEvENKUlvE1_clEvEUlS7_S7_E_S7_EEDaPvRmT3_T4_T5_mT6_P12ihipStream_tbENKUlT_T0_E_clISt17integral_constantIbLb0EESZ_EEDaSU_SV_EUlSU_E0_NS1_11comp_targetILNS1_3genE3ELNS1_11target_archE908ELNS1_3gpuE7ELNS1_3repE0EEENS1_30default_config_static_selectorELNS0_4arch9wavefront6targetE0EEEvT1_
		.amdhsa_group_segment_fixed_size 0
		.amdhsa_private_segment_fixed_size 0
		.amdhsa_kernarg_size 48
		.amdhsa_user_sgpr_count 15
		.amdhsa_user_sgpr_dispatch_ptr 0
		.amdhsa_user_sgpr_queue_ptr 0
		.amdhsa_user_sgpr_kernarg_segment_ptr 1
		.amdhsa_user_sgpr_dispatch_id 0
		.amdhsa_user_sgpr_private_segment_size 0
		.amdhsa_wavefront_size32 1
		.amdhsa_uses_dynamic_stack 0
		.amdhsa_enable_private_segment 0
		.amdhsa_system_sgpr_workgroup_id_x 1
		.amdhsa_system_sgpr_workgroup_id_y 0
		.amdhsa_system_sgpr_workgroup_id_z 0
		.amdhsa_system_sgpr_workgroup_info 0
		.amdhsa_system_vgpr_workitem_id 0
		.amdhsa_next_free_vgpr 1
		.amdhsa_next_free_sgpr 1
		.amdhsa_reserve_vcc 0
		.amdhsa_float_round_mode_32 0
		.amdhsa_float_round_mode_16_64 0
		.amdhsa_float_denorm_mode_32 3
		.amdhsa_float_denorm_mode_16_64 3
		.amdhsa_dx10_clamp 1
		.amdhsa_ieee_mode 1
		.amdhsa_fp16_overflow 0
		.amdhsa_workgroup_processor_mode 1
		.amdhsa_memory_ordered 1
		.amdhsa_forward_progress 0
		.amdhsa_shared_vgpr_count 0
		.amdhsa_exception_fp_ieee_invalid_op 0
		.amdhsa_exception_fp_denorm_src 0
		.amdhsa_exception_fp_ieee_div_zero 0
		.amdhsa_exception_fp_ieee_overflow 0
		.amdhsa_exception_fp_ieee_underflow 0
		.amdhsa_exception_fp_ieee_inexact 0
		.amdhsa_exception_int_div_zero 0
	.end_amdhsa_kernel
	.section	.text._ZN7rocprim17ROCPRIM_400000_NS6detail17trampoline_kernelINS0_14default_configENS1_20scan_config_selectorIN3c107complexIdEEEEZZNS1_9scan_implILNS1_25lookback_scan_determinismE0ELb0ELb0ES3_PKS7_PS7_S7_ZZZN2at6native31launch_logcumsumexp_cuda_kernelERKNSE_10TensorBaseESI_lENKUlvE_clEvENKUlvE1_clEvEUlS7_S7_E_S7_EEDaPvRmT3_T4_T5_mT6_P12ihipStream_tbENKUlT_T0_E_clISt17integral_constantIbLb0EESZ_EEDaSU_SV_EUlSU_E0_NS1_11comp_targetILNS1_3genE3ELNS1_11target_archE908ELNS1_3gpuE7ELNS1_3repE0EEENS1_30default_config_static_selectorELNS0_4arch9wavefront6targetE0EEEvT1_,"axG",@progbits,_ZN7rocprim17ROCPRIM_400000_NS6detail17trampoline_kernelINS0_14default_configENS1_20scan_config_selectorIN3c107complexIdEEEEZZNS1_9scan_implILNS1_25lookback_scan_determinismE0ELb0ELb0ES3_PKS7_PS7_S7_ZZZN2at6native31launch_logcumsumexp_cuda_kernelERKNSE_10TensorBaseESI_lENKUlvE_clEvENKUlvE1_clEvEUlS7_S7_E_S7_EEDaPvRmT3_T4_T5_mT6_P12ihipStream_tbENKUlT_T0_E_clISt17integral_constantIbLb0EESZ_EEDaSU_SV_EUlSU_E0_NS1_11comp_targetILNS1_3genE3ELNS1_11target_archE908ELNS1_3gpuE7ELNS1_3repE0EEENS1_30default_config_static_selectorELNS0_4arch9wavefront6targetE0EEEvT1_,comdat
.Lfunc_end200:
	.size	_ZN7rocprim17ROCPRIM_400000_NS6detail17trampoline_kernelINS0_14default_configENS1_20scan_config_selectorIN3c107complexIdEEEEZZNS1_9scan_implILNS1_25lookback_scan_determinismE0ELb0ELb0ES3_PKS7_PS7_S7_ZZZN2at6native31launch_logcumsumexp_cuda_kernelERKNSE_10TensorBaseESI_lENKUlvE_clEvENKUlvE1_clEvEUlS7_S7_E_S7_EEDaPvRmT3_T4_T5_mT6_P12ihipStream_tbENKUlT_T0_E_clISt17integral_constantIbLb0EESZ_EEDaSU_SV_EUlSU_E0_NS1_11comp_targetILNS1_3genE3ELNS1_11target_archE908ELNS1_3gpuE7ELNS1_3repE0EEENS1_30default_config_static_selectorELNS0_4arch9wavefront6targetE0EEEvT1_, .Lfunc_end200-_ZN7rocprim17ROCPRIM_400000_NS6detail17trampoline_kernelINS0_14default_configENS1_20scan_config_selectorIN3c107complexIdEEEEZZNS1_9scan_implILNS1_25lookback_scan_determinismE0ELb0ELb0ES3_PKS7_PS7_S7_ZZZN2at6native31launch_logcumsumexp_cuda_kernelERKNSE_10TensorBaseESI_lENKUlvE_clEvENKUlvE1_clEvEUlS7_S7_E_S7_EEDaPvRmT3_T4_T5_mT6_P12ihipStream_tbENKUlT_T0_E_clISt17integral_constantIbLb0EESZ_EEDaSU_SV_EUlSU_E0_NS1_11comp_targetILNS1_3genE3ELNS1_11target_archE908ELNS1_3gpuE7ELNS1_3repE0EEENS1_30default_config_static_selectorELNS0_4arch9wavefront6targetE0EEEvT1_
                                        ; -- End function
	.section	.AMDGPU.csdata,"",@progbits
; Kernel info:
; codeLenInByte = 0
; NumSgprs: 0
; NumVgprs: 0
; ScratchSize: 0
; MemoryBound: 0
; FloatMode: 240
; IeeeMode: 1
; LDSByteSize: 0 bytes/workgroup (compile time only)
; SGPRBlocks: 0
; VGPRBlocks: 0
; NumSGPRsForWavesPerEU: 1
; NumVGPRsForWavesPerEU: 1
; Occupancy: 16
; WaveLimiterHint : 0
; COMPUTE_PGM_RSRC2:SCRATCH_EN: 0
; COMPUTE_PGM_RSRC2:USER_SGPR: 15
; COMPUTE_PGM_RSRC2:TRAP_HANDLER: 0
; COMPUTE_PGM_RSRC2:TGID_X_EN: 1
; COMPUTE_PGM_RSRC2:TGID_Y_EN: 0
; COMPUTE_PGM_RSRC2:TGID_Z_EN: 0
; COMPUTE_PGM_RSRC2:TIDIG_COMP_CNT: 0
	.section	.text._ZN7rocprim17ROCPRIM_400000_NS6detail17trampoline_kernelINS0_14default_configENS1_20scan_config_selectorIN3c107complexIdEEEEZZNS1_9scan_implILNS1_25lookback_scan_determinismE0ELb0ELb0ES3_PKS7_PS7_S7_ZZZN2at6native31launch_logcumsumexp_cuda_kernelERKNSE_10TensorBaseESI_lENKUlvE_clEvENKUlvE1_clEvEUlS7_S7_E_S7_EEDaPvRmT3_T4_T5_mT6_P12ihipStream_tbENKUlT_T0_E_clISt17integral_constantIbLb0EESZ_EEDaSU_SV_EUlSU_E0_NS1_11comp_targetILNS1_3genE2ELNS1_11target_archE906ELNS1_3gpuE6ELNS1_3repE0EEENS1_30default_config_static_selectorELNS0_4arch9wavefront6targetE0EEEvT1_,"axG",@progbits,_ZN7rocprim17ROCPRIM_400000_NS6detail17trampoline_kernelINS0_14default_configENS1_20scan_config_selectorIN3c107complexIdEEEEZZNS1_9scan_implILNS1_25lookback_scan_determinismE0ELb0ELb0ES3_PKS7_PS7_S7_ZZZN2at6native31launch_logcumsumexp_cuda_kernelERKNSE_10TensorBaseESI_lENKUlvE_clEvENKUlvE1_clEvEUlS7_S7_E_S7_EEDaPvRmT3_T4_T5_mT6_P12ihipStream_tbENKUlT_T0_E_clISt17integral_constantIbLb0EESZ_EEDaSU_SV_EUlSU_E0_NS1_11comp_targetILNS1_3genE2ELNS1_11target_archE906ELNS1_3gpuE6ELNS1_3repE0EEENS1_30default_config_static_selectorELNS0_4arch9wavefront6targetE0EEEvT1_,comdat
	.globl	_ZN7rocprim17ROCPRIM_400000_NS6detail17trampoline_kernelINS0_14default_configENS1_20scan_config_selectorIN3c107complexIdEEEEZZNS1_9scan_implILNS1_25lookback_scan_determinismE0ELb0ELb0ES3_PKS7_PS7_S7_ZZZN2at6native31launch_logcumsumexp_cuda_kernelERKNSE_10TensorBaseESI_lENKUlvE_clEvENKUlvE1_clEvEUlS7_S7_E_S7_EEDaPvRmT3_T4_T5_mT6_P12ihipStream_tbENKUlT_T0_E_clISt17integral_constantIbLb0EESZ_EEDaSU_SV_EUlSU_E0_NS1_11comp_targetILNS1_3genE2ELNS1_11target_archE906ELNS1_3gpuE6ELNS1_3repE0EEENS1_30default_config_static_selectorELNS0_4arch9wavefront6targetE0EEEvT1_ ; -- Begin function _ZN7rocprim17ROCPRIM_400000_NS6detail17trampoline_kernelINS0_14default_configENS1_20scan_config_selectorIN3c107complexIdEEEEZZNS1_9scan_implILNS1_25lookback_scan_determinismE0ELb0ELb0ES3_PKS7_PS7_S7_ZZZN2at6native31launch_logcumsumexp_cuda_kernelERKNSE_10TensorBaseESI_lENKUlvE_clEvENKUlvE1_clEvEUlS7_S7_E_S7_EEDaPvRmT3_T4_T5_mT6_P12ihipStream_tbENKUlT_T0_E_clISt17integral_constantIbLb0EESZ_EEDaSU_SV_EUlSU_E0_NS1_11comp_targetILNS1_3genE2ELNS1_11target_archE906ELNS1_3gpuE6ELNS1_3repE0EEENS1_30default_config_static_selectorELNS0_4arch9wavefront6targetE0EEEvT1_
	.p2align	8
	.type	_ZN7rocprim17ROCPRIM_400000_NS6detail17trampoline_kernelINS0_14default_configENS1_20scan_config_selectorIN3c107complexIdEEEEZZNS1_9scan_implILNS1_25lookback_scan_determinismE0ELb0ELb0ES3_PKS7_PS7_S7_ZZZN2at6native31launch_logcumsumexp_cuda_kernelERKNSE_10TensorBaseESI_lENKUlvE_clEvENKUlvE1_clEvEUlS7_S7_E_S7_EEDaPvRmT3_T4_T5_mT6_P12ihipStream_tbENKUlT_T0_E_clISt17integral_constantIbLb0EESZ_EEDaSU_SV_EUlSU_E0_NS1_11comp_targetILNS1_3genE2ELNS1_11target_archE906ELNS1_3gpuE6ELNS1_3repE0EEENS1_30default_config_static_selectorELNS0_4arch9wavefront6targetE0EEEvT1_,@function
_ZN7rocprim17ROCPRIM_400000_NS6detail17trampoline_kernelINS0_14default_configENS1_20scan_config_selectorIN3c107complexIdEEEEZZNS1_9scan_implILNS1_25lookback_scan_determinismE0ELb0ELb0ES3_PKS7_PS7_S7_ZZZN2at6native31launch_logcumsumexp_cuda_kernelERKNSE_10TensorBaseESI_lENKUlvE_clEvENKUlvE1_clEvEUlS7_S7_E_S7_EEDaPvRmT3_T4_T5_mT6_P12ihipStream_tbENKUlT_T0_E_clISt17integral_constantIbLb0EESZ_EEDaSU_SV_EUlSU_E0_NS1_11comp_targetILNS1_3genE2ELNS1_11target_archE906ELNS1_3gpuE6ELNS1_3repE0EEENS1_30default_config_static_selectorELNS0_4arch9wavefront6targetE0EEEvT1_: ; @_ZN7rocprim17ROCPRIM_400000_NS6detail17trampoline_kernelINS0_14default_configENS1_20scan_config_selectorIN3c107complexIdEEEEZZNS1_9scan_implILNS1_25lookback_scan_determinismE0ELb0ELb0ES3_PKS7_PS7_S7_ZZZN2at6native31launch_logcumsumexp_cuda_kernelERKNSE_10TensorBaseESI_lENKUlvE_clEvENKUlvE1_clEvEUlS7_S7_E_S7_EEDaPvRmT3_T4_T5_mT6_P12ihipStream_tbENKUlT_T0_E_clISt17integral_constantIbLb0EESZ_EEDaSU_SV_EUlSU_E0_NS1_11comp_targetILNS1_3genE2ELNS1_11target_archE906ELNS1_3gpuE6ELNS1_3repE0EEENS1_30default_config_static_selectorELNS0_4arch9wavefront6targetE0EEEvT1_
; %bb.0:
	.section	.rodata,"a",@progbits
	.p2align	6, 0x0
	.amdhsa_kernel _ZN7rocprim17ROCPRIM_400000_NS6detail17trampoline_kernelINS0_14default_configENS1_20scan_config_selectorIN3c107complexIdEEEEZZNS1_9scan_implILNS1_25lookback_scan_determinismE0ELb0ELb0ES3_PKS7_PS7_S7_ZZZN2at6native31launch_logcumsumexp_cuda_kernelERKNSE_10TensorBaseESI_lENKUlvE_clEvENKUlvE1_clEvEUlS7_S7_E_S7_EEDaPvRmT3_T4_T5_mT6_P12ihipStream_tbENKUlT_T0_E_clISt17integral_constantIbLb0EESZ_EEDaSU_SV_EUlSU_E0_NS1_11comp_targetILNS1_3genE2ELNS1_11target_archE906ELNS1_3gpuE6ELNS1_3repE0EEENS1_30default_config_static_selectorELNS0_4arch9wavefront6targetE0EEEvT1_
		.amdhsa_group_segment_fixed_size 0
		.amdhsa_private_segment_fixed_size 0
		.amdhsa_kernarg_size 48
		.amdhsa_user_sgpr_count 15
		.amdhsa_user_sgpr_dispatch_ptr 0
		.amdhsa_user_sgpr_queue_ptr 0
		.amdhsa_user_sgpr_kernarg_segment_ptr 1
		.amdhsa_user_sgpr_dispatch_id 0
		.amdhsa_user_sgpr_private_segment_size 0
		.amdhsa_wavefront_size32 1
		.amdhsa_uses_dynamic_stack 0
		.amdhsa_enable_private_segment 0
		.amdhsa_system_sgpr_workgroup_id_x 1
		.amdhsa_system_sgpr_workgroup_id_y 0
		.amdhsa_system_sgpr_workgroup_id_z 0
		.amdhsa_system_sgpr_workgroup_info 0
		.amdhsa_system_vgpr_workitem_id 0
		.amdhsa_next_free_vgpr 1
		.amdhsa_next_free_sgpr 1
		.amdhsa_reserve_vcc 0
		.amdhsa_float_round_mode_32 0
		.amdhsa_float_round_mode_16_64 0
		.amdhsa_float_denorm_mode_32 3
		.amdhsa_float_denorm_mode_16_64 3
		.amdhsa_dx10_clamp 1
		.amdhsa_ieee_mode 1
		.amdhsa_fp16_overflow 0
		.amdhsa_workgroup_processor_mode 1
		.amdhsa_memory_ordered 1
		.amdhsa_forward_progress 0
		.amdhsa_shared_vgpr_count 0
		.amdhsa_exception_fp_ieee_invalid_op 0
		.amdhsa_exception_fp_denorm_src 0
		.amdhsa_exception_fp_ieee_div_zero 0
		.amdhsa_exception_fp_ieee_overflow 0
		.amdhsa_exception_fp_ieee_underflow 0
		.amdhsa_exception_fp_ieee_inexact 0
		.amdhsa_exception_int_div_zero 0
	.end_amdhsa_kernel
	.section	.text._ZN7rocprim17ROCPRIM_400000_NS6detail17trampoline_kernelINS0_14default_configENS1_20scan_config_selectorIN3c107complexIdEEEEZZNS1_9scan_implILNS1_25lookback_scan_determinismE0ELb0ELb0ES3_PKS7_PS7_S7_ZZZN2at6native31launch_logcumsumexp_cuda_kernelERKNSE_10TensorBaseESI_lENKUlvE_clEvENKUlvE1_clEvEUlS7_S7_E_S7_EEDaPvRmT3_T4_T5_mT6_P12ihipStream_tbENKUlT_T0_E_clISt17integral_constantIbLb0EESZ_EEDaSU_SV_EUlSU_E0_NS1_11comp_targetILNS1_3genE2ELNS1_11target_archE906ELNS1_3gpuE6ELNS1_3repE0EEENS1_30default_config_static_selectorELNS0_4arch9wavefront6targetE0EEEvT1_,"axG",@progbits,_ZN7rocprim17ROCPRIM_400000_NS6detail17trampoline_kernelINS0_14default_configENS1_20scan_config_selectorIN3c107complexIdEEEEZZNS1_9scan_implILNS1_25lookback_scan_determinismE0ELb0ELb0ES3_PKS7_PS7_S7_ZZZN2at6native31launch_logcumsumexp_cuda_kernelERKNSE_10TensorBaseESI_lENKUlvE_clEvENKUlvE1_clEvEUlS7_S7_E_S7_EEDaPvRmT3_T4_T5_mT6_P12ihipStream_tbENKUlT_T0_E_clISt17integral_constantIbLb0EESZ_EEDaSU_SV_EUlSU_E0_NS1_11comp_targetILNS1_3genE2ELNS1_11target_archE906ELNS1_3gpuE6ELNS1_3repE0EEENS1_30default_config_static_selectorELNS0_4arch9wavefront6targetE0EEEvT1_,comdat
.Lfunc_end201:
	.size	_ZN7rocprim17ROCPRIM_400000_NS6detail17trampoline_kernelINS0_14default_configENS1_20scan_config_selectorIN3c107complexIdEEEEZZNS1_9scan_implILNS1_25lookback_scan_determinismE0ELb0ELb0ES3_PKS7_PS7_S7_ZZZN2at6native31launch_logcumsumexp_cuda_kernelERKNSE_10TensorBaseESI_lENKUlvE_clEvENKUlvE1_clEvEUlS7_S7_E_S7_EEDaPvRmT3_T4_T5_mT6_P12ihipStream_tbENKUlT_T0_E_clISt17integral_constantIbLb0EESZ_EEDaSU_SV_EUlSU_E0_NS1_11comp_targetILNS1_3genE2ELNS1_11target_archE906ELNS1_3gpuE6ELNS1_3repE0EEENS1_30default_config_static_selectorELNS0_4arch9wavefront6targetE0EEEvT1_, .Lfunc_end201-_ZN7rocprim17ROCPRIM_400000_NS6detail17trampoline_kernelINS0_14default_configENS1_20scan_config_selectorIN3c107complexIdEEEEZZNS1_9scan_implILNS1_25lookback_scan_determinismE0ELb0ELb0ES3_PKS7_PS7_S7_ZZZN2at6native31launch_logcumsumexp_cuda_kernelERKNSE_10TensorBaseESI_lENKUlvE_clEvENKUlvE1_clEvEUlS7_S7_E_S7_EEDaPvRmT3_T4_T5_mT6_P12ihipStream_tbENKUlT_T0_E_clISt17integral_constantIbLb0EESZ_EEDaSU_SV_EUlSU_E0_NS1_11comp_targetILNS1_3genE2ELNS1_11target_archE906ELNS1_3gpuE6ELNS1_3repE0EEENS1_30default_config_static_selectorELNS0_4arch9wavefront6targetE0EEEvT1_
                                        ; -- End function
	.section	.AMDGPU.csdata,"",@progbits
; Kernel info:
; codeLenInByte = 0
; NumSgprs: 0
; NumVgprs: 0
; ScratchSize: 0
; MemoryBound: 0
; FloatMode: 240
; IeeeMode: 1
; LDSByteSize: 0 bytes/workgroup (compile time only)
; SGPRBlocks: 0
; VGPRBlocks: 0
; NumSGPRsForWavesPerEU: 1
; NumVGPRsForWavesPerEU: 1
; Occupancy: 16
; WaveLimiterHint : 0
; COMPUTE_PGM_RSRC2:SCRATCH_EN: 0
; COMPUTE_PGM_RSRC2:USER_SGPR: 15
; COMPUTE_PGM_RSRC2:TRAP_HANDLER: 0
; COMPUTE_PGM_RSRC2:TGID_X_EN: 1
; COMPUTE_PGM_RSRC2:TGID_Y_EN: 0
; COMPUTE_PGM_RSRC2:TGID_Z_EN: 0
; COMPUTE_PGM_RSRC2:TIDIG_COMP_CNT: 0
	.section	.text._ZN7rocprim17ROCPRIM_400000_NS6detail17trampoline_kernelINS0_14default_configENS1_20scan_config_selectorIN3c107complexIdEEEEZZNS1_9scan_implILNS1_25lookback_scan_determinismE0ELb0ELb0ES3_PKS7_PS7_S7_ZZZN2at6native31launch_logcumsumexp_cuda_kernelERKNSE_10TensorBaseESI_lENKUlvE_clEvENKUlvE1_clEvEUlS7_S7_E_S7_EEDaPvRmT3_T4_T5_mT6_P12ihipStream_tbENKUlT_T0_E_clISt17integral_constantIbLb0EESZ_EEDaSU_SV_EUlSU_E0_NS1_11comp_targetILNS1_3genE10ELNS1_11target_archE1201ELNS1_3gpuE5ELNS1_3repE0EEENS1_30default_config_static_selectorELNS0_4arch9wavefront6targetE0EEEvT1_,"axG",@progbits,_ZN7rocprim17ROCPRIM_400000_NS6detail17trampoline_kernelINS0_14default_configENS1_20scan_config_selectorIN3c107complexIdEEEEZZNS1_9scan_implILNS1_25lookback_scan_determinismE0ELb0ELb0ES3_PKS7_PS7_S7_ZZZN2at6native31launch_logcumsumexp_cuda_kernelERKNSE_10TensorBaseESI_lENKUlvE_clEvENKUlvE1_clEvEUlS7_S7_E_S7_EEDaPvRmT3_T4_T5_mT6_P12ihipStream_tbENKUlT_T0_E_clISt17integral_constantIbLb0EESZ_EEDaSU_SV_EUlSU_E0_NS1_11comp_targetILNS1_3genE10ELNS1_11target_archE1201ELNS1_3gpuE5ELNS1_3repE0EEENS1_30default_config_static_selectorELNS0_4arch9wavefront6targetE0EEEvT1_,comdat
	.globl	_ZN7rocprim17ROCPRIM_400000_NS6detail17trampoline_kernelINS0_14default_configENS1_20scan_config_selectorIN3c107complexIdEEEEZZNS1_9scan_implILNS1_25lookback_scan_determinismE0ELb0ELb0ES3_PKS7_PS7_S7_ZZZN2at6native31launch_logcumsumexp_cuda_kernelERKNSE_10TensorBaseESI_lENKUlvE_clEvENKUlvE1_clEvEUlS7_S7_E_S7_EEDaPvRmT3_T4_T5_mT6_P12ihipStream_tbENKUlT_T0_E_clISt17integral_constantIbLb0EESZ_EEDaSU_SV_EUlSU_E0_NS1_11comp_targetILNS1_3genE10ELNS1_11target_archE1201ELNS1_3gpuE5ELNS1_3repE0EEENS1_30default_config_static_selectorELNS0_4arch9wavefront6targetE0EEEvT1_ ; -- Begin function _ZN7rocprim17ROCPRIM_400000_NS6detail17trampoline_kernelINS0_14default_configENS1_20scan_config_selectorIN3c107complexIdEEEEZZNS1_9scan_implILNS1_25lookback_scan_determinismE0ELb0ELb0ES3_PKS7_PS7_S7_ZZZN2at6native31launch_logcumsumexp_cuda_kernelERKNSE_10TensorBaseESI_lENKUlvE_clEvENKUlvE1_clEvEUlS7_S7_E_S7_EEDaPvRmT3_T4_T5_mT6_P12ihipStream_tbENKUlT_T0_E_clISt17integral_constantIbLb0EESZ_EEDaSU_SV_EUlSU_E0_NS1_11comp_targetILNS1_3genE10ELNS1_11target_archE1201ELNS1_3gpuE5ELNS1_3repE0EEENS1_30default_config_static_selectorELNS0_4arch9wavefront6targetE0EEEvT1_
	.p2align	8
	.type	_ZN7rocprim17ROCPRIM_400000_NS6detail17trampoline_kernelINS0_14default_configENS1_20scan_config_selectorIN3c107complexIdEEEEZZNS1_9scan_implILNS1_25lookback_scan_determinismE0ELb0ELb0ES3_PKS7_PS7_S7_ZZZN2at6native31launch_logcumsumexp_cuda_kernelERKNSE_10TensorBaseESI_lENKUlvE_clEvENKUlvE1_clEvEUlS7_S7_E_S7_EEDaPvRmT3_T4_T5_mT6_P12ihipStream_tbENKUlT_T0_E_clISt17integral_constantIbLb0EESZ_EEDaSU_SV_EUlSU_E0_NS1_11comp_targetILNS1_3genE10ELNS1_11target_archE1201ELNS1_3gpuE5ELNS1_3repE0EEENS1_30default_config_static_selectorELNS0_4arch9wavefront6targetE0EEEvT1_,@function
_ZN7rocprim17ROCPRIM_400000_NS6detail17trampoline_kernelINS0_14default_configENS1_20scan_config_selectorIN3c107complexIdEEEEZZNS1_9scan_implILNS1_25lookback_scan_determinismE0ELb0ELb0ES3_PKS7_PS7_S7_ZZZN2at6native31launch_logcumsumexp_cuda_kernelERKNSE_10TensorBaseESI_lENKUlvE_clEvENKUlvE1_clEvEUlS7_S7_E_S7_EEDaPvRmT3_T4_T5_mT6_P12ihipStream_tbENKUlT_T0_E_clISt17integral_constantIbLb0EESZ_EEDaSU_SV_EUlSU_E0_NS1_11comp_targetILNS1_3genE10ELNS1_11target_archE1201ELNS1_3gpuE5ELNS1_3repE0EEENS1_30default_config_static_selectorELNS0_4arch9wavefront6targetE0EEEvT1_: ; @_ZN7rocprim17ROCPRIM_400000_NS6detail17trampoline_kernelINS0_14default_configENS1_20scan_config_selectorIN3c107complexIdEEEEZZNS1_9scan_implILNS1_25lookback_scan_determinismE0ELb0ELb0ES3_PKS7_PS7_S7_ZZZN2at6native31launch_logcumsumexp_cuda_kernelERKNSE_10TensorBaseESI_lENKUlvE_clEvENKUlvE1_clEvEUlS7_S7_E_S7_EEDaPvRmT3_T4_T5_mT6_P12ihipStream_tbENKUlT_T0_E_clISt17integral_constantIbLb0EESZ_EEDaSU_SV_EUlSU_E0_NS1_11comp_targetILNS1_3genE10ELNS1_11target_archE1201ELNS1_3gpuE5ELNS1_3repE0EEENS1_30default_config_static_selectorELNS0_4arch9wavefront6targetE0EEEvT1_
; %bb.0:
	.section	.rodata,"a",@progbits
	.p2align	6, 0x0
	.amdhsa_kernel _ZN7rocprim17ROCPRIM_400000_NS6detail17trampoline_kernelINS0_14default_configENS1_20scan_config_selectorIN3c107complexIdEEEEZZNS1_9scan_implILNS1_25lookback_scan_determinismE0ELb0ELb0ES3_PKS7_PS7_S7_ZZZN2at6native31launch_logcumsumexp_cuda_kernelERKNSE_10TensorBaseESI_lENKUlvE_clEvENKUlvE1_clEvEUlS7_S7_E_S7_EEDaPvRmT3_T4_T5_mT6_P12ihipStream_tbENKUlT_T0_E_clISt17integral_constantIbLb0EESZ_EEDaSU_SV_EUlSU_E0_NS1_11comp_targetILNS1_3genE10ELNS1_11target_archE1201ELNS1_3gpuE5ELNS1_3repE0EEENS1_30default_config_static_selectorELNS0_4arch9wavefront6targetE0EEEvT1_
		.amdhsa_group_segment_fixed_size 0
		.amdhsa_private_segment_fixed_size 0
		.amdhsa_kernarg_size 48
		.amdhsa_user_sgpr_count 15
		.amdhsa_user_sgpr_dispatch_ptr 0
		.amdhsa_user_sgpr_queue_ptr 0
		.amdhsa_user_sgpr_kernarg_segment_ptr 1
		.amdhsa_user_sgpr_dispatch_id 0
		.amdhsa_user_sgpr_private_segment_size 0
		.amdhsa_wavefront_size32 1
		.amdhsa_uses_dynamic_stack 0
		.amdhsa_enable_private_segment 0
		.amdhsa_system_sgpr_workgroup_id_x 1
		.amdhsa_system_sgpr_workgroup_id_y 0
		.amdhsa_system_sgpr_workgroup_id_z 0
		.amdhsa_system_sgpr_workgroup_info 0
		.amdhsa_system_vgpr_workitem_id 0
		.amdhsa_next_free_vgpr 1
		.amdhsa_next_free_sgpr 1
		.amdhsa_reserve_vcc 0
		.amdhsa_float_round_mode_32 0
		.amdhsa_float_round_mode_16_64 0
		.amdhsa_float_denorm_mode_32 3
		.amdhsa_float_denorm_mode_16_64 3
		.amdhsa_dx10_clamp 1
		.amdhsa_ieee_mode 1
		.amdhsa_fp16_overflow 0
		.amdhsa_workgroup_processor_mode 1
		.amdhsa_memory_ordered 1
		.amdhsa_forward_progress 0
		.amdhsa_shared_vgpr_count 0
		.amdhsa_exception_fp_ieee_invalid_op 0
		.amdhsa_exception_fp_denorm_src 0
		.amdhsa_exception_fp_ieee_div_zero 0
		.amdhsa_exception_fp_ieee_overflow 0
		.amdhsa_exception_fp_ieee_underflow 0
		.amdhsa_exception_fp_ieee_inexact 0
		.amdhsa_exception_int_div_zero 0
	.end_amdhsa_kernel
	.section	.text._ZN7rocprim17ROCPRIM_400000_NS6detail17trampoline_kernelINS0_14default_configENS1_20scan_config_selectorIN3c107complexIdEEEEZZNS1_9scan_implILNS1_25lookback_scan_determinismE0ELb0ELb0ES3_PKS7_PS7_S7_ZZZN2at6native31launch_logcumsumexp_cuda_kernelERKNSE_10TensorBaseESI_lENKUlvE_clEvENKUlvE1_clEvEUlS7_S7_E_S7_EEDaPvRmT3_T4_T5_mT6_P12ihipStream_tbENKUlT_T0_E_clISt17integral_constantIbLb0EESZ_EEDaSU_SV_EUlSU_E0_NS1_11comp_targetILNS1_3genE10ELNS1_11target_archE1201ELNS1_3gpuE5ELNS1_3repE0EEENS1_30default_config_static_selectorELNS0_4arch9wavefront6targetE0EEEvT1_,"axG",@progbits,_ZN7rocprim17ROCPRIM_400000_NS6detail17trampoline_kernelINS0_14default_configENS1_20scan_config_selectorIN3c107complexIdEEEEZZNS1_9scan_implILNS1_25lookback_scan_determinismE0ELb0ELb0ES3_PKS7_PS7_S7_ZZZN2at6native31launch_logcumsumexp_cuda_kernelERKNSE_10TensorBaseESI_lENKUlvE_clEvENKUlvE1_clEvEUlS7_S7_E_S7_EEDaPvRmT3_T4_T5_mT6_P12ihipStream_tbENKUlT_T0_E_clISt17integral_constantIbLb0EESZ_EEDaSU_SV_EUlSU_E0_NS1_11comp_targetILNS1_3genE10ELNS1_11target_archE1201ELNS1_3gpuE5ELNS1_3repE0EEENS1_30default_config_static_selectorELNS0_4arch9wavefront6targetE0EEEvT1_,comdat
.Lfunc_end202:
	.size	_ZN7rocprim17ROCPRIM_400000_NS6detail17trampoline_kernelINS0_14default_configENS1_20scan_config_selectorIN3c107complexIdEEEEZZNS1_9scan_implILNS1_25lookback_scan_determinismE0ELb0ELb0ES3_PKS7_PS7_S7_ZZZN2at6native31launch_logcumsumexp_cuda_kernelERKNSE_10TensorBaseESI_lENKUlvE_clEvENKUlvE1_clEvEUlS7_S7_E_S7_EEDaPvRmT3_T4_T5_mT6_P12ihipStream_tbENKUlT_T0_E_clISt17integral_constantIbLb0EESZ_EEDaSU_SV_EUlSU_E0_NS1_11comp_targetILNS1_3genE10ELNS1_11target_archE1201ELNS1_3gpuE5ELNS1_3repE0EEENS1_30default_config_static_selectorELNS0_4arch9wavefront6targetE0EEEvT1_, .Lfunc_end202-_ZN7rocprim17ROCPRIM_400000_NS6detail17trampoline_kernelINS0_14default_configENS1_20scan_config_selectorIN3c107complexIdEEEEZZNS1_9scan_implILNS1_25lookback_scan_determinismE0ELb0ELb0ES3_PKS7_PS7_S7_ZZZN2at6native31launch_logcumsumexp_cuda_kernelERKNSE_10TensorBaseESI_lENKUlvE_clEvENKUlvE1_clEvEUlS7_S7_E_S7_EEDaPvRmT3_T4_T5_mT6_P12ihipStream_tbENKUlT_T0_E_clISt17integral_constantIbLb0EESZ_EEDaSU_SV_EUlSU_E0_NS1_11comp_targetILNS1_3genE10ELNS1_11target_archE1201ELNS1_3gpuE5ELNS1_3repE0EEENS1_30default_config_static_selectorELNS0_4arch9wavefront6targetE0EEEvT1_
                                        ; -- End function
	.section	.AMDGPU.csdata,"",@progbits
; Kernel info:
; codeLenInByte = 0
; NumSgprs: 0
; NumVgprs: 0
; ScratchSize: 0
; MemoryBound: 0
; FloatMode: 240
; IeeeMode: 1
; LDSByteSize: 0 bytes/workgroup (compile time only)
; SGPRBlocks: 0
; VGPRBlocks: 0
; NumSGPRsForWavesPerEU: 1
; NumVGPRsForWavesPerEU: 1
; Occupancy: 16
; WaveLimiterHint : 0
; COMPUTE_PGM_RSRC2:SCRATCH_EN: 0
; COMPUTE_PGM_RSRC2:USER_SGPR: 15
; COMPUTE_PGM_RSRC2:TRAP_HANDLER: 0
; COMPUTE_PGM_RSRC2:TGID_X_EN: 1
; COMPUTE_PGM_RSRC2:TGID_Y_EN: 0
; COMPUTE_PGM_RSRC2:TGID_Z_EN: 0
; COMPUTE_PGM_RSRC2:TIDIG_COMP_CNT: 0
	.section	.text._ZN7rocprim17ROCPRIM_400000_NS6detail17trampoline_kernelINS0_14default_configENS1_20scan_config_selectorIN3c107complexIdEEEEZZNS1_9scan_implILNS1_25lookback_scan_determinismE0ELb0ELb0ES3_PKS7_PS7_S7_ZZZN2at6native31launch_logcumsumexp_cuda_kernelERKNSE_10TensorBaseESI_lENKUlvE_clEvENKUlvE1_clEvEUlS7_S7_E_S7_EEDaPvRmT3_T4_T5_mT6_P12ihipStream_tbENKUlT_T0_E_clISt17integral_constantIbLb0EESZ_EEDaSU_SV_EUlSU_E0_NS1_11comp_targetILNS1_3genE10ELNS1_11target_archE1200ELNS1_3gpuE4ELNS1_3repE0EEENS1_30default_config_static_selectorELNS0_4arch9wavefront6targetE0EEEvT1_,"axG",@progbits,_ZN7rocprim17ROCPRIM_400000_NS6detail17trampoline_kernelINS0_14default_configENS1_20scan_config_selectorIN3c107complexIdEEEEZZNS1_9scan_implILNS1_25lookback_scan_determinismE0ELb0ELb0ES3_PKS7_PS7_S7_ZZZN2at6native31launch_logcumsumexp_cuda_kernelERKNSE_10TensorBaseESI_lENKUlvE_clEvENKUlvE1_clEvEUlS7_S7_E_S7_EEDaPvRmT3_T4_T5_mT6_P12ihipStream_tbENKUlT_T0_E_clISt17integral_constantIbLb0EESZ_EEDaSU_SV_EUlSU_E0_NS1_11comp_targetILNS1_3genE10ELNS1_11target_archE1200ELNS1_3gpuE4ELNS1_3repE0EEENS1_30default_config_static_selectorELNS0_4arch9wavefront6targetE0EEEvT1_,comdat
	.globl	_ZN7rocprim17ROCPRIM_400000_NS6detail17trampoline_kernelINS0_14default_configENS1_20scan_config_selectorIN3c107complexIdEEEEZZNS1_9scan_implILNS1_25lookback_scan_determinismE0ELb0ELb0ES3_PKS7_PS7_S7_ZZZN2at6native31launch_logcumsumexp_cuda_kernelERKNSE_10TensorBaseESI_lENKUlvE_clEvENKUlvE1_clEvEUlS7_S7_E_S7_EEDaPvRmT3_T4_T5_mT6_P12ihipStream_tbENKUlT_T0_E_clISt17integral_constantIbLb0EESZ_EEDaSU_SV_EUlSU_E0_NS1_11comp_targetILNS1_3genE10ELNS1_11target_archE1200ELNS1_3gpuE4ELNS1_3repE0EEENS1_30default_config_static_selectorELNS0_4arch9wavefront6targetE0EEEvT1_ ; -- Begin function _ZN7rocprim17ROCPRIM_400000_NS6detail17trampoline_kernelINS0_14default_configENS1_20scan_config_selectorIN3c107complexIdEEEEZZNS1_9scan_implILNS1_25lookback_scan_determinismE0ELb0ELb0ES3_PKS7_PS7_S7_ZZZN2at6native31launch_logcumsumexp_cuda_kernelERKNSE_10TensorBaseESI_lENKUlvE_clEvENKUlvE1_clEvEUlS7_S7_E_S7_EEDaPvRmT3_T4_T5_mT6_P12ihipStream_tbENKUlT_T0_E_clISt17integral_constantIbLb0EESZ_EEDaSU_SV_EUlSU_E0_NS1_11comp_targetILNS1_3genE10ELNS1_11target_archE1200ELNS1_3gpuE4ELNS1_3repE0EEENS1_30default_config_static_selectorELNS0_4arch9wavefront6targetE0EEEvT1_
	.p2align	8
	.type	_ZN7rocprim17ROCPRIM_400000_NS6detail17trampoline_kernelINS0_14default_configENS1_20scan_config_selectorIN3c107complexIdEEEEZZNS1_9scan_implILNS1_25lookback_scan_determinismE0ELb0ELb0ES3_PKS7_PS7_S7_ZZZN2at6native31launch_logcumsumexp_cuda_kernelERKNSE_10TensorBaseESI_lENKUlvE_clEvENKUlvE1_clEvEUlS7_S7_E_S7_EEDaPvRmT3_T4_T5_mT6_P12ihipStream_tbENKUlT_T0_E_clISt17integral_constantIbLb0EESZ_EEDaSU_SV_EUlSU_E0_NS1_11comp_targetILNS1_3genE10ELNS1_11target_archE1200ELNS1_3gpuE4ELNS1_3repE0EEENS1_30default_config_static_selectorELNS0_4arch9wavefront6targetE0EEEvT1_,@function
_ZN7rocprim17ROCPRIM_400000_NS6detail17trampoline_kernelINS0_14default_configENS1_20scan_config_selectorIN3c107complexIdEEEEZZNS1_9scan_implILNS1_25lookback_scan_determinismE0ELb0ELb0ES3_PKS7_PS7_S7_ZZZN2at6native31launch_logcumsumexp_cuda_kernelERKNSE_10TensorBaseESI_lENKUlvE_clEvENKUlvE1_clEvEUlS7_S7_E_S7_EEDaPvRmT3_T4_T5_mT6_P12ihipStream_tbENKUlT_T0_E_clISt17integral_constantIbLb0EESZ_EEDaSU_SV_EUlSU_E0_NS1_11comp_targetILNS1_3genE10ELNS1_11target_archE1200ELNS1_3gpuE4ELNS1_3repE0EEENS1_30default_config_static_selectorELNS0_4arch9wavefront6targetE0EEEvT1_: ; @_ZN7rocprim17ROCPRIM_400000_NS6detail17trampoline_kernelINS0_14default_configENS1_20scan_config_selectorIN3c107complexIdEEEEZZNS1_9scan_implILNS1_25lookback_scan_determinismE0ELb0ELb0ES3_PKS7_PS7_S7_ZZZN2at6native31launch_logcumsumexp_cuda_kernelERKNSE_10TensorBaseESI_lENKUlvE_clEvENKUlvE1_clEvEUlS7_S7_E_S7_EEDaPvRmT3_T4_T5_mT6_P12ihipStream_tbENKUlT_T0_E_clISt17integral_constantIbLb0EESZ_EEDaSU_SV_EUlSU_E0_NS1_11comp_targetILNS1_3genE10ELNS1_11target_archE1200ELNS1_3gpuE4ELNS1_3repE0EEENS1_30default_config_static_selectorELNS0_4arch9wavefront6targetE0EEEvT1_
; %bb.0:
	.section	.rodata,"a",@progbits
	.p2align	6, 0x0
	.amdhsa_kernel _ZN7rocprim17ROCPRIM_400000_NS6detail17trampoline_kernelINS0_14default_configENS1_20scan_config_selectorIN3c107complexIdEEEEZZNS1_9scan_implILNS1_25lookback_scan_determinismE0ELb0ELb0ES3_PKS7_PS7_S7_ZZZN2at6native31launch_logcumsumexp_cuda_kernelERKNSE_10TensorBaseESI_lENKUlvE_clEvENKUlvE1_clEvEUlS7_S7_E_S7_EEDaPvRmT3_T4_T5_mT6_P12ihipStream_tbENKUlT_T0_E_clISt17integral_constantIbLb0EESZ_EEDaSU_SV_EUlSU_E0_NS1_11comp_targetILNS1_3genE10ELNS1_11target_archE1200ELNS1_3gpuE4ELNS1_3repE0EEENS1_30default_config_static_selectorELNS0_4arch9wavefront6targetE0EEEvT1_
		.amdhsa_group_segment_fixed_size 0
		.amdhsa_private_segment_fixed_size 0
		.amdhsa_kernarg_size 48
		.amdhsa_user_sgpr_count 15
		.amdhsa_user_sgpr_dispatch_ptr 0
		.amdhsa_user_sgpr_queue_ptr 0
		.amdhsa_user_sgpr_kernarg_segment_ptr 1
		.amdhsa_user_sgpr_dispatch_id 0
		.amdhsa_user_sgpr_private_segment_size 0
		.amdhsa_wavefront_size32 1
		.amdhsa_uses_dynamic_stack 0
		.amdhsa_enable_private_segment 0
		.amdhsa_system_sgpr_workgroup_id_x 1
		.amdhsa_system_sgpr_workgroup_id_y 0
		.amdhsa_system_sgpr_workgroup_id_z 0
		.amdhsa_system_sgpr_workgroup_info 0
		.amdhsa_system_vgpr_workitem_id 0
		.amdhsa_next_free_vgpr 1
		.amdhsa_next_free_sgpr 1
		.amdhsa_reserve_vcc 0
		.amdhsa_float_round_mode_32 0
		.amdhsa_float_round_mode_16_64 0
		.amdhsa_float_denorm_mode_32 3
		.amdhsa_float_denorm_mode_16_64 3
		.amdhsa_dx10_clamp 1
		.amdhsa_ieee_mode 1
		.amdhsa_fp16_overflow 0
		.amdhsa_workgroup_processor_mode 1
		.amdhsa_memory_ordered 1
		.amdhsa_forward_progress 0
		.amdhsa_shared_vgpr_count 0
		.amdhsa_exception_fp_ieee_invalid_op 0
		.amdhsa_exception_fp_denorm_src 0
		.amdhsa_exception_fp_ieee_div_zero 0
		.amdhsa_exception_fp_ieee_overflow 0
		.amdhsa_exception_fp_ieee_underflow 0
		.amdhsa_exception_fp_ieee_inexact 0
		.amdhsa_exception_int_div_zero 0
	.end_amdhsa_kernel
	.section	.text._ZN7rocprim17ROCPRIM_400000_NS6detail17trampoline_kernelINS0_14default_configENS1_20scan_config_selectorIN3c107complexIdEEEEZZNS1_9scan_implILNS1_25lookback_scan_determinismE0ELb0ELb0ES3_PKS7_PS7_S7_ZZZN2at6native31launch_logcumsumexp_cuda_kernelERKNSE_10TensorBaseESI_lENKUlvE_clEvENKUlvE1_clEvEUlS7_S7_E_S7_EEDaPvRmT3_T4_T5_mT6_P12ihipStream_tbENKUlT_T0_E_clISt17integral_constantIbLb0EESZ_EEDaSU_SV_EUlSU_E0_NS1_11comp_targetILNS1_3genE10ELNS1_11target_archE1200ELNS1_3gpuE4ELNS1_3repE0EEENS1_30default_config_static_selectorELNS0_4arch9wavefront6targetE0EEEvT1_,"axG",@progbits,_ZN7rocprim17ROCPRIM_400000_NS6detail17trampoline_kernelINS0_14default_configENS1_20scan_config_selectorIN3c107complexIdEEEEZZNS1_9scan_implILNS1_25lookback_scan_determinismE0ELb0ELb0ES3_PKS7_PS7_S7_ZZZN2at6native31launch_logcumsumexp_cuda_kernelERKNSE_10TensorBaseESI_lENKUlvE_clEvENKUlvE1_clEvEUlS7_S7_E_S7_EEDaPvRmT3_T4_T5_mT6_P12ihipStream_tbENKUlT_T0_E_clISt17integral_constantIbLb0EESZ_EEDaSU_SV_EUlSU_E0_NS1_11comp_targetILNS1_3genE10ELNS1_11target_archE1200ELNS1_3gpuE4ELNS1_3repE0EEENS1_30default_config_static_selectorELNS0_4arch9wavefront6targetE0EEEvT1_,comdat
.Lfunc_end203:
	.size	_ZN7rocprim17ROCPRIM_400000_NS6detail17trampoline_kernelINS0_14default_configENS1_20scan_config_selectorIN3c107complexIdEEEEZZNS1_9scan_implILNS1_25lookback_scan_determinismE0ELb0ELb0ES3_PKS7_PS7_S7_ZZZN2at6native31launch_logcumsumexp_cuda_kernelERKNSE_10TensorBaseESI_lENKUlvE_clEvENKUlvE1_clEvEUlS7_S7_E_S7_EEDaPvRmT3_T4_T5_mT6_P12ihipStream_tbENKUlT_T0_E_clISt17integral_constantIbLb0EESZ_EEDaSU_SV_EUlSU_E0_NS1_11comp_targetILNS1_3genE10ELNS1_11target_archE1200ELNS1_3gpuE4ELNS1_3repE0EEENS1_30default_config_static_selectorELNS0_4arch9wavefront6targetE0EEEvT1_, .Lfunc_end203-_ZN7rocprim17ROCPRIM_400000_NS6detail17trampoline_kernelINS0_14default_configENS1_20scan_config_selectorIN3c107complexIdEEEEZZNS1_9scan_implILNS1_25lookback_scan_determinismE0ELb0ELb0ES3_PKS7_PS7_S7_ZZZN2at6native31launch_logcumsumexp_cuda_kernelERKNSE_10TensorBaseESI_lENKUlvE_clEvENKUlvE1_clEvEUlS7_S7_E_S7_EEDaPvRmT3_T4_T5_mT6_P12ihipStream_tbENKUlT_T0_E_clISt17integral_constantIbLb0EESZ_EEDaSU_SV_EUlSU_E0_NS1_11comp_targetILNS1_3genE10ELNS1_11target_archE1200ELNS1_3gpuE4ELNS1_3repE0EEENS1_30default_config_static_selectorELNS0_4arch9wavefront6targetE0EEEvT1_
                                        ; -- End function
	.section	.AMDGPU.csdata,"",@progbits
; Kernel info:
; codeLenInByte = 0
; NumSgprs: 0
; NumVgprs: 0
; ScratchSize: 0
; MemoryBound: 0
; FloatMode: 240
; IeeeMode: 1
; LDSByteSize: 0 bytes/workgroup (compile time only)
; SGPRBlocks: 0
; VGPRBlocks: 0
; NumSGPRsForWavesPerEU: 1
; NumVGPRsForWavesPerEU: 1
; Occupancy: 16
; WaveLimiterHint : 0
; COMPUTE_PGM_RSRC2:SCRATCH_EN: 0
; COMPUTE_PGM_RSRC2:USER_SGPR: 15
; COMPUTE_PGM_RSRC2:TRAP_HANDLER: 0
; COMPUTE_PGM_RSRC2:TGID_X_EN: 1
; COMPUTE_PGM_RSRC2:TGID_Y_EN: 0
; COMPUTE_PGM_RSRC2:TGID_Z_EN: 0
; COMPUTE_PGM_RSRC2:TIDIG_COMP_CNT: 0
	.section	.text._ZN7rocprim17ROCPRIM_400000_NS6detail17trampoline_kernelINS0_14default_configENS1_20scan_config_selectorIN3c107complexIdEEEEZZNS1_9scan_implILNS1_25lookback_scan_determinismE0ELb0ELb0ES3_PKS7_PS7_S7_ZZZN2at6native31launch_logcumsumexp_cuda_kernelERKNSE_10TensorBaseESI_lENKUlvE_clEvENKUlvE1_clEvEUlS7_S7_E_S7_EEDaPvRmT3_T4_T5_mT6_P12ihipStream_tbENKUlT_T0_E_clISt17integral_constantIbLb0EESZ_EEDaSU_SV_EUlSU_E0_NS1_11comp_targetILNS1_3genE9ELNS1_11target_archE1100ELNS1_3gpuE3ELNS1_3repE0EEENS1_30default_config_static_selectorELNS0_4arch9wavefront6targetE0EEEvT1_,"axG",@progbits,_ZN7rocprim17ROCPRIM_400000_NS6detail17trampoline_kernelINS0_14default_configENS1_20scan_config_selectorIN3c107complexIdEEEEZZNS1_9scan_implILNS1_25lookback_scan_determinismE0ELb0ELb0ES3_PKS7_PS7_S7_ZZZN2at6native31launch_logcumsumexp_cuda_kernelERKNSE_10TensorBaseESI_lENKUlvE_clEvENKUlvE1_clEvEUlS7_S7_E_S7_EEDaPvRmT3_T4_T5_mT6_P12ihipStream_tbENKUlT_T0_E_clISt17integral_constantIbLb0EESZ_EEDaSU_SV_EUlSU_E0_NS1_11comp_targetILNS1_3genE9ELNS1_11target_archE1100ELNS1_3gpuE3ELNS1_3repE0EEENS1_30default_config_static_selectorELNS0_4arch9wavefront6targetE0EEEvT1_,comdat
	.globl	_ZN7rocprim17ROCPRIM_400000_NS6detail17trampoline_kernelINS0_14default_configENS1_20scan_config_selectorIN3c107complexIdEEEEZZNS1_9scan_implILNS1_25lookback_scan_determinismE0ELb0ELb0ES3_PKS7_PS7_S7_ZZZN2at6native31launch_logcumsumexp_cuda_kernelERKNSE_10TensorBaseESI_lENKUlvE_clEvENKUlvE1_clEvEUlS7_S7_E_S7_EEDaPvRmT3_T4_T5_mT6_P12ihipStream_tbENKUlT_T0_E_clISt17integral_constantIbLb0EESZ_EEDaSU_SV_EUlSU_E0_NS1_11comp_targetILNS1_3genE9ELNS1_11target_archE1100ELNS1_3gpuE3ELNS1_3repE0EEENS1_30default_config_static_selectorELNS0_4arch9wavefront6targetE0EEEvT1_ ; -- Begin function _ZN7rocprim17ROCPRIM_400000_NS6detail17trampoline_kernelINS0_14default_configENS1_20scan_config_selectorIN3c107complexIdEEEEZZNS1_9scan_implILNS1_25lookback_scan_determinismE0ELb0ELb0ES3_PKS7_PS7_S7_ZZZN2at6native31launch_logcumsumexp_cuda_kernelERKNSE_10TensorBaseESI_lENKUlvE_clEvENKUlvE1_clEvEUlS7_S7_E_S7_EEDaPvRmT3_T4_T5_mT6_P12ihipStream_tbENKUlT_T0_E_clISt17integral_constantIbLb0EESZ_EEDaSU_SV_EUlSU_E0_NS1_11comp_targetILNS1_3genE9ELNS1_11target_archE1100ELNS1_3gpuE3ELNS1_3repE0EEENS1_30default_config_static_selectorELNS0_4arch9wavefront6targetE0EEEvT1_
	.p2align	8
	.type	_ZN7rocprim17ROCPRIM_400000_NS6detail17trampoline_kernelINS0_14default_configENS1_20scan_config_selectorIN3c107complexIdEEEEZZNS1_9scan_implILNS1_25lookback_scan_determinismE0ELb0ELb0ES3_PKS7_PS7_S7_ZZZN2at6native31launch_logcumsumexp_cuda_kernelERKNSE_10TensorBaseESI_lENKUlvE_clEvENKUlvE1_clEvEUlS7_S7_E_S7_EEDaPvRmT3_T4_T5_mT6_P12ihipStream_tbENKUlT_T0_E_clISt17integral_constantIbLb0EESZ_EEDaSU_SV_EUlSU_E0_NS1_11comp_targetILNS1_3genE9ELNS1_11target_archE1100ELNS1_3gpuE3ELNS1_3repE0EEENS1_30default_config_static_selectorELNS0_4arch9wavefront6targetE0EEEvT1_,@function
_ZN7rocprim17ROCPRIM_400000_NS6detail17trampoline_kernelINS0_14default_configENS1_20scan_config_selectorIN3c107complexIdEEEEZZNS1_9scan_implILNS1_25lookback_scan_determinismE0ELb0ELb0ES3_PKS7_PS7_S7_ZZZN2at6native31launch_logcumsumexp_cuda_kernelERKNSE_10TensorBaseESI_lENKUlvE_clEvENKUlvE1_clEvEUlS7_S7_E_S7_EEDaPvRmT3_T4_T5_mT6_P12ihipStream_tbENKUlT_T0_E_clISt17integral_constantIbLb0EESZ_EEDaSU_SV_EUlSU_E0_NS1_11comp_targetILNS1_3genE9ELNS1_11target_archE1100ELNS1_3gpuE3ELNS1_3repE0EEENS1_30default_config_static_selectorELNS0_4arch9wavefront6targetE0EEEvT1_: ; @_ZN7rocprim17ROCPRIM_400000_NS6detail17trampoline_kernelINS0_14default_configENS1_20scan_config_selectorIN3c107complexIdEEEEZZNS1_9scan_implILNS1_25lookback_scan_determinismE0ELb0ELb0ES3_PKS7_PS7_S7_ZZZN2at6native31launch_logcumsumexp_cuda_kernelERKNSE_10TensorBaseESI_lENKUlvE_clEvENKUlvE1_clEvEUlS7_S7_E_S7_EEDaPvRmT3_T4_T5_mT6_P12ihipStream_tbENKUlT_T0_E_clISt17integral_constantIbLb0EESZ_EEDaSU_SV_EUlSU_E0_NS1_11comp_targetILNS1_3genE9ELNS1_11target_archE1100ELNS1_3gpuE3ELNS1_3repE0EEENS1_30default_config_static_selectorELNS0_4arch9wavefront6targetE0EEEvT1_
; %bb.0:
	s_mov_b64 s[18:19], s[0:1]
	s_load_b128 s[0:3], s[0:1], 0x0
	s_mov_b32 s32, 0
	s_waitcnt lgkmcnt(0)
	s_load_b128 s[4:7], s[0:1], 0x0
	v_mov_b32_e32 v156, v0
	s_waitcnt lgkmcnt(0)
	v_dual_mov_b32 v2, s6 :: v_dual_mov_b32 v3, s7
	s_delay_alu instid0(VALU_DEP_2) | instskip(SKIP_2) | instid1(VALU_DEP_2)
	v_dual_mov_b32 v0, s4 :: v_dual_lshlrev_b32 v157, 4, v156
	v_cmp_gt_u32_e64 s17, s2, v156
	v_mov_b32_e32 v1, s5
	s_and_saveexec_b32 s3, s17
	s_cbranch_execz .LBB204_2
; %bb.1:
	global_load_b128 v[0:3], v157, s[0:1]
.LBB204_2:
	s_or_b32 exec_lo, exec_lo, s3
	v_or_b32_e32 v32, 0x100, v156
	v_dual_mov_b32 v6, s6 :: v_dual_mov_b32 v7, s7
	v_dual_mov_b32 v4, s4 :: v_dual_mov_b32 v5, s5
	s_delay_alu instid0(VALU_DEP_3) | instskip(NEXT) | instid1(VALU_DEP_1)
	v_cmp_gt_u32_e64 s20, s2, v32
	s_and_saveexec_b32 s3, s20
	s_cbranch_execz .LBB204_4
; %bb.3:
	v_lshlrev_b32_e32 v4, 4, v32
	global_load_b128 v[4:7], v4, s[0:1]
.LBB204_4:
	s_or_b32 exec_lo, exec_lo, s3
	v_or_b32_e32 v33, 0x200, v156
	v_dual_mov_b32 v11, s7 :: v_dual_mov_b32 v10, s6
	v_dual_mov_b32 v9, s5 :: v_dual_mov_b32 v8, s4
	s_delay_alu instid0(VALU_DEP_3) | instskip(NEXT) | instid1(VALU_DEP_1)
	v_cmp_gt_u32_e64 s21, s2, v33
	s_and_saveexec_b32 s3, s21
	s_cbranch_execz .LBB204_6
; %bb.5:
	v_lshlrev_b32_e32 v8, 4, v33
	global_load_b128 v[8:11], v8, s[0:1]
.LBB204_6:
	;; [unrolled: 12-line block ×7, first 2 shown]
	s_or_b32 exec_lo, exec_lo, s2
	v_lshrrev_b32_e32 v39, 1, v156
	v_lshrrev_b32_e32 v32, 1, v32
	;; [unrolled: 1-line block ×5, first 2 shown]
	v_and_b32_e32 v167, 0x70, v39
	v_and_b32_e32 v32, 0xf0, v32
	s_getpc_b64 s[28:29]
	s_add_u32 s28, s28, _ZZZZN2at6native31launch_logcumsumexp_cuda_kernelERKNS_10TensorBaseES3_lENKUlvE_clEvENKUlvE1_clEvENKUlN3c107complexIdEES8_E_clES8_S8_@rel32@lo+4
	s_addc_u32 s29, s29, _ZZZZN2at6native31launch_logcumsumexp_cuda_kernelERKNS_10TensorBaseES3_lENKUlvE_clEvENKUlvE1_clEvENKUlN3c107complexIdEES8_E_clES8_S8_@rel32@hi+12
	v_and_b32_e32 v33, 0x1f0, v33
	v_and_b32_e32 v34, 0x1f0, v34
	v_add_nc_u32_e32 v158, v167, v157
	v_add_nc_u32_e32 v159, v32, v157
	v_lshrrev_b32_e32 v32, 1, v36
	v_add_nc_u32_e32 v160, v33, v157
	v_add_nc_u32_e32 v161, v34, v157
	s_waitcnt vmcnt(0)
	ds_store_b128 v158, v[0:3]
	ds_store_b128 v159, v[4:7] offset:4096
	v_and_b32_e32 v0, 0x3f0, v35
	v_and_b32_e32 v1, 0x3f0, v32
	v_lshrrev_b32_e32 v2, 1, v37
	v_lshrrev_b32_e32 v3, 1, v38
	ds_store_b128 v160, v[8:11] offset:8192
	ds_store_b128 v161, v[12:15] offset:12288
	v_add_nc_u32_e32 v162, v0, v157
	v_add_nc_u32_e32 v163, v1, v157
	v_and_b32_e32 v0, 0x3f0, v2
	v_and_b32_e32 v2, 0x3f0, v3
	v_lshlrev_b32_e32 v1, 3, v156
	v_lshrrev_b32_e32 v3, 2, v156
	ds_store_b128 v162, v[16:19] offset:16384
	ds_store_b128 v163, v[20:23] offset:20480
	v_add_nc_u32_e32 v164, v0, v157
	v_add_nc_u32_e32 v165, v2, v157
	ds_store_b128 v164, v[24:27] offset:24576
	ds_store_b128 v165, v[28:31] offset:28672
	v_add_lshl_u32 v166, v3, v1, 4
	s_waitcnt lgkmcnt(0)
	s_barrier
	buffer_gl0_inv
	ds_load_b128 v[40:43], v166
	ds_load_b128 v[124:127], v166 offset:16
	ds_load_b128 v[108:111], v166 offset:32
	;; [unrolled: 1-line block ×7, first 2 shown]
	s_waitcnt lgkmcnt(0)
	s_barrier
	buffer_gl0_inv
	v_mov_b32_e32 v0, v40
	v_dual_mov_b32 v4, v124 :: v_dual_mov_b32 v1, v41
	v_dual_mov_b32 v2, v42 :: v_dual_mov_b32 v3, v43
	;; [unrolled: 1-line block ×3, first 2 shown]
	v_mov_b32_e32 v7, v127
	s_swappc_b64 s[30:31], s[28:29]
	v_dual_mov_b32 v4, v108 :: v_dual_mov_b32 v5, v109
	v_dual_mov_b32 v6, v110 :: v_dual_mov_b32 v7, v111
	v_dual_mov_b32 v56, v0 :: v_dual_mov_b32 v57, v1
	v_dual_mov_b32 v58, v2 :: v_dual_mov_b32 v59, v3
	s_swappc_b64 s[30:31], s[28:29]
	v_dual_mov_b32 v4, v92 :: v_dual_mov_b32 v5, v93
	v_dual_mov_b32 v6, v94 :: v_dual_mov_b32 v7, v95
	v_dual_mov_b32 v76, v0 :: v_dual_mov_b32 v77, v1
	v_dual_mov_b32 v78, v2 :: v_dual_mov_b32 v79, v3
	;; [unrolled: 5-line block ×6, first 2 shown]
	s_swappc_b64 s[30:31], s[28:29]
	v_dual_mov_b32 v146, v2 :: v_dual_mov_b32 v147, v3
	v_mbcnt_lo_u32_b32 v168, -1, 0
	v_dual_mov_b32 v144, v0 :: v_dual_mov_b32 v145, v1
	s_delay_alu instid0(VALU_DEP_3) | instskip(NEXT) | instid1(VALU_DEP_3)
	v_mov_b32_dpp v6, v146 row_shr:1 row_mask:0xf bank_mask:0xf
	v_dual_mov_b32 v151, v147 :: v_dual_and_b32 v152, 15, v168
	s_delay_alu instid0(VALU_DEP_3) | instskip(NEXT) | instid1(VALU_DEP_4)
	v_dual_mov_b32 v150, v146 :: v_dual_mov_b32 v149, v145
	v_mov_b32_dpp v4, v144 row_shr:1 row_mask:0xf bank_mask:0xf
	v_mov_b32_dpp v5, v145 row_shr:1 row_mask:0xf bank_mask:0xf
	;; [unrolled: 1-line block ×3, first 2 shown]
	v_mov_b32_e32 v148, v144
	s_mov_b32 s27, exec_lo
	v_cmpx_ne_u32_e32 0, v152
	s_cbranch_execz .LBB204_18
; %bb.17:
	v_dual_mov_b32 v0, v4 :: v_dual_mov_b32 v1, v5
	v_dual_mov_b32 v2, v6 :: v_dual_mov_b32 v3, v7
	;; [unrolled: 1-line block ×4, first 2 shown]
	s_swappc_b64 s[30:31], s[28:29]
	v_dual_mov_b32 v148, v0 :: v_dual_mov_b32 v149, v1
	v_dual_mov_b32 v150, v2 :: v_dual_mov_b32 v151, v3
.LBB204_18:
	s_or_b32 exec_lo, exec_lo, s27
	v_mov_b32_dpp v4, v0 row_shr:2 row_mask:0xf bank_mask:0xf
	v_mov_b32_dpp v5, v1 row_shr:2 row_mask:0xf bank_mask:0xf
	v_mov_b32_dpp v6, v2 row_shr:2 row_mask:0xf bank_mask:0xf
	v_mov_b32_dpp v7, v3 row_shr:2 row_mask:0xf bank_mask:0xf
	s_mov_b32 s27, exec_lo
	v_cmpx_lt_u32_e32 1, v152
	s_cbranch_execz .LBB204_20
; %bb.19:
	v_dual_mov_b32 v0, v4 :: v_dual_mov_b32 v1, v5
	v_dual_mov_b32 v2, v6 :: v_dual_mov_b32 v3, v7
	v_dual_mov_b32 v4, v148 :: v_dual_mov_b32 v5, v149
	v_dual_mov_b32 v6, v150 :: v_dual_mov_b32 v7, v151
	s_getpc_b64 s[0:1]
	s_add_u32 s0, s0, _ZZZZN2at6native31launch_logcumsumexp_cuda_kernelERKNS_10TensorBaseES3_lENKUlvE_clEvENKUlvE1_clEvENKUlN3c107complexIdEES8_E_clES8_S8_@rel32@lo+4
	s_addc_u32 s1, s1, _ZZZZN2at6native31launch_logcumsumexp_cuda_kernelERKNS_10TensorBaseES3_lENKUlvE_clEvENKUlvE1_clEvENKUlN3c107complexIdEES8_E_clES8_S8_@rel32@hi+12
	s_delay_alu instid0(SALU_CYCLE_1)
	s_swappc_b64 s[30:31], s[0:1]
	v_dual_mov_b32 v151, v3 :: v_dual_mov_b32 v150, v2
	v_dual_mov_b32 v149, v1 :: v_dual_mov_b32 v148, v0
.LBB204_20:
	s_or_b32 exec_lo, exec_lo, s27
	v_mov_b32_dpp v4, v0 row_shr:4 row_mask:0xf bank_mask:0xf
	v_mov_b32_dpp v5, v1 row_shr:4 row_mask:0xf bank_mask:0xf
	v_mov_b32_dpp v6, v2 row_shr:4 row_mask:0xf bank_mask:0xf
	v_mov_b32_dpp v7, v3 row_shr:4 row_mask:0xf bank_mask:0xf
	s_mov_b32 s27, exec_lo
	v_cmpx_lt_u32_e32 3, v152
	s_cbranch_execz .LBB204_22
; %bb.21:
	v_dual_mov_b32 v0, v4 :: v_dual_mov_b32 v1, v5
	v_dual_mov_b32 v2, v6 :: v_dual_mov_b32 v3, v7
	v_dual_mov_b32 v4, v148 :: v_dual_mov_b32 v5, v149
	v_dual_mov_b32 v6, v150 :: v_dual_mov_b32 v7, v151
	s_getpc_b64 s[0:1]
	s_add_u32 s0, s0, _ZZZZN2at6native31launch_logcumsumexp_cuda_kernelERKNS_10TensorBaseES3_lENKUlvE_clEvENKUlvE1_clEvENKUlN3c107complexIdEES8_E_clES8_S8_@rel32@lo+4
	s_addc_u32 s1, s1, _ZZZZN2at6native31launch_logcumsumexp_cuda_kernelERKNS_10TensorBaseES3_lENKUlvE_clEvENKUlvE1_clEvENKUlN3c107complexIdEES8_E_clES8_S8_@rel32@hi+12
	s_delay_alu instid0(SALU_CYCLE_1)
	s_swappc_b64 s[30:31], s[0:1]
	v_dual_mov_b32 v151, v3 :: v_dual_mov_b32 v150, v2
	v_dual_mov_b32 v149, v1 :: v_dual_mov_b32 v148, v0
.LBB204_22:
	;; [unrolled: 21-line block ×3, first 2 shown]
	s_or_b32 exec_lo, exec_lo, s27
	ds_swizzle_b32 v0, v0 offset:swizzle(BROADCAST,32,15)
	ds_swizzle_b32 v1, v1 offset:swizzle(BROADCAST,32,15)
	;; [unrolled: 1-line block ×4, first 2 shown]
	v_and_b32_e32 v4, 16, v168
	s_mov_b32 s27, exec_lo
	s_delay_alu instid0(VALU_DEP_1)
	v_cmpx_ne_u32_e32 0, v4
	s_cbranch_execz .LBB204_26
; %bb.25:
	v_dual_mov_b32 v4, v148 :: v_dual_mov_b32 v5, v149
	v_dual_mov_b32 v6, v150 :: v_dual_mov_b32 v7, v151
	s_getpc_b64 s[0:1]
	s_add_u32 s0, s0, _ZZZZN2at6native31launch_logcumsumexp_cuda_kernelERKNS_10TensorBaseES3_lENKUlvE_clEvENKUlvE1_clEvENKUlN3c107complexIdEES8_E_clES8_S8_@rel32@lo+4
	s_addc_u32 s1, s1, _ZZZZN2at6native31launch_logcumsumexp_cuda_kernelERKNS_10TensorBaseES3_lENKUlvE_clEvENKUlvE1_clEvENKUlN3c107complexIdEES8_E_clES8_S8_@rel32@hi+12
	s_delay_alu instid0(SALU_CYCLE_1)
	s_swappc_b64 s[30:31], s[0:1]
	v_dual_mov_b32 v148, v0 :: v_dual_mov_b32 v149, v1
	v_dual_mov_b32 v150, v2 :: v_dual_mov_b32 v151, v3
.LBB204_26:
	s_or_b32 exec_lo, exec_lo, s27
	s_waitcnt lgkmcnt(3)
	v_or_b32_e32 v0, 31, v156
	s_mov_b32 s0, exec_lo
	s_delay_alu instid0(VALU_DEP_1)
	v_cmpx_eq_u32_e64 v0, v156
	s_cbranch_execz .LBB204_28
; %bb.27:
	ds_store_b128 v167, v[148:151]
.LBB204_28:
	s_or_b32 exec_lo, exec_lo, s0
	s_load_b64 s[18:19], s[18:19], 0x28
	s_mov_b32 s27, exec_lo
	s_waitcnt lgkmcnt(0)
	s_waitcnt_vscnt null, 0x0
	s_barrier
	buffer_gl0_inv
	v_cmpx_gt_u32_e32 8, v156
	s_cbranch_execz .LBB204_36
; %bb.29:
	ds_load_b128 v[4:7], v157
	v_and_b32_e32 v152, 7, v168
	s_mov_b32 s28, exec_lo
	s_waitcnt lgkmcnt(0)
	v_mov_b32_dpp v0, v4 row_shr:1 row_mask:0xf bank_mask:0xf
	v_mov_b32_dpp v1, v5 row_shr:1 row_mask:0xf bank_mask:0xf
	v_mov_b32_dpp v2, v6 row_shr:1 row_mask:0xf bank_mask:0xf
	v_mov_b32_dpp v3, v7 row_shr:1 row_mask:0xf bank_mask:0xf
	v_cmpx_ne_u32_e32 0, v152
	s_cbranch_execz .LBB204_31
; %bb.30:
	s_getpc_b64 s[0:1]
	s_add_u32 s0, s0, _ZZZZN2at6native31launch_logcumsumexp_cuda_kernelERKNS_10TensorBaseES3_lENKUlvE_clEvENKUlvE1_clEvENKUlN3c107complexIdEES8_E_clES8_S8_@rel32@lo+4
	s_addc_u32 s1, s1, _ZZZZN2at6native31launch_logcumsumexp_cuda_kernelERKNS_10TensorBaseES3_lENKUlvE_clEvENKUlvE1_clEvENKUlN3c107complexIdEES8_E_clES8_S8_@rel32@hi+12
	s_delay_alu instid0(SALU_CYCLE_1)
	s_swappc_b64 s[30:31], s[0:1]
	v_dual_mov_b32 v4, v0 :: v_dual_mov_b32 v5, v1
	v_dual_mov_b32 v6, v2 :: v_dual_mov_b32 v7, v3
.LBB204_31:
	s_or_b32 exec_lo, exec_lo, s28
	s_delay_alu instid0(VALU_DEP_2) | instskip(NEXT) | instid1(VALU_DEP_3)
	v_mov_b32_dpp v0, v4 row_shr:2 row_mask:0xf bank_mask:0xf
	v_mov_b32_dpp v1, v5 row_shr:2 row_mask:0xf bank_mask:0xf
	s_delay_alu instid0(VALU_DEP_3)
	v_mov_b32_dpp v2, v6 row_shr:2 row_mask:0xf bank_mask:0xf
	v_mov_b32_dpp v3, v7 row_shr:2 row_mask:0xf bank_mask:0xf
	s_mov_b32 s28, exec_lo
	v_cmpx_lt_u32_e32 1, v152
	s_cbranch_execz .LBB204_33
; %bb.32:
	s_getpc_b64 s[0:1]
	s_add_u32 s0, s0, _ZZZZN2at6native31launch_logcumsumexp_cuda_kernelERKNS_10TensorBaseES3_lENKUlvE_clEvENKUlvE1_clEvENKUlN3c107complexIdEES8_E_clES8_S8_@rel32@lo+4
	s_addc_u32 s1, s1, _ZZZZN2at6native31launch_logcumsumexp_cuda_kernelERKNS_10TensorBaseES3_lENKUlvE_clEvENKUlvE1_clEvENKUlN3c107complexIdEES8_E_clES8_S8_@rel32@hi+12
	s_delay_alu instid0(SALU_CYCLE_1)
	s_swappc_b64 s[30:31], s[0:1]
	v_dual_mov_b32 v4, v0 :: v_dual_mov_b32 v5, v1
	v_dual_mov_b32 v6, v2 :: v_dual_mov_b32 v7, v3
.LBB204_33:
	s_or_b32 exec_lo, exec_lo, s28
	s_delay_alu instid0(VALU_DEP_2) | instskip(NEXT) | instid1(VALU_DEP_3)
	v_mov_b32_dpp v0, v4 row_shr:4 row_mask:0xf bank_mask:0xf
	v_mov_b32_dpp v1, v5 row_shr:4 row_mask:0xf bank_mask:0xf
	s_delay_alu instid0(VALU_DEP_3)
	v_mov_b32_dpp v2, v6 row_shr:4 row_mask:0xf bank_mask:0xf
	v_mov_b32_dpp v3, v7 row_shr:4 row_mask:0xf bank_mask:0xf
	s_mov_b32 s28, exec_lo
	v_cmpx_lt_u32_e32 3, v152
	s_cbranch_execz .LBB204_35
; %bb.34:
	s_getpc_b64 s[0:1]
	s_add_u32 s0, s0, _ZZZZN2at6native31launch_logcumsumexp_cuda_kernelERKNS_10TensorBaseES3_lENKUlvE_clEvENKUlvE1_clEvENKUlN3c107complexIdEES8_E_clES8_S8_@rel32@lo+4
	s_addc_u32 s1, s1, _ZZZZN2at6native31launch_logcumsumexp_cuda_kernelERKNS_10TensorBaseES3_lENKUlvE_clEvENKUlvE1_clEvENKUlN3c107complexIdEES8_E_clES8_S8_@rel32@hi+12
	s_delay_alu instid0(SALU_CYCLE_1)
	s_swappc_b64 s[30:31], s[0:1]
	v_dual_mov_b32 v4, v0 :: v_dual_mov_b32 v5, v1
	v_dual_mov_b32 v6, v2 :: v_dual_mov_b32 v7, v3
.LBB204_35:
	s_or_b32 exec_lo, exec_lo, s28
	ds_store_b128 v157, v[4:7]
.LBB204_36:
	s_or_b32 exec_lo, exec_lo, s27
	v_mov_b32_e32 v154, 0
	v_mov_b32_e32 v155, 0
	s_delay_alu instid0(VALU_DEP_2)
	v_mov_b32_e32 v152, v154
	s_mov_b32 s27, exec_lo
	s_waitcnt lgkmcnt(0)
	s_waitcnt_vscnt null, 0x0
	s_barrier
	v_mov_b32_e32 v153, v155
	buffer_gl0_inv
	v_cmpx_lt_u32_e32 31, v156
	s_cbranch_execz .LBB204_38
; %bb.37:
	v_dual_mov_b32 v5, v149 :: v_dual_add_nc_u32 v0, -16, v167
	s_getpc_b64 s[0:1]
	s_add_u32 s0, s0, _ZZZZN2at6native31launch_logcumsumexp_cuda_kernelERKNS_10TensorBaseES3_lENKUlvE_clEvENKUlvE1_clEvENKUlN3c107complexIdEES8_E_clES8_S8_@rel32@lo+4
	s_addc_u32 s1, s1, _ZZZZN2at6native31launch_logcumsumexp_cuda_kernelERKNS_10TensorBaseES3_lENKUlvE_clEvENKUlvE1_clEvENKUlN3c107complexIdEES8_E_clES8_S8_@rel32@hi+12
	v_mov_b32_e32 v7, v151
	ds_load_b128 v[152:155], v0
	v_mov_b32_e32 v4, v148
	s_waitcnt lgkmcnt(0)
	v_dual_mov_b32 v6, v150 :: v_dual_mov_b32 v3, v155
	v_dual_mov_b32 v0, v152 :: v_dual_mov_b32 v1, v153
	v_mov_b32_e32 v2, v154
	s_swappc_b64 s[30:31], s[0:1]
	s_delay_alu instid0(VALU_DEP_2) | instskip(NEXT) | instid1(VALU_DEP_2)
	v_dual_mov_b32 v148, v0 :: v_dual_mov_b32 v149, v1
	v_dual_mov_b32 v150, v2 :: v_dual_mov_b32 v151, v3
.LBB204_38:
	s_or_b32 exec_lo, exec_lo, s27
	v_add_nc_u32_e32 v0, -1, v168
	s_mov_b32 s27, exec_lo
	s_delay_alu instid0(VALU_DEP_1) | instskip(SKIP_1) | instid1(VALU_DEP_1)
	v_cmp_gt_i32_e32 vcc_lo, 0, v0
	v_cndmask_b32_e32 v0, v0, v168, vcc_lo
	v_lshlrev_b32_e32 v3, 2, v0
	ds_bpermute_b32 v0, v3, v148
	ds_bpermute_b32 v1, v3, v149
	;; [unrolled: 1-line block ×4, first 2 shown]
	v_cmpx_ne_u32_e32 0, v156
	s_cbranch_execz .LBB204_40
; %bb.39:
	v_cmp_eq_u32_e32 vcc_lo, 0, v168
	v_dual_mov_b32 v4, v40 :: v_dual_mov_b32 v5, v41
	v_dual_mov_b32 v6, v42 :: v_dual_mov_b32 v7, v43
	s_waitcnt lgkmcnt(2)
	v_dual_cndmask_b32 v0, v0, v152 :: v_dual_cndmask_b32 v1, v1, v153
	s_waitcnt lgkmcnt(0)
	v_dual_cndmask_b32 v2, v2, v154 :: v_dual_cndmask_b32 v3, v3, v155
	s_getpc_b64 s[28:29]
	s_add_u32 s28, s28, _ZZZZN2at6native31launch_logcumsumexp_cuda_kernelERKNS_10TensorBaseES3_lENKUlvE_clEvENKUlvE1_clEvENKUlN3c107complexIdEES8_E_clES8_S8_@rel32@lo+4
	s_addc_u32 s29, s29, _ZZZZN2at6native31launch_logcumsumexp_cuda_kernelERKNS_10TensorBaseES3_lENKUlvE_clEvENKUlvE1_clEvENKUlN3c107complexIdEES8_E_clES8_S8_@rel32@hi+12
	s_delay_alu instid0(SALU_CYCLE_1)
	s_swappc_b64 s[30:31], s[28:29]
	v_dual_mov_b32 v4, v124 :: v_dual_mov_b32 v5, v125
	v_dual_mov_b32 v6, v126 :: v_dual_mov_b32 v7, v127
	;; [unrolled: 1-line block ×4, first 2 shown]
	;;#ASMSTART
	;;#ASMEND
	s_swappc_b64 s[30:31], s[28:29]
	v_dual_mov_b32 v4, v108 :: v_dual_mov_b32 v5, v109
	v_dual_mov_b32 v6, v110 :: v_dual_mov_b32 v7, v111
	v_dual_mov_b32 v56, v0 :: v_dual_mov_b32 v57, v1
	v_dual_mov_b32 v58, v2 :: v_dual_mov_b32 v59, v3
	s_swappc_b64 s[30:31], s[28:29]
	v_dual_mov_b32 v4, v92 :: v_dual_mov_b32 v5, v93
	v_dual_mov_b32 v6, v94 :: v_dual_mov_b32 v7, v95
	v_dual_mov_b32 v76, v0 :: v_dual_mov_b32 v77, v1
	v_dual_mov_b32 v78, v2 :: v_dual_mov_b32 v79, v3
	;; [unrolled: 5-line block ×6, first 2 shown]
	s_swappc_b64 s[30:31], s[28:29]
	v_dual_mov_b32 v144, v0 :: v_dual_mov_b32 v145, v1
	v_dual_mov_b32 v146, v2 :: v_dual_mov_b32 v147, v3
.LBB204_40:
	s_or_b32 exec_lo, exec_lo, s27
	s_waitcnt lgkmcnt(0)
	s_waitcnt_vscnt null, 0x0
	s_barrier
	buffer_gl0_inv
	ds_store_b128 v166, v[40:43]
	ds_store_b128 v166, v[56:59] offset:16
	ds_store_b128 v166, v[76:79] offset:32
	ds_store_b128 v166, v[104:107] offset:48
	ds_store_b128 v166, v[120:123] offset:64
	ds_store_b128 v166, v[136:139] offset:80
	ds_store_b128 v166, v[140:143] offset:96
	ds_store_b128 v166, v[144:147] offset:112
	s_waitcnt lgkmcnt(0)
	s_barrier
	buffer_gl0_inv
	ds_load_b128 v[24:27], v159 offset:4096
	ds_load_b128 v[20:23], v160 offset:8192
	;; [unrolled: 1-line block ×7, first 2 shown]
	v_add_co_u32 v28, s0, s18, v157
	s_delay_alu instid0(VALU_DEP_1)
	v_add_co_ci_u32_e64 v29, null, s19, 0, s0
	s_and_saveexec_b32 s0, s17
	s_cbranch_execnz .LBB204_49
; %bb.41:
	s_or_b32 exec_lo, exec_lo, s0
	s_and_saveexec_b32 s0, s20
	s_cbranch_execnz .LBB204_50
.LBB204_42:
	s_or_b32 exec_lo, exec_lo, s0
	s_and_saveexec_b32 s0, s21
	s_cbranch_execnz .LBB204_51
.LBB204_43:
	s_or_b32 exec_lo, exec_lo, s0
	s_and_saveexec_b32 s0, s22
	s_cbranch_execnz .LBB204_52
.LBB204_44:
	s_or_b32 exec_lo, exec_lo, s0
	s_and_saveexec_b32 s0, s23
	s_cbranch_execnz .LBB204_53
.LBB204_45:
	s_or_b32 exec_lo, exec_lo, s0
	s_and_saveexec_b32 s0, s24
	s_cbranch_execnz .LBB204_54
.LBB204_46:
	s_or_b32 exec_lo, exec_lo, s0
	s_and_saveexec_b32 s0, s25
	s_cbranch_execnz .LBB204_55
.LBB204_47:
	s_or_b32 exec_lo, exec_lo, s0
	s_and_saveexec_b32 s0, s26
	s_cbranch_execnz .LBB204_56
.LBB204_48:
	s_nop 0
	s_sendmsg sendmsg(MSG_DEALLOC_VGPRS)
	s_endpgm
.LBB204_49:
	ds_load_b128 v[30:33], v158
	s_waitcnt lgkmcnt(0)
	global_store_b128 v[28:29], v[30:33], off
	s_or_b32 exec_lo, exec_lo, s0
	s_and_saveexec_b32 s0, s20
	s_cbranch_execz .LBB204_42
.LBB204_50:
	v_add_co_u32 v30, vcc_lo, 0x1000, v28
	v_add_co_ci_u32_e32 v31, vcc_lo, 0, v29, vcc_lo
	s_waitcnt lgkmcnt(6)
	global_store_b128 v[30:31], v[24:27], off
	s_or_b32 exec_lo, exec_lo, s0
	s_and_saveexec_b32 s0, s21
	s_cbranch_execz .LBB204_43
.LBB204_51:
	s_waitcnt lgkmcnt(6)
	v_add_co_u32 v24, vcc_lo, 0x2000, v28
	v_add_co_ci_u32_e32 v25, vcc_lo, 0, v29, vcc_lo
	s_waitcnt lgkmcnt(5)
	global_store_b128 v[24:25], v[20:23], off
	s_or_b32 exec_lo, exec_lo, s0
	s_and_saveexec_b32 s0, s22
	s_cbranch_execz .LBB204_44
.LBB204_52:
	s_waitcnt lgkmcnt(5)
	v_add_co_u32 v20, vcc_lo, 0x3000, v28
	v_add_co_ci_u32_e32 v21, vcc_lo, 0, v29, vcc_lo
	s_waitcnt lgkmcnt(4)
	global_store_b128 v[20:21], v[16:19], off
	s_or_b32 exec_lo, exec_lo, s0
	s_and_saveexec_b32 s0, s23
	s_cbranch_execz .LBB204_45
.LBB204_53:
	s_waitcnt lgkmcnt(4)
	v_add_co_u32 v16, vcc_lo, 0x4000, v28
	v_add_co_ci_u32_e32 v17, vcc_lo, 0, v29, vcc_lo
	s_waitcnt lgkmcnt(3)
	global_store_b128 v[16:17], v[12:15], off
	s_or_b32 exec_lo, exec_lo, s0
	s_and_saveexec_b32 s0, s24
	s_cbranch_execz .LBB204_46
.LBB204_54:
	s_waitcnt lgkmcnt(3)
	v_add_co_u32 v12, vcc_lo, 0x5000, v28
	v_add_co_ci_u32_e32 v13, vcc_lo, 0, v29, vcc_lo
	s_waitcnt lgkmcnt(2)
	global_store_b128 v[12:13], v[8:11], off
	s_or_b32 exec_lo, exec_lo, s0
	s_and_saveexec_b32 s0, s25
	s_cbranch_execz .LBB204_47
.LBB204_55:
	s_waitcnt lgkmcnt(2)
	v_add_co_u32 v8, vcc_lo, 0x6000, v28
	v_add_co_ci_u32_e32 v9, vcc_lo, 0, v29, vcc_lo
	s_waitcnt lgkmcnt(1)
	global_store_b128 v[8:9], v[4:7], off
	s_or_b32 exec_lo, exec_lo, s0
	s_and_saveexec_b32 s0, s26
	s_cbranch_execz .LBB204_48
.LBB204_56:
	s_waitcnt lgkmcnt(1)
	v_add_co_u32 v4, vcc_lo, 0x7000, v28
	v_add_co_ci_u32_e32 v5, vcc_lo, 0, v29, vcc_lo
	s_waitcnt lgkmcnt(0)
	global_store_b128 v[4:5], v[0:3], off
	s_nop 0
	s_sendmsg sendmsg(MSG_DEALLOC_VGPRS)
	s_endpgm
	.section	.rodata,"a",@progbits
	.p2align	6, 0x0
	.amdhsa_kernel _ZN7rocprim17ROCPRIM_400000_NS6detail17trampoline_kernelINS0_14default_configENS1_20scan_config_selectorIN3c107complexIdEEEEZZNS1_9scan_implILNS1_25lookback_scan_determinismE0ELb0ELb0ES3_PKS7_PS7_S7_ZZZN2at6native31launch_logcumsumexp_cuda_kernelERKNSE_10TensorBaseESI_lENKUlvE_clEvENKUlvE1_clEvEUlS7_S7_E_S7_EEDaPvRmT3_T4_T5_mT6_P12ihipStream_tbENKUlT_T0_E_clISt17integral_constantIbLb0EESZ_EEDaSU_SV_EUlSU_E0_NS1_11comp_targetILNS1_3genE9ELNS1_11target_archE1100ELNS1_3gpuE3ELNS1_3repE0EEENS1_30default_config_static_selectorELNS0_4arch9wavefront6targetE0EEEvT1_
		.amdhsa_group_segment_fixed_size 33792
		.amdhsa_private_segment_fixed_size 0
		.amdhsa_kernarg_size 48
		.amdhsa_user_sgpr_count 15
		.amdhsa_user_sgpr_dispatch_ptr 0
		.amdhsa_user_sgpr_queue_ptr 0
		.amdhsa_user_sgpr_kernarg_segment_ptr 1
		.amdhsa_user_sgpr_dispatch_id 0
		.amdhsa_user_sgpr_private_segment_size 0
		.amdhsa_wavefront_size32 1
		.amdhsa_uses_dynamic_stack 0
		.amdhsa_enable_private_segment 0
		.amdhsa_system_sgpr_workgroup_id_x 1
		.amdhsa_system_sgpr_workgroup_id_y 0
		.amdhsa_system_sgpr_workgroup_id_z 0
		.amdhsa_system_sgpr_workgroup_info 0
		.amdhsa_system_vgpr_workitem_id 0
		.amdhsa_next_free_vgpr 169
		.amdhsa_next_free_sgpr 33
		.amdhsa_reserve_vcc 1
		.amdhsa_float_round_mode_32 0
		.amdhsa_float_round_mode_16_64 0
		.amdhsa_float_denorm_mode_32 3
		.amdhsa_float_denorm_mode_16_64 3
		.amdhsa_dx10_clamp 1
		.amdhsa_ieee_mode 1
		.amdhsa_fp16_overflow 0
		.amdhsa_workgroup_processor_mode 1
		.amdhsa_memory_ordered 1
		.amdhsa_forward_progress 0
		.amdhsa_shared_vgpr_count 0
		.amdhsa_exception_fp_ieee_invalid_op 0
		.amdhsa_exception_fp_denorm_src 0
		.amdhsa_exception_fp_ieee_div_zero 0
		.amdhsa_exception_fp_ieee_overflow 0
		.amdhsa_exception_fp_ieee_underflow 0
		.amdhsa_exception_fp_ieee_inexact 0
		.amdhsa_exception_int_div_zero 0
	.end_amdhsa_kernel
	.section	.text._ZN7rocprim17ROCPRIM_400000_NS6detail17trampoline_kernelINS0_14default_configENS1_20scan_config_selectorIN3c107complexIdEEEEZZNS1_9scan_implILNS1_25lookback_scan_determinismE0ELb0ELb0ES3_PKS7_PS7_S7_ZZZN2at6native31launch_logcumsumexp_cuda_kernelERKNSE_10TensorBaseESI_lENKUlvE_clEvENKUlvE1_clEvEUlS7_S7_E_S7_EEDaPvRmT3_T4_T5_mT6_P12ihipStream_tbENKUlT_T0_E_clISt17integral_constantIbLb0EESZ_EEDaSU_SV_EUlSU_E0_NS1_11comp_targetILNS1_3genE9ELNS1_11target_archE1100ELNS1_3gpuE3ELNS1_3repE0EEENS1_30default_config_static_selectorELNS0_4arch9wavefront6targetE0EEEvT1_,"axG",@progbits,_ZN7rocprim17ROCPRIM_400000_NS6detail17trampoline_kernelINS0_14default_configENS1_20scan_config_selectorIN3c107complexIdEEEEZZNS1_9scan_implILNS1_25lookback_scan_determinismE0ELb0ELb0ES3_PKS7_PS7_S7_ZZZN2at6native31launch_logcumsumexp_cuda_kernelERKNSE_10TensorBaseESI_lENKUlvE_clEvENKUlvE1_clEvEUlS7_S7_E_S7_EEDaPvRmT3_T4_T5_mT6_P12ihipStream_tbENKUlT_T0_E_clISt17integral_constantIbLb0EESZ_EEDaSU_SV_EUlSU_E0_NS1_11comp_targetILNS1_3genE9ELNS1_11target_archE1100ELNS1_3gpuE3ELNS1_3repE0EEENS1_30default_config_static_selectorELNS0_4arch9wavefront6targetE0EEEvT1_,comdat
.Lfunc_end204:
	.size	_ZN7rocprim17ROCPRIM_400000_NS6detail17trampoline_kernelINS0_14default_configENS1_20scan_config_selectorIN3c107complexIdEEEEZZNS1_9scan_implILNS1_25lookback_scan_determinismE0ELb0ELb0ES3_PKS7_PS7_S7_ZZZN2at6native31launch_logcumsumexp_cuda_kernelERKNSE_10TensorBaseESI_lENKUlvE_clEvENKUlvE1_clEvEUlS7_S7_E_S7_EEDaPvRmT3_T4_T5_mT6_P12ihipStream_tbENKUlT_T0_E_clISt17integral_constantIbLb0EESZ_EEDaSU_SV_EUlSU_E0_NS1_11comp_targetILNS1_3genE9ELNS1_11target_archE1100ELNS1_3gpuE3ELNS1_3repE0EEENS1_30default_config_static_selectorELNS0_4arch9wavefront6targetE0EEEvT1_, .Lfunc_end204-_ZN7rocprim17ROCPRIM_400000_NS6detail17trampoline_kernelINS0_14default_configENS1_20scan_config_selectorIN3c107complexIdEEEEZZNS1_9scan_implILNS1_25lookback_scan_determinismE0ELb0ELb0ES3_PKS7_PS7_S7_ZZZN2at6native31launch_logcumsumexp_cuda_kernelERKNSE_10TensorBaseESI_lENKUlvE_clEvENKUlvE1_clEvEUlS7_S7_E_S7_EEDaPvRmT3_T4_T5_mT6_P12ihipStream_tbENKUlT_T0_E_clISt17integral_constantIbLb0EESZ_EEDaSU_SV_EUlSU_E0_NS1_11comp_targetILNS1_3genE9ELNS1_11target_archE1100ELNS1_3gpuE3ELNS1_3repE0EEENS1_30default_config_static_selectorELNS0_4arch9wavefront6targetE0EEEvT1_
                                        ; -- End function
	.section	.AMDGPU.csdata,"",@progbits
; Kernel info:
; codeLenInByte = 3300
; NumSgprs: 35
; NumVgprs: 169
; ScratchSize: 0
; MemoryBound: 1
; FloatMode: 240
; IeeeMode: 1
; LDSByteSize: 33792 bytes/workgroup (compile time only)
; SGPRBlocks: 4
; VGPRBlocks: 21
; NumSGPRsForWavesPerEU: 35
; NumVGPRsForWavesPerEU: 169
; Occupancy: 6
; WaveLimiterHint : 0
; COMPUTE_PGM_RSRC2:SCRATCH_EN: 0
; COMPUTE_PGM_RSRC2:USER_SGPR: 15
; COMPUTE_PGM_RSRC2:TRAP_HANDLER: 0
; COMPUTE_PGM_RSRC2:TGID_X_EN: 1
; COMPUTE_PGM_RSRC2:TGID_Y_EN: 0
; COMPUTE_PGM_RSRC2:TGID_Z_EN: 0
; COMPUTE_PGM_RSRC2:TIDIG_COMP_CNT: 0
	.section	.text._ZN7rocprim17ROCPRIM_400000_NS6detail17trampoline_kernelINS0_14default_configENS1_20scan_config_selectorIN3c107complexIdEEEEZZNS1_9scan_implILNS1_25lookback_scan_determinismE0ELb0ELb0ES3_PKS7_PS7_S7_ZZZN2at6native31launch_logcumsumexp_cuda_kernelERKNSE_10TensorBaseESI_lENKUlvE_clEvENKUlvE1_clEvEUlS7_S7_E_S7_EEDaPvRmT3_T4_T5_mT6_P12ihipStream_tbENKUlT_T0_E_clISt17integral_constantIbLb0EESZ_EEDaSU_SV_EUlSU_E0_NS1_11comp_targetILNS1_3genE8ELNS1_11target_archE1030ELNS1_3gpuE2ELNS1_3repE0EEENS1_30default_config_static_selectorELNS0_4arch9wavefront6targetE0EEEvT1_,"axG",@progbits,_ZN7rocprim17ROCPRIM_400000_NS6detail17trampoline_kernelINS0_14default_configENS1_20scan_config_selectorIN3c107complexIdEEEEZZNS1_9scan_implILNS1_25lookback_scan_determinismE0ELb0ELb0ES3_PKS7_PS7_S7_ZZZN2at6native31launch_logcumsumexp_cuda_kernelERKNSE_10TensorBaseESI_lENKUlvE_clEvENKUlvE1_clEvEUlS7_S7_E_S7_EEDaPvRmT3_T4_T5_mT6_P12ihipStream_tbENKUlT_T0_E_clISt17integral_constantIbLb0EESZ_EEDaSU_SV_EUlSU_E0_NS1_11comp_targetILNS1_3genE8ELNS1_11target_archE1030ELNS1_3gpuE2ELNS1_3repE0EEENS1_30default_config_static_selectorELNS0_4arch9wavefront6targetE0EEEvT1_,comdat
	.globl	_ZN7rocprim17ROCPRIM_400000_NS6detail17trampoline_kernelINS0_14default_configENS1_20scan_config_selectorIN3c107complexIdEEEEZZNS1_9scan_implILNS1_25lookback_scan_determinismE0ELb0ELb0ES3_PKS7_PS7_S7_ZZZN2at6native31launch_logcumsumexp_cuda_kernelERKNSE_10TensorBaseESI_lENKUlvE_clEvENKUlvE1_clEvEUlS7_S7_E_S7_EEDaPvRmT3_T4_T5_mT6_P12ihipStream_tbENKUlT_T0_E_clISt17integral_constantIbLb0EESZ_EEDaSU_SV_EUlSU_E0_NS1_11comp_targetILNS1_3genE8ELNS1_11target_archE1030ELNS1_3gpuE2ELNS1_3repE0EEENS1_30default_config_static_selectorELNS0_4arch9wavefront6targetE0EEEvT1_ ; -- Begin function _ZN7rocprim17ROCPRIM_400000_NS6detail17trampoline_kernelINS0_14default_configENS1_20scan_config_selectorIN3c107complexIdEEEEZZNS1_9scan_implILNS1_25lookback_scan_determinismE0ELb0ELb0ES3_PKS7_PS7_S7_ZZZN2at6native31launch_logcumsumexp_cuda_kernelERKNSE_10TensorBaseESI_lENKUlvE_clEvENKUlvE1_clEvEUlS7_S7_E_S7_EEDaPvRmT3_T4_T5_mT6_P12ihipStream_tbENKUlT_T0_E_clISt17integral_constantIbLb0EESZ_EEDaSU_SV_EUlSU_E0_NS1_11comp_targetILNS1_3genE8ELNS1_11target_archE1030ELNS1_3gpuE2ELNS1_3repE0EEENS1_30default_config_static_selectorELNS0_4arch9wavefront6targetE0EEEvT1_
	.p2align	8
	.type	_ZN7rocprim17ROCPRIM_400000_NS6detail17trampoline_kernelINS0_14default_configENS1_20scan_config_selectorIN3c107complexIdEEEEZZNS1_9scan_implILNS1_25lookback_scan_determinismE0ELb0ELb0ES3_PKS7_PS7_S7_ZZZN2at6native31launch_logcumsumexp_cuda_kernelERKNSE_10TensorBaseESI_lENKUlvE_clEvENKUlvE1_clEvEUlS7_S7_E_S7_EEDaPvRmT3_T4_T5_mT6_P12ihipStream_tbENKUlT_T0_E_clISt17integral_constantIbLb0EESZ_EEDaSU_SV_EUlSU_E0_NS1_11comp_targetILNS1_3genE8ELNS1_11target_archE1030ELNS1_3gpuE2ELNS1_3repE0EEENS1_30default_config_static_selectorELNS0_4arch9wavefront6targetE0EEEvT1_,@function
_ZN7rocprim17ROCPRIM_400000_NS6detail17trampoline_kernelINS0_14default_configENS1_20scan_config_selectorIN3c107complexIdEEEEZZNS1_9scan_implILNS1_25lookback_scan_determinismE0ELb0ELb0ES3_PKS7_PS7_S7_ZZZN2at6native31launch_logcumsumexp_cuda_kernelERKNSE_10TensorBaseESI_lENKUlvE_clEvENKUlvE1_clEvEUlS7_S7_E_S7_EEDaPvRmT3_T4_T5_mT6_P12ihipStream_tbENKUlT_T0_E_clISt17integral_constantIbLb0EESZ_EEDaSU_SV_EUlSU_E0_NS1_11comp_targetILNS1_3genE8ELNS1_11target_archE1030ELNS1_3gpuE2ELNS1_3repE0EEENS1_30default_config_static_selectorELNS0_4arch9wavefront6targetE0EEEvT1_: ; @_ZN7rocprim17ROCPRIM_400000_NS6detail17trampoline_kernelINS0_14default_configENS1_20scan_config_selectorIN3c107complexIdEEEEZZNS1_9scan_implILNS1_25lookback_scan_determinismE0ELb0ELb0ES3_PKS7_PS7_S7_ZZZN2at6native31launch_logcumsumexp_cuda_kernelERKNSE_10TensorBaseESI_lENKUlvE_clEvENKUlvE1_clEvEUlS7_S7_E_S7_EEDaPvRmT3_T4_T5_mT6_P12ihipStream_tbENKUlT_T0_E_clISt17integral_constantIbLb0EESZ_EEDaSU_SV_EUlSU_E0_NS1_11comp_targetILNS1_3genE8ELNS1_11target_archE1030ELNS1_3gpuE2ELNS1_3repE0EEENS1_30default_config_static_selectorELNS0_4arch9wavefront6targetE0EEEvT1_
; %bb.0:
	.section	.rodata,"a",@progbits
	.p2align	6, 0x0
	.amdhsa_kernel _ZN7rocprim17ROCPRIM_400000_NS6detail17trampoline_kernelINS0_14default_configENS1_20scan_config_selectorIN3c107complexIdEEEEZZNS1_9scan_implILNS1_25lookback_scan_determinismE0ELb0ELb0ES3_PKS7_PS7_S7_ZZZN2at6native31launch_logcumsumexp_cuda_kernelERKNSE_10TensorBaseESI_lENKUlvE_clEvENKUlvE1_clEvEUlS7_S7_E_S7_EEDaPvRmT3_T4_T5_mT6_P12ihipStream_tbENKUlT_T0_E_clISt17integral_constantIbLb0EESZ_EEDaSU_SV_EUlSU_E0_NS1_11comp_targetILNS1_3genE8ELNS1_11target_archE1030ELNS1_3gpuE2ELNS1_3repE0EEENS1_30default_config_static_selectorELNS0_4arch9wavefront6targetE0EEEvT1_
		.amdhsa_group_segment_fixed_size 0
		.amdhsa_private_segment_fixed_size 0
		.amdhsa_kernarg_size 48
		.amdhsa_user_sgpr_count 15
		.amdhsa_user_sgpr_dispatch_ptr 0
		.amdhsa_user_sgpr_queue_ptr 0
		.amdhsa_user_sgpr_kernarg_segment_ptr 1
		.amdhsa_user_sgpr_dispatch_id 0
		.amdhsa_user_sgpr_private_segment_size 0
		.amdhsa_wavefront_size32 1
		.amdhsa_uses_dynamic_stack 0
		.amdhsa_enable_private_segment 0
		.amdhsa_system_sgpr_workgroup_id_x 1
		.amdhsa_system_sgpr_workgroup_id_y 0
		.amdhsa_system_sgpr_workgroup_id_z 0
		.amdhsa_system_sgpr_workgroup_info 0
		.amdhsa_system_vgpr_workitem_id 0
		.amdhsa_next_free_vgpr 1
		.amdhsa_next_free_sgpr 1
		.amdhsa_reserve_vcc 0
		.amdhsa_float_round_mode_32 0
		.amdhsa_float_round_mode_16_64 0
		.amdhsa_float_denorm_mode_32 3
		.amdhsa_float_denorm_mode_16_64 3
		.amdhsa_dx10_clamp 1
		.amdhsa_ieee_mode 1
		.amdhsa_fp16_overflow 0
		.amdhsa_workgroup_processor_mode 1
		.amdhsa_memory_ordered 1
		.amdhsa_forward_progress 0
		.amdhsa_shared_vgpr_count 0
		.amdhsa_exception_fp_ieee_invalid_op 0
		.amdhsa_exception_fp_denorm_src 0
		.amdhsa_exception_fp_ieee_div_zero 0
		.amdhsa_exception_fp_ieee_overflow 0
		.amdhsa_exception_fp_ieee_underflow 0
		.amdhsa_exception_fp_ieee_inexact 0
		.amdhsa_exception_int_div_zero 0
	.end_amdhsa_kernel
	.section	.text._ZN7rocprim17ROCPRIM_400000_NS6detail17trampoline_kernelINS0_14default_configENS1_20scan_config_selectorIN3c107complexIdEEEEZZNS1_9scan_implILNS1_25lookback_scan_determinismE0ELb0ELb0ES3_PKS7_PS7_S7_ZZZN2at6native31launch_logcumsumexp_cuda_kernelERKNSE_10TensorBaseESI_lENKUlvE_clEvENKUlvE1_clEvEUlS7_S7_E_S7_EEDaPvRmT3_T4_T5_mT6_P12ihipStream_tbENKUlT_T0_E_clISt17integral_constantIbLb0EESZ_EEDaSU_SV_EUlSU_E0_NS1_11comp_targetILNS1_3genE8ELNS1_11target_archE1030ELNS1_3gpuE2ELNS1_3repE0EEENS1_30default_config_static_selectorELNS0_4arch9wavefront6targetE0EEEvT1_,"axG",@progbits,_ZN7rocprim17ROCPRIM_400000_NS6detail17trampoline_kernelINS0_14default_configENS1_20scan_config_selectorIN3c107complexIdEEEEZZNS1_9scan_implILNS1_25lookback_scan_determinismE0ELb0ELb0ES3_PKS7_PS7_S7_ZZZN2at6native31launch_logcumsumexp_cuda_kernelERKNSE_10TensorBaseESI_lENKUlvE_clEvENKUlvE1_clEvEUlS7_S7_E_S7_EEDaPvRmT3_T4_T5_mT6_P12ihipStream_tbENKUlT_T0_E_clISt17integral_constantIbLb0EESZ_EEDaSU_SV_EUlSU_E0_NS1_11comp_targetILNS1_3genE8ELNS1_11target_archE1030ELNS1_3gpuE2ELNS1_3repE0EEENS1_30default_config_static_selectorELNS0_4arch9wavefront6targetE0EEEvT1_,comdat
.Lfunc_end205:
	.size	_ZN7rocprim17ROCPRIM_400000_NS6detail17trampoline_kernelINS0_14default_configENS1_20scan_config_selectorIN3c107complexIdEEEEZZNS1_9scan_implILNS1_25lookback_scan_determinismE0ELb0ELb0ES3_PKS7_PS7_S7_ZZZN2at6native31launch_logcumsumexp_cuda_kernelERKNSE_10TensorBaseESI_lENKUlvE_clEvENKUlvE1_clEvEUlS7_S7_E_S7_EEDaPvRmT3_T4_T5_mT6_P12ihipStream_tbENKUlT_T0_E_clISt17integral_constantIbLb0EESZ_EEDaSU_SV_EUlSU_E0_NS1_11comp_targetILNS1_3genE8ELNS1_11target_archE1030ELNS1_3gpuE2ELNS1_3repE0EEENS1_30default_config_static_selectorELNS0_4arch9wavefront6targetE0EEEvT1_, .Lfunc_end205-_ZN7rocprim17ROCPRIM_400000_NS6detail17trampoline_kernelINS0_14default_configENS1_20scan_config_selectorIN3c107complexIdEEEEZZNS1_9scan_implILNS1_25lookback_scan_determinismE0ELb0ELb0ES3_PKS7_PS7_S7_ZZZN2at6native31launch_logcumsumexp_cuda_kernelERKNSE_10TensorBaseESI_lENKUlvE_clEvENKUlvE1_clEvEUlS7_S7_E_S7_EEDaPvRmT3_T4_T5_mT6_P12ihipStream_tbENKUlT_T0_E_clISt17integral_constantIbLb0EESZ_EEDaSU_SV_EUlSU_E0_NS1_11comp_targetILNS1_3genE8ELNS1_11target_archE1030ELNS1_3gpuE2ELNS1_3repE0EEENS1_30default_config_static_selectorELNS0_4arch9wavefront6targetE0EEEvT1_
                                        ; -- End function
	.section	.AMDGPU.csdata,"",@progbits
; Kernel info:
; codeLenInByte = 0
; NumSgprs: 0
; NumVgprs: 0
; ScratchSize: 0
; MemoryBound: 0
; FloatMode: 240
; IeeeMode: 1
; LDSByteSize: 0 bytes/workgroup (compile time only)
; SGPRBlocks: 0
; VGPRBlocks: 0
; NumSGPRsForWavesPerEU: 1
; NumVGPRsForWavesPerEU: 1
; Occupancy: 16
; WaveLimiterHint : 0
; COMPUTE_PGM_RSRC2:SCRATCH_EN: 0
; COMPUTE_PGM_RSRC2:USER_SGPR: 15
; COMPUTE_PGM_RSRC2:TRAP_HANDLER: 0
; COMPUTE_PGM_RSRC2:TGID_X_EN: 1
; COMPUTE_PGM_RSRC2:TGID_Y_EN: 0
; COMPUTE_PGM_RSRC2:TGID_Z_EN: 0
; COMPUTE_PGM_RSRC2:TIDIG_COMP_CNT: 0
	.section	.text._ZN7rocprim17ROCPRIM_400000_NS6detail31init_lookback_scan_state_kernelINS1_19lookback_scan_stateIN3c107complexIdEELb1ELb0EEENS1_16block_id_wrapperIjLb1EEEEEvT_jT0_jPNSA_10value_typeE,"axG",@progbits,_ZN7rocprim17ROCPRIM_400000_NS6detail31init_lookback_scan_state_kernelINS1_19lookback_scan_stateIN3c107complexIdEELb1ELb0EEENS1_16block_id_wrapperIjLb1EEEEEvT_jT0_jPNSA_10value_typeE,comdat
	.protected	_ZN7rocprim17ROCPRIM_400000_NS6detail31init_lookback_scan_state_kernelINS1_19lookback_scan_stateIN3c107complexIdEELb1ELb0EEENS1_16block_id_wrapperIjLb1EEEEEvT_jT0_jPNSA_10value_typeE ; -- Begin function _ZN7rocprim17ROCPRIM_400000_NS6detail31init_lookback_scan_state_kernelINS1_19lookback_scan_stateIN3c107complexIdEELb1ELb0EEENS1_16block_id_wrapperIjLb1EEEEEvT_jT0_jPNSA_10value_typeE
	.globl	_ZN7rocprim17ROCPRIM_400000_NS6detail31init_lookback_scan_state_kernelINS1_19lookback_scan_stateIN3c107complexIdEELb1ELb0EEENS1_16block_id_wrapperIjLb1EEEEEvT_jT0_jPNSA_10value_typeE
	.p2align	8
	.type	_ZN7rocprim17ROCPRIM_400000_NS6detail31init_lookback_scan_state_kernelINS1_19lookback_scan_stateIN3c107complexIdEELb1ELb0EEENS1_16block_id_wrapperIjLb1EEEEEvT_jT0_jPNSA_10value_typeE,@function
_ZN7rocprim17ROCPRIM_400000_NS6detail31init_lookback_scan_state_kernelINS1_19lookback_scan_stateIN3c107complexIdEELb1ELb0EEENS1_16block_id_wrapperIjLb1EEEEEvT_jT0_jPNSA_10value_typeE: ; @_ZN7rocprim17ROCPRIM_400000_NS6detail31init_lookback_scan_state_kernelINS1_19lookback_scan_stateIN3c107complexIdEELb1ELb0EEENS1_16block_id_wrapperIjLb1EEEEEvT_jT0_jPNSA_10value_typeE
; %bb.0:
	s_clause 0x3
	s_load_b32 s4, s[0:1], 0x44
	s_load_b64 s[8:9], s[0:1], 0x30
	s_load_b64 s[2:3], s[0:1], 0x10
	s_load_b32 s14, s[0:1], 0x18
	s_waitcnt lgkmcnt(0)
	s_and_b32 s4, s4, 0xffff
	s_cmp_eq_u64 s[8:9], 0
	v_mad_u64_u32 v[1:2], null, s15, s4, v[0:1]
	s_cbranch_scc1 .LBB206_11
; %bb.1:
	s_load_b32 s4, s[0:1], 0x28
	s_mov_b32 s11, 0
	s_mov_b32 s15, exec_lo
	s_waitcnt lgkmcnt(0)
	s_cmp_lt_u32 s4, s14
	s_cselect_b32 s5, s4, 0
	s_delay_alu instid0(SALU_CYCLE_1)
	v_cmpx_eq_u32_e64 s5, v1
	s_cbranch_execz .LBB206_10
; %bb.2:
	s_add_i32 s10, s4, 32
	s_load_b128 s[4:7], s[0:1], 0x0
	v_mov_b32_e32 v0, s10
	s_add_u32 s12, s2, s10
	s_addc_u32 s13, s3, 0
	global_load_u8 v0, v0, s[2:3] glc
	s_waitcnt vmcnt(0)
	v_cmp_ne_u16_e32 vcc_lo, 0, v0
	v_readfirstlane_b32 s16, v0
	s_cbranch_vccz .LBB206_4
; %bb.3:
	s_delay_alu instid0(VALU_DEP_1)
	s_and_b32 s12, 0xffff, s16
	s_branch .LBB206_9
.LBB206_4:
	v_mov_b32_e32 v0, 0
	s_mov_b32 s16, 1
.LBB206_5:                              ; =>This Loop Header: Depth=1
                                        ;     Child Loop BB206_6 Depth 2
	s_delay_alu instid0(SALU_CYCLE_1)
	s_max_u32 s17, s16, 1
.LBB206_6:                              ;   Parent Loop BB206_5 Depth=1
                                        ; =>  This Inner Loop Header: Depth=2
	s_delay_alu instid0(SALU_CYCLE_1)
	s_add_i32 s17, s17, -1
	s_sleep 1
	s_cmp_eq_u32 s17, 0
	s_cbranch_scc0 .LBB206_6
; %bb.7:                                ;   in Loop: Header=BB206_5 Depth=1
	global_load_u8 v2, v0, s[12:13] glc
	s_cmp_lt_u32 s16, 32
	s_cselect_b32 s17, -1, 0
	s_delay_alu instid0(SALU_CYCLE_1)
	s_cmp_lg_u32 s17, 0
	s_addc_u32 s16, s16, 0
	s_waitcnt vmcnt(0)
	v_cmp_ne_u16_e32 vcc_lo, 0, v2
	v_readfirstlane_b32 s17, v2
	s_cbranch_vccz .LBB206_5
; %bb.8:
	s_delay_alu instid0(VALU_DEP_1)
	s_and_b32 s12, 0xffff, s17
.LBB206_9:
	s_delay_alu instid0(SALU_CYCLE_1)
	s_cmp_eq_u32 s12, 1
	v_mov_b32_e32 v0, 0
	s_waitcnt lgkmcnt(0)
	s_cselect_b32 s7, s5, s7
	s_cselect_b32 s6, s4, s6
	s_lshl_b64 s[4:5], s[10:11], 4
	buffer_gl1_inv
	buffer_gl0_inv
	s_add_u32 s4, s6, s4
	s_addc_u32 s5, s7, s5
	global_load_b128 v[2:5], v0, s[4:5]
	s_waitcnt vmcnt(0)
	global_store_b128 v0, v[2:5], s[8:9]
.LBB206_10:
	s_or_b32 exec_lo, exec_lo, s15
.LBB206_11:
	s_delay_alu instid0(SALU_CYCLE_1) | instskip(NEXT) | instid1(VALU_DEP_1)
	s_mov_b32 s4, exec_lo
	v_cmpx_eq_u32_e32 0, v1
	s_cbranch_execz .LBB206_13
; %bb.12:
	s_load_b64 s[0:1], s[0:1], 0x20
	v_mov_b32_e32 v0, 0
	s_waitcnt lgkmcnt(0)
	global_store_b32 v0, v0, s[0:1]
.LBB206_13:
	s_or_b32 exec_lo, exec_lo, s4
	s_delay_alu instid0(SALU_CYCLE_1)
	s_mov_b32 s0, exec_lo
	v_cmpx_gt_u32_e64 s14, v1
	s_cbranch_execz .LBB206_15
; %bb.14:
	v_add_nc_u32_e32 v0, 32, v1
	v_mov_b32_e32 v2, 0
	global_store_b8 v0, v2, s[2:3]
.LBB206_15:
	s_or_b32 exec_lo, exec_lo, s0
	s_delay_alu instid0(SALU_CYCLE_1)
	s_mov_b32 s0, exec_lo
	v_cmpx_gt_u32_e32 32, v1
	s_cbranch_execz .LBB206_17
; %bb.16:
	v_mov_b32_e32 v0, 0xff
	global_store_b8 v1, v0, s[2:3]
.LBB206_17:
	s_nop 0
	s_sendmsg sendmsg(MSG_DEALLOC_VGPRS)
	s_endpgm
	.section	.rodata,"a",@progbits
	.p2align	6, 0x0
	.amdhsa_kernel _ZN7rocprim17ROCPRIM_400000_NS6detail31init_lookback_scan_state_kernelINS1_19lookback_scan_stateIN3c107complexIdEELb1ELb0EEENS1_16block_id_wrapperIjLb1EEEEEvT_jT0_jPNSA_10value_typeE
		.amdhsa_group_segment_fixed_size 0
		.amdhsa_private_segment_fixed_size 0
		.amdhsa_kernarg_size 312
		.amdhsa_user_sgpr_count 15
		.amdhsa_user_sgpr_dispatch_ptr 0
		.amdhsa_user_sgpr_queue_ptr 0
		.amdhsa_user_sgpr_kernarg_segment_ptr 1
		.amdhsa_user_sgpr_dispatch_id 0
		.amdhsa_user_sgpr_private_segment_size 0
		.amdhsa_wavefront_size32 1
		.amdhsa_uses_dynamic_stack 0
		.amdhsa_enable_private_segment 0
		.amdhsa_system_sgpr_workgroup_id_x 1
		.amdhsa_system_sgpr_workgroup_id_y 0
		.amdhsa_system_sgpr_workgroup_id_z 0
		.amdhsa_system_sgpr_workgroup_info 0
		.amdhsa_system_vgpr_workitem_id 0
		.amdhsa_next_free_vgpr 6
		.amdhsa_next_free_sgpr 18
		.amdhsa_reserve_vcc 1
		.amdhsa_float_round_mode_32 0
		.amdhsa_float_round_mode_16_64 0
		.amdhsa_float_denorm_mode_32 3
		.amdhsa_float_denorm_mode_16_64 3
		.amdhsa_dx10_clamp 1
		.amdhsa_ieee_mode 1
		.amdhsa_fp16_overflow 0
		.amdhsa_workgroup_processor_mode 1
		.amdhsa_memory_ordered 1
		.amdhsa_forward_progress 0
		.amdhsa_shared_vgpr_count 0
		.amdhsa_exception_fp_ieee_invalid_op 0
		.amdhsa_exception_fp_denorm_src 0
		.amdhsa_exception_fp_ieee_div_zero 0
		.amdhsa_exception_fp_ieee_overflow 0
		.amdhsa_exception_fp_ieee_underflow 0
		.amdhsa_exception_fp_ieee_inexact 0
		.amdhsa_exception_int_div_zero 0
	.end_amdhsa_kernel
	.section	.text._ZN7rocprim17ROCPRIM_400000_NS6detail31init_lookback_scan_state_kernelINS1_19lookback_scan_stateIN3c107complexIdEELb1ELb0EEENS1_16block_id_wrapperIjLb1EEEEEvT_jT0_jPNSA_10value_typeE,"axG",@progbits,_ZN7rocprim17ROCPRIM_400000_NS6detail31init_lookback_scan_state_kernelINS1_19lookback_scan_stateIN3c107complexIdEELb1ELb0EEENS1_16block_id_wrapperIjLb1EEEEEvT_jT0_jPNSA_10value_typeE,comdat
.Lfunc_end206:
	.size	_ZN7rocprim17ROCPRIM_400000_NS6detail31init_lookback_scan_state_kernelINS1_19lookback_scan_stateIN3c107complexIdEELb1ELb0EEENS1_16block_id_wrapperIjLb1EEEEEvT_jT0_jPNSA_10value_typeE, .Lfunc_end206-_ZN7rocprim17ROCPRIM_400000_NS6detail31init_lookback_scan_state_kernelINS1_19lookback_scan_stateIN3c107complexIdEELb1ELb0EEENS1_16block_id_wrapperIjLb1EEEEEvT_jT0_jPNSA_10value_typeE
                                        ; -- End function
	.section	.AMDGPU.csdata,"",@progbits
; Kernel info:
; codeLenInByte = 468
; NumSgprs: 20
; NumVgprs: 6
; ScratchSize: 0
; MemoryBound: 0
; FloatMode: 240
; IeeeMode: 1
; LDSByteSize: 0 bytes/workgroup (compile time only)
; SGPRBlocks: 2
; VGPRBlocks: 0
; NumSGPRsForWavesPerEU: 20
; NumVGPRsForWavesPerEU: 6
; Occupancy: 16
; WaveLimiterHint : 0
; COMPUTE_PGM_RSRC2:SCRATCH_EN: 0
; COMPUTE_PGM_RSRC2:USER_SGPR: 15
; COMPUTE_PGM_RSRC2:TRAP_HANDLER: 0
; COMPUTE_PGM_RSRC2:TGID_X_EN: 1
; COMPUTE_PGM_RSRC2:TGID_Y_EN: 0
; COMPUTE_PGM_RSRC2:TGID_Z_EN: 0
; COMPUTE_PGM_RSRC2:TIDIG_COMP_CNT: 0
	.section	.text._ZN7rocprim17ROCPRIM_400000_NS6detail17trampoline_kernelINS0_14default_configENS1_20scan_config_selectorIN3c107complexIdEEEEZZNS1_9scan_implILNS1_25lookback_scan_determinismE0ELb0ELb0ES3_PKS7_PS7_S7_ZZZN2at6native31launch_logcumsumexp_cuda_kernelERKNSE_10TensorBaseESI_lENKUlvE_clEvENKUlvE1_clEvEUlS7_S7_E_S7_EEDaPvRmT3_T4_T5_mT6_P12ihipStream_tbENKUlT_T0_E_clISt17integral_constantIbLb1EESZ_EEDaSU_SV_EUlSU_E_NS1_11comp_targetILNS1_3genE0ELNS1_11target_archE4294967295ELNS1_3gpuE0ELNS1_3repE0EEENS1_30default_config_static_selectorELNS0_4arch9wavefront6targetE0EEEvT1_,"axG",@progbits,_ZN7rocprim17ROCPRIM_400000_NS6detail17trampoline_kernelINS0_14default_configENS1_20scan_config_selectorIN3c107complexIdEEEEZZNS1_9scan_implILNS1_25lookback_scan_determinismE0ELb0ELb0ES3_PKS7_PS7_S7_ZZZN2at6native31launch_logcumsumexp_cuda_kernelERKNSE_10TensorBaseESI_lENKUlvE_clEvENKUlvE1_clEvEUlS7_S7_E_S7_EEDaPvRmT3_T4_T5_mT6_P12ihipStream_tbENKUlT_T0_E_clISt17integral_constantIbLb1EESZ_EEDaSU_SV_EUlSU_E_NS1_11comp_targetILNS1_3genE0ELNS1_11target_archE4294967295ELNS1_3gpuE0ELNS1_3repE0EEENS1_30default_config_static_selectorELNS0_4arch9wavefront6targetE0EEEvT1_,comdat
	.globl	_ZN7rocprim17ROCPRIM_400000_NS6detail17trampoline_kernelINS0_14default_configENS1_20scan_config_selectorIN3c107complexIdEEEEZZNS1_9scan_implILNS1_25lookback_scan_determinismE0ELb0ELb0ES3_PKS7_PS7_S7_ZZZN2at6native31launch_logcumsumexp_cuda_kernelERKNSE_10TensorBaseESI_lENKUlvE_clEvENKUlvE1_clEvEUlS7_S7_E_S7_EEDaPvRmT3_T4_T5_mT6_P12ihipStream_tbENKUlT_T0_E_clISt17integral_constantIbLb1EESZ_EEDaSU_SV_EUlSU_E_NS1_11comp_targetILNS1_3genE0ELNS1_11target_archE4294967295ELNS1_3gpuE0ELNS1_3repE0EEENS1_30default_config_static_selectorELNS0_4arch9wavefront6targetE0EEEvT1_ ; -- Begin function _ZN7rocprim17ROCPRIM_400000_NS6detail17trampoline_kernelINS0_14default_configENS1_20scan_config_selectorIN3c107complexIdEEEEZZNS1_9scan_implILNS1_25lookback_scan_determinismE0ELb0ELb0ES3_PKS7_PS7_S7_ZZZN2at6native31launch_logcumsumexp_cuda_kernelERKNSE_10TensorBaseESI_lENKUlvE_clEvENKUlvE1_clEvEUlS7_S7_E_S7_EEDaPvRmT3_T4_T5_mT6_P12ihipStream_tbENKUlT_T0_E_clISt17integral_constantIbLb1EESZ_EEDaSU_SV_EUlSU_E_NS1_11comp_targetILNS1_3genE0ELNS1_11target_archE4294967295ELNS1_3gpuE0ELNS1_3repE0EEENS1_30default_config_static_selectorELNS0_4arch9wavefront6targetE0EEEvT1_
	.p2align	8
	.type	_ZN7rocprim17ROCPRIM_400000_NS6detail17trampoline_kernelINS0_14default_configENS1_20scan_config_selectorIN3c107complexIdEEEEZZNS1_9scan_implILNS1_25lookback_scan_determinismE0ELb0ELb0ES3_PKS7_PS7_S7_ZZZN2at6native31launch_logcumsumexp_cuda_kernelERKNSE_10TensorBaseESI_lENKUlvE_clEvENKUlvE1_clEvEUlS7_S7_E_S7_EEDaPvRmT3_T4_T5_mT6_P12ihipStream_tbENKUlT_T0_E_clISt17integral_constantIbLb1EESZ_EEDaSU_SV_EUlSU_E_NS1_11comp_targetILNS1_3genE0ELNS1_11target_archE4294967295ELNS1_3gpuE0ELNS1_3repE0EEENS1_30default_config_static_selectorELNS0_4arch9wavefront6targetE0EEEvT1_,@function
_ZN7rocprim17ROCPRIM_400000_NS6detail17trampoline_kernelINS0_14default_configENS1_20scan_config_selectorIN3c107complexIdEEEEZZNS1_9scan_implILNS1_25lookback_scan_determinismE0ELb0ELb0ES3_PKS7_PS7_S7_ZZZN2at6native31launch_logcumsumexp_cuda_kernelERKNSE_10TensorBaseESI_lENKUlvE_clEvENKUlvE1_clEvEUlS7_S7_E_S7_EEDaPvRmT3_T4_T5_mT6_P12ihipStream_tbENKUlT_T0_E_clISt17integral_constantIbLb1EESZ_EEDaSU_SV_EUlSU_E_NS1_11comp_targetILNS1_3genE0ELNS1_11target_archE4294967295ELNS1_3gpuE0ELNS1_3repE0EEENS1_30default_config_static_selectorELNS0_4arch9wavefront6targetE0EEEvT1_: ; @_ZN7rocprim17ROCPRIM_400000_NS6detail17trampoline_kernelINS0_14default_configENS1_20scan_config_selectorIN3c107complexIdEEEEZZNS1_9scan_implILNS1_25lookback_scan_determinismE0ELb0ELb0ES3_PKS7_PS7_S7_ZZZN2at6native31launch_logcumsumexp_cuda_kernelERKNSE_10TensorBaseESI_lENKUlvE_clEvENKUlvE1_clEvEUlS7_S7_E_S7_EEDaPvRmT3_T4_T5_mT6_P12ihipStream_tbENKUlT_T0_E_clISt17integral_constantIbLb1EESZ_EEDaSU_SV_EUlSU_E_NS1_11comp_targetILNS1_3genE0ELNS1_11target_archE4294967295ELNS1_3gpuE0ELNS1_3repE0EEENS1_30default_config_static_selectorELNS0_4arch9wavefront6targetE0EEEvT1_
; %bb.0:
	.section	.rodata,"a",@progbits
	.p2align	6, 0x0
	.amdhsa_kernel _ZN7rocprim17ROCPRIM_400000_NS6detail17trampoline_kernelINS0_14default_configENS1_20scan_config_selectorIN3c107complexIdEEEEZZNS1_9scan_implILNS1_25lookback_scan_determinismE0ELb0ELb0ES3_PKS7_PS7_S7_ZZZN2at6native31launch_logcumsumexp_cuda_kernelERKNSE_10TensorBaseESI_lENKUlvE_clEvENKUlvE1_clEvEUlS7_S7_E_S7_EEDaPvRmT3_T4_T5_mT6_P12ihipStream_tbENKUlT_T0_E_clISt17integral_constantIbLb1EESZ_EEDaSU_SV_EUlSU_E_NS1_11comp_targetILNS1_3genE0ELNS1_11target_archE4294967295ELNS1_3gpuE0ELNS1_3repE0EEENS1_30default_config_static_selectorELNS0_4arch9wavefront6targetE0EEEvT1_
		.amdhsa_group_segment_fixed_size 0
		.amdhsa_private_segment_fixed_size 0
		.amdhsa_kernarg_size 128
		.amdhsa_user_sgpr_count 15
		.amdhsa_user_sgpr_dispatch_ptr 0
		.amdhsa_user_sgpr_queue_ptr 0
		.amdhsa_user_sgpr_kernarg_segment_ptr 1
		.amdhsa_user_sgpr_dispatch_id 0
		.amdhsa_user_sgpr_private_segment_size 0
		.amdhsa_wavefront_size32 1
		.amdhsa_uses_dynamic_stack 0
		.amdhsa_enable_private_segment 0
		.amdhsa_system_sgpr_workgroup_id_x 1
		.amdhsa_system_sgpr_workgroup_id_y 0
		.amdhsa_system_sgpr_workgroup_id_z 0
		.amdhsa_system_sgpr_workgroup_info 0
		.amdhsa_system_vgpr_workitem_id 0
		.amdhsa_next_free_vgpr 1
		.amdhsa_next_free_sgpr 1
		.amdhsa_reserve_vcc 0
		.amdhsa_float_round_mode_32 0
		.amdhsa_float_round_mode_16_64 0
		.amdhsa_float_denorm_mode_32 3
		.amdhsa_float_denorm_mode_16_64 3
		.amdhsa_dx10_clamp 1
		.amdhsa_ieee_mode 1
		.amdhsa_fp16_overflow 0
		.amdhsa_workgroup_processor_mode 1
		.amdhsa_memory_ordered 1
		.amdhsa_forward_progress 0
		.amdhsa_shared_vgpr_count 0
		.amdhsa_exception_fp_ieee_invalid_op 0
		.amdhsa_exception_fp_denorm_src 0
		.amdhsa_exception_fp_ieee_div_zero 0
		.amdhsa_exception_fp_ieee_overflow 0
		.amdhsa_exception_fp_ieee_underflow 0
		.amdhsa_exception_fp_ieee_inexact 0
		.amdhsa_exception_int_div_zero 0
	.end_amdhsa_kernel
	.section	.text._ZN7rocprim17ROCPRIM_400000_NS6detail17trampoline_kernelINS0_14default_configENS1_20scan_config_selectorIN3c107complexIdEEEEZZNS1_9scan_implILNS1_25lookback_scan_determinismE0ELb0ELb0ES3_PKS7_PS7_S7_ZZZN2at6native31launch_logcumsumexp_cuda_kernelERKNSE_10TensorBaseESI_lENKUlvE_clEvENKUlvE1_clEvEUlS7_S7_E_S7_EEDaPvRmT3_T4_T5_mT6_P12ihipStream_tbENKUlT_T0_E_clISt17integral_constantIbLb1EESZ_EEDaSU_SV_EUlSU_E_NS1_11comp_targetILNS1_3genE0ELNS1_11target_archE4294967295ELNS1_3gpuE0ELNS1_3repE0EEENS1_30default_config_static_selectorELNS0_4arch9wavefront6targetE0EEEvT1_,"axG",@progbits,_ZN7rocprim17ROCPRIM_400000_NS6detail17trampoline_kernelINS0_14default_configENS1_20scan_config_selectorIN3c107complexIdEEEEZZNS1_9scan_implILNS1_25lookback_scan_determinismE0ELb0ELb0ES3_PKS7_PS7_S7_ZZZN2at6native31launch_logcumsumexp_cuda_kernelERKNSE_10TensorBaseESI_lENKUlvE_clEvENKUlvE1_clEvEUlS7_S7_E_S7_EEDaPvRmT3_T4_T5_mT6_P12ihipStream_tbENKUlT_T0_E_clISt17integral_constantIbLb1EESZ_EEDaSU_SV_EUlSU_E_NS1_11comp_targetILNS1_3genE0ELNS1_11target_archE4294967295ELNS1_3gpuE0ELNS1_3repE0EEENS1_30default_config_static_selectorELNS0_4arch9wavefront6targetE0EEEvT1_,comdat
.Lfunc_end207:
	.size	_ZN7rocprim17ROCPRIM_400000_NS6detail17trampoline_kernelINS0_14default_configENS1_20scan_config_selectorIN3c107complexIdEEEEZZNS1_9scan_implILNS1_25lookback_scan_determinismE0ELb0ELb0ES3_PKS7_PS7_S7_ZZZN2at6native31launch_logcumsumexp_cuda_kernelERKNSE_10TensorBaseESI_lENKUlvE_clEvENKUlvE1_clEvEUlS7_S7_E_S7_EEDaPvRmT3_T4_T5_mT6_P12ihipStream_tbENKUlT_T0_E_clISt17integral_constantIbLb1EESZ_EEDaSU_SV_EUlSU_E_NS1_11comp_targetILNS1_3genE0ELNS1_11target_archE4294967295ELNS1_3gpuE0ELNS1_3repE0EEENS1_30default_config_static_selectorELNS0_4arch9wavefront6targetE0EEEvT1_, .Lfunc_end207-_ZN7rocprim17ROCPRIM_400000_NS6detail17trampoline_kernelINS0_14default_configENS1_20scan_config_selectorIN3c107complexIdEEEEZZNS1_9scan_implILNS1_25lookback_scan_determinismE0ELb0ELb0ES3_PKS7_PS7_S7_ZZZN2at6native31launch_logcumsumexp_cuda_kernelERKNSE_10TensorBaseESI_lENKUlvE_clEvENKUlvE1_clEvEUlS7_S7_E_S7_EEDaPvRmT3_T4_T5_mT6_P12ihipStream_tbENKUlT_T0_E_clISt17integral_constantIbLb1EESZ_EEDaSU_SV_EUlSU_E_NS1_11comp_targetILNS1_3genE0ELNS1_11target_archE4294967295ELNS1_3gpuE0ELNS1_3repE0EEENS1_30default_config_static_selectorELNS0_4arch9wavefront6targetE0EEEvT1_
                                        ; -- End function
	.section	.AMDGPU.csdata,"",@progbits
; Kernel info:
; codeLenInByte = 0
; NumSgprs: 0
; NumVgprs: 0
; ScratchSize: 0
; MemoryBound: 0
; FloatMode: 240
; IeeeMode: 1
; LDSByteSize: 0 bytes/workgroup (compile time only)
; SGPRBlocks: 0
; VGPRBlocks: 0
; NumSGPRsForWavesPerEU: 1
; NumVGPRsForWavesPerEU: 1
; Occupancy: 16
; WaveLimiterHint : 0
; COMPUTE_PGM_RSRC2:SCRATCH_EN: 0
; COMPUTE_PGM_RSRC2:USER_SGPR: 15
; COMPUTE_PGM_RSRC2:TRAP_HANDLER: 0
; COMPUTE_PGM_RSRC2:TGID_X_EN: 1
; COMPUTE_PGM_RSRC2:TGID_Y_EN: 0
; COMPUTE_PGM_RSRC2:TGID_Z_EN: 0
; COMPUTE_PGM_RSRC2:TIDIG_COMP_CNT: 0
	.section	.text._ZN7rocprim17ROCPRIM_400000_NS6detail17trampoline_kernelINS0_14default_configENS1_20scan_config_selectorIN3c107complexIdEEEEZZNS1_9scan_implILNS1_25lookback_scan_determinismE0ELb0ELb0ES3_PKS7_PS7_S7_ZZZN2at6native31launch_logcumsumexp_cuda_kernelERKNSE_10TensorBaseESI_lENKUlvE_clEvENKUlvE1_clEvEUlS7_S7_E_S7_EEDaPvRmT3_T4_T5_mT6_P12ihipStream_tbENKUlT_T0_E_clISt17integral_constantIbLb1EESZ_EEDaSU_SV_EUlSU_E_NS1_11comp_targetILNS1_3genE5ELNS1_11target_archE942ELNS1_3gpuE9ELNS1_3repE0EEENS1_30default_config_static_selectorELNS0_4arch9wavefront6targetE0EEEvT1_,"axG",@progbits,_ZN7rocprim17ROCPRIM_400000_NS6detail17trampoline_kernelINS0_14default_configENS1_20scan_config_selectorIN3c107complexIdEEEEZZNS1_9scan_implILNS1_25lookback_scan_determinismE0ELb0ELb0ES3_PKS7_PS7_S7_ZZZN2at6native31launch_logcumsumexp_cuda_kernelERKNSE_10TensorBaseESI_lENKUlvE_clEvENKUlvE1_clEvEUlS7_S7_E_S7_EEDaPvRmT3_T4_T5_mT6_P12ihipStream_tbENKUlT_T0_E_clISt17integral_constantIbLb1EESZ_EEDaSU_SV_EUlSU_E_NS1_11comp_targetILNS1_3genE5ELNS1_11target_archE942ELNS1_3gpuE9ELNS1_3repE0EEENS1_30default_config_static_selectorELNS0_4arch9wavefront6targetE0EEEvT1_,comdat
	.globl	_ZN7rocprim17ROCPRIM_400000_NS6detail17trampoline_kernelINS0_14default_configENS1_20scan_config_selectorIN3c107complexIdEEEEZZNS1_9scan_implILNS1_25lookback_scan_determinismE0ELb0ELb0ES3_PKS7_PS7_S7_ZZZN2at6native31launch_logcumsumexp_cuda_kernelERKNSE_10TensorBaseESI_lENKUlvE_clEvENKUlvE1_clEvEUlS7_S7_E_S7_EEDaPvRmT3_T4_T5_mT6_P12ihipStream_tbENKUlT_T0_E_clISt17integral_constantIbLb1EESZ_EEDaSU_SV_EUlSU_E_NS1_11comp_targetILNS1_3genE5ELNS1_11target_archE942ELNS1_3gpuE9ELNS1_3repE0EEENS1_30default_config_static_selectorELNS0_4arch9wavefront6targetE0EEEvT1_ ; -- Begin function _ZN7rocprim17ROCPRIM_400000_NS6detail17trampoline_kernelINS0_14default_configENS1_20scan_config_selectorIN3c107complexIdEEEEZZNS1_9scan_implILNS1_25lookback_scan_determinismE0ELb0ELb0ES3_PKS7_PS7_S7_ZZZN2at6native31launch_logcumsumexp_cuda_kernelERKNSE_10TensorBaseESI_lENKUlvE_clEvENKUlvE1_clEvEUlS7_S7_E_S7_EEDaPvRmT3_T4_T5_mT6_P12ihipStream_tbENKUlT_T0_E_clISt17integral_constantIbLb1EESZ_EEDaSU_SV_EUlSU_E_NS1_11comp_targetILNS1_3genE5ELNS1_11target_archE942ELNS1_3gpuE9ELNS1_3repE0EEENS1_30default_config_static_selectorELNS0_4arch9wavefront6targetE0EEEvT1_
	.p2align	8
	.type	_ZN7rocprim17ROCPRIM_400000_NS6detail17trampoline_kernelINS0_14default_configENS1_20scan_config_selectorIN3c107complexIdEEEEZZNS1_9scan_implILNS1_25lookback_scan_determinismE0ELb0ELb0ES3_PKS7_PS7_S7_ZZZN2at6native31launch_logcumsumexp_cuda_kernelERKNSE_10TensorBaseESI_lENKUlvE_clEvENKUlvE1_clEvEUlS7_S7_E_S7_EEDaPvRmT3_T4_T5_mT6_P12ihipStream_tbENKUlT_T0_E_clISt17integral_constantIbLb1EESZ_EEDaSU_SV_EUlSU_E_NS1_11comp_targetILNS1_3genE5ELNS1_11target_archE942ELNS1_3gpuE9ELNS1_3repE0EEENS1_30default_config_static_selectorELNS0_4arch9wavefront6targetE0EEEvT1_,@function
_ZN7rocprim17ROCPRIM_400000_NS6detail17trampoline_kernelINS0_14default_configENS1_20scan_config_selectorIN3c107complexIdEEEEZZNS1_9scan_implILNS1_25lookback_scan_determinismE0ELb0ELb0ES3_PKS7_PS7_S7_ZZZN2at6native31launch_logcumsumexp_cuda_kernelERKNSE_10TensorBaseESI_lENKUlvE_clEvENKUlvE1_clEvEUlS7_S7_E_S7_EEDaPvRmT3_T4_T5_mT6_P12ihipStream_tbENKUlT_T0_E_clISt17integral_constantIbLb1EESZ_EEDaSU_SV_EUlSU_E_NS1_11comp_targetILNS1_3genE5ELNS1_11target_archE942ELNS1_3gpuE9ELNS1_3repE0EEENS1_30default_config_static_selectorELNS0_4arch9wavefront6targetE0EEEvT1_: ; @_ZN7rocprim17ROCPRIM_400000_NS6detail17trampoline_kernelINS0_14default_configENS1_20scan_config_selectorIN3c107complexIdEEEEZZNS1_9scan_implILNS1_25lookback_scan_determinismE0ELb0ELb0ES3_PKS7_PS7_S7_ZZZN2at6native31launch_logcumsumexp_cuda_kernelERKNSE_10TensorBaseESI_lENKUlvE_clEvENKUlvE1_clEvEUlS7_S7_E_S7_EEDaPvRmT3_T4_T5_mT6_P12ihipStream_tbENKUlT_T0_E_clISt17integral_constantIbLb1EESZ_EEDaSU_SV_EUlSU_E_NS1_11comp_targetILNS1_3genE5ELNS1_11target_archE942ELNS1_3gpuE9ELNS1_3repE0EEENS1_30default_config_static_selectorELNS0_4arch9wavefront6targetE0EEEvT1_
; %bb.0:
	.section	.rodata,"a",@progbits
	.p2align	6, 0x0
	.amdhsa_kernel _ZN7rocprim17ROCPRIM_400000_NS6detail17trampoline_kernelINS0_14default_configENS1_20scan_config_selectorIN3c107complexIdEEEEZZNS1_9scan_implILNS1_25lookback_scan_determinismE0ELb0ELb0ES3_PKS7_PS7_S7_ZZZN2at6native31launch_logcumsumexp_cuda_kernelERKNSE_10TensorBaseESI_lENKUlvE_clEvENKUlvE1_clEvEUlS7_S7_E_S7_EEDaPvRmT3_T4_T5_mT6_P12ihipStream_tbENKUlT_T0_E_clISt17integral_constantIbLb1EESZ_EEDaSU_SV_EUlSU_E_NS1_11comp_targetILNS1_3genE5ELNS1_11target_archE942ELNS1_3gpuE9ELNS1_3repE0EEENS1_30default_config_static_selectorELNS0_4arch9wavefront6targetE0EEEvT1_
		.amdhsa_group_segment_fixed_size 0
		.amdhsa_private_segment_fixed_size 0
		.amdhsa_kernarg_size 128
		.amdhsa_user_sgpr_count 15
		.amdhsa_user_sgpr_dispatch_ptr 0
		.amdhsa_user_sgpr_queue_ptr 0
		.amdhsa_user_sgpr_kernarg_segment_ptr 1
		.amdhsa_user_sgpr_dispatch_id 0
		.amdhsa_user_sgpr_private_segment_size 0
		.amdhsa_wavefront_size32 1
		.amdhsa_uses_dynamic_stack 0
		.amdhsa_enable_private_segment 0
		.amdhsa_system_sgpr_workgroup_id_x 1
		.amdhsa_system_sgpr_workgroup_id_y 0
		.amdhsa_system_sgpr_workgroup_id_z 0
		.amdhsa_system_sgpr_workgroup_info 0
		.amdhsa_system_vgpr_workitem_id 0
		.amdhsa_next_free_vgpr 1
		.amdhsa_next_free_sgpr 1
		.amdhsa_reserve_vcc 0
		.amdhsa_float_round_mode_32 0
		.amdhsa_float_round_mode_16_64 0
		.amdhsa_float_denorm_mode_32 3
		.amdhsa_float_denorm_mode_16_64 3
		.amdhsa_dx10_clamp 1
		.amdhsa_ieee_mode 1
		.amdhsa_fp16_overflow 0
		.amdhsa_workgroup_processor_mode 1
		.amdhsa_memory_ordered 1
		.amdhsa_forward_progress 0
		.amdhsa_shared_vgpr_count 0
		.amdhsa_exception_fp_ieee_invalid_op 0
		.amdhsa_exception_fp_denorm_src 0
		.amdhsa_exception_fp_ieee_div_zero 0
		.amdhsa_exception_fp_ieee_overflow 0
		.amdhsa_exception_fp_ieee_underflow 0
		.amdhsa_exception_fp_ieee_inexact 0
		.amdhsa_exception_int_div_zero 0
	.end_amdhsa_kernel
	.section	.text._ZN7rocprim17ROCPRIM_400000_NS6detail17trampoline_kernelINS0_14default_configENS1_20scan_config_selectorIN3c107complexIdEEEEZZNS1_9scan_implILNS1_25lookback_scan_determinismE0ELb0ELb0ES3_PKS7_PS7_S7_ZZZN2at6native31launch_logcumsumexp_cuda_kernelERKNSE_10TensorBaseESI_lENKUlvE_clEvENKUlvE1_clEvEUlS7_S7_E_S7_EEDaPvRmT3_T4_T5_mT6_P12ihipStream_tbENKUlT_T0_E_clISt17integral_constantIbLb1EESZ_EEDaSU_SV_EUlSU_E_NS1_11comp_targetILNS1_3genE5ELNS1_11target_archE942ELNS1_3gpuE9ELNS1_3repE0EEENS1_30default_config_static_selectorELNS0_4arch9wavefront6targetE0EEEvT1_,"axG",@progbits,_ZN7rocprim17ROCPRIM_400000_NS6detail17trampoline_kernelINS0_14default_configENS1_20scan_config_selectorIN3c107complexIdEEEEZZNS1_9scan_implILNS1_25lookback_scan_determinismE0ELb0ELb0ES3_PKS7_PS7_S7_ZZZN2at6native31launch_logcumsumexp_cuda_kernelERKNSE_10TensorBaseESI_lENKUlvE_clEvENKUlvE1_clEvEUlS7_S7_E_S7_EEDaPvRmT3_T4_T5_mT6_P12ihipStream_tbENKUlT_T0_E_clISt17integral_constantIbLb1EESZ_EEDaSU_SV_EUlSU_E_NS1_11comp_targetILNS1_3genE5ELNS1_11target_archE942ELNS1_3gpuE9ELNS1_3repE0EEENS1_30default_config_static_selectorELNS0_4arch9wavefront6targetE0EEEvT1_,comdat
.Lfunc_end208:
	.size	_ZN7rocprim17ROCPRIM_400000_NS6detail17trampoline_kernelINS0_14default_configENS1_20scan_config_selectorIN3c107complexIdEEEEZZNS1_9scan_implILNS1_25lookback_scan_determinismE0ELb0ELb0ES3_PKS7_PS7_S7_ZZZN2at6native31launch_logcumsumexp_cuda_kernelERKNSE_10TensorBaseESI_lENKUlvE_clEvENKUlvE1_clEvEUlS7_S7_E_S7_EEDaPvRmT3_T4_T5_mT6_P12ihipStream_tbENKUlT_T0_E_clISt17integral_constantIbLb1EESZ_EEDaSU_SV_EUlSU_E_NS1_11comp_targetILNS1_3genE5ELNS1_11target_archE942ELNS1_3gpuE9ELNS1_3repE0EEENS1_30default_config_static_selectorELNS0_4arch9wavefront6targetE0EEEvT1_, .Lfunc_end208-_ZN7rocprim17ROCPRIM_400000_NS6detail17trampoline_kernelINS0_14default_configENS1_20scan_config_selectorIN3c107complexIdEEEEZZNS1_9scan_implILNS1_25lookback_scan_determinismE0ELb0ELb0ES3_PKS7_PS7_S7_ZZZN2at6native31launch_logcumsumexp_cuda_kernelERKNSE_10TensorBaseESI_lENKUlvE_clEvENKUlvE1_clEvEUlS7_S7_E_S7_EEDaPvRmT3_T4_T5_mT6_P12ihipStream_tbENKUlT_T0_E_clISt17integral_constantIbLb1EESZ_EEDaSU_SV_EUlSU_E_NS1_11comp_targetILNS1_3genE5ELNS1_11target_archE942ELNS1_3gpuE9ELNS1_3repE0EEENS1_30default_config_static_selectorELNS0_4arch9wavefront6targetE0EEEvT1_
                                        ; -- End function
	.section	.AMDGPU.csdata,"",@progbits
; Kernel info:
; codeLenInByte = 0
; NumSgprs: 0
; NumVgprs: 0
; ScratchSize: 0
; MemoryBound: 0
; FloatMode: 240
; IeeeMode: 1
; LDSByteSize: 0 bytes/workgroup (compile time only)
; SGPRBlocks: 0
; VGPRBlocks: 0
; NumSGPRsForWavesPerEU: 1
; NumVGPRsForWavesPerEU: 1
; Occupancy: 16
; WaveLimiterHint : 0
; COMPUTE_PGM_RSRC2:SCRATCH_EN: 0
; COMPUTE_PGM_RSRC2:USER_SGPR: 15
; COMPUTE_PGM_RSRC2:TRAP_HANDLER: 0
; COMPUTE_PGM_RSRC2:TGID_X_EN: 1
; COMPUTE_PGM_RSRC2:TGID_Y_EN: 0
; COMPUTE_PGM_RSRC2:TGID_Z_EN: 0
; COMPUTE_PGM_RSRC2:TIDIG_COMP_CNT: 0
	.section	.text._ZN7rocprim17ROCPRIM_400000_NS6detail17trampoline_kernelINS0_14default_configENS1_20scan_config_selectorIN3c107complexIdEEEEZZNS1_9scan_implILNS1_25lookback_scan_determinismE0ELb0ELb0ES3_PKS7_PS7_S7_ZZZN2at6native31launch_logcumsumexp_cuda_kernelERKNSE_10TensorBaseESI_lENKUlvE_clEvENKUlvE1_clEvEUlS7_S7_E_S7_EEDaPvRmT3_T4_T5_mT6_P12ihipStream_tbENKUlT_T0_E_clISt17integral_constantIbLb1EESZ_EEDaSU_SV_EUlSU_E_NS1_11comp_targetILNS1_3genE4ELNS1_11target_archE910ELNS1_3gpuE8ELNS1_3repE0EEENS1_30default_config_static_selectorELNS0_4arch9wavefront6targetE0EEEvT1_,"axG",@progbits,_ZN7rocprim17ROCPRIM_400000_NS6detail17trampoline_kernelINS0_14default_configENS1_20scan_config_selectorIN3c107complexIdEEEEZZNS1_9scan_implILNS1_25lookback_scan_determinismE0ELb0ELb0ES3_PKS7_PS7_S7_ZZZN2at6native31launch_logcumsumexp_cuda_kernelERKNSE_10TensorBaseESI_lENKUlvE_clEvENKUlvE1_clEvEUlS7_S7_E_S7_EEDaPvRmT3_T4_T5_mT6_P12ihipStream_tbENKUlT_T0_E_clISt17integral_constantIbLb1EESZ_EEDaSU_SV_EUlSU_E_NS1_11comp_targetILNS1_3genE4ELNS1_11target_archE910ELNS1_3gpuE8ELNS1_3repE0EEENS1_30default_config_static_selectorELNS0_4arch9wavefront6targetE0EEEvT1_,comdat
	.globl	_ZN7rocprim17ROCPRIM_400000_NS6detail17trampoline_kernelINS0_14default_configENS1_20scan_config_selectorIN3c107complexIdEEEEZZNS1_9scan_implILNS1_25lookback_scan_determinismE0ELb0ELb0ES3_PKS7_PS7_S7_ZZZN2at6native31launch_logcumsumexp_cuda_kernelERKNSE_10TensorBaseESI_lENKUlvE_clEvENKUlvE1_clEvEUlS7_S7_E_S7_EEDaPvRmT3_T4_T5_mT6_P12ihipStream_tbENKUlT_T0_E_clISt17integral_constantIbLb1EESZ_EEDaSU_SV_EUlSU_E_NS1_11comp_targetILNS1_3genE4ELNS1_11target_archE910ELNS1_3gpuE8ELNS1_3repE0EEENS1_30default_config_static_selectorELNS0_4arch9wavefront6targetE0EEEvT1_ ; -- Begin function _ZN7rocprim17ROCPRIM_400000_NS6detail17trampoline_kernelINS0_14default_configENS1_20scan_config_selectorIN3c107complexIdEEEEZZNS1_9scan_implILNS1_25lookback_scan_determinismE0ELb0ELb0ES3_PKS7_PS7_S7_ZZZN2at6native31launch_logcumsumexp_cuda_kernelERKNSE_10TensorBaseESI_lENKUlvE_clEvENKUlvE1_clEvEUlS7_S7_E_S7_EEDaPvRmT3_T4_T5_mT6_P12ihipStream_tbENKUlT_T0_E_clISt17integral_constantIbLb1EESZ_EEDaSU_SV_EUlSU_E_NS1_11comp_targetILNS1_3genE4ELNS1_11target_archE910ELNS1_3gpuE8ELNS1_3repE0EEENS1_30default_config_static_selectorELNS0_4arch9wavefront6targetE0EEEvT1_
	.p2align	8
	.type	_ZN7rocprim17ROCPRIM_400000_NS6detail17trampoline_kernelINS0_14default_configENS1_20scan_config_selectorIN3c107complexIdEEEEZZNS1_9scan_implILNS1_25lookback_scan_determinismE0ELb0ELb0ES3_PKS7_PS7_S7_ZZZN2at6native31launch_logcumsumexp_cuda_kernelERKNSE_10TensorBaseESI_lENKUlvE_clEvENKUlvE1_clEvEUlS7_S7_E_S7_EEDaPvRmT3_T4_T5_mT6_P12ihipStream_tbENKUlT_T0_E_clISt17integral_constantIbLb1EESZ_EEDaSU_SV_EUlSU_E_NS1_11comp_targetILNS1_3genE4ELNS1_11target_archE910ELNS1_3gpuE8ELNS1_3repE0EEENS1_30default_config_static_selectorELNS0_4arch9wavefront6targetE0EEEvT1_,@function
_ZN7rocprim17ROCPRIM_400000_NS6detail17trampoline_kernelINS0_14default_configENS1_20scan_config_selectorIN3c107complexIdEEEEZZNS1_9scan_implILNS1_25lookback_scan_determinismE0ELb0ELb0ES3_PKS7_PS7_S7_ZZZN2at6native31launch_logcumsumexp_cuda_kernelERKNSE_10TensorBaseESI_lENKUlvE_clEvENKUlvE1_clEvEUlS7_S7_E_S7_EEDaPvRmT3_T4_T5_mT6_P12ihipStream_tbENKUlT_T0_E_clISt17integral_constantIbLb1EESZ_EEDaSU_SV_EUlSU_E_NS1_11comp_targetILNS1_3genE4ELNS1_11target_archE910ELNS1_3gpuE8ELNS1_3repE0EEENS1_30default_config_static_selectorELNS0_4arch9wavefront6targetE0EEEvT1_: ; @_ZN7rocprim17ROCPRIM_400000_NS6detail17trampoline_kernelINS0_14default_configENS1_20scan_config_selectorIN3c107complexIdEEEEZZNS1_9scan_implILNS1_25lookback_scan_determinismE0ELb0ELb0ES3_PKS7_PS7_S7_ZZZN2at6native31launch_logcumsumexp_cuda_kernelERKNSE_10TensorBaseESI_lENKUlvE_clEvENKUlvE1_clEvEUlS7_S7_E_S7_EEDaPvRmT3_T4_T5_mT6_P12ihipStream_tbENKUlT_T0_E_clISt17integral_constantIbLb1EESZ_EEDaSU_SV_EUlSU_E_NS1_11comp_targetILNS1_3genE4ELNS1_11target_archE910ELNS1_3gpuE8ELNS1_3repE0EEENS1_30default_config_static_selectorELNS0_4arch9wavefront6targetE0EEEvT1_
; %bb.0:
	.section	.rodata,"a",@progbits
	.p2align	6, 0x0
	.amdhsa_kernel _ZN7rocprim17ROCPRIM_400000_NS6detail17trampoline_kernelINS0_14default_configENS1_20scan_config_selectorIN3c107complexIdEEEEZZNS1_9scan_implILNS1_25lookback_scan_determinismE0ELb0ELb0ES3_PKS7_PS7_S7_ZZZN2at6native31launch_logcumsumexp_cuda_kernelERKNSE_10TensorBaseESI_lENKUlvE_clEvENKUlvE1_clEvEUlS7_S7_E_S7_EEDaPvRmT3_T4_T5_mT6_P12ihipStream_tbENKUlT_T0_E_clISt17integral_constantIbLb1EESZ_EEDaSU_SV_EUlSU_E_NS1_11comp_targetILNS1_3genE4ELNS1_11target_archE910ELNS1_3gpuE8ELNS1_3repE0EEENS1_30default_config_static_selectorELNS0_4arch9wavefront6targetE0EEEvT1_
		.amdhsa_group_segment_fixed_size 0
		.amdhsa_private_segment_fixed_size 0
		.amdhsa_kernarg_size 128
		.amdhsa_user_sgpr_count 15
		.amdhsa_user_sgpr_dispatch_ptr 0
		.amdhsa_user_sgpr_queue_ptr 0
		.amdhsa_user_sgpr_kernarg_segment_ptr 1
		.amdhsa_user_sgpr_dispatch_id 0
		.amdhsa_user_sgpr_private_segment_size 0
		.amdhsa_wavefront_size32 1
		.amdhsa_uses_dynamic_stack 0
		.amdhsa_enable_private_segment 0
		.amdhsa_system_sgpr_workgroup_id_x 1
		.amdhsa_system_sgpr_workgroup_id_y 0
		.amdhsa_system_sgpr_workgroup_id_z 0
		.amdhsa_system_sgpr_workgroup_info 0
		.amdhsa_system_vgpr_workitem_id 0
		.amdhsa_next_free_vgpr 1
		.amdhsa_next_free_sgpr 1
		.amdhsa_reserve_vcc 0
		.amdhsa_float_round_mode_32 0
		.amdhsa_float_round_mode_16_64 0
		.amdhsa_float_denorm_mode_32 3
		.amdhsa_float_denorm_mode_16_64 3
		.amdhsa_dx10_clamp 1
		.amdhsa_ieee_mode 1
		.amdhsa_fp16_overflow 0
		.amdhsa_workgroup_processor_mode 1
		.amdhsa_memory_ordered 1
		.amdhsa_forward_progress 0
		.amdhsa_shared_vgpr_count 0
		.amdhsa_exception_fp_ieee_invalid_op 0
		.amdhsa_exception_fp_denorm_src 0
		.amdhsa_exception_fp_ieee_div_zero 0
		.amdhsa_exception_fp_ieee_overflow 0
		.amdhsa_exception_fp_ieee_underflow 0
		.amdhsa_exception_fp_ieee_inexact 0
		.amdhsa_exception_int_div_zero 0
	.end_amdhsa_kernel
	.section	.text._ZN7rocprim17ROCPRIM_400000_NS6detail17trampoline_kernelINS0_14default_configENS1_20scan_config_selectorIN3c107complexIdEEEEZZNS1_9scan_implILNS1_25lookback_scan_determinismE0ELb0ELb0ES3_PKS7_PS7_S7_ZZZN2at6native31launch_logcumsumexp_cuda_kernelERKNSE_10TensorBaseESI_lENKUlvE_clEvENKUlvE1_clEvEUlS7_S7_E_S7_EEDaPvRmT3_T4_T5_mT6_P12ihipStream_tbENKUlT_T0_E_clISt17integral_constantIbLb1EESZ_EEDaSU_SV_EUlSU_E_NS1_11comp_targetILNS1_3genE4ELNS1_11target_archE910ELNS1_3gpuE8ELNS1_3repE0EEENS1_30default_config_static_selectorELNS0_4arch9wavefront6targetE0EEEvT1_,"axG",@progbits,_ZN7rocprim17ROCPRIM_400000_NS6detail17trampoline_kernelINS0_14default_configENS1_20scan_config_selectorIN3c107complexIdEEEEZZNS1_9scan_implILNS1_25lookback_scan_determinismE0ELb0ELb0ES3_PKS7_PS7_S7_ZZZN2at6native31launch_logcumsumexp_cuda_kernelERKNSE_10TensorBaseESI_lENKUlvE_clEvENKUlvE1_clEvEUlS7_S7_E_S7_EEDaPvRmT3_T4_T5_mT6_P12ihipStream_tbENKUlT_T0_E_clISt17integral_constantIbLb1EESZ_EEDaSU_SV_EUlSU_E_NS1_11comp_targetILNS1_3genE4ELNS1_11target_archE910ELNS1_3gpuE8ELNS1_3repE0EEENS1_30default_config_static_selectorELNS0_4arch9wavefront6targetE0EEEvT1_,comdat
.Lfunc_end209:
	.size	_ZN7rocprim17ROCPRIM_400000_NS6detail17trampoline_kernelINS0_14default_configENS1_20scan_config_selectorIN3c107complexIdEEEEZZNS1_9scan_implILNS1_25lookback_scan_determinismE0ELb0ELb0ES3_PKS7_PS7_S7_ZZZN2at6native31launch_logcumsumexp_cuda_kernelERKNSE_10TensorBaseESI_lENKUlvE_clEvENKUlvE1_clEvEUlS7_S7_E_S7_EEDaPvRmT3_T4_T5_mT6_P12ihipStream_tbENKUlT_T0_E_clISt17integral_constantIbLb1EESZ_EEDaSU_SV_EUlSU_E_NS1_11comp_targetILNS1_3genE4ELNS1_11target_archE910ELNS1_3gpuE8ELNS1_3repE0EEENS1_30default_config_static_selectorELNS0_4arch9wavefront6targetE0EEEvT1_, .Lfunc_end209-_ZN7rocprim17ROCPRIM_400000_NS6detail17trampoline_kernelINS0_14default_configENS1_20scan_config_selectorIN3c107complexIdEEEEZZNS1_9scan_implILNS1_25lookback_scan_determinismE0ELb0ELb0ES3_PKS7_PS7_S7_ZZZN2at6native31launch_logcumsumexp_cuda_kernelERKNSE_10TensorBaseESI_lENKUlvE_clEvENKUlvE1_clEvEUlS7_S7_E_S7_EEDaPvRmT3_T4_T5_mT6_P12ihipStream_tbENKUlT_T0_E_clISt17integral_constantIbLb1EESZ_EEDaSU_SV_EUlSU_E_NS1_11comp_targetILNS1_3genE4ELNS1_11target_archE910ELNS1_3gpuE8ELNS1_3repE0EEENS1_30default_config_static_selectorELNS0_4arch9wavefront6targetE0EEEvT1_
                                        ; -- End function
	.section	.AMDGPU.csdata,"",@progbits
; Kernel info:
; codeLenInByte = 0
; NumSgprs: 0
; NumVgprs: 0
; ScratchSize: 0
; MemoryBound: 0
; FloatMode: 240
; IeeeMode: 1
; LDSByteSize: 0 bytes/workgroup (compile time only)
; SGPRBlocks: 0
; VGPRBlocks: 0
; NumSGPRsForWavesPerEU: 1
; NumVGPRsForWavesPerEU: 1
; Occupancy: 16
; WaveLimiterHint : 0
; COMPUTE_PGM_RSRC2:SCRATCH_EN: 0
; COMPUTE_PGM_RSRC2:USER_SGPR: 15
; COMPUTE_PGM_RSRC2:TRAP_HANDLER: 0
; COMPUTE_PGM_RSRC2:TGID_X_EN: 1
; COMPUTE_PGM_RSRC2:TGID_Y_EN: 0
; COMPUTE_PGM_RSRC2:TGID_Z_EN: 0
; COMPUTE_PGM_RSRC2:TIDIG_COMP_CNT: 0
	.section	.text._ZN7rocprim17ROCPRIM_400000_NS6detail17trampoline_kernelINS0_14default_configENS1_20scan_config_selectorIN3c107complexIdEEEEZZNS1_9scan_implILNS1_25lookback_scan_determinismE0ELb0ELb0ES3_PKS7_PS7_S7_ZZZN2at6native31launch_logcumsumexp_cuda_kernelERKNSE_10TensorBaseESI_lENKUlvE_clEvENKUlvE1_clEvEUlS7_S7_E_S7_EEDaPvRmT3_T4_T5_mT6_P12ihipStream_tbENKUlT_T0_E_clISt17integral_constantIbLb1EESZ_EEDaSU_SV_EUlSU_E_NS1_11comp_targetILNS1_3genE3ELNS1_11target_archE908ELNS1_3gpuE7ELNS1_3repE0EEENS1_30default_config_static_selectorELNS0_4arch9wavefront6targetE0EEEvT1_,"axG",@progbits,_ZN7rocprim17ROCPRIM_400000_NS6detail17trampoline_kernelINS0_14default_configENS1_20scan_config_selectorIN3c107complexIdEEEEZZNS1_9scan_implILNS1_25lookback_scan_determinismE0ELb0ELb0ES3_PKS7_PS7_S7_ZZZN2at6native31launch_logcumsumexp_cuda_kernelERKNSE_10TensorBaseESI_lENKUlvE_clEvENKUlvE1_clEvEUlS7_S7_E_S7_EEDaPvRmT3_T4_T5_mT6_P12ihipStream_tbENKUlT_T0_E_clISt17integral_constantIbLb1EESZ_EEDaSU_SV_EUlSU_E_NS1_11comp_targetILNS1_3genE3ELNS1_11target_archE908ELNS1_3gpuE7ELNS1_3repE0EEENS1_30default_config_static_selectorELNS0_4arch9wavefront6targetE0EEEvT1_,comdat
	.globl	_ZN7rocprim17ROCPRIM_400000_NS6detail17trampoline_kernelINS0_14default_configENS1_20scan_config_selectorIN3c107complexIdEEEEZZNS1_9scan_implILNS1_25lookback_scan_determinismE0ELb0ELb0ES3_PKS7_PS7_S7_ZZZN2at6native31launch_logcumsumexp_cuda_kernelERKNSE_10TensorBaseESI_lENKUlvE_clEvENKUlvE1_clEvEUlS7_S7_E_S7_EEDaPvRmT3_T4_T5_mT6_P12ihipStream_tbENKUlT_T0_E_clISt17integral_constantIbLb1EESZ_EEDaSU_SV_EUlSU_E_NS1_11comp_targetILNS1_3genE3ELNS1_11target_archE908ELNS1_3gpuE7ELNS1_3repE0EEENS1_30default_config_static_selectorELNS0_4arch9wavefront6targetE0EEEvT1_ ; -- Begin function _ZN7rocprim17ROCPRIM_400000_NS6detail17trampoline_kernelINS0_14default_configENS1_20scan_config_selectorIN3c107complexIdEEEEZZNS1_9scan_implILNS1_25lookback_scan_determinismE0ELb0ELb0ES3_PKS7_PS7_S7_ZZZN2at6native31launch_logcumsumexp_cuda_kernelERKNSE_10TensorBaseESI_lENKUlvE_clEvENKUlvE1_clEvEUlS7_S7_E_S7_EEDaPvRmT3_T4_T5_mT6_P12ihipStream_tbENKUlT_T0_E_clISt17integral_constantIbLb1EESZ_EEDaSU_SV_EUlSU_E_NS1_11comp_targetILNS1_3genE3ELNS1_11target_archE908ELNS1_3gpuE7ELNS1_3repE0EEENS1_30default_config_static_selectorELNS0_4arch9wavefront6targetE0EEEvT1_
	.p2align	8
	.type	_ZN7rocprim17ROCPRIM_400000_NS6detail17trampoline_kernelINS0_14default_configENS1_20scan_config_selectorIN3c107complexIdEEEEZZNS1_9scan_implILNS1_25lookback_scan_determinismE0ELb0ELb0ES3_PKS7_PS7_S7_ZZZN2at6native31launch_logcumsumexp_cuda_kernelERKNSE_10TensorBaseESI_lENKUlvE_clEvENKUlvE1_clEvEUlS7_S7_E_S7_EEDaPvRmT3_T4_T5_mT6_P12ihipStream_tbENKUlT_T0_E_clISt17integral_constantIbLb1EESZ_EEDaSU_SV_EUlSU_E_NS1_11comp_targetILNS1_3genE3ELNS1_11target_archE908ELNS1_3gpuE7ELNS1_3repE0EEENS1_30default_config_static_selectorELNS0_4arch9wavefront6targetE0EEEvT1_,@function
_ZN7rocprim17ROCPRIM_400000_NS6detail17trampoline_kernelINS0_14default_configENS1_20scan_config_selectorIN3c107complexIdEEEEZZNS1_9scan_implILNS1_25lookback_scan_determinismE0ELb0ELb0ES3_PKS7_PS7_S7_ZZZN2at6native31launch_logcumsumexp_cuda_kernelERKNSE_10TensorBaseESI_lENKUlvE_clEvENKUlvE1_clEvEUlS7_S7_E_S7_EEDaPvRmT3_T4_T5_mT6_P12ihipStream_tbENKUlT_T0_E_clISt17integral_constantIbLb1EESZ_EEDaSU_SV_EUlSU_E_NS1_11comp_targetILNS1_3genE3ELNS1_11target_archE908ELNS1_3gpuE7ELNS1_3repE0EEENS1_30default_config_static_selectorELNS0_4arch9wavefront6targetE0EEEvT1_: ; @_ZN7rocprim17ROCPRIM_400000_NS6detail17trampoline_kernelINS0_14default_configENS1_20scan_config_selectorIN3c107complexIdEEEEZZNS1_9scan_implILNS1_25lookback_scan_determinismE0ELb0ELb0ES3_PKS7_PS7_S7_ZZZN2at6native31launch_logcumsumexp_cuda_kernelERKNSE_10TensorBaseESI_lENKUlvE_clEvENKUlvE1_clEvEUlS7_S7_E_S7_EEDaPvRmT3_T4_T5_mT6_P12ihipStream_tbENKUlT_T0_E_clISt17integral_constantIbLb1EESZ_EEDaSU_SV_EUlSU_E_NS1_11comp_targetILNS1_3genE3ELNS1_11target_archE908ELNS1_3gpuE7ELNS1_3repE0EEENS1_30default_config_static_selectorELNS0_4arch9wavefront6targetE0EEEvT1_
; %bb.0:
	.section	.rodata,"a",@progbits
	.p2align	6, 0x0
	.amdhsa_kernel _ZN7rocprim17ROCPRIM_400000_NS6detail17trampoline_kernelINS0_14default_configENS1_20scan_config_selectorIN3c107complexIdEEEEZZNS1_9scan_implILNS1_25lookback_scan_determinismE0ELb0ELb0ES3_PKS7_PS7_S7_ZZZN2at6native31launch_logcumsumexp_cuda_kernelERKNSE_10TensorBaseESI_lENKUlvE_clEvENKUlvE1_clEvEUlS7_S7_E_S7_EEDaPvRmT3_T4_T5_mT6_P12ihipStream_tbENKUlT_T0_E_clISt17integral_constantIbLb1EESZ_EEDaSU_SV_EUlSU_E_NS1_11comp_targetILNS1_3genE3ELNS1_11target_archE908ELNS1_3gpuE7ELNS1_3repE0EEENS1_30default_config_static_selectorELNS0_4arch9wavefront6targetE0EEEvT1_
		.amdhsa_group_segment_fixed_size 0
		.amdhsa_private_segment_fixed_size 0
		.amdhsa_kernarg_size 128
		.amdhsa_user_sgpr_count 15
		.amdhsa_user_sgpr_dispatch_ptr 0
		.amdhsa_user_sgpr_queue_ptr 0
		.amdhsa_user_sgpr_kernarg_segment_ptr 1
		.amdhsa_user_sgpr_dispatch_id 0
		.amdhsa_user_sgpr_private_segment_size 0
		.amdhsa_wavefront_size32 1
		.amdhsa_uses_dynamic_stack 0
		.amdhsa_enable_private_segment 0
		.amdhsa_system_sgpr_workgroup_id_x 1
		.amdhsa_system_sgpr_workgroup_id_y 0
		.amdhsa_system_sgpr_workgroup_id_z 0
		.amdhsa_system_sgpr_workgroup_info 0
		.amdhsa_system_vgpr_workitem_id 0
		.amdhsa_next_free_vgpr 1
		.amdhsa_next_free_sgpr 1
		.amdhsa_reserve_vcc 0
		.amdhsa_float_round_mode_32 0
		.amdhsa_float_round_mode_16_64 0
		.amdhsa_float_denorm_mode_32 3
		.amdhsa_float_denorm_mode_16_64 3
		.amdhsa_dx10_clamp 1
		.amdhsa_ieee_mode 1
		.amdhsa_fp16_overflow 0
		.amdhsa_workgroup_processor_mode 1
		.amdhsa_memory_ordered 1
		.amdhsa_forward_progress 0
		.amdhsa_shared_vgpr_count 0
		.amdhsa_exception_fp_ieee_invalid_op 0
		.amdhsa_exception_fp_denorm_src 0
		.amdhsa_exception_fp_ieee_div_zero 0
		.amdhsa_exception_fp_ieee_overflow 0
		.amdhsa_exception_fp_ieee_underflow 0
		.amdhsa_exception_fp_ieee_inexact 0
		.amdhsa_exception_int_div_zero 0
	.end_amdhsa_kernel
	.section	.text._ZN7rocprim17ROCPRIM_400000_NS6detail17trampoline_kernelINS0_14default_configENS1_20scan_config_selectorIN3c107complexIdEEEEZZNS1_9scan_implILNS1_25lookback_scan_determinismE0ELb0ELb0ES3_PKS7_PS7_S7_ZZZN2at6native31launch_logcumsumexp_cuda_kernelERKNSE_10TensorBaseESI_lENKUlvE_clEvENKUlvE1_clEvEUlS7_S7_E_S7_EEDaPvRmT3_T4_T5_mT6_P12ihipStream_tbENKUlT_T0_E_clISt17integral_constantIbLb1EESZ_EEDaSU_SV_EUlSU_E_NS1_11comp_targetILNS1_3genE3ELNS1_11target_archE908ELNS1_3gpuE7ELNS1_3repE0EEENS1_30default_config_static_selectorELNS0_4arch9wavefront6targetE0EEEvT1_,"axG",@progbits,_ZN7rocprim17ROCPRIM_400000_NS6detail17trampoline_kernelINS0_14default_configENS1_20scan_config_selectorIN3c107complexIdEEEEZZNS1_9scan_implILNS1_25lookback_scan_determinismE0ELb0ELb0ES3_PKS7_PS7_S7_ZZZN2at6native31launch_logcumsumexp_cuda_kernelERKNSE_10TensorBaseESI_lENKUlvE_clEvENKUlvE1_clEvEUlS7_S7_E_S7_EEDaPvRmT3_T4_T5_mT6_P12ihipStream_tbENKUlT_T0_E_clISt17integral_constantIbLb1EESZ_EEDaSU_SV_EUlSU_E_NS1_11comp_targetILNS1_3genE3ELNS1_11target_archE908ELNS1_3gpuE7ELNS1_3repE0EEENS1_30default_config_static_selectorELNS0_4arch9wavefront6targetE0EEEvT1_,comdat
.Lfunc_end210:
	.size	_ZN7rocprim17ROCPRIM_400000_NS6detail17trampoline_kernelINS0_14default_configENS1_20scan_config_selectorIN3c107complexIdEEEEZZNS1_9scan_implILNS1_25lookback_scan_determinismE0ELb0ELb0ES3_PKS7_PS7_S7_ZZZN2at6native31launch_logcumsumexp_cuda_kernelERKNSE_10TensorBaseESI_lENKUlvE_clEvENKUlvE1_clEvEUlS7_S7_E_S7_EEDaPvRmT3_T4_T5_mT6_P12ihipStream_tbENKUlT_T0_E_clISt17integral_constantIbLb1EESZ_EEDaSU_SV_EUlSU_E_NS1_11comp_targetILNS1_3genE3ELNS1_11target_archE908ELNS1_3gpuE7ELNS1_3repE0EEENS1_30default_config_static_selectorELNS0_4arch9wavefront6targetE0EEEvT1_, .Lfunc_end210-_ZN7rocprim17ROCPRIM_400000_NS6detail17trampoline_kernelINS0_14default_configENS1_20scan_config_selectorIN3c107complexIdEEEEZZNS1_9scan_implILNS1_25lookback_scan_determinismE0ELb0ELb0ES3_PKS7_PS7_S7_ZZZN2at6native31launch_logcumsumexp_cuda_kernelERKNSE_10TensorBaseESI_lENKUlvE_clEvENKUlvE1_clEvEUlS7_S7_E_S7_EEDaPvRmT3_T4_T5_mT6_P12ihipStream_tbENKUlT_T0_E_clISt17integral_constantIbLb1EESZ_EEDaSU_SV_EUlSU_E_NS1_11comp_targetILNS1_3genE3ELNS1_11target_archE908ELNS1_3gpuE7ELNS1_3repE0EEENS1_30default_config_static_selectorELNS0_4arch9wavefront6targetE0EEEvT1_
                                        ; -- End function
	.section	.AMDGPU.csdata,"",@progbits
; Kernel info:
; codeLenInByte = 0
; NumSgprs: 0
; NumVgprs: 0
; ScratchSize: 0
; MemoryBound: 0
; FloatMode: 240
; IeeeMode: 1
; LDSByteSize: 0 bytes/workgroup (compile time only)
; SGPRBlocks: 0
; VGPRBlocks: 0
; NumSGPRsForWavesPerEU: 1
; NumVGPRsForWavesPerEU: 1
; Occupancy: 16
; WaveLimiterHint : 0
; COMPUTE_PGM_RSRC2:SCRATCH_EN: 0
; COMPUTE_PGM_RSRC2:USER_SGPR: 15
; COMPUTE_PGM_RSRC2:TRAP_HANDLER: 0
; COMPUTE_PGM_RSRC2:TGID_X_EN: 1
; COMPUTE_PGM_RSRC2:TGID_Y_EN: 0
; COMPUTE_PGM_RSRC2:TGID_Z_EN: 0
; COMPUTE_PGM_RSRC2:TIDIG_COMP_CNT: 0
	.section	.text._ZN7rocprim17ROCPRIM_400000_NS6detail17trampoline_kernelINS0_14default_configENS1_20scan_config_selectorIN3c107complexIdEEEEZZNS1_9scan_implILNS1_25lookback_scan_determinismE0ELb0ELb0ES3_PKS7_PS7_S7_ZZZN2at6native31launch_logcumsumexp_cuda_kernelERKNSE_10TensorBaseESI_lENKUlvE_clEvENKUlvE1_clEvEUlS7_S7_E_S7_EEDaPvRmT3_T4_T5_mT6_P12ihipStream_tbENKUlT_T0_E_clISt17integral_constantIbLb1EESZ_EEDaSU_SV_EUlSU_E_NS1_11comp_targetILNS1_3genE2ELNS1_11target_archE906ELNS1_3gpuE6ELNS1_3repE0EEENS1_30default_config_static_selectorELNS0_4arch9wavefront6targetE0EEEvT1_,"axG",@progbits,_ZN7rocprim17ROCPRIM_400000_NS6detail17trampoline_kernelINS0_14default_configENS1_20scan_config_selectorIN3c107complexIdEEEEZZNS1_9scan_implILNS1_25lookback_scan_determinismE0ELb0ELb0ES3_PKS7_PS7_S7_ZZZN2at6native31launch_logcumsumexp_cuda_kernelERKNSE_10TensorBaseESI_lENKUlvE_clEvENKUlvE1_clEvEUlS7_S7_E_S7_EEDaPvRmT3_T4_T5_mT6_P12ihipStream_tbENKUlT_T0_E_clISt17integral_constantIbLb1EESZ_EEDaSU_SV_EUlSU_E_NS1_11comp_targetILNS1_3genE2ELNS1_11target_archE906ELNS1_3gpuE6ELNS1_3repE0EEENS1_30default_config_static_selectorELNS0_4arch9wavefront6targetE0EEEvT1_,comdat
	.globl	_ZN7rocprim17ROCPRIM_400000_NS6detail17trampoline_kernelINS0_14default_configENS1_20scan_config_selectorIN3c107complexIdEEEEZZNS1_9scan_implILNS1_25lookback_scan_determinismE0ELb0ELb0ES3_PKS7_PS7_S7_ZZZN2at6native31launch_logcumsumexp_cuda_kernelERKNSE_10TensorBaseESI_lENKUlvE_clEvENKUlvE1_clEvEUlS7_S7_E_S7_EEDaPvRmT3_T4_T5_mT6_P12ihipStream_tbENKUlT_T0_E_clISt17integral_constantIbLb1EESZ_EEDaSU_SV_EUlSU_E_NS1_11comp_targetILNS1_3genE2ELNS1_11target_archE906ELNS1_3gpuE6ELNS1_3repE0EEENS1_30default_config_static_selectorELNS0_4arch9wavefront6targetE0EEEvT1_ ; -- Begin function _ZN7rocprim17ROCPRIM_400000_NS6detail17trampoline_kernelINS0_14default_configENS1_20scan_config_selectorIN3c107complexIdEEEEZZNS1_9scan_implILNS1_25lookback_scan_determinismE0ELb0ELb0ES3_PKS7_PS7_S7_ZZZN2at6native31launch_logcumsumexp_cuda_kernelERKNSE_10TensorBaseESI_lENKUlvE_clEvENKUlvE1_clEvEUlS7_S7_E_S7_EEDaPvRmT3_T4_T5_mT6_P12ihipStream_tbENKUlT_T0_E_clISt17integral_constantIbLb1EESZ_EEDaSU_SV_EUlSU_E_NS1_11comp_targetILNS1_3genE2ELNS1_11target_archE906ELNS1_3gpuE6ELNS1_3repE0EEENS1_30default_config_static_selectorELNS0_4arch9wavefront6targetE0EEEvT1_
	.p2align	8
	.type	_ZN7rocprim17ROCPRIM_400000_NS6detail17trampoline_kernelINS0_14default_configENS1_20scan_config_selectorIN3c107complexIdEEEEZZNS1_9scan_implILNS1_25lookback_scan_determinismE0ELb0ELb0ES3_PKS7_PS7_S7_ZZZN2at6native31launch_logcumsumexp_cuda_kernelERKNSE_10TensorBaseESI_lENKUlvE_clEvENKUlvE1_clEvEUlS7_S7_E_S7_EEDaPvRmT3_T4_T5_mT6_P12ihipStream_tbENKUlT_T0_E_clISt17integral_constantIbLb1EESZ_EEDaSU_SV_EUlSU_E_NS1_11comp_targetILNS1_3genE2ELNS1_11target_archE906ELNS1_3gpuE6ELNS1_3repE0EEENS1_30default_config_static_selectorELNS0_4arch9wavefront6targetE0EEEvT1_,@function
_ZN7rocprim17ROCPRIM_400000_NS6detail17trampoline_kernelINS0_14default_configENS1_20scan_config_selectorIN3c107complexIdEEEEZZNS1_9scan_implILNS1_25lookback_scan_determinismE0ELb0ELb0ES3_PKS7_PS7_S7_ZZZN2at6native31launch_logcumsumexp_cuda_kernelERKNSE_10TensorBaseESI_lENKUlvE_clEvENKUlvE1_clEvEUlS7_S7_E_S7_EEDaPvRmT3_T4_T5_mT6_P12ihipStream_tbENKUlT_T0_E_clISt17integral_constantIbLb1EESZ_EEDaSU_SV_EUlSU_E_NS1_11comp_targetILNS1_3genE2ELNS1_11target_archE906ELNS1_3gpuE6ELNS1_3repE0EEENS1_30default_config_static_selectorELNS0_4arch9wavefront6targetE0EEEvT1_: ; @_ZN7rocprim17ROCPRIM_400000_NS6detail17trampoline_kernelINS0_14default_configENS1_20scan_config_selectorIN3c107complexIdEEEEZZNS1_9scan_implILNS1_25lookback_scan_determinismE0ELb0ELb0ES3_PKS7_PS7_S7_ZZZN2at6native31launch_logcumsumexp_cuda_kernelERKNSE_10TensorBaseESI_lENKUlvE_clEvENKUlvE1_clEvEUlS7_S7_E_S7_EEDaPvRmT3_T4_T5_mT6_P12ihipStream_tbENKUlT_T0_E_clISt17integral_constantIbLb1EESZ_EEDaSU_SV_EUlSU_E_NS1_11comp_targetILNS1_3genE2ELNS1_11target_archE906ELNS1_3gpuE6ELNS1_3repE0EEENS1_30default_config_static_selectorELNS0_4arch9wavefront6targetE0EEEvT1_
; %bb.0:
	.section	.rodata,"a",@progbits
	.p2align	6, 0x0
	.amdhsa_kernel _ZN7rocprim17ROCPRIM_400000_NS6detail17trampoline_kernelINS0_14default_configENS1_20scan_config_selectorIN3c107complexIdEEEEZZNS1_9scan_implILNS1_25lookback_scan_determinismE0ELb0ELb0ES3_PKS7_PS7_S7_ZZZN2at6native31launch_logcumsumexp_cuda_kernelERKNSE_10TensorBaseESI_lENKUlvE_clEvENKUlvE1_clEvEUlS7_S7_E_S7_EEDaPvRmT3_T4_T5_mT6_P12ihipStream_tbENKUlT_T0_E_clISt17integral_constantIbLb1EESZ_EEDaSU_SV_EUlSU_E_NS1_11comp_targetILNS1_3genE2ELNS1_11target_archE906ELNS1_3gpuE6ELNS1_3repE0EEENS1_30default_config_static_selectorELNS0_4arch9wavefront6targetE0EEEvT1_
		.amdhsa_group_segment_fixed_size 0
		.amdhsa_private_segment_fixed_size 0
		.amdhsa_kernarg_size 128
		.amdhsa_user_sgpr_count 15
		.amdhsa_user_sgpr_dispatch_ptr 0
		.amdhsa_user_sgpr_queue_ptr 0
		.amdhsa_user_sgpr_kernarg_segment_ptr 1
		.amdhsa_user_sgpr_dispatch_id 0
		.amdhsa_user_sgpr_private_segment_size 0
		.amdhsa_wavefront_size32 1
		.amdhsa_uses_dynamic_stack 0
		.amdhsa_enable_private_segment 0
		.amdhsa_system_sgpr_workgroup_id_x 1
		.amdhsa_system_sgpr_workgroup_id_y 0
		.amdhsa_system_sgpr_workgroup_id_z 0
		.amdhsa_system_sgpr_workgroup_info 0
		.amdhsa_system_vgpr_workitem_id 0
		.amdhsa_next_free_vgpr 1
		.amdhsa_next_free_sgpr 1
		.amdhsa_reserve_vcc 0
		.amdhsa_float_round_mode_32 0
		.amdhsa_float_round_mode_16_64 0
		.amdhsa_float_denorm_mode_32 3
		.amdhsa_float_denorm_mode_16_64 3
		.amdhsa_dx10_clamp 1
		.amdhsa_ieee_mode 1
		.amdhsa_fp16_overflow 0
		.amdhsa_workgroup_processor_mode 1
		.amdhsa_memory_ordered 1
		.amdhsa_forward_progress 0
		.amdhsa_shared_vgpr_count 0
		.amdhsa_exception_fp_ieee_invalid_op 0
		.amdhsa_exception_fp_denorm_src 0
		.amdhsa_exception_fp_ieee_div_zero 0
		.amdhsa_exception_fp_ieee_overflow 0
		.amdhsa_exception_fp_ieee_underflow 0
		.amdhsa_exception_fp_ieee_inexact 0
		.amdhsa_exception_int_div_zero 0
	.end_amdhsa_kernel
	.section	.text._ZN7rocprim17ROCPRIM_400000_NS6detail17trampoline_kernelINS0_14default_configENS1_20scan_config_selectorIN3c107complexIdEEEEZZNS1_9scan_implILNS1_25lookback_scan_determinismE0ELb0ELb0ES3_PKS7_PS7_S7_ZZZN2at6native31launch_logcumsumexp_cuda_kernelERKNSE_10TensorBaseESI_lENKUlvE_clEvENKUlvE1_clEvEUlS7_S7_E_S7_EEDaPvRmT3_T4_T5_mT6_P12ihipStream_tbENKUlT_T0_E_clISt17integral_constantIbLb1EESZ_EEDaSU_SV_EUlSU_E_NS1_11comp_targetILNS1_3genE2ELNS1_11target_archE906ELNS1_3gpuE6ELNS1_3repE0EEENS1_30default_config_static_selectorELNS0_4arch9wavefront6targetE0EEEvT1_,"axG",@progbits,_ZN7rocprim17ROCPRIM_400000_NS6detail17trampoline_kernelINS0_14default_configENS1_20scan_config_selectorIN3c107complexIdEEEEZZNS1_9scan_implILNS1_25lookback_scan_determinismE0ELb0ELb0ES3_PKS7_PS7_S7_ZZZN2at6native31launch_logcumsumexp_cuda_kernelERKNSE_10TensorBaseESI_lENKUlvE_clEvENKUlvE1_clEvEUlS7_S7_E_S7_EEDaPvRmT3_T4_T5_mT6_P12ihipStream_tbENKUlT_T0_E_clISt17integral_constantIbLb1EESZ_EEDaSU_SV_EUlSU_E_NS1_11comp_targetILNS1_3genE2ELNS1_11target_archE906ELNS1_3gpuE6ELNS1_3repE0EEENS1_30default_config_static_selectorELNS0_4arch9wavefront6targetE0EEEvT1_,comdat
.Lfunc_end211:
	.size	_ZN7rocprim17ROCPRIM_400000_NS6detail17trampoline_kernelINS0_14default_configENS1_20scan_config_selectorIN3c107complexIdEEEEZZNS1_9scan_implILNS1_25lookback_scan_determinismE0ELb0ELb0ES3_PKS7_PS7_S7_ZZZN2at6native31launch_logcumsumexp_cuda_kernelERKNSE_10TensorBaseESI_lENKUlvE_clEvENKUlvE1_clEvEUlS7_S7_E_S7_EEDaPvRmT3_T4_T5_mT6_P12ihipStream_tbENKUlT_T0_E_clISt17integral_constantIbLb1EESZ_EEDaSU_SV_EUlSU_E_NS1_11comp_targetILNS1_3genE2ELNS1_11target_archE906ELNS1_3gpuE6ELNS1_3repE0EEENS1_30default_config_static_selectorELNS0_4arch9wavefront6targetE0EEEvT1_, .Lfunc_end211-_ZN7rocprim17ROCPRIM_400000_NS6detail17trampoline_kernelINS0_14default_configENS1_20scan_config_selectorIN3c107complexIdEEEEZZNS1_9scan_implILNS1_25lookback_scan_determinismE0ELb0ELb0ES3_PKS7_PS7_S7_ZZZN2at6native31launch_logcumsumexp_cuda_kernelERKNSE_10TensorBaseESI_lENKUlvE_clEvENKUlvE1_clEvEUlS7_S7_E_S7_EEDaPvRmT3_T4_T5_mT6_P12ihipStream_tbENKUlT_T0_E_clISt17integral_constantIbLb1EESZ_EEDaSU_SV_EUlSU_E_NS1_11comp_targetILNS1_3genE2ELNS1_11target_archE906ELNS1_3gpuE6ELNS1_3repE0EEENS1_30default_config_static_selectorELNS0_4arch9wavefront6targetE0EEEvT1_
                                        ; -- End function
	.section	.AMDGPU.csdata,"",@progbits
; Kernel info:
; codeLenInByte = 0
; NumSgprs: 0
; NumVgprs: 0
; ScratchSize: 0
; MemoryBound: 0
; FloatMode: 240
; IeeeMode: 1
; LDSByteSize: 0 bytes/workgroup (compile time only)
; SGPRBlocks: 0
; VGPRBlocks: 0
; NumSGPRsForWavesPerEU: 1
; NumVGPRsForWavesPerEU: 1
; Occupancy: 16
; WaveLimiterHint : 0
; COMPUTE_PGM_RSRC2:SCRATCH_EN: 0
; COMPUTE_PGM_RSRC2:USER_SGPR: 15
; COMPUTE_PGM_RSRC2:TRAP_HANDLER: 0
; COMPUTE_PGM_RSRC2:TGID_X_EN: 1
; COMPUTE_PGM_RSRC2:TGID_Y_EN: 0
; COMPUTE_PGM_RSRC2:TGID_Z_EN: 0
; COMPUTE_PGM_RSRC2:TIDIG_COMP_CNT: 0
	.section	.text._ZN7rocprim17ROCPRIM_400000_NS6detail17trampoline_kernelINS0_14default_configENS1_20scan_config_selectorIN3c107complexIdEEEEZZNS1_9scan_implILNS1_25lookback_scan_determinismE0ELb0ELb0ES3_PKS7_PS7_S7_ZZZN2at6native31launch_logcumsumexp_cuda_kernelERKNSE_10TensorBaseESI_lENKUlvE_clEvENKUlvE1_clEvEUlS7_S7_E_S7_EEDaPvRmT3_T4_T5_mT6_P12ihipStream_tbENKUlT_T0_E_clISt17integral_constantIbLb1EESZ_EEDaSU_SV_EUlSU_E_NS1_11comp_targetILNS1_3genE10ELNS1_11target_archE1201ELNS1_3gpuE5ELNS1_3repE0EEENS1_30default_config_static_selectorELNS0_4arch9wavefront6targetE0EEEvT1_,"axG",@progbits,_ZN7rocprim17ROCPRIM_400000_NS6detail17trampoline_kernelINS0_14default_configENS1_20scan_config_selectorIN3c107complexIdEEEEZZNS1_9scan_implILNS1_25lookback_scan_determinismE0ELb0ELb0ES3_PKS7_PS7_S7_ZZZN2at6native31launch_logcumsumexp_cuda_kernelERKNSE_10TensorBaseESI_lENKUlvE_clEvENKUlvE1_clEvEUlS7_S7_E_S7_EEDaPvRmT3_T4_T5_mT6_P12ihipStream_tbENKUlT_T0_E_clISt17integral_constantIbLb1EESZ_EEDaSU_SV_EUlSU_E_NS1_11comp_targetILNS1_3genE10ELNS1_11target_archE1201ELNS1_3gpuE5ELNS1_3repE0EEENS1_30default_config_static_selectorELNS0_4arch9wavefront6targetE0EEEvT1_,comdat
	.globl	_ZN7rocprim17ROCPRIM_400000_NS6detail17trampoline_kernelINS0_14default_configENS1_20scan_config_selectorIN3c107complexIdEEEEZZNS1_9scan_implILNS1_25lookback_scan_determinismE0ELb0ELb0ES3_PKS7_PS7_S7_ZZZN2at6native31launch_logcumsumexp_cuda_kernelERKNSE_10TensorBaseESI_lENKUlvE_clEvENKUlvE1_clEvEUlS7_S7_E_S7_EEDaPvRmT3_T4_T5_mT6_P12ihipStream_tbENKUlT_T0_E_clISt17integral_constantIbLb1EESZ_EEDaSU_SV_EUlSU_E_NS1_11comp_targetILNS1_3genE10ELNS1_11target_archE1201ELNS1_3gpuE5ELNS1_3repE0EEENS1_30default_config_static_selectorELNS0_4arch9wavefront6targetE0EEEvT1_ ; -- Begin function _ZN7rocprim17ROCPRIM_400000_NS6detail17trampoline_kernelINS0_14default_configENS1_20scan_config_selectorIN3c107complexIdEEEEZZNS1_9scan_implILNS1_25lookback_scan_determinismE0ELb0ELb0ES3_PKS7_PS7_S7_ZZZN2at6native31launch_logcumsumexp_cuda_kernelERKNSE_10TensorBaseESI_lENKUlvE_clEvENKUlvE1_clEvEUlS7_S7_E_S7_EEDaPvRmT3_T4_T5_mT6_P12ihipStream_tbENKUlT_T0_E_clISt17integral_constantIbLb1EESZ_EEDaSU_SV_EUlSU_E_NS1_11comp_targetILNS1_3genE10ELNS1_11target_archE1201ELNS1_3gpuE5ELNS1_3repE0EEENS1_30default_config_static_selectorELNS0_4arch9wavefront6targetE0EEEvT1_
	.p2align	8
	.type	_ZN7rocprim17ROCPRIM_400000_NS6detail17trampoline_kernelINS0_14default_configENS1_20scan_config_selectorIN3c107complexIdEEEEZZNS1_9scan_implILNS1_25lookback_scan_determinismE0ELb0ELb0ES3_PKS7_PS7_S7_ZZZN2at6native31launch_logcumsumexp_cuda_kernelERKNSE_10TensorBaseESI_lENKUlvE_clEvENKUlvE1_clEvEUlS7_S7_E_S7_EEDaPvRmT3_T4_T5_mT6_P12ihipStream_tbENKUlT_T0_E_clISt17integral_constantIbLb1EESZ_EEDaSU_SV_EUlSU_E_NS1_11comp_targetILNS1_3genE10ELNS1_11target_archE1201ELNS1_3gpuE5ELNS1_3repE0EEENS1_30default_config_static_selectorELNS0_4arch9wavefront6targetE0EEEvT1_,@function
_ZN7rocprim17ROCPRIM_400000_NS6detail17trampoline_kernelINS0_14default_configENS1_20scan_config_selectorIN3c107complexIdEEEEZZNS1_9scan_implILNS1_25lookback_scan_determinismE0ELb0ELb0ES3_PKS7_PS7_S7_ZZZN2at6native31launch_logcumsumexp_cuda_kernelERKNSE_10TensorBaseESI_lENKUlvE_clEvENKUlvE1_clEvEUlS7_S7_E_S7_EEDaPvRmT3_T4_T5_mT6_P12ihipStream_tbENKUlT_T0_E_clISt17integral_constantIbLb1EESZ_EEDaSU_SV_EUlSU_E_NS1_11comp_targetILNS1_3genE10ELNS1_11target_archE1201ELNS1_3gpuE5ELNS1_3repE0EEENS1_30default_config_static_selectorELNS0_4arch9wavefront6targetE0EEEvT1_: ; @_ZN7rocprim17ROCPRIM_400000_NS6detail17trampoline_kernelINS0_14default_configENS1_20scan_config_selectorIN3c107complexIdEEEEZZNS1_9scan_implILNS1_25lookback_scan_determinismE0ELb0ELb0ES3_PKS7_PS7_S7_ZZZN2at6native31launch_logcumsumexp_cuda_kernelERKNSE_10TensorBaseESI_lENKUlvE_clEvENKUlvE1_clEvEUlS7_S7_E_S7_EEDaPvRmT3_T4_T5_mT6_P12ihipStream_tbENKUlT_T0_E_clISt17integral_constantIbLb1EESZ_EEDaSU_SV_EUlSU_E_NS1_11comp_targetILNS1_3genE10ELNS1_11target_archE1201ELNS1_3gpuE5ELNS1_3repE0EEENS1_30default_config_static_selectorELNS0_4arch9wavefront6targetE0EEEvT1_
; %bb.0:
	.section	.rodata,"a",@progbits
	.p2align	6, 0x0
	.amdhsa_kernel _ZN7rocprim17ROCPRIM_400000_NS6detail17trampoline_kernelINS0_14default_configENS1_20scan_config_selectorIN3c107complexIdEEEEZZNS1_9scan_implILNS1_25lookback_scan_determinismE0ELb0ELb0ES3_PKS7_PS7_S7_ZZZN2at6native31launch_logcumsumexp_cuda_kernelERKNSE_10TensorBaseESI_lENKUlvE_clEvENKUlvE1_clEvEUlS7_S7_E_S7_EEDaPvRmT3_T4_T5_mT6_P12ihipStream_tbENKUlT_T0_E_clISt17integral_constantIbLb1EESZ_EEDaSU_SV_EUlSU_E_NS1_11comp_targetILNS1_3genE10ELNS1_11target_archE1201ELNS1_3gpuE5ELNS1_3repE0EEENS1_30default_config_static_selectorELNS0_4arch9wavefront6targetE0EEEvT1_
		.amdhsa_group_segment_fixed_size 0
		.amdhsa_private_segment_fixed_size 0
		.amdhsa_kernarg_size 128
		.amdhsa_user_sgpr_count 15
		.amdhsa_user_sgpr_dispatch_ptr 0
		.amdhsa_user_sgpr_queue_ptr 0
		.amdhsa_user_sgpr_kernarg_segment_ptr 1
		.amdhsa_user_sgpr_dispatch_id 0
		.amdhsa_user_sgpr_private_segment_size 0
		.amdhsa_wavefront_size32 1
		.amdhsa_uses_dynamic_stack 0
		.amdhsa_enable_private_segment 0
		.amdhsa_system_sgpr_workgroup_id_x 1
		.amdhsa_system_sgpr_workgroup_id_y 0
		.amdhsa_system_sgpr_workgroup_id_z 0
		.amdhsa_system_sgpr_workgroup_info 0
		.amdhsa_system_vgpr_workitem_id 0
		.amdhsa_next_free_vgpr 1
		.amdhsa_next_free_sgpr 1
		.amdhsa_reserve_vcc 0
		.amdhsa_float_round_mode_32 0
		.amdhsa_float_round_mode_16_64 0
		.amdhsa_float_denorm_mode_32 3
		.amdhsa_float_denorm_mode_16_64 3
		.amdhsa_dx10_clamp 1
		.amdhsa_ieee_mode 1
		.amdhsa_fp16_overflow 0
		.amdhsa_workgroup_processor_mode 1
		.amdhsa_memory_ordered 1
		.amdhsa_forward_progress 0
		.amdhsa_shared_vgpr_count 0
		.amdhsa_exception_fp_ieee_invalid_op 0
		.amdhsa_exception_fp_denorm_src 0
		.amdhsa_exception_fp_ieee_div_zero 0
		.amdhsa_exception_fp_ieee_overflow 0
		.amdhsa_exception_fp_ieee_underflow 0
		.amdhsa_exception_fp_ieee_inexact 0
		.amdhsa_exception_int_div_zero 0
	.end_amdhsa_kernel
	.section	.text._ZN7rocprim17ROCPRIM_400000_NS6detail17trampoline_kernelINS0_14default_configENS1_20scan_config_selectorIN3c107complexIdEEEEZZNS1_9scan_implILNS1_25lookback_scan_determinismE0ELb0ELb0ES3_PKS7_PS7_S7_ZZZN2at6native31launch_logcumsumexp_cuda_kernelERKNSE_10TensorBaseESI_lENKUlvE_clEvENKUlvE1_clEvEUlS7_S7_E_S7_EEDaPvRmT3_T4_T5_mT6_P12ihipStream_tbENKUlT_T0_E_clISt17integral_constantIbLb1EESZ_EEDaSU_SV_EUlSU_E_NS1_11comp_targetILNS1_3genE10ELNS1_11target_archE1201ELNS1_3gpuE5ELNS1_3repE0EEENS1_30default_config_static_selectorELNS0_4arch9wavefront6targetE0EEEvT1_,"axG",@progbits,_ZN7rocprim17ROCPRIM_400000_NS6detail17trampoline_kernelINS0_14default_configENS1_20scan_config_selectorIN3c107complexIdEEEEZZNS1_9scan_implILNS1_25lookback_scan_determinismE0ELb0ELb0ES3_PKS7_PS7_S7_ZZZN2at6native31launch_logcumsumexp_cuda_kernelERKNSE_10TensorBaseESI_lENKUlvE_clEvENKUlvE1_clEvEUlS7_S7_E_S7_EEDaPvRmT3_T4_T5_mT6_P12ihipStream_tbENKUlT_T0_E_clISt17integral_constantIbLb1EESZ_EEDaSU_SV_EUlSU_E_NS1_11comp_targetILNS1_3genE10ELNS1_11target_archE1201ELNS1_3gpuE5ELNS1_3repE0EEENS1_30default_config_static_selectorELNS0_4arch9wavefront6targetE0EEEvT1_,comdat
.Lfunc_end212:
	.size	_ZN7rocprim17ROCPRIM_400000_NS6detail17trampoline_kernelINS0_14default_configENS1_20scan_config_selectorIN3c107complexIdEEEEZZNS1_9scan_implILNS1_25lookback_scan_determinismE0ELb0ELb0ES3_PKS7_PS7_S7_ZZZN2at6native31launch_logcumsumexp_cuda_kernelERKNSE_10TensorBaseESI_lENKUlvE_clEvENKUlvE1_clEvEUlS7_S7_E_S7_EEDaPvRmT3_T4_T5_mT6_P12ihipStream_tbENKUlT_T0_E_clISt17integral_constantIbLb1EESZ_EEDaSU_SV_EUlSU_E_NS1_11comp_targetILNS1_3genE10ELNS1_11target_archE1201ELNS1_3gpuE5ELNS1_3repE0EEENS1_30default_config_static_selectorELNS0_4arch9wavefront6targetE0EEEvT1_, .Lfunc_end212-_ZN7rocprim17ROCPRIM_400000_NS6detail17trampoline_kernelINS0_14default_configENS1_20scan_config_selectorIN3c107complexIdEEEEZZNS1_9scan_implILNS1_25lookback_scan_determinismE0ELb0ELb0ES3_PKS7_PS7_S7_ZZZN2at6native31launch_logcumsumexp_cuda_kernelERKNSE_10TensorBaseESI_lENKUlvE_clEvENKUlvE1_clEvEUlS7_S7_E_S7_EEDaPvRmT3_T4_T5_mT6_P12ihipStream_tbENKUlT_T0_E_clISt17integral_constantIbLb1EESZ_EEDaSU_SV_EUlSU_E_NS1_11comp_targetILNS1_3genE10ELNS1_11target_archE1201ELNS1_3gpuE5ELNS1_3repE0EEENS1_30default_config_static_selectorELNS0_4arch9wavefront6targetE0EEEvT1_
                                        ; -- End function
	.section	.AMDGPU.csdata,"",@progbits
; Kernel info:
; codeLenInByte = 0
; NumSgprs: 0
; NumVgprs: 0
; ScratchSize: 0
; MemoryBound: 0
; FloatMode: 240
; IeeeMode: 1
; LDSByteSize: 0 bytes/workgroup (compile time only)
; SGPRBlocks: 0
; VGPRBlocks: 0
; NumSGPRsForWavesPerEU: 1
; NumVGPRsForWavesPerEU: 1
; Occupancy: 16
; WaveLimiterHint : 0
; COMPUTE_PGM_RSRC2:SCRATCH_EN: 0
; COMPUTE_PGM_RSRC2:USER_SGPR: 15
; COMPUTE_PGM_RSRC2:TRAP_HANDLER: 0
; COMPUTE_PGM_RSRC2:TGID_X_EN: 1
; COMPUTE_PGM_RSRC2:TGID_Y_EN: 0
; COMPUTE_PGM_RSRC2:TGID_Z_EN: 0
; COMPUTE_PGM_RSRC2:TIDIG_COMP_CNT: 0
	.section	.text._ZN7rocprim17ROCPRIM_400000_NS6detail17trampoline_kernelINS0_14default_configENS1_20scan_config_selectorIN3c107complexIdEEEEZZNS1_9scan_implILNS1_25lookback_scan_determinismE0ELb0ELb0ES3_PKS7_PS7_S7_ZZZN2at6native31launch_logcumsumexp_cuda_kernelERKNSE_10TensorBaseESI_lENKUlvE_clEvENKUlvE1_clEvEUlS7_S7_E_S7_EEDaPvRmT3_T4_T5_mT6_P12ihipStream_tbENKUlT_T0_E_clISt17integral_constantIbLb1EESZ_EEDaSU_SV_EUlSU_E_NS1_11comp_targetILNS1_3genE10ELNS1_11target_archE1200ELNS1_3gpuE4ELNS1_3repE0EEENS1_30default_config_static_selectorELNS0_4arch9wavefront6targetE0EEEvT1_,"axG",@progbits,_ZN7rocprim17ROCPRIM_400000_NS6detail17trampoline_kernelINS0_14default_configENS1_20scan_config_selectorIN3c107complexIdEEEEZZNS1_9scan_implILNS1_25lookback_scan_determinismE0ELb0ELb0ES3_PKS7_PS7_S7_ZZZN2at6native31launch_logcumsumexp_cuda_kernelERKNSE_10TensorBaseESI_lENKUlvE_clEvENKUlvE1_clEvEUlS7_S7_E_S7_EEDaPvRmT3_T4_T5_mT6_P12ihipStream_tbENKUlT_T0_E_clISt17integral_constantIbLb1EESZ_EEDaSU_SV_EUlSU_E_NS1_11comp_targetILNS1_3genE10ELNS1_11target_archE1200ELNS1_3gpuE4ELNS1_3repE0EEENS1_30default_config_static_selectorELNS0_4arch9wavefront6targetE0EEEvT1_,comdat
	.globl	_ZN7rocprim17ROCPRIM_400000_NS6detail17trampoline_kernelINS0_14default_configENS1_20scan_config_selectorIN3c107complexIdEEEEZZNS1_9scan_implILNS1_25lookback_scan_determinismE0ELb0ELb0ES3_PKS7_PS7_S7_ZZZN2at6native31launch_logcumsumexp_cuda_kernelERKNSE_10TensorBaseESI_lENKUlvE_clEvENKUlvE1_clEvEUlS7_S7_E_S7_EEDaPvRmT3_T4_T5_mT6_P12ihipStream_tbENKUlT_T0_E_clISt17integral_constantIbLb1EESZ_EEDaSU_SV_EUlSU_E_NS1_11comp_targetILNS1_3genE10ELNS1_11target_archE1200ELNS1_3gpuE4ELNS1_3repE0EEENS1_30default_config_static_selectorELNS0_4arch9wavefront6targetE0EEEvT1_ ; -- Begin function _ZN7rocprim17ROCPRIM_400000_NS6detail17trampoline_kernelINS0_14default_configENS1_20scan_config_selectorIN3c107complexIdEEEEZZNS1_9scan_implILNS1_25lookback_scan_determinismE0ELb0ELb0ES3_PKS7_PS7_S7_ZZZN2at6native31launch_logcumsumexp_cuda_kernelERKNSE_10TensorBaseESI_lENKUlvE_clEvENKUlvE1_clEvEUlS7_S7_E_S7_EEDaPvRmT3_T4_T5_mT6_P12ihipStream_tbENKUlT_T0_E_clISt17integral_constantIbLb1EESZ_EEDaSU_SV_EUlSU_E_NS1_11comp_targetILNS1_3genE10ELNS1_11target_archE1200ELNS1_3gpuE4ELNS1_3repE0EEENS1_30default_config_static_selectorELNS0_4arch9wavefront6targetE0EEEvT1_
	.p2align	8
	.type	_ZN7rocprim17ROCPRIM_400000_NS6detail17trampoline_kernelINS0_14default_configENS1_20scan_config_selectorIN3c107complexIdEEEEZZNS1_9scan_implILNS1_25lookback_scan_determinismE0ELb0ELb0ES3_PKS7_PS7_S7_ZZZN2at6native31launch_logcumsumexp_cuda_kernelERKNSE_10TensorBaseESI_lENKUlvE_clEvENKUlvE1_clEvEUlS7_S7_E_S7_EEDaPvRmT3_T4_T5_mT6_P12ihipStream_tbENKUlT_T0_E_clISt17integral_constantIbLb1EESZ_EEDaSU_SV_EUlSU_E_NS1_11comp_targetILNS1_3genE10ELNS1_11target_archE1200ELNS1_3gpuE4ELNS1_3repE0EEENS1_30default_config_static_selectorELNS0_4arch9wavefront6targetE0EEEvT1_,@function
_ZN7rocprim17ROCPRIM_400000_NS6detail17trampoline_kernelINS0_14default_configENS1_20scan_config_selectorIN3c107complexIdEEEEZZNS1_9scan_implILNS1_25lookback_scan_determinismE0ELb0ELb0ES3_PKS7_PS7_S7_ZZZN2at6native31launch_logcumsumexp_cuda_kernelERKNSE_10TensorBaseESI_lENKUlvE_clEvENKUlvE1_clEvEUlS7_S7_E_S7_EEDaPvRmT3_T4_T5_mT6_P12ihipStream_tbENKUlT_T0_E_clISt17integral_constantIbLb1EESZ_EEDaSU_SV_EUlSU_E_NS1_11comp_targetILNS1_3genE10ELNS1_11target_archE1200ELNS1_3gpuE4ELNS1_3repE0EEENS1_30default_config_static_selectorELNS0_4arch9wavefront6targetE0EEEvT1_: ; @_ZN7rocprim17ROCPRIM_400000_NS6detail17trampoline_kernelINS0_14default_configENS1_20scan_config_selectorIN3c107complexIdEEEEZZNS1_9scan_implILNS1_25lookback_scan_determinismE0ELb0ELb0ES3_PKS7_PS7_S7_ZZZN2at6native31launch_logcumsumexp_cuda_kernelERKNSE_10TensorBaseESI_lENKUlvE_clEvENKUlvE1_clEvEUlS7_S7_E_S7_EEDaPvRmT3_T4_T5_mT6_P12ihipStream_tbENKUlT_T0_E_clISt17integral_constantIbLb1EESZ_EEDaSU_SV_EUlSU_E_NS1_11comp_targetILNS1_3genE10ELNS1_11target_archE1200ELNS1_3gpuE4ELNS1_3repE0EEENS1_30default_config_static_selectorELNS0_4arch9wavefront6targetE0EEEvT1_
; %bb.0:
	.section	.rodata,"a",@progbits
	.p2align	6, 0x0
	.amdhsa_kernel _ZN7rocprim17ROCPRIM_400000_NS6detail17trampoline_kernelINS0_14default_configENS1_20scan_config_selectorIN3c107complexIdEEEEZZNS1_9scan_implILNS1_25lookback_scan_determinismE0ELb0ELb0ES3_PKS7_PS7_S7_ZZZN2at6native31launch_logcumsumexp_cuda_kernelERKNSE_10TensorBaseESI_lENKUlvE_clEvENKUlvE1_clEvEUlS7_S7_E_S7_EEDaPvRmT3_T4_T5_mT6_P12ihipStream_tbENKUlT_T0_E_clISt17integral_constantIbLb1EESZ_EEDaSU_SV_EUlSU_E_NS1_11comp_targetILNS1_3genE10ELNS1_11target_archE1200ELNS1_3gpuE4ELNS1_3repE0EEENS1_30default_config_static_selectorELNS0_4arch9wavefront6targetE0EEEvT1_
		.amdhsa_group_segment_fixed_size 0
		.amdhsa_private_segment_fixed_size 0
		.amdhsa_kernarg_size 128
		.amdhsa_user_sgpr_count 15
		.amdhsa_user_sgpr_dispatch_ptr 0
		.amdhsa_user_sgpr_queue_ptr 0
		.amdhsa_user_sgpr_kernarg_segment_ptr 1
		.amdhsa_user_sgpr_dispatch_id 0
		.amdhsa_user_sgpr_private_segment_size 0
		.amdhsa_wavefront_size32 1
		.amdhsa_uses_dynamic_stack 0
		.amdhsa_enable_private_segment 0
		.amdhsa_system_sgpr_workgroup_id_x 1
		.amdhsa_system_sgpr_workgroup_id_y 0
		.amdhsa_system_sgpr_workgroup_id_z 0
		.amdhsa_system_sgpr_workgroup_info 0
		.amdhsa_system_vgpr_workitem_id 0
		.amdhsa_next_free_vgpr 1
		.amdhsa_next_free_sgpr 1
		.amdhsa_reserve_vcc 0
		.amdhsa_float_round_mode_32 0
		.amdhsa_float_round_mode_16_64 0
		.amdhsa_float_denorm_mode_32 3
		.amdhsa_float_denorm_mode_16_64 3
		.amdhsa_dx10_clamp 1
		.amdhsa_ieee_mode 1
		.amdhsa_fp16_overflow 0
		.amdhsa_workgroup_processor_mode 1
		.amdhsa_memory_ordered 1
		.amdhsa_forward_progress 0
		.amdhsa_shared_vgpr_count 0
		.amdhsa_exception_fp_ieee_invalid_op 0
		.amdhsa_exception_fp_denorm_src 0
		.amdhsa_exception_fp_ieee_div_zero 0
		.amdhsa_exception_fp_ieee_overflow 0
		.amdhsa_exception_fp_ieee_underflow 0
		.amdhsa_exception_fp_ieee_inexact 0
		.amdhsa_exception_int_div_zero 0
	.end_amdhsa_kernel
	.section	.text._ZN7rocprim17ROCPRIM_400000_NS6detail17trampoline_kernelINS0_14default_configENS1_20scan_config_selectorIN3c107complexIdEEEEZZNS1_9scan_implILNS1_25lookback_scan_determinismE0ELb0ELb0ES3_PKS7_PS7_S7_ZZZN2at6native31launch_logcumsumexp_cuda_kernelERKNSE_10TensorBaseESI_lENKUlvE_clEvENKUlvE1_clEvEUlS7_S7_E_S7_EEDaPvRmT3_T4_T5_mT6_P12ihipStream_tbENKUlT_T0_E_clISt17integral_constantIbLb1EESZ_EEDaSU_SV_EUlSU_E_NS1_11comp_targetILNS1_3genE10ELNS1_11target_archE1200ELNS1_3gpuE4ELNS1_3repE0EEENS1_30default_config_static_selectorELNS0_4arch9wavefront6targetE0EEEvT1_,"axG",@progbits,_ZN7rocprim17ROCPRIM_400000_NS6detail17trampoline_kernelINS0_14default_configENS1_20scan_config_selectorIN3c107complexIdEEEEZZNS1_9scan_implILNS1_25lookback_scan_determinismE0ELb0ELb0ES3_PKS7_PS7_S7_ZZZN2at6native31launch_logcumsumexp_cuda_kernelERKNSE_10TensorBaseESI_lENKUlvE_clEvENKUlvE1_clEvEUlS7_S7_E_S7_EEDaPvRmT3_T4_T5_mT6_P12ihipStream_tbENKUlT_T0_E_clISt17integral_constantIbLb1EESZ_EEDaSU_SV_EUlSU_E_NS1_11comp_targetILNS1_3genE10ELNS1_11target_archE1200ELNS1_3gpuE4ELNS1_3repE0EEENS1_30default_config_static_selectorELNS0_4arch9wavefront6targetE0EEEvT1_,comdat
.Lfunc_end213:
	.size	_ZN7rocprim17ROCPRIM_400000_NS6detail17trampoline_kernelINS0_14default_configENS1_20scan_config_selectorIN3c107complexIdEEEEZZNS1_9scan_implILNS1_25lookback_scan_determinismE0ELb0ELb0ES3_PKS7_PS7_S7_ZZZN2at6native31launch_logcumsumexp_cuda_kernelERKNSE_10TensorBaseESI_lENKUlvE_clEvENKUlvE1_clEvEUlS7_S7_E_S7_EEDaPvRmT3_T4_T5_mT6_P12ihipStream_tbENKUlT_T0_E_clISt17integral_constantIbLb1EESZ_EEDaSU_SV_EUlSU_E_NS1_11comp_targetILNS1_3genE10ELNS1_11target_archE1200ELNS1_3gpuE4ELNS1_3repE0EEENS1_30default_config_static_selectorELNS0_4arch9wavefront6targetE0EEEvT1_, .Lfunc_end213-_ZN7rocprim17ROCPRIM_400000_NS6detail17trampoline_kernelINS0_14default_configENS1_20scan_config_selectorIN3c107complexIdEEEEZZNS1_9scan_implILNS1_25lookback_scan_determinismE0ELb0ELb0ES3_PKS7_PS7_S7_ZZZN2at6native31launch_logcumsumexp_cuda_kernelERKNSE_10TensorBaseESI_lENKUlvE_clEvENKUlvE1_clEvEUlS7_S7_E_S7_EEDaPvRmT3_T4_T5_mT6_P12ihipStream_tbENKUlT_T0_E_clISt17integral_constantIbLb1EESZ_EEDaSU_SV_EUlSU_E_NS1_11comp_targetILNS1_3genE10ELNS1_11target_archE1200ELNS1_3gpuE4ELNS1_3repE0EEENS1_30default_config_static_selectorELNS0_4arch9wavefront6targetE0EEEvT1_
                                        ; -- End function
	.section	.AMDGPU.csdata,"",@progbits
; Kernel info:
; codeLenInByte = 0
; NumSgprs: 0
; NumVgprs: 0
; ScratchSize: 0
; MemoryBound: 0
; FloatMode: 240
; IeeeMode: 1
; LDSByteSize: 0 bytes/workgroup (compile time only)
; SGPRBlocks: 0
; VGPRBlocks: 0
; NumSGPRsForWavesPerEU: 1
; NumVGPRsForWavesPerEU: 1
; Occupancy: 16
; WaveLimiterHint : 0
; COMPUTE_PGM_RSRC2:SCRATCH_EN: 0
; COMPUTE_PGM_RSRC2:USER_SGPR: 15
; COMPUTE_PGM_RSRC2:TRAP_HANDLER: 0
; COMPUTE_PGM_RSRC2:TGID_X_EN: 1
; COMPUTE_PGM_RSRC2:TGID_Y_EN: 0
; COMPUTE_PGM_RSRC2:TGID_Z_EN: 0
; COMPUTE_PGM_RSRC2:TIDIG_COMP_CNT: 0
	.section	.text._ZN7rocprim17ROCPRIM_400000_NS6detail17trampoline_kernelINS0_14default_configENS1_20scan_config_selectorIN3c107complexIdEEEEZZNS1_9scan_implILNS1_25lookback_scan_determinismE0ELb0ELb0ES3_PKS7_PS7_S7_ZZZN2at6native31launch_logcumsumexp_cuda_kernelERKNSE_10TensorBaseESI_lENKUlvE_clEvENKUlvE1_clEvEUlS7_S7_E_S7_EEDaPvRmT3_T4_T5_mT6_P12ihipStream_tbENKUlT_T0_E_clISt17integral_constantIbLb1EESZ_EEDaSU_SV_EUlSU_E_NS1_11comp_targetILNS1_3genE9ELNS1_11target_archE1100ELNS1_3gpuE3ELNS1_3repE0EEENS1_30default_config_static_selectorELNS0_4arch9wavefront6targetE0EEEvT1_,"axG",@progbits,_ZN7rocprim17ROCPRIM_400000_NS6detail17trampoline_kernelINS0_14default_configENS1_20scan_config_selectorIN3c107complexIdEEEEZZNS1_9scan_implILNS1_25lookback_scan_determinismE0ELb0ELb0ES3_PKS7_PS7_S7_ZZZN2at6native31launch_logcumsumexp_cuda_kernelERKNSE_10TensorBaseESI_lENKUlvE_clEvENKUlvE1_clEvEUlS7_S7_E_S7_EEDaPvRmT3_T4_T5_mT6_P12ihipStream_tbENKUlT_T0_E_clISt17integral_constantIbLb1EESZ_EEDaSU_SV_EUlSU_E_NS1_11comp_targetILNS1_3genE9ELNS1_11target_archE1100ELNS1_3gpuE3ELNS1_3repE0EEENS1_30default_config_static_selectorELNS0_4arch9wavefront6targetE0EEEvT1_,comdat
	.globl	_ZN7rocprim17ROCPRIM_400000_NS6detail17trampoline_kernelINS0_14default_configENS1_20scan_config_selectorIN3c107complexIdEEEEZZNS1_9scan_implILNS1_25lookback_scan_determinismE0ELb0ELb0ES3_PKS7_PS7_S7_ZZZN2at6native31launch_logcumsumexp_cuda_kernelERKNSE_10TensorBaseESI_lENKUlvE_clEvENKUlvE1_clEvEUlS7_S7_E_S7_EEDaPvRmT3_T4_T5_mT6_P12ihipStream_tbENKUlT_T0_E_clISt17integral_constantIbLb1EESZ_EEDaSU_SV_EUlSU_E_NS1_11comp_targetILNS1_3genE9ELNS1_11target_archE1100ELNS1_3gpuE3ELNS1_3repE0EEENS1_30default_config_static_selectorELNS0_4arch9wavefront6targetE0EEEvT1_ ; -- Begin function _ZN7rocprim17ROCPRIM_400000_NS6detail17trampoline_kernelINS0_14default_configENS1_20scan_config_selectorIN3c107complexIdEEEEZZNS1_9scan_implILNS1_25lookback_scan_determinismE0ELb0ELb0ES3_PKS7_PS7_S7_ZZZN2at6native31launch_logcumsumexp_cuda_kernelERKNSE_10TensorBaseESI_lENKUlvE_clEvENKUlvE1_clEvEUlS7_S7_E_S7_EEDaPvRmT3_T4_T5_mT6_P12ihipStream_tbENKUlT_T0_E_clISt17integral_constantIbLb1EESZ_EEDaSU_SV_EUlSU_E_NS1_11comp_targetILNS1_3genE9ELNS1_11target_archE1100ELNS1_3gpuE3ELNS1_3repE0EEENS1_30default_config_static_selectorELNS0_4arch9wavefront6targetE0EEEvT1_
	.p2align	8
	.type	_ZN7rocprim17ROCPRIM_400000_NS6detail17trampoline_kernelINS0_14default_configENS1_20scan_config_selectorIN3c107complexIdEEEEZZNS1_9scan_implILNS1_25lookback_scan_determinismE0ELb0ELb0ES3_PKS7_PS7_S7_ZZZN2at6native31launch_logcumsumexp_cuda_kernelERKNSE_10TensorBaseESI_lENKUlvE_clEvENKUlvE1_clEvEUlS7_S7_E_S7_EEDaPvRmT3_T4_T5_mT6_P12ihipStream_tbENKUlT_T0_E_clISt17integral_constantIbLb1EESZ_EEDaSU_SV_EUlSU_E_NS1_11comp_targetILNS1_3genE9ELNS1_11target_archE1100ELNS1_3gpuE3ELNS1_3repE0EEENS1_30default_config_static_selectorELNS0_4arch9wavefront6targetE0EEEvT1_,@function
_ZN7rocprim17ROCPRIM_400000_NS6detail17trampoline_kernelINS0_14default_configENS1_20scan_config_selectorIN3c107complexIdEEEEZZNS1_9scan_implILNS1_25lookback_scan_determinismE0ELb0ELb0ES3_PKS7_PS7_S7_ZZZN2at6native31launch_logcumsumexp_cuda_kernelERKNSE_10TensorBaseESI_lENKUlvE_clEvENKUlvE1_clEvEUlS7_S7_E_S7_EEDaPvRmT3_T4_T5_mT6_P12ihipStream_tbENKUlT_T0_E_clISt17integral_constantIbLb1EESZ_EEDaSU_SV_EUlSU_E_NS1_11comp_targetILNS1_3genE9ELNS1_11target_archE1100ELNS1_3gpuE3ELNS1_3repE0EEENS1_30default_config_static_selectorELNS0_4arch9wavefront6targetE0EEEvT1_: ; @_ZN7rocprim17ROCPRIM_400000_NS6detail17trampoline_kernelINS0_14default_configENS1_20scan_config_selectorIN3c107complexIdEEEEZZNS1_9scan_implILNS1_25lookback_scan_determinismE0ELb0ELb0ES3_PKS7_PS7_S7_ZZZN2at6native31launch_logcumsumexp_cuda_kernelERKNSE_10TensorBaseESI_lENKUlvE_clEvENKUlvE1_clEvEUlS7_S7_E_S7_EEDaPvRmT3_T4_T5_mT6_P12ihipStream_tbENKUlT_T0_E_clISt17integral_constantIbLb1EESZ_EEDaSU_SV_EUlSU_E_NS1_11comp_targetILNS1_3genE9ELNS1_11target_archE1100ELNS1_3gpuE3ELNS1_3repE0EEENS1_30default_config_static_selectorELNS0_4arch9wavefront6targetE0EEEvT1_
; %bb.0:
	s_clause 0x1
	s_load_b128 s[44:47], s[0:1], 0x38
	s_load_b64 s[28:29], s[0:1], 0x48
	v_mov_b32_e32 v156, v0
	s_mov_b32 s32, 0
	s_delay_alu instid0(VALU_DEP_1) | instskip(SKIP_1) | instid1(VALU_DEP_1)
	v_cmp_ne_u32_e64 s18, 0, v156
	v_cmp_eq_u32_e64 s19, 0, v156
	s_and_saveexec_b32 s2, s19
	s_cbranch_execz .LBB214_4
; %bb.1:
	s_mov_b32 s4, exec_lo
	s_mov_b32 s3, exec_lo
	v_mbcnt_lo_u32_b32 v0, s4, 0
                                        ; implicit-def: $vgpr1
	s_delay_alu instid0(VALU_DEP_1)
	v_cmpx_eq_u32_e32 0, v0
	s_cbranch_execz .LBB214_3
; %bb.2:
	s_load_b64 s[6:7], s[0:1], 0x78
	s_bcnt1_i32_b32 s4, s4
	s_delay_alu instid0(SALU_CYCLE_1)
	v_dual_mov_b32 v1, 0 :: v_dual_mov_b32 v2, s4
	s_waitcnt lgkmcnt(0)
	global_atomic_add_u32 v1, v1, v2, s[6:7] glc
.LBB214_3:
	s_or_b32 exec_lo, exec_lo, s3
	s_waitcnt vmcnt(0)
	v_readfirstlane_b32 s3, v1
	s_delay_alu instid0(VALU_DEP_1)
	v_dual_mov_b32 v1, 0 :: v_dual_add_nc_u32 v0, s3, v0
	ds_store_b32 v1, v0
.LBB214_4:
	s_or_b32 exec_lo, exec_lo, s2
	v_dual_mov_b32 v0, 0 :: v_dual_lshlrev_b32 v165, 4, v156
	s_clause 0x2
	s_load_b256 s[20:27], s[0:1], 0x0
	s_load_b32 s2, s[0:1], 0x50
	s_load_b256 s[36:43], s[0:1], 0x58
	s_waitcnt lgkmcnt(0)
	s_barrier
	buffer_gl0_inv
	ds_load_b32 v0, v0
	s_mov_b32 s1, 0
	v_lshrrev_b32_e32 v32, 1, v156
	v_or_b32_e32 v164, 0x100, v156
	v_or_b32_e32 v163, 0x200, v156
	v_or_b32_e32 v162, 0x300, v156
	v_or_b32_e32 v161, 0x400, v156
	v_or_b32_e32 v160, 0x500, v156
	v_or_b32_e32 v159, 0x600, v156
	v_or_b32_e32 v158, 0x700, v156
	s_waitcnt lgkmcnt(0)
	s_barrier
	buffer_gl0_inv
	s_lshl_b64 s[22:23], s[22:23], 4
	s_delay_alu instid0(SALU_CYCLE_1)
	s_add_u32 s3, s20, s22
	s_addc_u32 s4, s21, s23
	s_add_i32 s2, s2, -1
	v_readfirstlane_b32 s35, v0
	s_lshl_b32 s5, s2, 11
	v_cmp_ne_u32_e64 s17, s2, v0
	s_delay_alu instid0(VALU_DEP_2)
	s_lshl_b32 s0, s35, 11
	s_sub_u32 s33, s26, s5
	s_subb_u32 s34, s27, 0
	s_lshl_b64 s[26:27], s[0:1], 4
	s_mov_b32 s1, -1
	s_add_u32 s2, s3, s26
	s_addc_u32 s3, s4, s27
	s_and_b32 vcc_lo, exec_lo, s17
	s_cbranch_vccz .LBB214_6
; %bb.5:
	v_add_co_u32 v10, s0, s2, v165
	s_delay_alu instid0(VALU_DEP_1) | instskip(SKIP_1) | instid1(VALU_DEP_3)
	v_add_co_ci_u32_e64 v11, null, s3, 0, s0
	v_lshrrev_b32_e32 v34, 1, v164
	v_add_co_u32 v8, vcc_lo, v10, 0x2000
	s_delay_alu instid0(VALU_DEP_3)
	v_add_co_ci_u32_e32 v9, vcc_lo, 0, v11, vcc_lo
	v_add_co_u32 v16, vcc_lo, v10, 0x4000
	v_add_co_ci_u32_e32 v17, vcc_lo, 0, v11, vcc_lo
	v_add_co_u32 v24, vcc_lo, v10, 0x6000
	;; [unrolled: 2-line block ×3, first 2 shown]
	v_add_co_ci_u32_e32 v29, vcc_lo, 0, v11, vcc_lo
	s_clause 0x7
	global_load_b128 v[0:3], v165, s[2:3]
	global_load_b128 v[4:7], v[8:9], off offset:-4096
	global_load_b128 v[8:11], v[8:9], off
	global_load_b128 v[12:15], v[16:17], off offset:-4096
	global_load_b128 v[16:19], v[16:17], off
	;; [unrolled: 2-line block ×3, first 2 shown]
	global_load_b128 v[28:31], v[28:29], off
	v_lshrrev_b32_e32 v35, 1, v163
	v_lshrrev_b32_e32 v36, 1, v162
	;; [unrolled: 1-line block ×3, first 2 shown]
	v_and_b32_e32 v33, 0x70, v32
	v_lshrrev_b32_e32 v38, 1, v160
	v_lshrrev_b32_e32 v39, 1, v159
	;; [unrolled: 1-line block ×3, first 2 shown]
	v_and_b32_e32 v34, 0xf0, v34
	v_and_b32_e32 v35, 0x170, v35
	;; [unrolled: 1-line block ×4, first 2 shown]
	v_add_nc_u32_e32 v33, v33, v165
	v_and_b32_e32 v38, 0x2f0, v38
	v_and_b32_e32 v39, 0x370, v39
	;; [unrolled: 1-line block ×3, first 2 shown]
	v_add_nc_u32_e32 v34, v34, v165
	v_add_nc_u32_e32 v35, v35, v165
	;; [unrolled: 1-line block ×4, first 2 shown]
	s_mov_b32 s1, 0
	v_add_nc_u32_e32 v38, v38, v165
	v_add_nc_u32_e32 v39, v39, v165
	;; [unrolled: 1-line block ×3, first 2 shown]
	s_waitcnt vmcnt(7)
	ds_store_b128 v33, v[0:3]
	s_waitcnt vmcnt(6)
	ds_store_b128 v34, v[4:7] offset:4096
	s_waitcnt vmcnt(5)
	ds_store_b128 v35, v[8:11] offset:8192
	;; [unrolled: 2-line block ×7, first 2 shown]
	s_waitcnt lgkmcnt(0)
	s_barrier
.LBB214_6:
	v_cmp_gt_u32_e64 s0, s33, v156
	s_and_not1_b32 vcc_lo, exec_lo, s1
	s_cbranch_vccnz .LBB214_24
; %bb.7:
	v_mov_b32_e32 v0, 0
	global_load_b128 v[0:3], v0, s[2:3]
	s_waitcnt vmcnt(0)
	v_dual_mov_b32 v7, v3 :: v_dual_mov_b32 v6, v2
	v_dual_mov_b32 v5, v1 :: v_dual_mov_b32 v4, v0
	s_and_saveexec_b32 s1, s0
	s_cbranch_execz .LBB214_9
; %bb.8:
	global_load_b128 v[4:7], v165, s[2:3]
.LBB214_9:
	s_or_b32 exec_lo, exec_lo, s1
	v_dual_mov_b32 v11, v3 :: v_dual_mov_b32 v10, v2
	v_dual_mov_b32 v9, v1 :: v_dual_mov_b32 v8, v0
	s_mov_b32 s0, exec_lo
	v_cmpx_gt_u32_e64 s33, v164
	s_cbranch_execz .LBB214_11
; %bb.10:
	v_lshlrev_b32_e32 v8, 4, v164
	global_load_b128 v[8:11], v8, s[2:3]
.LBB214_11:
	s_or_b32 exec_lo, exec_lo, s0
	v_dual_mov_b32 v15, v3 :: v_dual_mov_b32 v14, v2
	v_dual_mov_b32 v13, v1 :: v_dual_mov_b32 v12, v0
	s_mov_b32 s0, exec_lo
	v_cmpx_gt_u32_e64 s33, v163
	s_cbranch_execz .LBB214_13
; %bb.12:
	v_lshlrev_b32_e32 v12, 4, v163
	global_load_b128 v[12:15], v12, s[2:3]
.LBB214_13:
	;; [unrolled: 10-line block ×6, first 2 shown]
	s_or_b32 exec_lo, exec_lo, s0
	s_delay_alu instid0(SALU_CYCLE_1)
	s_mov_b32 s0, exec_lo
	v_cmpx_gt_u32_e64 s33, v158
	s_cbranch_execz .LBB214_23
; %bb.22:
	v_lshlrev_b32_e32 v0, 4, v158
	global_load_b128 v[0:3], v0, s[2:3]
.LBB214_23:
	s_or_b32 exec_lo, exec_lo, s0
	v_lshrrev_b32_e32 v33, 1, v164
	v_and_b32_e32 v32, 0x70, v32
	v_lshrrev_b32_e32 v34, 1, v163
	v_lshrrev_b32_e32 v35, 1, v162
	v_lshrrev_b32_e32 v36, 1, v161
	v_and_b32_e32 v33, 0xf0, v33
	v_add_nc_u32_e32 v32, v32, v165
	v_lshrrev_b32_e32 v37, 1, v160
	v_lshrrev_b32_e32 v38, 1, v159
	v_and_b32_e32 v34, 0x1f0, v34
	v_add_nc_u32_e32 v33, v33, v165
	v_lshrrev_b32_e32 v39, 1, v158
	v_and_b32_e32 v35, 0x1f0, v35
	s_waitcnt vmcnt(0)
	ds_store_b128 v32, v[4:7]
	ds_store_b128 v33, v[8:11] offset:4096
	v_and_b32_e32 v4, 0x3f0, v36
	v_and_b32_e32 v5, 0x3f0, v37
	;; [unrolled: 1-line block ×3, first 2 shown]
	v_add_nc_u32_e32 v34, v34, v165
	v_and_b32_e32 v7, 0x3f0, v39
	v_add_nc_u32_e32 v8, v35, v165
	v_add_nc_u32_e32 v4, v4, v165
	;; [unrolled: 1-line block ×5, first 2 shown]
	ds_store_b128 v34, v[12:15] offset:8192
	ds_store_b128 v8, v[16:19] offset:12288
	;; [unrolled: 1-line block ×6, first 2 shown]
	s_waitcnt lgkmcnt(0)
	s_barrier
.LBB214_24:
	v_lshlrev_b32_e32 v0, 3, v156
	v_lshrrev_b32_e32 v157, 2, v156
	buffer_gl0_inv
	s_cmp_lg_u32 s35, 0
	v_add_lshl_u32 v0, v157, v0, 4
	ds_load_b128 v[40:43], v0
	ds_load_b128 v[92:95], v0 offset:16
	ds_load_b128 v[88:91], v0 offset:32
	ds_load_b128 v[76:79], v0 offset:48
	ds_load_b128 v[72:75], v0 offset:64
	ds_load_b128 v[60:63], v0 offset:80
	ds_load_b128 v[56:59], v0 offset:96
	ds_load_b128 v[44:47], v0 offset:112
	s_waitcnt lgkmcnt(0)
	s_barrier
	buffer_gl0_inv
	s_cbranch_scc0 .LBB214_93
; %bb.25:
	v_dual_mov_b32 v0, v40 :: v_dual_mov_b32 v1, v41
	v_dual_mov_b32 v2, v42 :: v_dual_mov_b32 v3, v43
	;; [unrolled: 1-line block ×4, first 2 shown]
	s_getpc_b64 s[20:21]
	s_add_u32 s20, s20, _ZZZZN2at6native31launch_logcumsumexp_cuda_kernelERKNS_10TensorBaseES3_lENKUlvE_clEvENKUlvE1_clEvENKUlN3c107complexIdEES8_E_clES8_S8_@rel32@lo+4
	s_addc_u32 s21, s21, _ZZZZN2at6native31launch_logcumsumexp_cuda_kernelERKNS_10TensorBaseES3_lENKUlvE_clEvENKUlvE1_clEvENKUlN3c107complexIdEES8_E_clES8_S8_@rel32@hi+12
	s_delay_alu instid0(SALU_CYCLE_1)
	s_swappc_b64 s[30:31], s[20:21]
	v_dual_mov_b32 v4, v88 :: v_dual_mov_b32 v5, v89
	v_dual_mov_b32 v6, v90 :: v_dual_mov_b32 v7, v91
	s_swappc_b64 s[30:31], s[20:21]
	v_dual_mov_b32 v4, v76 :: v_dual_mov_b32 v5, v77
	v_dual_mov_b32 v6, v78 :: v_dual_mov_b32 v7, v79
	;; [unrolled: 3-line block ×7, first 2 shown]
	v_mbcnt_lo_u32_b32 v126, -1, 0
	s_delay_alu instid0(VALU_DEP_3) | instskip(NEXT) | instid1(VALU_DEP_4)
	v_mov_b32_dpp v0, v108 row_shr:1 row_mask:0xf bank_mask:0xf
	v_mov_b32_dpp v1, v109 row_shr:1 row_mask:0xf bank_mask:0xf
	s_delay_alu instid0(VALU_DEP_4) | instskip(SKIP_3) | instid1(VALU_DEP_1)
	v_mov_b32_dpp v2, v110 row_shr:1 row_mask:0xf bank_mask:0xf
	v_mov_b32_dpp v3, v111 row_shr:1 row_mask:0xf bank_mask:0xf
	v_and_b32_e32 v104, 15, v126
	s_mov_b32 s48, exec_lo
	v_cmpx_ne_u32_e32 0, v104
	s_cbranch_execz .LBB214_27
; %bb.26:
	v_dual_mov_b32 v4, v108 :: v_dual_mov_b32 v5, v109
	v_dual_mov_b32 v6, v110 :: v_dual_mov_b32 v7, v111
	s_swappc_b64 s[30:31], s[20:21]
	v_dual_mov_b32 v108, v0 :: v_dual_mov_b32 v109, v1
	v_dual_mov_b32 v110, v2 :: v_dual_mov_b32 v111, v3
.LBB214_27:
	s_or_b32 exec_lo, exec_lo, s48
	s_delay_alu instid0(VALU_DEP_2) | instskip(NEXT) | instid1(VALU_DEP_3)
	v_mov_b32_dpp v0, v108 row_shr:2 row_mask:0xf bank_mask:0xf
	v_mov_b32_dpp v1, v109 row_shr:2 row_mask:0xf bank_mask:0xf
	s_delay_alu instid0(VALU_DEP_3)
	v_mov_b32_dpp v2, v110 row_shr:2 row_mask:0xf bank_mask:0xf
	v_mov_b32_dpp v3, v111 row_shr:2 row_mask:0xf bank_mask:0xf
	s_mov_b32 s20, exec_lo
	v_cmpx_lt_u32_e32 1, v104
	s_cbranch_execz .LBB214_29
; %bb.28:
	v_dual_mov_b32 v4, v108 :: v_dual_mov_b32 v5, v109
	v_dual_mov_b32 v6, v110 :: v_dual_mov_b32 v7, v111
	s_getpc_b64 s[0:1]
	s_add_u32 s0, s0, _ZZZZN2at6native31launch_logcumsumexp_cuda_kernelERKNS_10TensorBaseES3_lENKUlvE_clEvENKUlvE1_clEvENKUlN3c107complexIdEES8_E_clES8_S8_@rel32@lo+4
	s_addc_u32 s1, s1, _ZZZZN2at6native31launch_logcumsumexp_cuda_kernelERKNS_10TensorBaseES3_lENKUlvE_clEvENKUlvE1_clEvENKUlN3c107complexIdEES8_E_clES8_S8_@rel32@hi+12
	s_delay_alu instid0(SALU_CYCLE_1)
	s_swappc_b64 s[30:31], s[0:1]
	v_dual_mov_b32 v108, v0 :: v_dual_mov_b32 v109, v1
	v_dual_mov_b32 v110, v2 :: v_dual_mov_b32 v111, v3
.LBB214_29:
	s_or_b32 exec_lo, exec_lo, s20
	s_delay_alu instid0(VALU_DEP_2) | instskip(NEXT) | instid1(VALU_DEP_3)
	v_mov_b32_dpp v0, v108 row_shr:4 row_mask:0xf bank_mask:0xf
	v_mov_b32_dpp v1, v109 row_shr:4 row_mask:0xf bank_mask:0xf
	s_delay_alu instid0(VALU_DEP_3)
	v_mov_b32_dpp v2, v110 row_shr:4 row_mask:0xf bank_mask:0xf
	v_mov_b32_dpp v3, v111 row_shr:4 row_mask:0xf bank_mask:0xf
	s_mov_b32 s20, exec_lo
	v_cmpx_lt_u32_e32 3, v104
	s_cbranch_execz .LBB214_31
; %bb.30:
	v_dual_mov_b32 v4, v108 :: v_dual_mov_b32 v5, v109
	v_dual_mov_b32 v6, v110 :: v_dual_mov_b32 v7, v111
	s_getpc_b64 s[0:1]
	s_add_u32 s0, s0, _ZZZZN2at6native31launch_logcumsumexp_cuda_kernelERKNS_10TensorBaseES3_lENKUlvE_clEvENKUlvE1_clEvENKUlN3c107complexIdEES8_E_clES8_S8_@rel32@lo+4
	s_addc_u32 s1, s1, _ZZZZN2at6native31launch_logcumsumexp_cuda_kernelERKNS_10TensorBaseES3_lENKUlvE_clEvENKUlvE1_clEvENKUlN3c107complexIdEES8_E_clES8_S8_@rel32@hi+12
	s_delay_alu instid0(SALU_CYCLE_1)
	s_swappc_b64 s[30:31], s[0:1]
	v_dual_mov_b32 v108, v0 :: v_dual_mov_b32 v109, v1
	v_dual_mov_b32 v110, v2 :: v_dual_mov_b32 v111, v3
.LBB214_31:
	;; [unrolled: 21-line block ×3, first 2 shown]
	s_or_b32 exec_lo, exec_lo, s20
	ds_swizzle_b32 v0, v108 offset:swizzle(BROADCAST,32,15)
	ds_swizzle_b32 v1, v109 offset:swizzle(BROADCAST,32,15)
	ds_swizzle_b32 v2, v110 offset:swizzle(BROADCAST,32,15)
	ds_swizzle_b32 v3, v111 offset:swizzle(BROADCAST,32,15)
	v_and_b32_e32 v4, 16, v126
	s_mov_b32 s20, exec_lo
	s_delay_alu instid0(VALU_DEP_1)
	v_cmpx_ne_u32_e32 0, v4
	s_cbranch_execz .LBB214_35
; %bb.34:
	v_dual_mov_b32 v4, v108 :: v_dual_mov_b32 v5, v109
	v_dual_mov_b32 v6, v110 :: v_dual_mov_b32 v7, v111
	s_getpc_b64 s[0:1]
	s_add_u32 s0, s0, _ZZZZN2at6native31launch_logcumsumexp_cuda_kernelERKNS_10TensorBaseES3_lENKUlvE_clEvENKUlvE1_clEvENKUlN3c107complexIdEES8_E_clES8_S8_@rel32@lo+4
	s_addc_u32 s1, s1, _ZZZZN2at6native31launch_logcumsumexp_cuda_kernelERKNS_10TensorBaseES3_lENKUlvE_clEvENKUlvE1_clEvENKUlN3c107complexIdEES8_E_clES8_S8_@rel32@hi+12
	s_delay_alu instid0(SALU_CYCLE_1)
	s_swappc_b64 s[30:31], s[0:1]
	v_dual_mov_b32 v108, v0 :: v_dual_mov_b32 v109, v1
	v_dual_mov_b32 v110, v2 :: v_dual_mov_b32 v111, v3
.LBB214_35:
	s_or_b32 exec_lo, exec_lo, s20
	s_waitcnt lgkmcnt(3)
	v_or_b32_e32 v0, 31, v156
	v_lshrrev_b32_e32 v120, 5, v156
	s_mov_b32 s0, exec_lo
	s_delay_alu instid0(VALU_DEP_2)
	v_cmpx_eq_u32_e64 v0, v156
	s_cbranch_execz .LBB214_37
; %bb.36:
	s_delay_alu instid0(VALU_DEP_2)
	v_lshlrev_b32_e32 v0, 4, v120
	ds_store_b128 v0, v[108:111]
.LBB214_37:
	s_or_b32 exec_lo, exec_lo, s0
	s_delay_alu instid0(SALU_CYCLE_1)
	s_mov_b32 s20, exec_lo
	s_waitcnt lgkmcnt(0)
	s_waitcnt_vscnt null, 0x0
	s_barrier
	buffer_gl0_inv
	v_cmpx_gt_u32_e32 8, v156
	s_cbranch_execz .LBB214_45
; %bb.38:
	ds_load_b128 v[4:7], v165
	v_and_b32_e32 v104, 7, v126
	s_mov_b32 s21, exec_lo
	s_waitcnt lgkmcnt(0)
	v_mov_b32_dpp v0, v4 row_shr:1 row_mask:0xf bank_mask:0xf
	v_mov_b32_dpp v1, v5 row_shr:1 row_mask:0xf bank_mask:0xf
	;; [unrolled: 1-line block ×4, first 2 shown]
	v_cmpx_ne_u32_e32 0, v104
	s_cbranch_execz .LBB214_40
; %bb.39:
	s_getpc_b64 s[0:1]
	s_add_u32 s0, s0, _ZZZZN2at6native31launch_logcumsumexp_cuda_kernelERKNS_10TensorBaseES3_lENKUlvE_clEvENKUlvE1_clEvENKUlN3c107complexIdEES8_E_clES8_S8_@rel32@lo+4
	s_addc_u32 s1, s1, _ZZZZN2at6native31launch_logcumsumexp_cuda_kernelERKNS_10TensorBaseES3_lENKUlvE_clEvENKUlvE1_clEvENKUlN3c107complexIdEES8_E_clES8_S8_@rel32@hi+12
	s_delay_alu instid0(SALU_CYCLE_1)
	s_swappc_b64 s[30:31], s[0:1]
	v_dual_mov_b32 v4, v0 :: v_dual_mov_b32 v5, v1
	v_dual_mov_b32 v6, v2 :: v_dual_mov_b32 v7, v3
.LBB214_40:
	s_or_b32 exec_lo, exec_lo, s21
	s_delay_alu instid0(VALU_DEP_2) | instskip(NEXT) | instid1(VALU_DEP_3)
	v_mov_b32_dpp v0, v4 row_shr:2 row_mask:0xf bank_mask:0xf
	v_mov_b32_dpp v1, v5 row_shr:2 row_mask:0xf bank_mask:0xf
	s_delay_alu instid0(VALU_DEP_3)
	v_mov_b32_dpp v2, v6 row_shr:2 row_mask:0xf bank_mask:0xf
	v_mov_b32_dpp v3, v7 row_shr:2 row_mask:0xf bank_mask:0xf
	s_mov_b32 s21, exec_lo
	v_cmpx_lt_u32_e32 1, v104
	s_cbranch_execz .LBB214_42
; %bb.41:
	s_getpc_b64 s[0:1]
	s_add_u32 s0, s0, _ZZZZN2at6native31launch_logcumsumexp_cuda_kernelERKNS_10TensorBaseES3_lENKUlvE_clEvENKUlvE1_clEvENKUlN3c107complexIdEES8_E_clES8_S8_@rel32@lo+4
	s_addc_u32 s1, s1, _ZZZZN2at6native31launch_logcumsumexp_cuda_kernelERKNS_10TensorBaseES3_lENKUlvE_clEvENKUlvE1_clEvENKUlN3c107complexIdEES8_E_clES8_S8_@rel32@hi+12
	s_delay_alu instid0(SALU_CYCLE_1)
	s_swappc_b64 s[30:31], s[0:1]
	v_dual_mov_b32 v4, v0 :: v_dual_mov_b32 v5, v1
	v_dual_mov_b32 v6, v2 :: v_dual_mov_b32 v7, v3
.LBB214_42:
	s_or_b32 exec_lo, exec_lo, s21
	s_delay_alu instid0(VALU_DEP_2) | instskip(NEXT) | instid1(VALU_DEP_3)
	v_mov_b32_dpp v0, v4 row_shr:4 row_mask:0xf bank_mask:0xf
	v_mov_b32_dpp v1, v5 row_shr:4 row_mask:0xf bank_mask:0xf
	s_delay_alu instid0(VALU_DEP_3)
	v_mov_b32_dpp v2, v6 row_shr:4 row_mask:0xf bank_mask:0xf
	v_mov_b32_dpp v3, v7 row_shr:4 row_mask:0xf bank_mask:0xf
	s_mov_b32 s21, exec_lo
	v_cmpx_lt_u32_e32 3, v104
	s_cbranch_execz .LBB214_44
; %bb.43:
	s_getpc_b64 s[0:1]
	s_add_u32 s0, s0, _ZZZZN2at6native31launch_logcumsumexp_cuda_kernelERKNS_10TensorBaseES3_lENKUlvE_clEvENKUlvE1_clEvENKUlN3c107complexIdEES8_E_clES8_S8_@rel32@lo+4
	s_addc_u32 s1, s1, _ZZZZN2at6native31launch_logcumsumexp_cuda_kernelERKNS_10TensorBaseES3_lENKUlvE_clEvENKUlvE1_clEvENKUlN3c107complexIdEES8_E_clES8_S8_@rel32@hi+12
	s_delay_alu instid0(SALU_CYCLE_1)
	s_swappc_b64 s[30:31], s[0:1]
	v_dual_mov_b32 v4, v0 :: v_dual_mov_b32 v5, v1
	v_dual_mov_b32 v6, v2 :: v_dual_mov_b32 v7, v3
.LBB214_44:
	s_or_b32 exec_lo, exec_lo, s21
	ds_store_b128 v165, v[4:7]
.LBB214_45:
	s_or_b32 exec_lo, exec_lo, s20
	v_mov_b32_e32 v106, 0
	v_mov_b32_e32 v107, 0
	v_cmp_gt_u32_e64 s21, 32, v156
	s_delay_alu instid0(VALU_DEP_3)
	v_mov_b32_e32 v104, v106
	s_mov_b32 s20, exec_lo
	s_waitcnt lgkmcnt(0)
	s_waitcnt_vscnt null, 0x0
	v_mov_b32_e32 v105, v107
	s_barrier
	buffer_gl0_inv
	v_cmpx_lt_u32_e32 31, v156
	s_cbranch_execz .LBB214_47
; %bb.46:
	v_lshl_add_u32 v0, v120, 4, -16
	v_dual_mov_b32 v4, v108 :: v_dual_mov_b32 v5, v109
	s_getpc_b64 s[0:1]
	s_add_u32 s0, s0, _ZZZZN2at6native31launch_logcumsumexp_cuda_kernelERKNS_10TensorBaseES3_lENKUlvE_clEvENKUlvE1_clEvENKUlN3c107complexIdEES8_E_clES8_S8_@rel32@lo+4
	s_addc_u32 s1, s1, _ZZZZN2at6native31launch_logcumsumexp_cuda_kernelERKNS_10TensorBaseES3_lENKUlvE_clEvENKUlvE1_clEvENKUlN3c107complexIdEES8_E_clES8_S8_@rel32@hi+12
	v_mov_b32_e32 v7, v111
	ds_load_b128 v[104:107], v0
	s_waitcnt lgkmcnt(0)
	v_dual_mov_b32 v6, v110 :: v_dual_mov_b32 v1, v105
	v_dual_mov_b32 v0, v104 :: v_dual_mov_b32 v3, v107
	v_mov_b32_e32 v2, v106
	s_swappc_b64 s[30:31], s[0:1]
	s_delay_alu instid0(VALU_DEP_2) | instskip(NEXT) | instid1(VALU_DEP_2)
	v_dual_mov_b32 v108, v0 :: v_dual_mov_b32 v109, v1
	v_dual_mov_b32 v110, v2 :: v_dual_mov_b32 v111, v3
.LBB214_47:
	s_or_b32 exec_lo, exec_lo, s20
	v_add_nc_u32_e32 v0, -1, v126
	v_cmp_eq_u32_e64 s20, 0, v126
	s_delay_alu instid0(VALU_DEP_2) | instskip(SKIP_1) | instid1(VALU_DEP_1)
	v_cmp_gt_i32_e32 vcc_lo, 0, v0
	v_cndmask_b32_e32 v0, v0, v126, vcc_lo
	v_lshlrev_b32_e32 v0, 2, v0
	ds_bpermute_b32 v127, v0, v108
	ds_bpermute_b32 v136, v0, v109
	;; [unrolled: 1-line block ×4, first 2 shown]
	s_and_saveexec_b32 s48, s21
	s_cbranch_execz .LBB214_90
; %bb.48:
	v_mov_b32_e32 v1, 0
	ds_load_b128 v[108:111], v1 offset:112
	s_and_saveexec_b32 s0, s20
	s_cbranch_execz .LBB214_50
; %bb.49:
	s_add_i32 s2, s35, 32
	s_mov_b32 s3, 0
	v_mov_b32_e32 v0, s2
	s_lshl_b64 s[4:5], s[2:3], 4
	v_mov_b32_e32 v2, 1
	s_add_u32 s2, s44, s4
	s_addc_u32 s3, s45, s5
	s_waitcnt lgkmcnt(0)
	global_store_b128 v1, v[108:111], s[2:3]
	s_waitcnt_vscnt null, 0x0
	buffer_gl1_inv
	buffer_gl0_inv
	global_store_b8 v0, v2, s[28:29]
.LBB214_50:
	s_or_b32 exec_lo, exec_lo, s0
	v_xad_u32 v124, v126, -1, s35
	s_mov_b32 s1, 0
	s_mov_b32 s0, exec_lo
	s_delay_alu instid0(VALU_DEP_1)
	v_add_nc_u32_e32 v0, 32, v124
	global_load_u8 v139, v0, s[28:29] glc
	s_waitcnt vmcnt(0)
	v_cmpx_eq_u16_e64 0, v139
	s_cbranch_execz .LBB214_56
; %bb.51:
	v_add_co_u32 v2, s2, s28, v0
	s_delay_alu instid0(VALU_DEP_1)
	v_add_co_ci_u32_e64 v3, null, s29, 0, s2
	s_mov_b32 s2, 1
.LBB214_52:                             ; =>This Loop Header: Depth=1
                                        ;     Child Loop BB214_53 Depth 2
	s_delay_alu instid0(SALU_CYCLE_1)
	s_max_u32 s3, s2, 1
.LBB214_53:                             ;   Parent Loop BB214_52 Depth=1
                                        ; =>  This Inner Loop Header: Depth=2
	s_delay_alu instid0(SALU_CYCLE_1)
	s_add_i32 s3, s3, -1
	s_sleep 1
	s_cmp_eq_u32 s3, 0
	s_cbranch_scc0 .LBB214_53
; %bb.54:                               ;   in Loop: Header=BB214_52 Depth=1
	global_load_u8 v139, v[2:3], off glc
	s_cmp_lt_u32 s2, 32
	s_cselect_b32 s3, -1, 0
	s_delay_alu instid0(SALU_CYCLE_1) | instskip(SKIP_3) | instid1(VALU_DEP_1)
	s_cmp_lg_u32 s3, 0
	s_addc_u32 s2, s2, 0
	s_waitcnt vmcnt(0)
	v_cmp_ne_u16_e64 vcc_lo, 0, v139
	s_or_b32 s1, vcc_lo, s1
	s_delay_alu instid0(SALU_CYCLE_1)
	s_and_not1_b32 exec_lo, exec_lo, s1
	s_cbranch_execnz .LBB214_52
; %bb.55:
	s_or_b32 exec_lo, exec_lo, s1
.LBB214_56:
	s_delay_alu instid0(SALU_CYCLE_1)
	s_or_b32 exec_lo, exec_lo, s0
	v_dual_mov_b32 v2, s45 :: v_dual_mov_b32 v3, s44
	v_cmp_eq_u16_e64 vcc_lo, 1, v139
	v_lshlrev_b64 v[0:1], 4, v[0:1]
	s_waitcnt lgkmcnt(0)
	s_waitcnt_vscnt null, 0x0
	buffer_gl1_inv
	buffer_gl0_inv
	v_lshlrev_b32_e64 v141, v126, -1
	s_mov_b32 s21, exec_lo
	v_cndmask_b32_e32 v3, s46, v3, vcc_lo
	v_cndmask_b32_e32 v2, s47, v2, vcc_lo
	s_delay_alu instid0(VALU_DEP_2) | instskip(NEXT) | instid1(VALU_DEP_2)
	v_add_co_u32 v0, vcc_lo, v3, v0
	v_add_co_ci_u32_e32 v1, vcc_lo, v2, v1, vcc_lo
	v_cmp_ne_u32_e32 vcc_lo, 31, v126
	global_load_b128 v[4:7], v[0:1], off
	v_add_co_ci_u32_e32 v0, vcc_lo, 0, v126, vcc_lo
	v_cmp_eq_u16_e64 vcc_lo, 2, v139
	s_delay_alu instid0(VALU_DEP_2) | instskip(NEXT) | instid1(VALU_DEP_2)
	v_lshlrev_b32_e32 v140, 2, v0
	v_and_or_b32 v8, vcc_lo, v141, 0x80000000
	s_delay_alu instid0(VALU_DEP_1)
	v_ctz_i32_b32_e32 v120, v8
	s_waitcnt vmcnt(0)
	ds_bpermute_b32 v0, v140, v4
	ds_bpermute_b32 v1, v140, v5
	;; [unrolled: 1-line block ×4, first 2 shown]
	v_cmpx_lt_u32_e64 v126, v120
	s_cbranch_execz .LBB214_58
; %bb.57:
	s_getpc_b64 s[0:1]
	s_add_u32 s0, s0, _ZZZZN2at6native31launch_logcumsumexp_cuda_kernelERKNS_10TensorBaseES3_lENKUlvE_clEvENKUlvE1_clEvENKUlN3c107complexIdEES8_E_clES8_S8_@rel32@lo+4
	s_addc_u32 s1, s1, _ZZZZN2at6native31launch_logcumsumexp_cuda_kernelERKNS_10TensorBaseES3_lENKUlvE_clEvENKUlvE1_clEvENKUlN3c107complexIdEES8_E_clES8_S8_@rel32@hi+12
	s_delay_alu instid0(SALU_CYCLE_1)
	s_swappc_b64 s[30:31], s[0:1]
	v_dual_mov_b32 v4, v0 :: v_dual_mov_b32 v5, v1
	v_dual_mov_b32 v6, v2 :: v_dual_mov_b32 v7, v3
.LBB214_58:
	s_or_b32 exec_lo, exec_lo, s21
	v_cmp_gt_u32_e32 vcc_lo, 30, v126
	v_add_nc_u32_e32 v143, 2, v126
	s_mov_b32 s21, exec_lo
	s_waitcnt lgkmcnt(3)
	v_cndmask_b32_e64 v0, 0, 1, vcc_lo
	s_delay_alu instid0(VALU_DEP_1) | instskip(NEXT) | instid1(VALU_DEP_1)
	v_lshlrev_b32_e32 v0, 1, v0
	v_add_lshl_u32 v142, v0, v126, 2
	ds_bpermute_b32 v0, v142, v4
	s_waitcnt lgkmcnt(3)
	ds_bpermute_b32 v1, v142, v5
	s_waitcnt lgkmcnt(3)
	ds_bpermute_b32 v2, v142, v6
	s_waitcnt lgkmcnt(3)
	ds_bpermute_b32 v3, v142, v7
	v_cmpx_le_u32_e64 v143, v120
	s_cbranch_execz .LBB214_60
; %bb.59:
	s_getpc_b64 s[0:1]
	s_add_u32 s0, s0, _ZZZZN2at6native31launch_logcumsumexp_cuda_kernelERKNS_10TensorBaseES3_lENKUlvE_clEvENKUlvE1_clEvENKUlN3c107complexIdEES8_E_clES8_S8_@rel32@lo+4
	s_addc_u32 s1, s1, _ZZZZN2at6native31launch_logcumsumexp_cuda_kernelERKNS_10TensorBaseES3_lENKUlvE_clEvENKUlvE1_clEvENKUlN3c107complexIdEES8_E_clES8_S8_@rel32@hi+12
	s_delay_alu instid0(SALU_CYCLE_1)
	s_swappc_b64 s[30:31], s[0:1]
	v_dual_mov_b32 v4, v0 :: v_dual_mov_b32 v5, v1
	v_dual_mov_b32 v6, v2 :: v_dual_mov_b32 v7, v3
.LBB214_60:
	s_or_b32 exec_lo, exec_lo, s21
	v_cmp_gt_u32_e32 vcc_lo, 28, v126
	v_add_nc_u32_e32 v145, 4, v126
	s_mov_b32 s21, exec_lo
	s_waitcnt lgkmcnt(3)
	v_cndmask_b32_e64 v0, 0, 1, vcc_lo
	s_delay_alu instid0(VALU_DEP_1) | instskip(NEXT) | instid1(VALU_DEP_1)
	v_lshlrev_b32_e32 v0, 2, v0
	v_add_lshl_u32 v144, v0, v126, 2
	ds_bpermute_b32 v0, v144, v4
	s_waitcnt lgkmcnt(3)
	ds_bpermute_b32 v1, v144, v5
	s_waitcnt lgkmcnt(3)
	ds_bpermute_b32 v2, v144, v6
	s_waitcnt lgkmcnt(3)
	ds_bpermute_b32 v3, v144, v7
	v_cmpx_le_u32_e64 v145, v120
	;; [unrolled: 27-line block ×4, first 2 shown]
	s_cbranch_execz .LBB214_66
; %bb.65:
	s_getpc_b64 s[0:1]
	s_add_u32 s0, s0, _ZZZZN2at6native31launch_logcumsumexp_cuda_kernelERKNS_10TensorBaseES3_lENKUlvE_clEvENKUlvE1_clEvENKUlN3c107complexIdEES8_E_clES8_S8_@rel32@lo+4
	s_addc_u32 s1, s1, _ZZZZN2at6native31launch_logcumsumexp_cuda_kernelERKNS_10TensorBaseES3_lENKUlvE_clEvENKUlvE1_clEvENKUlN3c107complexIdEES8_E_clES8_S8_@rel32@hi+12
	s_delay_alu instid0(SALU_CYCLE_1)
	s_swappc_b64 s[30:31], s[0:1]
	v_dual_mov_b32 v4, v0 :: v_dual_mov_b32 v5, v1
	v_dual_mov_b32 v6, v2 :: v_dual_mov_b32 v7, v3
.LBB214_66:
	s_or_b32 exec_lo, exec_lo, s21
	v_mov_b32_e32 v125, 0
	s_branch .LBB214_68
.LBB214_67:                             ;   in Loop: Header=BB214_68 Depth=1
	s_or_b32 exec_lo, exec_lo, s21
	s_waitcnt lgkmcnt(2)
	v_dual_mov_b32 v0, v4 :: v_dual_mov_b32 v1, v5
	s_waitcnt lgkmcnt(0)
	v_dual_mov_b32 v2, v6 :: v_dual_mov_b32 v3, v7
	v_dual_mov_b32 v4, v120 :: v_dual_mov_b32 v5, v121
	;; [unrolled: 1-line block ×3, first 2 shown]
	v_subrev_nc_u32_e32 v124, 32, v124
	s_getpc_b64 s[0:1]
	s_add_u32 s0, s0, _ZZZZN2at6native31launch_logcumsumexp_cuda_kernelERKNS_10TensorBaseES3_lENKUlvE_clEvENKUlvE1_clEvENKUlN3c107complexIdEES8_E_clES8_S8_@rel32@lo+4
	s_addc_u32 s1, s1, _ZZZZN2at6native31launch_logcumsumexp_cuda_kernelERKNS_10TensorBaseES3_lENKUlvE_clEvENKUlvE1_clEvENKUlN3c107complexIdEES8_E_clES8_S8_@rel32@hi+12
	s_delay_alu instid0(SALU_CYCLE_1)
	s_swappc_b64 s[30:31], s[0:1]
	v_dual_mov_b32 v4, v0 :: v_dual_mov_b32 v5, v1
	v_dual_mov_b32 v6, v2 :: v_dual_mov_b32 v7, v3
.LBB214_68:                             ; =>This Loop Header: Depth=1
                                        ;     Child Loop BB214_71 Depth 2
                                        ;       Child Loop BB214_72 Depth 3
	s_waitcnt lgkmcnt(3)
	s_delay_alu instid0(VALU_DEP_1) | instskip(NEXT) | instid1(VALU_DEP_2)
	v_dual_mov_b32 v123, v7 :: v_dual_and_b32 v0, 0xff, v139
	v_dual_mov_b32 v122, v6 :: v_dual_mov_b32 v121, v5
	v_mov_b32_e32 v120, v4
	s_delay_alu instid0(VALU_DEP_3) | instskip(SKIP_2) | instid1(VALU_DEP_1)
	v_cmp_ne_u16_e32 vcc_lo, 2, v0
	v_cndmask_b32_e64 v0, 0, 1, vcc_lo
	;;#ASMSTART
	;;#ASMEND
	v_cmp_ne_u32_e32 vcc_lo, 0, v0
	s_cmp_lg_u32 vcc_lo, exec_lo
	s_cbranch_scc1 .LBB214_85
; %bb.69:                               ;   in Loop: Header=BB214_68 Depth=1
	global_load_u8 v139, v124, s[28:29] glc
	s_mov_b32 s0, exec_lo
	s_waitcnt vmcnt(0)
	v_cmpx_eq_u16_e64 0, v139
	s_cbranch_execz .LBB214_75
; %bb.70:                               ;   in Loop: Header=BB214_68 Depth=1
	v_add_co_u32 v0, s1, s28, v124
	s_waitcnt lgkmcnt(2)
	v_add_co_ci_u32_e64 v1, null, s29, 0, s1
	s_mov_b32 s2, 1
	s_mov_b32 s1, 0
.LBB214_71:                             ;   Parent Loop BB214_68 Depth=1
                                        ; =>  This Loop Header: Depth=2
                                        ;       Child Loop BB214_72 Depth 3
	s_max_u32 s3, s2, 1
.LBB214_72:                             ;   Parent Loop BB214_68 Depth=1
                                        ;     Parent Loop BB214_71 Depth=2
                                        ; =>    This Inner Loop Header: Depth=3
	s_delay_alu instid0(SALU_CYCLE_1)
	s_add_i32 s3, s3, -1
	s_sleep 1
	s_cmp_eq_u32 s3, 0
	s_cbranch_scc0 .LBB214_72
; %bb.73:                               ;   in Loop: Header=BB214_71 Depth=2
	global_load_u8 v139, v[0:1], off glc
	s_cmp_lt_u32 s2, 32
	s_cselect_b32 s3, -1, 0
	s_delay_alu instid0(SALU_CYCLE_1) | instskip(SKIP_3) | instid1(VALU_DEP_1)
	s_cmp_lg_u32 s3, 0
	s_addc_u32 s2, s2, 0
	s_waitcnt vmcnt(0)
	v_cmp_ne_u16_e64 vcc_lo, 0, v139
	s_or_b32 s1, vcc_lo, s1
	s_delay_alu instid0(SALU_CYCLE_1)
	s_and_not1_b32 exec_lo, exec_lo, s1
	s_cbranch_execnz .LBB214_71
; %bb.74:                               ;   in Loop: Header=BB214_68 Depth=1
	s_or_b32 exec_lo, exec_lo, s1
.LBB214_75:                             ;   in Loop: Header=BB214_68 Depth=1
	s_delay_alu instid0(SALU_CYCLE_1)
	s_or_b32 exec_lo, exec_lo, s0
	s_waitcnt lgkmcnt(0)
	v_dual_mov_b32 v2, s45 :: v_dual_mov_b32 v3, s44
	v_cmp_eq_u16_e64 vcc_lo, 1, v139
	v_lshlrev_b64 v[0:1], 4, v[124:125]
	s_waitcnt_vscnt null, 0x0
	buffer_gl1_inv
	buffer_gl0_inv
	s_mov_b32 s21, exec_lo
	v_cndmask_b32_e32 v3, s46, v3, vcc_lo
	v_cndmask_b32_e32 v2, s47, v2, vcc_lo
	s_delay_alu instid0(VALU_DEP_2) | instskip(NEXT) | instid1(VALU_DEP_2)
	v_add_co_u32 v0, vcc_lo, v3, v0
	v_add_co_ci_u32_e32 v1, vcc_lo, v2, v1, vcc_lo
	v_cmp_eq_u16_e64 vcc_lo, 2, v139
	global_load_b128 v[4:7], v[0:1], off
	v_and_or_b32 v8, vcc_lo, v141, 0x80000000
	s_delay_alu instid0(VALU_DEP_1)
	v_ctz_i32_b32_e32 v150, v8
	s_waitcnt vmcnt(0)
	ds_bpermute_b32 v0, v140, v4
	ds_bpermute_b32 v1, v140, v5
	;; [unrolled: 1-line block ×4, first 2 shown]
	v_cmpx_lt_u32_e64 v126, v150
	s_cbranch_execz .LBB214_77
; %bb.76:                               ;   in Loop: Header=BB214_68 Depth=1
	s_getpc_b64 s[0:1]
	s_add_u32 s0, s0, _ZZZZN2at6native31launch_logcumsumexp_cuda_kernelERKNS_10TensorBaseES3_lENKUlvE_clEvENKUlvE1_clEvENKUlN3c107complexIdEES8_E_clES8_S8_@rel32@lo+4
	s_addc_u32 s1, s1, _ZZZZN2at6native31launch_logcumsumexp_cuda_kernelERKNS_10TensorBaseES3_lENKUlvE_clEvENKUlvE1_clEvENKUlN3c107complexIdEES8_E_clES8_S8_@rel32@hi+12
	s_delay_alu instid0(SALU_CYCLE_1)
	s_swappc_b64 s[30:31], s[0:1]
	v_dual_mov_b32 v4, v0 :: v_dual_mov_b32 v5, v1
	v_dual_mov_b32 v6, v2 :: v_dual_mov_b32 v7, v3
.LBB214_77:                             ;   in Loop: Header=BB214_68 Depth=1
	s_or_b32 exec_lo, exec_lo, s21
	s_waitcnt lgkmcnt(3)
	ds_bpermute_b32 v0, v142, v4
	s_waitcnt lgkmcnt(3)
	ds_bpermute_b32 v1, v142, v5
	s_waitcnt lgkmcnt(3)
	ds_bpermute_b32 v2, v142, v6
	s_waitcnt lgkmcnt(3)
	ds_bpermute_b32 v3, v142, v7
	s_mov_b32 s21, exec_lo
	v_cmpx_le_u32_e64 v143, v150
	s_cbranch_execz .LBB214_79
; %bb.78:                               ;   in Loop: Header=BB214_68 Depth=1
	s_getpc_b64 s[0:1]
	s_add_u32 s0, s0, _ZZZZN2at6native31launch_logcumsumexp_cuda_kernelERKNS_10TensorBaseES3_lENKUlvE_clEvENKUlvE1_clEvENKUlN3c107complexIdEES8_E_clES8_S8_@rel32@lo+4
	s_addc_u32 s1, s1, _ZZZZN2at6native31launch_logcumsumexp_cuda_kernelERKNS_10TensorBaseES3_lENKUlvE_clEvENKUlvE1_clEvENKUlN3c107complexIdEES8_E_clES8_S8_@rel32@hi+12
	s_delay_alu instid0(SALU_CYCLE_1)
	s_swappc_b64 s[30:31], s[0:1]
	v_dual_mov_b32 v4, v0 :: v_dual_mov_b32 v5, v1
	v_dual_mov_b32 v6, v2 :: v_dual_mov_b32 v7, v3
.LBB214_79:                             ;   in Loop: Header=BB214_68 Depth=1
	s_or_b32 exec_lo, exec_lo, s21
	s_waitcnt lgkmcnt(3)
	ds_bpermute_b32 v0, v144, v4
	s_waitcnt lgkmcnt(3)
	ds_bpermute_b32 v1, v144, v5
	s_waitcnt lgkmcnt(3)
	ds_bpermute_b32 v2, v144, v6
	s_waitcnt lgkmcnt(3)
	ds_bpermute_b32 v3, v144, v7
	s_mov_b32 s21, exec_lo
	v_cmpx_le_u32_e64 v145, v150
	;; [unrolled: 21-line block ×4, first 2 shown]
	s_cbranch_execz .LBB214_67
; %bb.84:                               ;   in Loop: Header=BB214_68 Depth=1
	s_getpc_b64 s[0:1]
	s_add_u32 s0, s0, _ZZZZN2at6native31launch_logcumsumexp_cuda_kernelERKNS_10TensorBaseES3_lENKUlvE_clEvENKUlvE1_clEvENKUlN3c107complexIdEES8_E_clES8_S8_@rel32@lo+4
	s_addc_u32 s1, s1, _ZZZZN2at6native31launch_logcumsumexp_cuda_kernelERKNS_10TensorBaseES3_lENKUlvE_clEvENKUlvE1_clEvENKUlN3c107complexIdEES8_E_clES8_S8_@rel32@hi+12
	s_delay_alu instid0(SALU_CYCLE_1)
	s_swappc_b64 s[30:31], s[0:1]
	v_dual_mov_b32 v4, v0 :: v_dual_mov_b32 v5, v1
	v_dual_mov_b32 v6, v2 :: v_dual_mov_b32 v7, v3
	s_branch .LBB214_67
.LBB214_85:                             ;   in Loop: Header=BB214_68 Depth=1
                                        ; implicit-def: $vgpr6_vgpr7
                                        ; implicit-def: $vgpr139
	s_cbranch_execz .LBB214_68
; %bb.86:
	s_and_saveexec_b32 s21, s20
	s_cbranch_execz .LBB214_88
; %bb.87:
	s_waitcnt lgkmcnt(2)
	v_dual_mov_b32 v0, v120 :: v_dual_mov_b32 v1, v121
	s_waitcnt lgkmcnt(0)
	v_dual_mov_b32 v2, v122 :: v_dual_mov_b32 v3, v123
	v_dual_mov_b32 v4, v108 :: v_dual_mov_b32 v5, v109
	;; [unrolled: 1-line block ×3, first 2 shown]
	s_getpc_b64 s[0:1]
	s_add_u32 s0, s0, _ZZZZN2at6native31launch_logcumsumexp_cuda_kernelERKNS_10TensorBaseES3_lENKUlvE_clEvENKUlvE1_clEvENKUlN3c107complexIdEES8_E_clES8_S8_@rel32@lo+4
	s_addc_u32 s1, s1, _ZZZZN2at6native31launch_logcumsumexp_cuda_kernelERKNS_10TensorBaseES3_lENKUlvE_clEvENKUlvE1_clEvENKUlN3c107complexIdEES8_E_clES8_S8_@rel32@hi+12
	s_delay_alu instid0(SALU_CYCLE_1)
	s_swappc_b64 s[30:31], s[0:1]
	s_add_i32 s0, s35, 32
	s_mov_b32 s1, 0
	v_dual_mov_b32 v4, 0 :: v_dual_mov_b32 v5, s0
	s_lshl_b64 s[2:3], s[0:1], 4
	v_mov_b32_e32 v6, 2
	s_add_u32 s2, s46, s2
	s_addc_u32 s3, s47, s3
	global_store_b128 v4, v[0:3], s[2:3]
	s_waitcnt_vscnt null, 0x0
	buffer_gl1_inv
	buffer_gl0_inv
	global_store_b8 v5, v6, s[28:29]
.LBB214_88:
	s_or_b32 exec_lo, exec_lo, s21
	s_delay_alu instid0(SALU_CYCLE_1)
	s_and_b32 exec_lo, exec_lo, s19
	s_cbranch_execz .LBB214_90
; %bb.89:
	v_mov_b32_e32 v0, 0
	ds_store_b128 v0, v[120:123] offset:112
.LBB214_90:
	s_or_b32 exec_lo, exec_lo, s48
	v_mov_b32_e32 v0, 0
	v_mov_b32_e32 v6, v42
	s_waitcnt lgkmcnt(0)
	s_waitcnt_vscnt null, 0x0
	s_barrier
	buffer_gl0_inv
	v_mov_b32_e32 v7, v43
	ds_load_b128 v[108:111], v0 offset:112
	v_dual_mov_b32 v4, v40 :: v_dual_mov_b32 v5, v41
	s_and_saveexec_b32 s21, s18
	s_cbranch_execz .LBB214_92
; %bb.91:
	v_cndmask_b32_e64 v2, v138, v106, s20
	v_cndmask_b32_e64 v0, v127, v104, s20
	;; [unrolled: 1-line block ×4, first 2 shown]
	v_dual_mov_b32 v4, v40 :: v_dual_mov_b32 v5, v41
	v_dual_mov_b32 v6, v42 :: v_dual_mov_b32 v7, v43
	s_getpc_b64 s[0:1]
	s_add_u32 s0, s0, _ZZZZN2at6native31launch_logcumsumexp_cuda_kernelERKNS_10TensorBaseES3_lENKUlvE_clEvENKUlvE1_clEvENKUlN3c107complexIdEES8_E_clES8_S8_@rel32@lo+4
	s_addc_u32 s1, s1, _ZZZZN2at6native31launch_logcumsumexp_cuda_kernelERKNS_10TensorBaseES3_lENKUlvE_clEvENKUlvE1_clEvENKUlN3c107complexIdEES8_E_clES8_S8_@rel32@hi+12
	s_delay_alu instid0(SALU_CYCLE_1)
	s_swappc_b64 s[30:31], s[0:1]
	v_dual_mov_b32 v4, v0 :: v_dual_mov_b32 v5, v1
	v_dual_mov_b32 v6, v2 :: v_dual_mov_b32 v7, v3
.LBB214_92:
	s_or_b32 exec_lo, exec_lo, s21
	s_waitcnt lgkmcnt(0)
	v_dual_mov_b32 v0, v108 :: v_dual_mov_b32 v1, v109
	v_dual_mov_b32 v2, v110 :: v_dual_mov_b32 v3, v111
	s_getpc_b64 s[20:21]
	s_add_u32 s20, s20, _ZZZZN2at6native31launch_logcumsumexp_cuda_kernelERKNS_10TensorBaseES3_lENKUlvE_clEvENKUlvE1_clEvENKUlN3c107complexIdEES8_E_clES8_S8_@rel32@lo+4
	s_addc_u32 s21, s21, _ZZZZN2at6native31launch_logcumsumexp_cuda_kernelERKNS_10TensorBaseES3_lENKUlvE_clEvENKUlvE1_clEvENKUlN3c107complexIdEES8_E_clES8_S8_@rel32@hi+12
	s_delay_alu instid0(SALU_CYCLE_1)
	s_swappc_b64 s[30:31], s[20:21]
	v_dual_mov_b32 v4, v92 :: v_dual_mov_b32 v5, v93
	v_dual_mov_b32 v6, v94 :: v_dual_mov_b32 v7, v95
	v_dual_mov_b32 v148, v0 :: v_dual_mov_b32 v149, v1
	v_dual_mov_b32 v150, v2 :: v_dual_mov_b32 v151, v3
	s_swappc_b64 s[30:31], s[20:21]
	v_dual_mov_b32 v4, v88 :: v_dual_mov_b32 v5, v89
	v_dual_mov_b32 v6, v90 :: v_dual_mov_b32 v7, v91
	v_dual_mov_b32 v104, v0 :: v_dual_mov_b32 v105, v1
	v_dual_mov_b32 v106, v2 :: v_dual_mov_b32 v107, v3
	;; [unrolled: 5-line block ×7, first 2 shown]
	s_swappc_b64 s[30:31], s[20:21]
	v_dual_mov_b32 v144, v0 :: v_dual_mov_b32 v145, v1
	v_dual_mov_b32 v146, v2 :: v_dual_mov_b32 v147, v3
	s_branch .LBB214_123
.LBB214_93:
                                        ; implicit-def: $vgpr148_vgpr149
                                        ; implicit-def: $vgpr104_vgpr105
                                        ; implicit-def: $vgpr108_vgpr109
                                        ; implicit-def: $vgpr120_vgpr121
                                        ; implicit-def: $vgpr124_vgpr125
                                        ; implicit-def: $vgpr136_vgpr137
                                        ; implicit-def: $vgpr140_vgpr141
                                        ; implicit-def: $vgpr144_vgpr145
	s_cbranch_execz .LBB214_123
; %bb.94:
	s_cmp_lg_u64 s[40:41], 0
	s_cselect_b32 s0, -1, 0
	s_delay_alu instid0(SALU_CYCLE_1) | instskip(NEXT) | instid1(SALU_CYCLE_1)
	s_and_b32 s0, s19, s0
	s_and_saveexec_b32 s19, s0
	s_cbranch_execz .LBB214_96
; %bb.95:
	v_dual_mov_b32 v0, 0 :: v_dual_mov_b32 v5, v41
	v_dual_mov_b32 v4, v40 :: v_dual_mov_b32 v7, v43
	v_mov_b32_e32 v6, v42
	global_load_b128 v[0:3], v0, s[36:37]
	s_getpc_b64 s[0:1]
	s_add_u32 s0, s0, _ZZZZN2at6native31launch_logcumsumexp_cuda_kernelERKNS_10TensorBaseES3_lENKUlvE_clEvENKUlvE1_clEvENKUlN3c107complexIdEES8_E_clES8_S8_@rel32@lo+4
	s_addc_u32 s1, s1, _ZZZZN2at6native31launch_logcumsumexp_cuda_kernelERKNS_10TensorBaseES3_lENKUlvE_clEvENKUlvE1_clEvENKUlN3c107complexIdEES8_E_clES8_S8_@rel32@hi+12
	s_delay_alu instid0(SALU_CYCLE_1)
	s_swappc_b64 s[30:31], s[0:1]
	v_dual_mov_b32 v40, v0 :: v_dual_mov_b32 v41, v1
	v_dual_mov_b32 v42, v2 :: v_dual_mov_b32 v43, v3
.LBB214_96:
	s_or_b32 exec_lo, exec_lo, s19
	s_delay_alu instid0(VALU_DEP_2) | instskip(NEXT) | instid1(VALU_DEP_2)
	v_dual_mov_b32 v0, v40 :: v_dual_mov_b32 v1, v41
	v_dual_mov_b32 v2, v42 :: v_dual_mov_b32 v3, v43
	;; [unrolled: 1-line block ×4, first 2 shown]
	s_getpc_b64 s[20:21]
	s_add_u32 s20, s20, _ZZZZN2at6native31launch_logcumsumexp_cuda_kernelERKNS_10TensorBaseES3_lENKUlvE_clEvENKUlvE1_clEvENKUlN3c107complexIdEES8_E_clES8_S8_@rel32@lo+4
	s_addc_u32 s21, s21, _ZZZZN2at6native31launch_logcumsumexp_cuda_kernelERKNS_10TensorBaseES3_lENKUlvE_clEvENKUlvE1_clEvENKUlN3c107complexIdEES8_E_clES8_S8_@rel32@hi+12
	s_delay_alu instid0(SALU_CYCLE_1)
	s_swappc_b64 s[30:31], s[20:21]
	v_dual_mov_b32 v4, v88 :: v_dual_mov_b32 v5, v89
	v_dual_mov_b32 v6, v90 :: v_dual_mov_b32 v7, v91
	v_dual_mov_b32 v104, v0 :: v_dual_mov_b32 v105, v1
	v_dual_mov_b32 v106, v2 :: v_dual_mov_b32 v107, v3
	s_swappc_b64 s[30:31], s[20:21]
	v_dual_mov_b32 v4, v76 :: v_dual_mov_b32 v5, v77
	v_dual_mov_b32 v6, v78 :: v_dual_mov_b32 v7, v79
	v_dual_mov_b32 v108, v0 :: v_dual_mov_b32 v109, v1
	v_dual_mov_b32 v110, v2 :: v_dual_mov_b32 v111, v3
	s_swappc_b64 s[30:31], s[20:21]
	v_dual_mov_b32 v4, v72 :: v_dual_mov_b32 v5, v73
	v_dual_mov_b32 v6, v74 :: v_dual_mov_b32 v7, v75
	v_dual_mov_b32 v120, v0 :: v_dual_mov_b32 v121, v1
	v_dual_mov_b32 v122, v2 :: v_dual_mov_b32 v123, v3
	s_swappc_b64 s[30:31], s[20:21]
	v_dual_mov_b32 v4, v60 :: v_dual_mov_b32 v5, v61
	v_dual_mov_b32 v6, v62 :: v_dual_mov_b32 v7, v63
	v_dual_mov_b32 v124, v0 :: v_dual_mov_b32 v125, v1
	v_dual_mov_b32 v126, v2 :: v_dual_mov_b32 v127, v3
	s_swappc_b64 s[30:31], s[20:21]
	v_dual_mov_b32 v4, v56 :: v_dual_mov_b32 v5, v57
	v_dual_mov_b32 v6, v58 :: v_dual_mov_b32 v7, v59
	v_dual_mov_b32 v136, v0 :: v_dual_mov_b32 v137, v1
	v_dual_mov_b32 v138, v2 :: v_dual_mov_b32 v139, v3
	s_swappc_b64 s[30:31], s[20:21]
	v_dual_mov_b32 v4, v44 :: v_dual_mov_b32 v5, v45
	v_dual_mov_b32 v6, v46 :: v_dual_mov_b32 v7, v47
	v_dual_mov_b32 v140, v0 :: v_dual_mov_b32 v141, v1
	v_dual_mov_b32 v142, v2 :: v_dual_mov_b32 v143, v3
	s_swappc_b64 s[30:31], s[20:21]
	v_dual_mov_b32 v146, v2 :: v_dual_mov_b32 v147, v3
	v_mbcnt_lo_u32_b32 v166, -1, 0
	v_dual_mov_b32 v144, v0 :: v_dual_mov_b32 v145, v1
	s_delay_alu instid0(VALU_DEP_3) | instskip(NEXT) | instid1(VALU_DEP_3)
	v_mov_b32_dpp v6, v146 row_shr:1 row_mask:0xf bank_mask:0xf
	v_dual_mov_b32 v151, v147 :: v_dual_and_b32 v152, 15, v166
	s_delay_alu instid0(VALU_DEP_3) | instskip(NEXT) | instid1(VALU_DEP_4)
	v_dual_mov_b32 v150, v146 :: v_dual_mov_b32 v149, v145
	v_mov_b32_dpp v4, v144 row_shr:1 row_mask:0xf bank_mask:0xf
	v_mov_b32_dpp v5, v145 row_shr:1 row_mask:0xf bank_mask:0xf
	;; [unrolled: 1-line block ×3, first 2 shown]
	v_mov_b32_e32 v148, v144
	s_mov_b32 s19, exec_lo
	v_cmpx_ne_u32_e32 0, v152
	s_cbranch_execz .LBB214_98
; %bb.97:
	v_dual_mov_b32 v0, v4 :: v_dual_mov_b32 v1, v5
	v_dual_mov_b32 v2, v6 :: v_dual_mov_b32 v3, v7
	v_dual_mov_b32 v4, v144 :: v_dual_mov_b32 v5, v145
	v_dual_mov_b32 v6, v146 :: v_dual_mov_b32 v7, v147
	s_swappc_b64 s[30:31], s[20:21]
	v_dual_mov_b32 v148, v0 :: v_dual_mov_b32 v149, v1
	v_dual_mov_b32 v150, v2 :: v_dual_mov_b32 v151, v3
.LBB214_98:
	s_or_b32 exec_lo, exec_lo, s19
	v_mov_b32_dpp v4, v0 row_shr:2 row_mask:0xf bank_mask:0xf
	v_mov_b32_dpp v5, v1 row_shr:2 row_mask:0xf bank_mask:0xf
	v_mov_b32_dpp v6, v2 row_shr:2 row_mask:0xf bank_mask:0xf
	v_mov_b32_dpp v7, v3 row_shr:2 row_mask:0xf bank_mask:0xf
	s_mov_b32 s19, exec_lo
	v_cmpx_lt_u32_e32 1, v152
	s_cbranch_execz .LBB214_100
; %bb.99:
	v_dual_mov_b32 v0, v4 :: v_dual_mov_b32 v1, v5
	v_dual_mov_b32 v2, v6 :: v_dual_mov_b32 v3, v7
	v_dual_mov_b32 v4, v148 :: v_dual_mov_b32 v5, v149
	v_dual_mov_b32 v6, v150 :: v_dual_mov_b32 v7, v151
	s_getpc_b64 s[0:1]
	s_add_u32 s0, s0, _ZZZZN2at6native31launch_logcumsumexp_cuda_kernelERKNS_10TensorBaseES3_lENKUlvE_clEvENKUlvE1_clEvENKUlN3c107complexIdEES8_E_clES8_S8_@rel32@lo+4
	s_addc_u32 s1, s1, _ZZZZN2at6native31launch_logcumsumexp_cuda_kernelERKNS_10TensorBaseES3_lENKUlvE_clEvENKUlvE1_clEvENKUlN3c107complexIdEES8_E_clES8_S8_@rel32@hi+12
	s_delay_alu instid0(SALU_CYCLE_1)
	s_swappc_b64 s[30:31], s[0:1]
	v_dual_mov_b32 v151, v3 :: v_dual_mov_b32 v150, v2
	v_dual_mov_b32 v149, v1 :: v_dual_mov_b32 v148, v0
.LBB214_100:
	s_or_b32 exec_lo, exec_lo, s19
	v_mov_b32_dpp v4, v0 row_shr:4 row_mask:0xf bank_mask:0xf
	v_mov_b32_dpp v5, v1 row_shr:4 row_mask:0xf bank_mask:0xf
	v_mov_b32_dpp v6, v2 row_shr:4 row_mask:0xf bank_mask:0xf
	v_mov_b32_dpp v7, v3 row_shr:4 row_mask:0xf bank_mask:0xf
	s_mov_b32 s19, exec_lo
	v_cmpx_lt_u32_e32 3, v152
	s_cbranch_execz .LBB214_102
; %bb.101:
	v_dual_mov_b32 v0, v4 :: v_dual_mov_b32 v1, v5
	v_dual_mov_b32 v2, v6 :: v_dual_mov_b32 v3, v7
	v_dual_mov_b32 v4, v148 :: v_dual_mov_b32 v5, v149
	v_dual_mov_b32 v6, v150 :: v_dual_mov_b32 v7, v151
	s_getpc_b64 s[0:1]
	s_add_u32 s0, s0, _ZZZZN2at6native31launch_logcumsumexp_cuda_kernelERKNS_10TensorBaseES3_lENKUlvE_clEvENKUlvE1_clEvENKUlN3c107complexIdEES8_E_clES8_S8_@rel32@lo+4
	s_addc_u32 s1, s1, _ZZZZN2at6native31launch_logcumsumexp_cuda_kernelERKNS_10TensorBaseES3_lENKUlvE_clEvENKUlvE1_clEvENKUlN3c107complexIdEES8_E_clES8_S8_@rel32@hi+12
	s_delay_alu instid0(SALU_CYCLE_1)
	s_swappc_b64 s[30:31], s[0:1]
	v_dual_mov_b32 v151, v3 :: v_dual_mov_b32 v150, v2
	v_dual_mov_b32 v149, v1 :: v_dual_mov_b32 v148, v0
.LBB214_102:
	;; [unrolled: 21-line block ×3, first 2 shown]
	s_or_b32 exec_lo, exec_lo, s19
	ds_swizzle_b32 v0, v0 offset:swizzle(BROADCAST,32,15)
	ds_swizzle_b32 v1, v1 offset:swizzle(BROADCAST,32,15)
	;; [unrolled: 1-line block ×4, first 2 shown]
	v_and_b32_e32 v4, 16, v166
	s_mov_b32 s19, exec_lo
	s_delay_alu instid0(VALU_DEP_1)
	v_cmpx_ne_u32_e32 0, v4
	s_cbranch_execz .LBB214_106
; %bb.105:
	v_dual_mov_b32 v4, v148 :: v_dual_mov_b32 v5, v149
	v_dual_mov_b32 v6, v150 :: v_dual_mov_b32 v7, v151
	s_getpc_b64 s[0:1]
	s_add_u32 s0, s0, _ZZZZN2at6native31launch_logcumsumexp_cuda_kernelERKNS_10TensorBaseES3_lENKUlvE_clEvENKUlvE1_clEvENKUlN3c107complexIdEES8_E_clES8_S8_@rel32@lo+4
	s_addc_u32 s1, s1, _ZZZZN2at6native31launch_logcumsumexp_cuda_kernelERKNS_10TensorBaseES3_lENKUlvE_clEvENKUlvE1_clEvENKUlN3c107complexIdEES8_E_clES8_S8_@rel32@hi+12
	s_delay_alu instid0(SALU_CYCLE_1)
	s_swappc_b64 s[30:31], s[0:1]
	v_dual_mov_b32 v148, v0 :: v_dual_mov_b32 v149, v1
	v_dual_mov_b32 v150, v2 :: v_dual_mov_b32 v151, v3
.LBB214_106:
	s_or_b32 exec_lo, exec_lo, s19
	s_waitcnt lgkmcnt(3)
	v_or_b32_e32 v0, 31, v156
	v_lshrrev_b32_e32 v167, 5, v156
	s_mov_b32 s0, exec_lo
	s_delay_alu instid0(VALU_DEP_2)
	v_cmpx_eq_u32_e64 v0, v156
	s_cbranch_execz .LBB214_108
; %bb.107:
	s_delay_alu instid0(VALU_DEP_2)
	v_lshlrev_b32_e32 v0, 4, v167
	ds_store_b128 v0, v[148:151]
.LBB214_108:
	s_or_b32 exec_lo, exec_lo, s0
	s_delay_alu instid0(SALU_CYCLE_1)
	s_mov_b32 s19, exec_lo
	s_waitcnt lgkmcnt(0)
	s_waitcnt_vscnt null, 0x0
	s_barrier
	buffer_gl0_inv
	v_cmpx_gt_u32_e32 8, v156
	s_cbranch_execz .LBB214_116
; %bb.109:
	ds_load_b128 v[4:7], v165
	v_and_b32_e32 v152, 7, v166
	s_mov_b32 s20, exec_lo
	s_waitcnt lgkmcnt(0)
	v_mov_b32_dpp v0, v4 row_shr:1 row_mask:0xf bank_mask:0xf
	v_mov_b32_dpp v1, v5 row_shr:1 row_mask:0xf bank_mask:0xf
	;; [unrolled: 1-line block ×4, first 2 shown]
	v_cmpx_ne_u32_e32 0, v152
	s_cbranch_execz .LBB214_111
; %bb.110:
	s_getpc_b64 s[0:1]
	s_add_u32 s0, s0, _ZZZZN2at6native31launch_logcumsumexp_cuda_kernelERKNS_10TensorBaseES3_lENKUlvE_clEvENKUlvE1_clEvENKUlN3c107complexIdEES8_E_clES8_S8_@rel32@lo+4
	s_addc_u32 s1, s1, _ZZZZN2at6native31launch_logcumsumexp_cuda_kernelERKNS_10TensorBaseES3_lENKUlvE_clEvENKUlvE1_clEvENKUlN3c107complexIdEES8_E_clES8_S8_@rel32@hi+12
	s_delay_alu instid0(SALU_CYCLE_1)
	s_swappc_b64 s[30:31], s[0:1]
	v_dual_mov_b32 v4, v0 :: v_dual_mov_b32 v5, v1
	v_dual_mov_b32 v6, v2 :: v_dual_mov_b32 v7, v3
.LBB214_111:
	s_or_b32 exec_lo, exec_lo, s20
	s_delay_alu instid0(VALU_DEP_2) | instskip(NEXT) | instid1(VALU_DEP_3)
	v_mov_b32_dpp v0, v4 row_shr:2 row_mask:0xf bank_mask:0xf
	v_mov_b32_dpp v1, v5 row_shr:2 row_mask:0xf bank_mask:0xf
	s_delay_alu instid0(VALU_DEP_3)
	v_mov_b32_dpp v2, v6 row_shr:2 row_mask:0xf bank_mask:0xf
	v_mov_b32_dpp v3, v7 row_shr:2 row_mask:0xf bank_mask:0xf
	s_mov_b32 s20, exec_lo
	v_cmpx_lt_u32_e32 1, v152
	s_cbranch_execz .LBB214_113
; %bb.112:
	s_getpc_b64 s[0:1]
	s_add_u32 s0, s0, _ZZZZN2at6native31launch_logcumsumexp_cuda_kernelERKNS_10TensorBaseES3_lENKUlvE_clEvENKUlvE1_clEvENKUlN3c107complexIdEES8_E_clES8_S8_@rel32@lo+4
	s_addc_u32 s1, s1, _ZZZZN2at6native31launch_logcumsumexp_cuda_kernelERKNS_10TensorBaseES3_lENKUlvE_clEvENKUlvE1_clEvENKUlN3c107complexIdEES8_E_clES8_S8_@rel32@hi+12
	s_delay_alu instid0(SALU_CYCLE_1)
	s_swappc_b64 s[30:31], s[0:1]
	v_dual_mov_b32 v4, v0 :: v_dual_mov_b32 v5, v1
	v_dual_mov_b32 v6, v2 :: v_dual_mov_b32 v7, v3
.LBB214_113:
	s_or_b32 exec_lo, exec_lo, s20
	s_delay_alu instid0(VALU_DEP_2) | instskip(NEXT) | instid1(VALU_DEP_3)
	v_mov_b32_dpp v0, v4 row_shr:4 row_mask:0xf bank_mask:0xf
	v_mov_b32_dpp v1, v5 row_shr:4 row_mask:0xf bank_mask:0xf
	s_delay_alu instid0(VALU_DEP_3)
	v_mov_b32_dpp v2, v6 row_shr:4 row_mask:0xf bank_mask:0xf
	v_mov_b32_dpp v3, v7 row_shr:4 row_mask:0xf bank_mask:0xf
	s_mov_b32 s20, exec_lo
	v_cmpx_lt_u32_e32 3, v152
	s_cbranch_execz .LBB214_115
; %bb.114:
	s_getpc_b64 s[0:1]
	s_add_u32 s0, s0, _ZZZZN2at6native31launch_logcumsumexp_cuda_kernelERKNS_10TensorBaseES3_lENKUlvE_clEvENKUlvE1_clEvENKUlN3c107complexIdEES8_E_clES8_S8_@rel32@lo+4
	s_addc_u32 s1, s1, _ZZZZN2at6native31launch_logcumsumexp_cuda_kernelERKNS_10TensorBaseES3_lENKUlvE_clEvENKUlvE1_clEvENKUlN3c107complexIdEES8_E_clES8_S8_@rel32@hi+12
	s_delay_alu instid0(SALU_CYCLE_1)
	s_swappc_b64 s[30:31], s[0:1]
	v_dual_mov_b32 v4, v0 :: v_dual_mov_b32 v5, v1
	v_dual_mov_b32 v6, v2 :: v_dual_mov_b32 v7, v3
.LBB214_115:
	s_or_b32 exec_lo, exec_lo, s20
	ds_store_b128 v165, v[4:7]
.LBB214_116:
	s_or_b32 exec_lo, exec_lo, s19
	v_mov_b32_e32 v154, 0
	v_mov_b32_e32 v155, 0
	s_delay_alu instid0(VALU_DEP_2)
	v_mov_b32_e32 v152, v154
	s_mov_b32 s19, exec_lo
	s_waitcnt lgkmcnt(0)
	s_waitcnt_vscnt null, 0x0
	s_barrier
	v_mov_b32_e32 v153, v155
	buffer_gl0_inv
	v_cmpx_lt_u32_e32 31, v156
	s_cbranch_execz .LBB214_118
; %bb.117:
	v_lshl_add_u32 v0, v167, 4, -16
	v_dual_mov_b32 v4, v148 :: v_dual_mov_b32 v5, v149
	s_getpc_b64 s[0:1]
	s_add_u32 s0, s0, _ZZZZN2at6native31launch_logcumsumexp_cuda_kernelERKNS_10TensorBaseES3_lENKUlvE_clEvENKUlvE1_clEvENKUlN3c107complexIdEES8_E_clES8_S8_@rel32@lo+4
	s_addc_u32 s1, s1, _ZZZZN2at6native31launch_logcumsumexp_cuda_kernelERKNS_10TensorBaseES3_lENKUlvE_clEvENKUlvE1_clEvENKUlN3c107complexIdEES8_E_clES8_S8_@rel32@hi+12
	v_mov_b32_e32 v7, v151
	ds_load_b128 v[152:155], v0
	s_waitcnt lgkmcnt(0)
	v_dual_mov_b32 v6, v150 :: v_dual_mov_b32 v1, v153
	v_dual_mov_b32 v0, v152 :: v_dual_mov_b32 v3, v155
	v_mov_b32_e32 v2, v154
	s_swappc_b64 s[30:31], s[0:1]
	s_delay_alu instid0(VALU_DEP_2) | instskip(NEXT) | instid1(VALU_DEP_2)
	v_dual_mov_b32 v148, v0 :: v_dual_mov_b32 v149, v1
	v_dual_mov_b32 v150, v2 :: v_dual_mov_b32 v151, v3
.LBB214_118:
	s_or_b32 exec_lo, exec_lo, s19
	v_add_nc_u32_e32 v0, -1, v166
	s_delay_alu instid0(VALU_DEP_1) | instskip(SKIP_1) | instid1(VALU_DEP_1)
	v_cmp_gt_i32_e32 vcc_lo, 0, v0
	v_cndmask_b32_e32 v0, v0, v166, vcc_lo
	v_lshlrev_b32_e32 v3, 2, v0
	ds_bpermute_b32 v0, v3, v148
	ds_bpermute_b32 v1, v3, v149
	;; [unrolled: 1-line block ×4, first 2 shown]
	s_and_saveexec_b32 s20, s18
	s_cbranch_execz .LBB214_120
; %bb.119:
	v_cmp_eq_u32_e32 vcc_lo, 0, v166
	v_dual_mov_b32 v4, v40 :: v_dual_mov_b32 v5, v41
	v_dual_mov_b32 v6, v42 :: v_dual_mov_b32 v7, v43
	s_waitcnt lgkmcnt(2)
	v_dual_cndmask_b32 v0, v0, v152 :: v_dual_cndmask_b32 v1, v1, v153
	s_waitcnt lgkmcnt(0)
	v_dual_cndmask_b32 v2, v2, v154 :: v_dual_cndmask_b32 v3, v3, v155
	s_getpc_b64 s[18:19]
	s_add_u32 s18, s18, _ZZZZN2at6native31launch_logcumsumexp_cuda_kernelERKNS_10TensorBaseES3_lENKUlvE_clEvENKUlvE1_clEvENKUlN3c107complexIdEES8_E_clES8_S8_@rel32@lo+4
	s_addc_u32 s19, s19, _ZZZZN2at6native31launch_logcumsumexp_cuda_kernelERKNS_10TensorBaseES3_lENKUlvE_clEvENKUlvE1_clEvENKUlN3c107complexIdEES8_E_clES8_S8_@rel32@hi+12
	s_delay_alu instid0(SALU_CYCLE_1)
	s_swappc_b64 s[30:31], s[18:19]
	v_dual_mov_b32 v4, v92 :: v_dual_mov_b32 v5, v93
	v_dual_mov_b32 v6, v94 :: v_dual_mov_b32 v7, v95
	;; [unrolled: 1-line block ×4, first 2 shown]
	;;#ASMSTART
	;;#ASMEND
	s_swappc_b64 s[30:31], s[18:19]
	v_dual_mov_b32 v4, v88 :: v_dual_mov_b32 v5, v89
	v_dual_mov_b32 v6, v90 :: v_dual_mov_b32 v7, v91
	v_dual_mov_b32 v104, v0 :: v_dual_mov_b32 v105, v1
	v_dual_mov_b32 v106, v2 :: v_dual_mov_b32 v107, v3
	s_swappc_b64 s[30:31], s[18:19]
	v_dual_mov_b32 v4, v76 :: v_dual_mov_b32 v5, v77
	v_dual_mov_b32 v6, v78 :: v_dual_mov_b32 v7, v79
	v_dual_mov_b32 v108, v0 :: v_dual_mov_b32 v109, v1
	v_dual_mov_b32 v110, v2 :: v_dual_mov_b32 v111, v3
	;; [unrolled: 5-line block ×6, first 2 shown]
	s_swappc_b64 s[30:31], s[18:19]
	v_dual_mov_b32 v144, v0 :: v_dual_mov_b32 v145, v1
	v_dual_mov_b32 v146, v2 :: v_dual_mov_b32 v147, v3
.LBB214_120:
	s_or_b32 exec_lo, exec_lo, s20
	s_delay_alu instid0(SALU_CYCLE_1)
	s_mov_b32 s0, exec_lo
	v_cmpx_eq_u32_e32 0xff, v156
	s_cbranch_execz .LBB214_122
; %bb.121:
	s_waitcnt lgkmcnt(2)
	v_dual_mov_b32 v0, 0 :: v_dual_mov_b32 v1, 2
	global_store_b128 v0, v[144:147], s[46:47] offset:512
	s_waitcnt lgkmcnt(0)
	s_waitcnt_vscnt null, 0x0
	buffer_gl1_inv
	buffer_gl0_inv
	global_store_b8 v0, v1, s[28:29] offset:32
.LBB214_122:
	s_or_b32 exec_lo, exec_lo, s0
	v_dual_mov_b32 v149, v41 :: v_dual_mov_b32 v148, v40
	v_dual_mov_b32 v151, v43 :: v_dual_mov_b32 v150, v42
.LBB214_123:
	s_add_u32 s0, s24, s22
	s_waitcnt lgkmcnt(2)
	v_lshlrev_b32_e32 v1, 7, v156
	v_lshrrev_b32_e32 v0, 5, v156
	s_addc_u32 s1, s25, s23
	s_add_u32 s0, s0, s26
	s_addc_u32 s1, s1, s27
	s_and_b32 vcc_lo, exec_lo, s17
	s_mov_b32 s2, -1
	s_waitcnt lgkmcnt(0)
	s_waitcnt_vscnt null, 0x0
	s_barrier
	buffer_gl0_inv
	s_cbranch_vccz .LBB214_125
; %bb.124:
	v_lshl_add_u32 v2, v157, 4, v1
	v_lshrrev_b32_e32 v10, 5, v163
	v_lshrrev_b32_e32 v11, 5, v162
	;; [unrolled: 1-line block ×4, first 2 shown]
	ds_store_b128 v2, v[148:151]
	ds_store_b128 v2, v[104:107] offset:16
	ds_store_b128 v2, v[108:111] offset:32
	;; [unrolled: 1-line block ×7, first 2 shown]
	v_lshrrev_b32_e32 v2, 5, v164
	v_lshrrev_b32_e32 v26, 5, v159
	v_add_lshl_u32 v3, v0, v156, 4
	v_add_lshl_u32 v10, v10, v156, 4
	v_lshrrev_b32_e32 v27, 5, v158
	v_add_lshl_u32 v6, v2, v156, 4
	v_add_lshl_u32 v14, v11, v156, 4
	;; [unrolled: 1-line block ×5, first 2 shown]
	s_waitcnt lgkmcnt(0)
	s_barrier
	buffer_gl0_inv
	ds_load_b128 v[2:5], v3
	ds_load_b128 v[6:9], v6 offset:4096
	ds_load_b128 v[10:13], v10 offset:8192
	;; [unrolled: 1-line block ×5, first 2 shown]
	v_add_lshl_u32 v30, v27, v156, 4
	v_add_co_u32 v38, s2, s0, v165
	ds_load_b128 v[26:29], v26 offset:24576
	ds_load_b128 v[30:33], v30 offset:28672
	v_add_co_ci_u32_e64 v39, null, s1, 0, s2
	v_add_co_u32 v34, vcc_lo, v38, 0x2000
	s_mov_b32 s2, 0
	s_delay_alu instid0(VALU_DEP_2)
	v_add_co_ci_u32_e32 v35, vcc_lo, 0, v39, vcc_lo
	v_add_co_u32 v36, vcc_lo, v38, 0x4000
	v_add_co_ci_u32_e32 v37, vcc_lo, 0, v39, vcc_lo
	s_waitcnt lgkmcnt(5)
	global_store_b128 v[34:35], v[10:13], off
	s_waitcnt lgkmcnt(4)
	global_store_b128 v[36:37], v[14:17], off offset:-4096
	v_add_co_u32 v10, vcc_lo, v38, 0x6000
	v_add_co_ci_u32_e32 v11, vcc_lo, 0, v39, vcc_lo
	v_add_co_u32 v12, vcc_lo, 0x7000, v38
	v_add_co_ci_u32_e32 v13, vcc_lo, 0, v39, vcc_lo
	s_waitcnt lgkmcnt(3)
	global_store_b128 v[36:37], v[18:21], off
	s_waitcnt lgkmcnt(2)
	s_clause 0x1
	global_store_b128 v[10:11], v[22:25], off offset:-4096
	global_store_b128 v165, v[2:5], s[0:1]
	s_waitcnt lgkmcnt(1)
	s_clause 0x1
	global_store_b128 v[10:11], v[26:29], off
	global_store_b128 v[34:35], v[6:9], off offset:-4096
	s_waitcnt lgkmcnt(0)
	global_store_b128 v[12:13], v[30:33], off
.LBB214_125:
	s_and_not1_b32 vcc_lo, exec_lo, s2
	s_cbranch_vccnz .LBB214_135
; %bb.126:
	v_lshrrev_b32_e32 v8, 5, v163
	v_lshl_add_u32 v1, v157, 4, v1
	v_lshrrev_b32_e32 v2, 5, v164
	v_lshrrev_b32_e32 v9, 5, v162
	;; [unrolled: 1-line block ×6, first 2 shown]
	v_add_lshl_u32 v0, v0, v156, 4
	v_add_lshl_u32 v8, v8, v156, 4
	ds_store_b128 v1, v[148:151]
	ds_store_b128 v1, v[104:107] offset:16
	ds_store_b128 v1, v[108:111] offset:32
	ds_store_b128 v1, v[120:123] offset:48
	ds_store_b128 v1, v[124:127] offset:64
	ds_store_b128 v1, v[136:139] offset:80
	ds_store_b128 v1, v[140:143] offset:96
	ds_store_b128 v1, v[144:147] offset:112
	v_add_lshl_u32 v1, v2, v156, 4
	v_add_lshl_u32 v14, v9, v156, 4
	;; [unrolled: 1-line block ×6, first 2 shown]
	s_waitcnt lgkmcnt(0)
	s_waitcnt_vscnt null, 0x0
	s_barrier
	buffer_gl0_inv
	ds_load_b128 v[4:7], v0
	ds_load_b128 v[0:3], v1 offset:4096
	ds_load_b128 v[8:11], v8 offset:8192
	;; [unrolled: 1-line block ×7, first 2 shown]
	v_add_co_u32 v32, s0, s0, v165
	v_mov_b32_e32 v157, 0
	v_add_co_ci_u32_e64 v33, null, s1, 0, s0
	s_mov_b32 s0, exec_lo
	v_cmpx_gt_u32_e64 s33, v156
	s_cbranch_execnz .LBB214_136
; %bb.127:
	s_or_b32 exec_lo, exec_lo, s0
	s_delay_alu instid0(SALU_CYCLE_1)
	s_mov_b32 s0, exec_lo
	v_cmpx_gt_u32_e64 s33, v164
	s_cbranch_execnz .LBB214_137
.LBB214_128:
	s_or_b32 exec_lo, exec_lo, s0
	s_delay_alu instid0(SALU_CYCLE_1)
	s_mov_b32 s0, exec_lo
	v_cmpx_gt_u32_e64 s33, v163
	s_cbranch_execnz .LBB214_138
.LBB214_129:
	s_or_b32 exec_lo, exec_lo, s0
	s_delay_alu instid0(SALU_CYCLE_1)
	s_mov_b32 s0, exec_lo
	v_cmpx_gt_u32_e64 s33, v162
	s_cbranch_execnz .LBB214_139
.LBB214_130:
	s_or_b32 exec_lo, exec_lo, s0
	s_delay_alu instid0(SALU_CYCLE_1)
	s_mov_b32 s0, exec_lo
	v_cmpx_gt_u32_e64 s33, v161
	s_cbranch_execnz .LBB214_140
.LBB214_131:
	s_or_b32 exec_lo, exec_lo, s0
	s_delay_alu instid0(SALU_CYCLE_1)
	s_mov_b32 s0, exec_lo
	v_cmpx_gt_u32_e64 s33, v160
	s_cbranch_execnz .LBB214_141
.LBB214_132:
	s_or_b32 exec_lo, exec_lo, s0
	s_delay_alu instid0(SALU_CYCLE_1)
	s_mov_b32 s0, exec_lo
	v_cmpx_gt_u32_e64 s33, v159
	s_cbranch_execnz .LBB214_142
.LBB214_133:
	s_or_b32 exec_lo, exec_lo, s0
	s_delay_alu instid0(SALU_CYCLE_1)
	s_mov_b32 s0, exec_lo
	v_cmpx_gt_u32_e64 s33, v158
	s_cbranch_execnz .LBB214_143
.LBB214_134:
	s_or_b32 exec_lo, exec_lo, s0
	v_cmp_lt_u64_e64 s0, s[42:43], 2
	s_delay_alu instid0(VALU_DEP_1)
	s_and_b32 vcc_lo, exec_lo, s0
	s_cbranch_vccz .LBB214_144
.LBB214_135:
	s_nop 0
	s_sendmsg sendmsg(MSG_DEALLOC_VGPRS)
	s_endpgm
.LBB214_136:
	s_waitcnt lgkmcnt(7)
	global_store_b128 v[32:33], v[4:7], off
	s_or_b32 exec_lo, exec_lo, s0
	s_delay_alu instid0(SALU_CYCLE_1)
	s_mov_b32 s0, exec_lo
	v_cmpx_gt_u32_e64 s33, v164
	s_cbranch_execz .LBB214_128
.LBB214_137:
	v_add_co_u32 v34, vcc_lo, 0x1000, v32
	v_add_co_ci_u32_e32 v35, vcc_lo, 0, v33, vcc_lo
	s_waitcnt lgkmcnt(6)
	global_store_b128 v[34:35], v[0:3], off
	s_or_b32 exec_lo, exec_lo, s0
	s_delay_alu instid0(SALU_CYCLE_1)
	s_mov_b32 s0, exec_lo
	v_cmpx_gt_u32_e64 s33, v163
	s_cbranch_execz .LBB214_129
.LBB214_138:
	v_add_co_u32 v34, vcc_lo, 0x2000, v32
	v_add_co_ci_u32_e32 v35, vcc_lo, 0, v33, vcc_lo
	s_waitcnt lgkmcnt(5)
	global_store_b128 v[34:35], v[8:11], off
	s_or_b32 exec_lo, exec_lo, s0
	s_delay_alu instid0(SALU_CYCLE_1)
	s_mov_b32 s0, exec_lo
	v_cmpx_gt_u32_e64 s33, v162
	s_cbranch_execz .LBB214_130
.LBB214_139:
	v_add_co_u32 v34, vcc_lo, 0x3000, v32
	v_add_co_ci_u32_e32 v35, vcc_lo, 0, v33, vcc_lo
	s_waitcnt lgkmcnt(4)
	global_store_b128 v[34:35], v[12:15], off
	s_or_b32 exec_lo, exec_lo, s0
	s_delay_alu instid0(SALU_CYCLE_1)
	s_mov_b32 s0, exec_lo
	v_cmpx_gt_u32_e64 s33, v161
	s_cbranch_execz .LBB214_131
.LBB214_140:
	v_add_co_u32 v34, vcc_lo, 0x4000, v32
	v_add_co_ci_u32_e32 v35, vcc_lo, 0, v33, vcc_lo
	s_waitcnt lgkmcnt(3)
	global_store_b128 v[34:35], v[16:19], off
	s_or_b32 exec_lo, exec_lo, s0
	s_delay_alu instid0(SALU_CYCLE_1)
	s_mov_b32 s0, exec_lo
	v_cmpx_gt_u32_e64 s33, v160
	s_cbranch_execz .LBB214_132
.LBB214_141:
	v_add_co_u32 v34, vcc_lo, 0x5000, v32
	v_add_co_ci_u32_e32 v35, vcc_lo, 0, v33, vcc_lo
	s_waitcnt lgkmcnt(2)
	global_store_b128 v[34:35], v[20:23], off
	s_or_b32 exec_lo, exec_lo, s0
	s_delay_alu instid0(SALU_CYCLE_1)
	s_mov_b32 s0, exec_lo
	v_cmpx_gt_u32_e64 s33, v159
	s_cbranch_execz .LBB214_133
.LBB214_142:
	v_add_co_u32 v34, vcc_lo, 0x6000, v32
	v_add_co_ci_u32_e32 v35, vcc_lo, 0, v33, vcc_lo
	s_waitcnt lgkmcnt(1)
	global_store_b128 v[34:35], v[24:27], off
	s_or_b32 exec_lo, exec_lo, s0
	s_delay_alu instid0(SALU_CYCLE_1)
	s_mov_b32 s0, exec_lo
	v_cmpx_gt_u32_e64 s33, v158
	s_cbranch_execz .LBB214_134
.LBB214_143:
	v_add_co_u32 v32, vcc_lo, 0x7000, v32
	v_add_co_ci_u32_e32 v33, vcc_lo, 0, v33, vcc_lo
	s_waitcnt lgkmcnt(0)
	global_store_b128 v[32:33], v[28:31], off
	s_or_b32 exec_lo, exec_lo, s0
	v_cmp_lt_u64_e64 s0, s[42:43], 2
	s_delay_alu instid0(VALU_DEP_1)
	s_and_b32 vcc_lo, exec_lo, s0
	s_cbranch_vccnz .LBB214_135
.LBB214_144:
	s_add_u32 s0, s33, -1
	s_addc_u32 s1, s34, -1
	s_delay_alu instid0(SALU_CYCLE_1)
	s_lshr_b64 s[2:3], s[0:1], 3
	s_mov_b32 s1, exec_lo
	v_cmpx_eq_u64_e64 s[2:3], v[156:157]
	s_cbranch_execz .LBB214_135
; %bb.145:
	s_and_b32 s0, s0, 7
	s_mov_b32 s1, 0
	s_delay_alu instid0(SALU_CYCLE_1) | instskip(NEXT) | instid1(VALU_DEP_1)
	v_cmp_lt_i64_e64 s2, s[0:1], 4
	s_and_b32 vcc_lo, exec_lo, s2
	s_mov_b32 s2, -1
	s_cbranch_vccnz .LBB214_158
; %bb.146:
	v_cmp_lt_i64_e64 s2, s[0:1], 6
	s_delay_alu instid0(VALU_DEP_1)
	s_and_b32 vcc_lo, exec_lo, s2
	s_mov_b32 s2, -1
	s_cbranch_vccnz .LBB214_152
; %bb.147:
	v_cmp_gt_i64_e64 s2, s[0:1], 6
	s_delay_alu instid0(VALU_DEP_1)
	s_and_b32 vcc_lo, exec_lo, s2
	s_mov_b32 s2, -1
	s_cbranch_vccz .LBB214_149
; %bb.148:
	v_mov_b32_e32 v32, 0
	s_mov_b32 s2, 0
	s_waitcnt lgkmcnt(0)
	global_store_b128 v32, v[28:31], s[38:39]
.LBB214_149:
	s_and_not1_b32 vcc_lo, exec_lo, s2
	s_cbranch_vccnz .LBB214_151
; %bb.150:
	s_waitcnt lgkmcnt(0)
	v_mov_b32_e32 v28, 0
	global_store_b128 v28, v[24:27], s[38:39]
.LBB214_151:
	s_mov_b32 s2, 0
.LBB214_152:
	s_delay_alu instid0(SALU_CYCLE_1)
	s_and_not1_b32 vcc_lo, exec_lo, s2
	s_cbranch_vccnz .LBB214_157
; %bb.153:
	v_cmp_gt_i64_e64 s2, s[0:1], 4
	s_delay_alu instid0(VALU_DEP_1)
	s_and_b32 vcc_lo, exec_lo, s2
	s_mov_b32 s2, -1
	s_cbranch_vccz .LBB214_155
; %bb.154:
	s_waitcnt lgkmcnt(1)
	v_mov_b32_e32 v24, 0
	s_mov_b32 s2, 0
	global_store_b128 v24, v[20:23], s[38:39]
.LBB214_155:
	s_and_not1_b32 vcc_lo, exec_lo, s2
	s_cbranch_vccnz .LBB214_157
; %bb.156:
	s_waitcnt lgkmcnt(2)
	v_mov_b32_e32 v20, 0
	global_store_b128 v20, v[16:19], s[38:39]
.LBB214_157:
	s_mov_b32 s2, 0
.LBB214_158:
	s_delay_alu instid0(SALU_CYCLE_1)
	s_and_not1_b32 vcc_lo, exec_lo, s2
	s_cbranch_vccnz .LBB214_135
; %bb.159:
	v_cmp_lt_i64_e64 s2, s[0:1], 2
	s_delay_alu instid0(VALU_DEP_1)
	s_and_b32 vcc_lo, exec_lo, s2
	s_mov_b32 s2, -1
	s_cbranch_vccnz .LBB214_165
; %bb.160:
	v_cmp_gt_i64_e64 s2, s[0:1], 2
	s_delay_alu instid0(VALU_DEP_1)
	s_and_b32 vcc_lo, exec_lo, s2
	s_mov_b32 s2, -1
	s_cbranch_vccz .LBB214_162
; %bb.161:
	s_waitcnt lgkmcnt(3)
	v_mov_b32_e32 v16, 0
	s_mov_b32 s2, 0
	global_store_b128 v16, v[12:15], s[38:39]
.LBB214_162:
	s_and_not1_b32 vcc_lo, exec_lo, s2
	s_cbranch_vccnz .LBB214_164
; %bb.163:
	s_waitcnt lgkmcnt(4)
	v_mov_b32_e32 v12, 0
	global_store_b128 v12, v[8:11], s[38:39]
.LBB214_164:
	s_mov_b32 s2, 0
.LBB214_165:
	s_delay_alu instid0(SALU_CYCLE_1)
	s_and_not1_b32 vcc_lo, exec_lo, s2
	s_cbranch_vccnz .LBB214_135
; %bb.166:
	s_cmp_eq_u64 s[0:1], 1
	s_mov_b32 s0, -1
	s_cbranch_scc1 .LBB214_168
; %bb.167:
	s_waitcnt lgkmcnt(5)
	v_mov_b32_e32 v8, 0
	s_mov_b32 s0, 0
	global_store_b128 v8, v[4:7], s[38:39]
.LBB214_168:
	s_and_not1_b32 vcc_lo, exec_lo, s0
	s_cbranch_vccnz .LBB214_135
; %bb.169:
	s_waitcnt lgkmcnt(7)
	v_mov_b32_e32 v4, 0
	s_waitcnt lgkmcnt(6)
	global_store_b128 v4, v[0:3], s[38:39]
	s_nop 0
	s_sendmsg sendmsg(MSG_DEALLOC_VGPRS)
	s_endpgm
	.section	.rodata,"a",@progbits
	.p2align	6, 0x0
	.amdhsa_kernel _ZN7rocprim17ROCPRIM_400000_NS6detail17trampoline_kernelINS0_14default_configENS1_20scan_config_selectorIN3c107complexIdEEEEZZNS1_9scan_implILNS1_25lookback_scan_determinismE0ELb0ELb0ES3_PKS7_PS7_S7_ZZZN2at6native31launch_logcumsumexp_cuda_kernelERKNSE_10TensorBaseESI_lENKUlvE_clEvENKUlvE1_clEvEUlS7_S7_E_S7_EEDaPvRmT3_T4_T5_mT6_P12ihipStream_tbENKUlT_T0_E_clISt17integral_constantIbLb1EESZ_EEDaSU_SV_EUlSU_E_NS1_11comp_targetILNS1_3genE9ELNS1_11target_archE1100ELNS1_3gpuE3ELNS1_3repE0EEENS1_30default_config_static_selectorELNS0_4arch9wavefront6targetE0EEEvT1_
		.amdhsa_group_segment_fixed_size 33792
		.amdhsa_private_segment_fixed_size 0
		.amdhsa_kernarg_size 128
		.amdhsa_user_sgpr_count 15
		.amdhsa_user_sgpr_dispatch_ptr 0
		.amdhsa_user_sgpr_queue_ptr 0
		.amdhsa_user_sgpr_kernarg_segment_ptr 1
		.amdhsa_user_sgpr_dispatch_id 0
		.amdhsa_user_sgpr_private_segment_size 0
		.amdhsa_wavefront_size32 1
		.amdhsa_uses_dynamic_stack 0
		.amdhsa_enable_private_segment 0
		.amdhsa_system_sgpr_workgroup_id_x 1
		.amdhsa_system_sgpr_workgroup_id_y 0
		.amdhsa_system_sgpr_workgroup_id_z 0
		.amdhsa_system_sgpr_workgroup_info 0
		.amdhsa_system_vgpr_workitem_id 0
		.amdhsa_next_free_vgpr 168
		.amdhsa_next_free_sgpr 49
		.amdhsa_reserve_vcc 1
		.amdhsa_float_round_mode_32 0
		.amdhsa_float_round_mode_16_64 0
		.amdhsa_float_denorm_mode_32 3
		.amdhsa_float_denorm_mode_16_64 3
		.amdhsa_dx10_clamp 1
		.amdhsa_ieee_mode 1
		.amdhsa_fp16_overflow 0
		.amdhsa_workgroup_processor_mode 1
		.amdhsa_memory_ordered 1
		.amdhsa_forward_progress 0
		.amdhsa_shared_vgpr_count 0
		.amdhsa_exception_fp_ieee_invalid_op 0
		.amdhsa_exception_fp_denorm_src 0
		.amdhsa_exception_fp_ieee_div_zero 0
		.amdhsa_exception_fp_ieee_overflow 0
		.amdhsa_exception_fp_ieee_underflow 0
		.amdhsa_exception_fp_ieee_inexact 0
		.amdhsa_exception_int_div_zero 0
	.end_amdhsa_kernel
	.section	.text._ZN7rocprim17ROCPRIM_400000_NS6detail17trampoline_kernelINS0_14default_configENS1_20scan_config_selectorIN3c107complexIdEEEEZZNS1_9scan_implILNS1_25lookback_scan_determinismE0ELb0ELb0ES3_PKS7_PS7_S7_ZZZN2at6native31launch_logcumsumexp_cuda_kernelERKNSE_10TensorBaseESI_lENKUlvE_clEvENKUlvE1_clEvEUlS7_S7_E_S7_EEDaPvRmT3_T4_T5_mT6_P12ihipStream_tbENKUlT_T0_E_clISt17integral_constantIbLb1EESZ_EEDaSU_SV_EUlSU_E_NS1_11comp_targetILNS1_3genE9ELNS1_11target_archE1100ELNS1_3gpuE3ELNS1_3repE0EEENS1_30default_config_static_selectorELNS0_4arch9wavefront6targetE0EEEvT1_,"axG",@progbits,_ZN7rocprim17ROCPRIM_400000_NS6detail17trampoline_kernelINS0_14default_configENS1_20scan_config_selectorIN3c107complexIdEEEEZZNS1_9scan_implILNS1_25lookback_scan_determinismE0ELb0ELb0ES3_PKS7_PS7_S7_ZZZN2at6native31launch_logcumsumexp_cuda_kernelERKNSE_10TensorBaseESI_lENKUlvE_clEvENKUlvE1_clEvEUlS7_S7_E_S7_EEDaPvRmT3_T4_T5_mT6_P12ihipStream_tbENKUlT_T0_E_clISt17integral_constantIbLb1EESZ_EEDaSU_SV_EUlSU_E_NS1_11comp_targetILNS1_3genE9ELNS1_11target_archE1100ELNS1_3gpuE3ELNS1_3repE0EEENS1_30default_config_static_selectorELNS0_4arch9wavefront6targetE0EEEvT1_,comdat
.Lfunc_end214:
	.size	_ZN7rocprim17ROCPRIM_400000_NS6detail17trampoline_kernelINS0_14default_configENS1_20scan_config_selectorIN3c107complexIdEEEEZZNS1_9scan_implILNS1_25lookback_scan_determinismE0ELb0ELb0ES3_PKS7_PS7_S7_ZZZN2at6native31launch_logcumsumexp_cuda_kernelERKNSE_10TensorBaseESI_lENKUlvE_clEvENKUlvE1_clEvEUlS7_S7_E_S7_EEDaPvRmT3_T4_T5_mT6_P12ihipStream_tbENKUlT_T0_E_clISt17integral_constantIbLb1EESZ_EEDaSU_SV_EUlSU_E_NS1_11comp_targetILNS1_3genE9ELNS1_11target_archE1100ELNS1_3gpuE3ELNS1_3repE0EEENS1_30default_config_static_selectorELNS0_4arch9wavefront6targetE0EEEvT1_, .Lfunc_end214-_ZN7rocprim17ROCPRIM_400000_NS6detail17trampoline_kernelINS0_14default_configENS1_20scan_config_selectorIN3c107complexIdEEEEZZNS1_9scan_implILNS1_25lookback_scan_determinismE0ELb0ELb0ES3_PKS7_PS7_S7_ZZZN2at6native31launch_logcumsumexp_cuda_kernelERKNSE_10TensorBaseESI_lENKUlvE_clEvENKUlvE1_clEvEUlS7_S7_E_S7_EEDaPvRmT3_T4_T5_mT6_P12ihipStream_tbENKUlT_T0_E_clISt17integral_constantIbLb1EESZ_EEDaSU_SV_EUlSU_E_NS1_11comp_targetILNS1_3genE9ELNS1_11target_archE1100ELNS1_3gpuE3ELNS1_3repE0EEENS1_30default_config_static_selectorELNS0_4arch9wavefront6targetE0EEEvT1_
                                        ; -- End function
	.section	.AMDGPU.csdata,"",@progbits
; Kernel info:
; codeLenInByte = 9448
; NumSgprs: 51
; NumVgprs: 168
; ScratchSize: 0
; MemoryBound: 1
; FloatMode: 240
; IeeeMode: 1
; LDSByteSize: 33792 bytes/workgroup (compile time only)
; SGPRBlocks: 6
; VGPRBlocks: 20
; NumSGPRsForWavesPerEU: 51
; NumVGPRsForWavesPerEU: 168
; Occupancy: 6
; WaveLimiterHint : 0
; COMPUTE_PGM_RSRC2:SCRATCH_EN: 0
; COMPUTE_PGM_RSRC2:USER_SGPR: 15
; COMPUTE_PGM_RSRC2:TRAP_HANDLER: 0
; COMPUTE_PGM_RSRC2:TGID_X_EN: 1
; COMPUTE_PGM_RSRC2:TGID_Y_EN: 0
; COMPUTE_PGM_RSRC2:TGID_Z_EN: 0
; COMPUTE_PGM_RSRC2:TIDIG_COMP_CNT: 0
	.section	.text._ZN7rocprim17ROCPRIM_400000_NS6detail17trampoline_kernelINS0_14default_configENS1_20scan_config_selectorIN3c107complexIdEEEEZZNS1_9scan_implILNS1_25lookback_scan_determinismE0ELb0ELb0ES3_PKS7_PS7_S7_ZZZN2at6native31launch_logcumsumexp_cuda_kernelERKNSE_10TensorBaseESI_lENKUlvE_clEvENKUlvE1_clEvEUlS7_S7_E_S7_EEDaPvRmT3_T4_T5_mT6_P12ihipStream_tbENKUlT_T0_E_clISt17integral_constantIbLb1EESZ_EEDaSU_SV_EUlSU_E_NS1_11comp_targetILNS1_3genE8ELNS1_11target_archE1030ELNS1_3gpuE2ELNS1_3repE0EEENS1_30default_config_static_selectorELNS0_4arch9wavefront6targetE0EEEvT1_,"axG",@progbits,_ZN7rocprim17ROCPRIM_400000_NS6detail17trampoline_kernelINS0_14default_configENS1_20scan_config_selectorIN3c107complexIdEEEEZZNS1_9scan_implILNS1_25lookback_scan_determinismE0ELb0ELb0ES3_PKS7_PS7_S7_ZZZN2at6native31launch_logcumsumexp_cuda_kernelERKNSE_10TensorBaseESI_lENKUlvE_clEvENKUlvE1_clEvEUlS7_S7_E_S7_EEDaPvRmT3_T4_T5_mT6_P12ihipStream_tbENKUlT_T0_E_clISt17integral_constantIbLb1EESZ_EEDaSU_SV_EUlSU_E_NS1_11comp_targetILNS1_3genE8ELNS1_11target_archE1030ELNS1_3gpuE2ELNS1_3repE0EEENS1_30default_config_static_selectorELNS0_4arch9wavefront6targetE0EEEvT1_,comdat
	.globl	_ZN7rocprim17ROCPRIM_400000_NS6detail17trampoline_kernelINS0_14default_configENS1_20scan_config_selectorIN3c107complexIdEEEEZZNS1_9scan_implILNS1_25lookback_scan_determinismE0ELb0ELb0ES3_PKS7_PS7_S7_ZZZN2at6native31launch_logcumsumexp_cuda_kernelERKNSE_10TensorBaseESI_lENKUlvE_clEvENKUlvE1_clEvEUlS7_S7_E_S7_EEDaPvRmT3_T4_T5_mT6_P12ihipStream_tbENKUlT_T0_E_clISt17integral_constantIbLb1EESZ_EEDaSU_SV_EUlSU_E_NS1_11comp_targetILNS1_3genE8ELNS1_11target_archE1030ELNS1_3gpuE2ELNS1_3repE0EEENS1_30default_config_static_selectorELNS0_4arch9wavefront6targetE0EEEvT1_ ; -- Begin function _ZN7rocprim17ROCPRIM_400000_NS6detail17trampoline_kernelINS0_14default_configENS1_20scan_config_selectorIN3c107complexIdEEEEZZNS1_9scan_implILNS1_25lookback_scan_determinismE0ELb0ELb0ES3_PKS7_PS7_S7_ZZZN2at6native31launch_logcumsumexp_cuda_kernelERKNSE_10TensorBaseESI_lENKUlvE_clEvENKUlvE1_clEvEUlS7_S7_E_S7_EEDaPvRmT3_T4_T5_mT6_P12ihipStream_tbENKUlT_T0_E_clISt17integral_constantIbLb1EESZ_EEDaSU_SV_EUlSU_E_NS1_11comp_targetILNS1_3genE8ELNS1_11target_archE1030ELNS1_3gpuE2ELNS1_3repE0EEENS1_30default_config_static_selectorELNS0_4arch9wavefront6targetE0EEEvT1_
	.p2align	8
	.type	_ZN7rocprim17ROCPRIM_400000_NS6detail17trampoline_kernelINS0_14default_configENS1_20scan_config_selectorIN3c107complexIdEEEEZZNS1_9scan_implILNS1_25lookback_scan_determinismE0ELb0ELb0ES3_PKS7_PS7_S7_ZZZN2at6native31launch_logcumsumexp_cuda_kernelERKNSE_10TensorBaseESI_lENKUlvE_clEvENKUlvE1_clEvEUlS7_S7_E_S7_EEDaPvRmT3_T4_T5_mT6_P12ihipStream_tbENKUlT_T0_E_clISt17integral_constantIbLb1EESZ_EEDaSU_SV_EUlSU_E_NS1_11comp_targetILNS1_3genE8ELNS1_11target_archE1030ELNS1_3gpuE2ELNS1_3repE0EEENS1_30default_config_static_selectorELNS0_4arch9wavefront6targetE0EEEvT1_,@function
_ZN7rocprim17ROCPRIM_400000_NS6detail17trampoline_kernelINS0_14default_configENS1_20scan_config_selectorIN3c107complexIdEEEEZZNS1_9scan_implILNS1_25lookback_scan_determinismE0ELb0ELb0ES3_PKS7_PS7_S7_ZZZN2at6native31launch_logcumsumexp_cuda_kernelERKNSE_10TensorBaseESI_lENKUlvE_clEvENKUlvE1_clEvEUlS7_S7_E_S7_EEDaPvRmT3_T4_T5_mT6_P12ihipStream_tbENKUlT_T0_E_clISt17integral_constantIbLb1EESZ_EEDaSU_SV_EUlSU_E_NS1_11comp_targetILNS1_3genE8ELNS1_11target_archE1030ELNS1_3gpuE2ELNS1_3repE0EEENS1_30default_config_static_selectorELNS0_4arch9wavefront6targetE0EEEvT1_: ; @_ZN7rocprim17ROCPRIM_400000_NS6detail17trampoline_kernelINS0_14default_configENS1_20scan_config_selectorIN3c107complexIdEEEEZZNS1_9scan_implILNS1_25lookback_scan_determinismE0ELb0ELb0ES3_PKS7_PS7_S7_ZZZN2at6native31launch_logcumsumexp_cuda_kernelERKNSE_10TensorBaseESI_lENKUlvE_clEvENKUlvE1_clEvEUlS7_S7_E_S7_EEDaPvRmT3_T4_T5_mT6_P12ihipStream_tbENKUlT_T0_E_clISt17integral_constantIbLb1EESZ_EEDaSU_SV_EUlSU_E_NS1_11comp_targetILNS1_3genE8ELNS1_11target_archE1030ELNS1_3gpuE2ELNS1_3repE0EEENS1_30default_config_static_selectorELNS0_4arch9wavefront6targetE0EEEvT1_
; %bb.0:
	.section	.rodata,"a",@progbits
	.p2align	6, 0x0
	.amdhsa_kernel _ZN7rocprim17ROCPRIM_400000_NS6detail17trampoline_kernelINS0_14default_configENS1_20scan_config_selectorIN3c107complexIdEEEEZZNS1_9scan_implILNS1_25lookback_scan_determinismE0ELb0ELb0ES3_PKS7_PS7_S7_ZZZN2at6native31launch_logcumsumexp_cuda_kernelERKNSE_10TensorBaseESI_lENKUlvE_clEvENKUlvE1_clEvEUlS7_S7_E_S7_EEDaPvRmT3_T4_T5_mT6_P12ihipStream_tbENKUlT_T0_E_clISt17integral_constantIbLb1EESZ_EEDaSU_SV_EUlSU_E_NS1_11comp_targetILNS1_3genE8ELNS1_11target_archE1030ELNS1_3gpuE2ELNS1_3repE0EEENS1_30default_config_static_selectorELNS0_4arch9wavefront6targetE0EEEvT1_
		.amdhsa_group_segment_fixed_size 0
		.amdhsa_private_segment_fixed_size 0
		.amdhsa_kernarg_size 128
		.amdhsa_user_sgpr_count 15
		.amdhsa_user_sgpr_dispatch_ptr 0
		.amdhsa_user_sgpr_queue_ptr 0
		.amdhsa_user_sgpr_kernarg_segment_ptr 1
		.amdhsa_user_sgpr_dispatch_id 0
		.amdhsa_user_sgpr_private_segment_size 0
		.amdhsa_wavefront_size32 1
		.amdhsa_uses_dynamic_stack 0
		.amdhsa_enable_private_segment 0
		.amdhsa_system_sgpr_workgroup_id_x 1
		.amdhsa_system_sgpr_workgroup_id_y 0
		.amdhsa_system_sgpr_workgroup_id_z 0
		.amdhsa_system_sgpr_workgroup_info 0
		.amdhsa_system_vgpr_workitem_id 0
		.amdhsa_next_free_vgpr 1
		.amdhsa_next_free_sgpr 1
		.amdhsa_reserve_vcc 0
		.amdhsa_float_round_mode_32 0
		.amdhsa_float_round_mode_16_64 0
		.amdhsa_float_denorm_mode_32 3
		.amdhsa_float_denorm_mode_16_64 3
		.amdhsa_dx10_clamp 1
		.amdhsa_ieee_mode 1
		.amdhsa_fp16_overflow 0
		.amdhsa_workgroup_processor_mode 1
		.amdhsa_memory_ordered 1
		.amdhsa_forward_progress 0
		.amdhsa_shared_vgpr_count 0
		.amdhsa_exception_fp_ieee_invalid_op 0
		.amdhsa_exception_fp_denorm_src 0
		.amdhsa_exception_fp_ieee_div_zero 0
		.amdhsa_exception_fp_ieee_overflow 0
		.amdhsa_exception_fp_ieee_underflow 0
		.amdhsa_exception_fp_ieee_inexact 0
		.amdhsa_exception_int_div_zero 0
	.end_amdhsa_kernel
	.section	.text._ZN7rocprim17ROCPRIM_400000_NS6detail17trampoline_kernelINS0_14default_configENS1_20scan_config_selectorIN3c107complexIdEEEEZZNS1_9scan_implILNS1_25lookback_scan_determinismE0ELb0ELb0ES3_PKS7_PS7_S7_ZZZN2at6native31launch_logcumsumexp_cuda_kernelERKNSE_10TensorBaseESI_lENKUlvE_clEvENKUlvE1_clEvEUlS7_S7_E_S7_EEDaPvRmT3_T4_T5_mT6_P12ihipStream_tbENKUlT_T0_E_clISt17integral_constantIbLb1EESZ_EEDaSU_SV_EUlSU_E_NS1_11comp_targetILNS1_3genE8ELNS1_11target_archE1030ELNS1_3gpuE2ELNS1_3repE0EEENS1_30default_config_static_selectorELNS0_4arch9wavefront6targetE0EEEvT1_,"axG",@progbits,_ZN7rocprim17ROCPRIM_400000_NS6detail17trampoline_kernelINS0_14default_configENS1_20scan_config_selectorIN3c107complexIdEEEEZZNS1_9scan_implILNS1_25lookback_scan_determinismE0ELb0ELb0ES3_PKS7_PS7_S7_ZZZN2at6native31launch_logcumsumexp_cuda_kernelERKNSE_10TensorBaseESI_lENKUlvE_clEvENKUlvE1_clEvEUlS7_S7_E_S7_EEDaPvRmT3_T4_T5_mT6_P12ihipStream_tbENKUlT_T0_E_clISt17integral_constantIbLb1EESZ_EEDaSU_SV_EUlSU_E_NS1_11comp_targetILNS1_3genE8ELNS1_11target_archE1030ELNS1_3gpuE2ELNS1_3repE0EEENS1_30default_config_static_selectorELNS0_4arch9wavefront6targetE0EEEvT1_,comdat
.Lfunc_end215:
	.size	_ZN7rocprim17ROCPRIM_400000_NS6detail17trampoline_kernelINS0_14default_configENS1_20scan_config_selectorIN3c107complexIdEEEEZZNS1_9scan_implILNS1_25lookback_scan_determinismE0ELb0ELb0ES3_PKS7_PS7_S7_ZZZN2at6native31launch_logcumsumexp_cuda_kernelERKNSE_10TensorBaseESI_lENKUlvE_clEvENKUlvE1_clEvEUlS7_S7_E_S7_EEDaPvRmT3_T4_T5_mT6_P12ihipStream_tbENKUlT_T0_E_clISt17integral_constantIbLb1EESZ_EEDaSU_SV_EUlSU_E_NS1_11comp_targetILNS1_3genE8ELNS1_11target_archE1030ELNS1_3gpuE2ELNS1_3repE0EEENS1_30default_config_static_selectorELNS0_4arch9wavefront6targetE0EEEvT1_, .Lfunc_end215-_ZN7rocprim17ROCPRIM_400000_NS6detail17trampoline_kernelINS0_14default_configENS1_20scan_config_selectorIN3c107complexIdEEEEZZNS1_9scan_implILNS1_25lookback_scan_determinismE0ELb0ELb0ES3_PKS7_PS7_S7_ZZZN2at6native31launch_logcumsumexp_cuda_kernelERKNSE_10TensorBaseESI_lENKUlvE_clEvENKUlvE1_clEvEUlS7_S7_E_S7_EEDaPvRmT3_T4_T5_mT6_P12ihipStream_tbENKUlT_T0_E_clISt17integral_constantIbLb1EESZ_EEDaSU_SV_EUlSU_E_NS1_11comp_targetILNS1_3genE8ELNS1_11target_archE1030ELNS1_3gpuE2ELNS1_3repE0EEENS1_30default_config_static_selectorELNS0_4arch9wavefront6targetE0EEEvT1_
                                        ; -- End function
	.section	.AMDGPU.csdata,"",@progbits
; Kernel info:
; codeLenInByte = 0
; NumSgprs: 0
; NumVgprs: 0
; ScratchSize: 0
; MemoryBound: 0
; FloatMode: 240
; IeeeMode: 1
; LDSByteSize: 0 bytes/workgroup (compile time only)
; SGPRBlocks: 0
; VGPRBlocks: 0
; NumSGPRsForWavesPerEU: 1
; NumVGPRsForWavesPerEU: 1
; Occupancy: 16
; WaveLimiterHint : 0
; COMPUTE_PGM_RSRC2:SCRATCH_EN: 0
; COMPUTE_PGM_RSRC2:USER_SGPR: 15
; COMPUTE_PGM_RSRC2:TRAP_HANDLER: 0
; COMPUTE_PGM_RSRC2:TGID_X_EN: 1
; COMPUTE_PGM_RSRC2:TGID_Y_EN: 0
; COMPUTE_PGM_RSRC2:TGID_Z_EN: 0
; COMPUTE_PGM_RSRC2:TIDIG_COMP_CNT: 0
	.section	.text._ZN7rocprim17ROCPRIM_400000_NS6detail17trampoline_kernelINS0_14default_configENS1_20scan_config_selectorIN3c107complexIdEEEEZZNS1_9scan_implILNS1_25lookback_scan_determinismE0ELb0ELb0ES3_PKS7_PS7_S7_ZZZN2at6native31launch_logcumsumexp_cuda_kernelERKNSE_10TensorBaseESI_lENKUlvE_clEvENKUlvE1_clEvEUlS7_S7_E_S7_EEDaPvRmT3_T4_T5_mT6_P12ihipStream_tbENKUlT_T0_E_clISt17integral_constantIbLb1EESZ_EEDaSU_SV_EUlSU_E0_NS1_11comp_targetILNS1_3genE0ELNS1_11target_archE4294967295ELNS1_3gpuE0ELNS1_3repE0EEENS1_30default_config_static_selectorELNS0_4arch9wavefront6targetE0EEEvT1_,"axG",@progbits,_ZN7rocprim17ROCPRIM_400000_NS6detail17trampoline_kernelINS0_14default_configENS1_20scan_config_selectorIN3c107complexIdEEEEZZNS1_9scan_implILNS1_25lookback_scan_determinismE0ELb0ELb0ES3_PKS7_PS7_S7_ZZZN2at6native31launch_logcumsumexp_cuda_kernelERKNSE_10TensorBaseESI_lENKUlvE_clEvENKUlvE1_clEvEUlS7_S7_E_S7_EEDaPvRmT3_T4_T5_mT6_P12ihipStream_tbENKUlT_T0_E_clISt17integral_constantIbLb1EESZ_EEDaSU_SV_EUlSU_E0_NS1_11comp_targetILNS1_3genE0ELNS1_11target_archE4294967295ELNS1_3gpuE0ELNS1_3repE0EEENS1_30default_config_static_selectorELNS0_4arch9wavefront6targetE0EEEvT1_,comdat
	.globl	_ZN7rocprim17ROCPRIM_400000_NS6detail17trampoline_kernelINS0_14default_configENS1_20scan_config_selectorIN3c107complexIdEEEEZZNS1_9scan_implILNS1_25lookback_scan_determinismE0ELb0ELb0ES3_PKS7_PS7_S7_ZZZN2at6native31launch_logcumsumexp_cuda_kernelERKNSE_10TensorBaseESI_lENKUlvE_clEvENKUlvE1_clEvEUlS7_S7_E_S7_EEDaPvRmT3_T4_T5_mT6_P12ihipStream_tbENKUlT_T0_E_clISt17integral_constantIbLb1EESZ_EEDaSU_SV_EUlSU_E0_NS1_11comp_targetILNS1_3genE0ELNS1_11target_archE4294967295ELNS1_3gpuE0ELNS1_3repE0EEENS1_30default_config_static_selectorELNS0_4arch9wavefront6targetE0EEEvT1_ ; -- Begin function _ZN7rocprim17ROCPRIM_400000_NS6detail17trampoline_kernelINS0_14default_configENS1_20scan_config_selectorIN3c107complexIdEEEEZZNS1_9scan_implILNS1_25lookback_scan_determinismE0ELb0ELb0ES3_PKS7_PS7_S7_ZZZN2at6native31launch_logcumsumexp_cuda_kernelERKNSE_10TensorBaseESI_lENKUlvE_clEvENKUlvE1_clEvEUlS7_S7_E_S7_EEDaPvRmT3_T4_T5_mT6_P12ihipStream_tbENKUlT_T0_E_clISt17integral_constantIbLb1EESZ_EEDaSU_SV_EUlSU_E0_NS1_11comp_targetILNS1_3genE0ELNS1_11target_archE4294967295ELNS1_3gpuE0ELNS1_3repE0EEENS1_30default_config_static_selectorELNS0_4arch9wavefront6targetE0EEEvT1_
	.p2align	8
	.type	_ZN7rocprim17ROCPRIM_400000_NS6detail17trampoline_kernelINS0_14default_configENS1_20scan_config_selectorIN3c107complexIdEEEEZZNS1_9scan_implILNS1_25lookback_scan_determinismE0ELb0ELb0ES3_PKS7_PS7_S7_ZZZN2at6native31launch_logcumsumexp_cuda_kernelERKNSE_10TensorBaseESI_lENKUlvE_clEvENKUlvE1_clEvEUlS7_S7_E_S7_EEDaPvRmT3_T4_T5_mT6_P12ihipStream_tbENKUlT_T0_E_clISt17integral_constantIbLb1EESZ_EEDaSU_SV_EUlSU_E0_NS1_11comp_targetILNS1_3genE0ELNS1_11target_archE4294967295ELNS1_3gpuE0ELNS1_3repE0EEENS1_30default_config_static_selectorELNS0_4arch9wavefront6targetE0EEEvT1_,@function
_ZN7rocprim17ROCPRIM_400000_NS6detail17trampoline_kernelINS0_14default_configENS1_20scan_config_selectorIN3c107complexIdEEEEZZNS1_9scan_implILNS1_25lookback_scan_determinismE0ELb0ELb0ES3_PKS7_PS7_S7_ZZZN2at6native31launch_logcumsumexp_cuda_kernelERKNSE_10TensorBaseESI_lENKUlvE_clEvENKUlvE1_clEvEUlS7_S7_E_S7_EEDaPvRmT3_T4_T5_mT6_P12ihipStream_tbENKUlT_T0_E_clISt17integral_constantIbLb1EESZ_EEDaSU_SV_EUlSU_E0_NS1_11comp_targetILNS1_3genE0ELNS1_11target_archE4294967295ELNS1_3gpuE0ELNS1_3repE0EEENS1_30default_config_static_selectorELNS0_4arch9wavefront6targetE0EEEvT1_: ; @_ZN7rocprim17ROCPRIM_400000_NS6detail17trampoline_kernelINS0_14default_configENS1_20scan_config_selectorIN3c107complexIdEEEEZZNS1_9scan_implILNS1_25lookback_scan_determinismE0ELb0ELb0ES3_PKS7_PS7_S7_ZZZN2at6native31launch_logcumsumexp_cuda_kernelERKNSE_10TensorBaseESI_lENKUlvE_clEvENKUlvE1_clEvEUlS7_S7_E_S7_EEDaPvRmT3_T4_T5_mT6_P12ihipStream_tbENKUlT_T0_E_clISt17integral_constantIbLb1EESZ_EEDaSU_SV_EUlSU_E0_NS1_11comp_targetILNS1_3genE0ELNS1_11target_archE4294967295ELNS1_3gpuE0ELNS1_3repE0EEENS1_30default_config_static_selectorELNS0_4arch9wavefront6targetE0EEEvT1_
; %bb.0:
	.section	.rodata,"a",@progbits
	.p2align	6, 0x0
	.amdhsa_kernel _ZN7rocprim17ROCPRIM_400000_NS6detail17trampoline_kernelINS0_14default_configENS1_20scan_config_selectorIN3c107complexIdEEEEZZNS1_9scan_implILNS1_25lookback_scan_determinismE0ELb0ELb0ES3_PKS7_PS7_S7_ZZZN2at6native31launch_logcumsumexp_cuda_kernelERKNSE_10TensorBaseESI_lENKUlvE_clEvENKUlvE1_clEvEUlS7_S7_E_S7_EEDaPvRmT3_T4_T5_mT6_P12ihipStream_tbENKUlT_T0_E_clISt17integral_constantIbLb1EESZ_EEDaSU_SV_EUlSU_E0_NS1_11comp_targetILNS1_3genE0ELNS1_11target_archE4294967295ELNS1_3gpuE0ELNS1_3repE0EEENS1_30default_config_static_selectorELNS0_4arch9wavefront6targetE0EEEvT1_
		.amdhsa_group_segment_fixed_size 0
		.amdhsa_private_segment_fixed_size 0
		.amdhsa_kernarg_size 48
		.amdhsa_user_sgpr_count 15
		.amdhsa_user_sgpr_dispatch_ptr 0
		.amdhsa_user_sgpr_queue_ptr 0
		.amdhsa_user_sgpr_kernarg_segment_ptr 1
		.amdhsa_user_sgpr_dispatch_id 0
		.amdhsa_user_sgpr_private_segment_size 0
		.amdhsa_wavefront_size32 1
		.amdhsa_uses_dynamic_stack 0
		.amdhsa_enable_private_segment 0
		.amdhsa_system_sgpr_workgroup_id_x 1
		.amdhsa_system_sgpr_workgroup_id_y 0
		.amdhsa_system_sgpr_workgroup_id_z 0
		.amdhsa_system_sgpr_workgroup_info 0
		.amdhsa_system_vgpr_workitem_id 0
		.amdhsa_next_free_vgpr 1
		.amdhsa_next_free_sgpr 1
		.amdhsa_reserve_vcc 0
		.amdhsa_float_round_mode_32 0
		.amdhsa_float_round_mode_16_64 0
		.amdhsa_float_denorm_mode_32 3
		.amdhsa_float_denorm_mode_16_64 3
		.amdhsa_dx10_clamp 1
		.amdhsa_ieee_mode 1
		.amdhsa_fp16_overflow 0
		.amdhsa_workgroup_processor_mode 1
		.amdhsa_memory_ordered 1
		.amdhsa_forward_progress 0
		.amdhsa_shared_vgpr_count 0
		.amdhsa_exception_fp_ieee_invalid_op 0
		.amdhsa_exception_fp_denorm_src 0
		.amdhsa_exception_fp_ieee_div_zero 0
		.amdhsa_exception_fp_ieee_overflow 0
		.amdhsa_exception_fp_ieee_underflow 0
		.amdhsa_exception_fp_ieee_inexact 0
		.amdhsa_exception_int_div_zero 0
	.end_amdhsa_kernel
	.section	.text._ZN7rocprim17ROCPRIM_400000_NS6detail17trampoline_kernelINS0_14default_configENS1_20scan_config_selectorIN3c107complexIdEEEEZZNS1_9scan_implILNS1_25lookback_scan_determinismE0ELb0ELb0ES3_PKS7_PS7_S7_ZZZN2at6native31launch_logcumsumexp_cuda_kernelERKNSE_10TensorBaseESI_lENKUlvE_clEvENKUlvE1_clEvEUlS7_S7_E_S7_EEDaPvRmT3_T4_T5_mT6_P12ihipStream_tbENKUlT_T0_E_clISt17integral_constantIbLb1EESZ_EEDaSU_SV_EUlSU_E0_NS1_11comp_targetILNS1_3genE0ELNS1_11target_archE4294967295ELNS1_3gpuE0ELNS1_3repE0EEENS1_30default_config_static_selectorELNS0_4arch9wavefront6targetE0EEEvT1_,"axG",@progbits,_ZN7rocprim17ROCPRIM_400000_NS6detail17trampoline_kernelINS0_14default_configENS1_20scan_config_selectorIN3c107complexIdEEEEZZNS1_9scan_implILNS1_25lookback_scan_determinismE0ELb0ELb0ES3_PKS7_PS7_S7_ZZZN2at6native31launch_logcumsumexp_cuda_kernelERKNSE_10TensorBaseESI_lENKUlvE_clEvENKUlvE1_clEvEUlS7_S7_E_S7_EEDaPvRmT3_T4_T5_mT6_P12ihipStream_tbENKUlT_T0_E_clISt17integral_constantIbLb1EESZ_EEDaSU_SV_EUlSU_E0_NS1_11comp_targetILNS1_3genE0ELNS1_11target_archE4294967295ELNS1_3gpuE0ELNS1_3repE0EEENS1_30default_config_static_selectorELNS0_4arch9wavefront6targetE0EEEvT1_,comdat
.Lfunc_end216:
	.size	_ZN7rocprim17ROCPRIM_400000_NS6detail17trampoline_kernelINS0_14default_configENS1_20scan_config_selectorIN3c107complexIdEEEEZZNS1_9scan_implILNS1_25lookback_scan_determinismE0ELb0ELb0ES3_PKS7_PS7_S7_ZZZN2at6native31launch_logcumsumexp_cuda_kernelERKNSE_10TensorBaseESI_lENKUlvE_clEvENKUlvE1_clEvEUlS7_S7_E_S7_EEDaPvRmT3_T4_T5_mT6_P12ihipStream_tbENKUlT_T0_E_clISt17integral_constantIbLb1EESZ_EEDaSU_SV_EUlSU_E0_NS1_11comp_targetILNS1_3genE0ELNS1_11target_archE4294967295ELNS1_3gpuE0ELNS1_3repE0EEENS1_30default_config_static_selectorELNS0_4arch9wavefront6targetE0EEEvT1_, .Lfunc_end216-_ZN7rocprim17ROCPRIM_400000_NS6detail17trampoline_kernelINS0_14default_configENS1_20scan_config_selectorIN3c107complexIdEEEEZZNS1_9scan_implILNS1_25lookback_scan_determinismE0ELb0ELb0ES3_PKS7_PS7_S7_ZZZN2at6native31launch_logcumsumexp_cuda_kernelERKNSE_10TensorBaseESI_lENKUlvE_clEvENKUlvE1_clEvEUlS7_S7_E_S7_EEDaPvRmT3_T4_T5_mT6_P12ihipStream_tbENKUlT_T0_E_clISt17integral_constantIbLb1EESZ_EEDaSU_SV_EUlSU_E0_NS1_11comp_targetILNS1_3genE0ELNS1_11target_archE4294967295ELNS1_3gpuE0ELNS1_3repE0EEENS1_30default_config_static_selectorELNS0_4arch9wavefront6targetE0EEEvT1_
                                        ; -- End function
	.section	.AMDGPU.csdata,"",@progbits
; Kernel info:
; codeLenInByte = 0
; NumSgprs: 0
; NumVgprs: 0
; ScratchSize: 0
; MemoryBound: 0
; FloatMode: 240
; IeeeMode: 1
; LDSByteSize: 0 bytes/workgroup (compile time only)
; SGPRBlocks: 0
; VGPRBlocks: 0
; NumSGPRsForWavesPerEU: 1
; NumVGPRsForWavesPerEU: 1
; Occupancy: 16
; WaveLimiterHint : 0
; COMPUTE_PGM_RSRC2:SCRATCH_EN: 0
; COMPUTE_PGM_RSRC2:USER_SGPR: 15
; COMPUTE_PGM_RSRC2:TRAP_HANDLER: 0
; COMPUTE_PGM_RSRC2:TGID_X_EN: 1
; COMPUTE_PGM_RSRC2:TGID_Y_EN: 0
; COMPUTE_PGM_RSRC2:TGID_Z_EN: 0
; COMPUTE_PGM_RSRC2:TIDIG_COMP_CNT: 0
	.section	.text._ZN7rocprim17ROCPRIM_400000_NS6detail17trampoline_kernelINS0_14default_configENS1_20scan_config_selectorIN3c107complexIdEEEEZZNS1_9scan_implILNS1_25lookback_scan_determinismE0ELb0ELb0ES3_PKS7_PS7_S7_ZZZN2at6native31launch_logcumsumexp_cuda_kernelERKNSE_10TensorBaseESI_lENKUlvE_clEvENKUlvE1_clEvEUlS7_S7_E_S7_EEDaPvRmT3_T4_T5_mT6_P12ihipStream_tbENKUlT_T0_E_clISt17integral_constantIbLb1EESZ_EEDaSU_SV_EUlSU_E0_NS1_11comp_targetILNS1_3genE5ELNS1_11target_archE942ELNS1_3gpuE9ELNS1_3repE0EEENS1_30default_config_static_selectorELNS0_4arch9wavefront6targetE0EEEvT1_,"axG",@progbits,_ZN7rocprim17ROCPRIM_400000_NS6detail17trampoline_kernelINS0_14default_configENS1_20scan_config_selectorIN3c107complexIdEEEEZZNS1_9scan_implILNS1_25lookback_scan_determinismE0ELb0ELb0ES3_PKS7_PS7_S7_ZZZN2at6native31launch_logcumsumexp_cuda_kernelERKNSE_10TensorBaseESI_lENKUlvE_clEvENKUlvE1_clEvEUlS7_S7_E_S7_EEDaPvRmT3_T4_T5_mT6_P12ihipStream_tbENKUlT_T0_E_clISt17integral_constantIbLb1EESZ_EEDaSU_SV_EUlSU_E0_NS1_11comp_targetILNS1_3genE5ELNS1_11target_archE942ELNS1_3gpuE9ELNS1_3repE0EEENS1_30default_config_static_selectorELNS0_4arch9wavefront6targetE0EEEvT1_,comdat
	.globl	_ZN7rocprim17ROCPRIM_400000_NS6detail17trampoline_kernelINS0_14default_configENS1_20scan_config_selectorIN3c107complexIdEEEEZZNS1_9scan_implILNS1_25lookback_scan_determinismE0ELb0ELb0ES3_PKS7_PS7_S7_ZZZN2at6native31launch_logcumsumexp_cuda_kernelERKNSE_10TensorBaseESI_lENKUlvE_clEvENKUlvE1_clEvEUlS7_S7_E_S7_EEDaPvRmT3_T4_T5_mT6_P12ihipStream_tbENKUlT_T0_E_clISt17integral_constantIbLb1EESZ_EEDaSU_SV_EUlSU_E0_NS1_11comp_targetILNS1_3genE5ELNS1_11target_archE942ELNS1_3gpuE9ELNS1_3repE0EEENS1_30default_config_static_selectorELNS0_4arch9wavefront6targetE0EEEvT1_ ; -- Begin function _ZN7rocprim17ROCPRIM_400000_NS6detail17trampoline_kernelINS0_14default_configENS1_20scan_config_selectorIN3c107complexIdEEEEZZNS1_9scan_implILNS1_25lookback_scan_determinismE0ELb0ELb0ES3_PKS7_PS7_S7_ZZZN2at6native31launch_logcumsumexp_cuda_kernelERKNSE_10TensorBaseESI_lENKUlvE_clEvENKUlvE1_clEvEUlS7_S7_E_S7_EEDaPvRmT3_T4_T5_mT6_P12ihipStream_tbENKUlT_T0_E_clISt17integral_constantIbLb1EESZ_EEDaSU_SV_EUlSU_E0_NS1_11comp_targetILNS1_3genE5ELNS1_11target_archE942ELNS1_3gpuE9ELNS1_3repE0EEENS1_30default_config_static_selectorELNS0_4arch9wavefront6targetE0EEEvT1_
	.p2align	8
	.type	_ZN7rocprim17ROCPRIM_400000_NS6detail17trampoline_kernelINS0_14default_configENS1_20scan_config_selectorIN3c107complexIdEEEEZZNS1_9scan_implILNS1_25lookback_scan_determinismE0ELb0ELb0ES3_PKS7_PS7_S7_ZZZN2at6native31launch_logcumsumexp_cuda_kernelERKNSE_10TensorBaseESI_lENKUlvE_clEvENKUlvE1_clEvEUlS7_S7_E_S7_EEDaPvRmT3_T4_T5_mT6_P12ihipStream_tbENKUlT_T0_E_clISt17integral_constantIbLb1EESZ_EEDaSU_SV_EUlSU_E0_NS1_11comp_targetILNS1_3genE5ELNS1_11target_archE942ELNS1_3gpuE9ELNS1_3repE0EEENS1_30default_config_static_selectorELNS0_4arch9wavefront6targetE0EEEvT1_,@function
_ZN7rocprim17ROCPRIM_400000_NS6detail17trampoline_kernelINS0_14default_configENS1_20scan_config_selectorIN3c107complexIdEEEEZZNS1_9scan_implILNS1_25lookback_scan_determinismE0ELb0ELb0ES3_PKS7_PS7_S7_ZZZN2at6native31launch_logcumsumexp_cuda_kernelERKNSE_10TensorBaseESI_lENKUlvE_clEvENKUlvE1_clEvEUlS7_S7_E_S7_EEDaPvRmT3_T4_T5_mT6_P12ihipStream_tbENKUlT_T0_E_clISt17integral_constantIbLb1EESZ_EEDaSU_SV_EUlSU_E0_NS1_11comp_targetILNS1_3genE5ELNS1_11target_archE942ELNS1_3gpuE9ELNS1_3repE0EEENS1_30default_config_static_selectorELNS0_4arch9wavefront6targetE0EEEvT1_: ; @_ZN7rocprim17ROCPRIM_400000_NS6detail17trampoline_kernelINS0_14default_configENS1_20scan_config_selectorIN3c107complexIdEEEEZZNS1_9scan_implILNS1_25lookback_scan_determinismE0ELb0ELb0ES3_PKS7_PS7_S7_ZZZN2at6native31launch_logcumsumexp_cuda_kernelERKNSE_10TensorBaseESI_lENKUlvE_clEvENKUlvE1_clEvEUlS7_S7_E_S7_EEDaPvRmT3_T4_T5_mT6_P12ihipStream_tbENKUlT_T0_E_clISt17integral_constantIbLb1EESZ_EEDaSU_SV_EUlSU_E0_NS1_11comp_targetILNS1_3genE5ELNS1_11target_archE942ELNS1_3gpuE9ELNS1_3repE0EEENS1_30default_config_static_selectorELNS0_4arch9wavefront6targetE0EEEvT1_
; %bb.0:
	.section	.rodata,"a",@progbits
	.p2align	6, 0x0
	.amdhsa_kernel _ZN7rocprim17ROCPRIM_400000_NS6detail17trampoline_kernelINS0_14default_configENS1_20scan_config_selectorIN3c107complexIdEEEEZZNS1_9scan_implILNS1_25lookback_scan_determinismE0ELb0ELb0ES3_PKS7_PS7_S7_ZZZN2at6native31launch_logcumsumexp_cuda_kernelERKNSE_10TensorBaseESI_lENKUlvE_clEvENKUlvE1_clEvEUlS7_S7_E_S7_EEDaPvRmT3_T4_T5_mT6_P12ihipStream_tbENKUlT_T0_E_clISt17integral_constantIbLb1EESZ_EEDaSU_SV_EUlSU_E0_NS1_11comp_targetILNS1_3genE5ELNS1_11target_archE942ELNS1_3gpuE9ELNS1_3repE0EEENS1_30default_config_static_selectorELNS0_4arch9wavefront6targetE0EEEvT1_
		.amdhsa_group_segment_fixed_size 0
		.amdhsa_private_segment_fixed_size 0
		.amdhsa_kernarg_size 48
		.amdhsa_user_sgpr_count 15
		.amdhsa_user_sgpr_dispatch_ptr 0
		.amdhsa_user_sgpr_queue_ptr 0
		.amdhsa_user_sgpr_kernarg_segment_ptr 1
		.amdhsa_user_sgpr_dispatch_id 0
		.amdhsa_user_sgpr_private_segment_size 0
		.amdhsa_wavefront_size32 1
		.amdhsa_uses_dynamic_stack 0
		.amdhsa_enable_private_segment 0
		.amdhsa_system_sgpr_workgroup_id_x 1
		.amdhsa_system_sgpr_workgroup_id_y 0
		.amdhsa_system_sgpr_workgroup_id_z 0
		.amdhsa_system_sgpr_workgroup_info 0
		.amdhsa_system_vgpr_workitem_id 0
		.amdhsa_next_free_vgpr 1
		.amdhsa_next_free_sgpr 1
		.amdhsa_reserve_vcc 0
		.amdhsa_float_round_mode_32 0
		.amdhsa_float_round_mode_16_64 0
		.amdhsa_float_denorm_mode_32 3
		.amdhsa_float_denorm_mode_16_64 3
		.amdhsa_dx10_clamp 1
		.amdhsa_ieee_mode 1
		.amdhsa_fp16_overflow 0
		.amdhsa_workgroup_processor_mode 1
		.amdhsa_memory_ordered 1
		.amdhsa_forward_progress 0
		.amdhsa_shared_vgpr_count 0
		.amdhsa_exception_fp_ieee_invalid_op 0
		.amdhsa_exception_fp_denorm_src 0
		.amdhsa_exception_fp_ieee_div_zero 0
		.amdhsa_exception_fp_ieee_overflow 0
		.amdhsa_exception_fp_ieee_underflow 0
		.amdhsa_exception_fp_ieee_inexact 0
		.amdhsa_exception_int_div_zero 0
	.end_amdhsa_kernel
	.section	.text._ZN7rocprim17ROCPRIM_400000_NS6detail17trampoline_kernelINS0_14default_configENS1_20scan_config_selectorIN3c107complexIdEEEEZZNS1_9scan_implILNS1_25lookback_scan_determinismE0ELb0ELb0ES3_PKS7_PS7_S7_ZZZN2at6native31launch_logcumsumexp_cuda_kernelERKNSE_10TensorBaseESI_lENKUlvE_clEvENKUlvE1_clEvEUlS7_S7_E_S7_EEDaPvRmT3_T4_T5_mT6_P12ihipStream_tbENKUlT_T0_E_clISt17integral_constantIbLb1EESZ_EEDaSU_SV_EUlSU_E0_NS1_11comp_targetILNS1_3genE5ELNS1_11target_archE942ELNS1_3gpuE9ELNS1_3repE0EEENS1_30default_config_static_selectorELNS0_4arch9wavefront6targetE0EEEvT1_,"axG",@progbits,_ZN7rocprim17ROCPRIM_400000_NS6detail17trampoline_kernelINS0_14default_configENS1_20scan_config_selectorIN3c107complexIdEEEEZZNS1_9scan_implILNS1_25lookback_scan_determinismE0ELb0ELb0ES3_PKS7_PS7_S7_ZZZN2at6native31launch_logcumsumexp_cuda_kernelERKNSE_10TensorBaseESI_lENKUlvE_clEvENKUlvE1_clEvEUlS7_S7_E_S7_EEDaPvRmT3_T4_T5_mT6_P12ihipStream_tbENKUlT_T0_E_clISt17integral_constantIbLb1EESZ_EEDaSU_SV_EUlSU_E0_NS1_11comp_targetILNS1_3genE5ELNS1_11target_archE942ELNS1_3gpuE9ELNS1_3repE0EEENS1_30default_config_static_selectorELNS0_4arch9wavefront6targetE0EEEvT1_,comdat
.Lfunc_end217:
	.size	_ZN7rocprim17ROCPRIM_400000_NS6detail17trampoline_kernelINS0_14default_configENS1_20scan_config_selectorIN3c107complexIdEEEEZZNS1_9scan_implILNS1_25lookback_scan_determinismE0ELb0ELb0ES3_PKS7_PS7_S7_ZZZN2at6native31launch_logcumsumexp_cuda_kernelERKNSE_10TensorBaseESI_lENKUlvE_clEvENKUlvE1_clEvEUlS7_S7_E_S7_EEDaPvRmT3_T4_T5_mT6_P12ihipStream_tbENKUlT_T0_E_clISt17integral_constantIbLb1EESZ_EEDaSU_SV_EUlSU_E0_NS1_11comp_targetILNS1_3genE5ELNS1_11target_archE942ELNS1_3gpuE9ELNS1_3repE0EEENS1_30default_config_static_selectorELNS0_4arch9wavefront6targetE0EEEvT1_, .Lfunc_end217-_ZN7rocprim17ROCPRIM_400000_NS6detail17trampoline_kernelINS0_14default_configENS1_20scan_config_selectorIN3c107complexIdEEEEZZNS1_9scan_implILNS1_25lookback_scan_determinismE0ELb0ELb0ES3_PKS7_PS7_S7_ZZZN2at6native31launch_logcumsumexp_cuda_kernelERKNSE_10TensorBaseESI_lENKUlvE_clEvENKUlvE1_clEvEUlS7_S7_E_S7_EEDaPvRmT3_T4_T5_mT6_P12ihipStream_tbENKUlT_T0_E_clISt17integral_constantIbLb1EESZ_EEDaSU_SV_EUlSU_E0_NS1_11comp_targetILNS1_3genE5ELNS1_11target_archE942ELNS1_3gpuE9ELNS1_3repE0EEENS1_30default_config_static_selectorELNS0_4arch9wavefront6targetE0EEEvT1_
                                        ; -- End function
	.section	.AMDGPU.csdata,"",@progbits
; Kernel info:
; codeLenInByte = 0
; NumSgprs: 0
; NumVgprs: 0
; ScratchSize: 0
; MemoryBound: 0
; FloatMode: 240
; IeeeMode: 1
; LDSByteSize: 0 bytes/workgroup (compile time only)
; SGPRBlocks: 0
; VGPRBlocks: 0
; NumSGPRsForWavesPerEU: 1
; NumVGPRsForWavesPerEU: 1
; Occupancy: 16
; WaveLimiterHint : 0
; COMPUTE_PGM_RSRC2:SCRATCH_EN: 0
; COMPUTE_PGM_RSRC2:USER_SGPR: 15
; COMPUTE_PGM_RSRC2:TRAP_HANDLER: 0
; COMPUTE_PGM_RSRC2:TGID_X_EN: 1
; COMPUTE_PGM_RSRC2:TGID_Y_EN: 0
; COMPUTE_PGM_RSRC2:TGID_Z_EN: 0
; COMPUTE_PGM_RSRC2:TIDIG_COMP_CNT: 0
	.section	.text._ZN7rocprim17ROCPRIM_400000_NS6detail17trampoline_kernelINS0_14default_configENS1_20scan_config_selectorIN3c107complexIdEEEEZZNS1_9scan_implILNS1_25lookback_scan_determinismE0ELb0ELb0ES3_PKS7_PS7_S7_ZZZN2at6native31launch_logcumsumexp_cuda_kernelERKNSE_10TensorBaseESI_lENKUlvE_clEvENKUlvE1_clEvEUlS7_S7_E_S7_EEDaPvRmT3_T4_T5_mT6_P12ihipStream_tbENKUlT_T0_E_clISt17integral_constantIbLb1EESZ_EEDaSU_SV_EUlSU_E0_NS1_11comp_targetILNS1_3genE4ELNS1_11target_archE910ELNS1_3gpuE8ELNS1_3repE0EEENS1_30default_config_static_selectorELNS0_4arch9wavefront6targetE0EEEvT1_,"axG",@progbits,_ZN7rocprim17ROCPRIM_400000_NS6detail17trampoline_kernelINS0_14default_configENS1_20scan_config_selectorIN3c107complexIdEEEEZZNS1_9scan_implILNS1_25lookback_scan_determinismE0ELb0ELb0ES3_PKS7_PS7_S7_ZZZN2at6native31launch_logcumsumexp_cuda_kernelERKNSE_10TensorBaseESI_lENKUlvE_clEvENKUlvE1_clEvEUlS7_S7_E_S7_EEDaPvRmT3_T4_T5_mT6_P12ihipStream_tbENKUlT_T0_E_clISt17integral_constantIbLb1EESZ_EEDaSU_SV_EUlSU_E0_NS1_11comp_targetILNS1_3genE4ELNS1_11target_archE910ELNS1_3gpuE8ELNS1_3repE0EEENS1_30default_config_static_selectorELNS0_4arch9wavefront6targetE0EEEvT1_,comdat
	.globl	_ZN7rocprim17ROCPRIM_400000_NS6detail17trampoline_kernelINS0_14default_configENS1_20scan_config_selectorIN3c107complexIdEEEEZZNS1_9scan_implILNS1_25lookback_scan_determinismE0ELb0ELb0ES3_PKS7_PS7_S7_ZZZN2at6native31launch_logcumsumexp_cuda_kernelERKNSE_10TensorBaseESI_lENKUlvE_clEvENKUlvE1_clEvEUlS7_S7_E_S7_EEDaPvRmT3_T4_T5_mT6_P12ihipStream_tbENKUlT_T0_E_clISt17integral_constantIbLb1EESZ_EEDaSU_SV_EUlSU_E0_NS1_11comp_targetILNS1_3genE4ELNS1_11target_archE910ELNS1_3gpuE8ELNS1_3repE0EEENS1_30default_config_static_selectorELNS0_4arch9wavefront6targetE0EEEvT1_ ; -- Begin function _ZN7rocprim17ROCPRIM_400000_NS6detail17trampoline_kernelINS0_14default_configENS1_20scan_config_selectorIN3c107complexIdEEEEZZNS1_9scan_implILNS1_25lookback_scan_determinismE0ELb0ELb0ES3_PKS7_PS7_S7_ZZZN2at6native31launch_logcumsumexp_cuda_kernelERKNSE_10TensorBaseESI_lENKUlvE_clEvENKUlvE1_clEvEUlS7_S7_E_S7_EEDaPvRmT3_T4_T5_mT6_P12ihipStream_tbENKUlT_T0_E_clISt17integral_constantIbLb1EESZ_EEDaSU_SV_EUlSU_E0_NS1_11comp_targetILNS1_3genE4ELNS1_11target_archE910ELNS1_3gpuE8ELNS1_3repE0EEENS1_30default_config_static_selectorELNS0_4arch9wavefront6targetE0EEEvT1_
	.p2align	8
	.type	_ZN7rocprim17ROCPRIM_400000_NS6detail17trampoline_kernelINS0_14default_configENS1_20scan_config_selectorIN3c107complexIdEEEEZZNS1_9scan_implILNS1_25lookback_scan_determinismE0ELb0ELb0ES3_PKS7_PS7_S7_ZZZN2at6native31launch_logcumsumexp_cuda_kernelERKNSE_10TensorBaseESI_lENKUlvE_clEvENKUlvE1_clEvEUlS7_S7_E_S7_EEDaPvRmT3_T4_T5_mT6_P12ihipStream_tbENKUlT_T0_E_clISt17integral_constantIbLb1EESZ_EEDaSU_SV_EUlSU_E0_NS1_11comp_targetILNS1_3genE4ELNS1_11target_archE910ELNS1_3gpuE8ELNS1_3repE0EEENS1_30default_config_static_selectorELNS0_4arch9wavefront6targetE0EEEvT1_,@function
_ZN7rocprim17ROCPRIM_400000_NS6detail17trampoline_kernelINS0_14default_configENS1_20scan_config_selectorIN3c107complexIdEEEEZZNS1_9scan_implILNS1_25lookback_scan_determinismE0ELb0ELb0ES3_PKS7_PS7_S7_ZZZN2at6native31launch_logcumsumexp_cuda_kernelERKNSE_10TensorBaseESI_lENKUlvE_clEvENKUlvE1_clEvEUlS7_S7_E_S7_EEDaPvRmT3_T4_T5_mT6_P12ihipStream_tbENKUlT_T0_E_clISt17integral_constantIbLb1EESZ_EEDaSU_SV_EUlSU_E0_NS1_11comp_targetILNS1_3genE4ELNS1_11target_archE910ELNS1_3gpuE8ELNS1_3repE0EEENS1_30default_config_static_selectorELNS0_4arch9wavefront6targetE0EEEvT1_: ; @_ZN7rocprim17ROCPRIM_400000_NS6detail17trampoline_kernelINS0_14default_configENS1_20scan_config_selectorIN3c107complexIdEEEEZZNS1_9scan_implILNS1_25lookback_scan_determinismE0ELb0ELb0ES3_PKS7_PS7_S7_ZZZN2at6native31launch_logcumsumexp_cuda_kernelERKNSE_10TensorBaseESI_lENKUlvE_clEvENKUlvE1_clEvEUlS7_S7_E_S7_EEDaPvRmT3_T4_T5_mT6_P12ihipStream_tbENKUlT_T0_E_clISt17integral_constantIbLb1EESZ_EEDaSU_SV_EUlSU_E0_NS1_11comp_targetILNS1_3genE4ELNS1_11target_archE910ELNS1_3gpuE8ELNS1_3repE0EEENS1_30default_config_static_selectorELNS0_4arch9wavefront6targetE0EEEvT1_
; %bb.0:
	.section	.rodata,"a",@progbits
	.p2align	6, 0x0
	.amdhsa_kernel _ZN7rocprim17ROCPRIM_400000_NS6detail17trampoline_kernelINS0_14default_configENS1_20scan_config_selectorIN3c107complexIdEEEEZZNS1_9scan_implILNS1_25lookback_scan_determinismE0ELb0ELb0ES3_PKS7_PS7_S7_ZZZN2at6native31launch_logcumsumexp_cuda_kernelERKNSE_10TensorBaseESI_lENKUlvE_clEvENKUlvE1_clEvEUlS7_S7_E_S7_EEDaPvRmT3_T4_T5_mT6_P12ihipStream_tbENKUlT_T0_E_clISt17integral_constantIbLb1EESZ_EEDaSU_SV_EUlSU_E0_NS1_11comp_targetILNS1_3genE4ELNS1_11target_archE910ELNS1_3gpuE8ELNS1_3repE0EEENS1_30default_config_static_selectorELNS0_4arch9wavefront6targetE0EEEvT1_
		.amdhsa_group_segment_fixed_size 0
		.amdhsa_private_segment_fixed_size 0
		.amdhsa_kernarg_size 48
		.amdhsa_user_sgpr_count 15
		.amdhsa_user_sgpr_dispatch_ptr 0
		.amdhsa_user_sgpr_queue_ptr 0
		.amdhsa_user_sgpr_kernarg_segment_ptr 1
		.amdhsa_user_sgpr_dispatch_id 0
		.amdhsa_user_sgpr_private_segment_size 0
		.amdhsa_wavefront_size32 1
		.amdhsa_uses_dynamic_stack 0
		.amdhsa_enable_private_segment 0
		.amdhsa_system_sgpr_workgroup_id_x 1
		.amdhsa_system_sgpr_workgroup_id_y 0
		.amdhsa_system_sgpr_workgroup_id_z 0
		.amdhsa_system_sgpr_workgroup_info 0
		.amdhsa_system_vgpr_workitem_id 0
		.amdhsa_next_free_vgpr 1
		.amdhsa_next_free_sgpr 1
		.amdhsa_reserve_vcc 0
		.amdhsa_float_round_mode_32 0
		.amdhsa_float_round_mode_16_64 0
		.amdhsa_float_denorm_mode_32 3
		.amdhsa_float_denorm_mode_16_64 3
		.amdhsa_dx10_clamp 1
		.amdhsa_ieee_mode 1
		.amdhsa_fp16_overflow 0
		.amdhsa_workgroup_processor_mode 1
		.amdhsa_memory_ordered 1
		.amdhsa_forward_progress 0
		.amdhsa_shared_vgpr_count 0
		.amdhsa_exception_fp_ieee_invalid_op 0
		.amdhsa_exception_fp_denorm_src 0
		.amdhsa_exception_fp_ieee_div_zero 0
		.amdhsa_exception_fp_ieee_overflow 0
		.amdhsa_exception_fp_ieee_underflow 0
		.amdhsa_exception_fp_ieee_inexact 0
		.amdhsa_exception_int_div_zero 0
	.end_amdhsa_kernel
	.section	.text._ZN7rocprim17ROCPRIM_400000_NS6detail17trampoline_kernelINS0_14default_configENS1_20scan_config_selectorIN3c107complexIdEEEEZZNS1_9scan_implILNS1_25lookback_scan_determinismE0ELb0ELb0ES3_PKS7_PS7_S7_ZZZN2at6native31launch_logcumsumexp_cuda_kernelERKNSE_10TensorBaseESI_lENKUlvE_clEvENKUlvE1_clEvEUlS7_S7_E_S7_EEDaPvRmT3_T4_T5_mT6_P12ihipStream_tbENKUlT_T0_E_clISt17integral_constantIbLb1EESZ_EEDaSU_SV_EUlSU_E0_NS1_11comp_targetILNS1_3genE4ELNS1_11target_archE910ELNS1_3gpuE8ELNS1_3repE0EEENS1_30default_config_static_selectorELNS0_4arch9wavefront6targetE0EEEvT1_,"axG",@progbits,_ZN7rocprim17ROCPRIM_400000_NS6detail17trampoline_kernelINS0_14default_configENS1_20scan_config_selectorIN3c107complexIdEEEEZZNS1_9scan_implILNS1_25lookback_scan_determinismE0ELb0ELb0ES3_PKS7_PS7_S7_ZZZN2at6native31launch_logcumsumexp_cuda_kernelERKNSE_10TensorBaseESI_lENKUlvE_clEvENKUlvE1_clEvEUlS7_S7_E_S7_EEDaPvRmT3_T4_T5_mT6_P12ihipStream_tbENKUlT_T0_E_clISt17integral_constantIbLb1EESZ_EEDaSU_SV_EUlSU_E0_NS1_11comp_targetILNS1_3genE4ELNS1_11target_archE910ELNS1_3gpuE8ELNS1_3repE0EEENS1_30default_config_static_selectorELNS0_4arch9wavefront6targetE0EEEvT1_,comdat
.Lfunc_end218:
	.size	_ZN7rocprim17ROCPRIM_400000_NS6detail17trampoline_kernelINS0_14default_configENS1_20scan_config_selectorIN3c107complexIdEEEEZZNS1_9scan_implILNS1_25lookback_scan_determinismE0ELb0ELb0ES3_PKS7_PS7_S7_ZZZN2at6native31launch_logcumsumexp_cuda_kernelERKNSE_10TensorBaseESI_lENKUlvE_clEvENKUlvE1_clEvEUlS7_S7_E_S7_EEDaPvRmT3_T4_T5_mT6_P12ihipStream_tbENKUlT_T0_E_clISt17integral_constantIbLb1EESZ_EEDaSU_SV_EUlSU_E0_NS1_11comp_targetILNS1_3genE4ELNS1_11target_archE910ELNS1_3gpuE8ELNS1_3repE0EEENS1_30default_config_static_selectorELNS0_4arch9wavefront6targetE0EEEvT1_, .Lfunc_end218-_ZN7rocprim17ROCPRIM_400000_NS6detail17trampoline_kernelINS0_14default_configENS1_20scan_config_selectorIN3c107complexIdEEEEZZNS1_9scan_implILNS1_25lookback_scan_determinismE0ELb0ELb0ES3_PKS7_PS7_S7_ZZZN2at6native31launch_logcumsumexp_cuda_kernelERKNSE_10TensorBaseESI_lENKUlvE_clEvENKUlvE1_clEvEUlS7_S7_E_S7_EEDaPvRmT3_T4_T5_mT6_P12ihipStream_tbENKUlT_T0_E_clISt17integral_constantIbLb1EESZ_EEDaSU_SV_EUlSU_E0_NS1_11comp_targetILNS1_3genE4ELNS1_11target_archE910ELNS1_3gpuE8ELNS1_3repE0EEENS1_30default_config_static_selectorELNS0_4arch9wavefront6targetE0EEEvT1_
                                        ; -- End function
	.section	.AMDGPU.csdata,"",@progbits
; Kernel info:
; codeLenInByte = 0
; NumSgprs: 0
; NumVgprs: 0
; ScratchSize: 0
; MemoryBound: 0
; FloatMode: 240
; IeeeMode: 1
; LDSByteSize: 0 bytes/workgroup (compile time only)
; SGPRBlocks: 0
; VGPRBlocks: 0
; NumSGPRsForWavesPerEU: 1
; NumVGPRsForWavesPerEU: 1
; Occupancy: 16
; WaveLimiterHint : 0
; COMPUTE_PGM_RSRC2:SCRATCH_EN: 0
; COMPUTE_PGM_RSRC2:USER_SGPR: 15
; COMPUTE_PGM_RSRC2:TRAP_HANDLER: 0
; COMPUTE_PGM_RSRC2:TGID_X_EN: 1
; COMPUTE_PGM_RSRC2:TGID_Y_EN: 0
; COMPUTE_PGM_RSRC2:TGID_Z_EN: 0
; COMPUTE_PGM_RSRC2:TIDIG_COMP_CNT: 0
	.section	.text._ZN7rocprim17ROCPRIM_400000_NS6detail17trampoline_kernelINS0_14default_configENS1_20scan_config_selectorIN3c107complexIdEEEEZZNS1_9scan_implILNS1_25lookback_scan_determinismE0ELb0ELb0ES3_PKS7_PS7_S7_ZZZN2at6native31launch_logcumsumexp_cuda_kernelERKNSE_10TensorBaseESI_lENKUlvE_clEvENKUlvE1_clEvEUlS7_S7_E_S7_EEDaPvRmT3_T4_T5_mT6_P12ihipStream_tbENKUlT_T0_E_clISt17integral_constantIbLb1EESZ_EEDaSU_SV_EUlSU_E0_NS1_11comp_targetILNS1_3genE3ELNS1_11target_archE908ELNS1_3gpuE7ELNS1_3repE0EEENS1_30default_config_static_selectorELNS0_4arch9wavefront6targetE0EEEvT1_,"axG",@progbits,_ZN7rocprim17ROCPRIM_400000_NS6detail17trampoline_kernelINS0_14default_configENS1_20scan_config_selectorIN3c107complexIdEEEEZZNS1_9scan_implILNS1_25lookback_scan_determinismE0ELb0ELb0ES3_PKS7_PS7_S7_ZZZN2at6native31launch_logcumsumexp_cuda_kernelERKNSE_10TensorBaseESI_lENKUlvE_clEvENKUlvE1_clEvEUlS7_S7_E_S7_EEDaPvRmT3_T4_T5_mT6_P12ihipStream_tbENKUlT_T0_E_clISt17integral_constantIbLb1EESZ_EEDaSU_SV_EUlSU_E0_NS1_11comp_targetILNS1_3genE3ELNS1_11target_archE908ELNS1_3gpuE7ELNS1_3repE0EEENS1_30default_config_static_selectorELNS0_4arch9wavefront6targetE0EEEvT1_,comdat
	.globl	_ZN7rocprim17ROCPRIM_400000_NS6detail17trampoline_kernelINS0_14default_configENS1_20scan_config_selectorIN3c107complexIdEEEEZZNS1_9scan_implILNS1_25lookback_scan_determinismE0ELb0ELb0ES3_PKS7_PS7_S7_ZZZN2at6native31launch_logcumsumexp_cuda_kernelERKNSE_10TensorBaseESI_lENKUlvE_clEvENKUlvE1_clEvEUlS7_S7_E_S7_EEDaPvRmT3_T4_T5_mT6_P12ihipStream_tbENKUlT_T0_E_clISt17integral_constantIbLb1EESZ_EEDaSU_SV_EUlSU_E0_NS1_11comp_targetILNS1_3genE3ELNS1_11target_archE908ELNS1_3gpuE7ELNS1_3repE0EEENS1_30default_config_static_selectorELNS0_4arch9wavefront6targetE0EEEvT1_ ; -- Begin function _ZN7rocprim17ROCPRIM_400000_NS6detail17trampoline_kernelINS0_14default_configENS1_20scan_config_selectorIN3c107complexIdEEEEZZNS1_9scan_implILNS1_25lookback_scan_determinismE0ELb0ELb0ES3_PKS7_PS7_S7_ZZZN2at6native31launch_logcumsumexp_cuda_kernelERKNSE_10TensorBaseESI_lENKUlvE_clEvENKUlvE1_clEvEUlS7_S7_E_S7_EEDaPvRmT3_T4_T5_mT6_P12ihipStream_tbENKUlT_T0_E_clISt17integral_constantIbLb1EESZ_EEDaSU_SV_EUlSU_E0_NS1_11comp_targetILNS1_3genE3ELNS1_11target_archE908ELNS1_3gpuE7ELNS1_3repE0EEENS1_30default_config_static_selectorELNS0_4arch9wavefront6targetE0EEEvT1_
	.p2align	8
	.type	_ZN7rocprim17ROCPRIM_400000_NS6detail17trampoline_kernelINS0_14default_configENS1_20scan_config_selectorIN3c107complexIdEEEEZZNS1_9scan_implILNS1_25lookback_scan_determinismE0ELb0ELb0ES3_PKS7_PS7_S7_ZZZN2at6native31launch_logcumsumexp_cuda_kernelERKNSE_10TensorBaseESI_lENKUlvE_clEvENKUlvE1_clEvEUlS7_S7_E_S7_EEDaPvRmT3_T4_T5_mT6_P12ihipStream_tbENKUlT_T0_E_clISt17integral_constantIbLb1EESZ_EEDaSU_SV_EUlSU_E0_NS1_11comp_targetILNS1_3genE3ELNS1_11target_archE908ELNS1_3gpuE7ELNS1_3repE0EEENS1_30default_config_static_selectorELNS0_4arch9wavefront6targetE0EEEvT1_,@function
_ZN7rocprim17ROCPRIM_400000_NS6detail17trampoline_kernelINS0_14default_configENS1_20scan_config_selectorIN3c107complexIdEEEEZZNS1_9scan_implILNS1_25lookback_scan_determinismE0ELb0ELb0ES3_PKS7_PS7_S7_ZZZN2at6native31launch_logcumsumexp_cuda_kernelERKNSE_10TensorBaseESI_lENKUlvE_clEvENKUlvE1_clEvEUlS7_S7_E_S7_EEDaPvRmT3_T4_T5_mT6_P12ihipStream_tbENKUlT_T0_E_clISt17integral_constantIbLb1EESZ_EEDaSU_SV_EUlSU_E0_NS1_11comp_targetILNS1_3genE3ELNS1_11target_archE908ELNS1_3gpuE7ELNS1_3repE0EEENS1_30default_config_static_selectorELNS0_4arch9wavefront6targetE0EEEvT1_: ; @_ZN7rocprim17ROCPRIM_400000_NS6detail17trampoline_kernelINS0_14default_configENS1_20scan_config_selectorIN3c107complexIdEEEEZZNS1_9scan_implILNS1_25lookback_scan_determinismE0ELb0ELb0ES3_PKS7_PS7_S7_ZZZN2at6native31launch_logcumsumexp_cuda_kernelERKNSE_10TensorBaseESI_lENKUlvE_clEvENKUlvE1_clEvEUlS7_S7_E_S7_EEDaPvRmT3_T4_T5_mT6_P12ihipStream_tbENKUlT_T0_E_clISt17integral_constantIbLb1EESZ_EEDaSU_SV_EUlSU_E0_NS1_11comp_targetILNS1_3genE3ELNS1_11target_archE908ELNS1_3gpuE7ELNS1_3repE0EEENS1_30default_config_static_selectorELNS0_4arch9wavefront6targetE0EEEvT1_
; %bb.0:
	.section	.rodata,"a",@progbits
	.p2align	6, 0x0
	.amdhsa_kernel _ZN7rocprim17ROCPRIM_400000_NS6detail17trampoline_kernelINS0_14default_configENS1_20scan_config_selectorIN3c107complexIdEEEEZZNS1_9scan_implILNS1_25lookback_scan_determinismE0ELb0ELb0ES3_PKS7_PS7_S7_ZZZN2at6native31launch_logcumsumexp_cuda_kernelERKNSE_10TensorBaseESI_lENKUlvE_clEvENKUlvE1_clEvEUlS7_S7_E_S7_EEDaPvRmT3_T4_T5_mT6_P12ihipStream_tbENKUlT_T0_E_clISt17integral_constantIbLb1EESZ_EEDaSU_SV_EUlSU_E0_NS1_11comp_targetILNS1_3genE3ELNS1_11target_archE908ELNS1_3gpuE7ELNS1_3repE0EEENS1_30default_config_static_selectorELNS0_4arch9wavefront6targetE0EEEvT1_
		.amdhsa_group_segment_fixed_size 0
		.amdhsa_private_segment_fixed_size 0
		.amdhsa_kernarg_size 48
		.amdhsa_user_sgpr_count 15
		.amdhsa_user_sgpr_dispatch_ptr 0
		.amdhsa_user_sgpr_queue_ptr 0
		.amdhsa_user_sgpr_kernarg_segment_ptr 1
		.amdhsa_user_sgpr_dispatch_id 0
		.amdhsa_user_sgpr_private_segment_size 0
		.amdhsa_wavefront_size32 1
		.amdhsa_uses_dynamic_stack 0
		.amdhsa_enable_private_segment 0
		.amdhsa_system_sgpr_workgroup_id_x 1
		.amdhsa_system_sgpr_workgroup_id_y 0
		.amdhsa_system_sgpr_workgroup_id_z 0
		.amdhsa_system_sgpr_workgroup_info 0
		.amdhsa_system_vgpr_workitem_id 0
		.amdhsa_next_free_vgpr 1
		.amdhsa_next_free_sgpr 1
		.amdhsa_reserve_vcc 0
		.amdhsa_float_round_mode_32 0
		.amdhsa_float_round_mode_16_64 0
		.amdhsa_float_denorm_mode_32 3
		.amdhsa_float_denorm_mode_16_64 3
		.amdhsa_dx10_clamp 1
		.amdhsa_ieee_mode 1
		.amdhsa_fp16_overflow 0
		.amdhsa_workgroup_processor_mode 1
		.amdhsa_memory_ordered 1
		.amdhsa_forward_progress 0
		.amdhsa_shared_vgpr_count 0
		.amdhsa_exception_fp_ieee_invalid_op 0
		.amdhsa_exception_fp_denorm_src 0
		.amdhsa_exception_fp_ieee_div_zero 0
		.amdhsa_exception_fp_ieee_overflow 0
		.amdhsa_exception_fp_ieee_underflow 0
		.amdhsa_exception_fp_ieee_inexact 0
		.amdhsa_exception_int_div_zero 0
	.end_amdhsa_kernel
	.section	.text._ZN7rocprim17ROCPRIM_400000_NS6detail17trampoline_kernelINS0_14default_configENS1_20scan_config_selectorIN3c107complexIdEEEEZZNS1_9scan_implILNS1_25lookback_scan_determinismE0ELb0ELb0ES3_PKS7_PS7_S7_ZZZN2at6native31launch_logcumsumexp_cuda_kernelERKNSE_10TensorBaseESI_lENKUlvE_clEvENKUlvE1_clEvEUlS7_S7_E_S7_EEDaPvRmT3_T4_T5_mT6_P12ihipStream_tbENKUlT_T0_E_clISt17integral_constantIbLb1EESZ_EEDaSU_SV_EUlSU_E0_NS1_11comp_targetILNS1_3genE3ELNS1_11target_archE908ELNS1_3gpuE7ELNS1_3repE0EEENS1_30default_config_static_selectorELNS0_4arch9wavefront6targetE0EEEvT1_,"axG",@progbits,_ZN7rocprim17ROCPRIM_400000_NS6detail17trampoline_kernelINS0_14default_configENS1_20scan_config_selectorIN3c107complexIdEEEEZZNS1_9scan_implILNS1_25lookback_scan_determinismE0ELb0ELb0ES3_PKS7_PS7_S7_ZZZN2at6native31launch_logcumsumexp_cuda_kernelERKNSE_10TensorBaseESI_lENKUlvE_clEvENKUlvE1_clEvEUlS7_S7_E_S7_EEDaPvRmT3_T4_T5_mT6_P12ihipStream_tbENKUlT_T0_E_clISt17integral_constantIbLb1EESZ_EEDaSU_SV_EUlSU_E0_NS1_11comp_targetILNS1_3genE3ELNS1_11target_archE908ELNS1_3gpuE7ELNS1_3repE0EEENS1_30default_config_static_selectorELNS0_4arch9wavefront6targetE0EEEvT1_,comdat
.Lfunc_end219:
	.size	_ZN7rocprim17ROCPRIM_400000_NS6detail17trampoline_kernelINS0_14default_configENS1_20scan_config_selectorIN3c107complexIdEEEEZZNS1_9scan_implILNS1_25lookback_scan_determinismE0ELb0ELb0ES3_PKS7_PS7_S7_ZZZN2at6native31launch_logcumsumexp_cuda_kernelERKNSE_10TensorBaseESI_lENKUlvE_clEvENKUlvE1_clEvEUlS7_S7_E_S7_EEDaPvRmT3_T4_T5_mT6_P12ihipStream_tbENKUlT_T0_E_clISt17integral_constantIbLb1EESZ_EEDaSU_SV_EUlSU_E0_NS1_11comp_targetILNS1_3genE3ELNS1_11target_archE908ELNS1_3gpuE7ELNS1_3repE0EEENS1_30default_config_static_selectorELNS0_4arch9wavefront6targetE0EEEvT1_, .Lfunc_end219-_ZN7rocprim17ROCPRIM_400000_NS6detail17trampoline_kernelINS0_14default_configENS1_20scan_config_selectorIN3c107complexIdEEEEZZNS1_9scan_implILNS1_25lookback_scan_determinismE0ELb0ELb0ES3_PKS7_PS7_S7_ZZZN2at6native31launch_logcumsumexp_cuda_kernelERKNSE_10TensorBaseESI_lENKUlvE_clEvENKUlvE1_clEvEUlS7_S7_E_S7_EEDaPvRmT3_T4_T5_mT6_P12ihipStream_tbENKUlT_T0_E_clISt17integral_constantIbLb1EESZ_EEDaSU_SV_EUlSU_E0_NS1_11comp_targetILNS1_3genE3ELNS1_11target_archE908ELNS1_3gpuE7ELNS1_3repE0EEENS1_30default_config_static_selectorELNS0_4arch9wavefront6targetE0EEEvT1_
                                        ; -- End function
	.section	.AMDGPU.csdata,"",@progbits
; Kernel info:
; codeLenInByte = 0
; NumSgprs: 0
; NumVgprs: 0
; ScratchSize: 0
; MemoryBound: 0
; FloatMode: 240
; IeeeMode: 1
; LDSByteSize: 0 bytes/workgroup (compile time only)
; SGPRBlocks: 0
; VGPRBlocks: 0
; NumSGPRsForWavesPerEU: 1
; NumVGPRsForWavesPerEU: 1
; Occupancy: 16
; WaveLimiterHint : 0
; COMPUTE_PGM_RSRC2:SCRATCH_EN: 0
; COMPUTE_PGM_RSRC2:USER_SGPR: 15
; COMPUTE_PGM_RSRC2:TRAP_HANDLER: 0
; COMPUTE_PGM_RSRC2:TGID_X_EN: 1
; COMPUTE_PGM_RSRC2:TGID_Y_EN: 0
; COMPUTE_PGM_RSRC2:TGID_Z_EN: 0
; COMPUTE_PGM_RSRC2:TIDIG_COMP_CNT: 0
	.section	.text._ZN7rocprim17ROCPRIM_400000_NS6detail17trampoline_kernelINS0_14default_configENS1_20scan_config_selectorIN3c107complexIdEEEEZZNS1_9scan_implILNS1_25lookback_scan_determinismE0ELb0ELb0ES3_PKS7_PS7_S7_ZZZN2at6native31launch_logcumsumexp_cuda_kernelERKNSE_10TensorBaseESI_lENKUlvE_clEvENKUlvE1_clEvEUlS7_S7_E_S7_EEDaPvRmT3_T4_T5_mT6_P12ihipStream_tbENKUlT_T0_E_clISt17integral_constantIbLb1EESZ_EEDaSU_SV_EUlSU_E0_NS1_11comp_targetILNS1_3genE2ELNS1_11target_archE906ELNS1_3gpuE6ELNS1_3repE0EEENS1_30default_config_static_selectorELNS0_4arch9wavefront6targetE0EEEvT1_,"axG",@progbits,_ZN7rocprim17ROCPRIM_400000_NS6detail17trampoline_kernelINS0_14default_configENS1_20scan_config_selectorIN3c107complexIdEEEEZZNS1_9scan_implILNS1_25lookback_scan_determinismE0ELb0ELb0ES3_PKS7_PS7_S7_ZZZN2at6native31launch_logcumsumexp_cuda_kernelERKNSE_10TensorBaseESI_lENKUlvE_clEvENKUlvE1_clEvEUlS7_S7_E_S7_EEDaPvRmT3_T4_T5_mT6_P12ihipStream_tbENKUlT_T0_E_clISt17integral_constantIbLb1EESZ_EEDaSU_SV_EUlSU_E0_NS1_11comp_targetILNS1_3genE2ELNS1_11target_archE906ELNS1_3gpuE6ELNS1_3repE0EEENS1_30default_config_static_selectorELNS0_4arch9wavefront6targetE0EEEvT1_,comdat
	.globl	_ZN7rocprim17ROCPRIM_400000_NS6detail17trampoline_kernelINS0_14default_configENS1_20scan_config_selectorIN3c107complexIdEEEEZZNS1_9scan_implILNS1_25lookback_scan_determinismE0ELb0ELb0ES3_PKS7_PS7_S7_ZZZN2at6native31launch_logcumsumexp_cuda_kernelERKNSE_10TensorBaseESI_lENKUlvE_clEvENKUlvE1_clEvEUlS7_S7_E_S7_EEDaPvRmT3_T4_T5_mT6_P12ihipStream_tbENKUlT_T0_E_clISt17integral_constantIbLb1EESZ_EEDaSU_SV_EUlSU_E0_NS1_11comp_targetILNS1_3genE2ELNS1_11target_archE906ELNS1_3gpuE6ELNS1_3repE0EEENS1_30default_config_static_selectorELNS0_4arch9wavefront6targetE0EEEvT1_ ; -- Begin function _ZN7rocprim17ROCPRIM_400000_NS6detail17trampoline_kernelINS0_14default_configENS1_20scan_config_selectorIN3c107complexIdEEEEZZNS1_9scan_implILNS1_25lookback_scan_determinismE0ELb0ELb0ES3_PKS7_PS7_S7_ZZZN2at6native31launch_logcumsumexp_cuda_kernelERKNSE_10TensorBaseESI_lENKUlvE_clEvENKUlvE1_clEvEUlS7_S7_E_S7_EEDaPvRmT3_T4_T5_mT6_P12ihipStream_tbENKUlT_T0_E_clISt17integral_constantIbLb1EESZ_EEDaSU_SV_EUlSU_E0_NS1_11comp_targetILNS1_3genE2ELNS1_11target_archE906ELNS1_3gpuE6ELNS1_3repE0EEENS1_30default_config_static_selectorELNS0_4arch9wavefront6targetE0EEEvT1_
	.p2align	8
	.type	_ZN7rocprim17ROCPRIM_400000_NS6detail17trampoline_kernelINS0_14default_configENS1_20scan_config_selectorIN3c107complexIdEEEEZZNS1_9scan_implILNS1_25lookback_scan_determinismE0ELb0ELb0ES3_PKS7_PS7_S7_ZZZN2at6native31launch_logcumsumexp_cuda_kernelERKNSE_10TensorBaseESI_lENKUlvE_clEvENKUlvE1_clEvEUlS7_S7_E_S7_EEDaPvRmT3_T4_T5_mT6_P12ihipStream_tbENKUlT_T0_E_clISt17integral_constantIbLb1EESZ_EEDaSU_SV_EUlSU_E0_NS1_11comp_targetILNS1_3genE2ELNS1_11target_archE906ELNS1_3gpuE6ELNS1_3repE0EEENS1_30default_config_static_selectorELNS0_4arch9wavefront6targetE0EEEvT1_,@function
_ZN7rocprim17ROCPRIM_400000_NS6detail17trampoline_kernelINS0_14default_configENS1_20scan_config_selectorIN3c107complexIdEEEEZZNS1_9scan_implILNS1_25lookback_scan_determinismE0ELb0ELb0ES3_PKS7_PS7_S7_ZZZN2at6native31launch_logcumsumexp_cuda_kernelERKNSE_10TensorBaseESI_lENKUlvE_clEvENKUlvE1_clEvEUlS7_S7_E_S7_EEDaPvRmT3_T4_T5_mT6_P12ihipStream_tbENKUlT_T0_E_clISt17integral_constantIbLb1EESZ_EEDaSU_SV_EUlSU_E0_NS1_11comp_targetILNS1_3genE2ELNS1_11target_archE906ELNS1_3gpuE6ELNS1_3repE0EEENS1_30default_config_static_selectorELNS0_4arch9wavefront6targetE0EEEvT1_: ; @_ZN7rocprim17ROCPRIM_400000_NS6detail17trampoline_kernelINS0_14default_configENS1_20scan_config_selectorIN3c107complexIdEEEEZZNS1_9scan_implILNS1_25lookback_scan_determinismE0ELb0ELb0ES3_PKS7_PS7_S7_ZZZN2at6native31launch_logcumsumexp_cuda_kernelERKNSE_10TensorBaseESI_lENKUlvE_clEvENKUlvE1_clEvEUlS7_S7_E_S7_EEDaPvRmT3_T4_T5_mT6_P12ihipStream_tbENKUlT_T0_E_clISt17integral_constantIbLb1EESZ_EEDaSU_SV_EUlSU_E0_NS1_11comp_targetILNS1_3genE2ELNS1_11target_archE906ELNS1_3gpuE6ELNS1_3repE0EEENS1_30default_config_static_selectorELNS0_4arch9wavefront6targetE0EEEvT1_
; %bb.0:
	.section	.rodata,"a",@progbits
	.p2align	6, 0x0
	.amdhsa_kernel _ZN7rocprim17ROCPRIM_400000_NS6detail17trampoline_kernelINS0_14default_configENS1_20scan_config_selectorIN3c107complexIdEEEEZZNS1_9scan_implILNS1_25lookback_scan_determinismE0ELb0ELb0ES3_PKS7_PS7_S7_ZZZN2at6native31launch_logcumsumexp_cuda_kernelERKNSE_10TensorBaseESI_lENKUlvE_clEvENKUlvE1_clEvEUlS7_S7_E_S7_EEDaPvRmT3_T4_T5_mT6_P12ihipStream_tbENKUlT_T0_E_clISt17integral_constantIbLb1EESZ_EEDaSU_SV_EUlSU_E0_NS1_11comp_targetILNS1_3genE2ELNS1_11target_archE906ELNS1_3gpuE6ELNS1_3repE0EEENS1_30default_config_static_selectorELNS0_4arch9wavefront6targetE0EEEvT1_
		.amdhsa_group_segment_fixed_size 0
		.amdhsa_private_segment_fixed_size 0
		.amdhsa_kernarg_size 48
		.amdhsa_user_sgpr_count 15
		.amdhsa_user_sgpr_dispatch_ptr 0
		.amdhsa_user_sgpr_queue_ptr 0
		.amdhsa_user_sgpr_kernarg_segment_ptr 1
		.amdhsa_user_sgpr_dispatch_id 0
		.amdhsa_user_sgpr_private_segment_size 0
		.amdhsa_wavefront_size32 1
		.amdhsa_uses_dynamic_stack 0
		.amdhsa_enable_private_segment 0
		.amdhsa_system_sgpr_workgroup_id_x 1
		.amdhsa_system_sgpr_workgroup_id_y 0
		.amdhsa_system_sgpr_workgroup_id_z 0
		.amdhsa_system_sgpr_workgroup_info 0
		.amdhsa_system_vgpr_workitem_id 0
		.amdhsa_next_free_vgpr 1
		.amdhsa_next_free_sgpr 1
		.amdhsa_reserve_vcc 0
		.amdhsa_float_round_mode_32 0
		.amdhsa_float_round_mode_16_64 0
		.amdhsa_float_denorm_mode_32 3
		.amdhsa_float_denorm_mode_16_64 3
		.amdhsa_dx10_clamp 1
		.amdhsa_ieee_mode 1
		.amdhsa_fp16_overflow 0
		.amdhsa_workgroup_processor_mode 1
		.amdhsa_memory_ordered 1
		.amdhsa_forward_progress 0
		.amdhsa_shared_vgpr_count 0
		.amdhsa_exception_fp_ieee_invalid_op 0
		.amdhsa_exception_fp_denorm_src 0
		.amdhsa_exception_fp_ieee_div_zero 0
		.amdhsa_exception_fp_ieee_overflow 0
		.amdhsa_exception_fp_ieee_underflow 0
		.amdhsa_exception_fp_ieee_inexact 0
		.amdhsa_exception_int_div_zero 0
	.end_amdhsa_kernel
	.section	.text._ZN7rocprim17ROCPRIM_400000_NS6detail17trampoline_kernelINS0_14default_configENS1_20scan_config_selectorIN3c107complexIdEEEEZZNS1_9scan_implILNS1_25lookback_scan_determinismE0ELb0ELb0ES3_PKS7_PS7_S7_ZZZN2at6native31launch_logcumsumexp_cuda_kernelERKNSE_10TensorBaseESI_lENKUlvE_clEvENKUlvE1_clEvEUlS7_S7_E_S7_EEDaPvRmT3_T4_T5_mT6_P12ihipStream_tbENKUlT_T0_E_clISt17integral_constantIbLb1EESZ_EEDaSU_SV_EUlSU_E0_NS1_11comp_targetILNS1_3genE2ELNS1_11target_archE906ELNS1_3gpuE6ELNS1_3repE0EEENS1_30default_config_static_selectorELNS0_4arch9wavefront6targetE0EEEvT1_,"axG",@progbits,_ZN7rocprim17ROCPRIM_400000_NS6detail17trampoline_kernelINS0_14default_configENS1_20scan_config_selectorIN3c107complexIdEEEEZZNS1_9scan_implILNS1_25lookback_scan_determinismE0ELb0ELb0ES3_PKS7_PS7_S7_ZZZN2at6native31launch_logcumsumexp_cuda_kernelERKNSE_10TensorBaseESI_lENKUlvE_clEvENKUlvE1_clEvEUlS7_S7_E_S7_EEDaPvRmT3_T4_T5_mT6_P12ihipStream_tbENKUlT_T0_E_clISt17integral_constantIbLb1EESZ_EEDaSU_SV_EUlSU_E0_NS1_11comp_targetILNS1_3genE2ELNS1_11target_archE906ELNS1_3gpuE6ELNS1_3repE0EEENS1_30default_config_static_selectorELNS0_4arch9wavefront6targetE0EEEvT1_,comdat
.Lfunc_end220:
	.size	_ZN7rocprim17ROCPRIM_400000_NS6detail17trampoline_kernelINS0_14default_configENS1_20scan_config_selectorIN3c107complexIdEEEEZZNS1_9scan_implILNS1_25lookback_scan_determinismE0ELb0ELb0ES3_PKS7_PS7_S7_ZZZN2at6native31launch_logcumsumexp_cuda_kernelERKNSE_10TensorBaseESI_lENKUlvE_clEvENKUlvE1_clEvEUlS7_S7_E_S7_EEDaPvRmT3_T4_T5_mT6_P12ihipStream_tbENKUlT_T0_E_clISt17integral_constantIbLb1EESZ_EEDaSU_SV_EUlSU_E0_NS1_11comp_targetILNS1_3genE2ELNS1_11target_archE906ELNS1_3gpuE6ELNS1_3repE0EEENS1_30default_config_static_selectorELNS0_4arch9wavefront6targetE0EEEvT1_, .Lfunc_end220-_ZN7rocprim17ROCPRIM_400000_NS6detail17trampoline_kernelINS0_14default_configENS1_20scan_config_selectorIN3c107complexIdEEEEZZNS1_9scan_implILNS1_25lookback_scan_determinismE0ELb0ELb0ES3_PKS7_PS7_S7_ZZZN2at6native31launch_logcumsumexp_cuda_kernelERKNSE_10TensorBaseESI_lENKUlvE_clEvENKUlvE1_clEvEUlS7_S7_E_S7_EEDaPvRmT3_T4_T5_mT6_P12ihipStream_tbENKUlT_T0_E_clISt17integral_constantIbLb1EESZ_EEDaSU_SV_EUlSU_E0_NS1_11comp_targetILNS1_3genE2ELNS1_11target_archE906ELNS1_3gpuE6ELNS1_3repE0EEENS1_30default_config_static_selectorELNS0_4arch9wavefront6targetE0EEEvT1_
                                        ; -- End function
	.section	.AMDGPU.csdata,"",@progbits
; Kernel info:
; codeLenInByte = 0
; NumSgprs: 0
; NumVgprs: 0
; ScratchSize: 0
; MemoryBound: 0
; FloatMode: 240
; IeeeMode: 1
; LDSByteSize: 0 bytes/workgroup (compile time only)
; SGPRBlocks: 0
; VGPRBlocks: 0
; NumSGPRsForWavesPerEU: 1
; NumVGPRsForWavesPerEU: 1
; Occupancy: 16
; WaveLimiterHint : 0
; COMPUTE_PGM_RSRC2:SCRATCH_EN: 0
; COMPUTE_PGM_RSRC2:USER_SGPR: 15
; COMPUTE_PGM_RSRC2:TRAP_HANDLER: 0
; COMPUTE_PGM_RSRC2:TGID_X_EN: 1
; COMPUTE_PGM_RSRC2:TGID_Y_EN: 0
; COMPUTE_PGM_RSRC2:TGID_Z_EN: 0
; COMPUTE_PGM_RSRC2:TIDIG_COMP_CNT: 0
	.section	.text._ZN7rocprim17ROCPRIM_400000_NS6detail17trampoline_kernelINS0_14default_configENS1_20scan_config_selectorIN3c107complexIdEEEEZZNS1_9scan_implILNS1_25lookback_scan_determinismE0ELb0ELb0ES3_PKS7_PS7_S7_ZZZN2at6native31launch_logcumsumexp_cuda_kernelERKNSE_10TensorBaseESI_lENKUlvE_clEvENKUlvE1_clEvEUlS7_S7_E_S7_EEDaPvRmT3_T4_T5_mT6_P12ihipStream_tbENKUlT_T0_E_clISt17integral_constantIbLb1EESZ_EEDaSU_SV_EUlSU_E0_NS1_11comp_targetILNS1_3genE10ELNS1_11target_archE1201ELNS1_3gpuE5ELNS1_3repE0EEENS1_30default_config_static_selectorELNS0_4arch9wavefront6targetE0EEEvT1_,"axG",@progbits,_ZN7rocprim17ROCPRIM_400000_NS6detail17trampoline_kernelINS0_14default_configENS1_20scan_config_selectorIN3c107complexIdEEEEZZNS1_9scan_implILNS1_25lookback_scan_determinismE0ELb0ELb0ES3_PKS7_PS7_S7_ZZZN2at6native31launch_logcumsumexp_cuda_kernelERKNSE_10TensorBaseESI_lENKUlvE_clEvENKUlvE1_clEvEUlS7_S7_E_S7_EEDaPvRmT3_T4_T5_mT6_P12ihipStream_tbENKUlT_T0_E_clISt17integral_constantIbLb1EESZ_EEDaSU_SV_EUlSU_E0_NS1_11comp_targetILNS1_3genE10ELNS1_11target_archE1201ELNS1_3gpuE5ELNS1_3repE0EEENS1_30default_config_static_selectorELNS0_4arch9wavefront6targetE0EEEvT1_,comdat
	.globl	_ZN7rocprim17ROCPRIM_400000_NS6detail17trampoline_kernelINS0_14default_configENS1_20scan_config_selectorIN3c107complexIdEEEEZZNS1_9scan_implILNS1_25lookback_scan_determinismE0ELb0ELb0ES3_PKS7_PS7_S7_ZZZN2at6native31launch_logcumsumexp_cuda_kernelERKNSE_10TensorBaseESI_lENKUlvE_clEvENKUlvE1_clEvEUlS7_S7_E_S7_EEDaPvRmT3_T4_T5_mT6_P12ihipStream_tbENKUlT_T0_E_clISt17integral_constantIbLb1EESZ_EEDaSU_SV_EUlSU_E0_NS1_11comp_targetILNS1_3genE10ELNS1_11target_archE1201ELNS1_3gpuE5ELNS1_3repE0EEENS1_30default_config_static_selectorELNS0_4arch9wavefront6targetE0EEEvT1_ ; -- Begin function _ZN7rocprim17ROCPRIM_400000_NS6detail17trampoline_kernelINS0_14default_configENS1_20scan_config_selectorIN3c107complexIdEEEEZZNS1_9scan_implILNS1_25lookback_scan_determinismE0ELb0ELb0ES3_PKS7_PS7_S7_ZZZN2at6native31launch_logcumsumexp_cuda_kernelERKNSE_10TensorBaseESI_lENKUlvE_clEvENKUlvE1_clEvEUlS7_S7_E_S7_EEDaPvRmT3_T4_T5_mT6_P12ihipStream_tbENKUlT_T0_E_clISt17integral_constantIbLb1EESZ_EEDaSU_SV_EUlSU_E0_NS1_11comp_targetILNS1_3genE10ELNS1_11target_archE1201ELNS1_3gpuE5ELNS1_3repE0EEENS1_30default_config_static_selectorELNS0_4arch9wavefront6targetE0EEEvT1_
	.p2align	8
	.type	_ZN7rocprim17ROCPRIM_400000_NS6detail17trampoline_kernelINS0_14default_configENS1_20scan_config_selectorIN3c107complexIdEEEEZZNS1_9scan_implILNS1_25lookback_scan_determinismE0ELb0ELb0ES3_PKS7_PS7_S7_ZZZN2at6native31launch_logcumsumexp_cuda_kernelERKNSE_10TensorBaseESI_lENKUlvE_clEvENKUlvE1_clEvEUlS7_S7_E_S7_EEDaPvRmT3_T4_T5_mT6_P12ihipStream_tbENKUlT_T0_E_clISt17integral_constantIbLb1EESZ_EEDaSU_SV_EUlSU_E0_NS1_11comp_targetILNS1_3genE10ELNS1_11target_archE1201ELNS1_3gpuE5ELNS1_3repE0EEENS1_30default_config_static_selectorELNS0_4arch9wavefront6targetE0EEEvT1_,@function
_ZN7rocprim17ROCPRIM_400000_NS6detail17trampoline_kernelINS0_14default_configENS1_20scan_config_selectorIN3c107complexIdEEEEZZNS1_9scan_implILNS1_25lookback_scan_determinismE0ELb0ELb0ES3_PKS7_PS7_S7_ZZZN2at6native31launch_logcumsumexp_cuda_kernelERKNSE_10TensorBaseESI_lENKUlvE_clEvENKUlvE1_clEvEUlS7_S7_E_S7_EEDaPvRmT3_T4_T5_mT6_P12ihipStream_tbENKUlT_T0_E_clISt17integral_constantIbLb1EESZ_EEDaSU_SV_EUlSU_E0_NS1_11comp_targetILNS1_3genE10ELNS1_11target_archE1201ELNS1_3gpuE5ELNS1_3repE0EEENS1_30default_config_static_selectorELNS0_4arch9wavefront6targetE0EEEvT1_: ; @_ZN7rocprim17ROCPRIM_400000_NS6detail17trampoline_kernelINS0_14default_configENS1_20scan_config_selectorIN3c107complexIdEEEEZZNS1_9scan_implILNS1_25lookback_scan_determinismE0ELb0ELb0ES3_PKS7_PS7_S7_ZZZN2at6native31launch_logcumsumexp_cuda_kernelERKNSE_10TensorBaseESI_lENKUlvE_clEvENKUlvE1_clEvEUlS7_S7_E_S7_EEDaPvRmT3_T4_T5_mT6_P12ihipStream_tbENKUlT_T0_E_clISt17integral_constantIbLb1EESZ_EEDaSU_SV_EUlSU_E0_NS1_11comp_targetILNS1_3genE10ELNS1_11target_archE1201ELNS1_3gpuE5ELNS1_3repE0EEENS1_30default_config_static_selectorELNS0_4arch9wavefront6targetE0EEEvT1_
; %bb.0:
	.section	.rodata,"a",@progbits
	.p2align	6, 0x0
	.amdhsa_kernel _ZN7rocprim17ROCPRIM_400000_NS6detail17trampoline_kernelINS0_14default_configENS1_20scan_config_selectorIN3c107complexIdEEEEZZNS1_9scan_implILNS1_25lookback_scan_determinismE0ELb0ELb0ES3_PKS7_PS7_S7_ZZZN2at6native31launch_logcumsumexp_cuda_kernelERKNSE_10TensorBaseESI_lENKUlvE_clEvENKUlvE1_clEvEUlS7_S7_E_S7_EEDaPvRmT3_T4_T5_mT6_P12ihipStream_tbENKUlT_T0_E_clISt17integral_constantIbLb1EESZ_EEDaSU_SV_EUlSU_E0_NS1_11comp_targetILNS1_3genE10ELNS1_11target_archE1201ELNS1_3gpuE5ELNS1_3repE0EEENS1_30default_config_static_selectorELNS0_4arch9wavefront6targetE0EEEvT1_
		.amdhsa_group_segment_fixed_size 0
		.amdhsa_private_segment_fixed_size 0
		.amdhsa_kernarg_size 48
		.amdhsa_user_sgpr_count 15
		.amdhsa_user_sgpr_dispatch_ptr 0
		.amdhsa_user_sgpr_queue_ptr 0
		.amdhsa_user_sgpr_kernarg_segment_ptr 1
		.amdhsa_user_sgpr_dispatch_id 0
		.amdhsa_user_sgpr_private_segment_size 0
		.amdhsa_wavefront_size32 1
		.amdhsa_uses_dynamic_stack 0
		.amdhsa_enable_private_segment 0
		.amdhsa_system_sgpr_workgroup_id_x 1
		.amdhsa_system_sgpr_workgroup_id_y 0
		.amdhsa_system_sgpr_workgroup_id_z 0
		.amdhsa_system_sgpr_workgroup_info 0
		.amdhsa_system_vgpr_workitem_id 0
		.amdhsa_next_free_vgpr 1
		.amdhsa_next_free_sgpr 1
		.amdhsa_reserve_vcc 0
		.amdhsa_float_round_mode_32 0
		.amdhsa_float_round_mode_16_64 0
		.amdhsa_float_denorm_mode_32 3
		.amdhsa_float_denorm_mode_16_64 3
		.amdhsa_dx10_clamp 1
		.amdhsa_ieee_mode 1
		.amdhsa_fp16_overflow 0
		.amdhsa_workgroup_processor_mode 1
		.amdhsa_memory_ordered 1
		.amdhsa_forward_progress 0
		.amdhsa_shared_vgpr_count 0
		.amdhsa_exception_fp_ieee_invalid_op 0
		.amdhsa_exception_fp_denorm_src 0
		.amdhsa_exception_fp_ieee_div_zero 0
		.amdhsa_exception_fp_ieee_overflow 0
		.amdhsa_exception_fp_ieee_underflow 0
		.amdhsa_exception_fp_ieee_inexact 0
		.amdhsa_exception_int_div_zero 0
	.end_amdhsa_kernel
	.section	.text._ZN7rocprim17ROCPRIM_400000_NS6detail17trampoline_kernelINS0_14default_configENS1_20scan_config_selectorIN3c107complexIdEEEEZZNS1_9scan_implILNS1_25lookback_scan_determinismE0ELb0ELb0ES3_PKS7_PS7_S7_ZZZN2at6native31launch_logcumsumexp_cuda_kernelERKNSE_10TensorBaseESI_lENKUlvE_clEvENKUlvE1_clEvEUlS7_S7_E_S7_EEDaPvRmT3_T4_T5_mT6_P12ihipStream_tbENKUlT_T0_E_clISt17integral_constantIbLb1EESZ_EEDaSU_SV_EUlSU_E0_NS1_11comp_targetILNS1_3genE10ELNS1_11target_archE1201ELNS1_3gpuE5ELNS1_3repE0EEENS1_30default_config_static_selectorELNS0_4arch9wavefront6targetE0EEEvT1_,"axG",@progbits,_ZN7rocprim17ROCPRIM_400000_NS6detail17trampoline_kernelINS0_14default_configENS1_20scan_config_selectorIN3c107complexIdEEEEZZNS1_9scan_implILNS1_25lookback_scan_determinismE0ELb0ELb0ES3_PKS7_PS7_S7_ZZZN2at6native31launch_logcumsumexp_cuda_kernelERKNSE_10TensorBaseESI_lENKUlvE_clEvENKUlvE1_clEvEUlS7_S7_E_S7_EEDaPvRmT3_T4_T5_mT6_P12ihipStream_tbENKUlT_T0_E_clISt17integral_constantIbLb1EESZ_EEDaSU_SV_EUlSU_E0_NS1_11comp_targetILNS1_3genE10ELNS1_11target_archE1201ELNS1_3gpuE5ELNS1_3repE0EEENS1_30default_config_static_selectorELNS0_4arch9wavefront6targetE0EEEvT1_,comdat
.Lfunc_end221:
	.size	_ZN7rocprim17ROCPRIM_400000_NS6detail17trampoline_kernelINS0_14default_configENS1_20scan_config_selectorIN3c107complexIdEEEEZZNS1_9scan_implILNS1_25lookback_scan_determinismE0ELb0ELb0ES3_PKS7_PS7_S7_ZZZN2at6native31launch_logcumsumexp_cuda_kernelERKNSE_10TensorBaseESI_lENKUlvE_clEvENKUlvE1_clEvEUlS7_S7_E_S7_EEDaPvRmT3_T4_T5_mT6_P12ihipStream_tbENKUlT_T0_E_clISt17integral_constantIbLb1EESZ_EEDaSU_SV_EUlSU_E0_NS1_11comp_targetILNS1_3genE10ELNS1_11target_archE1201ELNS1_3gpuE5ELNS1_3repE0EEENS1_30default_config_static_selectorELNS0_4arch9wavefront6targetE0EEEvT1_, .Lfunc_end221-_ZN7rocprim17ROCPRIM_400000_NS6detail17trampoline_kernelINS0_14default_configENS1_20scan_config_selectorIN3c107complexIdEEEEZZNS1_9scan_implILNS1_25lookback_scan_determinismE0ELb0ELb0ES3_PKS7_PS7_S7_ZZZN2at6native31launch_logcumsumexp_cuda_kernelERKNSE_10TensorBaseESI_lENKUlvE_clEvENKUlvE1_clEvEUlS7_S7_E_S7_EEDaPvRmT3_T4_T5_mT6_P12ihipStream_tbENKUlT_T0_E_clISt17integral_constantIbLb1EESZ_EEDaSU_SV_EUlSU_E0_NS1_11comp_targetILNS1_3genE10ELNS1_11target_archE1201ELNS1_3gpuE5ELNS1_3repE0EEENS1_30default_config_static_selectorELNS0_4arch9wavefront6targetE0EEEvT1_
                                        ; -- End function
	.section	.AMDGPU.csdata,"",@progbits
; Kernel info:
; codeLenInByte = 0
; NumSgprs: 0
; NumVgprs: 0
; ScratchSize: 0
; MemoryBound: 0
; FloatMode: 240
; IeeeMode: 1
; LDSByteSize: 0 bytes/workgroup (compile time only)
; SGPRBlocks: 0
; VGPRBlocks: 0
; NumSGPRsForWavesPerEU: 1
; NumVGPRsForWavesPerEU: 1
; Occupancy: 16
; WaveLimiterHint : 0
; COMPUTE_PGM_RSRC2:SCRATCH_EN: 0
; COMPUTE_PGM_RSRC2:USER_SGPR: 15
; COMPUTE_PGM_RSRC2:TRAP_HANDLER: 0
; COMPUTE_PGM_RSRC2:TGID_X_EN: 1
; COMPUTE_PGM_RSRC2:TGID_Y_EN: 0
; COMPUTE_PGM_RSRC2:TGID_Z_EN: 0
; COMPUTE_PGM_RSRC2:TIDIG_COMP_CNT: 0
	.section	.text._ZN7rocprim17ROCPRIM_400000_NS6detail17trampoline_kernelINS0_14default_configENS1_20scan_config_selectorIN3c107complexIdEEEEZZNS1_9scan_implILNS1_25lookback_scan_determinismE0ELb0ELb0ES3_PKS7_PS7_S7_ZZZN2at6native31launch_logcumsumexp_cuda_kernelERKNSE_10TensorBaseESI_lENKUlvE_clEvENKUlvE1_clEvEUlS7_S7_E_S7_EEDaPvRmT3_T4_T5_mT6_P12ihipStream_tbENKUlT_T0_E_clISt17integral_constantIbLb1EESZ_EEDaSU_SV_EUlSU_E0_NS1_11comp_targetILNS1_3genE10ELNS1_11target_archE1200ELNS1_3gpuE4ELNS1_3repE0EEENS1_30default_config_static_selectorELNS0_4arch9wavefront6targetE0EEEvT1_,"axG",@progbits,_ZN7rocprim17ROCPRIM_400000_NS6detail17trampoline_kernelINS0_14default_configENS1_20scan_config_selectorIN3c107complexIdEEEEZZNS1_9scan_implILNS1_25lookback_scan_determinismE0ELb0ELb0ES3_PKS7_PS7_S7_ZZZN2at6native31launch_logcumsumexp_cuda_kernelERKNSE_10TensorBaseESI_lENKUlvE_clEvENKUlvE1_clEvEUlS7_S7_E_S7_EEDaPvRmT3_T4_T5_mT6_P12ihipStream_tbENKUlT_T0_E_clISt17integral_constantIbLb1EESZ_EEDaSU_SV_EUlSU_E0_NS1_11comp_targetILNS1_3genE10ELNS1_11target_archE1200ELNS1_3gpuE4ELNS1_3repE0EEENS1_30default_config_static_selectorELNS0_4arch9wavefront6targetE0EEEvT1_,comdat
	.globl	_ZN7rocprim17ROCPRIM_400000_NS6detail17trampoline_kernelINS0_14default_configENS1_20scan_config_selectorIN3c107complexIdEEEEZZNS1_9scan_implILNS1_25lookback_scan_determinismE0ELb0ELb0ES3_PKS7_PS7_S7_ZZZN2at6native31launch_logcumsumexp_cuda_kernelERKNSE_10TensorBaseESI_lENKUlvE_clEvENKUlvE1_clEvEUlS7_S7_E_S7_EEDaPvRmT3_T4_T5_mT6_P12ihipStream_tbENKUlT_T0_E_clISt17integral_constantIbLb1EESZ_EEDaSU_SV_EUlSU_E0_NS1_11comp_targetILNS1_3genE10ELNS1_11target_archE1200ELNS1_3gpuE4ELNS1_3repE0EEENS1_30default_config_static_selectorELNS0_4arch9wavefront6targetE0EEEvT1_ ; -- Begin function _ZN7rocprim17ROCPRIM_400000_NS6detail17trampoline_kernelINS0_14default_configENS1_20scan_config_selectorIN3c107complexIdEEEEZZNS1_9scan_implILNS1_25lookback_scan_determinismE0ELb0ELb0ES3_PKS7_PS7_S7_ZZZN2at6native31launch_logcumsumexp_cuda_kernelERKNSE_10TensorBaseESI_lENKUlvE_clEvENKUlvE1_clEvEUlS7_S7_E_S7_EEDaPvRmT3_T4_T5_mT6_P12ihipStream_tbENKUlT_T0_E_clISt17integral_constantIbLb1EESZ_EEDaSU_SV_EUlSU_E0_NS1_11comp_targetILNS1_3genE10ELNS1_11target_archE1200ELNS1_3gpuE4ELNS1_3repE0EEENS1_30default_config_static_selectorELNS0_4arch9wavefront6targetE0EEEvT1_
	.p2align	8
	.type	_ZN7rocprim17ROCPRIM_400000_NS6detail17trampoline_kernelINS0_14default_configENS1_20scan_config_selectorIN3c107complexIdEEEEZZNS1_9scan_implILNS1_25lookback_scan_determinismE0ELb0ELb0ES3_PKS7_PS7_S7_ZZZN2at6native31launch_logcumsumexp_cuda_kernelERKNSE_10TensorBaseESI_lENKUlvE_clEvENKUlvE1_clEvEUlS7_S7_E_S7_EEDaPvRmT3_T4_T5_mT6_P12ihipStream_tbENKUlT_T0_E_clISt17integral_constantIbLb1EESZ_EEDaSU_SV_EUlSU_E0_NS1_11comp_targetILNS1_3genE10ELNS1_11target_archE1200ELNS1_3gpuE4ELNS1_3repE0EEENS1_30default_config_static_selectorELNS0_4arch9wavefront6targetE0EEEvT1_,@function
_ZN7rocprim17ROCPRIM_400000_NS6detail17trampoline_kernelINS0_14default_configENS1_20scan_config_selectorIN3c107complexIdEEEEZZNS1_9scan_implILNS1_25lookback_scan_determinismE0ELb0ELb0ES3_PKS7_PS7_S7_ZZZN2at6native31launch_logcumsumexp_cuda_kernelERKNSE_10TensorBaseESI_lENKUlvE_clEvENKUlvE1_clEvEUlS7_S7_E_S7_EEDaPvRmT3_T4_T5_mT6_P12ihipStream_tbENKUlT_T0_E_clISt17integral_constantIbLb1EESZ_EEDaSU_SV_EUlSU_E0_NS1_11comp_targetILNS1_3genE10ELNS1_11target_archE1200ELNS1_3gpuE4ELNS1_3repE0EEENS1_30default_config_static_selectorELNS0_4arch9wavefront6targetE0EEEvT1_: ; @_ZN7rocprim17ROCPRIM_400000_NS6detail17trampoline_kernelINS0_14default_configENS1_20scan_config_selectorIN3c107complexIdEEEEZZNS1_9scan_implILNS1_25lookback_scan_determinismE0ELb0ELb0ES3_PKS7_PS7_S7_ZZZN2at6native31launch_logcumsumexp_cuda_kernelERKNSE_10TensorBaseESI_lENKUlvE_clEvENKUlvE1_clEvEUlS7_S7_E_S7_EEDaPvRmT3_T4_T5_mT6_P12ihipStream_tbENKUlT_T0_E_clISt17integral_constantIbLb1EESZ_EEDaSU_SV_EUlSU_E0_NS1_11comp_targetILNS1_3genE10ELNS1_11target_archE1200ELNS1_3gpuE4ELNS1_3repE0EEENS1_30default_config_static_selectorELNS0_4arch9wavefront6targetE0EEEvT1_
; %bb.0:
	.section	.rodata,"a",@progbits
	.p2align	6, 0x0
	.amdhsa_kernel _ZN7rocprim17ROCPRIM_400000_NS6detail17trampoline_kernelINS0_14default_configENS1_20scan_config_selectorIN3c107complexIdEEEEZZNS1_9scan_implILNS1_25lookback_scan_determinismE0ELb0ELb0ES3_PKS7_PS7_S7_ZZZN2at6native31launch_logcumsumexp_cuda_kernelERKNSE_10TensorBaseESI_lENKUlvE_clEvENKUlvE1_clEvEUlS7_S7_E_S7_EEDaPvRmT3_T4_T5_mT6_P12ihipStream_tbENKUlT_T0_E_clISt17integral_constantIbLb1EESZ_EEDaSU_SV_EUlSU_E0_NS1_11comp_targetILNS1_3genE10ELNS1_11target_archE1200ELNS1_3gpuE4ELNS1_3repE0EEENS1_30default_config_static_selectorELNS0_4arch9wavefront6targetE0EEEvT1_
		.amdhsa_group_segment_fixed_size 0
		.amdhsa_private_segment_fixed_size 0
		.amdhsa_kernarg_size 48
		.amdhsa_user_sgpr_count 15
		.amdhsa_user_sgpr_dispatch_ptr 0
		.amdhsa_user_sgpr_queue_ptr 0
		.amdhsa_user_sgpr_kernarg_segment_ptr 1
		.amdhsa_user_sgpr_dispatch_id 0
		.amdhsa_user_sgpr_private_segment_size 0
		.amdhsa_wavefront_size32 1
		.amdhsa_uses_dynamic_stack 0
		.amdhsa_enable_private_segment 0
		.amdhsa_system_sgpr_workgroup_id_x 1
		.amdhsa_system_sgpr_workgroup_id_y 0
		.amdhsa_system_sgpr_workgroup_id_z 0
		.amdhsa_system_sgpr_workgroup_info 0
		.amdhsa_system_vgpr_workitem_id 0
		.amdhsa_next_free_vgpr 1
		.amdhsa_next_free_sgpr 1
		.amdhsa_reserve_vcc 0
		.amdhsa_float_round_mode_32 0
		.amdhsa_float_round_mode_16_64 0
		.amdhsa_float_denorm_mode_32 3
		.amdhsa_float_denorm_mode_16_64 3
		.amdhsa_dx10_clamp 1
		.amdhsa_ieee_mode 1
		.amdhsa_fp16_overflow 0
		.amdhsa_workgroup_processor_mode 1
		.amdhsa_memory_ordered 1
		.amdhsa_forward_progress 0
		.amdhsa_shared_vgpr_count 0
		.amdhsa_exception_fp_ieee_invalid_op 0
		.amdhsa_exception_fp_denorm_src 0
		.amdhsa_exception_fp_ieee_div_zero 0
		.amdhsa_exception_fp_ieee_overflow 0
		.amdhsa_exception_fp_ieee_underflow 0
		.amdhsa_exception_fp_ieee_inexact 0
		.amdhsa_exception_int_div_zero 0
	.end_amdhsa_kernel
	.section	.text._ZN7rocprim17ROCPRIM_400000_NS6detail17trampoline_kernelINS0_14default_configENS1_20scan_config_selectorIN3c107complexIdEEEEZZNS1_9scan_implILNS1_25lookback_scan_determinismE0ELb0ELb0ES3_PKS7_PS7_S7_ZZZN2at6native31launch_logcumsumexp_cuda_kernelERKNSE_10TensorBaseESI_lENKUlvE_clEvENKUlvE1_clEvEUlS7_S7_E_S7_EEDaPvRmT3_T4_T5_mT6_P12ihipStream_tbENKUlT_T0_E_clISt17integral_constantIbLb1EESZ_EEDaSU_SV_EUlSU_E0_NS1_11comp_targetILNS1_3genE10ELNS1_11target_archE1200ELNS1_3gpuE4ELNS1_3repE0EEENS1_30default_config_static_selectorELNS0_4arch9wavefront6targetE0EEEvT1_,"axG",@progbits,_ZN7rocprim17ROCPRIM_400000_NS6detail17trampoline_kernelINS0_14default_configENS1_20scan_config_selectorIN3c107complexIdEEEEZZNS1_9scan_implILNS1_25lookback_scan_determinismE0ELb0ELb0ES3_PKS7_PS7_S7_ZZZN2at6native31launch_logcumsumexp_cuda_kernelERKNSE_10TensorBaseESI_lENKUlvE_clEvENKUlvE1_clEvEUlS7_S7_E_S7_EEDaPvRmT3_T4_T5_mT6_P12ihipStream_tbENKUlT_T0_E_clISt17integral_constantIbLb1EESZ_EEDaSU_SV_EUlSU_E0_NS1_11comp_targetILNS1_3genE10ELNS1_11target_archE1200ELNS1_3gpuE4ELNS1_3repE0EEENS1_30default_config_static_selectorELNS0_4arch9wavefront6targetE0EEEvT1_,comdat
.Lfunc_end222:
	.size	_ZN7rocprim17ROCPRIM_400000_NS6detail17trampoline_kernelINS0_14default_configENS1_20scan_config_selectorIN3c107complexIdEEEEZZNS1_9scan_implILNS1_25lookback_scan_determinismE0ELb0ELb0ES3_PKS7_PS7_S7_ZZZN2at6native31launch_logcumsumexp_cuda_kernelERKNSE_10TensorBaseESI_lENKUlvE_clEvENKUlvE1_clEvEUlS7_S7_E_S7_EEDaPvRmT3_T4_T5_mT6_P12ihipStream_tbENKUlT_T0_E_clISt17integral_constantIbLb1EESZ_EEDaSU_SV_EUlSU_E0_NS1_11comp_targetILNS1_3genE10ELNS1_11target_archE1200ELNS1_3gpuE4ELNS1_3repE0EEENS1_30default_config_static_selectorELNS0_4arch9wavefront6targetE0EEEvT1_, .Lfunc_end222-_ZN7rocprim17ROCPRIM_400000_NS6detail17trampoline_kernelINS0_14default_configENS1_20scan_config_selectorIN3c107complexIdEEEEZZNS1_9scan_implILNS1_25lookback_scan_determinismE0ELb0ELb0ES3_PKS7_PS7_S7_ZZZN2at6native31launch_logcumsumexp_cuda_kernelERKNSE_10TensorBaseESI_lENKUlvE_clEvENKUlvE1_clEvEUlS7_S7_E_S7_EEDaPvRmT3_T4_T5_mT6_P12ihipStream_tbENKUlT_T0_E_clISt17integral_constantIbLb1EESZ_EEDaSU_SV_EUlSU_E0_NS1_11comp_targetILNS1_3genE10ELNS1_11target_archE1200ELNS1_3gpuE4ELNS1_3repE0EEENS1_30default_config_static_selectorELNS0_4arch9wavefront6targetE0EEEvT1_
                                        ; -- End function
	.section	.AMDGPU.csdata,"",@progbits
; Kernel info:
; codeLenInByte = 0
; NumSgprs: 0
; NumVgprs: 0
; ScratchSize: 0
; MemoryBound: 0
; FloatMode: 240
; IeeeMode: 1
; LDSByteSize: 0 bytes/workgroup (compile time only)
; SGPRBlocks: 0
; VGPRBlocks: 0
; NumSGPRsForWavesPerEU: 1
; NumVGPRsForWavesPerEU: 1
; Occupancy: 16
; WaveLimiterHint : 0
; COMPUTE_PGM_RSRC2:SCRATCH_EN: 0
; COMPUTE_PGM_RSRC2:USER_SGPR: 15
; COMPUTE_PGM_RSRC2:TRAP_HANDLER: 0
; COMPUTE_PGM_RSRC2:TGID_X_EN: 1
; COMPUTE_PGM_RSRC2:TGID_Y_EN: 0
; COMPUTE_PGM_RSRC2:TGID_Z_EN: 0
; COMPUTE_PGM_RSRC2:TIDIG_COMP_CNT: 0
	.section	.text._ZN7rocprim17ROCPRIM_400000_NS6detail17trampoline_kernelINS0_14default_configENS1_20scan_config_selectorIN3c107complexIdEEEEZZNS1_9scan_implILNS1_25lookback_scan_determinismE0ELb0ELb0ES3_PKS7_PS7_S7_ZZZN2at6native31launch_logcumsumexp_cuda_kernelERKNSE_10TensorBaseESI_lENKUlvE_clEvENKUlvE1_clEvEUlS7_S7_E_S7_EEDaPvRmT3_T4_T5_mT6_P12ihipStream_tbENKUlT_T0_E_clISt17integral_constantIbLb1EESZ_EEDaSU_SV_EUlSU_E0_NS1_11comp_targetILNS1_3genE9ELNS1_11target_archE1100ELNS1_3gpuE3ELNS1_3repE0EEENS1_30default_config_static_selectorELNS0_4arch9wavefront6targetE0EEEvT1_,"axG",@progbits,_ZN7rocprim17ROCPRIM_400000_NS6detail17trampoline_kernelINS0_14default_configENS1_20scan_config_selectorIN3c107complexIdEEEEZZNS1_9scan_implILNS1_25lookback_scan_determinismE0ELb0ELb0ES3_PKS7_PS7_S7_ZZZN2at6native31launch_logcumsumexp_cuda_kernelERKNSE_10TensorBaseESI_lENKUlvE_clEvENKUlvE1_clEvEUlS7_S7_E_S7_EEDaPvRmT3_T4_T5_mT6_P12ihipStream_tbENKUlT_T0_E_clISt17integral_constantIbLb1EESZ_EEDaSU_SV_EUlSU_E0_NS1_11comp_targetILNS1_3genE9ELNS1_11target_archE1100ELNS1_3gpuE3ELNS1_3repE0EEENS1_30default_config_static_selectorELNS0_4arch9wavefront6targetE0EEEvT1_,comdat
	.globl	_ZN7rocprim17ROCPRIM_400000_NS6detail17trampoline_kernelINS0_14default_configENS1_20scan_config_selectorIN3c107complexIdEEEEZZNS1_9scan_implILNS1_25lookback_scan_determinismE0ELb0ELb0ES3_PKS7_PS7_S7_ZZZN2at6native31launch_logcumsumexp_cuda_kernelERKNSE_10TensorBaseESI_lENKUlvE_clEvENKUlvE1_clEvEUlS7_S7_E_S7_EEDaPvRmT3_T4_T5_mT6_P12ihipStream_tbENKUlT_T0_E_clISt17integral_constantIbLb1EESZ_EEDaSU_SV_EUlSU_E0_NS1_11comp_targetILNS1_3genE9ELNS1_11target_archE1100ELNS1_3gpuE3ELNS1_3repE0EEENS1_30default_config_static_selectorELNS0_4arch9wavefront6targetE0EEEvT1_ ; -- Begin function _ZN7rocprim17ROCPRIM_400000_NS6detail17trampoline_kernelINS0_14default_configENS1_20scan_config_selectorIN3c107complexIdEEEEZZNS1_9scan_implILNS1_25lookback_scan_determinismE0ELb0ELb0ES3_PKS7_PS7_S7_ZZZN2at6native31launch_logcumsumexp_cuda_kernelERKNSE_10TensorBaseESI_lENKUlvE_clEvENKUlvE1_clEvEUlS7_S7_E_S7_EEDaPvRmT3_T4_T5_mT6_P12ihipStream_tbENKUlT_T0_E_clISt17integral_constantIbLb1EESZ_EEDaSU_SV_EUlSU_E0_NS1_11comp_targetILNS1_3genE9ELNS1_11target_archE1100ELNS1_3gpuE3ELNS1_3repE0EEENS1_30default_config_static_selectorELNS0_4arch9wavefront6targetE0EEEvT1_
	.p2align	8
	.type	_ZN7rocprim17ROCPRIM_400000_NS6detail17trampoline_kernelINS0_14default_configENS1_20scan_config_selectorIN3c107complexIdEEEEZZNS1_9scan_implILNS1_25lookback_scan_determinismE0ELb0ELb0ES3_PKS7_PS7_S7_ZZZN2at6native31launch_logcumsumexp_cuda_kernelERKNSE_10TensorBaseESI_lENKUlvE_clEvENKUlvE1_clEvEUlS7_S7_E_S7_EEDaPvRmT3_T4_T5_mT6_P12ihipStream_tbENKUlT_T0_E_clISt17integral_constantIbLb1EESZ_EEDaSU_SV_EUlSU_E0_NS1_11comp_targetILNS1_3genE9ELNS1_11target_archE1100ELNS1_3gpuE3ELNS1_3repE0EEENS1_30default_config_static_selectorELNS0_4arch9wavefront6targetE0EEEvT1_,@function
_ZN7rocprim17ROCPRIM_400000_NS6detail17trampoline_kernelINS0_14default_configENS1_20scan_config_selectorIN3c107complexIdEEEEZZNS1_9scan_implILNS1_25lookback_scan_determinismE0ELb0ELb0ES3_PKS7_PS7_S7_ZZZN2at6native31launch_logcumsumexp_cuda_kernelERKNSE_10TensorBaseESI_lENKUlvE_clEvENKUlvE1_clEvEUlS7_S7_E_S7_EEDaPvRmT3_T4_T5_mT6_P12ihipStream_tbENKUlT_T0_E_clISt17integral_constantIbLb1EESZ_EEDaSU_SV_EUlSU_E0_NS1_11comp_targetILNS1_3genE9ELNS1_11target_archE1100ELNS1_3gpuE3ELNS1_3repE0EEENS1_30default_config_static_selectorELNS0_4arch9wavefront6targetE0EEEvT1_: ; @_ZN7rocprim17ROCPRIM_400000_NS6detail17trampoline_kernelINS0_14default_configENS1_20scan_config_selectorIN3c107complexIdEEEEZZNS1_9scan_implILNS1_25lookback_scan_determinismE0ELb0ELb0ES3_PKS7_PS7_S7_ZZZN2at6native31launch_logcumsumexp_cuda_kernelERKNSE_10TensorBaseESI_lENKUlvE_clEvENKUlvE1_clEvEUlS7_S7_E_S7_EEDaPvRmT3_T4_T5_mT6_P12ihipStream_tbENKUlT_T0_E_clISt17integral_constantIbLb1EESZ_EEDaSU_SV_EUlSU_E0_NS1_11comp_targetILNS1_3genE9ELNS1_11target_archE1100ELNS1_3gpuE3ELNS1_3repE0EEENS1_30default_config_static_selectorELNS0_4arch9wavefront6targetE0EEEvT1_
; %bb.0:
	s_mov_b64 s[18:19], s[0:1]
	s_load_b128 s[0:3], s[0:1], 0x0
	s_mov_b32 s32, 0
	s_waitcnt lgkmcnt(0)
	s_load_b128 s[4:7], s[0:1], 0x0
	v_mov_b32_e32 v156, v0
	s_waitcnt lgkmcnt(0)
	v_dual_mov_b32 v2, s6 :: v_dual_mov_b32 v3, s7
	s_delay_alu instid0(VALU_DEP_2) | instskip(SKIP_2) | instid1(VALU_DEP_2)
	v_dual_mov_b32 v0, s4 :: v_dual_lshlrev_b32 v157, 4, v156
	v_cmp_gt_u32_e64 s17, s2, v156
	v_mov_b32_e32 v1, s5
	s_and_saveexec_b32 s3, s17
	s_cbranch_execz .LBB223_2
; %bb.1:
	global_load_b128 v[0:3], v157, s[0:1]
.LBB223_2:
	s_or_b32 exec_lo, exec_lo, s3
	v_or_b32_e32 v32, 0x100, v156
	v_dual_mov_b32 v6, s6 :: v_dual_mov_b32 v7, s7
	v_dual_mov_b32 v4, s4 :: v_dual_mov_b32 v5, s5
	s_delay_alu instid0(VALU_DEP_3) | instskip(NEXT) | instid1(VALU_DEP_1)
	v_cmp_gt_u32_e64 s20, s2, v32
	s_and_saveexec_b32 s3, s20
	s_cbranch_execz .LBB223_4
; %bb.3:
	v_lshlrev_b32_e32 v4, 4, v32
	global_load_b128 v[4:7], v4, s[0:1]
.LBB223_4:
	s_or_b32 exec_lo, exec_lo, s3
	v_or_b32_e32 v33, 0x200, v156
	v_dual_mov_b32 v11, s7 :: v_dual_mov_b32 v10, s6
	v_dual_mov_b32 v9, s5 :: v_dual_mov_b32 v8, s4
	s_delay_alu instid0(VALU_DEP_3) | instskip(NEXT) | instid1(VALU_DEP_1)
	v_cmp_gt_u32_e64 s21, s2, v33
	s_and_saveexec_b32 s3, s21
	s_cbranch_execz .LBB223_6
; %bb.5:
	v_lshlrev_b32_e32 v8, 4, v33
	global_load_b128 v[8:11], v8, s[0:1]
.LBB223_6:
	s_or_b32 exec_lo, exec_lo, s3
	v_or_b32_e32 v34, 0x300, v156
	v_dual_mov_b32 v15, s7 :: v_dual_mov_b32 v14, s6
	v_dual_mov_b32 v13, s5 :: v_dual_mov_b32 v12, s4
	s_delay_alu instid0(VALU_DEP_3) | instskip(NEXT) | instid1(VALU_DEP_1)
	v_cmp_gt_u32_e64 s22, s2, v34
	s_and_saveexec_b32 s3, s22
	s_cbranch_execz .LBB223_8
; %bb.7:
	v_lshlrev_b32_e32 v12, 4, v34
	global_load_b128 v[12:15], v12, s[0:1]
.LBB223_8:
	s_or_b32 exec_lo, exec_lo, s3
	v_or_b32_e32 v35, 0x400, v156
	v_dual_mov_b32 v19, s7 :: v_dual_mov_b32 v18, s6
	v_dual_mov_b32 v17, s5 :: v_dual_mov_b32 v16, s4
	s_delay_alu instid0(VALU_DEP_3) | instskip(NEXT) | instid1(VALU_DEP_1)
	v_cmp_gt_u32_e64 s23, s2, v35
	s_and_saveexec_b32 s3, s23
	s_cbranch_execz .LBB223_10
; %bb.9:
	v_lshlrev_b32_e32 v16, 4, v35
	global_load_b128 v[16:19], v16, s[0:1]
.LBB223_10:
	s_or_b32 exec_lo, exec_lo, s3
	v_or_b32_e32 v36, 0x500, v156
	v_dual_mov_b32 v23, s7 :: v_dual_mov_b32 v22, s6
	v_dual_mov_b32 v21, s5 :: v_dual_mov_b32 v20, s4
	s_delay_alu instid0(VALU_DEP_3) | instskip(NEXT) | instid1(VALU_DEP_1)
	v_cmp_gt_u32_e64 s24, s2, v36
	s_and_saveexec_b32 s3, s24
	s_cbranch_execz .LBB223_12
; %bb.11:
	v_lshlrev_b32_e32 v20, 4, v36
	global_load_b128 v[20:23], v20, s[0:1]
.LBB223_12:
	s_or_b32 exec_lo, exec_lo, s3
	v_or_b32_e32 v37, 0x600, v156
	v_dual_mov_b32 v27, s7 :: v_dual_mov_b32 v26, s6
	v_dual_mov_b32 v25, s5 :: v_dual_mov_b32 v24, s4
	s_delay_alu instid0(VALU_DEP_3) | instskip(NEXT) | instid1(VALU_DEP_1)
	v_cmp_gt_u32_e64 s25, s2, v37
	s_and_saveexec_b32 s3, s25
	s_cbranch_execz .LBB223_14
; %bb.13:
	v_lshlrev_b32_e32 v24, 4, v37
	global_load_b128 v[24:27], v24, s[0:1]
.LBB223_14:
	s_or_b32 exec_lo, exec_lo, s3
	v_or_b32_e32 v38, 0x700, v156
	v_dual_mov_b32 v31, s7 :: v_dual_mov_b32 v30, s6
	v_dual_mov_b32 v29, s5 :: v_dual_mov_b32 v28, s4
	s_delay_alu instid0(VALU_DEP_3) | instskip(NEXT) | instid1(VALU_DEP_1)
	v_cmp_gt_u32_e64 s26, s2, v38
	s_and_saveexec_b32 s2, s26
	s_cbranch_execz .LBB223_16
; %bb.15:
	v_lshlrev_b32_e32 v28, 4, v38
	global_load_b128 v[28:31], v28, s[0:1]
.LBB223_16:
	s_or_b32 exec_lo, exec_lo, s2
	v_lshrrev_b32_e32 v39, 1, v156
	v_lshrrev_b32_e32 v32, 1, v32
	;; [unrolled: 1-line block ×5, first 2 shown]
	v_and_b32_e32 v167, 0x70, v39
	v_and_b32_e32 v32, 0xf0, v32
	s_getpc_b64 s[28:29]
	s_add_u32 s28, s28, _ZZZZN2at6native31launch_logcumsumexp_cuda_kernelERKNS_10TensorBaseES3_lENKUlvE_clEvENKUlvE1_clEvENKUlN3c107complexIdEES8_E_clES8_S8_@rel32@lo+4
	s_addc_u32 s29, s29, _ZZZZN2at6native31launch_logcumsumexp_cuda_kernelERKNS_10TensorBaseES3_lENKUlvE_clEvENKUlvE1_clEvENKUlN3c107complexIdEES8_E_clES8_S8_@rel32@hi+12
	v_and_b32_e32 v33, 0x1f0, v33
	v_and_b32_e32 v34, 0x1f0, v34
	v_add_nc_u32_e32 v158, v167, v157
	v_add_nc_u32_e32 v159, v32, v157
	v_lshrrev_b32_e32 v32, 1, v36
	v_add_nc_u32_e32 v160, v33, v157
	v_add_nc_u32_e32 v161, v34, v157
	s_waitcnt vmcnt(0)
	ds_store_b128 v158, v[0:3]
	ds_store_b128 v159, v[4:7] offset:4096
	v_and_b32_e32 v0, 0x3f0, v35
	v_and_b32_e32 v1, 0x3f0, v32
	v_lshrrev_b32_e32 v2, 1, v37
	v_lshrrev_b32_e32 v3, 1, v38
	ds_store_b128 v160, v[8:11] offset:8192
	ds_store_b128 v161, v[12:15] offset:12288
	v_add_nc_u32_e32 v162, v0, v157
	v_add_nc_u32_e32 v163, v1, v157
	v_and_b32_e32 v0, 0x3f0, v2
	v_and_b32_e32 v2, 0x3f0, v3
	v_lshlrev_b32_e32 v1, 3, v156
	v_lshrrev_b32_e32 v3, 2, v156
	ds_store_b128 v162, v[16:19] offset:16384
	ds_store_b128 v163, v[20:23] offset:20480
	v_add_nc_u32_e32 v164, v0, v157
	v_add_nc_u32_e32 v165, v2, v157
	ds_store_b128 v164, v[24:27] offset:24576
	ds_store_b128 v165, v[28:31] offset:28672
	v_add_lshl_u32 v166, v3, v1, 4
	s_waitcnt lgkmcnt(0)
	s_barrier
	buffer_gl0_inv
	ds_load_b128 v[40:43], v166
	ds_load_b128 v[124:127], v166 offset:16
	ds_load_b128 v[108:111], v166 offset:32
	;; [unrolled: 1-line block ×7, first 2 shown]
	s_waitcnt lgkmcnt(0)
	s_barrier
	buffer_gl0_inv
	v_mov_b32_e32 v0, v40
	v_dual_mov_b32 v4, v124 :: v_dual_mov_b32 v1, v41
	v_dual_mov_b32 v2, v42 :: v_dual_mov_b32 v3, v43
	;; [unrolled: 1-line block ×3, first 2 shown]
	v_mov_b32_e32 v7, v127
	s_swappc_b64 s[30:31], s[28:29]
	v_dual_mov_b32 v4, v108 :: v_dual_mov_b32 v5, v109
	v_dual_mov_b32 v6, v110 :: v_dual_mov_b32 v7, v111
	v_dual_mov_b32 v56, v0 :: v_dual_mov_b32 v57, v1
	v_dual_mov_b32 v58, v2 :: v_dual_mov_b32 v59, v3
	s_swappc_b64 s[30:31], s[28:29]
	v_dual_mov_b32 v4, v92 :: v_dual_mov_b32 v5, v93
	v_dual_mov_b32 v6, v94 :: v_dual_mov_b32 v7, v95
	v_dual_mov_b32 v76, v0 :: v_dual_mov_b32 v77, v1
	v_dual_mov_b32 v78, v2 :: v_dual_mov_b32 v79, v3
	;; [unrolled: 5-line block ×6, first 2 shown]
	s_swappc_b64 s[30:31], s[28:29]
	v_dual_mov_b32 v146, v2 :: v_dual_mov_b32 v147, v3
	v_mbcnt_lo_u32_b32 v168, -1, 0
	v_dual_mov_b32 v144, v0 :: v_dual_mov_b32 v145, v1
	s_delay_alu instid0(VALU_DEP_3) | instskip(NEXT) | instid1(VALU_DEP_3)
	v_mov_b32_dpp v6, v146 row_shr:1 row_mask:0xf bank_mask:0xf
	v_dual_mov_b32 v151, v147 :: v_dual_and_b32 v152, 15, v168
	s_delay_alu instid0(VALU_DEP_3) | instskip(NEXT) | instid1(VALU_DEP_4)
	v_dual_mov_b32 v150, v146 :: v_dual_mov_b32 v149, v145
	v_mov_b32_dpp v4, v144 row_shr:1 row_mask:0xf bank_mask:0xf
	v_mov_b32_dpp v5, v145 row_shr:1 row_mask:0xf bank_mask:0xf
	;; [unrolled: 1-line block ×3, first 2 shown]
	v_mov_b32_e32 v148, v144
	s_mov_b32 s27, exec_lo
	v_cmpx_ne_u32_e32 0, v152
	s_cbranch_execz .LBB223_18
; %bb.17:
	v_dual_mov_b32 v0, v4 :: v_dual_mov_b32 v1, v5
	v_dual_mov_b32 v2, v6 :: v_dual_mov_b32 v3, v7
	;; [unrolled: 1-line block ×4, first 2 shown]
	s_swappc_b64 s[30:31], s[28:29]
	v_dual_mov_b32 v148, v0 :: v_dual_mov_b32 v149, v1
	v_dual_mov_b32 v150, v2 :: v_dual_mov_b32 v151, v3
.LBB223_18:
	s_or_b32 exec_lo, exec_lo, s27
	v_mov_b32_dpp v4, v0 row_shr:2 row_mask:0xf bank_mask:0xf
	v_mov_b32_dpp v5, v1 row_shr:2 row_mask:0xf bank_mask:0xf
	v_mov_b32_dpp v6, v2 row_shr:2 row_mask:0xf bank_mask:0xf
	v_mov_b32_dpp v7, v3 row_shr:2 row_mask:0xf bank_mask:0xf
	s_mov_b32 s27, exec_lo
	v_cmpx_lt_u32_e32 1, v152
	s_cbranch_execz .LBB223_20
; %bb.19:
	v_dual_mov_b32 v0, v4 :: v_dual_mov_b32 v1, v5
	v_dual_mov_b32 v2, v6 :: v_dual_mov_b32 v3, v7
	v_dual_mov_b32 v4, v148 :: v_dual_mov_b32 v5, v149
	v_dual_mov_b32 v6, v150 :: v_dual_mov_b32 v7, v151
	s_getpc_b64 s[0:1]
	s_add_u32 s0, s0, _ZZZZN2at6native31launch_logcumsumexp_cuda_kernelERKNS_10TensorBaseES3_lENKUlvE_clEvENKUlvE1_clEvENKUlN3c107complexIdEES8_E_clES8_S8_@rel32@lo+4
	s_addc_u32 s1, s1, _ZZZZN2at6native31launch_logcumsumexp_cuda_kernelERKNS_10TensorBaseES3_lENKUlvE_clEvENKUlvE1_clEvENKUlN3c107complexIdEES8_E_clES8_S8_@rel32@hi+12
	s_delay_alu instid0(SALU_CYCLE_1)
	s_swappc_b64 s[30:31], s[0:1]
	v_dual_mov_b32 v151, v3 :: v_dual_mov_b32 v150, v2
	v_dual_mov_b32 v149, v1 :: v_dual_mov_b32 v148, v0
.LBB223_20:
	s_or_b32 exec_lo, exec_lo, s27
	v_mov_b32_dpp v4, v0 row_shr:4 row_mask:0xf bank_mask:0xf
	v_mov_b32_dpp v5, v1 row_shr:4 row_mask:0xf bank_mask:0xf
	v_mov_b32_dpp v6, v2 row_shr:4 row_mask:0xf bank_mask:0xf
	v_mov_b32_dpp v7, v3 row_shr:4 row_mask:0xf bank_mask:0xf
	s_mov_b32 s27, exec_lo
	v_cmpx_lt_u32_e32 3, v152
	s_cbranch_execz .LBB223_22
; %bb.21:
	v_dual_mov_b32 v0, v4 :: v_dual_mov_b32 v1, v5
	v_dual_mov_b32 v2, v6 :: v_dual_mov_b32 v3, v7
	v_dual_mov_b32 v4, v148 :: v_dual_mov_b32 v5, v149
	v_dual_mov_b32 v6, v150 :: v_dual_mov_b32 v7, v151
	s_getpc_b64 s[0:1]
	s_add_u32 s0, s0, _ZZZZN2at6native31launch_logcumsumexp_cuda_kernelERKNS_10TensorBaseES3_lENKUlvE_clEvENKUlvE1_clEvENKUlN3c107complexIdEES8_E_clES8_S8_@rel32@lo+4
	s_addc_u32 s1, s1, _ZZZZN2at6native31launch_logcumsumexp_cuda_kernelERKNS_10TensorBaseES3_lENKUlvE_clEvENKUlvE1_clEvENKUlN3c107complexIdEES8_E_clES8_S8_@rel32@hi+12
	s_delay_alu instid0(SALU_CYCLE_1)
	s_swappc_b64 s[30:31], s[0:1]
	v_dual_mov_b32 v151, v3 :: v_dual_mov_b32 v150, v2
	v_dual_mov_b32 v149, v1 :: v_dual_mov_b32 v148, v0
.LBB223_22:
	;; [unrolled: 21-line block ×3, first 2 shown]
	s_or_b32 exec_lo, exec_lo, s27
	ds_swizzle_b32 v0, v0 offset:swizzle(BROADCAST,32,15)
	ds_swizzle_b32 v1, v1 offset:swizzle(BROADCAST,32,15)
	;; [unrolled: 1-line block ×4, first 2 shown]
	v_and_b32_e32 v4, 16, v168
	s_mov_b32 s27, exec_lo
	s_delay_alu instid0(VALU_DEP_1)
	v_cmpx_ne_u32_e32 0, v4
	s_cbranch_execz .LBB223_26
; %bb.25:
	v_dual_mov_b32 v4, v148 :: v_dual_mov_b32 v5, v149
	v_dual_mov_b32 v6, v150 :: v_dual_mov_b32 v7, v151
	s_getpc_b64 s[0:1]
	s_add_u32 s0, s0, _ZZZZN2at6native31launch_logcumsumexp_cuda_kernelERKNS_10TensorBaseES3_lENKUlvE_clEvENKUlvE1_clEvENKUlN3c107complexIdEES8_E_clES8_S8_@rel32@lo+4
	s_addc_u32 s1, s1, _ZZZZN2at6native31launch_logcumsumexp_cuda_kernelERKNS_10TensorBaseES3_lENKUlvE_clEvENKUlvE1_clEvENKUlN3c107complexIdEES8_E_clES8_S8_@rel32@hi+12
	s_delay_alu instid0(SALU_CYCLE_1)
	s_swappc_b64 s[30:31], s[0:1]
	v_dual_mov_b32 v148, v0 :: v_dual_mov_b32 v149, v1
	v_dual_mov_b32 v150, v2 :: v_dual_mov_b32 v151, v3
.LBB223_26:
	s_or_b32 exec_lo, exec_lo, s27
	s_waitcnt lgkmcnt(3)
	v_or_b32_e32 v0, 31, v156
	s_mov_b32 s0, exec_lo
	s_delay_alu instid0(VALU_DEP_1)
	v_cmpx_eq_u32_e64 v0, v156
	s_cbranch_execz .LBB223_28
; %bb.27:
	ds_store_b128 v167, v[148:151]
.LBB223_28:
	s_or_b32 exec_lo, exec_lo, s0
	s_load_b64 s[18:19], s[18:19], 0x28
	s_mov_b32 s27, exec_lo
	s_waitcnt lgkmcnt(0)
	s_waitcnt_vscnt null, 0x0
	s_barrier
	buffer_gl0_inv
	v_cmpx_gt_u32_e32 8, v156
	s_cbranch_execz .LBB223_36
; %bb.29:
	ds_load_b128 v[4:7], v157
	v_and_b32_e32 v152, 7, v168
	s_mov_b32 s28, exec_lo
	s_waitcnt lgkmcnt(0)
	v_mov_b32_dpp v0, v4 row_shr:1 row_mask:0xf bank_mask:0xf
	v_mov_b32_dpp v1, v5 row_shr:1 row_mask:0xf bank_mask:0xf
	;; [unrolled: 1-line block ×4, first 2 shown]
	v_cmpx_ne_u32_e32 0, v152
	s_cbranch_execz .LBB223_31
; %bb.30:
	s_getpc_b64 s[0:1]
	s_add_u32 s0, s0, _ZZZZN2at6native31launch_logcumsumexp_cuda_kernelERKNS_10TensorBaseES3_lENKUlvE_clEvENKUlvE1_clEvENKUlN3c107complexIdEES8_E_clES8_S8_@rel32@lo+4
	s_addc_u32 s1, s1, _ZZZZN2at6native31launch_logcumsumexp_cuda_kernelERKNS_10TensorBaseES3_lENKUlvE_clEvENKUlvE1_clEvENKUlN3c107complexIdEES8_E_clES8_S8_@rel32@hi+12
	s_delay_alu instid0(SALU_CYCLE_1)
	s_swappc_b64 s[30:31], s[0:1]
	v_dual_mov_b32 v4, v0 :: v_dual_mov_b32 v5, v1
	v_dual_mov_b32 v6, v2 :: v_dual_mov_b32 v7, v3
.LBB223_31:
	s_or_b32 exec_lo, exec_lo, s28
	s_delay_alu instid0(VALU_DEP_2) | instskip(NEXT) | instid1(VALU_DEP_3)
	v_mov_b32_dpp v0, v4 row_shr:2 row_mask:0xf bank_mask:0xf
	v_mov_b32_dpp v1, v5 row_shr:2 row_mask:0xf bank_mask:0xf
	s_delay_alu instid0(VALU_DEP_3)
	v_mov_b32_dpp v2, v6 row_shr:2 row_mask:0xf bank_mask:0xf
	v_mov_b32_dpp v3, v7 row_shr:2 row_mask:0xf bank_mask:0xf
	s_mov_b32 s28, exec_lo
	v_cmpx_lt_u32_e32 1, v152
	s_cbranch_execz .LBB223_33
; %bb.32:
	s_getpc_b64 s[0:1]
	s_add_u32 s0, s0, _ZZZZN2at6native31launch_logcumsumexp_cuda_kernelERKNS_10TensorBaseES3_lENKUlvE_clEvENKUlvE1_clEvENKUlN3c107complexIdEES8_E_clES8_S8_@rel32@lo+4
	s_addc_u32 s1, s1, _ZZZZN2at6native31launch_logcumsumexp_cuda_kernelERKNS_10TensorBaseES3_lENKUlvE_clEvENKUlvE1_clEvENKUlN3c107complexIdEES8_E_clES8_S8_@rel32@hi+12
	s_delay_alu instid0(SALU_CYCLE_1)
	s_swappc_b64 s[30:31], s[0:1]
	v_dual_mov_b32 v4, v0 :: v_dual_mov_b32 v5, v1
	v_dual_mov_b32 v6, v2 :: v_dual_mov_b32 v7, v3
.LBB223_33:
	s_or_b32 exec_lo, exec_lo, s28
	s_delay_alu instid0(VALU_DEP_2) | instskip(NEXT) | instid1(VALU_DEP_3)
	v_mov_b32_dpp v0, v4 row_shr:4 row_mask:0xf bank_mask:0xf
	v_mov_b32_dpp v1, v5 row_shr:4 row_mask:0xf bank_mask:0xf
	s_delay_alu instid0(VALU_DEP_3)
	v_mov_b32_dpp v2, v6 row_shr:4 row_mask:0xf bank_mask:0xf
	v_mov_b32_dpp v3, v7 row_shr:4 row_mask:0xf bank_mask:0xf
	s_mov_b32 s28, exec_lo
	v_cmpx_lt_u32_e32 3, v152
	s_cbranch_execz .LBB223_35
; %bb.34:
	s_getpc_b64 s[0:1]
	s_add_u32 s0, s0, _ZZZZN2at6native31launch_logcumsumexp_cuda_kernelERKNS_10TensorBaseES3_lENKUlvE_clEvENKUlvE1_clEvENKUlN3c107complexIdEES8_E_clES8_S8_@rel32@lo+4
	s_addc_u32 s1, s1, _ZZZZN2at6native31launch_logcumsumexp_cuda_kernelERKNS_10TensorBaseES3_lENKUlvE_clEvENKUlvE1_clEvENKUlN3c107complexIdEES8_E_clES8_S8_@rel32@hi+12
	s_delay_alu instid0(SALU_CYCLE_1)
	s_swappc_b64 s[30:31], s[0:1]
	v_dual_mov_b32 v4, v0 :: v_dual_mov_b32 v5, v1
	v_dual_mov_b32 v6, v2 :: v_dual_mov_b32 v7, v3
.LBB223_35:
	s_or_b32 exec_lo, exec_lo, s28
	ds_store_b128 v157, v[4:7]
.LBB223_36:
	s_or_b32 exec_lo, exec_lo, s27
	v_mov_b32_e32 v154, 0
	v_mov_b32_e32 v155, 0
	s_delay_alu instid0(VALU_DEP_2)
	v_mov_b32_e32 v152, v154
	s_mov_b32 s27, exec_lo
	s_waitcnt lgkmcnt(0)
	s_waitcnt_vscnt null, 0x0
	s_barrier
	v_mov_b32_e32 v153, v155
	buffer_gl0_inv
	v_cmpx_lt_u32_e32 31, v156
	s_cbranch_execz .LBB223_38
; %bb.37:
	v_dual_mov_b32 v5, v149 :: v_dual_add_nc_u32 v0, -16, v167
	s_getpc_b64 s[0:1]
	s_add_u32 s0, s0, _ZZZZN2at6native31launch_logcumsumexp_cuda_kernelERKNS_10TensorBaseES3_lENKUlvE_clEvENKUlvE1_clEvENKUlN3c107complexIdEES8_E_clES8_S8_@rel32@lo+4
	s_addc_u32 s1, s1, _ZZZZN2at6native31launch_logcumsumexp_cuda_kernelERKNS_10TensorBaseES3_lENKUlvE_clEvENKUlvE1_clEvENKUlN3c107complexIdEES8_E_clES8_S8_@rel32@hi+12
	v_mov_b32_e32 v7, v151
	ds_load_b128 v[152:155], v0
	v_mov_b32_e32 v4, v148
	s_waitcnt lgkmcnt(0)
	v_dual_mov_b32 v6, v150 :: v_dual_mov_b32 v3, v155
	v_dual_mov_b32 v0, v152 :: v_dual_mov_b32 v1, v153
	v_mov_b32_e32 v2, v154
	s_swappc_b64 s[30:31], s[0:1]
	s_delay_alu instid0(VALU_DEP_2) | instskip(NEXT) | instid1(VALU_DEP_2)
	v_dual_mov_b32 v148, v0 :: v_dual_mov_b32 v149, v1
	v_dual_mov_b32 v150, v2 :: v_dual_mov_b32 v151, v3
.LBB223_38:
	s_or_b32 exec_lo, exec_lo, s27
	v_add_nc_u32_e32 v0, -1, v168
	s_mov_b32 s27, exec_lo
	s_delay_alu instid0(VALU_DEP_1) | instskip(SKIP_1) | instid1(VALU_DEP_1)
	v_cmp_gt_i32_e32 vcc_lo, 0, v0
	v_cndmask_b32_e32 v0, v0, v168, vcc_lo
	v_lshlrev_b32_e32 v3, 2, v0
	ds_bpermute_b32 v0, v3, v148
	ds_bpermute_b32 v1, v3, v149
	;; [unrolled: 1-line block ×4, first 2 shown]
	v_cmpx_ne_u32_e32 0, v156
	s_cbranch_execz .LBB223_40
; %bb.39:
	v_cmp_eq_u32_e32 vcc_lo, 0, v168
	v_dual_mov_b32 v4, v40 :: v_dual_mov_b32 v5, v41
	v_dual_mov_b32 v6, v42 :: v_dual_mov_b32 v7, v43
	s_waitcnt lgkmcnt(2)
	v_dual_cndmask_b32 v0, v0, v152 :: v_dual_cndmask_b32 v1, v1, v153
	s_waitcnt lgkmcnt(0)
	v_dual_cndmask_b32 v2, v2, v154 :: v_dual_cndmask_b32 v3, v3, v155
	s_getpc_b64 s[28:29]
	s_add_u32 s28, s28, _ZZZZN2at6native31launch_logcumsumexp_cuda_kernelERKNS_10TensorBaseES3_lENKUlvE_clEvENKUlvE1_clEvENKUlN3c107complexIdEES8_E_clES8_S8_@rel32@lo+4
	s_addc_u32 s29, s29, _ZZZZN2at6native31launch_logcumsumexp_cuda_kernelERKNS_10TensorBaseES3_lENKUlvE_clEvENKUlvE1_clEvENKUlN3c107complexIdEES8_E_clES8_S8_@rel32@hi+12
	s_delay_alu instid0(SALU_CYCLE_1)
	s_swappc_b64 s[30:31], s[28:29]
	v_dual_mov_b32 v4, v124 :: v_dual_mov_b32 v5, v125
	v_dual_mov_b32 v6, v126 :: v_dual_mov_b32 v7, v127
	;; [unrolled: 1-line block ×4, first 2 shown]
	;;#ASMSTART
	;;#ASMEND
	s_swappc_b64 s[30:31], s[28:29]
	v_dual_mov_b32 v4, v108 :: v_dual_mov_b32 v5, v109
	v_dual_mov_b32 v6, v110 :: v_dual_mov_b32 v7, v111
	v_dual_mov_b32 v56, v0 :: v_dual_mov_b32 v57, v1
	v_dual_mov_b32 v58, v2 :: v_dual_mov_b32 v59, v3
	s_swappc_b64 s[30:31], s[28:29]
	v_dual_mov_b32 v4, v92 :: v_dual_mov_b32 v5, v93
	v_dual_mov_b32 v6, v94 :: v_dual_mov_b32 v7, v95
	v_dual_mov_b32 v76, v0 :: v_dual_mov_b32 v77, v1
	v_dual_mov_b32 v78, v2 :: v_dual_mov_b32 v79, v3
	;; [unrolled: 5-line block ×6, first 2 shown]
	s_swappc_b64 s[30:31], s[28:29]
	v_dual_mov_b32 v144, v0 :: v_dual_mov_b32 v145, v1
	v_dual_mov_b32 v146, v2 :: v_dual_mov_b32 v147, v3
.LBB223_40:
	s_or_b32 exec_lo, exec_lo, s27
	s_waitcnt lgkmcnt(0)
	s_waitcnt_vscnt null, 0x0
	s_barrier
	buffer_gl0_inv
	ds_store_b128 v166, v[40:43]
	ds_store_b128 v166, v[56:59] offset:16
	ds_store_b128 v166, v[76:79] offset:32
	;; [unrolled: 1-line block ×7, first 2 shown]
	s_waitcnt lgkmcnt(0)
	s_barrier
	buffer_gl0_inv
	ds_load_b128 v[24:27], v159 offset:4096
	ds_load_b128 v[20:23], v160 offset:8192
	;; [unrolled: 1-line block ×7, first 2 shown]
	v_add_co_u32 v28, s0, s18, v157
	s_delay_alu instid0(VALU_DEP_1)
	v_add_co_ci_u32_e64 v29, null, s19, 0, s0
	s_and_saveexec_b32 s0, s17
	s_cbranch_execnz .LBB223_49
; %bb.41:
	s_or_b32 exec_lo, exec_lo, s0
	s_and_saveexec_b32 s0, s20
	s_cbranch_execnz .LBB223_50
.LBB223_42:
	s_or_b32 exec_lo, exec_lo, s0
	s_and_saveexec_b32 s0, s21
	s_cbranch_execnz .LBB223_51
.LBB223_43:
	s_or_b32 exec_lo, exec_lo, s0
	s_and_saveexec_b32 s0, s22
	s_cbranch_execnz .LBB223_52
.LBB223_44:
	s_or_b32 exec_lo, exec_lo, s0
	s_and_saveexec_b32 s0, s23
	s_cbranch_execnz .LBB223_53
.LBB223_45:
	s_or_b32 exec_lo, exec_lo, s0
	s_and_saveexec_b32 s0, s24
	s_cbranch_execnz .LBB223_54
.LBB223_46:
	s_or_b32 exec_lo, exec_lo, s0
	s_and_saveexec_b32 s0, s25
	s_cbranch_execnz .LBB223_55
.LBB223_47:
	s_or_b32 exec_lo, exec_lo, s0
	s_and_saveexec_b32 s0, s26
	s_cbranch_execnz .LBB223_56
.LBB223_48:
	s_nop 0
	s_sendmsg sendmsg(MSG_DEALLOC_VGPRS)
	s_endpgm
.LBB223_49:
	ds_load_b128 v[30:33], v158
	s_waitcnt lgkmcnt(0)
	global_store_b128 v[28:29], v[30:33], off
	s_or_b32 exec_lo, exec_lo, s0
	s_and_saveexec_b32 s0, s20
	s_cbranch_execz .LBB223_42
.LBB223_50:
	v_add_co_u32 v30, vcc_lo, 0x1000, v28
	v_add_co_ci_u32_e32 v31, vcc_lo, 0, v29, vcc_lo
	s_waitcnt lgkmcnt(6)
	global_store_b128 v[30:31], v[24:27], off
	s_or_b32 exec_lo, exec_lo, s0
	s_and_saveexec_b32 s0, s21
	s_cbranch_execz .LBB223_43
.LBB223_51:
	s_waitcnt lgkmcnt(6)
	v_add_co_u32 v24, vcc_lo, 0x2000, v28
	v_add_co_ci_u32_e32 v25, vcc_lo, 0, v29, vcc_lo
	s_waitcnt lgkmcnt(5)
	global_store_b128 v[24:25], v[20:23], off
	s_or_b32 exec_lo, exec_lo, s0
	s_and_saveexec_b32 s0, s22
	s_cbranch_execz .LBB223_44
.LBB223_52:
	s_waitcnt lgkmcnt(5)
	v_add_co_u32 v20, vcc_lo, 0x3000, v28
	v_add_co_ci_u32_e32 v21, vcc_lo, 0, v29, vcc_lo
	s_waitcnt lgkmcnt(4)
	global_store_b128 v[20:21], v[16:19], off
	s_or_b32 exec_lo, exec_lo, s0
	s_and_saveexec_b32 s0, s23
	s_cbranch_execz .LBB223_45
.LBB223_53:
	s_waitcnt lgkmcnt(4)
	v_add_co_u32 v16, vcc_lo, 0x4000, v28
	v_add_co_ci_u32_e32 v17, vcc_lo, 0, v29, vcc_lo
	s_waitcnt lgkmcnt(3)
	global_store_b128 v[16:17], v[12:15], off
	s_or_b32 exec_lo, exec_lo, s0
	s_and_saveexec_b32 s0, s24
	s_cbranch_execz .LBB223_46
.LBB223_54:
	s_waitcnt lgkmcnt(3)
	v_add_co_u32 v12, vcc_lo, 0x5000, v28
	v_add_co_ci_u32_e32 v13, vcc_lo, 0, v29, vcc_lo
	s_waitcnt lgkmcnt(2)
	global_store_b128 v[12:13], v[8:11], off
	s_or_b32 exec_lo, exec_lo, s0
	s_and_saveexec_b32 s0, s25
	s_cbranch_execz .LBB223_47
.LBB223_55:
	s_waitcnt lgkmcnt(2)
	v_add_co_u32 v8, vcc_lo, 0x6000, v28
	v_add_co_ci_u32_e32 v9, vcc_lo, 0, v29, vcc_lo
	s_waitcnt lgkmcnt(1)
	global_store_b128 v[8:9], v[4:7], off
	s_or_b32 exec_lo, exec_lo, s0
	s_and_saveexec_b32 s0, s26
	s_cbranch_execz .LBB223_48
.LBB223_56:
	s_waitcnt lgkmcnt(1)
	v_add_co_u32 v4, vcc_lo, 0x7000, v28
	v_add_co_ci_u32_e32 v5, vcc_lo, 0, v29, vcc_lo
	s_waitcnt lgkmcnt(0)
	global_store_b128 v[4:5], v[0:3], off
	s_nop 0
	s_sendmsg sendmsg(MSG_DEALLOC_VGPRS)
	s_endpgm
	.section	.rodata,"a",@progbits
	.p2align	6, 0x0
	.amdhsa_kernel _ZN7rocprim17ROCPRIM_400000_NS6detail17trampoline_kernelINS0_14default_configENS1_20scan_config_selectorIN3c107complexIdEEEEZZNS1_9scan_implILNS1_25lookback_scan_determinismE0ELb0ELb0ES3_PKS7_PS7_S7_ZZZN2at6native31launch_logcumsumexp_cuda_kernelERKNSE_10TensorBaseESI_lENKUlvE_clEvENKUlvE1_clEvEUlS7_S7_E_S7_EEDaPvRmT3_T4_T5_mT6_P12ihipStream_tbENKUlT_T0_E_clISt17integral_constantIbLb1EESZ_EEDaSU_SV_EUlSU_E0_NS1_11comp_targetILNS1_3genE9ELNS1_11target_archE1100ELNS1_3gpuE3ELNS1_3repE0EEENS1_30default_config_static_selectorELNS0_4arch9wavefront6targetE0EEEvT1_
		.amdhsa_group_segment_fixed_size 33792
		.amdhsa_private_segment_fixed_size 0
		.amdhsa_kernarg_size 48
		.amdhsa_user_sgpr_count 15
		.amdhsa_user_sgpr_dispatch_ptr 0
		.amdhsa_user_sgpr_queue_ptr 0
		.amdhsa_user_sgpr_kernarg_segment_ptr 1
		.amdhsa_user_sgpr_dispatch_id 0
		.amdhsa_user_sgpr_private_segment_size 0
		.amdhsa_wavefront_size32 1
		.amdhsa_uses_dynamic_stack 0
		.amdhsa_enable_private_segment 0
		.amdhsa_system_sgpr_workgroup_id_x 1
		.amdhsa_system_sgpr_workgroup_id_y 0
		.amdhsa_system_sgpr_workgroup_id_z 0
		.amdhsa_system_sgpr_workgroup_info 0
		.amdhsa_system_vgpr_workitem_id 0
		.amdhsa_next_free_vgpr 169
		.amdhsa_next_free_sgpr 33
		.amdhsa_reserve_vcc 1
		.amdhsa_float_round_mode_32 0
		.amdhsa_float_round_mode_16_64 0
		.amdhsa_float_denorm_mode_32 3
		.amdhsa_float_denorm_mode_16_64 3
		.amdhsa_dx10_clamp 1
		.amdhsa_ieee_mode 1
		.amdhsa_fp16_overflow 0
		.amdhsa_workgroup_processor_mode 1
		.amdhsa_memory_ordered 1
		.amdhsa_forward_progress 0
		.amdhsa_shared_vgpr_count 0
		.amdhsa_exception_fp_ieee_invalid_op 0
		.amdhsa_exception_fp_denorm_src 0
		.amdhsa_exception_fp_ieee_div_zero 0
		.amdhsa_exception_fp_ieee_overflow 0
		.amdhsa_exception_fp_ieee_underflow 0
		.amdhsa_exception_fp_ieee_inexact 0
		.amdhsa_exception_int_div_zero 0
	.end_amdhsa_kernel
	.section	.text._ZN7rocprim17ROCPRIM_400000_NS6detail17trampoline_kernelINS0_14default_configENS1_20scan_config_selectorIN3c107complexIdEEEEZZNS1_9scan_implILNS1_25lookback_scan_determinismE0ELb0ELb0ES3_PKS7_PS7_S7_ZZZN2at6native31launch_logcumsumexp_cuda_kernelERKNSE_10TensorBaseESI_lENKUlvE_clEvENKUlvE1_clEvEUlS7_S7_E_S7_EEDaPvRmT3_T4_T5_mT6_P12ihipStream_tbENKUlT_T0_E_clISt17integral_constantIbLb1EESZ_EEDaSU_SV_EUlSU_E0_NS1_11comp_targetILNS1_3genE9ELNS1_11target_archE1100ELNS1_3gpuE3ELNS1_3repE0EEENS1_30default_config_static_selectorELNS0_4arch9wavefront6targetE0EEEvT1_,"axG",@progbits,_ZN7rocprim17ROCPRIM_400000_NS6detail17trampoline_kernelINS0_14default_configENS1_20scan_config_selectorIN3c107complexIdEEEEZZNS1_9scan_implILNS1_25lookback_scan_determinismE0ELb0ELb0ES3_PKS7_PS7_S7_ZZZN2at6native31launch_logcumsumexp_cuda_kernelERKNSE_10TensorBaseESI_lENKUlvE_clEvENKUlvE1_clEvEUlS7_S7_E_S7_EEDaPvRmT3_T4_T5_mT6_P12ihipStream_tbENKUlT_T0_E_clISt17integral_constantIbLb1EESZ_EEDaSU_SV_EUlSU_E0_NS1_11comp_targetILNS1_3genE9ELNS1_11target_archE1100ELNS1_3gpuE3ELNS1_3repE0EEENS1_30default_config_static_selectorELNS0_4arch9wavefront6targetE0EEEvT1_,comdat
.Lfunc_end223:
	.size	_ZN7rocprim17ROCPRIM_400000_NS6detail17trampoline_kernelINS0_14default_configENS1_20scan_config_selectorIN3c107complexIdEEEEZZNS1_9scan_implILNS1_25lookback_scan_determinismE0ELb0ELb0ES3_PKS7_PS7_S7_ZZZN2at6native31launch_logcumsumexp_cuda_kernelERKNSE_10TensorBaseESI_lENKUlvE_clEvENKUlvE1_clEvEUlS7_S7_E_S7_EEDaPvRmT3_T4_T5_mT6_P12ihipStream_tbENKUlT_T0_E_clISt17integral_constantIbLb1EESZ_EEDaSU_SV_EUlSU_E0_NS1_11comp_targetILNS1_3genE9ELNS1_11target_archE1100ELNS1_3gpuE3ELNS1_3repE0EEENS1_30default_config_static_selectorELNS0_4arch9wavefront6targetE0EEEvT1_, .Lfunc_end223-_ZN7rocprim17ROCPRIM_400000_NS6detail17trampoline_kernelINS0_14default_configENS1_20scan_config_selectorIN3c107complexIdEEEEZZNS1_9scan_implILNS1_25lookback_scan_determinismE0ELb0ELb0ES3_PKS7_PS7_S7_ZZZN2at6native31launch_logcumsumexp_cuda_kernelERKNSE_10TensorBaseESI_lENKUlvE_clEvENKUlvE1_clEvEUlS7_S7_E_S7_EEDaPvRmT3_T4_T5_mT6_P12ihipStream_tbENKUlT_T0_E_clISt17integral_constantIbLb1EESZ_EEDaSU_SV_EUlSU_E0_NS1_11comp_targetILNS1_3genE9ELNS1_11target_archE1100ELNS1_3gpuE3ELNS1_3repE0EEENS1_30default_config_static_selectorELNS0_4arch9wavefront6targetE0EEEvT1_
                                        ; -- End function
	.section	.AMDGPU.csdata,"",@progbits
; Kernel info:
; codeLenInByte = 3300
; NumSgprs: 35
; NumVgprs: 169
; ScratchSize: 0
; MemoryBound: 1
; FloatMode: 240
; IeeeMode: 1
; LDSByteSize: 33792 bytes/workgroup (compile time only)
; SGPRBlocks: 4
; VGPRBlocks: 21
; NumSGPRsForWavesPerEU: 35
; NumVGPRsForWavesPerEU: 169
; Occupancy: 6
; WaveLimiterHint : 0
; COMPUTE_PGM_RSRC2:SCRATCH_EN: 0
; COMPUTE_PGM_RSRC2:USER_SGPR: 15
; COMPUTE_PGM_RSRC2:TRAP_HANDLER: 0
; COMPUTE_PGM_RSRC2:TGID_X_EN: 1
; COMPUTE_PGM_RSRC2:TGID_Y_EN: 0
; COMPUTE_PGM_RSRC2:TGID_Z_EN: 0
; COMPUTE_PGM_RSRC2:TIDIG_COMP_CNT: 0
	.section	.text._ZN7rocprim17ROCPRIM_400000_NS6detail17trampoline_kernelINS0_14default_configENS1_20scan_config_selectorIN3c107complexIdEEEEZZNS1_9scan_implILNS1_25lookback_scan_determinismE0ELb0ELb0ES3_PKS7_PS7_S7_ZZZN2at6native31launch_logcumsumexp_cuda_kernelERKNSE_10TensorBaseESI_lENKUlvE_clEvENKUlvE1_clEvEUlS7_S7_E_S7_EEDaPvRmT3_T4_T5_mT6_P12ihipStream_tbENKUlT_T0_E_clISt17integral_constantIbLb1EESZ_EEDaSU_SV_EUlSU_E0_NS1_11comp_targetILNS1_3genE8ELNS1_11target_archE1030ELNS1_3gpuE2ELNS1_3repE0EEENS1_30default_config_static_selectorELNS0_4arch9wavefront6targetE0EEEvT1_,"axG",@progbits,_ZN7rocprim17ROCPRIM_400000_NS6detail17trampoline_kernelINS0_14default_configENS1_20scan_config_selectorIN3c107complexIdEEEEZZNS1_9scan_implILNS1_25lookback_scan_determinismE0ELb0ELb0ES3_PKS7_PS7_S7_ZZZN2at6native31launch_logcumsumexp_cuda_kernelERKNSE_10TensorBaseESI_lENKUlvE_clEvENKUlvE1_clEvEUlS7_S7_E_S7_EEDaPvRmT3_T4_T5_mT6_P12ihipStream_tbENKUlT_T0_E_clISt17integral_constantIbLb1EESZ_EEDaSU_SV_EUlSU_E0_NS1_11comp_targetILNS1_3genE8ELNS1_11target_archE1030ELNS1_3gpuE2ELNS1_3repE0EEENS1_30default_config_static_selectorELNS0_4arch9wavefront6targetE0EEEvT1_,comdat
	.globl	_ZN7rocprim17ROCPRIM_400000_NS6detail17trampoline_kernelINS0_14default_configENS1_20scan_config_selectorIN3c107complexIdEEEEZZNS1_9scan_implILNS1_25lookback_scan_determinismE0ELb0ELb0ES3_PKS7_PS7_S7_ZZZN2at6native31launch_logcumsumexp_cuda_kernelERKNSE_10TensorBaseESI_lENKUlvE_clEvENKUlvE1_clEvEUlS7_S7_E_S7_EEDaPvRmT3_T4_T5_mT6_P12ihipStream_tbENKUlT_T0_E_clISt17integral_constantIbLb1EESZ_EEDaSU_SV_EUlSU_E0_NS1_11comp_targetILNS1_3genE8ELNS1_11target_archE1030ELNS1_3gpuE2ELNS1_3repE0EEENS1_30default_config_static_selectorELNS0_4arch9wavefront6targetE0EEEvT1_ ; -- Begin function _ZN7rocprim17ROCPRIM_400000_NS6detail17trampoline_kernelINS0_14default_configENS1_20scan_config_selectorIN3c107complexIdEEEEZZNS1_9scan_implILNS1_25lookback_scan_determinismE0ELb0ELb0ES3_PKS7_PS7_S7_ZZZN2at6native31launch_logcumsumexp_cuda_kernelERKNSE_10TensorBaseESI_lENKUlvE_clEvENKUlvE1_clEvEUlS7_S7_E_S7_EEDaPvRmT3_T4_T5_mT6_P12ihipStream_tbENKUlT_T0_E_clISt17integral_constantIbLb1EESZ_EEDaSU_SV_EUlSU_E0_NS1_11comp_targetILNS1_3genE8ELNS1_11target_archE1030ELNS1_3gpuE2ELNS1_3repE0EEENS1_30default_config_static_selectorELNS0_4arch9wavefront6targetE0EEEvT1_
	.p2align	8
	.type	_ZN7rocprim17ROCPRIM_400000_NS6detail17trampoline_kernelINS0_14default_configENS1_20scan_config_selectorIN3c107complexIdEEEEZZNS1_9scan_implILNS1_25lookback_scan_determinismE0ELb0ELb0ES3_PKS7_PS7_S7_ZZZN2at6native31launch_logcumsumexp_cuda_kernelERKNSE_10TensorBaseESI_lENKUlvE_clEvENKUlvE1_clEvEUlS7_S7_E_S7_EEDaPvRmT3_T4_T5_mT6_P12ihipStream_tbENKUlT_T0_E_clISt17integral_constantIbLb1EESZ_EEDaSU_SV_EUlSU_E0_NS1_11comp_targetILNS1_3genE8ELNS1_11target_archE1030ELNS1_3gpuE2ELNS1_3repE0EEENS1_30default_config_static_selectorELNS0_4arch9wavefront6targetE0EEEvT1_,@function
_ZN7rocprim17ROCPRIM_400000_NS6detail17trampoline_kernelINS0_14default_configENS1_20scan_config_selectorIN3c107complexIdEEEEZZNS1_9scan_implILNS1_25lookback_scan_determinismE0ELb0ELb0ES3_PKS7_PS7_S7_ZZZN2at6native31launch_logcumsumexp_cuda_kernelERKNSE_10TensorBaseESI_lENKUlvE_clEvENKUlvE1_clEvEUlS7_S7_E_S7_EEDaPvRmT3_T4_T5_mT6_P12ihipStream_tbENKUlT_T0_E_clISt17integral_constantIbLb1EESZ_EEDaSU_SV_EUlSU_E0_NS1_11comp_targetILNS1_3genE8ELNS1_11target_archE1030ELNS1_3gpuE2ELNS1_3repE0EEENS1_30default_config_static_selectorELNS0_4arch9wavefront6targetE0EEEvT1_: ; @_ZN7rocprim17ROCPRIM_400000_NS6detail17trampoline_kernelINS0_14default_configENS1_20scan_config_selectorIN3c107complexIdEEEEZZNS1_9scan_implILNS1_25lookback_scan_determinismE0ELb0ELb0ES3_PKS7_PS7_S7_ZZZN2at6native31launch_logcumsumexp_cuda_kernelERKNSE_10TensorBaseESI_lENKUlvE_clEvENKUlvE1_clEvEUlS7_S7_E_S7_EEDaPvRmT3_T4_T5_mT6_P12ihipStream_tbENKUlT_T0_E_clISt17integral_constantIbLb1EESZ_EEDaSU_SV_EUlSU_E0_NS1_11comp_targetILNS1_3genE8ELNS1_11target_archE1030ELNS1_3gpuE2ELNS1_3repE0EEENS1_30default_config_static_selectorELNS0_4arch9wavefront6targetE0EEEvT1_
; %bb.0:
	.section	.rodata,"a",@progbits
	.p2align	6, 0x0
	.amdhsa_kernel _ZN7rocprim17ROCPRIM_400000_NS6detail17trampoline_kernelINS0_14default_configENS1_20scan_config_selectorIN3c107complexIdEEEEZZNS1_9scan_implILNS1_25lookback_scan_determinismE0ELb0ELb0ES3_PKS7_PS7_S7_ZZZN2at6native31launch_logcumsumexp_cuda_kernelERKNSE_10TensorBaseESI_lENKUlvE_clEvENKUlvE1_clEvEUlS7_S7_E_S7_EEDaPvRmT3_T4_T5_mT6_P12ihipStream_tbENKUlT_T0_E_clISt17integral_constantIbLb1EESZ_EEDaSU_SV_EUlSU_E0_NS1_11comp_targetILNS1_3genE8ELNS1_11target_archE1030ELNS1_3gpuE2ELNS1_3repE0EEENS1_30default_config_static_selectorELNS0_4arch9wavefront6targetE0EEEvT1_
		.amdhsa_group_segment_fixed_size 0
		.amdhsa_private_segment_fixed_size 0
		.amdhsa_kernarg_size 48
		.amdhsa_user_sgpr_count 15
		.amdhsa_user_sgpr_dispatch_ptr 0
		.amdhsa_user_sgpr_queue_ptr 0
		.amdhsa_user_sgpr_kernarg_segment_ptr 1
		.amdhsa_user_sgpr_dispatch_id 0
		.amdhsa_user_sgpr_private_segment_size 0
		.amdhsa_wavefront_size32 1
		.amdhsa_uses_dynamic_stack 0
		.amdhsa_enable_private_segment 0
		.amdhsa_system_sgpr_workgroup_id_x 1
		.amdhsa_system_sgpr_workgroup_id_y 0
		.amdhsa_system_sgpr_workgroup_id_z 0
		.amdhsa_system_sgpr_workgroup_info 0
		.amdhsa_system_vgpr_workitem_id 0
		.amdhsa_next_free_vgpr 1
		.amdhsa_next_free_sgpr 1
		.amdhsa_reserve_vcc 0
		.amdhsa_float_round_mode_32 0
		.amdhsa_float_round_mode_16_64 0
		.amdhsa_float_denorm_mode_32 3
		.amdhsa_float_denorm_mode_16_64 3
		.amdhsa_dx10_clamp 1
		.amdhsa_ieee_mode 1
		.amdhsa_fp16_overflow 0
		.amdhsa_workgroup_processor_mode 1
		.amdhsa_memory_ordered 1
		.amdhsa_forward_progress 0
		.amdhsa_shared_vgpr_count 0
		.amdhsa_exception_fp_ieee_invalid_op 0
		.amdhsa_exception_fp_denorm_src 0
		.amdhsa_exception_fp_ieee_div_zero 0
		.amdhsa_exception_fp_ieee_overflow 0
		.amdhsa_exception_fp_ieee_underflow 0
		.amdhsa_exception_fp_ieee_inexact 0
		.amdhsa_exception_int_div_zero 0
	.end_amdhsa_kernel
	.section	.text._ZN7rocprim17ROCPRIM_400000_NS6detail17trampoline_kernelINS0_14default_configENS1_20scan_config_selectorIN3c107complexIdEEEEZZNS1_9scan_implILNS1_25lookback_scan_determinismE0ELb0ELb0ES3_PKS7_PS7_S7_ZZZN2at6native31launch_logcumsumexp_cuda_kernelERKNSE_10TensorBaseESI_lENKUlvE_clEvENKUlvE1_clEvEUlS7_S7_E_S7_EEDaPvRmT3_T4_T5_mT6_P12ihipStream_tbENKUlT_T0_E_clISt17integral_constantIbLb1EESZ_EEDaSU_SV_EUlSU_E0_NS1_11comp_targetILNS1_3genE8ELNS1_11target_archE1030ELNS1_3gpuE2ELNS1_3repE0EEENS1_30default_config_static_selectorELNS0_4arch9wavefront6targetE0EEEvT1_,"axG",@progbits,_ZN7rocprim17ROCPRIM_400000_NS6detail17trampoline_kernelINS0_14default_configENS1_20scan_config_selectorIN3c107complexIdEEEEZZNS1_9scan_implILNS1_25lookback_scan_determinismE0ELb0ELb0ES3_PKS7_PS7_S7_ZZZN2at6native31launch_logcumsumexp_cuda_kernelERKNSE_10TensorBaseESI_lENKUlvE_clEvENKUlvE1_clEvEUlS7_S7_E_S7_EEDaPvRmT3_T4_T5_mT6_P12ihipStream_tbENKUlT_T0_E_clISt17integral_constantIbLb1EESZ_EEDaSU_SV_EUlSU_E0_NS1_11comp_targetILNS1_3genE8ELNS1_11target_archE1030ELNS1_3gpuE2ELNS1_3repE0EEENS1_30default_config_static_selectorELNS0_4arch9wavefront6targetE0EEEvT1_,comdat
.Lfunc_end224:
	.size	_ZN7rocprim17ROCPRIM_400000_NS6detail17trampoline_kernelINS0_14default_configENS1_20scan_config_selectorIN3c107complexIdEEEEZZNS1_9scan_implILNS1_25lookback_scan_determinismE0ELb0ELb0ES3_PKS7_PS7_S7_ZZZN2at6native31launch_logcumsumexp_cuda_kernelERKNSE_10TensorBaseESI_lENKUlvE_clEvENKUlvE1_clEvEUlS7_S7_E_S7_EEDaPvRmT3_T4_T5_mT6_P12ihipStream_tbENKUlT_T0_E_clISt17integral_constantIbLb1EESZ_EEDaSU_SV_EUlSU_E0_NS1_11comp_targetILNS1_3genE8ELNS1_11target_archE1030ELNS1_3gpuE2ELNS1_3repE0EEENS1_30default_config_static_selectorELNS0_4arch9wavefront6targetE0EEEvT1_, .Lfunc_end224-_ZN7rocprim17ROCPRIM_400000_NS6detail17trampoline_kernelINS0_14default_configENS1_20scan_config_selectorIN3c107complexIdEEEEZZNS1_9scan_implILNS1_25lookback_scan_determinismE0ELb0ELb0ES3_PKS7_PS7_S7_ZZZN2at6native31launch_logcumsumexp_cuda_kernelERKNSE_10TensorBaseESI_lENKUlvE_clEvENKUlvE1_clEvEUlS7_S7_E_S7_EEDaPvRmT3_T4_T5_mT6_P12ihipStream_tbENKUlT_T0_E_clISt17integral_constantIbLb1EESZ_EEDaSU_SV_EUlSU_E0_NS1_11comp_targetILNS1_3genE8ELNS1_11target_archE1030ELNS1_3gpuE2ELNS1_3repE0EEENS1_30default_config_static_selectorELNS0_4arch9wavefront6targetE0EEEvT1_
                                        ; -- End function
	.section	.AMDGPU.csdata,"",@progbits
; Kernel info:
; codeLenInByte = 0
; NumSgprs: 0
; NumVgprs: 0
; ScratchSize: 0
; MemoryBound: 0
; FloatMode: 240
; IeeeMode: 1
; LDSByteSize: 0 bytes/workgroup (compile time only)
; SGPRBlocks: 0
; VGPRBlocks: 0
; NumSGPRsForWavesPerEU: 1
; NumVGPRsForWavesPerEU: 1
; Occupancy: 16
; WaveLimiterHint : 0
; COMPUTE_PGM_RSRC2:SCRATCH_EN: 0
; COMPUTE_PGM_RSRC2:USER_SGPR: 15
; COMPUTE_PGM_RSRC2:TRAP_HANDLER: 0
; COMPUTE_PGM_RSRC2:TGID_X_EN: 1
; COMPUTE_PGM_RSRC2:TGID_Y_EN: 0
; COMPUTE_PGM_RSRC2:TGID_Z_EN: 0
; COMPUTE_PGM_RSRC2:TIDIG_COMP_CNT: 0
	.section	.text._ZN7rocprim17ROCPRIM_400000_NS6detail31init_lookback_scan_state_kernelINS1_19lookback_scan_stateIN3c107complexIdEELb1ELb0EEENS1_16block_id_wrapperIjLb0EEEEEvT_jT0_jPNSA_10value_typeE,"axG",@progbits,_ZN7rocprim17ROCPRIM_400000_NS6detail31init_lookback_scan_state_kernelINS1_19lookback_scan_stateIN3c107complexIdEELb1ELb0EEENS1_16block_id_wrapperIjLb0EEEEEvT_jT0_jPNSA_10value_typeE,comdat
	.protected	_ZN7rocprim17ROCPRIM_400000_NS6detail31init_lookback_scan_state_kernelINS1_19lookback_scan_stateIN3c107complexIdEELb1ELb0EEENS1_16block_id_wrapperIjLb0EEEEEvT_jT0_jPNSA_10value_typeE ; -- Begin function _ZN7rocprim17ROCPRIM_400000_NS6detail31init_lookback_scan_state_kernelINS1_19lookback_scan_stateIN3c107complexIdEELb1ELb0EEENS1_16block_id_wrapperIjLb0EEEEEvT_jT0_jPNSA_10value_typeE
	.globl	_ZN7rocprim17ROCPRIM_400000_NS6detail31init_lookback_scan_state_kernelINS1_19lookback_scan_stateIN3c107complexIdEELb1ELb0EEENS1_16block_id_wrapperIjLb0EEEEEvT_jT0_jPNSA_10value_typeE
	.p2align	8
	.type	_ZN7rocprim17ROCPRIM_400000_NS6detail31init_lookback_scan_state_kernelINS1_19lookback_scan_stateIN3c107complexIdEELb1ELb0EEENS1_16block_id_wrapperIjLb0EEEEEvT_jT0_jPNSA_10value_typeE,@function
_ZN7rocprim17ROCPRIM_400000_NS6detail31init_lookback_scan_state_kernelINS1_19lookback_scan_stateIN3c107complexIdEELb1ELb0EEENS1_16block_id_wrapperIjLb0EEEEEvT_jT0_jPNSA_10value_typeE: ; @_ZN7rocprim17ROCPRIM_400000_NS6detail31init_lookback_scan_state_kernelINS1_19lookback_scan_stateIN3c107complexIdEELb1ELb0EEENS1_16block_id_wrapperIjLb0EEEEEvT_jT0_jPNSA_10value_typeE
; %bb.0:
	s_clause 0x3
	s_load_b32 s2, s[0:1], 0x3c
	s_load_b64 s[6:7], s[0:1], 0x28
	s_load_b64 s[4:5], s[0:1], 0x10
	s_load_b32 s12, s[0:1], 0x18
	s_waitcnt lgkmcnt(0)
	s_and_b32 s2, s2, 0xffff
	s_cmp_eq_u64 s[6:7], 0
	v_mad_u64_u32 v[1:2], null, s15, s2, v[0:1]
	s_cbranch_scc1 .LBB225_11
; %bb.1:
	s_load_b32 s2, s[0:1], 0x20
	s_mov_b32 s9, 0
	s_mov_b32 s13, exec_lo
	s_waitcnt lgkmcnt(0)
	s_cmp_lt_u32 s2, s12
	s_cselect_b32 s3, s2, 0
	s_delay_alu instid0(SALU_CYCLE_1)
	v_cmpx_eq_u32_e64 s3, v1
	s_cbranch_execz .LBB225_10
; %bb.2:
	s_add_i32 s8, s2, 32
	s_load_b128 s[0:3], s[0:1], 0x0
	v_mov_b32_e32 v0, s8
	s_add_u32 s10, s4, s8
	s_addc_u32 s11, s5, 0
	global_load_u8 v0, v0, s[4:5] glc
	s_waitcnt vmcnt(0)
	v_cmp_ne_u16_e32 vcc_lo, 0, v0
	v_readfirstlane_b32 s14, v0
	s_cbranch_vccz .LBB225_4
; %bb.3:
	s_delay_alu instid0(VALU_DEP_1)
	s_and_b32 s10, 0xffff, s14
	s_branch .LBB225_9
.LBB225_4:
	v_mov_b32_e32 v0, 0
	s_mov_b32 s14, 1
.LBB225_5:                              ; =>This Loop Header: Depth=1
                                        ;     Child Loop BB225_6 Depth 2
	s_delay_alu instid0(SALU_CYCLE_1)
	s_max_u32 s15, s14, 1
.LBB225_6:                              ;   Parent Loop BB225_5 Depth=1
                                        ; =>  This Inner Loop Header: Depth=2
	s_delay_alu instid0(SALU_CYCLE_1)
	s_add_i32 s15, s15, -1
	s_sleep 1
	s_cmp_eq_u32 s15, 0
	s_cbranch_scc0 .LBB225_6
; %bb.7:                                ;   in Loop: Header=BB225_5 Depth=1
	global_load_u8 v2, v0, s[10:11] glc
	s_cmp_lt_u32 s14, 32
	s_cselect_b32 s15, -1, 0
	s_delay_alu instid0(SALU_CYCLE_1)
	s_cmp_lg_u32 s15, 0
	s_addc_u32 s14, s14, 0
	s_waitcnt vmcnt(0)
	v_cmp_ne_u16_e32 vcc_lo, 0, v2
	v_readfirstlane_b32 s15, v2
	s_cbranch_vccz .LBB225_5
; %bb.8:
	s_delay_alu instid0(VALU_DEP_1)
	s_and_b32 s10, 0xffff, s15
.LBB225_9:
	s_delay_alu instid0(SALU_CYCLE_1)
	s_cmp_eq_u32 s10, 1
	v_mov_b32_e32 v0, 0
	s_waitcnt lgkmcnt(0)
	s_cselect_b32 s3, s1, s3
	s_cselect_b32 s2, s0, s2
	s_lshl_b64 s[0:1], s[8:9], 4
	buffer_gl1_inv
	buffer_gl0_inv
	s_add_u32 s0, s2, s0
	s_addc_u32 s1, s3, s1
	global_load_b128 v[2:5], v0, s[0:1]
	s_waitcnt vmcnt(0)
	global_store_b128 v0, v[2:5], s[6:7]
.LBB225_10:
	s_or_b32 exec_lo, exec_lo, s13
.LBB225_11:
	s_delay_alu instid0(SALU_CYCLE_1) | instskip(NEXT) | instid1(VALU_DEP_1)
	s_mov_b32 s0, exec_lo
	v_cmpx_gt_u32_e64 s12, v1
	s_cbranch_execz .LBB225_13
; %bb.12:
	v_add_nc_u32_e32 v0, 32, v1
	v_mov_b32_e32 v2, 0
	global_store_b8 v0, v2, s[4:5]
.LBB225_13:
	s_or_b32 exec_lo, exec_lo, s0
	s_delay_alu instid0(SALU_CYCLE_1)
	s_mov_b32 s0, exec_lo
	v_cmpx_gt_u32_e32 32, v1
	s_cbranch_execz .LBB225_15
; %bb.14:
	v_mov_b32_e32 v0, 0xff
	global_store_b8 v1, v0, s[4:5]
.LBB225_15:
	s_nop 0
	s_sendmsg sendmsg(MSG_DEALLOC_VGPRS)
	s_endpgm
	.section	.rodata,"a",@progbits
	.p2align	6, 0x0
	.amdhsa_kernel _ZN7rocprim17ROCPRIM_400000_NS6detail31init_lookback_scan_state_kernelINS1_19lookback_scan_stateIN3c107complexIdEELb1ELb0EEENS1_16block_id_wrapperIjLb0EEEEEvT_jT0_jPNSA_10value_typeE
		.amdhsa_group_segment_fixed_size 0
		.amdhsa_private_segment_fixed_size 0
		.amdhsa_kernarg_size 304
		.amdhsa_user_sgpr_count 15
		.amdhsa_user_sgpr_dispatch_ptr 0
		.amdhsa_user_sgpr_queue_ptr 0
		.amdhsa_user_sgpr_kernarg_segment_ptr 1
		.amdhsa_user_sgpr_dispatch_id 0
		.amdhsa_user_sgpr_private_segment_size 0
		.amdhsa_wavefront_size32 1
		.amdhsa_uses_dynamic_stack 0
		.amdhsa_enable_private_segment 0
		.amdhsa_system_sgpr_workgroup_id_x 1
		.amdhsa_system_sgpr_workgroup_id_y 0
		.amdhsa_system_sgpr_workgroup_id_z 0
		.amdhsa_system_sgpr_workgroup_info 0
		.amdhsa_system_vgpr_workitem_id 0
		.amdhsa_next_free_vgpr 6
		.amdhsa_next_free_sgpr 16
		.amdhsa_reserve_vcc 1
		.amdhsa_float_round_mode_32 0
		.amdhsa_float_round_mode_16_64 0
		.amdhsa_float_denorm_mode_32 3
		.amdhsa_float_denorm_mode_16_64 3
		.amdhsa_dx10_clamp 1
		.amdhsa_ieee_mode 1
		.amdhsa_fp16_overflow 0
		.amdhsa_workgroup_processor_mode 1
		.amdhsa_memory_ordered 1
		.amdhsa_forward_progress 0
		.amdhsa_shared_vgpr_count 0
		.amdhsa_exception_fp_ieee_invalid_op 0
		.amdhsa_exception_fp_denorm_src 0
		.amdhsa_exception_fp_ieee_div_zero 0
		.amdhsa_exception_fp_ieee_overflow 0
		.amdhsa_exception_fp_ieee_underflow 0
		.amdhsa_exception_fp_ieee_inexact 0
		.amdhsa_exception_int_div_zero 0
	.end_amdhsa_kernel
	.section	.text._ZN7rocprim17ROCPRIM_400000_NS6detail31init_lookback_scan_state_kernelINS1_19lookback_scan_stateIN3c107complexIdEELb1ELb0EEENS1_16block_id_wrapperIjLb0EEEEEvT_jT0_jPNSA_10value_typeE,"axG",@progbits,_ZN7rocprim17ROCPRIM_400000_NS6detail31init_lookback_scan_state_kernelINS1_19lookback_scan_stateIN3c107complexIdEELb1ELb0EEENS1_16block_id_wrapperIjLb0EEEEEvT_jT0_jPNSA_10value_typeE,comdat
.Lfunc_end225:
	.size	_ZN7rocprim17ROCPRIM_400000_NS6detail31init_lookback_scan_state_kernelINS1_19lookback_scan_stateIN3c107complexIdEELb1ELb0EEENS1_16block_id_wrapperIjLb0EEEEEvT_jT0_jPNSA_10value_typeE, .Lfunc_end225-_ZN7rocprim17ROCPRIM_400000_NS6detail31init_lookback_scan_state_kernelINS1_19lookback_scan_stateIN3c107complexIdEELb1ELb0EEENS1_16block_id_wrapperIjLb0EEEEEvT_jT0_jPNSA_10value_typeE
                                        ; -- End function
	.section	.AMDGPU.csdata,"",@progbits
; Kernel info:
; codeLenInByte = 424
; NumSgprs: 18
; NumVgprs: 6
; ScratchSize: 0
; MemoryBound: 0
; FloatMode: 240
; IeeeMode: 1
; LDSByteSize: 0 bytes/workgroup (compile time only)
; SGPRBlocks: 2
; VGPRBlocks: 0
; NumSGPRsForWavesPerEU: 18
; NumVGPRsForWavesPerEU: 6
; Occupancy: 16
; WaveLimiterHint : 0
; COMPUTE_PGM_RSRC2:SCRATCH_EN: 0
; COMPUTE_PGM_RSRC2:USER_SGPR: 15
; COMPUTE_PGM_RSRC2:TRAP_HANDLER: 0
; COMPUTE_PGM_RSRC2:TGID_X_EN: 1
; COMPUTE_PGM_RSRC2:TGID_Y_EN: 0
; COMPUTE_PGM_RSRC2:TGID_Z_EN: 0
; COMPUTE_PGM_RSRC2:TIDIG_COMP_CNT: 0
	.section	.text._ZN7rocprim17ROCPRIM_400000_NS6detail17trampoline_kernelINS0_14default_configENS1_20scan_config_selectorIN3c107complexIdEEEEZZNS1_9scan_implILNS1_25lookback_scan_determinismE0ELb0ELb0ES3_PKS7_PS7_S7_ZZZN2at6native31launch_logcumsumexp_cuda_kernelERKNSE_10TensorBaseESI_lENKUlvE_clEvENKUlvE1_clEvEUlS7_S7_E_S7_EEDaPvRmT3_T4_T5_mT6_P12ihipStream_tbENKUlT_T0_E_clISt17integral_constantIbLb1EESY_IbLb0EEEEDaSU_SV_EUlSU_E_NS1_11comp_targetILNS1_3genE0ELNS1_11target_archE4294967295ELNS1_3gpuE0ELNS1_3repE0EEENS1_30default_config_static_selectorELNS0_4arch9wavefront6targetE0EEEvT1_,"axG",@progbits,_ZN7rocprim17ROCPRIM_400000_NS6detail17trampoline_kernelINS0_14default_configENS1_20scan_config_selectorIN3c107complexIdEEEEZZNS1_9scan_implILNS1_25lookback_scan_determinismE0ELb0ELb0ES3_PKS7_PS7_S7_ZZZN2at6native31launch_logcumsumexp_cuda_kernelERKNSE_10TensorBaseESI_lENKUlvE_clEvENKUlvE1_clEvEUlS7_S7_E_S7_EEDaPvRmT3_T4_T5_mT6_P12ihipStream_tbENKUlT_T0_E_clISt17integral_constantIbLb1EESY_IbLb0EEEEDaSU_SV_EUlSU_E_NS1_11comp_targetILNS1_3genE0ELNS1_11target_archE4294967295ELNS1_3gpuE0ELNS1_3repE0EEENS1_30default_config_static_selectorELNS0_4arch9wavefront6targetE0EEEvT1_,comdat
	.globl	_ZN7rocprim17ROCPRIM_400000_NS6detail17trampoline_kernelINS0_14default_configENS1_20scan_config_selectorIN3c107complexIdEEEEZZNS1_9scan_implILNS1_25lookback_scan_determinismE0ELb0ELb0ES3_PKS7_PS7_S7_ZZZN2at6native31launch_logcumsumexp_cuda_kernelERKNSE_10TensorBaseESI_lENKUlvE_clEvENKUlvE1_clEvEUlS7_S7_E_S7_EEDaPvRmT3_T4_T5_mT6_P12ihipStream_tbENKUlT_T0_E_clISt17integral_constantIbLb1EESY_IbLb0EEEEDaSU_SV_EUlSU_E_NS1_11comp_targetILNS1_3genE0ELNS1_11target_archE4294967295ELNS1_3gpuE0ELNS1_3repE0EEENS1_30default_config_static_selectorELNS0_4arch9wavefront6targetE0EEEvT1_ ; -- Begin function _ZN7rocprim17ROCPRIM_400000_NS6detail17trampoline_kernelINS0_14default_configENS1_20scan_config_selectorIN3c107complexIdEEEEZZNS1_9scan_implILNS1_25lookback_scan_determinismE0ELb0ELb0ES3_PKS7_PS7_S7_ZZZN2at6native31launch_logcumsumexp_cuda_kernelERKNSE_10TensorBaseESI_lENKUlvE_clEvENKUlvE1_clEvEUlS7_S7_E_S7_EEDaPvRmT3_T4_T5_mT6_P12ihipStream_tbENKUlT_T0_E_clISt17integral_constantIbLb1EESY_IbLb0EEEEDaSU_SV_EUlSU_E_NS1_11comp_targetILNS1_3genE0ELNS1_11target_archE4294967295ELNS1_3gpuE0ELNS1_3repE0EEENS1_30default_config_static_selectorELNS0_4arch9wavefront6targetE0EEEvT1_
	.p2align	8
	.type	_ZN7rocprim17ROCPRIM_400000_NS6detail17trampoline_kernelINS0_14default_configENS1_20scan_config_selectorIN3c107complexIdEEEEZZNS1_9scan_implILNS1_25lookback_scan_determinismE0ELb0ELb0ES3_PKS7_PS7_S7_ZZZN2at6native31launch_logcumsumexp_cuda_kernelERKNSE_10TensorBaseESI_lENKUlvE_clEvENKUlvE1_clEvEUlS7_S7_E_S7_EEDaPvRmT3_T4_T5_mT6_P12ihipStream_tbENKUlT_T0_E_clISt17integral_constantIbLb1EESY_IbLb0EEEEDaSU_SV_EUlSU_E_NS1_11comp_targetILNS1_3genE0ELNS1_11target_archE4294967295ELNS1_3gpuE0ELNS1_3repE0EEENS1_30default_config_static_selectorELNS0_4arch9wavefront6targetE0EEEvT1_,@function
_ZN7rocprim17ROCPRIM_400000_NS6detail17trampoline_kernelINS0_14default_configENS1_20scan_config_selectorIN3c107complexIdEEEEZZNS1_9scan_implILNS1_25lookback_scan_determinismE0ELb0ELb0ES3_PKS7_PS7_S7_ZZZN2at6native31launch_logcumsumexp_cuda_kernelERKNSE_10TensorBaseESI_lENKUlvE_clEvENKUlvE1_clEvEUlS7_S7_E_S7_EEDaPvRmT3_T4_T5_mT6_P12ihipStream_tbENKUlT_T0_E_clISt17integral_constantIbLb1EESY_IbLb0EEEEDaSU_SV_EUlSU_E_NS1_11comp_targetILNS1_3genE0ELNS1_11target_archE4294967295ELNS1_3gpuE0ELNS1_3repE0EEENS1_30default_config_static_selectorELNS0_4arch9wavefront6targetE0EEEvT1_: ; @_ZN7rocprim17ROCPRIM_400000_NS6detail17trampoline_kernelINS0_14default_configENS1_20scan_config_selectorIN3c107complexIdEEEEZZNS1_9scan_implILNS1_25lookback_scan_determinismE0ELb0ELb0ES3_PKS7_PS7_S7_ZZZN2at6native31launch_logcumsumexp_cuda_kernelERKNSE_10TensorBaseESI_lENKUlvE_clEvENKUlvE1_clEvEUlS7_S7_E_S7_EEDaPvRmT3_T4_T5_mT6_P12ihipStream_tbENKUlT_T0_E_clISt17integral_constantIbLb1EESY_IbLb0EEEEDaSU_SV_EUlSU_E_NS1_11comp_targetILNS1_3genE0ELNS1_11target_archE4294967295ELNS1_3gpuE0ELNS1_3repE0EEENS1_30default_config_static_selectorELNS0_4arch9wavefront6targetE0EEEvT1_
; %bb.0:
	.section	.rodata,"a",@progbits
	.p2align	6, 0x0
	.amdhsa_kernel _ZN7rocprim17ROCPRIM_400000_NS6detail17trampoline_kernelINS0_14default_configENS1_20scan_config_selectorIN3c107complexIdEEEEZZNS1_9scan_implILNS1_25lookback_scan_determinismE0ELb0ELb0ES3_PKS7_PS7_S7_ZZZN2at6native31launch_logcumsumexp_cuda_kernelERKNSE_10TensorBaseESI_lENKUlvE_clEvENKUlvE1_clEvEUlS7_S7_E_S7_EEDaPvRmT3_T4_T5_mT6_P12ihipStream_tbENKUlT_T0_E_clISt17integral_constantIbLb1EESY_IbLb0EEEEDaSU_SV_EUlSU_E_NS1_11comp_targetILNS1_3genE0ELNS1_11target_archE4294967295ELNS1_3gpuE0ELNS1_3repE0EEENS1_30default_config_static_selectorELNS0_4arch9wavefront6targetE0EEEvT1_
		.amdhsa_group_segment_fixed_size 0
		.amdhsa_private_segment_fixed_size 0
		.amdhsa_kernarg_size 128
		.amdhsa_user_sgpr_count 15
		.amdhsa_user_sgpr_dispatch_ptr 0
		.amdhsa_user_sgpr_queue_ptr 0
		.amdhsa_user_sgpr_kernarg_segment_ptr 1
		.amdhsa_user_sgpr_dispatch_id 0
		.amdhsa_user_sgpr_private_segment_size 0
		.amdhsa_wavefront_size32 1
		.amdhsa_uses_dynamic_stack 0
		.amdhsa_enable_private_segment 0
		.amdhsa_system_sgpr_workgroup_id_x 1
		.amdhsa_system_sgpr_workgroup_id_y 0
		.amdhsa_system_sgpr_workgroup_id_z 0
		.amdhsa_system_sgpr_workgroup_info 0
		.amdhsa_system_vgpr_workitem_id 0
		.amdhsa_next_free_vgpr 1
		.amdhsa_next_free_sgpr 1
		.amdhsa_reserve_vcc 0
		.amdhsa_float_round_mode_32 0
		.amdhsa_float_round_mode_16_64 0
		.amdhsa_float_denorm_mode_32 3
		.amdhsa_float_denorm_mode_16_64 3
		.amdhsa_dx10_clamp 1
		.amdhsa_ieee_mode 1
		.amdhsa_fp16_overflow 0
		.amdhsa_workgroup_processor_mode 1
		.amdhsa_memory_ordered 1
		.amdhsa_forward_progress 0
		.amdhsa_shared_vgpr_count 0
		.amdhsa_exception_fp_ieee_invalid_op 0
		.amdhsa_exception_fp_denorm_src 0
		.amdhsa_exception_fp_ieee_div_zero 0
		.amdhsa_exception_fp_ieee_overflow 0
		.amdhsa_exception_fp_ieee_underflow 0
		.amdhsa_exception_fp_ieee_inexact 0
		.amdhsa_exception_int_div_zero 0
	.end_amdhsa_kernel
	.section	.text._ZN7rocprim17ROCPRIM_400000_NS6detail17trampoline_kernelINS0_14default_configENS1_20scan_config_selectorIN3c107complexIdEEEEZZNS1_9scan_implILNS1_25lookback_scan_determinismE0ELb0ELb0ES3_PKS7_PS7_S7_ZZZN2at6native31launch_logcumsumexp_cuda_kernelERKNSE_10TensorBaseESI_lENKUlvE_clEvENKUlvE1_clEvEUlS7_S7_E_S7_EEDaPvRmT3_T4_T5_mT6_P12ihipStream_tbENKUlT_T0_E_clISt17integral_constantIbLb1EESY_IbLb0EEEEDaSU_SV_EUlSU_E_NS1_11comp_targetILNS1_3genE0ELNS1_11target_archE4294967295ELNS1_3gpuE0ELNS1_3repE0EEENS1_30default_config_static_selectorELNS0_4arch9wavefront6targetE0EEEvT1_,"axG",@progbits,_ZN7rocprim17ROCPRIM_400000_NS6detail17trampoline_kernelINS0_14default_configENS1_20scan_config_selectorIN3c107complexIdEEEEZZNS1_9scan_implILNS1_25lookback_scan_determinismE0ELb0ELb0ES3_PKS7_PS7_S7_ZZZN2at6native31launch_logcumsumexp_cuda_kernelERKNSE_10TensorBaseESI_lENKUlvE_clEvENKUlvE1_clEvEUlS7_S7_E_S7_EEDaPvRmT3_T4_T5_mT6_P12ihipStream_tbENKUlT_T0_E_clISt17integral_constantIbLb1EESY_IbLb0EEEEDaSU_SV_EUlSU_E_NS1_11comp_targetILNS1_3genE0ELNS1_11target_archE4294967295ELNS1_3gpuE0ELNS1_3repE0EEENS1_30default_config_static_selectorELNS0_4arch9wavefront6targetE0EEEvT1_,comdat
.Lfunc_end226:
	.size	_ZN7rocprim17ROCPRIM_400000_NS6detail17trampoline_kernelINS0_14default_configENS1_20scan_config_selectorIN3c107complexIdEEEEZZNS1_9scan_implILNS1_25lookback_scan_determinismE0ELb0ELb0ES3_PKS7_PS7_S7_ZZZN2at6native31launch_logcumsumexp_cuda_kernelERKNSE_10TensorBaseESI_lENKUlvE_clEvENKUlvE1_clEvEUlS7_S7_E_S7_EEDaPvRmT3_T4_T5_mT6_P12ihipStream_tbENKUlT_T0_E_clISt17integral_constantIbLb1EESY_IbLb0EEEEDaSU_SV_EUlSU_E_NS1_11comp_targetILNS1_3genE0ELNS1_11target_archE4294967295ELNS1_3gpuE0ELNS1_3repE0EEENS1_30default_config_static_selectorELNS0_4arch9wavefront6targetE0EEEvT1_, .Lfunc_end226-_ZN7rocprim17ROCPRIM_400000_NS6detail17trampoline_kernelINS0_14default_configENS1_20scan_config_selectorIN3c107complexIdEEEEZZNS1_9scan_implILNS1_25lookback_scan_determinismE0ELb0ELb0ES3_PKS7_PS7_S7_ZZZN2at6native31launch_logcumsumexp_cuda_kernelERKNSE_10TensorBaseESI_lENKUlvE_clEvENKUlvE1_clEvEUlS7_S7_E_S7_EEDaPvRmT3_T4_T5_mT6_P12ihipStream_tbENKUlT_T0_E_clISt17integral_constantIbLb1EESY_IbLb0EEEEDaSU_SV_EUlSU_E_NS1_11comp_targetILNS1_3genE0ELNS1_11target_archE4294967295ELNS1_3gpuE0ELNS1_3repE0EEENS1_30default_config_static_selectorELNS0_4arch9wavefront6targetE0EEEvT1_
                                        ; -- End function
	.section	.AMDGPU.csdata,"",@progbits
; Kernel info:
; codeLenInByte = 0
; NumSgprs: 0
; NumVgprs: 0
; ScratchSize: 0
; MemoryBound: 0
; FloatMode: 240
; IeeeMode: 1
; LDSByteSize: 0 bytes/workgroup (compile time only)
; SGPRBlocks: 0
; VGPRBlocks: 0
; NumSGPRsForWavesPerEU: 1
; NumVGPRsForWavesPerEU: 1
; Occupancy: 16
; WaveLimiterHint : 0
; COMPUTE_PGM_RSRC2:SCRATCH_EN: 0
; COMPUTE_PGM_RSRC2:USER_SGPR: 15
; COMPUTE_PGM_RSRC2:TRAP_HANDLER: 0
; COMPUTE_PGM_RSRC2:TGID_X_EN: 1
; COMPUTE_PGM_RSRC2:TGID_Y_EN: 0
; COMPUTE_PGM_RSRC2:TGID_Z_EN: 0
; COMPUTE_PGM_RSRC2:TIDIG_COMP_CNT: 0
	.section	.text._ZN7rocprim17ROCPRIM_400000_NS6detail17trampoline_kernelINS0_14default_configENS1_20scan_config_selectorIN3c107complexIdEEEEZZNS1_9scan_implILNS1_25lookback_scan_determinismE0ELb0ELb0ES3_PKS7_PS7_S7_ZZZN2at6native31launch_logcumsumexp_cuda_kernelERKNSE_10TensorBaseESI_lENKUlvE_clEvENKUlvE1_clEvEUlS7_S7_E_S7_EEDaPvRmT3_T4_T5_mT6_P12ihipStream_tbENKUlT_T0_E_clISt17integral_constantIbLb1EESY_IbLb0EEEEDaSU_SV_EUlSU_E_NS1_11comp_targetILNS1_3genE5ELNS1_11target_archE942ELNS1_3gpuE9ELNS1_3repE0EEENS1_30default_config_static_selectorELNS0_4arch9wavefront6targetE0EEEvT1_,"axG",@progbits,_ZN7rocprim17ROCPRIM_400000_NS6detail17trampoline_kernelINS0_14default_configENS1_20scan_config_selectorIN3c107complexIdEEEEZZNS1_9scan_implILNS1_25lookback_scan_determinismE0ELb0ELb0ES3_PKS7_PS7_S7_ZZZN2at6native31launch_logcumsumexp_cuda_kernelERKNSE_10TensorBaseESI_lENKUlvE_clEvENKUlvE1_clEvEUlS7_S7_E_S7_EEDaPvRmT3_T4_T5_mT6_P12ihipStream_tbENKUlT_T0_E_clISt17integral_constantIbLb1EESY_IbLb0EEEEDaSU_SV_EUlSU_E_NS1_11comp_targetILNS1_3genE5ELNS1_11target_archE942ELNS1_3gpuE9ELNS1_3repE0EEENS1_30default_config_static_selectorELNS0_4arch9wavefront6targetE0EEEvT1_,comdat
	.globl	_ZN7rocprim17ROCPRIM_400000_NS6detail17trampoline_kernelINS0_14default_configENS1_20scan_config_selectorIN3c107complexIdEEEEZZNS1_9scan_implILNS1_25lookback_scan_determinismE0ELb0ELb0ES3_PKS7_PS7_S7_ZZZN2at6native31launch_logcumsumexp_cuda_kernelERKNSE_10TensorBaseESI_lENKUlvE_clEvENKUlvE1_clEvEUlS7_S7_E_S7_EEDaPvRmT3_T4_T5_mT6_P12ihipStream_tbENKUlT_T0_E_clISt17integral_constantIbLb1EESY_IbLb0EEEEDaSU_SV_EUlSU_E_NS1_11comp_targetILNS1_3genE5ELNS1_11target_archE942ELNS1_3gpuE9ELNS1_3repE0EEENS1_30default_config_static_selectorELNS0_4arch9wavefront6targetE0EEEvT1_ ; -- Begin function _ZN7rocprim17ROCPRIM_400000_NS6detail17trampoline_kernelINS0_14default_configENS1_20scan_config_selectorIN3c107complexIdEEEEZZNS1_9scan_implILNS1_25lookback_scan_determinismE0ELb0ELb0ES3_PKS7_PS7_S7_ZZZN2at6native31launch_logcumsumexp_cuda_kernelERKNSE_10TensorBaseESI_lENKUlvE_clEvENKUlvE1_clEvEUlS7_S7_E_S7_EEDaPvRmT3_T4_T5_mT6_P12ihipStream_tbENKUlT_T0_E_clISt17integral_constantIbLb1EESY_IbLb0EEEEDaSU_SV_EUlSU_E_NS1_11comp_targetILNS1_3genE5ELNS1_11target_archE942ELNS1_3gpuE9ELNS1_3repE0EEENS1_30default_config_static_selectorELNS0_4arch9wavefront6targetE0EEEvT1_
	.p2align	8
	.type	_ZN7rocprim17ROCPRIM_400000_NS6detail17trampoline_kernelINS0_14default_configENS1_20scan_config_selectorIN3c107complexIdEEEEZZNS1_9scan_implILNS1_25lookback_scan_determinismE0ELb0ELb0ES3_PKS7_PS7_S7_ZZZN2at6native31launch_logcumsumexp_cuda_kernelERKNSE_10TensorBaseESI_lENKUlvE_clEvENKUlvE1_clEvEUlS7_S7_E_S7_EEDaPvRmT3_T4_T5_mT6_P12ihipStream_tbENKUlT_T0_E_clISt17integral_constantIbLb1EESY_IbLb0EEEEDaSU_SV_EUlSU_E_NS1_11comp_targetILNS1_3genE5ELNS1_11target_archE942ELNS1_3gpuE9ELNS1_3repE0EEENS1_30default_config_static_selectorELNS0_4arch9wavefront6targetE0EEEvT1_,@function
_ZN7rocprim17ROCPRIM_400000_NS6detail17trampoline_kernelINS0_14default_configENS1_20scan_config_selectorIN3c107complexIdEEEEZZNS1_9scan_implILNS1_25lookback_scan_determinismE0ELb0ELb0ES3_PKS7_PS7_S7_ZZZN2at6native31launch_logcumsumexp_cuda_kernelERKNSE_10TensorBaseESI_lENKUlvE_clEvENKUlvE1_clEvEUlS7_S7_E_S7_EEDaPvRmT3_T4_T5_mT6_P12ihipStream_tbENKUlT_T0_E_clISt17integral_constantIbLb1EESY_IbLb0EEEEDaSU_SV_EUlSU_E_NS1_11comp_targetILNS1_3genE5ELNS1_11target_archE942ELNS1_3gpuE9ELNS1_3repE0EEENS1_30default_config_static_selectorELNS0_4arch9wavefront6targetE0EEEvT1_: ; @_ZN7rocprim17ROCPRIM_400000_NS6detail17trampoline_kernelINS0_14default_configENS1_20scan_config_selectorIN3c107complexIdEEEEZZNS1_9scan_implILNS1_25lookback_scan_determinismE0ELb0ELb0ES3_PKS7_PS7_S7_ZZZN2at6native31launch_logcumsumexp_cuda_kernelERKNSE_10TensorBaseESI_lENKUlvE_clEvENKUlvE1_clEvEUlS7_S7_E_S7_EEDaPvRmT3_T4_T5_mT6_P12ihipStream_tbENKUlT_T0_E_clISt17integral_constantIbLb1EESY_IbLb0EEEEDaSU_SV_EUlSU_E_NS1_11comp_targetILNS1_3genE5ELNS1_11target_archE942ELNS1_3gpuE9ELNS1_3repE0EEENS1_30default_config_static_selectorELNS0_4arch9wavefront6targetE0EEEvT1_
; %bb.0:
	.section	.rodata,"a",@progbits
	.p2align	6, 0x0
	.amdhsa_kernel _ZN7rocprim17ROCPRIM_400000_NS6detail17trampoline_kernelINS0_14default_configENS1_20scan_config_selectorIN3c107complexIdEEEEZZNS1_9scan_implILNS1_25lookback_scan_determinismE0ELb0ELb0ES3_PKS7_PS7_S7_ZZZN2at6native31launch_logcumsumexp_cuda_kernelERKNSE_10TensorBaseESI_lENKUlvE_clEvENKUlvE1_clEvEUlS7_S7_E_S7_EEDaPvRmT3_T4_T5_mT6_P12ihipStream_tbENKUlT_T0_E_clISt17integral_constantIbLb1EESY_IbLb0EEEEDaSU_SV_EUlSU_E_NS1_11comp_targetILNS1_3genE5ELNS1_11target_archE942ELNS1_3gpuE9ELNS1_3repE0EEENS1_30default_config_static_selectorELNS0_4arch9wavefront6targetE0EEEvT1_
		.amdhsa_group_segment_fixed_size 0
		.amdhsa_private_segment_fixed_size 0
		.amdhsa_kernarg_size 128
		.amdhsa_user_sgpr_count 15
		.amdhsa_user_sgpr_dispatch_ptr 0
		.amdhsa_user_sgpr_queue_ptr 0
		.amdhsa_user_sgpr_kernarg_segment_ptr 1
		.amdhsa_user_sgpr_dispatch_id 0
		.amdhsa_user_sgpr_private_segment_size 0
		.amdhsa_wavefront_size32 1
		.amdhsa_uses_dynamic_stack 0
		.amdhsa_enable_private_segment 0
		.amdhsa_system_sgpr_workgroup_id_x 1
		.amdhsa_system_sgpr_workgroup_id_y 0
		.amdhsa_system_sgpr_workgroup_id_z 0
		.amdhsa_system_sgpr_workgroup_info 0
		.amdhsa_system_vgpr_workitem_id 0
		.amdhsa_next_free_vgpr 1
		.amdhsa_next_free_sgpr 1
		.amdhsa_reserve_vcc 0
		.amdhsa_float_round_mode_32 0
		.amdhsa_float_round_mode_16_64 0
		.amdhsa_float_denorm_mode_32 3
		.amdhsa_float_denorm_mode_16_64 3
		.amdhsa_dx10_clamp 1
		.amdhsa_ieee_mode 1
		.amdhsa_fp16_overflow 0
		.amdhsa_workgroup_processor_mode 1
		.amdhsa_memory_ordered 1
		.amdhsa_forward_progress 0
		.amdhsa_shared_vgpr_count 0
		.amdhsa_exception_fp_ieee_invalid_op 0
		.amdhsa_exception_fp_denorm_src 0
		.amdhsa_exception_fp_ieee_div_zero 0
		.amdhsa_exception_fp_ieee_overflow 0
		.amdhsa_exception_fp_ieee_underflow 0
		.amdhsa_exception_fp_ieee_inexact 0
		.amdhsa_exception_int_div_zero 0
	.end_amdhsa_kernel
	.section	.text._ZN7rocprim17ROCPRIM_400000_NS6detail17trampoline_kernelINS0_14default_configENS1_20scan_config_selectorIN3c107complexIdEEEEZZNS1_9scan_implILNS1_25lookback_scan_determinismE0ELb0ELb0ES3_PKS7_PS7_S7_ZZZN2at6native31launch_logcumsumexp_cuda_kernelERKNSE_10TensorBaseESI_lENKUlvE_clEvENKUlvE1_clEvEUlS7_S7_E_S7_EEDaPvRmT3_T4_T5_mT6_P12ihipStream_tbENKUlT_T0_E_clISt17integral_constantIbLb1EESY_IbLb0EEEEDaSU_SV_EUlSU_E_NS1_11comp_targetILNS1_3genE5ELNS1_11target_archE942ELNS1_3gpuE9ELNS1_3repE0EEENS1_30default_config_static_selectorELNS0_4arch9wavefront6targetE0EEEvT1_,"axG",@progbits,_ZN7rocprim17ROCPRIM_400000_NS6detail17trampoline_kernelINS0_14default_configENS1_20scan_config_selectorIN3c107complexIdEEEEZZNS1_9scan_implILNS1_25lookback_scan_determinismE0ELb0ELb0ES3_PKS7_PS7_S7_ZZZN2at6native31launch_logcumsumexp_cuda_kernelERKNSE_10TensorBaseESI_lENKUlvE_clEvENKUlvE1_clEvEUlS7_S7_E_S7_EEDaPvRmT3_T4_T5_mT6_P12ihipStream_tbENKUlT_T0_E_clISt17integral_constantIbLb1EESY_IbLb0EEEEDaSU_SV_EUlSU_E_NS1_11comp_targetILNS1_3genE5ELNS1_11target_archE942ELNS1_3gpuE9ELNS1_3repE0EEENS1_30default_config_static_selectorELNS0_4arch9wavefront6targetE0EEEvT1_,comdat
.Lfunc_end227:
	.size	_ZN7rocprim17ROCPRIM_400000_NS6detail17trampoline_kernelINS0_14default_configENS1_20scan_config_selectorIN3c107complexIdEEEEZZNS1_9scan_implILNS1_25lookback_scan_determinismE0ELb0ELb0ES3_PKS7_PS7_S7_ZZZN2at6native31launch_logcumsumexp_cuda_kernelERKNSE_10TensorBaseESI_lENKUlvE_clEvENKUlvE1_clEvEUlS7_S7_E_S7_EEDaPvRmT3_T4_T5_mT6_P12ihipStream_tbENKUlT_T0_E_clISt17integral_constantIbLb1EESY_IbLb0EEEEDaSU_SV_EUlSU_E_NS1_11comp_targetILNS1_3genE5ELNS1_11target_archE942ELNS1_3gpuE9ELNS1_3repE0EEENS1_30default_config_static_selectorELNS0_4arch9wavefront6targetE0EEEvT1_, .Lfunc_end227-_ZN7rocprim17ROCPRIM_400000_NS6detail17trampoline_kernelINS0_14default_configENS1_20scan_config_selectorIN3c107complexIdEEEEZZNS1_9scan_implILNS1_25lookback_scan_determinismE0ELb0ELb0ES3_PKS7_PS7_S7_ZZZN2at6native31launch_logcumsumexp_cuda_kernelERKNSE_10TensorBaseESI_lENKUlvE_clEvENKUlvE1_clEvEUlS7_S7_E_S7_EEDaPvRmT3_T4_T5_mT6_P12ihipStream_tbENKUlT_T0_E_clISt17integral_constantIbLb1EESY_IbLb0EEEEDaSU_SV_EUlSU_E_NS1_11comp_targetILNS1_3genE5ELNS1_11target_archE942ELNS1_3gpuE9ELNS1_3repE0EEENS1_30default_config_static_selectorELNS0_4arch9wavefront6targetE0EEEvT1_
                                        ; -- End function
	.section	.AMDGPU.csdata,"",@progbits
; Kernel info:
; codeLenInByte = 0
; NumSgprs: 0
; NumVgprs: 0
; ScratchSize: 0
; MemoryBound: 0
; FloatMode: 240
; IeeeMode: 1
; LDSByteSize: 0 bytes/workgroup (compile time only)
; SGPRBlocks: 0
; VGPRBlocks: 0
; NumSGPRsForWavesPerEU: 1
; NumVGPRsForWavesPerEU: 1
; Occupancy: 16
; WaveLimiterHint : 0
; COMPUTE_PGM_RSRC2:SCRATCH_EN: 0
; COMPUTE_PGM_RSRC2:USER_SGPR: 15
; COMPUTE_PGM_RSRC2:TRAP_HANDLER: 0
; COMPUTE_PGM_RSRC2:TGID_X_EN: 1
; COMPUTE_PGM_RSRC2:TGID_Y_EN: 0
; COMPUTE_PGM_RSRC2:TGID_Z_EN: 0
; COMPUTE_PGM_RSRC2:TIDIG_COMP_CNT: 0
	.section	.text._ZN7rocprim17ROCPRIM_400000_NS6detail17trampoline_kernelINS0_14default_configENS1_20scan_config_selectorIN3c107complexIdEEEEZZNS1_9scan_implILNS1_25lookback_scan_determinismE0ELb0ELb0ES3_PKS7_PS7_S7_ZZZN2at6native31launch_logcumsumexp_cuda_kernelERKNSE_10TensorBaseESI_lENKUlvE_clEvENKUlvE1_clEvEUlS7_S7_E_S7_EEDaPvRmT3_T4_T5_mT6_P12ihipStream_tbENKUlT_T0_E_clISt17integral_constantIbLb1EESY_IbLb0EEEEDaSU_SV_EUlSU_E_NS1_11comp_targetILNS1_3genE4ELNS1_11target_archE910ELNS1_3gpuE8ELNS1_3repE0EEENS1_30default_config_static_selectorELNS0_4arch9wavefront6targetE0EEEvT1_,"axG",@progbits,_ZN7rocprim17ROCPRIM_400000_NS6detail17trampoline_kernelINS0_14default_configENS1_20scan_config_selectorIN3c107complexIdEEEEZZNS1_9scan_implILNS1_25lookback_scan_determinismE0ELb0ELb0ES3_PKS7_PS7_S7_ZZZN2at6native31launch_logcumsumexp_cuda_kernelERKNSE_10TensorBaseESI_lENKUlvE_clEvENKUlvE1_clEvEUlS7_S7_E_S7_EEDaPvRmT3_T4_T5_mT6_P12ihipStream_tbENKUlT_T0_E_clISt17integral_constantIbLb1EESY_IbLb0EEEEDaSU_SV_EUlSU_E_NS1_11comp_targetILNS1_3genE4ELNS1_11target_archE910ELNS1_3gpuE8ELNS1_3repE0EEENS1_30default_config_static_selectorELNS0_4arch9wavefront6targetE0EEEvT1_,comdat
	.globl	_ZN7rocprim17ROCPRIM_400000_NS6detail17trampoline_kernelINS0_14default_configENS1_20scan_config_selectorIN3c107complexIdEEEEZZNS1_9scan_implILNS1_25lookback_scan_determinismE0ELb0ELb0ES3_PKS7_PS7_S7_ZZZN2at6native31launch_logcumsumexp_cuda_kernelERKNSE_10TensorBaseESI_lENKUlvE_clEvENKUlvE1_clEvEUlS7_S7_E_S7_EEDaPvRmT3_T4_T5_mT6_P12ihipStream_tbENKUlT_T0_E_clISt17integral_constantIbLb1EESY_IbLb0EEEEDaSU_SV_EUlSU_E_NS1_11comp_targetILNS1_3genE4ELNS1_11target_archE910ELNS1_3gpuE8ELNS1_3repE0EEENS1_30default_config_static_selectorELNS0_4arch9wavefront6targetE0EEEvT1_ ; -- Begin function _ZN7rocprim17ROCPRIM_400000_NS6detail17trampoline_kernelINS0_14default_configENS1_20scan_config_selectorIN3c107complexIdEEEEZZNS1_9scan_implILNS1_25lookback_scan_determinismE0ELb0ELb0ES3_PKS7_PS7_S7_ZZZN2at6native31launch_logcumsumexp_cuda_kernelERKNSE_10TensorBaseESI_lENKUlvE_clEvENKUlvE1_clEvEUlS7_S7_E_S7_EEDaPvRmT3_T4_T5_mT6_P12ihipStream_tbENKUlT_T0_E_clISt17integral_constantIbLb1EESY_IbLb0EEEEDaSU_SV_EUlSU_E_NS1_11comp_targetILNS1_3genE4ELNS1_11target_archE910ELNS1_3gpuE8ELNS1_3repE0EEENS1_30default_config_static_selectorELNS0_4arch9wavefront6targetE0EEEvT1_
	.p2align	8
	.type	_ZN7rocprim17ROCPRIM_400000_NS6detail17trampoline_kernelINS0_14default_configENS1_20scan_config_selectorIN3c107complexIdEEEEZZNS1_9scan_implILNS1_25lookback_scan_determinismE0ELb0ELb0ES3_PKS7_PS7_S7_ZZZN2at6native31launch_logcumsumexp_cuda_kernelERKNSE_10TensorBaseESI_lENKUlvE_clEvENKUlvE1_clEvEUlS7_S7_E_S7_EEDaPvRmT3_T4_T5_mT6_P12ihipStream_tbENKUlT_T0_E_clISt17integral_constantIbLb1EESY_IbLb0EEEEDaSU_SV_EUlSU_E_NS1_11comp_targetILNS1_3genE4ELNS1_11target_archE910ELNS1_3gpuE8ELNS1_3repE0EEENS1_30default_config_static_selectorELNS0_4arch9wavefront6targetE0EEEvT1_,@function
_ZN7rocprim17ROCPRIM_400000_NS6detail17trampoline_kernelINS0_14default_configENS1_20scan_config_selectorIN3c107complexIdEEEEZZNS1_9scan_implILNS1_25lookback_scan_determinismE0ELb0ELb0ES3_PKS7_PS7_S7_ZZZN2at6native31launch_logcumsumexp_cuda_kernelERKNSE_10TensorBaseESI_lENKUlvE_clEvENKUlvE1_clEvEUlS7_S7_E_S7_EEDaPvRmT3_T4_T5_mT6_P12ihipStream_tbENKUlT_T0_E_clISt17integral_constantIbLb1EESY_IbLb0EEEEDaSU_SV_EUlSU_E_NS1_11comp_targetILNS1_3genE4ELNS1_11target_archE910ELNS1_3gpuE8ELNS1_3repE0EEENS1_30default_config_static_selectorELNS0_4arch9wavefront6targetE0EEEvT1_: ; @_ZN7rocprim17ROCPRIM_400000_NS6detail17trampoline_kernelINS0_14default_configENS1_20scan_config_selectorIN3c107complexIdEEEEZZNS1_9scan_implILNS1_25lookback_scan_determinismE0ELb0ELb0ES3_PKS7_PS7_S7_ZZZN2at6native31launch_logcumsumexp_cuda_kernelERKNSE_10TensorBaseESI_lENKUlvE_clEvENKUlvE1_clEvEUlS7_S7_E_S7_EEDaPvRmT3_T4_T5_mT6_P12ihipStream_tbENKUlT_T0_E_clISt17integral_constantIbLb1EESY_IbLb0EEEEDaSU_SV_EUlSU_E_NS1_11comp_targetILNS1_3genE4ELNS1_11target_archE910ELNS1_3gpuE8ELNS1_3repE0EEENS1_30default_config_static_selectorELNS0_4arch9wavefront6targetE0EEEvT1_
; %bb.0:
	.section	.rodata,"a",@progbits
	.p2align	6, 0x0
	.amdhsa_kernel _ZN7rocprim17ROCPRIM_400000_NS6detail17trampoline_kernelINS0_14default_configENS1_20scan_config_selectorIN3c107complexIdEEEEZZNS1_9scan_implILNS1_25lookback_scan_determinismE0ELb0ELb0ES3_PKS7_PS7_S7_ZZZN2at6native31launch_logcumsumexp_cuda_kernelERKNSE_10TensorBaseESI_lENKUlvE_clEvENKUlvE1_clEvEUlS7_S7_E_S7_EEDaPvRmT3_T4_T5_mT6_P12ihipStream_tbENKUlT_T0_E_clISt17integral_constantIbLb1EESY_IbLb0EEEEDaSU_SV_EUlSU_E_NS1_11comp_targetILNS1_3genE4ELNS1_11target_archE910ELNS1_3gpuE8ELNS1_3repE0EEENS1_30default_config_static_selectorELNS0_4arch9wavefront6targetE0EEEvT1_
		.amdhsa_group_segment_fixed_size 0
		.amdhsa_private_segment_fixed_size 0
		.amdhsa_kernarg_size 128
		.amdhsa_user_sgpr_count 15
		.amdhsa_user_sgpr_dispatch_ptr 0
		.amdhsa_user_sgpr_queue_ptr 0
		.amdhsa_user_sgpr_kernarg_segment_ptr 1
		.amdhsa_user_sgpr_dispatch_id 0
		.amdhsa_user_sgpr_private_segment_size 0
		.amdhsa_wavefront_size32 1
		.amdhsa_uses_dynamic_stack 0
		.amdhsa_enable_private_segment 0
		.amdhsa_system_sgpr_workgroup_id_x 1
		.amdhsa_system_sgpr_workgroup_id_y 0
		.amdhsa_system_sgpr_workgroup_id_z 0
		.amdhsa_system_sgpr_workgroup_info 0
		.amdhsa_system_vgpr_workitem_id 0
		.amdhsa_next_free_vgpr 1
		.amdhsa_next_free_sgpr 1
		.amdhsa_reserve_vcc 0
		.amdhsa_float_round_mode_32 0
		.amdhsa_float_round_mode_16_64 0
		.amdhsa_float_denorm_mode_32 3
		.amdhsa_float_denorm_mode_16_64 3
		.amdhsa_dx10_clamp 1
		.amdhsa_ieee_mode 1
		.amdhsa_fp16_overflow 0
		.amdhsa_workgroup_processor_mode 1
		.amdhsa_memory_ordered 1
		.amdhsa_forward_progress 0
		.amdhsa_shared_vgpr_count 0
		.amdhsa_exception_fp_ieee_invalid_op 0
		.amdhsa_exception_fp_denorm_src 0
		.amdhsa_exception_fp_ieee_div_zero 0
		.amdhsa_exception_fp_ieee_overflow 0
		.amdhsa_exception_fp_ieee_underflow 0
		.amdhsa_exception_fp_ieee_inexact 0
		.amdhsa_exception_int_div_zero 0
	.end_amdhsa_kernel
	.section	.text._ZN7rocprim17ROCPRIM_400000_NS6detail17trampoline_kernelINS0_14default_configENS1_20scan_config_selectorIN3c107complexIdEEEEZZNS1_9scan_implILNS1_25lookback_scan_determinismE0ELb0ELb0ES3_PKS7_PS7_S7_ZZZN2at6native31launch_logcumsumexp_cuda_kernelERKNSE_10TensorBaseESI_lENKUlvE_clEvENKUlvE1_clEvEUlS7_S7_E_S7_EEDaPvRmT3_T4_T5_mT6_P12ihipStream_tbENKUlT_T0_E_clISt17integral_constantIbLb1EESY_IbLb0EEEEDaSU_SV_EUlSU_E_NS1_11comp_targetILNS1_3genE4ELNS1_11target_archE910ELNS1_3gpuE8ELNS1_3repE0EEENS1_30default_config_static_selectorELNS0_4arch9wavefront6targetE0EEEvT1_,"axG",@progbits,_ZN7rocprim17ROCPRIM_400000_NS6detail17trampoline_kernelINS0_14default_configENS1_20scan_config_selectorIN3c107complexIdEEEEZZNS1_9scan_implILNS1_25lookback_scan_determinismE0ELb0ELb0ES3_PKS7_PS7_S7_ZZZN2at6native31launch_logcumsumexp_cuda_kernelERKNSE_10TensorBaseESI_lENKUlvE_clEvENKUlvE1_clEvEUlS7_S7_E_S7_EEDaPvRmT3_T4_T5_mT6_P12ihipStream_tbENKUlT_T0_E_clISt17integral_constantIbLb1EESY_IbLb0EEEEDaSU_SV_EUlSU_E_NS1_11comp_targetILNS1_3genE4ELNS1_11target_archE910ELNS1_3gpuE8ELNS1_3repE0EEENS1_30default_config_static_selectorELNS0_4arch9wavefront6targetE0EEEvT1_,comdat
.Lfunc_end228:
	.size	_ZN7rocprim17ROCPRIM_400000_NS6detail17trampoline_kernelINS0_14default_configENS1_20scan_config_selectorIN3c107complexIdEEEEZZNS1_9scan_implILNS1_25lookback_scan_determinismE0ELb0ELb0ES3_PKS7_PS7_S7_ZZZN2at6native31launch_logcumsumexp_cuda_kernelERKNSE_10TensorBaseESI_lENKUlvE_clEvENKUlvE1_clEvEUlS7_S7_E_S7_EEDaPvRmT3_T4_T5_mT6_P12ihipStream_tbENKUlT_T0_E_clISt17integral_constantIbLb1EESY_IbLb0EEEEDaSU_SV_EUlSU_E_NS1_11comp_targetILNS1_3genE4ELNS1_11target_archE910ELNS1_3gpuE8ELNS1_3repE0EEENS1_30default_config_static_selectorELNS0_4arch9wavefront6targetE0EEEvT1_, .Lfunc_end228-_ZN7rocprim17ROCPRIM_400000_NS6detail17trampoline_kernelINS0_14default_configENS1_20scan_config_selectorIN3c107complexIdEEEEZZNS1_9scan_implILNS1_25lookback_scan_determinismE0ELb0ELb0ES3_PKS7_PS7_S7_ZZZN2at6native31launch_logcumsumexp_cuda_kernelERKNSE_10TensorBaseESI_lENKUlvE_clEvENKUlvE1_clEvEUlS7_S7_E_S7_EEDaPvRmT3_T4_T5_mT6_P12ihipStream_tbENKUlT_T0_E_clISt17integral_constantIbLb1EESY_IbLb0EEEEDaSU_SV_EUlSU_E_NS1_11comp_targetILNS1_3genE4ELNS1_11target_archE910ELNS1_3gpuE8ELNS1_3repE0EEENS1_30default_config_static_selectorELNS0_4arch9wavefront6targetE0EEEvT1_
                                        ; -- End function
	.section	.AMDGPU.csdata,"",@progbits
; Kernel info:
; codeLenInByte = 0
; NumSgprs: 0
; NumVgprs: 0
; ScratchSize: 0
; MemoryBound: 0
; FloatMode: 240
; IeeeMode: 1
; LDSByteSize: 0 bytes/workgroup (compile time only)
; SGPRBlocks: 0
; VGPRBlocks: 0
; NumSGPRsForWavesPerEU: 1
; NumVGPRsForWavesPerEU: 1
; Occupancy: 16
; WaveLimiterHint : 0
; COMPUTE_PGM_RSRC2:SCRATCH_EN: 0
; COMPUTE_PGM_RSRC2:USER_SGPR: 15
; COMPUTE_PGM_RSRC2:TRAP_HANDLER: 0
; COMPUTE_PGM_RSRC2:TGID_X_EN: 1
; COMPUTE_PGM_RSRC2:TGID_Y_EN: 0
; COMPUTE_PGM_RSRC2:TGID_Z_EN: 0
; COMPUTE_PGM_RSRC2:TIDIG_COMP_CNT: 0
	.section	.text._ZN7rocprim17ROCPRIM_400000_NS6detail17trampoline_kernelINS0_14default_configENS1_20scan_config_selectorIN3c107complexIdEEEEZZNS1_9scan_implILNS1_25lookback_scan_determinismE0ELb0ELb0ES3_PKS7_PS7_S7_ZZZN2at6native31launch_logcumsumexp_cuda_kernelERKNSE_10TensorBaseESI_lENKUlvE_clEvENKUlvE1_clEvEUlS7_S7_E_S7_EEDaPvRmT3_T4_T5_mT6_P12ihipStream_tbENKUlT_T0_E_clISt17integral_constantIbLb1EESY_IbLb0EEEEDaSU_SV_EUlSU_E_NS1_11comp_targetILNS1_3genE3ELNS1_11target_archE908ELNS1_3gpuE7ELNS1_3repE0EEENS1_30default_config_static_selectorELNS0_4arch9wavefront6targetE0EEEvT1_,"axG",@progbits,_ZN7rocprim17ROCPRIM_400000_NS6detail17trampoline_kernelINS0_14default_configENS1_20scan_config_selectorIN3c107complexIdEEEEZZNS1_9scan_implILNS1_25lookback_scan_determinismE0ELb0ELb0ES3_PKS7_PS7_S7_ZZZN2at6native31launch_logcumsumexp_cuda_kernelERKNSE_10TensorBaseESI_lENKUlvE_clEvENKUlvE1_clEvEUlS7_S7_E_S7_EEDaPvRmT3_T4_T5_mT6_P12ihipStream_tbENKUlT_T0_E_clISt17integral_constantIbLb1EESY_IbLb0EEEEDaSU_SV_EUlSU_E_NS1_11comp_targetILNS1_3genE3ELNS1_11target_archE908ELNS1_3gpuE7ELNS1_3repE0EEENS1_30default_config_static_selectorELNS0_4arch9wavefront6targetE0EEEvT1_,comdat
	.globl	_ZN7rocprim17ROCPRIM_400000_NS6detail17trampoline_kernelINS0_14default_configENS1_20scan_config_selectorIN3c107complexIdEEEEZZNS1_9scan_implILNS1_25lookback_scan_determinismE0ELb0ELb0ES3_PKS7_PS7_S7_ZZZN2at6native31launch_logcumsumexp_cuda_kernelERKNSE_10TensorBaseESI_lENKUlvE_clEvENKUlvE1_clEvEUlS7_S7_E_S7_EEDaPvRmT3_T4_T5_mT6_P12ihipStream_tbENKUlT_T0_E_clISt17integral_constantIbLb1EESY_IbLb0EEEEDaSU_SV_EUlSU_E_NS1_11comp_targetILNS1_3genE3ELNS1_11target_archE908ELNS1_3gpuE7ELNS1_3repE0EEENS1_30default_config_static_selectorELNS0_4arch9wavefront6targetE0EEEvT1_ ; -- Begin function _ZN7rocprim17ROCPRIM_400000_NS6detail17trampoline_kernelINS0_14default_configENS1_20scan_config_selectorIN3c107complexIdEEEEZZNS1_9scan_implILNS1_25lookback_scan_determinismE0ELb0ELb0ES3_PKS7_PS7_S7_ZZZN2at6native31launch_logcumsumexp_cuda_kernelERKNSE_10TensorBaseESI_lENKUlvE_clEvENKUlvE1_clEvEUlS7_S7_E_S7_EEDaPvRmT3_T4_T5_mT6_P12ihipStream_tbENKUlT_T0_E_clISt17integral_constantIbLb1EESY_IbLb0EEEEDaSU_SV_EUlSU_E_NS1_11comp_targetILNS1_3genE3ELNS1_11target_archE908ELNS1_3gpuE7ELNS1_3repE0EEENS1_30default_config_static_selectorELNS0_4arch9wavefront6targetE0EEEvT1_
	.p2align	8
	.type	_ZN7rocprim17ROCPRIM_400000_NS6detail17trampoline_kernelINS0_14default_configENS1_20scan_config_selectorIN3c107complexIdEEEEZZNS1_9scan_implILNS1_25lookback_scan_determinismE0ELb0ELb0ES3_PKS7_PS7_S7_ZZZN2at6native31launch_logcumsumexp_cuda_kernelERKNSE_10TensorBaseESI_lENKUlvE_clEvENKUlvE1_clEvEUlS7_S7_E_S7_EEDaPvRmT3_T4_T5_mT6_P12ihipStream_tbENKUlT_T0_E_clISt17integral_constantIbLb1EESY_IbLb0EEEEDaSU_SV_EUlSU_E_NS1_11comp_targetILNS1_3genE3ELNS1_11target_archE908ELNS1_3gpuE7ELNS1_3repE0EEENS1_30default_config_static_selectorELNS0_4arch9wavefront6targetE0EEEvT1_,@function
_ZN7rocprim17ROCPRIM_400000_NS6detail17trampoline_kernelINS0_14default_configENS1_20scan_config_selectorIN3c107complexIdEEEEZZNS1_9scan_implILNS1_25lookback_scan_determinismE0ELb0ELb0ES3_PKS7_PS7_S7_ZZZN2at6native31launch_logcumsumexp_cuda_kernelERKNSE_10TensorBaseESI_lENKUlvE_clEvENKUlvE1_clEvEUlS7_S7_E_S7_EEDaPvRmT3_T4_T5_mT6_P12ihipStream_tbENKUlT_T0_E_clISt17integral_constantIbLb1EESY_IbLb0EEEEDaSU_SV_EUlSU_E_NS1_11comp_targetILNS1_3genE3ELNS1_11target_archE908ELNS1_3gpuE7ELNS1_3repE0EEENS1_30default_config_static_selectorELNS0_4arch9wavefront6targetE0EEEvT1_: ; @_ZN7rocprim17ROCPRIM_400000_NS6detail17trampoline_kernelINS0_14default_configENS1_20scan_config_selectorIN3c107complexIdEEEEZZNS1_9scan_implILNS1_25lookback_scan_determinismE0ELb0ELb0ES3_PKS7_PS7_S7_ZZZN2at6native31launch_logcumsumexp_cuda_kernelERKNSE_10TensorBaseESI_lENKUlvE_clEvENKUlvE1_clEvEUlS7_S7_E_S7_EEDaPvRmT3_T4_T5_mT6_P12ihipStream_tbENKUlT_T0_E_clISt17integral_constantIbLb1EESY_IbLb0EEEEDaSU_SV_EUlSU_E_NS1_11comp_targetILNS1_3genE3ELNS1_11target_archE908ELNS1_3gpuE7ELNS1_3repE0EEENS1_30default_config_static_selectorELNS0_4arch9wavefront6targetE0EEEvT1_
; %bb.0:
	.section	.rodata,"a",@progbits
	.p2align	6, 0x0
	.amdhsa_kernel _ZN7rocprim17ROCPRIM_400000_NS6detail17trampoline_kernelINS0_14default_configENS1_20scan_config_selectorIN3c107complexIdEEEEZZNS1_9scan_implILNS1_25lookback_scan_determinismE0ELb0ELb0ES3_PKS7_PS7_S7_ZZZN2at6native31launch_logcumsumexp_cuda_kernelERKNSE_10TensorBaseESI_lENKUlvE_clEvENKUlvE1_clEvEUlS7_S7_E_S7_EEDaPvRmT3_T4_T5_mT6_P12ihipStream_tbENKUlT_T0_E_clISt17integral_constantIbLb1EESY_IbLb0EEEEDaSU_SV_EUlSU_E_NS1_11comp_targetILNS1_3genE3ELNS1_11target_archE908ELNS1_3gpuE7ELNS1_3repE0EEENS1_30default_config_static_selectorELNS0_4arch9wavefront6targetE0EEEvT1_
		.amdhsa_group_segment_fixed_size 0
		.amdhsa_private_segment_fixed_size 0
		.amdhsa_kernarg_size 128
		.amdhsa_user_sgpr_count 15
		.amdhsa_user_sgpr_dispatch_ptr 0
		.amdhsa_user_sgpr_queue_ptr 0
		.amdhsa_user_sgpr_kernarg_segment_ptr 1
		.amdhsa_user_sgpr_dispatch_id 0
		.amdhsa_user_sgpr_private_segment_size 0
		.amdhsa_wavefront_size32 1
		.amdhsa_uses_dynamic_stack 0
		.amdhsa_enable_private_segment 0
		.amdhsa_system_sgpr_workgroup_id_x 1
		.amdhsa_system_sgpr_workgroup_id_y 0
		.amdhsa_system_sgpr_workgroup_id_z 0
		.amdhsa_system_sgpr_workgroup_info 0
		.amdhsa_system_vgpr_workitem_id 0
		.amdhsa_next_free_vgpr 1
		.amdhsa_next_free_sgpr 1
		.amdhsa_reserve_vcc 0
		.amdhsa_float_round_mode_32 0
		.amdhsa_float_round_mode_16_64 0
		.amdhsa_float_denorm_mode_32 3
		.amdhsa_float_denorm_mode_16_64 3
		.amdhsa_dx10_clamp 1
		.amdhsa_ieee_mode 1
		.amdhsa_fp16_overflow 0
		.amdhsa_workgroup_processor_mode 1
		.amdhsa_memory_ordered 1
		.amdhsa_forward_progress 0
		.amdhsa_shared_vgpr_count 0
		.amdhsa_exception_fp_ieee_invalid_op 0
		.amdhsa_exception_fp_denorm_src 0
		.amdhsa_exception_fp_ieee_div_zero 0
		.amdhsa_exception_fp_ieee_overflow 0
		.amdhsa_exception_fp_ieee_underflow 0
		.amdhsa_exception_fp_ieee_inexact 0
		.amdhsa_exception_int_div_zero 0
	.end_amdhsa_kernel
	.section	.text._ZN7rocprim17ROCPRIM_400000_NS6detail17trampoline_kernelINS0_14default_configENS1_20scan_config_selectorIN3c107complexIdEEEEZZNS1_9scan_implILNS1_25lookback_scan_determinismE0ELb0ELb0ES3_PKS7_PS7_S7_ZZZN2at6native31launch_logcumsumexp_cuda_kernelERKNSE_10TensorBaseESI_lENKUlvE_clEvENKUlvE1_clEvEUlS7_S7_E_S7_EEDaPvRmT3_T4_T5_mT6_P12ihipStream_tbENKUlT_T0_E_clISt17integral_constantIbLb1EESY_IbLb0EEEEDaSU_SV_EUlSU_E_NS1_11comp_targetILNS1_3genE3ELNS1_11target_archE908ELNS1_3gpuE7ELNS1_3repE0EEENS1_30default_config_static_selectorELNS0_4arch9wavefront6targetE0EEEvT1_,"axG",@progbits,_ZN7rocprim17ROCPRIM_400000_NS6detail17trampoline_kernelINS0_14default_configENS1_20scan_config_selectorIN3c107complexIdEEEEZZNS1_9scan_implILNS1_25lookback_scan_determinismE0ELb0ELb0ES3_PKS7_PS7_S7_ZZZN2at6native31launch_logcumsumexp_cuda_kernelERKNSE_10TensorBaseESI_lENKUlvE_clEvENKUlvE1_clEvEUlS7_S7_E_S7_EEDaPvRmT3_T4_T5_mT6_P12ihipStream_tbENKUlT_T0_E_clISt17integral_constantIbLb1EESY_IbLb0EEEEDaSU_SV_EUlSU_E_NS1_11comp_targetILNS1_3genE3ELNS1_11target_archE908ELNS1_3gpuE7ELNS1_3repE0EEENS1_30default_config_static_selectorELNS0_4arch9wavefront6targetE0EEEvT1_,comdat
.Lfunc_end229:
	.size	_ZN7rocprim17ROCPRIM_400000_NS6detail17trampoline_kernelINS0_14default_configENS1_20scan_config_selectorIN3c107complexIdEEEEZZNS1_9scan_implILNS1_25lookback_scan_determinismE0ELb0ELb0ES3_PKS7_PS7_S7_ZZZN2at6native31launch_logcumsumexp_cuda_kernelERKNSE_10TensorBaseESI_lENKUlvE_clEvENKUlvE1_clEvEUlS7_S7_E_S7_EEDaPvRmT3_T4_T5_mT6_P12ihipStream_tbENKUlT_T0_E_clISt17integral_constantIbLb1EESY_IbLb0EEEEDaSU_SV_EUlSU_E_NS1_11comp_targetILNS1_3genE3ELNS1_11target_archE908ELNS1_3gpuE7ELNS1_3repE0EEENS1_30default_config_static_selectorELNS0_4arch9wavefront6targetE0EEEvT1_, .Lfunc_end229-_ZN7rocprim17ROCPRIM_400000_NS6detail17trampoline_kernelINS0_14default_configENS1_20scan_config_selectorIN3c107complexIdEEEEZZNS1_9scan_implILNS1_25lookback_scan_determinismE0ELb0ELb0ES3_PKS7_PS7_S7_ZZZN2at6native31launch_logcumsumexp_cuda_kernelERKNSE_10TensorBaseESI_lENKUlvE_clEvENKUlvE1_clEvEUlS7_S7_E_S7_EEDaPvRmT3_T4_T5_mT6_P12ihipStream_tbENKUlT_T0_E_clISt17integral_constantIbLb1EESY_IbLb0EEEEDaSU_SV_EUlSU_E_NS1_11comp_targetILNS1_3genE3ELNS1_11target_archE908ELNS1_3gpuE7ELNS1_3repE0EEENS1_30default_config_static_selectorELNS0_4arch9wavefront6targetE0EEEvT1_
                                        ; -- End function
	.section	.AMDGPU.csdata,"",@progbits
; Kernel info:
; codeLenInByte = 0
; NumSgprs: 0
; NumVgprs: 0
; ScratchSize: 0
; MemoryBound: 0
; FloatMode: 240
; IeeeMode: 1
; LDSByteSize: 0 bytes/workgroup (compile time only)
; SGPRBlocks: 0
; VGPRBlocks: 0
; NumSGPRsForWavesPerEU: 1
; NumVGPRsForWavesPerEU: 1
; Occupancy: 16
; WaveLimiterHint : 0
; COMPUTE_PGM_RSRC2:SCRATCH_EN: 0
; COMPUTE_PGM_RSRC2:USER_SGPR: 15
; COMPUTE_PGM_RSRC2:TRAP_HANDLER: 0
; COMPUTE_PGM_RSRC2:TGID_X_EN: 1
; COMPUTE_PGM_RSRC2:TGID_Y_EN: 0
; COMPUTE_PGM_RSRC2:TGID_Z_EN: 0
; COMPUTE_PGM_RSRC2:TIDIG_COMP_CNT: 0
	.section	.text._ZN7rocprim17ROCPRIM_400000_NS6detail17trampoline_kernelINS0_14default_configENS1_20scan_config_selectorIN3c107complexIdEEEEZZNS1_9scan_implILNS1_25lookback_scan_determinismE0ELb0ELb0ES3_PKS7_PS7_S7_ZZZN2at6native31launch_logcumsumexp_cuda_kernelERKNSE_10TensorBaseESI_lENKUlvE_clEvENKUlvE1_clEvEUlS7_S7_E_S7_EEDaPvRmT3_T4_T5_mT6_P12ihipStream_tbENKUlT_T0_E_clISt17integral_constantIbLb1EESY_IbLb0EEEEDaSU_SV_EUlSU_E_NS1_11comp_targetILNS1_3genE2ELNS1_11target_archE906ELNS1_3gpuE6ELNS1_3repE0EEENS1_30default_config_static_selectorELNS0_4arch9wavefront6targetE0EEEvT1_,"axG",@progbits,_ZN7rocprim17ROCPRIM_400000_NS6detail17trampoline_kernelINS0_14default_configENS1_20scan_config_selectorIN3c107complexIdEEEEZZNS1_9scan_implILNS1_25lookback_scan_determinismE0ELb0ELb0ES3_PKS7_PS7_S7_ZZZN2at6native31launch_logcumsumexp_cuda_kernelERKNSE_10TensorBaseESI_lENKUlvE_clEvENKUlvE1_clEvEUlS7_S7_E_S7_EEDaPvRmT3_T4_T5_mT6_P12ihipStream_tbENKUlT_T0_E_clISt17integral_constantIbLb1EESY_IbLb0EEEEDaSU_SV_EUlSU_E_NS1_11comp_targetILNS1_3genE2ELNS1_11target_archE906ELNS1_3gpuE6ELNS1_3repE0EEENS1_30default_config_static_selectorELNS0_4arch9wavefront6targetE0EEEvT1_,comdat
	.globl	_ZN7rocprim17ROCPRIM_400000_NS6detail17trampoline_kernelINS0_14default_configENS1_20scan_config_selectorIN3c107complexIdEEEEZZNS1_9scan_implILNS1_25lookback_scan_determinismE0ELb0ELb0ES3_PKS7_PS7_S7_ZZZN2at6native31launch_logcumsumexp_cuda_kernelERKNSE_10TensorBaseESI_lENKUlvE_clEvENKUlvE1_clEvEUlS7_S7_E_S7_EEDaPvRmT3_T4_T5_mT6_P12ihipStream_tbENKUlT_T0_E_clISt17integral_constantIbLb1EESY_IbLb0EEEEDaSU_SV_EUlSU_E_NS1_11comp_targetILNS1_3genE2ELNS1_11target_archE906ELNS1_3gpuE6ELNS1_3repE0EEENS1_30default_config_static_selectorELNS0_4arch9wavefront6targetE0EEEvT1_ ; -- Begin function _ZN7rocprim17ROCPRIM_400000_NS6detail17trampoline_kernelINS0_14default_configENS1_20scan_config_selectorIN3c107complexIdEEEEZZNS1_9scan_implILNS1_25lookback_scan_determinismE0ELb0ELb0ES3_PKS7_PS7_S7_ZZZN2at6native31launch_logcumsumexp_cuda_kernelERKNSE_10TensorBaseESI_lENKUlvE_clEvENKUlvE1_clEvEUlS7_S7_E_S7_EEDaPvRmT3_T4_T5_mT6_P12ihipStream_tbENKUlT_T0_E_clISt17integral_constantIbLb1EESY_IbLb0EEEEDaSU_SV_EUlSU_E_NS1_11comp_targetILNS1_3genE2ELNS1_11target_archE906ELNS1_3gpuE6ELNS1_3repE0EEENS1_30default_config_static_selectorELNS0_4arch9wavefront6targetE0EEEvT1_
	.p2align	8
	.type	_ZN7rocprim17ROCPRIM_400000_NS6detail17trampoline_kernelINS0_14default_configENS1_20scan_config_selectorIN3c107complexIdEEEEZZNS1_9scan_implILNS1_25lookback_scan_determinismE0ELb0ELb0ES3_PKS7_PS7_S7_ZZZN2at6native31launch_logcumsumexp_cuda_kernelERKNSE_10TensorBaseESI_lENKUlvE_clEvENKUlvE1_clEvEUlS7_S7_E_S7_EEDaPvRmT3_T4_T5_mT6_P12ihipStream_tbENKUlT_T0_E_clISt17integral_constantIbLb1EESY_IbLb0EEEEDaSU_SV_EUlSU_E_NS1_11comp_targetILNS1_3genE2ELNS1_11target_archE906ELNS1_3gpuE6ELNS1_3repE0EEENS1_30default_config_static_selectorELNS0_4arch9wavefront6targetE0EEEvT1_,@function
_ZN7rocprim17ROCPRIM_400000_NS6detail17trampoline_kernelINS0_14default_configENS1_20scan_config_selectorIN3c107complexIdEEEEZZNS1_9scan_implILNS1_25lookback_scan_determinismE0ELb0ELb0ES3_PKS7_PS7_S7_ZZZN2at6native31launch_logcumsumexp_cuda_kernelERKNSE_10TensorBaseESI_lENKUlvE_clEvENKUlvE1_clEvEUlS7_S7_E_S7_EEDaPvRmT3_T4_T5_mT6_P12ihipStream_tbENKUlT_T0_E_clISt17integral_constantIbLb1EESY_IbLb0EEEEDaSU_SV_EUlSU_E_NS1_11comp_targetILNS1_3genE2ELNS1_11target_archE906ELNS1_3gpuE6ELNS1_3repE0EEENS1_30default_config_static_selectorELNS0_4arch9wavefront6targetE0EEEvT1_: ; @_ZN7rocprim17ROCPRIM_400000_NS6detail17trampoline_kernelINS0_14default_configENS1_20scan_config_selectorIN3c107complexIdEEEEZZNS1_9scan_implILNS1_25lookback_scan_determinismE0ELb0ELb0ES3_PKS7_PS7_S7_ZZZN2at6native31launch_logcumsumexp_cuda_kernelERKNSE_10TensorBaseESI_lENKUlvE_clEvENKUlvE1_clEvEUlS7_S7_E_S7_EEDaPvRmT3_T4_T5_mT6_P12ihipStream_tbENKUlT_T0_E_clISt17integral_constantIbLb1EESY_IbLb0EEEEDaSU_SV_EUlSU_E_NS1_11comp_targetILNS1_3genE2ELNS1_11target_archE906ELNS1_3gpuE6ELNS1_3repE0EEENS1_30default_config_static_selectorELNS0_4arch9wavefront6targetE0EEEvT1_
; %bb.0:
	.section	.rodata,"a",@progbits
	.p2align	6, 0x0
	.amdhsa_kernel _ZN7rocprim17ROCPRIM_400000_NS6detail17trampoline_kernelINS0_14default_configENS1_20scan_config_selectorIN3c107complexIdEEEEZZNS1_9scan_implILNS1_25lookback_scan_determinismE0ELb0ELb0ES3_PKS7_PS7_S7_ZZZN2at6native31launch_logcumsumexp_cuda_kernelERKNSE_10TensorBaseESI_lENKUlvE_clEvENKUlvE1_clEvEUlS7_S7_E_S7_EEDaPvRmT3_T4_T5_mT6_P12ihipStream_tbENKUlT_T0_E_clISt17integral_constantIbLb1EESY_IbLb0EEEEDaSU_SV_EUlSU_E_NS1_11comp_targetILNS1_3genE2ELNS1_11target_archE906ELNS1_3gpuE6ELNS1_3repE0EEENS1_30default_config_static_selectorELNS0_4arch9wavefront6targetE0EEEvT1_
		.amdhsa_group_segment_fixed_size 0
		.amdhsa_private_segment_fixed_size 0
		.amdhsa_kernarg_size 128
		.amdhsa_user_sgpr_count 15
		.amdhsa_user_sgpr_dispatch_ptr 0
		.amdhsa_user_sgpr_queue_ptr 0
		.amdhsa_user_sgpr_kernarg_segment_ptr 1
		.amdhsa_user_sgpr_dispatch_id 0
		.amdhsa_user_sgpr_private_segment_size 0
		.amdhsa_wavefront_size32 1
		.amdhsa_uses_dynamic_stack 0
		.amdhsa_enable_private_segment 0
		.amdhsa_system_sgpr_workgroup_id_x 1
		.amdhsa_system_sgpr_workgroup_id_y 0
		.amdhsa_system_sgpr_workgroup_id_z 0
		.amdhsa_system_sgpr_workgroup_info 0
		.amdhsa_system_vgpr_workitem_id 0
		.amdhsa_next_free_vgpr 1
		.amdhsa_next_free_sgpr 1
		.amdhsa_reserve_vcc 0
		.amdhsa_float_round_mode_32 0
		.amdhsa_float_round_mode_16_64 0
		.amdhsa_float_denorm_mode_32 3
		.amdhsa_float_denorm_mode_16_64 3
		.amdhsa_dx10_clamp 1
		.amdhsa_ieee_mode 1
		.amdhsa_fp16_overflow 0
		.amdhsa_workgroup_processor_mode 1
		.amdhsa_memory_ordered 1
		.amdhsa_forward_progress 0
		.amdhsa_shared_vgpr_count 0
		.amdhsa_exception_fp_ieee_invalid_op 0
		.amdhsa_exception_fp_denorm_src 0
		.amdhsa_exception_fp_ieee_div_zero 0
		.amdhsa_exception_fp_ieee_overflow 0
		.amdhsa_exception_fp_ieee_underflow 0
		.amdhsa_exception_fp_ieee_inexact 0
		.amdhsa_exception_int_div_zero 0
	.end_amdhsa_kernel
	.section	.text._ZN7rocprim17ROCPRIM_400000_NS6detail17trampoline_kernelINS0_14default_configENS1_20scan_config_selectorIN3c107complexIdEEEEZZNS1_9scan_implILNS1_25lookback_scan_determinismE0ELb0ELb0ES3_PKS7_PS7_S7_ZZZN2at6native31launch_logcumsumexp_cuda_kernelERKNSE_10TensorBaseESI_lENKUlvE_clEvENKUlvE1_clEvEUlS7_S7_E_S7_EEDaPvRmT3_T4_T5_mT6_P12ihipStream_tbENKUlT_T0_E_clISt17integral_constantIbLb1EESY_IbLb0EEEEDaSU_SV_EUlSU_E_NS1_11comp_targetILNS1_3genE2ELNS1_11target_archE906ELNS1_3gpuE6ELNS1_3repE0EEENS1_30default_config_static_selectorELNS0_4arch9wavefront6targetE0EEEvT1_,"axG",@progbits,_ZN7rocprim17ROCPRIM_400000_NS6detail17trampoline_kernelINS0_14default_configENS1_20scan_config_selectorIN3c107complexIdEEEEZZNS1_9scan_implILNS1_25lookback_scan_determinismE0ELb0ELb0ES3_PKS7_PS7_S7_ZZZN2at6native31launch_logcumsumexp_cuda_kernelERKNSE_10TensorBaseESI_lENKUlvE_clEvENKUlvE1_clEvEUlS7_S7_E_S7_EEDaPvRmT3_T4_T5_mT6_P12ihipStream_tbENKUlT_T0_E_clISt17integral_constantIbLb1EESY_IbLb0EEEEDaSU_SV_EUlSU_E_NS1_11comp_targetILNS1_3genE2ELNS1_11target_archE906ELNS1_3gpuE6ELNS1_3repE0EEENS1_30default_config_static_selectorELNS0_4arch9wavefront6targetE0EEEvT1_,comdat
.Lfunc_end230:
	.size	_ZN7rocprim17ROCPRIM_400000_NS6detail17trampoline_kernelINS0_14default_configENS1_20scan_config_selectorIN3c107complexIdEEEEZZNS1_9scan_implILNS1_25lookback_scan_determinismE0ELb0ELb0ES3_PKS7_PS7_S7_ZZZN2at6native31launch_logcumsumexp_cuda_kernelERKNSE_10TensorBaseESI_lENKUlvE_clEvENKUlvE1_clEvEUlS7_S7_E_S7_EEDaPvRmT3_T4_T5_mT6_P12ihipStream_tbENKUlT_T0_E_clISt17integral_constantIbLb1EESY_IbLb0EEEEDaSU_SV_EUlSU_E_NS1_11comp_targetILNS1_3genE2ELNS1_11target_archE906ELNS1_3gpuE6ELNS1_3repE0EEENS1_30default_config_static_selectorELNS0_4arch9wavefront6targetE0EEEvT1_, .Lfunc_end230-_ZN7rocprim17ROCPRIM_400000_NS6detail17trampoline_kernelINS0_14default_configENS1_20scan_config_selectorIN3c107complexIdEEEEZZNS1_9scan_implILNS1_25lookback_scan_determinismE0ELb0ELb0ES3_PKS7_PS7_S7_ZZZN2at6native31launch_logcumsumexp_cuda_kernelERKNSE_10TensorBaseESI_lENKUlvE_clEvENKUlvE1_clEvEUlS7_S7_E_S7_EEDaPvRmT3_T4_T5_mT6_P12ihipStream_tbENKUlT_T0_E_clISt17integral_constantIbLb1EESY_IbLb0EEEEDaSU_SV_EUlSU_E_NS1_11comp_targetILNS1_3genE2ELNS1_11target_archE906ELNS1_3gpuE6ELNS1_3repE0EEENS1_30default_config_static_selectorELNS0_4arch9wavefront6targetE0EEEvT1_
                                        ; -- End function
	.section	.AMDGPU.csdata,"",@progbits
; Kernel info:
; codeLenInByte = 0
; NumSgprs: 0
; NumVgprs: 0
; ScratchSize: 0
; MemoryBound: 0
; FloatMode: 240
; IeeeMode: 1
; LDSByteSize: 0 bytes/workgroup (compile time only)
; SGPRBlocks: 0
; VGPRBlocks: 0
; NumSGPRsForWavesPerEU: 1
; NumVGPRsForWavesPerEU: 1
; Occupancy: 16
; WaveLimiterHint : 0
; COMPUTE_PGM_RSRC2:SCRATCH_EN: 0
; COMPUTE_PGM_RSRC2:USER_SGPR: 15
; COMPUTE_PGM_RSRC2:TRAP_HANDLER: 0
; COMPUTE_PGM_RSRC2:TGID_X_EN: 1
; COMPUTE_PGM_RSRC2:TGID_Y_EN: 0
; COMPUTE_PGM_RSRC2:TGID_Z_EN: 0
; COMPUTE_PGM_RSRC2:TIDIG_COMP_CNT: 0
	.section	.text._ZN7rocprim17ROCPRIM_400000_NS6detail17trampoline_kernelINS0_14default_configENS1_20scan_config_selectorIN3c107complexIdEEEEZZNS1_9scan_implILNS1_25lookback_scan_determinismE0ELb0ELb0ES3_PKS7_PS7_S7_ZZZN2at6native31launch_logcumsumexp_cuda_kernelERKNSE_10TensorBaseESI_lENKUlvE_clEvENKUlvE1_clEvEUlS7_S7_E_S7_EEDaPvRmT3_T4_T5_mT6_P12ihipStream_tbENKUlT_T0_E_clISt17integral_constantIbLb1EESY_IbLb0EEEEDaSU_SV_EUlSU_E_NS1_11comp_targetILNS1_3genE10ELNS1_11target_archE1201ELNS1_3gpuE5ELNS1_3repE0EEENS1_30default_config_static_selectorELNS0_4arch9wavefront6targetE0EEEvT1_,"axG",@progbits,_ZN7rocprim17ROCPRIM_400000_NS6detail17trampoline_kernelINS0_14default_configENS1_20scan_config_selectorIN3c107complexIdEEEEZZNS1_9scan_implILNS1_25lookback_scan_determinismE0ELb0ELb0ES3_PKS7_PS7_S7_ZZZN2at6native31launch_logcumsumexp_cuda_kernelERKNSE_10TensorBaseESI_lENKUlvE_clEvENKUlvE1_clEvEUlS7_S7_E_S7_EEDaPvRmT3_T4_T5_mT6_P12ihipStream_tbENKUlT_T0_E_clISt17integral_constantIbLb1EESY_IbLb0EEEEDaSU_SV_EUlSU_E_NS1_11comp_targetILNS1_3genE10ELNS1_11target_archE1201ELNS1_3gpuE5ELNS1_3repE0EEENS1_30default_config_static_selectorELNS0_4arch9wavefront6targetE0EEEvT1_,comdat
	.globl	_ZN7rocprim17ROCPRIM_400000_NS6detail17trampoline_kernelINS0_14default_configENS1_20scan_config_selectorIN3c107complexIdEEEEZZNS1_9scan_implILNS1_25lookback_scan_determinismE0ELb0ELb0ES3_PKS7_PS7_S7_ZZZN2at6native31launch_logcumsumexp_cuda_kernelERKNSE_10TensorBaseESI_lENKUlvE_clEvENKUlvE1_clEvEUlS7_S7_E_S7_EEDaPvRmT3_T4_T5_mT6_P12ihipStream_tbENKUlT_T0_E_clISt17integral_constantIbLb1EESY_IbLb0EEEEDaSU_SV_EUlSU_E_NS1_11comp_targetILNS1_3genE10ELNS1_11target_archE1201ELNS1_3gpuE5ELNS1_3repE0EEENS1_30default_config_static_selectorELNS0_4arch9wavefront6targetE0EEEvT1_ ; -- Begin function _ZN7rocprim17ROCPRIM_400000_NS6detail17trampoline_kernelINS0_14default_configENS1_20scan_config_selectorIN3c107complexIdEEEEZZNS1_9scan_implILNS1_25lookback_scan_determinismE0ELb0ELb0ES3_PKS7_PS7_S7_ZZZN2at6native31launch_logcumsumexp_cuda_kernelERKNSE_10TensorBaseESI_lENKUlvE_clEvENKUlvE1_clEvEUlS7_S7_E_S7_EEDaPvRmT3_T4_T5_mT6_P12ihipStream_tbENKUlT_T0_E_clISt17integral_constantIbLb1EESY_IbLb0EEEEDaSU_SV_EUlSU_E_NS1_11comp_targetILNS1_3genE10ELNS1_11target_archE1201ELNS1_3gpuE5ELNS1_3repE0EEENS1_30default_config_static_selectorELNS0_4arch9wavefront6targetE0EEEvT1_
	.p2align	8
	.type	_ZN7rocprim17ROCPRIM_400000_NS6detail17trampoline_kernelINS0_14default_configENS1_20scan_config_selectorIN3c107complexIdEEEEZZNS1_9scan_implILNS1_25lookback_scan_determinismE0ELb0ELb0ES3_PKS7_PS7_S7_ZZZN2at6native31launch_logcumsumexp_cuda_kernelERKNSE_10TensorBaseESI_lENKUlvE_clEvENKUlvE1_clEvEUlS7_S7_E_S7_EEDaPvRmT3_T4_T5_mT6_P12ihipStream_tbENKUlT_T0_E_clISt17integral_constantIbLb1EESY_IbLb0EEEEDaSU_SV_EUlSU_E_NS1_11comp_targetILNS1_3genE10ELNS1_11target_archE1201ELNS1_3gpuE5ELNS1_3repE0EEENS1_30default_config_static_selectorELNS0_4arch9wavefront6targetE0EEEvT1_,@function
_ZN7rocprim17ROCPRIM_400000_NS6detail17trampoline_kernelINS0_14default_configENS1_20scan_config_selectorIN3c107complexIdEEEEZZNS1_9scan_implILNS1_25lookback_scan_determinismE0ELb0ELb0ES3_PKS7_PS7_S7_ZZZN2at6native31launch_logcumsumexp_cuda_kernelERKNSE_10TensorBaseESI_lENKUlvE_clEvENKUlvE1_clEvEUlS7_S7_E_S7_EEDaPvRmT3_T4_T5_mT6_P12ihipStream_tbENKUlT_T0_E_clISt17integral_constantIbLb1EESY_IbLb0EEEEDaSU_SV_EUlSU_E_NS1_11comp_targetILNS1_3genE10ELNS1_11target_archE1201ELNS1_3gpuE5ELNS1_3repE0EEENS1_30default_config_static_selectorELNS0_4arch9wavefront6targetE0EEEvT1_: ; @_ZN7rocprim17ROCPRIM_400000_NS6detail17trampoline_kernelINS0_14default_configENS1_20scan_config_selectorIN3c107complexIdEEEEZZNS1_9scan_implILNS1_25lookback_scan_determinismE0ELb0ELb0ES3_PKS7_PS7_S7_ZZZN2at6native31launch_logcumsumexp_cuda_kernelERKNSE_10TensorBaseESI_lENKUlvE_clEvENKUlvE1_clEvEUlS7_S7_E_S7_EEDaPvRmT3_T4_T5_mT6_P12ihipStream_tbENKUlT_T0_E_clISt17integral_constantIbLb1EESY_IbLb0EEEEDaSU_SV_EUlSU_E_NS1_11comp_targetILNS1_3genE10ELNS1_11target_archE1201ELNS1_3gpuE5ELNS1_3repE0EEENS1_30default_config_static_selectorELNS0_4arch9wavefront6targetE0EEEvT1_
; %bb.0:
	.section	.rodata,"a",@progbits
	.p2align	6, 0x0
	.amdhsa_kernel _ZN7rocprim17ROCPRIM_400000_NS6detail17trampoline_kernelINS0_14default_configENS1_20scan_config_selectorIN3c107complexIdEEEEZZNS1_9scan_implILNS1_25lookback_scan_determinismE0ELb0ELb0ES3_PKS7_PS7_S7_ZZZN2at6native31launch_logcumsumexp_cuda_kernelERKNSE_10TensorBaseESI_lENKUlvE_clEvENKUlvE1_clEvEUlS7_S7_E_S7_EEDaPvRmT3_T4_T5_mT6_P12ihipStream_tbENKUlT_T0_E_clISt17integral_constantIbLb1EESY_IbLb0EEEEDaSU_SV_EUlSU_E_NS1_11comp_targetILNS1_3genE10ELNS1_11target_archE1201ELNS1_3gpuE5ELNS1_3repE0EEENS1_30default_config_static_selectorELNS0_4arch9wavefront6targetE0EEEvT1_
		.amdhsa_group_segment_fixed_size 0
		.amdhsa_private_segment_fixed_size 0
		.amdhsa_kernarg_size 128
		.amdhsa_user_sgpr_count 15
		.amdhsa_user_sgpr_dispatch_ptr 0
		.amdhsa_user_sgpr_queue_ptr 0
		.amdhsa_user_sgpr_kernarg_segment_ptr 1
		.amdhsa_user_sgpr_dispatch_id 0
		.amdhsa_user_sgpr_private_segment_size 0
		.amdhsa_wavefront_size32 1
		.amdhsa_uses_dynamic_stack 0
		.amdhsa_enable_private_segment 0
		.amdhsa_system_sgpr_workgroup_id_x 1
		.amdhsa_system_sgpr_workgroup_id_y 0
		.amdhsa_system_sgpr_workgroup_id_z 0
		.amdhsa_system_sgpr_workgroup_info 0
		.amdhsa_system_vgpr_workitem_id 0
		.amdhsa_next_free_vgpr 1
		.amdhsa_next_free_sgpr 1
		.amdhsa_reserve_vcc 0
		.amdhsa_float_round_mode_32 0
		.amdhsa_float_round_mode_16_64 0
		.amdhsa_float_denorm_mode_32 3
		.amdhsa_float_denorm_mode_16_64 3
		.amdhsa_dx10_clamp 1
		.amdhsa_ieee_mode 1
		.amdhsa_fp16_overflow 0
		.amdhsa_workgroup_processor_mode 1
		.amdhsa_memory_ordered 1
		.amdhsa_forward_progress 0
		.amdhsa_shared_vgpr_count 0
		.amdhsa_exception_fp_ieee_invalid_op 0
		.amdhsa_exception_fp_denorm_src 0
		.amdhsa_exception_fp_ieee_div_zero 0
		.amdhsa_exception_fp_ieee_overflow 0
		.amdhsa_exception_fp_ieee_underflow 0
		.amdhsa_exception_fp_ieee_inexact 0
		.amdhsa_exception_int_div_zero 0
	.end_amdhsa_kernel
	.section	.text._ZN7rocprim17ROCPRIM_400000_NS6detail17trampoline_kernelINS0_14default_configENS1_20scan_config_selectorIN3c107complexIdEEEEZZNS1_9scan_implILNS1_25lookback_scan_determinismE0ELb0ELb0ES3_PKS7_PS7_S7_ZZZN2at6native31launch_logcumsumexp_cuda_kernelERKNSE_10TensorBaseESI_lENKUlvE_clEvENKUlvE1_clEvEUlS7_S7_E_S7_EEDaPvRmT3_T4_T5_mT6_P12ihipStream_tbENKUlT_T0_E_clISt17integral_constantIbLb1EESY_IbLb0EEEEDaSU_SV_EUlSU_E_NS1_11comp_targetILNS1_3genE10ELNS1_11target_archE1201ELNS1_3gpuE5ELNS1_3repE0EEENS1_30default_config_static_selectorELNS0_4arch9wavefront6targetE0EEEvT1_,"axG",@progbits,_ZN7rocprim17ROCPRIM_400000_NS6detail17trampoline_kernelINS0_14default_configENS1_20scan_config_selectorIN3c107complexIdEEEEZZNS1_9scan_implILNS1_25lookback_scan_determinismE0ELb0ELb0ES3_PKS7_PS7_S7_ZZZN2at6native31launch_logcumsumexp_cuda_kernelERKNSE_10TensorBaseESI_lENKUlvE_clEvENKUlvE1_clEvEUlS7_S7_E_S7_EEDaPvRmT3_T4_T5_mT6_P12ihipStream_tbENKUlT_T0_E_clISt17integral_constantIbLb1EESY_IbLb0EEEEDaSU_SV_EUlSU_E_NS1_11comp_targetILNS1_3genE10ELNS1_11target_archE1201ELNS1_3gpuE5ELNS1_3repE0EEENS1_30default_config_static_selectorELNS0_4arch9wavefront6targetE0EEEvT1_,comdat
.Lfunc_end231:
	.size	_ZN7rocprim17ROCPRIM_400000_NS6detail17trampoline_kernelINS0_14default_configENS1_20scan_config_selectorIN3c107complexIdEEEEZZNS1_9scan_implILNS1_25lookback_scan_determinismE0ELb0ELb0ES3_PKS7_PS7_S7_ZZZN2at6native31launch_logcumsumexp_cuda_kernelERKNSE_10TensorBaseESI_lENKUlvE_clEvENKUlvE1_clEvEUlS7_S7_E_S7_EEDaPvRmT3_T4_T5_mT6_P12ihipStream_tbENKUlT_T0_E_clISt17integral_constantIbLb1EESY_IbLb0EEEEDaSU_SV_EUlSU_E_NS1_11comp_targetILNS1_3genE10ELNS1_11target_archE1201ELNS1_3gpuE5ELNS1_3repE0EEENS1_30default_config_static_selectorELNS0_4arch9wavefront6targetE0EEEvT1_, .Lfunc_end231-_ZN7rocprim17ROCPRIM_400000_NS6detail17trampoline_kernelINS0_14default_configENS1_20scan_config_selectorIN3c107complexIdEEEEZZNS1_9scan_implILNS1_25lookback_scan_determinismE0ELb0ELb0ES3_PKS7_PS7_S7_ZZZN2at6native31launch_logcumsumexp_cuda_kernelERKNSE_10TensorBaseESI_lENKUlvE_clEvENKUlvE1_clEvEUlS7_S7_E_S7_EEDaPvRmT3_T4_T5_mT6_P12ihipStream_tbENKUlT_T0_E_clISt17integral_constantIbLb1EESY_IbLb0EEEEDaSU_SV_EUlSU_E_NS1_11comp_targetILNS1_3genE10ELNS1_11target_archE1201ELNS1_3gpuE5ELNS1_3repE0EEENS1_30default_config_static_selectorELNS0_4arch9wavefront6targetE0EEEvT1_
                                        ; -- End function
	.section	.AMDGPU.csdata,"",@progbits
; Kernel info:
; codeLenInByte = 0
; NumSgprs: 0
; NumVgprs: 0
; ScratchSize: 0
; MemoryBound: 0
; FloatMode: 240
; IeeeMode: 1
; LDSByteSize: 0 bytes/workgroup (compile time only)
; SGPRBlocks: 0
; VGPRBlocks: 0
; NumSGPRsForWavesPerEU: 1
; NumVGPRsForWavesPerEU: 1
; Occupancy: 16
; WaveLimiterHint : 0
; COMPUTE_PGM_RSRC2:SCRATCH_EN: 0
; COMPUTE_PGM_RSRC2:USER_SGPR: 15
; COMPUTE_PGM_RSRC2:TRAP_HANDLER: 0
; COMPUTE_PGM_RSRC2:TGID_X_EN: 1
; COMPUTE_PGM_RSRC2:TGID_Y_EN: 0
; COMPUTE_PGM_RSRC2:TGID_Z_EN: 0
; COMPUTE_PGM_RSRC2:TIDIG_COMP_CNT: 0
	.section	.text._ZN7rocprim17ROCPRIM_400000_NS6detail17trampoline_kernelINS0_14default_configENS1_20scan_config_selectorIN3c107complexIdEEEEZZNS1_9scan_implILNS1_25lookback_scan_determinismE0ELb0ELb0ES3_PKS7_PS7_S7_ZZZN2at6native31launch_logcumsumexp_cuda_kernelERKNSE_10TensorBaseESI_lENKUlvE_clEvENKUlvE1_clEvEUlS7_S7_E_S7_EEDaPvRmT3_T4_T5_mT6_P12ihipStream_tbENKUlT_T0_E_clISt17integral_constantIbLb1EESY_IbLb0EEEEDaSU_SV_EUlSU_E_NS1_11comp_targetILNS1_3genE10ELNS1_11target_archE1200ELNS1_3gpuE4ELNS1_3repE0EEENS1_30default_config_static_selectorELNS0_4arch9wavefront6targetE0EEEvT1_,"axG",@progbits,_ZN7rocprim17ROCPRIM_400000_NS6detail17trampoline_kernelINS0_14default_configENS1_20scan_config_selectorIN3c107complexIdEEEEZZNS1_9scan_implILNS1_25lookback_scan_determinismE0ELb0ELb0ES3_PKS7_PS7_S7_ZZZN2at6native31launch_logcumsumexp_cuda_kernelERKNSE_10TensorBaseESI_lENKUlvE_clEvENKUlvE1_clEvEUlS7_S7_E_S7_EEDaPvRmT3_T4_T5_mT6_P12ihipStream_tbENKUlT_T0_E_clISt17integral_constantIbLb1EESY_IbLb0EEEEDaSU_SV_EUlSU_E_NS1_11comp_targetILNS1_3genE10ELNS1_11target_archE1200ELNS1_3gpuE4ELNS1_3repE0EEENS1_30default_config_static_selectorELNS0_4arch9wavefront6targetE0EEEvT1_,comdat
	.globl	_ZN7rocprim17ROCPRIM_400000_NS6detail17trampoline_kernelINS0_14default_configENS1_20scan_config_selectorIN3c107complexIdEEEEZZNS1_9scan_implILNS1_25lookback_scan_determinismE0ELb0ELb0ES3_PKS7_PS7_S7_ZZZN2at6native31launch_logcumsumexp_cuda_kernelERKNSE_10TensorBaseESI_lENKUlvE_clEvENKUlvE1_clEvEUlS7_S7_E_S7_EEDaPvRmT3_T4_T5_mT6_P12ihipStream_tbENKUlT_T0_E_clISt17integral_constantIbLb1EESY_IbLb0EEEEDaSU_SV_EUlSU_E_NS1_11comp_targetILNS1_3genE10ELNS1_11target_archE1200ELNS1_3gpuE4ELNS1_3repE0EEENS1_30default_config_static_selectorELNS0_4arch9wavefront6targetE0EEEvT1_ ; -- Begin function _ZN7rocprim17ROCPRIM_400000_NS6detail17trampoline_kernelINS0_14default_configENS1_20scan_config_selectorIN3c107complexIdEEEEZZNS1_9scan_implILNS1_25lookback_scan_determinismE0ELb0ELb0ES3_PKS7_PS7_S7_ZZZN2at6native31launch_logcumsumexp_cuda_kernelERKNSE_10TensorBaseESI_lENKUlvE_clEvENKUlvE1_clEvEUlS7_S7_E_S7_EEDaPvRmT3_T4_T5_mT6_P12ihipStream_tbENKUlT_T0_E_clISt17integral_constantIbLb1EESY_IbLb0EEEEDaSU_SV_EUlSU_E_NS1_11comp_targetILNS1_3genE10ELNS1_11target_archE1200ELNS1_3gpuE4ELNS1_3repE0EEENS1_30default_config_static_selectorELNS0_4arch9wavefront6targetE0EEEvT1_
	.p2align	8
	.type	_ZN7rocprim17ROCPRIM_400000_NS6detail17trampoline_kernelINS0_14default_configENS1_20scan_config_selectorIN3c107complexIdEEEEZZNS1_9scan_implILNS1_25lookback_scan_determinismE0ELb0ELb0ES3_PKS7_PS7_S7_ZZZN2at6native31launch_logcumsumexp_cuda_kernelERKNSE_10TensorBaseESI_lENKUlvE_clEvENKUlvE1_clEvEUlS7_S7_E_S7_EEDaPvRmT3_T4_T5_mT6_P12ihipStream_tbENKUlT_T0_E_clISt17integral_constantIbLb1EESY_IbLb0EEEEDaSU_SV_EUlSU_E_NS1_11comp_targetILNS1_3genE10ELNS1_11target_archE1200ELNS1_3gpuE4ELNS1_3repE0EEENS1_30default_config_static_selectorELNS0_4arch9wavefront6targetE0EEEvT1_,@function
_ZN7rocprim17ROCPRIM_400000_NS6detail17trampoline_kernelINS0_14default_configENS1_20scan_config_selectorIN3c107complexIdEEEEZZNS1_9scan_implILNS1_25lookback_scan_determinismE0ELb0ELb0ES3_PKS7_PS7_S7_ZZZN2at6native31launch_logcumsumexp_cuda_kernelERKNSE_10TensorBaseESI_lENKUlvE_clEvENKUlvE1_clEvEUlS7_S7_E_S7_EEDaPvRmT3_T4_T5_mT6_P12ihipStream_tbENKUlT_T0_E_clISt17integral_constantIbLb1EESY_IbLb0EEEEDaSU_SV_EUlSU_E_NS1_11comp_targetILNS1_3genE10ELNS1_11target_archE1200ELNS1_3gpuE4ELNS1_3repE0EEENS1_30default_config_static_selectorELNS0_4arch9wavefront6targetE0EEEvT1_: ; @_ZN7rocprim17ROCPRIM_400000_NS6detail17trampoline_kernelINS0_14default_configENS1_20scan_config_selectorIN3c107complexIdEEEEZZNS1_9scan_implILNS1_25lookback_scan_determinismE0ELb0ELb0ES3_PKS7_PS7_S7_ZZZN2at6native31launch_logcumsumexp_cuda_kernelERKNSE_10TensorBaseESI_lENKUlvE_clEvENKUlvE1_clEvEUlS7_S7_E_S7_EEDaPvRmT3_T4_T5_mT6_P12ihipStream_tbENKUlT_T0_E_clISt17integral_constantIbLb1EESY_IbLb0EEEEDaSU_SV_EUlSU_E_NS1_11comp_targetILNS1_3genE10ELNS1_11target_archE1200ELNS1_3gpuE4ELNS1_3repE0EEENS1_30default_config_static_selectorELNS0_4arch9wavefront6targetE0EEEvT1_
; %bb.0:
	.section	.rodata,"a",@progbits
	.p2align	6, 0x0
	.amdhsa_kernel _ZN7rocprim17ROCPRIM_400000_NS6detail17trampoline_kernelINS0_14default_configENS1_20scan_config_selectorIN3c107complexIdEEEEZZNS1_9scan_implILNS1_25lookback_scan_determinismE0ELb0ELb0ES3_PKS7_PS7_S7_ZZZN2at6native31launch_logcumsumexp_cuda_kernelERKNSE_10TensorBaseESI_lENKUlvE_clEvENKUlvE1_clEvEUlS7_S7_E_S7_EEDaPvRmT3_T4_T5_mT6_P12ihipStream_tbENKUlT_T0_E_clISt17integral_constantIbLb1EESY_IbLb0EEEEDaSU_SV_EUlSU_E_NS1_11comp_targetILNS1_3genE10ELNS1_11target_archE1200ELNS1_3gpuE4ELNS1_3repE0EEENS1_30default_config_static_selectorELNS0_4arch9wavefront6targetE0EEEvT1_
		.amdhsa_group_segment_fixed_size 0
		.amdhsa_private_segment_fixed_size 0
		.amdhsa_kernarg_size 128
		.amdhsa_user_sgpr_count 15
		.amdhsa_user_sgpr_dispatch_ptr 0
		.amdhsa_user_sgpr_queue_ptr 0
		.amdhsa_user_sgpr_kernarg_segment_ptr 1
		.amdhsa_user_sgpr_dispatch_id 0
		.amdhsa_user_sgpr_private_segment_size 0
		.amdhsa_wavefront_size32 1
		.amdhsa_uses_dynamic_stack 0
		.amdhsa_enable_private_segment 0
		.amdhsa_system_sgpr_workgroup_id_x 1
		.amdhsa_system_sgpr_workgroup_id_y 0
		.amdhsa_system_sgpr_workgroup_id_z 0
		.amdhsa_system_sgpr_workgroup_info 0
		.amdhsa_system_vgpr_workitem_id 0
		.amdhsa_next_free_vgpr 1
		.amdhsa_next_free_sgpr 1
		.amdhsa_reserve_vcc 0
		.amdhsa_float_round_mode_32 0
		.amdhsa_float_round_mode_16_64 0
		.amdhsa_float_denorm_mode_32 3
		.amdhsa_float_denorm_mode_16_64 3
		.amdhsa_dx10_clamp 1
		.amdhsa_ieee_mode 1
		.amdhsa_fp16_overflow 0
		.amdhsa_workgroup_processor_mode 1
		.amdhsa_memory_ordered 1
		.amdhsa_forward_progress 0
		.amdhsa_shared_vgpr_count 0
		.amdhsa_exception_fp_ieee_invalid_op 0
		.amdhsa_exception_fp_denorm_src 0
		.amdhsa_exception_fp_ieee_div_zero 0
		.amdhsa_exception_fp_ieee_overflow 0
		.amdhsa_exception_fp_ieee_underflow 0
		.amdhsa_exception_fp_ieee_inexact 0
		.amdhsa_exception_int_div_zero 0
	.end_amdhsa_kernel
	.section	.text._ZN7rocprim17ROCPRIM_400000_NS6detail17trampoline_kernelINS0_14default_configENS1_20scan_config_selectorIN3c107complexIdEEEEZZNS1_9scan_implILNS1_25lookback_scan_determinismE0ELb0ELb0ES3_PKS7_PS7_S7_ZZZN2at6native31launch_logcumsumexp_cuda_kernelERKNSE_10TensorBaseESI_lENKUlvE_clEvENKUlvE1_clEvEUlS7_S7_E_S7_EEDaPvRmT3_T4_T5_mT6_P12ihipStream_tbENKUlT_T0_E_clISt17integral_constantIbLb1EESY_IbLb0EEEEDaSU_SV_EUlSU_E_NS1_11comp_targetILNS1_3genE10ELNS1_11target_archE1200ELNS1_3gpuE4ELNS1_3repE0EEENS1_30default_config_static_selectorELNS0_4arch9wavefront6targetE0EEEvT1_,"axG",@progbits,_ZN7rocprim17ROCPRIM_400000_NS6detail17trampoline_kernelINS0_14default_configENS1_20scan_config_selectorIN3c107complexIdEEEEZZNS1_9scan_implILNS1_25lookback_scan_determinismE0ELb0ELb0ES3_PKS7_PS7_S7_ZZZN2at6native31launch_logcumsumexp_cuda_kernelERKNSE_10TensorBaseESI_lENKUlvE_clEvENKUlvE1_clEvEUlS7_S7_E_S7_EEDaPvRmT3_T4_T5_mT6_P12ihipStream_tbENKUlT_T0_E_clISt17integral_constantIbLb1EESY_IbLb0EEEEDaSU_SV_EUlSU_E_NS1_11comp_targetILNS1_3genE10ELNS1_11target_archE1200ELNS1_3gpuE4ELNS1_3repE0EEENS1_30default_config_static_selectorELNS0_4arch9wavefront6targetE0EEEvT1_,comdat
.Lfunc_end232:
	.size	_ZN7rocprim17ROCPRIM_400000_NS6detail17trampoline_kernelINS0_14default_configENS1_20scan_config_selectorIN3c107complexIdEEEEZZNS1_9scan_implILNS1_25lookback_scan_determinismE0ELb0ELb0ES3_PKS7_PS7_S7_ZZZN2at6native31launch_logcumsumexp_cuda_kernelERKNSE_10TensorBaseESI_lENKUlvE_clEvENKUlvE1_clEvEUlS7_S7_E_S7_EEDaPvRmT3_T4_T5_mT6_P12ihipStream_tbENKUlT_T0_E_clISt17integral_constantIbLb1EESY_IbLb0EEEEDaSU_SV_EUlSU_E_NS1_11comp_targetILNS1_3genE10ELNS1_11target_archE1200ELNS1_3gpuE4ELNS1_3repE0EEENS1_30default_config_static_selectorELNS0_4arch9wavefront6targetE0EEEvT1_, .Lfunc_end232-_ZN7rocprim17ROCPRIM_400000_NS6detail17trampoline_kernelINS0_14default_configENS1_20scan_config_selectorIN3c107complexIdEEEEZZNS1_9scan_implILNS1_25lookback_scan_determinismE0ELb0ELb0ES3_PKS7_PS7_S7_ZZZN2at6native31launch_logcumsumexp_cuda_kernelERKNSE_10TensorBaseESI_lENKUlvE_clEvENKUlvE1_clEvEUlS7_S7_E_S7_EEDaPvRmT3_T4_T5_mT6_P12ihipStream_tbENKUlT_T0_E_clISt17integral_constantIbLb1EESY_IbLb0EEEEDaSU_SV_EUlSU_E_NS1_11comp_targetILNS1_3genE10ELNS1_11target_archE1200ELNS1_3gpuE4ELNS1_3repE0EEENS1_30default_config_static_selectorELNS0_4arch9wavefront6targetE0EEEvT1_
                                        ; -- End function
	.section	.AMDGPU.csdata,"",@progbits
; Kernel info:
; codeLenInByte = 0
; NumSgprs: 0
; NumVgprs: 0
; ScratchSize: 0
; MemoryBound: 0
; FloatMode: 240
; IeeeMode: 1
; LDSByteSize: 0 bytes/workgroup (compile time only)
; SGPRBlocks: 0
; VGPRBlocks: 0
; NumSGPRsForWavesPerEU: 1
; NumVGPRsForWavesPerEU: 1
; Occupancy: 16
; WaveLimiterHint : 0
; COMPUTE_PGM_RSRC2:SCRATCH_EN: 0
; COMPUTE_PGM_RSRC2:USER_SGPR: 15
; COMPUTE_PGM_RSRC2:TRAP_HANDLER: 0
; COMPUTE_PGM_RSRC2:TGID_X_EN: 1
; COMPUTE_PGM_RSRC2:TGID_Y_EN: 0
; COMPUTE_PGM_RSRC2:TGID_Z_EN: 0
; COMPUTE_PGM_RSRC2:TIDIG_COMP_CNT: 0
	.section	.text._ZN7rocprim17ROCPRIM_400000_NS6detail17trampoline_kernelINS0_14default_configENS1_20scan_config_selectorIN3c107complexIdEEEEZZNS1_9scan_implILNS1_25lookback_scan_determinismE0ELb0ELb0ES3_PKS7_PS7_S7_ZZZN2at6native31launch_logcumsumexp_cuda_kernelERKNSE_10TensorBaseESI_lENKUlvE_clEvENKUlvE1_clEvEUlS7_S7_E_S7_EEDaPvRmT3_T4_T5_mT6_P12ihipStream_tbENKUlT_T0_E_clISt17integral_constantIbLb1EESY_IbLb0EEEEDaSU_SV_EUlSU_E_NS1_11comp_targetILNS1_3genE9ELNS1_11target_archE1100ELNS1_3gpuE3ELNS1_3repE0EEENS1_30default_config_static_selectorELNS0_4arch9wavefront6targetE0EEEvT1_,"axG",@progbits,_ZN7rocprim17ROCPRIM_400000_NS6detail17trampoline_kernelINS0_14default_configENS1_20scan_config_selectorIN3c107complexIdEEEEZZNS1_9scan_implILNS1_25lookback_scan_determinismE0ELb0ELb0ES3_PKS7_PS7_S7_ZZZN2at6native31launch_logcumsumexp_cuda_kernelERKNSE_10TensorBaseESI_lENKUlvE_clEvENKUlvE1_clEvEUlS7_S7_E_S7_EEDaPvRmT3_T4_T5_mT6_P12ihipStream_tbENKUlT_T0_E_clISt17integral_constantIbLb1EESY_IbLb0EEEEDaSU_SV_EUlSU_E_NS1_11comp_targetILNS1_3genE9ELNS1_11target_archE1100ELNS1_3gpuE3ELNS1_3repE0EEENS1_30default_config_static_selectorELNS0_4arch9wavefront6targetE0EEEvT1_,comdat
	.globl	_ZN7rocprim17ROCPRIM_400000_NS6detail17trampoline_kernelINS0_14default_configENS1_20scan_config_selectorIN3c107complexIdEEEEZZNS1_9scan_implILNS1_25lookback_scan_determinismE0ELb0ELb0ES3_PKS7_PS7_S7_ZZZN2at6native31launch_logcumsumexp_cuda_kernelERKNSE_10TensorBaseESI_lENKUlvE_clEvENKUlvE1_clEvEUlS7_S7_E_S7_EEDaPvRmT3_T4_T5_mT6_P12ihipStream_tbENKUlT_T0_E_clISt17integral_constantIbLb1EESY_IbLb0EEEEDaSU_SV_EUlSU_E_NS1_11comp_targetILNS1_3genE9ELNS1_11target_archE1100ELNS1_3gpuE3ELNS1_3repE0EEENS1_30default_config_static_selectorELNS0_4arch9wavefront6targetE0EEEvT1_ ; -- Begin function _ZN7rocprim17ROCPRIM_400000_NS6detail17trampoline_kernelINS0_14default_configENS1_20scan_config_selectorIN3c107complexIdEEEEZZNS1_9scan_implILNS1_25lookback_scan_determinismE0ELb0ELb0ES3_PKS7_PS7_S7_ZZZN2at6native31launch_logcumsumexp_cuda_kernelERKNSE_10TensorBaseESI_lENKUlvE_clEvENKUlvE1_clEvEUlS7_S7_E_S7_EEDaPvRmT3_T4_T5_mT6_P12ihipStream_tbENKUlT_T0_E_clISt17integral_constantIbLb1EESY_IbLb0EEEEDaSU_SV_EUlSU_E_NS1_11comp_targetILNS1_3genE9ELNS1_11target_archE1100ELNS1_3gpuE3ELNS1_3repE0EEENS1_30default_config_static_selectorELNS0_4arch9wavefront6targetE0EEEvT1_
	.p2align	8
	.type	_ZN7rocprim17ROCPRIM_400000_NS6detail17trampoline_kernelINS0_14default_configENS1_20scan_config_selectorIN3c107complexIdEEEEZZNS1_9scan_implILNS1_25lookback_scan_determinismE0ELb0ELb0ES3_PKS7_PS7_S7_ZZZN2at6native31launch_logcumsumexp_cuda_kernelERKNSE_10TensorBaseESI_lENKUlvE_clEvENKUlvE1_clEvEUlS7_S7_E_S7_EEDaPvRmT3_T4_T5_mT6_P12ihipStream_tbENKUlT_T0_E_clISt17integral_constantIbLb1EESY_IbLb0EEEEDaSU_SV_EUlSU_E_NS1_11comp_targetILNS1_3genE9ELNS1_11target_archE1100ELNS1_3gpuE3ELNS1_3repE0EEENS1_30default_config_static_selectorELNS0_4arch9wavefront6targetE0EEEvT1_,@function
_ZN7rocprim17ROCPRIM_400000_NS6detail17trampoline_kernelINS0_14default_configENS1_20scan_config_selectorIN3c107complexIdEEEEZZNS1_9scan_implILNS1_25lookback_scan_determinismE0ELb0ELb0ES3_PKS7_PS7_S7_ZZZN2at6native31launch_logcumsumexp_cuda_kernelERKNSE_10TensorBaseESI_lENKUlvE_clEvENKUlvE1_clEvEUlS7_S7_E_S7_EEDaPvRmT3_T4_T5_mT6_P12ihipStream_tbENKUlT_T0_E_clISt17integral_constantIbLb1EESY_IbLb0EEEEDaSU_SV_EUlSU_E_NS1_11comp_targetILNS1_3genE9ELNS1_11target_archE1100ELNS1_3gpuE3ELNS1_3repE0EEENS1_30default_config_static_selectorELNS0_4arch9wavefront6targetE0EEEvT1_: ; @_ZN7rocprim17ROCPRIM_400000_NS6detail17trampoline_kernelINS0_14default_configENS1_20scan_config_selectorIN3c107complexIdEEEEZZNS1_9scan_implILNS1_25lookback_scan_determinismE0ELb0ELb0ES3_PKS7_PS7_S7_ZZZN2at6native31launch_logcumsumexp_cuda_kernelERKNSE_10TensorBaseESI_lENKUlvE_clEvENKUlvE1_clEvEUlS7_S7_E_S7_EEDaPvRmT3_T4_T5_mT6_P12ihipStream_tbENKUlT_T0_E_clISt17integral_constantIbLb1EESY_IbLb0EEEEDaSU_SV_EUlSU_E_NS1_11comp_targetILNS1_3genE9ELNS1_11target_archE1100ELNS1_3gpuE3ELNS1_3repE0EEENS1_30default_config_static_selectorELNS0_4arch9wavefront6targetE0EEEvT1_
; %bb.0:
	s_mov_b64 s[18:19], s[0:1]
	s_clause 0x3
	s_load_b256 s[20:27], s[0:1], 0x0
	s_load_b32 s0, s[0:1], 0x50
	s_load_b128 s[44:47], s[18:19], 0x38
	s_load_b64 s[28:29], s[18:19], 0x48
	v_mov_b32_e32 v156, v0
	s_mov_b32 s1, 0
	s_mov_b32 s17, s15
	;; [unrolled: 1-line block ×3, first 2 shown]
	s_delay_alu instid0(VALU_DEP_1)
	v_lshlrev_b32_e32 v165, 4, v156
	v_lshrrev_b32_e32 v32, 1, v156
	v_or_b32_e32 v164, 0x100, v156
	v_or_b32_e32 v163, 0x200, v156
	v_or_b32_e32 v162, 0x300, v156
	v_or_b32_e32 v161, 0x400, v156
	v_or_b32_e32 v160, 0x500, v156
	v_or_b32_e32 v159, 0x600, v156
	v_or_b32_e32 v158, 0x700, v156
	s_waitcnt lgkmcnt(0)
	s_lshl_b64 s[22:23], s[22:23], 4
	s_delay_alu instid0(SALU_CYCLE_1) | instskip(SKIP_4) | instid1(SALU_CYCLE_1)
	s_add_u32 s2, s20, s22
	s_addc_u32 s3, s21, s23
	s_add_i32 s4, s0, -1
	s_lshl_b32 s0, s15, 11
	s_lshl_b32 s5, s4, 11
	s_sub_u32 s33, s26, s5
	s_subb_u32 s34, s27, 0
	s_cmp_lg_u32 s15, s4
	s_cselect_b32 s35, -1, 0
	s_lshl_b64 s[26:27], s[0:1], 4
	s_mov_b32 s1, -1
	s_add_u32 s2, s2, s26
	s_addc_u32 s3, s3, s27
	s_and_b32 vcc_lo, exec_lo, s35
	s_cbranch_vccz .LBB233_2
; %bb.1:
	v_add_co_u32 v10, s0, s2, v165
	s_delay_alu instid0(VALU_DEP_1) | instskip(SKIP_1) | instid1(VALU_DEP_3)
	v_add_co_ci_u32_e64 v11, null, s3, 0, s0
	v_lshrrev_b32_e32 v34, 1, v164
	v_add_co_u32 v8, vcc_lo, v10, 0x2000
	s_delay_alu instid0(VALU_DEP_3)
	v_add_co_ci_u32_e32 v9, vcc_lo, 0, v11, vcc_lo
	v_add_co_u32 v16, vcc_lo, v10, 0x4000
	v_add_co_ci_u32_e32 v17, vcc_lo, 0, v11, vcc_lo
	v_add_co_u32 v24, vcc_lo, v10, 0x6000
	;; [unrolled: 2-line block ×3, first 2 shown]
	v_add_co_ci_u32_e32 v29, vcc_lo, 0, v11, vcc_lo
	s_clause 0x7
	global_load_b128 v[0:3], v165, s[2:3]
	global_load_b128 v[4:7], v[8:9], off offset:-4096
	global_load_b128 v[8:11], v[8:9], off
	global_load_b128 v[12:15], v[16:17], off offset:-4096
	global_load_b128 v[16:19], v[16:17], off
	;; [unrolled: 2-line block ×3, first 2 shown]
	global_load_b128 v[28:31], v[28:29], off
	v_lshrrev_b32_e32 v35, 1, v163
	v_lshrrev_b32_e32 v36, 1, v162
	;; [unrolled: 1-line block ×3, first 2 shown]
	v_and_b32_e32 v33, 0x70, v32
	v_lshrrev_b32_e32 v38, 1, v160
	v_lshrrev_b32_e32 v39, 1, v159
	;; [unrolled: 1-line block ×3, first 2 shown]
	v_and_b32_e32 v34, 0xf0, v34
	v_and_b32_e32 v35, 0x170, v35
	;; [unrolled: 1-line block ×4, first 2 shown]
	v_add_nc_u32_e32 v33, v33, v165
	v_and_b32_e32 v38, 0x2f0, v38
	v_and_b32_e32 v39, 0x370, v39
	;; [unrolled: 1-line block ×3, first 2 shown]
	v_add_nc_u32_e32 v34, v34, v165
	v_add_nc_u32_e32 v35, v35, v165
	;; [unrolled: 1-line block ×4, first 2 shown]
	s_mov_b32 s1, 0
	v_add_nc_u32_e32 v38, v38, v165
	v_add_nc_u32_e32 v39, v39, v165
	;; [unrolled: 1-line block ×3, first 2 shown]
	s_waitcnt vmcnt(7)
	ds_store_b128 v33, v[0:3]
	s_waitcnt vmcnt(6)
	ds_store_b128 v34, v[4:7] offset:4096
	s_waitcnt vmcnt(5)
	ds_store_b128 v35, v[8:11] offset:8192
	;; [unrolled: 2-line block ×7, first 2 shown]
	s_waitcnt lgkmcnt(0)
	s_barrier
.LBB233_2:
	v_cmp_gt_u32_e64 s0, s33, v156
	s_and_not1_b32 vcc_lo, exec_lo, s1
	s_cbranch_vccnz .LBB233_20
; %bb.3:
	s_load_b128 s[4:7], s[2:3], 0x0
	s_waitcnt lgkmcnt(0)
	v_dual_mov_b32 v2, s6 :: v_dual_mov_b32 v3, s7
	v_dual_mov_b32 v0, s4 :: v_dual_mov_b32 v1, s5
	s_and_saveexec_b32 s1, s0
	s_cbranch_execz .LBB233_5
; %bb.4:
	global_load_b128 v[0:3], v165, s[2:3]
.LBB233_5:
	s_or_b32 exec_lo, exec_lo, s1
	v_dual_mov_b32 v6, s6 :: v_dual_mov_b32 v7, s7
	v_dual_mov_b32 v4, s4 :: v_dual_mov_b32 v5, s5
	s_mov_b32 s0, exec_lo
	v_cmpx_gt_u32_e64 s33, v164
	s_cbranch_execz .LBB233_7
; %bb.6:
	v_lshlrev_b32_e32 v4, 4, v164
	global_load_b128 v[4:7], v4, s[2:3]
.LBB233_7:
	s_or_b32 exec_lo, exec_lo, s0
	v_dual_mov_b32 v11, s7 :: v_dual_mov_b32 v10, s6
	v_dual_mov_b32 v9, s5 :: v_dual_mov_b32 v8, s4
	s_mov_b32 s0, exec_lo
	v_cmpx_gt_u32_e64 s33, v163
	s_cbranch_execz .LBB233_9
; %bb.8:
	v_lshlrev_b32_e32 v8, 4, v163
	global_load_b128 v[8:11], v8, s[2:3]
.LBB233_9:
	;; [unrolled: 10-line block ×7, first 2 shown]
	s_or_b32 exec_lo, exec_lo, s0
	v_lshrrev_b32_e32 v33, 1, v164
	v_and_b32_e32 v32, 0x70, v32
	v_lshrrev_b32_e32 v34, 1, v163
	v_lshrrev_b32_e32 v35, 1, v162
	;; [unrolled: 1-line block ×3, first 2 shown]
	v_and_b32_e32 v33, 0xf0, v33
	v_add_nc_u32_e32 v32, v32, v165
	v_lshrrev_b32_e32 v37, 1, v160
	v_lshrrev_b32_e32 v38, 1, v159
	v_and_b32_e32 v34, 0x1f0, v34
	v_add_nc_u32_e32 v33, v33, v165
	v_lshrrev_b32_e32 v39, 1, v158
	v_and_b32_e32 v35, 0x1f0, v35
	s_waitcnt vmcnt(0)
	ds_store_b128 v32, v[0:3]
	ds_store_b128 v33, v[4:7] offset:4096
	v_and_b32_e32 v0, 0x3f0, v36
	v_and_b32_e32 v1, 0x3f0, v37
	;; [unrolled: 1-line block ×3, first 2 shown]
	v_add_nc_u32_e32 v34, v34, v165
	v_and_b32_e32 v3, 0x3f0, v39
	v_add_nc_u32_e32 v4, v35, v165
	v_add_nc_u32_e32 v0, v0, v165
	;; [unrolled: 1-line block ×5, first 2 shown]
	ds_store_b128 v34, v[8:11] offset:8192
	ds_store_b128 v4, v[12:15] offset:12288
	;; [unrolled: 1-line block ×6, first 2 shown]
	s_waitcnt lgkmcnt(0)
	s_barrier
.LBB233_20:
	v_lshlrev_b32_e32 v0, 3, v156
	v_lshrrev_b32_e32 v157, 2, v156
	buffer_gl0_inv
	s_cmp_lg_u32 s17, 0
	v_add_lshl_u32 v0, v157, v0, 4
	ds_load_b128 v[40:43], v0
	ds_load_b128 v[92:95], v0 offset:16
	ds_load_b128 v[88:91], v0 offset:32
	;; [unrolled: 1-line block ×7, first 2 shown]
	s_waitcnt lgkmcnt(0)
	s_barrier
	buffer_gl0_inv
	s_cbranch_scc0 .LBB233_89
; %bb.21:
	v_dual_mov_b32 v0, v40 :: v_dual_mov_b32 v1, v41
	v_dual_mov_b32 v2, v42 :: v_dual_mov_b32 v3, v43
	;; [unrolled: 1-line block ×4, first 2 shown]
	s_getpc_b64 s[20:21]
	s_add_u32 s20, s20, _ZZZZN2at6native31launch_logcumsumexp_cuda_kernelERKNS_10TensorBaseES3_lENKUlvE_clEvENKUlvE1_clEvENKUlN3c107complexIdEES8_E_clES8_S8_@rel32@lo+4
	s_addc_u32 s21, s21, _ZZZZN2at6native31launch_logcumsumexp_cuda_kernelERKNS_10TensorBaseES3_lENKUlvE_clEvENKUlvE1_clEvENKUlN3c107complexIdEES8_E_clES8_S8_@rel32@hi+12
	s_delay_alu instid0(SALU_CYCLE_1)
	s_swappc_b64 s[30:31], s[20:21]
	v_dual_mov_b32 v4, v88 :: v_dual_mov_b32 v5, v89
	v_dual_mov_b32 v6, v90 :: v_dual_mov_b32 v7, v91
	s_swappc_b64 s[30:31], s[20:21]
	v_dual_mov_b32 v4, v76 :: v_dual_mov_b32 v5, v77
	v_dual_mov_b32 v6, v78 :: v_dual_mov_b32 v7, v79
	;; [unrolled: 3-line block ×7, first 2 shown]
	v_mbcnt_lo_u32_b32 v126, -1, 0
	s_delay_alu instid0(VALU_DEP_3) | instskip(NEXT) | instid1(VALU_DEP_4)
	v_mov_b32_dpp v0, v108 row_shr:1 row_mask:0xf bank_mask:0xf
	v_mov_b32_dpp v1, v109 row_shr:1 row_mask:0xf bank_mask:0xf
	s_delay_alu instid0(VALU_DEP_4) | instskip(SKIP_3) | instid1(VALU_DEP_1)
	v_mov_b32_dpp v2, v110 row_shr:1 row_mask:0xf bank_mask:0xf
	v_mov_b32_dpp v3, v111 row_shr:1 row_mask:0xf bank_mask:0xf
	v_and_b32_e32 v104, 15, v126
	s_mov_b32 s36, exec_lo
	v_cmpx_ne_u32_e32 0, v104
	s_cbranch_execz .LBB233_23
; %bb.22:
	v_dual_mov_b32 v4, v108 :: v_dual_mov_b32 v5, v109
	v_dual_mov_b32 v6, v110 :: v_dual_mov_b32 v7, v111
	s_swappc_b64 s[30:31], s[20:21]
	v_dual_mov_b32 v108, v0 :: v_dual_mov_b32 v109, v1
	v_dual_mov_b32 v110, v2 :: v_dual_mov_b32 v111, v3
.LBB233_23:
	s_or_b32 exec_lo, exec_lo, s36
	s_delay_alu instid0(VALU_DEP_2) | instskip(NEXT) | instid1(VALU_DEP_3)
	v_mov_b32_dpp v0, v108 row_shr:2 row_mask:0xf bank_mask:0xf
	v_mov_b32_dpp v1, v109 row_shr:2 row_mask:0xf bank_mask:0xf
	s_delay_alu instid0(VALU_DEP_3)
	v_mov_b32_dpp v2, v110 row_shr:2 row_mask:0xf bank_mask:0xf
	v_mov_b32_dpp v3, v111 row_shr:2 row_mask:0xf bank_mask:0xf
	s_mov_b32 s20, exec_lo
	v_cmpx_lt_u32_e32 1, v104
	s_cbranch_execz .LBB233_25
; %bb.24:
	v_dual_mov_b32 v4, v108 :: v_dual_mov_b32 v5, v109
	v_dual_mov_b32 v6, v110 :: v_dual_mov_b32 v7, v111
	s_getpc_b64 s[0:1]
	s_add_u32 s0, s0, _ZZZZN2at6native31launch_logcumsumexp_cuda_kernelERKNS_10TensorBaseES3_lENKUlvE_clEvENKUlvE1_clEvENKUlN3c107complexIdEES8_E_clES8_S8_@rel32@lo+4
	s_addc_u32 s1, s1, _ZZZZN2at6native31launch_logcumsumexp_cuda_kernelERKNS_10TensorBaseES3_lENKUlvE_clEvENKUlvE1_clEvENKUlN3c107complexIdEES8_E_clES8_S8_@rel32@hi+12
	s_delay_alu instid0(SALU_CYCLE_1)
	s_swappc_b64 s[30:31], s[0:1]
	v_dual_mov_b32 v108, v0 :: v_dual_mov_b32 v109, v1
	v_dual_mov_b32 v110, v2 :: v_dual_mov_b32 v111, v3
.LBB233_25:
	s_or_b32 exec_lo, exec_lo, s20
	s_delay_alu instid0(VALU_DEP_2) | instskip(NEXT) | instid1(VALU_DEP_3)
	v_mov_b32_dpp v0, v108 row_shr:4 row_mask:0xf bank_mask:0xf
	v_mov_b32_dpp v1, v109 row_shr:4 row_mask:0xf bank_mask:0xf
	s_delay_alu instid0(VALU_DEP_3)
	v_mov_b32_dpp v2, v110 row_shr:4 row_mask:0xf bank_mask:0xf
	v_mov_b32_dpp v3, v111 row_shr:4 row_mask:0xf bank_mask:0xf
	s_mov_b32 s20, exec_lo
	v_cmpx_lt_u32_e32 3, v104
	s_cbranch_execz .LBB233_27
; %bb.26:
	v_dual_mov_b32 v4, v108 :: v_dual_mov_b32 v5, v109
	v_dual_mov_b32 v6, v110 :: v_dual_mov_b32 v7, v111
	s_getpc_b64 s[0:1]
	s_add_u32 s0, s0, _ZZZZN2at6native31launch_logcumsumexp_cuda_kernelERKNS_10TensorBaseES3_lENKUlvE_clEvENKUlvE1_clEvENKUlN3c107complexIdEES8_E_clES8_S8_@rel32@lo+4
	s_addc_u32 s1, s1, _ZZZZN2at6native31launch_logcumsumexp_cuda_kernelERKNS_10TensorBaseES3_lENKUlvE_clEvENKUlvE1_clEvENKUlN3c107complexIdEES8_E_clES8_S8_@rel32@hi+12
	s_delay_alu instid0(SALU_CYCLE_1)
	s_swappc_b64 s[30:31], s[0:1]
	v_dual_mov_b32 v108, v0 :: v_dual_mov_b32 v109, v1
	v_dual_mov_b32 v110, v2 :: v_dual_mov_b32 v111, v3
.LBB233_27:
	;; [unrolled: 21-line block ×3, first 2 shown]
	s_or_b32 exec_lo, exec_lo, s20
	ds_swizzle_b32 v0, v108 offset:swizzle(BROADCAST,32,15)
	ds_swizzle_b32 v1, v109 offset:swizzle(BROADCAST,32,15)
	;; [unrolled: 1-line block ×4, first 2 shown]
	v_and_b32_e32 v4, 16, v126
	s_mov_b32 s20, exec_lo
	s_delay_alu instid0(VALU_DEP_1)
	v_cmpx_ne_u32_e32 0, v4
	s_cbranch_execz .LBB233_31
; %bb.30:
	v_dual_mov_b32 v4, v108 :: v_dual_mov_b32 v5, v109
	v_dual_mov_b32 v6, v110 :: v_dual_mov_b32 v7, v111
	s_getpc_b64 s[0:1]
	s_add_u32 s0, s0, _ZZZZN2at6native31launch_logcumsumexp_cuda_kernelERKNS_10TensorBaseES3_lENKUlvE_clEvENKUlvE1_clEvENKUlN3c107complexIdEES8_E_clES8_S8_@rel32@lo+4
	s_addc_u32 s1, s1, _ZZZZN2at6native31launch_logcumsumexp_cuda_kernelERKNS_10TensorBaseES3_lENKUlvE_clEvENKUlvE1_clEvENKUlN3c107complexIdEES8_E_clES8_S8_@rel32@hi+12
	s_delay_alu instid0(SALU_CYCLE_1)
	s_swappc_b64 s[30:31], s[0:1]
	v_dual_mov_b32 v108, v0 :: v_dual_mov_b32 v109, v1
	v_dual_mov_b32 v110, v2 :: v_dual_mov_b32 v111, v3
.LBB233_31:
	s_or_b32 exec_lo, exec_lo, s20
	s_waitcnt lgkmcnt(3)
	v_or_b32_e32 v0, 31, v156
	v_lshrrev_b32_e32 v120, 5, v156
	s_mov_b32 s0, exec_lo
	s_delay_alu instid0(VALU_DEP_2)
	v_cmpx_eq_u32_e64 v0, v156
	s_cbranch_execz .LBB233_33
; %bb.32:
	s_delay_alu instid0(VALU_DEP_2)
	v_lshlrev_b32_e32 v0, 4, v120
	ds_store_b128 v0, v[108:111]
.LBB233_33:
	s_or_b32 exec_lo, exec_lo, s0
	s_delay_alu instid0(SALU_CYCLE_1)
	s_mov_b32 s20, exec_lo
	s_waitcnt lgkmcnt(0)
	s_waitcnt_vscnt null, 0x0
	s_barrier
	buffer_gl0_inv
	v_cmpx_gt_u32_e32 8, v156
	s_cbranch_execz .LBB233_41
; %bb.34:
	ds_load_b128 v[4:7], v165
	v_and_b32_e32 v104, 7, v126
	s_mov_b32 s21, exec_lo
	s_waitcnt lgkmcnt(0)
	v_mov_b32_dpp v0, v4 row_shr:1 row_mask:0xf bank_mask:0xf
	v_mov_b32_dpp v1, v5 row_shr:1 row_mask:0xf bank_mask:0xf
	;; [unrolled: 1-line block ×4, first 2 shown]
	v_cmpx_ne_u32_e32 0, v104
	s_cbranch_execz .LBB233_36
; %bb.35:
	s_getpc_b64 s[0:1]
	s_add_u32 s0, s0, _ZZZZN2at6native31launch_logcumsumexp_cuda_kernelERKNS_10TensorBaseES3_lENKUlvE_clEvENKUlvE1_clEvENKUlN3c107complexIdEES8_E_clES8_S8_@rel32@lo+4
	s_addc_u32 s1, s1, _ZZZZN2at6native31launch_logcumsumexp_cuda_kernelERKNS_10TensorBaseES3_lENKUlvE_clEvENKUlvE1_clEvENKUlN3c107complexIdEES8_E_clES8_S8_@rel32@hi+12
	s_delay_alu instid0(SALU_CYCLE_1)
	s_swappc_b64 s[30:31], s[0:1]
	v_dual_mov_b32 v4, v0 :: v_dual_mov_b32 v5, v1
	v_dual_mov_b32 v6, v2 :: v_dual_mov_b32 v7, v3
.LBB233_36:
	s_or_b32 exec_lo, exec_lo, s21
	s_delay_alu instid0(VALU_DEP_2) | instskip(NEXT) | instid1(VALU_DEP_3)
	v_mov_b32_dpp v0, v4 row_shr:2 row_mask:0xf bank_mask:0xf
	v_mov_b32_dpp v1, v5 row_shr:2 row_mask:0xf bank_mask:0xf
	s_delay_alu instid0(VALU_DEP_3)
	v_mov_b32_dpp v2, v6 row_shr:2 row_mask:0xf bank_mask:0xf
	v_mov_b32_dpp v3, v7 row_shr:2 row_mask:0xf bank_mask:0xf
	s_mov_b32 s21, exec_lo
	v_cmpx_lt_u32_e32 1, v104
	s_cbranch_execz .LBB233_38
; %bb.37:
	s_getpc_b64 s[0:1]
	s_add_u32 s0, s0, _ZZZZN2at6native31launch_logcumsumexp_cuda_kernelERKNS_10TensorBaseES3_lENKUlvE_clEvENKUlvE1_clEvENKUlN3c107complexIdEES8_E_clES8_S8_@rel32@lo+4
	s_addc_u32 s1, s1, _ZZZZN2at6native31launch_logcumsumexp_cuda_kernelERKNS_10TensorBaseES3_lENKUlvE_clEvENKUlvE1_clEvENKUlN3c107complexIdEES8_E_clES8_S8_@rel32@hi+12
	s_delay_alu instid0(SALU_CYCLE_1)
	s_swappc_b64 s[30:31], s[0:1]
	v_dual_mov_b32 v4, v0 :: v_dual_mov_b32 v5, v1
	v_dual_mov_b32 v6, v2 :: v_dual_mov_b32 v7, v3
.LBB233_38:
	s_or_b32 exec_lo, exec_lo, s21
	s_delay_alu instid0(VALU_DEP_2) | instskip(NEXT) | instid1(VALU_DEP_3)
	v_mov_b32_dpp v0, v4 row_shr:4 row_mask:0xf bank_mask:0xf
	v_mov_b32_dpp v1, v5 row_shr:4 row_mask:0xf bank_mask:0xf
	s_delay_alu instid0(VALU_DEP_3)
	v_mov_b32_dpp v2, v6 row_shr:4 row_mask:0xf bank_mask:0xf
	v_mov_b32_dpp v3, v7 row_shr:4 row_mask:0xf bank_mask:0xf
	s_mov_b32 s21, exec_lo
	v_cmpx_lt_u32_e32 3, v104
	s_cbranch_execz .LBB233_40
; %bb.39:
	s_getpc_b64 s[0:1]
	s_add_u32 s0, s0, _ZZZZN2at6native31launch_logcumsumexp_cuda_kernelERKNS_10TensorBaseES3_lENKUlvE_clEvENKUlvE1_clEvENKUlN3c107complexIdEES8_E_clES8_S8_@rel32@lo+4
	s_addc_u32 s1, s1, _ZZZZN2at6native31launch_logcumsumexp_cuda_kernelERKNS_10TensorBaseES3_lENKUlvE_clEvENKUlvE1_clEvENKUlN3c107complexIdEES8_E_clES8_S8_@rel32@hi+12
	s_delay_alu instid0(SALU_CYCLE_1)
	s_swappc_b64 s[30:31], s[0:1]
	v_dual_mov_b32 v4, v0 :: v_dual_mov_b32 v5, v1
	v_dual_mov_b32 v6, v2 :: v_dual_mov_b32 v7, v3
.LBB233_40:
	s_or_b32 exec_lo, exec_lo, s21
	ds_store_b128 v165, v[4:7]
.LBB233_41:
	s_or_b32 exec_lo, exec_lo, s20
	v_mov_b32_e32 v106, 0
	v_mov_b32_e32 v107, 0
	v_cmp_gt_u32_e64 s21, 32, v156
	s_delay_alu instid0(VALU_DEP_3)
	v_mov_b32_e32 v104, v106
	s_mov_b32 s20, exec_lo
	s_waitcnt lgkmcnt(0)
	s_waitcnt_vscnt null, 0x0
	v_mov_b32_e32 v105, v107
	s_barrier
	buffer_gl0_inv
	v_cmpx_lt_u32_e32 31, v156
	s_cbranch_execz .LBB233_43
; %bb.42:
	v_lshl_add_u32 v0, v120, 4, -16
	v_dual_mov_b32 v4, v108 :: v_dual_mov_b32 v5, v109
	s_getpc_b64 s[0:1]
	s_add_u32 s0, s0, _ZZZZN2at6native31launch_logcumsumexp_cuda_kernelERKNS_10TensorBaseES3_lENKUlvE_clEvENKUlvE1_clEvENKUlN3c107complexIdEES8_E_clES8_S8_@rel32@lo+4
	s_addc_u32 s1, s1, _ZZZZN2at6native31launch_logcumsumexp_cuda_kernelERKNS_10TensorBaseES3_lENKUlvE_clEvENKUlvE1_clEvENKUlN3c107complexIdEES8_E_clES8_S8_@rel32@hi+12
	v_mov_b32_e32 v7, v111
	ds_load_b128 v[104:107], v0
	s_waitcnt lgkmcnt(0)
	v_dual_mov_b32 v6, v110 :: v_dual_mov_b32 v1, v105
	v_dual_mov_b32 v0, v104 :: v_dual_mov_b32 v3, v107
	v_mov_b32_e32 v2, v106
	s_swappc_b64 s[30:31], s[0:1]
	s_delay_alu instid0(VALU_DEP_2) | instskip(NEXT) | instid1(VALU_DEP_2)
	v_dual_mov_b32 v108, v0 :: v_dual_mov_b32 v109, v1
	v_dual_mov_b32 v110, v2 :: v_dual_mov_b32 v111, v3
.LBB233_43:
	s_or_b32 exec_lo, exec_lo, s20
	v_add_nc_u32_e32 v0, -1, v126
	v_cmp_eq_u32_e64 s20, 0, v126
	s_delay_alu instid0(VALU_DEP_2) | instskip(SKIP_1) | instid1(VALU_DEP_1)
	v_cmp_gt_i32_e32 vcc_lo, 0, v0
	v_cndmask_b32_e32 v0, v0, v126, vcc_lo
	v_lshlrev_b32_e32 v0, 2, v0
	ds_bpermute_b32 v127, v0, v108
	ds_bpermute_b32 v136, v0, v109
	ds_bpermute_b32 v138, v0, v110
	ds_bpermute_b32 v137, v0, v111
	s_and_saveexec_b32 s36, s21
	s_cbranch_execz .LBB233_86
; %bb.44:
	v_mov_b32_e32 v1, 0
	ds_load_b128 v[108:111], v1 offset:112
	s_and_saveexec_b32 s0, s20
	s_cbranch_execz .LBB233_46
; %bb.45:
	s_add_i32 s2, s17, 32
	s_mov_b32 s3, 0
	v_mov_b32_e32 v0, s2
	s_lshl_b64 s[4:5], s[2:3], 4
	v_mov_b32_e32 v2, 1
	s_add_u32 s2, s44, s4
	s_addc_u32 s3, s45, s5
	s_waitcnt lgkmcnt(0)
	global_store_b128 v1, v[108:111], s[2:3]
	s_waitcnt_vscnt null, 0x0
	buffer_gl1_inv
	buffer_gl0_inv
	global_store_b8 v0, v2, s[28:29]
.LBB233_46:
	s_or_b32 exec_lo, exec_lo, s0
	v_xad_u32 v124, v126, -1, s17
	s_mov_b32 s1, 0
	s_mov_b32 s0, exec_lo
	s_delay_alu instid0(VALU_DEP_1)
	v_add_nc_u32_e32 v0, 32, v124
	global_load_u8 v139, v0, s[28:29] glc
	s_waitcnt vmcnt(0)
	v_cmpx_eq_u16_e64 0, v139
	s_cbranch_execz .LBB233_52
; %bb.47:
	v_add_co_u32 v2, s2, s28, v0
	s_delay_alu instid0(VALU_DEP_1)
	v_add_co_ci_u32_e64 v3, null, s29, 0, s2
	s_mov_b32 s2, 1
.LBB233_48:                             ; =>This Loop Header: Depth=1
                                        ;     Child Loop BB233_49 Depth 2
	s_delay_alu instid0(SALU_CYCLE_1)
	s_max_u32 s3, s2, 1
.LBB233_49:                             ;   Parent Loop BB233_48 Depth=1
                                        ; =>  This Inner Loop Header: Depth=2
	s_delay_alu instid0(SALU_CYCLE_1)
	s_add_i32 s3, s3, -1
	s_sleep 1
	s_cmp_eq_u32 s3, 0
	s_cbranch_scc0 .LBB233_49
; %bb.50:                               ;   in Loop: Header=BB233_48 Depth=1
	global_load_u8 v139, v[2:3], off glc
	s_cmp_lt_u32 s2, 32
	s_cselect_b32 s3, -1, 0
	s_delay_alu instid0(SALU_CYCLE_1) | instskip(SKIP_3) | instid1(VALU_DEP_1)
	s_cmp_lg_u32 s3, 0
	s_addc_u32 s2, s2, 0
	s_waitcnt vmcnt(0)
	v_cmp_ne_u16_e64 vcc_lo, 0, v139
	s_or_b32 s1, vcc_lo, s1
	s_delay_alu instid0(SALU_CYCLE_1)
	s_and_not1_b32 exec_lo, exec_lo, s1
	s_cbranch_execnz .LBB233_48
; %bb.51:
	s_or_b32 exec_lo, exec_lo, s1
.LBB233_52:
	s_delay_alu instid0(SALU_CYCLE_1)
	s_or_b32 exec_lo, exec_lo, s0
	v_dual_mov_b32 v2, s45 :: v_dual_mov_b32 v3, s44
	v_cmp_eq_u16_e64 vcc_lo, 1, v139
	v_lshlrev_b64 v[0:1], 4, v[0:1]
	s_waitcnt lgkmcnt(0)
	s_waitcnt_vscnt null, 0x0
	buffer_gl1_inv
	buffer_gl0_inv
	v_lshlrev_b32_e64 v141, v126, -1
	s_mov_b32 s21, exec_lo
	v_cndmask_b32_e32 v3, s46, v3, vcc_lo
	v_cndmask_b32_e32 v2, s47, v2, vcc_lo
	s_delay_alu instid0(VALU_DEP_2) | instskip(NEXT) | instid1(VALU_DEP_2)
	v_add_co_u32 v0, vcc_lo, v3, v0
	v_add_co_ci_u32_e32 v1, vcc_lo, v2, v1, vcc_lo
	v_cmp_ne_u32_e32 vcc_lo, 31, v126
	global_load_b128 v[4:7], v[0:1], off
	v_add_co_ci_u32_e32 v0, vcc_lo, 0, v126, vcc_lo
	v_cmp_eq_u16_e64 vcc_lo, 2, v139
	s_delay_alu instid0(VALU_DEP_2) | instskip(NEXT) | instid1(VALU_DEP_2)
	v_lshlrev_b32_e32 v140, 2, v0
	v_and_or_b32 v8, vcc_lo, v141, 0x80000000
	s_delay_alu instid0(VALU_DEP_1)
	v_ctz_i32_b32_e32 v120, v8
	s_waitcnt vmcnt(0)
	ds_bpermute_b32 v0, v140, v4
	ds_bpermute_b32 v1, v140, v5
	;; [unrolled: 1-line block ×4, first 2 shown]
	v_cmpx_lt_u32_e64 v126, v120
	s_cbranch_execz .LBB233_54
; %bb.53:
	s_getpc_b64 s[0:1]
	s_add_u32 s0, s0, _ZZZZN2at6native31launch_logcumsumexp_cuda_kernelERKNS_10TensorBaseES3_lENKUlvE_clEvENKUlvE1_clEvENKUlN3c107complexIdEES8_E_clES8_S8_@rel32@lo+4
	s_addc_u32 s1, s1, _ZZZZN2at6native31launch_logcumsumexp_cuda_kernelERKNS_10TensorBaseES3_lENKUlvE_clEvENKUlvE1_clEvENKUlN3c107complexIdEES8_E_clES8_S8_@rel32@hi+12
	s_delay_alu instid0(SALU_CYCLE_1)
	s_swappc_b64 s[30:31], s[0:1]
	v_dual_mov_b32 v4, v0 :: v_dual_mov_b32 v5, v1
	v_dual_mov_b32 v6, v2 :: v_dual_mov_b32 v7, v3
.LBB233_54:
	s_or_b32 exec_lo, exec_lo, s21
	v_cmp_gt_u32_e32 vcc_lo, 30, v126
	v_add_nc_u32_e32 v143, 2, v126
	s_mov_b32 s21, exec_lo
	s_waitcnt lgkmcnt(3)
	v_cndmask_b32_e64 v0, 0, 1, vcc_lo
	s_delay_alu instid0(VALU_DEP_1) | instskip(NEXT) | instid1(VALU_DEP_1)
	v_lshlrev_b32_e32 v0, 1, v0
	v_add_lshl_u32 v142, v0, v126, 2
	ds_bpermute_b32 v0, v142, v4
	s_waitcnt lgkmcnt(3)
	ds_bpermute_b32 v1, v142, v5
	s_waitcnt lgkmcnt(3)
	ds_bpermute_b32 v2, v142, v6
	s_waitcnt lgkmcnt(3)
	ds_bpermute_b32 v3, v142, v7
	v_cmpx_le_u32_e64 v143, v120
	s_cbranch_execz .LBB233_56
; %bb.55:
	s_getpc_b64 s[0:1]
	s_add_u32 s0, s0, _ZZZZN2at6native31launch_logcumsumexp_cuda_kernelERKNS_10TensorBaseES3_lENKUlvE_clEvENKUlvE1_clEvENKUlN3c107complexIdEES8_E_clES8_S8_@rel32@lo+4
	s_addc_u32 s1, s1, _ZZZZN2at6native31launch_logcumsumexp_cuda_kernelERKNS_10TensorBaseES3_lENKUlvE_clEvENKUlvE1_clEvENKUlN3c107complexIdEES8_E_clES8_S8_@rel32@hi+12
	s_delay_alu instid0(SALU_CYCLE_1)
	s_swappc_b64 s[30:31], s[0:1]
	v_dual_mov_b32 v4, v0 :: v_dual_mov_b32 v5, v1
	v_dual_mov_b32 v6, v2 :: v_dual_mov_b32 v7, v3
.LBB233_56:
	s_or_b32 exec_lo, exec_lo, s21
	v_cmp_gt_u32_e32 vcc_lo, 28, v126
	v_add_nc_u32_e32 v145, 4, v126
	s_mov_b32 s21, exec_lo
	s_waitcnt lgkmcnt(3)
	v_cndmask_b32_e64 v0, 0, 1, vcc_lo
	s_delay_alu instid0(VALU_DEP_1) | instskip(NEXT) | instid1(VALU_DEP_1)
	v_lshlrev_b32_e32 v0, 2, v0
	v_add_lshl_u32 v144, v0, v126, 2
	ds_bpermute_b32 v0, v144, v4
	s_waitcnt lgkmcnt(3)
	ds_bpermute_b32 v1, v144, v5
	s_waitcnt lgkmcnt(3)
	ds_bpermute_b32 v2, v144, v6
	s_waitcnt lgkmcnt(3)
	ds_bpermute_b32 v3, v144, v7
	v_cmpx_le_u32_e64 v145, v120
	;; [unrolled: 27-line block ×4, first 2 shown]
	s_cbranch_execz .LBB233_62
; %bb.61:
	s_getpc_b64 s[0:1]
	s_add_u32 s0, s0, _ZZZZN2at6native31launch_logcumsumexp_cuda_kernelERKNS_10TensorBaseES3_lENKUlvE_clEvENKUlvE1_clEvENKUlN3c107complexIdEES8_E_clES8_S8_@rel32@lo+4
	s_addc_u32 s1, s1, _ZZZZN2at6native31launch_logcumsumexp_cuda_kernelERKNS_10TensorBaseES3_lENKUlvE_clEvENKUlvE1_clEvENKUlN3c107complexIdEES8_E_clES8_S8_@rel32@hi+12
	s_delay_alu instid0(SALU_CYCLE_1)
	s_swappc_b64 s[30:31], s[0:1]
	v_dual_mov_b32 v4, v0 :: v_dual_mov_b32 v5, v1
	v_dual_mov_b32 v6, v2 :: v_dual_mov_b32 v7, v3
.LBB233_62:
	s_or_b32 exec_lo, exec_lo, s21
	v_mov_b32_e32 v125, 0
	s_branch .LBB233_64
.LBB233_63:                             ;   in Loop: Header=BB233_64 Depth=1
	s_or_b32 exec_lo, exec_lo, s21
	s_waitcnt lgkmcnt(2)
	v_dual_mov_b32 v0, v4 :: v_dual_mov_b32 v1, v5
	s_waitcnt lgkmcnt(0)
	v_dual_mov_b32 v2, v6 :: v_dual_mov_b32 v3, v7
	v_dual_mov_b32 v4, v120 :: v_dual_mov_b32 v5, v121
	;; [unrolled: 1-line block ×3, first 2 shown]
	v_subrev_nc_u32_e32 v124, 32, v124
	s_getpc_b64 s[0:1]
	s_add_u32 s0, s0, _ZZZZN2at6native31launch_logcumsumexp_cuda_kernelERKNS_10TensorBaseES3_lENKUlvE_clEvENKUlvE1_clEvENKUlN3c107complexIdEES8_E_clES8_S8_@rel32@lo+4
	s_addc_u32 s1, s1, _ZZZZN2at6native31launch_logcumsumexp_cuda_kernelERKNS_10TensorBaseES3_lENKUlvE_clEvENKUlvE1_clEvENKUlN3c107complexIdEES8_E_clES8_S8_@rel32@hi+12
	s_delay_alu instid0(SALU_CYCLE_1)
	s_swappc_b64 s[30:31], s[0:1]
	v_dual_mov_b32 v4, v0 :: v_dual_mov_b32 v5, v1
	v_dual_mov_b32 v6, v2 :: v_dual_mov_b32 v7, v3
.LBB233_64:                             ; =>This Loop Header: Depth=1
                                        ;     Child Loop BB233_67 Depth 2
                                        ;       Child Loop BB233_68 Depth 3
	s_waitcnt lgkmcnt(3)
	s_delay_alu instid0(VALU_DEP_1) | instskip(NEXT) | instid1(VALU_DEP_2)
	v_dual_mov_b32 v123, v7 :: v_dual_and_b32 v0, 0xff, v139
	v_dual_mov_b32 v122, v6 :: v_dual_mov_b32 v121, v5
	v_mov_b32_e32 v120, v4
	s_delay_alu instid0(VALU_DEP_3) | instskip(SKIP_2) | instid1(VALU_DEP_1)
	v_cmp_ne_u16_e32 vcc_lo, 2, v0
	v_cndmask_b32_e64 v0, 0, 1, vcc_lo
	;;#ASMSTART
	;;#ASMEND
	v_cmp_ne_u32_e32 vcc_lo, 0, v0
	s_cmp_lg_u32 vcc_lo, exec_lo
	s_cbranch_scc1 .LBB233_81
; %bb.65:                               ;   in Loop: Header=BB233_64 Depth=1
	global_load_u8 v139, v124, s[28:29] glc
	s_mov_b32 s0, exec_lo
	s_waitcnt vmcnt(0)
	v_cmpx_eq_u16_e64 0, v139
	s_cbranch_execz .LBB233_71
; %bb.66:                               ;   in Loop: Header=BB233_64 Depth=1
	v_add_co_u32 v0, s1, s28, v124
	s_waitcnt lgkmcnt(2)
	v_add_co_ci_u32_e64 v1, null, s29, 0, s1
	s_mov_b32 s2, 1
	s_mov_b32 s1, 0
.LBB233_67:                             ;   Parent Loop BB233_64 Depth=1
                                        ; =>  This Loop Header: Depth=2
                                        ;       Child Loop BB233_68 Depth 3
	s_max_u32 s3, s2, 1
.LBB233_68:                             ;   Parent Loop BB233_64 Depth=1
                                        ;     Parent Loop BB233_67 Depth=2
                                        ; =>    This Inner Loop Header: Depth=3
	s_delay_alu instid0(SALU_CYCLE_1)
	s_add_i32 s3, s3, -1
	s_sleep 1
	s_cmp_eq_u32 s3, 0
	s_cbranch_scc0 .LBB233_68
; %bb.69:                               ;   in Loop: Header=BB233_67 Depth=2
	global_load_u8 v139, v[0:1], off glc
	s_cmp_lt_u32 s2, 32
	s_cselect_b32 s3, -1, 0
	s_delay_alu instid0(SALU_CYCLE_1) | instskip(SKIP_3) | instid1(VALU_DEP_1)
	s_cmp_lg_u32 s3, 0
	s_addc_u32 s2, s2, 0
	s_waitcnt vmcnt(0)
	v_cmp_ne_u16_e64 vcc_lo, 0, v139
	s_or_b32 s1, vcc_lo, s1
	s_delay_alu instid0(SALU_CYCLE_1)
	s_and_not1_b32 exec_lo, exec_lo, s1
	s_cbranch_execnz .LBB233_67
; %bb.70:                               ;   in Loop: Header=BB233_64 Depth=1
	s_or_b32 exec_lo, exec_lo, s1
.LBB233_71:                             ;   in Loop: Header=BB233_64 Depth=1
	s_delay_alu instid0(SALU_CYCLE_1)
	s_or_b32 exec_lo, exec_lo, s0
	s_waitcnt lgkmcnt(0)
	v_dual_mov_b32 v2, s45 :: v_dual_mov_b32 v3, s44
	v_cmp_eq_u16_e64 vcc_lo, 1, v139
	v_lshlrev_b64 v[0:1], 4, v[124:125]
	s_waitcnt_vscnt null, 0x0
	buffer_gl1_inv
	buffer_gl0_inv
	s_mov_b32 s21, exec_lo
	v_cndmask_b32_e32 v3, s46, v3, vcc_lo
	v_cndmask_b32_e32 v2, s47, v2, vcc_lo
	s_delay_alu instid0(VALU_DEP_2) | instskip(NEXT) | instid1(VALU_DEP_2)
	v_add_co_u32 v0, vcc_lo, v3, v0
	v_add_co_ci_u32_e32 v1, vcc_lo, v2, v1, vcc_lo
	v_cmp_eq_u16_e64 vcc_lo, 2, v139
	global_load_b128 v[4:7], v[0:1], off
	v_and_or_b32 v8, vcc_lo, v141, 0x80000000
	s_delay_alu instid0(VALU_DEP_1)
	v_ctz_i32_b32_e32 v150, v8
	s_waitcnt vmcnt(0)
	ds_bpermute_b32 v0, v140, v4
	ds_bpermute_b32 v1, v140, v5
	;; [unrolled: 1-line block ×4, first 2 shown]
	v_cmpx_lt_u32_e64 v126, v150
	s_cbranch_execz .LBB233_73
; %bb.72:                               ;   in Loop: Header=BB233_64 Depth=1
	s_getpc_b64 s[0:1]
	s_add_u32 s0, s0, _ZZZZN2at6native31launch_logcumsumexp_cuda_kernelERKNS_10TensorBaseES3_lENKUlvE_clEvENKUlvE1_clEvENKUlN3c107complexIdEES8_E_clES8_S8_@rel32@lo+4
	s_addc_u32 s1, s1, _ZZZZN2at6native31launch_logcumsumexp_cuda_kernelERKNS_10TensorBaseES3_lENKUlvE_clEvENKUlvE1_clEvENKUlN3c107complexIdEES8_E_clES8_S8_@rel32@hi+12
	s_delay_alu instid0(SALU_CYCLE_1)
	s_swappc_b64 s[30:31], s[0:1]
	v_dual_mov_b32 v4, v0 :: v_dual_mov_b32 v5, v1
	v_dual_mov_b32 v6, v2 :: v_dual_mov_b32 v7, v3
.LBB233_73:                             ;   in Loop: Header=BB233_64 Depth=1
	s_or_b32 exec_lo, exec_lo, s21
	s_waitcnt lgkmcnt(3)
	ds_bpermute_b32 v0, v142, v4
	s_waitcnt lgkmcnt(3)
	ds_bpermute_b32 v1, v142, v5
	s_waitcnt lgkmcnt(3)
	ds_bpermute_b32 v2, v142, v6
	s_waitcnt lgkmcnt(3)
	ds_bpermute_b32 v3, v142, v7
	s_mov_b32 s21, exec_lo
	v_cmpx_le_u32_e64 v143, v150
	s_cbranch_execz .LBB233_75
; %bb.74:                               ;   in Loop: Header=BB233_64 Depth=1
	s_getpc_b64 s[0:1]
	s_add_u32 s0, s0, _ZZZZN2at6native31launch_logcumsumexp_cuda_kernelERKNS_10TensorBaseES3_lENKUlvE_clEvENKUlvE1_clEvENKUlN3c107complexIdEES8_E_clES8_S8_@rel32@lo+4
	s_addc_u32 s1, s1, _ZZZZN2at6native31launch_logcumsumexp_cuda_kernelERKNS_10TensorBaseES3_lENKUlvE_clEvENKUlvE1_clEvENKUlN3c107complexIdEES8_E_clES8_S8_@rel32@hi+12
	s_delay_alu instid0(SALU_CYCLE_1)
	s_swappc_b64 s[30:31], s[0:1]
	v_dual_mov_b32 v4, v0 :: v_dual_mov_b32 v5, v1
	v_dual_mov_b32 v6, v2 :: v_dual_mov_b32 v7, v3
.LBB233_75:                             ;   in Loop: Header=BB233_64 Depth=1
	s_or_b32 exec_lo, exec_lo, s21
	s_waitcnt lgkmcnt(3)
	ds_bpermute_b32 v0, v144, v4
	s_waitcnt lgkmcnt(3)
	ds_bpermute_b32 v1, v144, v5
	s_waitcnt lgkmcnt(3)
	ds_bpermute_b32 v2, v144, v6
	s_waitcnt lgkmcnt(3)
	ds_bpermute_b32 v3, v144, v7
	s_mov_b32 s21, exec_lo
	v_cmpx_le_u32_e64 v145, v150
	;; [unrolled: 21-line block ×4, first 2 shown]
	s_cbranch_execz .LBB233_63
; %bb.80:                               ;   in Loop: Header=BB233_64 Depth=1
	s_getpc_b64 s[0:1]
	s_add_u32 s0, s0, _ZZZZN2at6native31launch_logcumsumexp_cuda_kernelERKNS_10TensorBaseES3_lENKUlvE_clEvENKUlvE1_clEvENKUlN3c107complexIdEES8_E_clES8_S8_@rel32@lo+4
	s_addc_u32 s1, s1, _ZZZZN2at6native31launch_logcumsumexp_cuda_kernelERKNS_10TensorBaseES3_lENKUlvE_clEvENKUlvE1_clEvENKUlN3c107complexIdEES8_E_clES8_S8_@rel32@hi+12
	s_delay_alu instid0(SALU_CYCLE_1)
	s_swappc_b64 s[30:31], s[0:1]
	v_dual_mov_b32 v4, v0 :: v_dual_mov_b32 v5, v1
	v_dual_mov_b32 v6, v2 :: v_dual_mov_b32 v7, v3
	s_branch .LBB233_63
.LBB233_81:                             ;   in Loop: Header=BB233_64 Depth=1
                                        ; implicit-def: $vgpr6_vgpr7
                                        ; implicit-def: $vgpr139
	s_cbranch_execz .LBB233_64
; %bb.82:
	s_and_saveexec_b32 s21, s20
	s_cbranch_execz .LBB233_84
; %bb.83:
	s_waitcnt lgkmcnt(2)
	v_dual_mov_b32 v0, v120 :: v_dual_mov_b32 v1, v121
	s_waitcnt lgkmcnt(0)
	v_dual_mov_b32 v2, v122 :: v_dual_mov_b32 v3, v123
	v_dual_mov_b32 v4, v108 :: v_dual_mov_b32 v5, v109
	;; [unrolled: 1-line block ×3, first 2 shown]
	s_getpc_b64 s[0:1]
	s_add_u32 s0, s0, _ZZZZN2at6native31launch_logcumsumexp_cuda_kernelERKNS_10TensorBaseES3_lENKUlvE_clEvENKUlvE1_clEvENKUlN3c107complexIdEES8_E_clES8_S8_@rel32@lo+4
	s_addc_u32 s1, s1, _ZZZZN2at6native31launch_logcumsumexp_cuda_kernelERKNS_10TensorBaseES3_lENKUlvE_clEvENKUlvE1_clEvENKUlN3c107complexIdEES8_E_clES8_S8_@rel32@hi+12
	s_delay_alu instid0(SALU_CYCLE_1)
	s_swappc_b64 s[30:31], s[0:1]
	s_add_i32 s0, s17, 32
	s_mov_b32 s1, 0
	v_dual_mov_b32 v4, 0 :: v_dual_mov_b32 v5, s0
	s_lshl_b64 s[2:3], s[0:1], 4
	v_mov_b32_e32 v6, 2
	s_add_u32 s2, s46, s2
	s_addc_u32 s3, s47, s3
	global_store_b128 v4, v[0:3], s[2:3]
	s_waitcnt_vscnt null, 0x0
	buffer_gl1_inv
	buffer_gl0_inv
	global_store_b8 v5, v6, s[28:29]
.LBB233_84:
	s_or_b32 exec_lo, exec_lo, s21
	v_cmp_eq_u32_e32 vcc_lo, 0, v156
	s_and_b32 exec_lo, exec_lo, vcc_lo
	s_cbranch_execz .LBB233_86
; %bb.85:
	v_mov_b32_e32 v0, 0
	ds_store_b128 v0, v[120:123] offset:112
.LBB233_86:
	s_or_b32 exec_lo, exec_lo, s36
	v_mov_b32_e32 v0, 0
	v_mov_b32_e32 v6, v42
	s_waitcnt lgkmcnt(0)
	s_waitcnt_vscnt null, 0x0
	s_barrier
	buffer_gl0_inv
	v_mov_b32_e32 v7, v43
	ds_load_b128 v[108:111], v0 offset:112
	v_dual_mov_b32 v4, v40 :: v_dual_mov_b32 v5, v41
	s_mov_b32 s17, 0
	s_mov_b32 s21, exec_lo
	v_cmpx_ne_u32_e32 0, v156
	s_cbranch_execz .LBB233_88
; %bb.87:
	v_cndmask_b32_e64 v2, v138, v106, s20
	v_cndmask_b32_e64 v0, v127, v104, s20
	;; [unrolled: 1-line block ×4, first 2 shown]
	v_dual_mov_b32 v4, v40 :: v_dual_mov_b32 v5, v41
	v_dual_mov_b32 v6, v42 :: v_dual_mov_b32 v7, v43
	s_getpc_b64 s[0:1]
	s_add_u32 s0, s0, _ZZZZN2at6native31launch_logcumsumexp_cuda_kernelERKNS_10TensorBaseES3_lENKUlvE_clEvENKUlvE1_clEvENKUlN3c107complexIdEES8_E_clES8_S8_@rel32@lo+4
	s_addc_u32 s1, s1, _ZZZZN2at6native31launch_logcumsumexp_cuda_kernelERKNS_10TensorBaseES3_lENKUlvE_clEvENKUlvE1_clEvENKUlN3c107complexIdEES8_E_clES8_S8_@rel32@hi+12
	s_delay_alu instid0(SALU_CYCLE_1)
	s_swappc_b64 s[30:31], s[0:1]
	v_dual_mov_b32 v4, v0 :: v_dual_mov_b32 v5, v1
	v_dual_mov_b32 v6, v2 :: v_dual_mov_b32 v7, v3
.LBB233_88:
	s_or_b32 exec_lo, exec_lo, s21
	s_waitcnt lgkmcnt(0)
	v_dual_mov_b32 v0, v108 :: v_dual_mov_b32 v1, v109
	v_dual_mov_b32 v2, v110 :: v_dual_mov_b32 v3, v111
	s_getpc_b64 s[20:21]
	s_add_u32 s20, s20, _ZZZZN2at6native31launch_logcumsumexp_cuda_kernelERKNS_10TensorBaseES3_lENKUlvE_clEvENKUlvE1_clEvENKUlN3c107complexIdEES8_E_clES8_S8_@rel32@lo+4
	s_addc_u32 s21, s21, _ZZZZN2at6native31launch_logcumsumexp_cuda_kernelERKNS_10TensorBaseES3_lENKUlvE_clEvENKUlvE1_clEvENKUlN3c107complexIdEES8_E_clES8_S8_@rel32@hi+12
	s_delay_alu instid0(SALU_CYCLE_1)
	s_swappc_b64 s[30:31], s[20:21]
	v_dual_mov_b32 v4, v92 :: v_dual_mov_b32 v5, v93
	v_dual_mov_b32 v6, v94 :: v_dual_mov_b32 v7, v95
	v_dual_mov_b32 v148, v0 :: v_dual_mov_b32 v149, v1
	v_dual_mov_b32 v150, v2 :: v_dual_mov_b32 v151, v3
	s_swappc_b64 s[30:31], s[20:21]
	v_dual_mov_b32 v4, v88 :: v_dual_mov_b32 v5, v89
	v_dual_mov_b32 v6, v90 :: v_dual_mov_b32 v7, v91
	v_dual_mov_b32 v104, v0 :: v_dual_mov_b32 v105, v1
	v_dual_mov_b32 v106, v2 :: v_dual_mov_b32 v107, v3
	;; [unrolled: 5-line block ×7, first 2 shown]
	s_swappc_b64 s[30:31], s[20:21]
	v_dual_mov_b32 v144, v0 :: v_dual_mov_b32 v145, v1
	v_dual_mov_b32 v146, v2 :: v_dual_mov_b32 v147, v3
	s_load_b256 s[36:43], s[18:19], 0x58
	s_and_b32 vcc_lo, exec_lo, s17
	s_cbranch_vccnz .LBB233_90
	s_branch .LBB233_119
.LBB233_89:
                                        ; implicit-def: $vgpr148_vgpr149
                                        ; implicit-def: $vgpr104_vgpr105
                                        ; implicit-def: $vgpr108_vgpr109
                                        ; implicit-def: $vgpr120_vgpr121
                                        ; implicit-def: $vgpr124_vgpr125
                                        ; implicit-def: $vgpr136_vgpr137
                                        ; implicit-def: $vgpr140_vgpr141
                                        ; implicit-def: $vgpr144_vgpr145
	s_load_b256 s[36:43], s[18:19], 0x58
	s_cbranch_execz .LBB233_119
.LBB233_90:
	v_cmp_eq_u32_e32 vcc_lo, 0, v156
	s_waitcnt lgkmcnt(0)
	s_cmp_lg_u64 s[40:41], 0
	v_cmp_ne_u32_e64 s17, 0, v156
	s_cselect_b32 s0, -1, 0
	s_delay_alu instid0(SALU_CYCLE_1) | instskip(NEXT) | instid1(SALU_CYCLE_1)
	s_and_b32 s0, vcc_lo, s0
	s_and_saveexec_b32 s18, s0
	s_cbranch_execz .LBB233_92
; %bb.91:
	v_dual_mov_b32 v0, 0 :: v_dual_mov_b32 v5, v41
	v_dual_mov_b32 v4, v40 :: v_dual_mov_b32 v7, v43
	v_mov_b32_e32 v6, v42
	global_load_b128 v[0:3], v0, s[36:37]
	s_getpc_b64 s[0:1]
	s_add_u32 s0, s0, _ZZZZN2at6native31launch_logcumsumexp_cuda_kernelERKNS_10TensorBaseES3_lENKUlvE_clEvENKUlvE1_clEvENKUlN3c107complexIdEES8_E_clES8_S8_@rel32@lo+4
	s_addc_u32 s1, s1, _ZZZZN2at6native31launch_logcumsumexp_cuda_kernelERKNS_10TensorBaseES3_lENKUlvE_clEvENKUlvE1_clEvENKUlN3c107complexIdEES8_E_clES8_S8_@rel32@hi+12
	s_delay_alu instid0(SALU_CYCLE_1)
	s_swappc_b64 s[30:31], s[0:1]
	v_dual_mov_b32 v40, v0 :: v_dual_mov_b32 v41, v1
	v_dual_mov_b32 v42, v2 :: v_dual_mov_b32 v43, v3
.LBB233_92:
	s_or_b32 exec_lo, exec_lo, s18
	s_delay_alu instid0(VALU_DEP_2) | instskip(NEXT) | instid1(VALU_DEP_2)
	v_dual_mov_b32 v0, v40 :: v_dual_mov_b32 v1, v41
	v_dual_mov_b32 v2, v42 :: v_dual_mov_b32 v3, v43
	;; [unrolled: 1-line block ×4, first 2 shown]
	s_getpc_b64 s[18:19]
	s_add_u32 s18, s18, _ZZZZN2at6native31launch_logcumsumexp_cuda_kernelERKNS_10TensorBaseES3_lENKUlvE_clEvENKUlvE1_clEvENKUlN3c107complexIdEES8_E_clES8_S8_@rel32@lo+4
	s_addc_u32 s19, s19, _ZZZZN2at6native31launch_logcumsumexp_cuda_kernelERKNS_10TensorBaseES3_lENKUlvE_clEvENKUlvE1_clEvENKUlN3c107complexIdEES8_E_clES8_S8_@rel32@hi+12
	s_delay_alu instid0(SALU_CYCLE_1)
	s_swappc_b64 s[30:31], s[18:19]
	v_dual_mov_b32 v4, v88 :: v_dual_mov_b32 v5, v89
	v_dual_mov_b32 v6, v90 :: v_dual_mov_b32 v7, v91
	v_dual_mov_b32 v104, v0 :: v_dual_mov_b32 v105, v1
	v_dual_mov_b32 v106, v2 :: v_dual_mov_b32 v107, v3
	s_swappc_b64 s[30:31], s[18:19]
	v_dual_mov_b32 v4, v76 :: v_dual_mov_b32 v5, v77
	v_dual_mov_b32 v6, v78 :: v_dual_mov_b32 v7, v79
	v_dual_mov_b32 v108, v0 :: v_dual_mov_b32 v109, v1
	v_dual_mov_b32 v110, v2 :: v_dual_mov_b32 v111, v3
	;; [unrolled: 5-line block ×6, first 2 shown]
	s_swappc_b64 s[30:31], s[18:19]
	v_dual_mov_b32 v146, v2 :: v_dual_mov_b32 v147, v3
	v_mbcnt_lo_u32_b32 v166, -1, 0
	v_dual_mov_b32 v144, v0 :: v_dual_mov_b32 v145, v1
	s_delay_alu instid0(VALU_DEP_3) | instskip(NEXT) | instid1(VALU_DEP_3)
	v_mov_b32_dpp v6, v146 row_shr:1 row_mask:0xf bank_mask:0xf
	v_dual_mov_b32 v151, v147 :: v_dual_and_b32 v152, 15, v166
	s_delay_alu instid0(VALU_DEP_3) | instskip(NEXT) | instid1(VALU_DEP_4)
	v_dual_mov_b32 v150, v146 :: v_dual_mov_b32 v149, v145
	v_mov_b32_dpp v4, v144 row_shr:1 row_mask:0xf bank_mask:0xf
	v_mov_b32_dpp v5, v145 row_shr:1 row_mask:0xf bank_mask:0xf
	;; [unrolled: 1-line block ×3, first 2 shown]
	v_mov_b32_e32 v148, v144
	s_mov_b32 s20, exec_lo
	v_cmpx_ne_u32_e32 0, v152
	s_cbranch_execz .LBB233_94
; %bb.93:
	v_dual_mov_b32 v0, v4 :: v_dual_mov_b32 v1, v5
	v_dual_mov_b32 v2, v6 :: v_dual_mov_b32 v3, v7
	;; [unrolled: 1-line block ×4, first 2 shown]
	s_swappc_b64 s[30:31], s[18:19]
	v_dual_mov_b32 v148, v0 :: v_dual_mov_b32 v149, v1
	v_dual_mov_b32 v150, v2 :: v_dual_mov_b32 v151, v3
.LBB233_94:
	s_or_b32 exec_lo, exec_lo, s20
	v_mov_b32_dpp v4, v0 row_shr:2 row_mask:0xf bank_mask:0xf
	v_mov_b32_dpp v5, v1 row_shr:2 row_mask:0xf bank_mask:0xf
	v_mov_b32_dpp v6, v2 row_shr:2 row_mask:0xf bank_mask:0xf
	v_mov_b32_dpp v7, v3 row_shr:2 row_mask:0xf bank_mask:0xf
	s_mov_b32 s18, exec_lo
	v_cmpx_lt_u32_e32 1, v152
	s_cbranch_execz .LBB233_96
; %bb.95:
	v_dual_mov_b32 v0, v4 :: v_dual_mov_b32 v1, v5
	v_dual_mov_b32 v2, v6 :: v_dual_mov_b32 v3, v7
	v_dual_mov_b32 v4, v148 :: v_dual_mov_b32 v5, v149
	v_dual_mov_b32 v6, v150 :: v_dual_mov_b32 v7, v151
	s_getpc_b64 s[0:1]
	s_add_u32 s0, s0, _ZZZZN2at6native31launch_logcumsumexp_cuda_kernelERKNS_10TensorBaseES3_lENKUlvE_clEvENKUlvE1_clEvENKUlN3c107complexIdEES8_E_clES8_S8_@rel32@lo+4
	s_addc_u32 s1, s1, _ZZZZN2at6native31launch_logcumsumexp_cuda_kernelERKNS_10TensorBaseES3_lENKUlvE_clEvENKUlvE1_clEvENKUlN3c107complexIdEES8_E_clES8_S8_@rel32@hi+12
	s_delay_alu instid0(SALU_CYCLE_1)
	s_swappc_b64 s[30:31], s[0:1]
	v_dual_mov_b32 v151, v3 :: v_dual_mov_b32 v150, v2
	v_dual_mov_b32 v149, v1 :: v_dual_mov_b32 v148, v0
.LBB233_96:
	s_or_b32 exec_lo, exec_lo, s18
	v_mov_b32_dpp v4, v0 row_shr:4 row_mask:0xf bank_mask:0xf
	v_mov_b32_dpp v5, v1 row_shr:4 row_mask:0xf bank_mask:0xf
	v_mov_b32_dpp v6, v2 row_shr:4 row_mask:0xf bank_mask:0xf
	v_mov_b32_dpp v7, v3 row_shr:4 row_mask:0xf bank_mask:0xf
	s_mov_b32 s18, exec_lo
	v_cmpx_lt_u32_e32 3, v152
	s_cbranch_execz .LBB233_98
; %bb.97:
	v_dual_mov_b32 v0, v4 :: v_dual_mov_b32 v1, v5
	v_dual_mov_b32 v2, v6 :: v_dual_mov_b32 v3, v7
	v_dual_mov_b32 v4, v148 :: v_dual_mov_b32 v5, v149
	v_dual_mov_b32 v6, v150 :: v_dual_mov_b32 v7, v151
	s_getpc_b64 s[0:1]
	s_add_u32 s0, s0, _ZZZZN2at6native31launch_logcumsumexp_cuda_kernelERKNS_10TensorBaseES3_lENKUlvE_clEvENKUlvE1_clEvENKUlN3c107complexIdEES8_E_clES8_S8_@rel32@lo+4
	s_addc_u32 s1, s1, _ZZZZN2at6native31launch_logcumsumexp_cuda_kernelERKNS_10TensorBaseES3_lENKUlvE_clEvENKUlvE1_clEvENKUlN3c107complexIdEES8_E_clES8_S8_@rel32@hi+12
	s_delay_alu instid0(SALU_CYCLE_1)
	s_swappc_b64 s[30:31], s[0:1]
	v_dual_mov_b32 v151, v3 :: v_dual_mov_b32 v150, v2
	v_dual_mov_b32 v149, v1 :: v_dual_mov_b32 v148, v0
.LBB233_98:
	;; [unrolled: 21-line block ×3, first 2 shown]
	s_or_b32 exec_lo, exec_lo, s18
	ds_swizzle_b32 v0, v0 offset:swizzle(BROADCAST,32,15)
	ds_swizzle_b32 v1, v1 offset:swizzle(BROADCAST,32,15)
	;; [unrolled: 1-line block ×4, first 2 shown]
	v_and_b32_e32 v4, 16, v166
	s_mov_b32 s18, exec_lo
	s_delay_alu instid0(VALU_DEP_1)
	v_cmpx_ne_u32_e32 0, v4
	s_cbranch_execz .LBB233_102
; %bb.101:
	v_dual_mov_b32 v4, v148 :: v_dual_mov_b32 v5, v149
	v_dual_mov_b32 v6, v150 :: v_dual_mov_b32 v7, v151
	s_getpc_b64 s[0:1]
	s_add_u32 s0, s0, _ZZZZN2at6native31launch_logcumsumexp_cuda_kernelERKNS_10TensorBaseES3_lENKUlvE_clEvENKUlvE1_clEvENKUlN3c107complexIdEES8_E_clES8_S8_@rel32@lo+4
	s_addc_u32 s1, s1, _ZZZZN2at6native31launch_logcumsumexp_cuda_kernelERKNS_10TensorBaseES3_lENKUlvE_clEvENKUlvE1_clEvENKUlN3c107complexIdEES8_E_clES8_S8_@rel32@hi+12
	s_delay_alu instid0(SALU_CYCLE_1)
	s_swappc_b64 s[30:31], s[0:1]
	v_dual_mov_b32 v148, v0 :: v_dual_mov_b32 v149, v1
	v_dual_mov_b32 v150, v2 :: v_dual_mov_b32 v151, v3
.LBB233_102:
	s_or_b32 exec_lo, exec_lo, s18
	s_waitcnt lgkmcnt(3)
	v_or_b32_e32 v0, 31, v156
	v_lshrrev_b32_e32 v167, 5, v156
	s_mov_b32 s0, exec_lo
	s_delay_alu instid0(VALU_DEP_2)
	v_cmpx_eq_u32_e64 v0, v156
	s_cbranch_execz .LBB233_104
; %bb.103:
	s_delay_alu instid0(VALU_DEP_2)
	v_lshlrev_b32_e32 v0, 4, v167
	ds_store_b128 v0, v[148:151]
.LBB233_104:
	s_or_b32 exec_lo, exec_lo, s0
	s_delay_alu instid0(SALU_CYCLE_1)
	s_mov_b32 s18, exec_lo
	s_waitcnt lgkmcnt(0)
	s_waitcnt_vscnt null, 0x0
	s_barrier
	buffer_gl0_inv
	v_cmpx_gt_u32_e32 8, v156
	s_cbranch_execz .LBB233_112
; %bb.105:
	ds_load_b128 v[4:7], v165
	v_and_b32_e32 v152, 7, v166
	s_mov_b32 s19, exec_lo
	s_waitcnt lgkmcnt(0)
	v_mov_b32_dpp v0, v4 row_shr:1 row_mask:0xf bank_mask:0xf
	v_mov_b32_dpp v1, v5 row_shr:1 row_mask:0xf bank_mask:0xf
	;; [unrolled: 1-line block ×4, first 2 shown]
	v_cmpx_ne_u32_e32 0, v152
	s_cbranch_execz .LBB233_107
; %bb.106:
	s_getpc_b64 s[0:1]
	s_add_u32 s0, s0, _ZZZZN2at6native31launch_logcumsumexp_cuda_kernelERKNS_10TensorBaseES3_lENKUlvE_clEvENKUlvE1_clEvENKUlN3c107complexIdEES8_E_clES8_S8_@rel32@lo+4
	s_addc_u32 s1, s1, _ZZZZN2at6native31launch_logcumsumexp_cuda_kernelERKNS_10TensorBaseES3_lENKUlvE_clEvENKUlvE1_clEvENKUlN3c107complexIdEES8_E_clES8_S8_@rel32@hi+12
	s_delay_alu instid0(SALU_CYCLE_1)
	s_swappc_b64 s[30:31], s[0:1]
	v_dual_mov_b32 v4, v0 :: v_dual_mov_b32 v5, v1
	v_dual_mov_b32 v6, v2 :: v_dual_mov_b32 v7, v3
.LBB233_107:
	s_or_b32 exec_lo, exec_lo, s19
	s_delay_alu instid0(VALU_DEP_2) | instskip(NEXT) | instid1(VALU_DEP_3)
	v_mov_b32_dpp v0, v4 row_shr:2 row_mask:0xf bank_mask:0xf
	v_mov_b32_dpp v1, v5 row_shr:2 row_mask:0xf bank_mask:0xf
	s_delay_alu instid0(VALU_DEP_3)
	v_mov_b32_dpp v2, v6 row_shr:2 row_mask:0xf bank_mask:0xf
	v_mov_b32_dpp v3, v7 row_shr:2 row_mask:0xf bank_mask:0xf
	s_mov_b32 s19, exec_lo
	v_cmpx_lt_u32_e32 1, v152
	s_cbranch_execz .LBB233_109
; %bb.108:
	s_getpc_b64 s[0:1]
	s_add_u32 s0, s0, _ZZZZN2at6native31launch_logcumsumexp_cuda_kernelERKNS_10TensorBaseES3_lENKUlvE_clEvENKUlvE1_clEvENKUlN3c107complexIdEES8_E_clES8_S8_@rel32@lo+4
	s_addc_u32 s1, s1, _ZZZZN2at6native31launch_logcumsumexp_cuda_kernelERKNS_10TensorBaseES3_lENKUlvE_clEvENKUlvE1_clEvENKUlN3c107complexIdEES8_E_clES8_S8_@rel32@hi+12
	s_delay_alu instid0(SALU_CYCLE_1)
	s_swappc_b64 s[30:31], s[0:1]
	v_dual_mov_b32 v4, v0 :: v_dual_mov_b32 v5, v1
	v_dual_mov_b32 v6, v2 :: v_dual_mov_b32 v7, v3
.LBB233_109:
	s_or_b32 exec_lo, exec_lo, s19
	s_delay_alu instid0(VALU_DEP_2) | instskip(NEXT) | instid1(VALU_DEP_3)
	v_mov_b32_dpp v0, v4 row_shr:4 row_mask:0xf bank_mask:0xf
	v_mov_b32_dpp v1, v5 row_shr:4 row_mask:0xf bank_mask:0xf
	s_delay_alu instid0(VALU_DEP_3)
	v_mov_b32_dpp v2, v6 row_shr:4 row_mask:0xf bank_mask:0xf
	v_mov_b32_dpp v3, v7 row_shr:4 row_mask:0xf bank_mask:0xf
	s_mov_b32 s19, exec_lo
	v_cmpx_lt_u32_e32 3, v152
	s_cbranch_execz .LBB233_111
; %bb.110:
	s_getpc_b64 s[0:1]
	s_add_u32 s0, s0, _ZZZZN2at6native31launch_logcumsumexp_cuda_kernelERKNS_10TensorBaseES3_lENKUlvE_clEvENKUlvE1_clEvENKUlN3c107complexIdEES8_E_clES8_S8_@rel32@lo+4
	s_addc_u32 s1, s1, _ZZZZN2at6native31launch_logcumsumexp_cuda_kernelERKNS_10TensorBaseES3_lENKUlvE_clEvENKUlvE1_clEvENKUlN3c107complexIdEES8_E_clES8_S8_@rel32@hi+12
	s_delay_alu instid0(SALU_CYCLE_1)
	s_swappc_b64 s[30:31], s[0:1]
	v_dual_mov_b32 v4, v0 :: v_dual_mov_b32 v5, v1
	v_dual_mov_b32 v6, v2 :: v_dual_mov_b32 v7, v3
.LBB233_111:
	s_or_b32 exec_lo, exec_lo, s19
	ds_store_b128 v165, v[4:7]
.LBB233_112:
	s_or_b32 exec_lo, exec_lo, s18
	v_mov_b32_e32 v154, 0
	v_mov_b32_e32 v155, 0
	s_delay_alu instid0(VALU_DEP_2)
	v_mov_b32_e32 v152, v154
	s_mov_b32 s18, exec_lo
	s_waitcnt lgkmcnt(0)
	s_waitcnt_vscnt null, 0x0
	s_barrier
	v_mov_b32_e32 v153, v155
	buffer_gl0_inv
	v_cmpx_lt_u32_e32 31, v156
	s_cbranch_execz .LBB233_114
; %bb.113:
	v_lshl_add_u32 v0, v167, 4, -16
	v_dual_mov_b32 v4, v148 :: v_dual_mov_b32 v5, v149
	s_getpc_b64 s[0:1]
	s_add_u32 s0, s0, _ZZZZN2at6native31launch_logcumsumexp_cuda_kernelERKNS_10TensorBaseES3_lENKUlvE_clEvENKUlvE1_clEvENKUlN3c107complexIdEES8_E_clES8_S8_@rel32@lo+4
	s_addc_u32 s1, s1, _ZZZZN2at6native31launch_logcumsumexp_cuda_kernelERKNS_10TensorBaseES3_lENKUlvE_clEvENKUlvE1_clEvENKUlN3c107complexIdEES8_E_clES8_S8_@rel32@hi+12
	v_mov_b32_e32 v7, v151
	ds_load_b128 v[152:155], v0
	s_waitcnt lgkmcnt(0)
	v_dual_mov_b32 v6, v150 :: v_dual_mov_b32 v1, v153
	v_dual_mov_b32 v0, v152 :: v_dual_mov_b32 v3, v155
	v_mov_b32_e32 v2, v154
	s_swappc_b64 s[30:31], s[0:1]
	s_delay_alu instid0(VALU_DEP_2) | instskip(NEXT) | instid1(VALU_DEP_2)
	v_dual_mov_b32 v148, v0 :: v_dual_mov_b32 v149, v1
	v_dual_mov_b32 v150, v2 :: v_dual_mov_b32 v151, v3
.LBB233_114:
	s_or_b32 exec_lo, exec_lo, s18
	v_add_nc_u32_e32 v0, -1, v166
	s_delay_alu instid0(VALU_DEP_1) | instskip(SKIP_1) | instid1(VALU_DEP_1)
	v_cmp_gt_i32_e32 vcc_lo, 0, v0
	v_cndmask_b32_e32 v0, v0, v166, vcc_lo
	v_lshlrev_b32_e32 v3, 2, v0
	ds_bpermute_b32 v0, v3, v148
	ds_bpermute_b32 v1, v3, v149
	;; [unrolled: 1-line block ×4, first 2 shown]
	s_and_saveexec_b32 s20, s17
	s_cbranch_execz .LBB233_116
; %bb.115:
	v_cmp_eq_u32_e32 vcc_lo, 0, v166
	v_dual_mov_b32 v4, v40 :: v_dual_mov_b32 v5, v41
	v_dual_mov_b32 v6, v42 :: v_dual_mov_b32 v7, v43
	s_waitcnt lgkmcnt(2)
	v_dual_cndmask_b32 v0, v0, v152 :: v_dual_cndmask_b32 v1, v1, v153
	s_waitcnt lgkmcnt(0)
	v_dual_cndmask_b32 v2, v2, v154 :: v_dual_cndmask_b32 v3, v3, v155
	s_getpc_b64 s[18:19]
	s_add_u32 s18, s18, _ZZZZN2at6native31launch_logcumsumexp_cuda_kernelERKNS_10TensorBaseES3_lENKUlvE_clEvENKUlvE1_clEvENKUlN3c107complexIdEES8_E_clES8_S8_@rel32@lo+4
	s_addc_u32 s19, s19, _ZZZZN2at6native31launch_logcumsumexp_cuda_kernelERKNS_10TensorBaseES3_lENKUlvE_clEvENKUlvE1_clEvENKUlN3c107complexIdEES8_E_clES8_S8_@rel32@hi+12
	s_delay_alu instid0(SALU_CYCLE_1)
	s_swappc_b64 s[30:31], s[18:19]
	v_dual_mov_b32 v4, v92 :: v_dual_mov_b32 v5, v93
	v_dual_mov_b32 v6, v94 :: v_dual_mov_b32 v7, v95
	v_dual_mov_b32 v40, v0 :: v_dual_mov_b32 v41, v1
	v_dual_mov_b32 v42, v2 :: v_dual_mov_b32 v43, v3
	;;#ASMSTART
	;;#ASMEND
	s_swappc_b64 s[30:31], s[18:19]
	v_dual_mov_b32 v4, v88 :: v_dual_mov_b32 v5, v89
	v_dual_mov_b32 v6, v90 :: v_dual_mov_b32 v7, v91
	v_dual_mov_b32 v104, v0 :: v_dual_mov_b32 v105, v1
	v_dual_mov_b32 v106, v2 :: v_dual_mov_b32 v107, v3
	s_swappc_b64 s[30:31], s[18:19]
	v_dual_mov_b32 v4, v76 :: v_dual_mov_b32 v5, v77
	v_dual_mov_b32 v6, v78 :: v_dual_mov_b32 v7, v79
	v_dual_mov_b32 v108, v0 :: v_dual_mov_b32 v109, v1
	v_dual_mov_b32 v110, v2 :: v_dual_mov_b32 v111, v3
	;; [unrolled: 5-line block ×6, first 2 shown]
	s_swappc_b64 s[30:31], s[18:19]
	v_dual_mov_b32 v144, v0 :: v_dual_mov_b32 v145, v1
	v_dual_mov_b32 v146, v2 :: v_dual_mov_b32 v147, v3
.LBB233_116:
	s_or_b32 exec_lo, exec_lo, s20
	s_delay_alu instid0(SALU_CYCLE_1)
	s_mov_b32 s0, exec_lo
	v_cmpx_eq_u32_e32 0xff, v156
	s_cbranch_execz .LBB233_118
; %bb.117:
	s_waitcnt lgkmcnt(2)
	v_dual_mov_b32 v0, 0 :: v_dual_mov_b32 v1, 2
	global_store_b128 v0, v[144:147], s[46:47] offset:512
	s_waitcnt lgkmcnt(0)
	s_waitcnt_vscnt null, 0x0
	buffer_gl1_inv
	buffer_gl0_inv
	global_store_b8 v0, v1, s[28:29] offset:32
.LBB233_118:
	s_or_b32 exec_lo, exec_lo, s0
	v_dual_mov_b32 v149, v41 :: v_dual_mov_b32 v148, v40
	v_dual_mov_b32 v151, v43 :: v_dual_mov_b32 v150, v42
.LBB233_119:
	s_add_u32 s0, s24, s22
	s_waitcnt lgkmcnt(0)
	v_lshlrev_b32_e32 v1, 7, v156
	v_lshrrev_b32_e32 v0, 5, v156
	s_addc_u32 s1, s25, s23
	s_add_u32 s0, s0, s26
	s_addc_u32 s1, s1, s27
	s_and_b32 vcc_lo, exec_lo, s35
	s_mov_b32 s2, -1
	s_waitcnt_vscnt null, 0x0
	s_barrier
	buffer_gl0_inv
	s_cbranch_vccz .LBB233_121
; %bb.120:
	v_lshl_add_u32 v2, v157, 4, v1
	v_lshrrev_b32_e32 v10, 5, v163
	v_lshrrev_b32_e32 v11, 5, v162
	v_lshrrev_b32_e32 v12, 5, v161
	v_lshrrev_b32_e32 v13, 5, v160
	ds_store_b128 v2, v[148:151]
	ds_store_b128 v2, v[104:107] offset:16
	ds_store_b128 v2, v[108:111] offset:32
	;; [unrolled: 1-line block ×7, first 2 shown]
	v_lshrrev_b32_e32 v2, 5, v164
	v_lshrrev_b32_e32 v26, 5, v159
	v_add_lshl_u32 v3, v0, v156, 4
	v_add_lshl_u32 v10, v10, v156, 4
	v_lshrrev_b32_e32 v27, 5, v158
	v_add_lshl_u32 v6, v2, v156, 4
	v_add_lshl_u32 v14, v11, v156, 4
	;; [unrolled: 1-line block ×5, first 2 shown]
	s_waitcnt lgkmcnt(0)
	s_barrier
	buffer_gl0_inv
	ds_load_b128 v[2:5], v3
	ds_load_b128 v[6:9], v6 offset:4096
	ds_load_b128 v[10:13], v10 offset:8192
	;; [unrolled: 1-line block ×5, first 2 shown]
	v_add_lshl_u32 v30, v27, v156, 4
	v_add_co_u32 v38, s2, s0, v165
	ds_load_b128 v[26:29], v26 offset:24576
	ds_load_b128 v[30:33], v30 offset:28672
	v_add_co_ci_u32_e64 v39, null, s1, 0, s2
	v_add_co_u32 v34, vcc_lo, v38, 0x2000
	s_mov_b32 s2, 0
	s_delay_alu instid0(VALU_DEP_2)
	v_add_co_ci_u32_e32 v35, vcc_lo, 0, v39, vcc_lo
	v_add_co_u32 v36, vcc_lo, v38, 0x4000
	v_add_co_ci_u32_e32 v37, vcc_lo, 0, v39, vcc_lo
	s_waitcnt lgkmcnt(5)
	global_store_b128 v[34:35], v[10:13], off
	s_waitcnt lgkmcnt(4)
	global_store_b128 v[36:37], v[14:17], off offset:-4096
	v_add_co_u32 v10, vcc_lo, v38, 0x6000
	v_add_co_ci_u32_e32 v11, vcc_lo, 0, v39, vcc_lo
	v_add_co_u32 v12, vcc_lo, 0x7000, v38
	v_add_co_ci_u32_e32 v13, vcc_lo, 0, v39, vcc_lo
	s_waitcnt lgkmcnt(3)
	global_store_b128 v[36:37], v[18:21], off
	s_waitcnt lgkmcnt(2)
	s_clause 0x1
	global_store_b128 v[10:11], v[22:25], off offset:-4096
	global_store_b128 v165, v[2:5], s[0:1]
	s_waitcnt lgkmcnt(1)
	s_clause 0x1
	global_store_b128 v[10:11], v[26:29], off
	global_store_b128 v[34:35], v[6:9], off offset:-4096
	s_waitcnt lgkmcnt(0)
	global_store_b128 v[12:13], v[30:33], off
.LBB233_121:
	s_and_not1_b32 vcc_lo, exec_lo, s2
	s_cbranch_vccnz .LBB233_131
; %bb.122:
	v_lshrrev_b32_e32 v8, 5, v163
	v_lshl_add_u32 v1, v157, 4, v1
	v_lshrrev_b32_e32 v2, 5, v164
	v_lshrrev_b32_e32 v9, 5, v162
	;; [unrolled: 1-line block ×6, first 2 shown]
	v_add_lshl_u32 v0, v0, v156, 4
	v_add_lshl_u32 v8, v8, v156, 4
	ds_store_b128 v1, v[148:151]
	ds_store_b128 v1, v[104:107] offset:16
	ds_store_b128 v1, v[108:111] offset:32
	;; [unrolled: 1-line block ×7, first 2 shown]
	v_add_lshl_u32 v1, v2, v156, 4
	v_add_lshl_u32 v14, v9, v156, 4
	;; [unrolled: 1-line block ×6, first 2 shown]
	s_waitcnt lgkmcnt(0)
	s_waitcnt_vscnt null, 0x0
	s_barrier
	buffer_gl0_inv
	ds_load_b128 v[4:7], v0
	ds_load_b128 v[0:3], v1 offset:4096
	ds_load_b128 v[8:11], v8 offset:8192
	;; [unrolled: 1-line block ×7, first 2 shown]
	v_add_co_u32 v32, s0, s0, v165
	v_mov_b32_e32 v157, 0
	v_add_co_ci_u32_e64 v33, null, s1, 0, s0
	s_mov_b32 s0, exec_lo
	v_cmpx_gt_u32_e64 s33, v156
	s_cbranch_execnz .LBB233_132
; %bb.123:
	s_or_b32 exec_lo, exec_lo, s0
	s_delay_alu instid0(SALU_CYCLE_1)
	s_mov_b32 s0, exec_lo
	v_cmpx_gt_u32_e64 s33, v164
	s_cbranch_execnz .LBB233_133
.LBB233_124:
	s_or_b32 exec_lo, exec_lo, s0
	s_delay_alu instid0(SALU_CYCLE_1)
	s_mov_b32 s0, exec_lo
	v_cmpx_gt_u32_e64 s33, v163
	s_cbranch_execnz .LBB233_134
.LBB233_125:
	s_or_b32 exec_lo, exec_lo, s0
	s_delay_alu instid0(SALU_CYCLE_1)
	s_mov_b32 s0, exec_lo
	v_cmpx_gt_u32_e64 s33, v162
	s_cbranch_execnz .LBB233_135
.LBB233_126:
	s_or_b32 exec_lo, exec_lo, s0
	s_delay_alu instid0(SALU_CYCLE_1)
	s_mov_b32 s0, exec_lo
	v_cmpx_gt_u32_e64 s33, v161
	s_cbranch_execnz .LBB233_136
.LBB233_127:
	s_or_b32 exec_lo, exec_lo, s0
	s_delay_alu instid0(SALU_CYCLE_1)
	s_mov_b32 s0, exec_lo
	v_cmpx_gt_u32_e64 s33, v160
	s_cbranch_execnz .LBB233_137
.LBB233_128:
	s_or_b32 exec_lo, exec_lo, s0
	s_delay_alu instid0(SALU_CYCLE_1)
	s_mov_b32 s0, exec_lo
	v_cmpx_gt_u32_e64 s33, v159
	s_cbranch_execnz .LBB233_138
.LBB233_129:
	s_or_b32 exec_lo, exec_lo, s0
	s_delay_alu instid0(SALU_CYCLE_1)
	s_mov_b32 s0, exec_lo
	v_cmpx_gt_u32_e64 s33, v158
	s_cbranch_execnz .LBB233_139
.LBB233_130:
	s_or_b32 exec_lo, exec_lo, s0
	v_cmp_lt_u64_e64 s0, s[42:43], 2
	s_delay_alu instid0(VALU_DEP_1)
	s_and_b32 vcc_lo, exec_lo, s0
	s_cbranch_vccz .LBB233_140
.LBB233_131:
	s_nop 0
	s_sendmsg sendmsg(MSG_DEALLOC_VGPRS)
	s_endpgm
.LBB233_132:
	s_waitcnt lgkmcnt(7)
	global_store_b128 v[32:33], v[4:7], off
	s_or_b32 exec_lo, exec_lo, s0
	s_delay_alu instid0(SALU_CYCLE_1)
	s_mov_b32 s0, exec_lo
	v_cmpx_gt_u32_e64 s33, v164
	s_cbranch_execz .LBB233_124
.LBB233_133:
	v_add_co_u32 v34, vcc_lo, 0x1000, v32
	v_add_co_ci_u32_e32 v35, vcc_lo, 0, v33, vcc_lo
	s_waitcnt lgkmcnt(6)
	global_store_b128 v[34:35], v[0:3], off
	s_or_b32 exec_lo, exec_lo, s0
	s_delay_alu instid0(SALU_CYCLE_1)
	s_mov_b32 s0, exec_lo
	v_cmpx_gt_u32_e64 s33, v163
	s_cbranch_execz .LBB233_125
.LBB233_134:
	v_add_co_u32 v34, vcc_lo, 0x2000, v32
	v_add_co_ci_u32_e32 v35, vcc_lo, 0, v33, vcc_lo
	s_waitcnt lgkmcnt(5)
	global_store_b128 v[34:35], v[8:11], off
	s_or_b32 exec_lo, exec_lo, s0
	s_delay_alu instid0(SALU_CYCLE_1)
	s_mov_b32 s0, exec_lo
	v_cmpx_gt_u32_e64 s33, v162
	s_cbranch_execz .LBB233_126
.LBB233_135:
	v_add_co_u32 v34, vcc_lo, 0x3000, v32
	v_add_co_ci_u32_e32 v35, vcc_lo, 0, v33, vcc_lo
	s_waitcnt lgkmcnt(4)
	global_store_b128 v[34:35], v[12:15], off
	s_or_b32 exec_lo, exec_lo, s0
	s_delay_alu instid0(SALU_CYCLE_1)
	s_mov_b32 s0, exec_lo
	v_cmpx_gt_u32_e64 s33, v161
	s_cbranch_execz .LBB233_127
.LBB233_136:
	v_add_co_u32 v34, vcc_lo, 0x4000, v32
	v_add_co_ci_u32_e32 v35, vcc_lo, 0, v33, vcc_lo
	s_waitcnt lgkmcnt(3)
	global_store_b128 v[34:35], v[16:19], off
	s_or_b32 exec_lo, exec_lo, s0
	s_delay_alu instid0(SALU_CYCLE_1)
	s_mov_b32 s0, exec_lo
	v_cmpx_gt_u32_e64 s33, v160
	s_cbranch_execz .LBB233_128
.LBB233_137:
	v_add_co_u32 v34, vcc_lo, 0x5000, v32
	v_add_co_ci_u32_e32 v35, vcc_lo, 0, v33, vcc_lo
	s_waitcnt lgkmcnt(2)
	global_store_b128 v[34:35], v[20:23], off
	s_or_b32 exec_lo, exec_lo, s0
	s_delay_alu instid0(SALU_CYCLE_1)
	s_mov_b32 s0, exec_lo
	v_cmpx_gt_u32_e64 s33, v159
	s_cbranch_execz .LBB233_129
.LBB233_138:
	v_add_co_u32 v34, vcc_lo, 0x6000, v32
	v_add_co_ci_u32_e32 v35, vcc_lo, 0, v33, vcc_lo
	s_waitcnt lgkmcnt(1)
	global_store_b128 v[34:35], v[24:27], off
	s_or_b32 exec_lo, exec_lo, s0
	s_delay_alu instid0(SALU_CYCLE_1)
	s_mov_b32 s0, exec_lo
	v_cmpx_gt_u32_e64 s33, v158
	s_cbranch_execz .LBB233_130
.LBB233_139:
	v_add_co_u32 v32, vcc_lo, 0x7000, v32
	v_add_co_ci_u32_e32 v33, vcc_lo, 0, v33, vcc_lo
	s_waitcnt lgkmcnt(0)
	global_store_b128 v[32:33], v[28:31], off
	s_or_b32 exec_lo, exec_lo, s0
	v_cmp_lt_u64_e64 s0, s[42:43], 2
	s_delay_alu instid0(VALU_DEP_1)
	s_and_b32 vcc_lo, exec_lo, s0
	s_cbranch_vccnz .LBB233_131
.LBB233_140:
	s_add_u32 s0, s33, -1
	s_addc_u32 s1, s34, -1
	s_delay_alu instid0(SALU_CYCLE_1)
	s_lshr_b64 s[2:3], s[0:1], 3
	s_mov_b32 s1, exec_lo
	v_cmpx_eq_u64_e64 s[2:3], v[156:157]
	s_cbranch_execz .LBB233_131
; %bb.141:
	s_and_b32 s0, s0, 7
	s_mov_b32 s1, 0
	s_delay_alu instid0(SALU_CYCLE_1) | instskip(NEXT) | instid1(VALU_DEP_1)
	v_cmp_lt_i64_e64 s2, s[0:1], 4
	s_and_b32 vcc_lo, exec_lo, s2
	s_mov_b32 s2, -1
	s_cbranch_vccnz .LBB233_154
; %bb.142:
	v_cmp_lt_i64_e64 s2, s[0:1], 6
	s_delay_alu instid0(VALU_DEP_1)
	s_and_b32 vcc_lo, exec_lo, s2
	s_mov_b32 s2, -1
	s_cbranch_vccnz .LBB233_148
; %bb.143:
	v_cmp_gt_i64_e64 s2, s[0:1], 6
	s_delay_alu instid0(VALU_DEP_1)
	s_and_b32 vcc_lo, exec_lo, s2
	s_mov_b32 s2, -1
	s_cbranch_vccz .LBB233_145
; %bb.144:
	v_mov_b32_e32 v32, 0
	s_mov_b32 s2, 0
	s_waitcnt lgkmcnt(0)
	global_store_b128 v32, v[28:31], s[38:39]
.LBB233_145:
	s_and_not1_b32 vcc_lo, exec_lo, s2
	s_cbranch_vccnz .LBB233_147
; %bb.146:
	s_waitcnt lgkmcnt(0)
	v_mov_b32_e32 v28, 0
	global_store_b128 v28, v[24:27], s[38:39]
.LBB233_147:
	s_mov_b32 s2, 0
.LBB233_148:
	s_delay_alu instid0(SALU_CYCLE_1)
	s_and_not1_b32 vcc_lo, exec_lo, s2
	s_cbranch_vccnz .LBB233_153
; %bb.149:
	v_cmp_gt_i64_e64 s2, s[0:1], 4
	s_delay_alu instid0(VALU_DEP_1)
	s_and_b32 vcc_lo, exec_lo, s2
	s_mov_b32 s2, -1
	s_cbranch_vccz .LBB233_151
; %bb.150:
	s_waitcnt lgkmcnt(1)
	v_mov_b32_e32 v24, 0
	s_mov_b32 s2, 0
	global_store_b128 v24, v[20:23], s[38:39]
.LBB233_151:
	s_and_not1_b32 vcc_lo, exec_lo, s2
	s_cbranch_vccnz .LBB233_153
; %bb.152:
	s_waitcnt lgkmcnt(2)
	v_mov_b32_e32 v20, 0
	global_store_b128 v20, v[16:19], s[38:39]
.LBB233_153:
	s_mov_b32 s2, 0
.LBB233_154:
	s_delay_alu instid0(SALU_CYCLE_1)
	s_and_not1_b32 vcc_lo, exec_lo, s2
	s_cbranch_vccnz .LBB233_131
; %bb.155:
	v_cmp_lt_i64_e64 s2, s[0:1], 2
	s_delay_alu instid0(VALU_DEP_1)
	s_and_b32 vcc_lo, exec_lo, s2
	s_mov_b32 s2, -1
	s_cbranch_vccnz .LBB233_161
; %bb.156:
	v_cmp_gt_i64_e64 s2, s[0:1], 2
	s_delay_alu instid0(VALU_DEP_1)
	s_and_b32 vcc_lo, exec_lo, s2
	s_mov_b32 s2, -1
	s_cbranch_vccz .LBB233_158
; %bb.157:
	s_waitcnt lgkmcnt(3)
	v_mov_b32_e32 v16, 0
	s_mov_b32 s2, 0
	global_store_b128 v16, v[12:15], s[38:39]
.LBB233_158:
	s_and_not1_b32 vcc_lo, exec_lo, s2
	s_cbranch_vccnz .LBB233_160
; %bb.159:
	s_waitcnt lgkmcnt(4)
	v_mov_b32_e32 v12, 0
	global_store_b128 v12, v[8:11], s[38:39]
.LBB233_160:
	s_mov_b32 s2, 0
.LBB233_161:
	s_delay_alu instid0(SALU_CYCLE_1)
	s_and_not1_b32 vcc_lo, exec_lo, s2
	s_cbranch_vccnz .LBB233_131
; %bb.162:
	s_cmp_eq_u64 s[0:1], 1
	s_mov_b32 s0, -1
	s_cbranch_scc1 .LBB233_164
; %bb.163:
	s_waitcnt lgkmcnt(5)
	v_mov_b32_e32 v8, 0
	s_mov_b32 s0, 0
	global_store_b128 v8, v[4:7], s[38:39]
.LBB233_164:
	s_and_not1_b32 vcc_lo, exec_lo, s0
	s_cbranch_vccnz .LBB233_131
; %bb.165:
	s_waitcnt lgkmcnt(7)
	v_mov_b32_e32 v4, 0
	s_waitcnt lgkmcnt(6)
	global_store_b128 v4, v[0:3], s[38:39]
	s_nop 0
	s_sendmsg sendmsg(MSG_DEALLOC_VGPRS)
	s_endpgm
	.section	.rodata,"a",@progbits
	.p2align	6, 0x0
	.amdhsa_kernel _ZN7rocprim17ROCPRIM_400000_NS6detail17trampoline_kernelINS0_14default_configENS1_20scan_config_selectorIN3c107complexIdEEEEZZNS1_9scan_implILNS1_25lookback_scan_determinismE0ELb0ELb0ES3_PKS7_PS7_S7_ZZZN2at6native31launch_logcumsumexp_cuda_kernelERKNSE_10TensorBaseESI_lENKUlvE_clEvENKUlvE1_clEvEUlS7_S7_E_S7_EEDaPvRmT3_T4_T5_mT6_P12ihipStream_tbENKUlT_T0_E_clISt17integral_constantIbLb1EESY_IbLb0EEEEDaSU_SV_EUlSU_E_NS1_11comp_targetILNS1_3genE9ELNS1_11target_archE1100ELNS1_3gpuE3ELNS1_3repE0EEENS1_30default_config_static_selectorELNS0_4arch9wavefront6targetE0EEEvT1_
		.amdhsa_group_segment_fixed_size 33792
		.amdhsa_private_segment_fixed_size 0
		.amdhsa_kernarg_size 128
		.amdhsa_user_sgpr_count 15
		.amdhsa_user_sgpr_dispatch_ptr 0
		.amdhsa_user_sgpr_queue_ptr 0
		.amdhsa_user_sgpr_kernarg_segment_ptr 1
		.amdhsa_user_sgpr_dispatch_id 0
		.amdhsa_user_sgpr_private_segment_size 0
		.amdhsa_wavefront_size32 1
		.amdhsa_uses_dynamic_stack 0
		.amdhsa_enable_private_segment 0
		.amdhsa_system_sgpr_workgroup_id_x 1
		.amdhsa_system_sgpr_workgroup_id_y 0
		.amdhsa_system_sgpr_workgroup_id_z 0
		.amdhsa_system_sgpr_workgroup_info 0
		.amdhsa_system_vgpr_workitem_id 0
		.amdhsa_next_free_vgpr 168
		.amdhsa_next_free_sgpr 48
		.amdhsa_reserve_vcc 1
		.amdhsa_float_round_mode_32 0
		.amdhsa_float_round_mode_16_64 0
		.amdhsa_float_denorm_mode_32 3
		.amdhsa_float_denorm_mode_16_64 3
		.amdhsa_dx10_clamp 1
		.amdhsa_ieee_mode 1
		.amdhsa_fp16_overflow 0
		.amdhsa_workgroup_processor_mode 1
		.amdhsa_memory_ordered 1
		.amdhsa_forward_progress 0
		.amdhsa_shared_vgpr_count 0
		.amdhsa_exception_fp_ieee_invalid_op 0
		.amdhsa_exception_fp_denorm_src 0
		.amdhsa_exception_fp_ieee_div_zero 0
		.amdhsa_exception_fp_ieee_overflow 0
		.amdhsa_exception_fp_ieee_underflow 0
		.amdhsa_exception_fp_ieee_inexact 0
		.amdhsa_exception_int_div_zero 0
	.end_amdhsa_kernel
	.section	.text._ZN7rocprim17ROCPRIM_400000_NS6detail17trampoline_kernelINS0_14default_configENS1_20scan_config_selectorIN3c107complexIdEEEEZZNS1_9scan_implILNS1_25lookback_scan_determinismE0ELb0ELb0ES3_PKS7_PS7_S7_ZZZN2at6native31launch_logcumsumexp_cuda_kernelERKNSE_10TensorBaseESI_lENKUlvE_clEvENKUlvE1_clEvEUlS7_S7_E_S7_EEDaPvRmT3_T4_T5_mT6_P12ihipStream_tbENKUlT_T0_E_clISt17integral_constantIbLb1EESY_IbLb0EEEEDaSU_SV_EUlSU_E_NS1_11comp_targetILNS1_3genE9ELNS1_11target_archE1100ELNS1_3gpuE3ELNS1_3repE0EEENS1_30default_config_static_selectorELNS0_4arch9wavefront6targetE0EEEvT1_,"axG",@progbits,_ZN7rocprim17ROCPRIM_400000_NS6detail17trampoline_kernelINS0_14default_configENS1_20scan_config_selectorIN3c107complexIdEEEEZZNS1_9scan_implILNS1_25lookback_scan_determinismE0ELb0ELb0ES3_PKS7_PS7_S7_ZZZN2at6native31launch_logcumsumexp_cuda_kernelERKNSE_10TensorBaseESI_lENKUlvE_clEvENKUlvE1_clEvEUlS7_S7_E_S7_EEDaPvRmT3_T4_T5_mT6_P12ihipStream_tbENKUlT_T0_E_clISt17integral_constantIbLb1EESY_IbLb0EEEEDaSU_SV_EUlSU_E_NS1_11comp_targetILNS1_3genE9ELNS1_11target_archE1100ELNS1_3gpuE3ELNS1_3repE0EEENS1_30default_config_static_selectorELNS0_4arch9wavefront6targetE0EEEvT1_,comdat
.Lfunc_end233:
	.size	_ZN7rocprim17ROCPRIM_400000_NS6detail17trampoline_kernelINS0_14default_configENS1_20scan_config_selectorIN3c107complexIdEEEEZZNS1_9scan_implILNS1_25lookback_scan_determinismE0ELb0ELb0ES3_PKS7_PS7_S7_ZZZN2at6native31launch_logcumsumexp_cuda_kernelERKNSE_10TensorBaseESI_lENKUlvE_clEvENKUlvE1_clEvEUlS7_S7_E_S7_EEDaPvRmT3_T4_T5_mT6_P12ihipStream_tbENKUlT_T0_E_clISt17integral_constantIbLb1EESY_IbLb0EEEEDaSU_SV_EUlSU_E_NS1_11comp_targetILNS1_3genE9ELNS1_11target_archE1100ELNS1_3gpuE3ELNS1_3repE0EEENS1_30default_config_static_selectorELNS0_4arch9wavefront6targetE0EEEvT1_, .Lfunc_end233-_ZN7rocprim17ROCPRIM_400000_NS6detail17trampoline_kernelINS0_14default_configENS1_20scan_config_selectorIN3c107complexIdEEEEZZNS1_9scan_implILNS1_25lookback_scan_determinismE0ELb0ELb0ES3_PKS7_PS7_S7_ZZZN2at6native31launch_logcumsumexp_cuda_kernelERKNSE_10TensorBaseESI_lENKUlvE_clEvENKUlvE1_clEvEUlS7_S7_E_S7_EEDaPvRmT3_T4_T5_mT6_P12ihipStream_tbENKUlT_T0_E_clISt17integral_constantIbLb1EESY_IbLb0EEEEDaSU_SV_EUlSU_E_NS1_11comp_targetILNS1_3genE9ELNS1_11target_archE1100ELNS1_3gpuE3ELNS1_3repE0EEENS1_30default_config_static_selectorELNS0_4arch9wavefront6targetE0EEEvT1_
                                        ; -- End function
	.section	.AMDGPU.csdata,"",@progbits
; Kernel info:
; codeLenInByte = 9324
; NumSgprs: 50
; NumVgprs: 168
; ScratchSize: 0
; MemoryBound: 1
; FloatMode: 240
; IeeeMode: 1
; LDSByteSize: 33792 bytes/workgroup (compile time only)
; SGPRBlocks: 6
; VGPRBlocks: 20
; NumSGPRsForWavesPerEU: 50
; NumVGPRsForWavesPerEU: 168
; Occupancy: 6
; WaveLimiterHint : 0
; COMPUTE_PGM_RSRC2:SCRATCH_EN: 0
; COMPUTE_PGM_RSRC2:USER_SGPR: 15
; COMPUTE_PGM_RSRC2:TRAP_HANDLER: 0
; COMPUTE_PGM_RSRC2:TGID_X_EN: 1
; COMPUTE_PGM_RSRC2:TGID_Y_EN: 0
; COMPUTE_PGM_RSRC2:TGID_Z_EN: 0
; COMPUTE_PGM_RSRC2:TIDIG_COMP_CNT: 0
	.section	.text._ZN7rocprim17ROCPRIM_400000_NS6detail17trampoline_kernelINS0_14default_configENS1_20scan_config_selectorIN3c107complexIdEEEEZZNS1_9scan_implILNS1_25lookback_scan_determinismE0ELb0ELb0ES3_PKS7_PS7_S7_ZZZN2at6native31launch_logcumsumexp_cuda_kernelERKNSE_10TensorBaseESI_lENKUlvE_clEvENKUlvE1_clEvEUlS7_S7_E_S7_EEDaPvRmT3_T4_T5_mT6_P12ihipStream_tbENKUlT_T0_E_clISt17integral_constantIbLb1EESY_IbLb0EEEEDaSU_SV_EUlSU_E_NS1_11comp_targetILNS1_3genE8ELNS1_11target_archE1030ELNS1_3gpuE2ELNS1_3repE0EEENS1_30default_config_static_selectorELNS0_4arch9wavefront6targetE0EEEvT1_,"axG",@progbits,_ZN7rocprim17ROCPRIM_400000_NS6detail17trampoline_kernelINS0_14default_configENS1_20scan_config_selectorIN3c107complexIdEEEEZZNS1_9scan_implILNS1_25lookback_scan_determinismE0ELb0ELb0ES3_PKS7_PS7_S7_ZZZN2at6native31launch_logcumsumexp_cuda_kernelERKNSE_10TensorBaseESI_lENKUlvE_clEvENKUlvE1_clEvEUlS7_S7_E_S7_EEDaPvRmT3_T4_T5_mT6_P12ihipStream_tbENKUlT_T0_E_clISt17integral_constantIbLb1EESY_IbLb0EEEEDaSU_SV_EUlSU_E_NS1_11comp_targetILNS1_3genE8ELNS1_11target_archE1030ELNS1_3gpuE2ELNS1_3repE0EEENS1_30default_config_static_selectorELNS0_4arch9wavefront6targetE0EEEvT1_,comdat
	.globl	_ZN7rocprim17ROCPRIM_400000_NS6detail17trampoline_kernelINS0_14default_configENS1_20scan_config_selectorIN3c107complexIdEEEEZZNS1_9scan_implILNS1_25lookback_scan_determinismE0ELb0ELb0ES3_PKS7_PS7_S7_ZZZN2at6native31launch_logcumsumexp_cuda_kernelERKNSE_10TensorBaseESI_lENKUlvE_clEvENKUlvE1_clEvEUlS7_S7_E_S7_EEDaPvRmT3_T4_T5_mT6_P12ihipStream_tbENKUlT_T0_E_clISt17integral_constantIbLb1EESY_IbLb0EEEEDaSU_SV_EUlSU_E_NS1_11comp_targetILNS1_3genE8ELNS1_11target_archE1030ELNS1_3gpuE2ELNS1_3repE0EEENS1_30default_config_static_selectorELNS0_4arch9wavefront6targetE0EEEvT1_ ; -- Begin function _ZN7rocprim17ROCPRIM_400000_NS6detail17trampoline_kernelINS0_14default_configENS1_20scan_config_selectorIN3c107complexIdEEEEZZNS1_9scan_implILNS1_25lookback_scan_determinismE0ELb0ELb0ES3_PKS7_PS7_S7_ZZZN2at6native31launch_logcumsumexp_cuda_kernelERKNSE_10TensorBaseESI_lENKUlvE_clEvENKUlvE1_clEvEUlS7_S7_E_S7_EEDaPvRmT3_T4_T5_mT6_P12ihipStream_tbENKUlT_T0_E_clISt17integral_constantIbLb1EESY_IbLb0EEEEDaSU_SV_EUlSU_E_NS1_11comp_targetILNS1_3genE8ELNS1_11target_archE1030ELNS1_3gpuE2ELNS1_3repE0EEENS1_30default_config_static_selectorELNS0_4arch9wavefront6targetE0EEEvT1_
	.p2align	8
	.type	_ZN7rocprim17ROCPRIM_400000_NS6detail17trampoline_kernelINS0_14default_configENS1_20scan_config_selectorIN3c107complexIdEEEEZZNS1_9scan_implILNS1_25lookback_scan_determinismE0ELb0ELb0ES3_PKS7_PS7_S7_ZZZN2at6native31launch_logcumsumexp_cuda_kernelERKNSE_10TensorBaseESI_lENKUlvE_clEvENKUlvE1_clEvEUlS7_S7_E_S7_EEDaPvRmT3_T4_T5_mT6_P12ihipStream_tbENKUlT_T0_E_clISt17integral_constantIbLb1EESY_IbLb0EEEEDaSU_SV_EUlSU_E_NS1_11comp_targetILNS1_3genE8ELNS1_11target_archE1030ELNS1_3gpuE2ELNS1_3repE0EEENS1_30default_config_static_selectorELNS0_4arch9wavefront6targetE0EEEvT1_,@function
_ZN7rocprim17ROCPRIM_400000_NS6detail17trampoline_kernelINS0_14default_configENS1_20scan_config_selectorIN3c107complexIdEEEEZZNS1_9scan_implILNS1_25lookback_scan_determinismE0ELb0ELb0ES3_PKS7_PS7_S7_ZZZN2at6native31launch_logcumsumexp_cuda_kernelERKNSE_10TensorBaseESI_lENKUlvE_clEvENKUlvE1_clEvEUlS7_S7_E_S7_EEDaPvRmT3_T4_T5_mT6_P12ihipStream_tbENKUlT_T0_E_clISt17integral_constantIbLb1EESY_IbLb0EEEEDaSU_SV_EUlSU_E_NS1_11comp_targetILNS1_3genE8ELNS1_11target_archE1030ELNS1_3gpuE2ELNS1_3repE0EEENS1_30default_config_static_selectorELNS0_4arch9wavefront6targetE0EEEvT1_: ; @_ZN7rocprim17ROCPRIM_400000_NS6detail17trampoline_kernelINS0_14default_configENS1_20scan_config_selectorIN3c107complexIdEEEEZZNS1_9scan_implILNS1_25lookback_scan_determinismE0ELb0ELb0ES3_PKS7_PS7_S7_ZZZN2at6native31launch_logcumsumexp_cuda_kernelERKNSE_10TensorBaseESI_lENKUlvE_clEvENKUlvE1_clEvEUlS7_S7_E_S7_EEDaPvRmT3_T4_T5_mT6_P12ihipStream_tbENKUlT_T0_E_clISt17integral_constantIbLb1EESY_IbLb0EEEEDaSU_SV_EUlSU_E_NS1_11comp_targetILNS1_3genE8ELNS1_11target_archE1030ELNS1_3gpuE2ELNS1_3repE0EEENS1_30default_config_static_selectorELNS0_4arch9wavefront6targetE0EEEvT1_
; %bb.0:
	.section	.rodata,"a",@progbits
	.p2align	6, 0x0
	.amdhsa_kernel _ZN7rocprim17ROCPRIM_400000_NS6detail17trampoline_kernelINS0_14default_configENS1_20scan_config_selectorIN3c107complexIdEEEEZZNS1_9scan_implILNS1_25lookback_scan_determinismE0ELb0ELb0ES3_PKS7_PS7_S7_ZZZN2at6native31launch_logcumsumexp_cuda_kernelERKNSE_10TensorBaseESI_lENKUlvE_clEvENKUlvE1_clEvEUlS7_S7_E_S7_EEDaPvRmT3_T4_T5_mT6_P12ihipStream_tbENKUlT_T0_E_clISt17integral_constantIbLb1EESY_IbLb0EEEEDaSU_SV_EUlSU_E_NS1_11comp_targetILNS1_3genE8ELNS1_11target_archE1030ELNS1_3gpuE2ELNS1_3repE0EEENS1_30default_config_static_selectorELNS0_4arch9wavefront6targetE0EEEvT1_
		.amdhsa_group_segment_fixed_size 0
		.amdhsa_private_segment_fixed_size 0
		.amdhsa_kernarg_size 128
		.amdhsa_user_sgpr_count 15
		.amdhsa_user_sgpr_dispatch_ptr 0
		.amdhsa_user_sgpr_queue_ptr 0
		.amdhsa_user_sgpr_kernarg_segment_ptr 1
		.amdhsa_user_sgpr_dispatch_id 0
		.amdhsa_user_sgpr_private_segment_size 0
		.amdhsa_wavefront_size32 1
		.amdhsa_uses_dynamic_stack 0
		.amdhsa_enable_private_segment 0
		.amdhsa_system_sgpr_workgroup_id_x 1
		.amdhsa_system_sgpr_workgroup_id_y 0
		.amdhsa_system_sgpr_workgroup_id_z 0
		.amdhsa_system_sgpr_workgroup_info 0
		.amdhsa_system_vgpr_workitem_id 0
		.amdhsa_next_free_vgpr 1
		.amdhsa_next_free_sgpr 1
		.amdhsa_reserve_vcc 0
		.amdhsa_float_round_mode_32 0
		.amdhsa_float_round_mode_16_64 0
		.amdhsa_float_denorm_mode_32 3
		.amdhsa_float_denorm_mode_16_64 3
		.amdhsa_dx10_clamp 1
		.amdhsa_ieee_mode 1
		.amdhsa_fp16_overflow 0
		.amdhsa_workgroup_processor_mode 1
		.amdhsa_memory_ordered 1
		.amdhsa_forward_progress 0
		.amdhsa_shared_vgpr_count 0
		.amdhsa_exception_fp_ieee_invalid_op 0
		.amdhsa_exception_fp_denorm_src 0
		.amdhsa_exception_fp_ieee_div_zero 0
		.amdhsa_exception_fp_ieee_overflow 0
		.amdhsa_exception_fp_ieee_underflow 0
		.amdhsa_exception_fp_ieee_inexact 0
		.amdhsa_exception_int_div_zero 0
	.end_amdhsa_kernel
	.section	.text._ZN7rocprim17ROCPRIM_400000_NS6detail17trampoline_kernelINS0_14default_configENS1_20scan_config_selectorIN3c107complexIdEEEEZZNS1_9scan_implILNS1_25lookback_scan_determinismE0ELb0ELb0ES3_PKS7_PS7_S7_ZZZN2at6native31launch_logcumsumexp_cuda_kernelERKNSE_10TensorBaseESI_lENKUlvE_clEvENKUlvE1_clEvEUlS7_S7_E_S7_EEDaPvRmT3_T4_T5_mT6_P12ihipStream_tbENKUlT_T0_E_clISt17integral_constantIbLb1EESY_IbLb0EEEEDaSU_SV_EUlSU_E_NS1_11comp_targetILNS1_3genE8ELNS1_11target_archE1030ELNS1_3gpuE2ELNS1_3repE0EEENS1_30default_config_static_selectorELNS0_4arch9wavefront6targetE0EEEvT1_,"axG",@progbits,_ZN7rocprim17ROCPRIM_400000_NS6detail17trampoline_kernelINS0_14default_configENS1_20scan_config_selectorIN3c107complexIdEEEEZZNS1_9scan_implILNS1_25lookback_scan_determinismE0ELb0ELb0ES3_PKS7_PS7_S7_ZZZN2at6native31launch_logcumsumexp_cuda_kernelERKNSE_10TensorBaseESI_lENKUlvE_clEvENKUlvE1_clEvEUlS7_S7_E_S7_EEDaPvRmT3_T4_T5_mT6_P12ihipStream_tbENKUlT_T0_E_clISt17integral_constantIbLb1EESY_IbLb0EEEEDaSU_SV_EUlSU_E_NS1_11comp_targetILNS1_3genE8ELNS1_11target_archE1030ELNS1_3gpuE2ELNS1_3repE0EEENS1_30default_config_static_selectorELNS0_4arch9wavefront6targetE0EEEvT1_,comdat
.Lfunc_end234:
	.size	_ZN7rocprim17ROCPRIM_400000_NS6detail17trampoline_kernelINS0_14default_configENS1_20scan_config_selectorIN3c107complexIdEEEEZZNS1_9scan_implILNS1_25lookback_scan_determinismE0ELb0ELb0ES3_PKS7_PS7_S7_ZZZN2at6native31launch_logcumsumexp_cuda_kernelERKNSE_10TensorBaseESI_lENKUlvE_clEvENKUlvE1_clEvEUlS7_S7_E_S7_EEDaPvRmT3_T4_T5_mT6_P12ihipStream_tbENKUlT_T0_E_clISt17integral_constantIbLb1EESY_IbLb0EEEEDaSU_SV_EUlSU_E_NS1_11comp_targetILNS1_3genE8ELNS1_11target_archE1030ELNS1_3gpuE2ELNS1_3repE0EEENS1_30default_config_static_selectorELNS0_4arch9wavefront6targetE0EEEvT1_, .Lfunc_end234-_ZN7rocprim17ROCPRIM_400000_NS6detail17trampoline_kernelINS0_14default_configENS1_20scan_config_selectorIN3c107complexIdEEEEZZNS1_9scan_implILNS1_25lookback_scan_determinismE0ELb0ELb0ES3_PKS7_PS7_S7_ZZZN2at6native31launch_logcumsumexp_cuda_kernelERKNSE_10TensorBaseESI_lENKUlvE_clEvENKUlvE1_clEvEUlS7_S7_E_S7_EEDaPvRmT3_T4_T5_mT6_P12ihipStream_tbENKUlT_T0_E_clISt17integral_constantIbLb1EESY_IbLb0EEEEDaSU_SV_EUlSU_E_NS1_11comp_targetILNS1_3genE8ELNS1_11target_archE1030ELNS1_3gpuE2ELNS1_3repE0EEENS1_30default_config_static_selectorELNS0_4arch9wavefront6targetE0EEEvT1_
                                        ; -- End function
	.section	.AMDGPU.csdata,"",@progbits
; Kernel info:
; codeLenInByte = 0
; NumSgprs: 0
; NumVgprs: 0
; ScratchSize: 0
; MemoryBound: 0
; FloatMode: 240
; IeeeMode: 1
; LDSByteSize: 0 bytes/workgroup (compile time only)
; SGPRBlocks: 0
; VGPRBlocks: 0
; NumSGPRsForWavesPerEU: 1
; NumVGPRsForWavesPerEU: 1
; Occupancy: 16
; WaveLimiterHint : 0
; COMPUTE_PGM_RSRC2:SCRATCH_EN: 0
; COMPUTE_PGM_RSRC2:USER_SGPR: 15
; COMPUTE_PGM_RSRC2:TRAP_HANDLER: 0
; COMPUTE_PGM_RSRC2:TGID_X_EN: 1
; COMPUTE_PGM_RSRC2:TGID_Y_EN: 0
; COMPUTE_PGM_RSRC2:TGID_Z_EN: 0
; COMPUTE_PGM_RSRC2:TIDIG_COMP_CNT: 0
	.section	.text._ZN7rocprim17ROCPRIM_400000_NS6detail17trampoline_kernelINS0_14default_configENS1_20scan_config_selectorIN3c107complexIdEEEEZZNS1_9scan_implILNS1_25lookback_scan_determinismE0ELb0ELb0ES3_PKS7_PS7_S7_ZZZN2at6native31launch_logcumsumexp_cuda_kernelERKNSE_10TensorBaseESI_lENKUlvE_clEvENKUlvE1_clEvEUlS7_S7_E_S7_EEDaPvRmT3_T4_T5_mT6_P12ihipStream_tbENKUlT_T0_E_clISt17integral_constantIbLb1EESY_IbLb0EEEEDaSU_SV_EUlSU_E0_NS1_11comp_targetILNS1_3genE0ELNS1_11target_archE4294967295ELNS1_3gpuE0ELNS1_3repE0EEENS1_30default_config_static_selectorELNS0_4arch9wavefront6targetE0EEEvT1_,"axG",@progbits,_ZN7rocprim17ROCPRIM_400000_NS6detail17trampoline_kernelINS0_14default_configENS1_20scan_config_selectorIN3c107complexIdEEEEZZNS1_9scan_implILNS1_25lookback_scan_determinismE0ELb0ELb0ES3_PKS7_PS7_S7_ZZZN2at6native31launch_logcumsumexp_cuda_kernelERKNSE_10TensorBaseESI_lENKUlvE_clEvENKUlvE1_clEvEUlS7_S7_E_S7_EEDaPvRmT3_T4_T5_mT6_P12ihipStream_tbENKUlT_T0_E_clISt17integral_constantIbLb1EESY_IbLb0EEEEDaSU_SV_EUlSU_E0_NS1_11comp_targetILNS1_3genE0ELNS1_11target_archE4294967295ELNS1_3gpuE0ELNS1_3repE0EEENS1_30default_config_static_selectorELNS0_4arch9wavefront6targetE0EEEvT1_,comdat
	.globl	_ZN7rocprim17ROCPRIM_400000_NS6detail17trampoline_kernelINS0_14default_configENS1_20scan_config_selectorIN3c107complexIdEEEEZZNS1_9scan_implILNS1_25lookback_scan_determinismE0ELb0ELb0ES3_PKS7_PS7_S7_ZZZN2at6native31launch_logcumsumexp_cuda_kernelERKNSE_10TensorBaseESI_lENKUlvE_clEvENKUlvE1_clEvEUlS7_S7_E_S7_EEDaPvRmT3_T4_T5_mT6_P12ihipStream_tbENKUlT_T0_E_clISt17integral_constantIbLb1EESY_IbLb0EEEEDaSU_SV_EUlSU_E0_NS1_11comp_targetILNS1_3genE0ELNS1_11target_archE4294967295ELNS1_3gpuE0ELNS1_3repE0EEENS1_30default_config_static_selectorELNS0_4arch9wavefront6targetE0EEEvT1_ ; -- Begin function _ZN7rocprim17ROCPRIM_400000_NS6detail17trampoline_kernelINS0_14default_configENS1_20scan_config_selectorIN3c107complexIdEEEEZZNS1_9scan_implILNS1_25lookback_scan_determinismE0ELb0ELb0ES3_PKS7_PS7_S7_ZZZN2at6native31launch_logcumsumexp_cuda_kernelERKNSE_10TensorBaseESI_lENKUlvE_clEvENKUlvE1_clEvEUlS7_S7_E_S7_EEDaPvRmT3_T4_T5_mT6_P12ihipStream_tbENKUlT_T0_E_clISt17integral_constantIbLb1EESY_IbLb0EEEEDaSU_SV_EUlSU_E0_NS1_11comp_targetILNS1_3genE0ELNS1_11target_archE4294967295ELNS1_3gpuE0ELNS1_3repE0EEENS1_30default_config_static_selectorELNS0_4arch9wavefront6targetE0EEEvT1_
	.p2align	8
	.type	_ZN7rocprim17ROCPRIM_400000_NS6detail17trampoline_kernelINS0_14default_configENS1_20scan_config_selectorIN3c107complexIdEEEEZZNS1_9scan_implILNS1_25lookback_scan_determinismE0ELb0ELb0ES3_PKS7_PS7_S7_ZZZN2at6native31launch_logcumsumexp_cuda_kernelERKNSE_10TensorBaseESI_lENKUlvE_clEvENKUlvE1_clEvEUlS7_S7_E_S7_EEDaPvRmT3_T4_T5_mT6_P12ihipStream_tbENKUlT_T0_E_clISt17integral_constantIbLb1EESY_IbLb0EEEEDaSU_SV_EUlSU_E0_NS1_11comp_targetILNS1_3genE0ELNS1_11target_archE4294967295ELNS1_3gpuE0ELNS1_3repE0EEENS1_30default_config_static_selectorELNS0_4arch9wavefront6targetE0EEEvT1_,@function
_ZN7rocprim17ROCPRIM_400000_NS6detail17trampoline_kernelINS0_14default_configENS1_20scan_config_selectorIN3c107complexIdEEEEZZNS1_9scan_implILNS1_25lookback_scan_determinismE0ELb0ELb0ES3_PKS7_PS7_S7_ZZZN2at6native31launch_logcumsumexp_cuda_kernelERKNSE_10TensorBaseESI_lENKUlvE_clEvENKUlvE1_clEvEUlS7_S7_E_S7_EEDaPvRmT3_T4_T5_mT6_P12ihipStream_tbENKUlT_T0_E_clISt17integral_constantIbLb1EESY_IbLb0EEEEDaSU_SV_EUlSU_E0_NS1_11comp_targetILNS1_3genE0ELNS1_11target_archE4294967295ELNS1_3gpuE0ELNS1_3repE0EEENS1_30default_config_static_selectorELNS0_4arch9wavefront6targetE0EEEvT1_: ; @_ZN7rocprim17ROCPRIM_400000_NS6detail17trampoline_kernelINS0_14default_configENS1_20scan_config_selectorIN3c107complexIdEEEEZZNS1_9scan_implILNS1_25lookback_scan_determinismE0ELb0ELb0ES3_PKS7_PS7_S7_ZZZN2at6native31launch_logcumsumexp_cuda_kernelERKNSE_10TensorBaseESI_lENKUlvE_clEvENKUlvE1_clEvEUlS7_S7_E_S7_EEDaPvRmT3_T4_T5_mT6_P12ihipStream_tbENKUlT_T0_E_clISt17integral_constantIbLb1EESY_IbLb0EEEEDaSU_SV_EUlSU_E0_NS1_11comp_targetILNS1_3genE0ELNS1_11target_archE4294967295ELNS1_3gpuE0ELNS1_3repE0EEENS1_30default_config_static_selectorELNS0_4arch9wavefront6targetE0EEEvT1_
; %bb.0:
	.section	.rodata,"a",@progbits
	.p2align	6, 0x0
	.amdhsa_kernel _ZN7rocprim17ROCPRIM_400000_NS6detail17trampoline_kernelINS0_14default_configENS1_20scan_config_selectorIN3c107complexIdEEEEZZNS1_9scan_implILNS1_25lookback_scan_determinismE0ELb0ELb0ES3_PKS7_PS7_S7_ZZZN2at6native31launch_logcumsumexp_cuda_kernelERKNSE_10TensorBaseESI_lENKUlvE_clEvENKUlvE1_clEvEUlS7_S7_E_S7_EEDaPvRmT3_T4_T5_mT6_P12ihipStream_tbENKUlT_T0_E_clISt17integral_constantIbLb1EESY_IbLb0EEEEDaSU_SV_EUlSU_E0_NS1_11comp_targetILNS1_3genE0ELNS1_11target_archE4294967295ELNS1_3gpuE0ELNS1_3repE0EEENS1_30default_config_static_selectorELNS0_4arch9wavefront6targetE0EEEvT1_
		.amdhsa_group_segment_fixed_size 0
		.amdhsa_private_segment_fixed_size 0
		.amdhsa_kernarg_size 48
		.amdhsa_user_sgpr_count 15
		.amdhsa_user_sgpr_dispatch_ptr 0
		.amdhsa_user_sgpr_queue_ptr 0
		.amdhsa_user_sgpr_kernarg_segment_ptr 1
		.amdhsa_user_sgpr_dispatch_id 0
		.amdhsa_user_sgpr_private_segment_size 0
		.amdhsa_wavefront_size32 1
		.amdhsa_uses_dynamic_stack 0
		.amdhsa_enable_private_segment 0
		.amdhsa_system_sgpr_workgroup_id_x 1
		.amdhsa_system_sgpr_workgroup_id_y 0
		.amdhsa_system_sgpr_workgroup_id_z 0
		.amdhsa_system_sgpr_workgroup_info 0
		.amdhsa_system_vgpr_workitem_id 0
		.amdhsa_next_free_vgpr 1
		.amdhsa_next_free_sgpr 1
		.amdhsa_reserve_vcc 0
		.amdhsa_float_round_mode_32 0
		.amdhsa_float_round_mode_16_64 0
		.amdhsa_float_denorm_mode_32 3
		.amdhsa_float_denorm_mode_16_64 3
		.amdhsa_dx10_clamp 1
		.amdhsa_ieee_mode 1
		.amdhsa_fp16_overflow 0
		.amdhsa_workgroup_processor_mode 1
		.amdhsa_memory_ordered 1
		.amdhsa_forward_progress 0
		.amdhsa_shared_vgpr_count 0
		.amdhsa_exception_fp_ieee_invalid_op 0
		.amdhsa_exception_fp_denorm_src 0
		.amdhsa_exception_fp_ieee_div_zero 0
		.amdhsa_exception_fp_ieee_overflow 0
		.amdhsa_exception_fp_ieee_underflow 0
		.amdhsa_exception_fp_ieee_inexact 0
		.amdhsa_exception_int_div_zero 0
	.end_amdhsa_kernel
	.section	.text._ZN7rocprim17ROCPRIM_400000_NS6detail17trampoline_kernelINS0_14default_configENS1_20scan_config_selectorIN3c107complexIdEEEEZZNS1_9scan_implILNS1_25lookback_scan_determinismE0ELb0ELb0ES3_PKS7_PS7_S7_ZZZN2at6native31launch_logcumsumexp_cuda_kernelERKNSE_10TensorBaseESI_lENKUlvE_clEvENKUlvE1_clEvEUlS7_S7_E_S7_EEDaPvRmT3_T4_T5_mT6_P12ihipStream_tbENKUlT_T0_E_clISt17integral_constantIbLb1EESY_IbLb0EEEEDaSU_SV_EUlSU_E0_NS1_11comp_targetILNS1_3genE0ELNS1_11target_archE4294967295ELNS1_3gpuE0ELNS1_3repE0EEENS1_30default_config_static_selectorELNS0_4arch9wavefront6targetE0EEEvT1_,"axG",@progbits,_ZN7rocprim17ROCPRIM_400000_NS6detail17trampoline_kernelINS0_14default_configENS1_20scan_config_selectorIN3c107complexIdEEEEZZNS1_9scan_implILNS1_25lookback_scan_determinismE0ELb0ELb0ES3_PKS7_PS7_S7_ZZZN2at6native31launch_logcumsumexp_cuda_kernelERKNSE_10TensorBaseESI_lENKUlvE_clEvENKUlvE1_clEvEUlS7_S7_E_S7_EEDaPvRmT3_T4_T5_mT6_P12ihipStream_tbENKUlT_T0_E_clISt17integral_constantIbLb1EESY_IbLb0EEEEDaSU_SV_EUlSU_E0_NS1_11comp_targetILNS1_3genE0ELNS1_11target_archE4294967295ELNS1_3gpuE0ELNS1_3repE0EEENS1_30default_config_static_selectorELNS0_4arch9wavefront6targetE0EEEvT1_,comdat
.Lfunc_end235:
	.size	_ZN7rocprim17ROCPRIM_400000_NS6detail17trampoline_kernelINS0_14default_configENS1_20scan_config_selectorIN3c107complexIdEEEEZZNS1_9scan_implILNS1_25lookback_scan_determinismE0ELb0ELb0ES3_PKS7_PS7_S7_ZZZN2at6native31launch_logcumsumexp_cuda_kernelERKNSE_10TensorBaseESI_lENKUlvE_clEvENKUlvE1_clEvEUlS7_S7_E_S7_EEDaPvRmT3_T4_T5_mT6_P12ihipStream_tbENKUlT_T0_E_clISt17integral_constantIbLb1EESY_IbLb0EEEEDaSU_SV_EUlSU_E0_NS1_11comp_targetILNS1_3genE0ELNS1_11target_archE4294967295ELNS1_3gpuE0ELNS1_3repE0EEENS1_30default_config_static_selectorELNS0_4arch9wavefront6targetE0EEEvT1_, .Lfunc_end235-_ZN7rocprim17ROCPRIM_400000_NS6detail17trampoline_kernelINS0_14default_configENS1_20scan_config_selectorIN3c107complexIdEEEEZZNS1_9scan_implILNS1_25lookback_scan_determinismE0ELb0ELb0ES3_PKS7_PS7_S7_ZZZN2at6native31launch_logcumsumexp_cuda_kernelERKNSE_10TensorBaseESI_lENKUlvE_clEvENKUlvE1_clEvEUlS7_S7_E_S7_EEDaPvRmT3_T4_T5_mT6_P12ihipStream_tbENKUlT_T0_E_clISt17integral_constantIbLb1EESY_IbLb0EEEEDaSU_SV_EUlSU_E0_NS1_11comp_targetILNS1_3genE0ELNS1_11target_archE4294967295ELNS1_3gpuE0ELNS1_3repE0EEENS1_30default_config_static_selectorELNS0_4arch9wavefront6targetE0EEEvT1_
                                        ; -- End function
	.section	.AMDGPU.csdata,"",@progbits
; Kernel info:
; codeLenInByte = 0
; NumSgprs: 0
; NumVgprs: 0
; ScratchSize: 0
; MemoryBound: 0
; FloatMode: 240
; IeeeMode: 1
; LDSByteSize: 0 bytes/workgroup (compile time only)
; SGPRBlocks: 0
; VGPRBlocks: 0
; NumSGPRsForWavesPerEU: 1
; NumVGPRsForWavesPerEU: 1
; Occupancy: 16
; WaveLimiterHint : 0
; COMPUTE_PGM_RSRC2:SCRATCH_EN: 0
; COMPUTE_PGM_RSRC2:USER_SGPR: 15
; COMPUTE_PGM_RSRC2:TRAP_HANDLER: 0
; COMPUTE_PGM_RSRC2:TGID_X_EN: 1
; COMPUTE_PGM_RSRC2:TGID_Y_EN: 0
; COMPUTE_PGM_RSRC2:TGID_Z_EN: 0
; COMPUTE_PGM_RSRC2:TIDIG_COMP_CNT: 0
	.section	.text._ZN7rocprim17ROCPRIM_400000_NS6detail17trampoline_kernelINS0_14default_configENS1_20scan_config_selectorIN3c107complexIdEEEEZZNS1_9scan_implILNS1_25lookback_scan_determinismE0ELb0ELb0ES3_PKS7_PS7_S7_ZZZN2at6native31launch_logcumsumexp_cuda_kernelERKNSE_10TensorBaseESI_lENKUlvE_clEvENKUlvE1_clEvEUlS7_S7_E_S7_EEDaPvRmT3_T4_T5_mT6_P12ihipStream_tbENKUlT_T0_E_clISt17integral_constantIbLb1EESY_IbLb0EEEEDaSU_SV_EUlSU_E0_NS1_11comp_targetILNS1_3genE5ELNS1_11target_archE942ELNS1_3gpuE9ELNS1_3repE0EEENS1_30default_config_static_selectorELNS0_4arch9wavefront6targetE0EEEvT1_,"axG",@progbits,_ZN7rocprim17ROCPRIM_400000_NS6detail17trampoline_kernelINS0_14default_configENS1_20scan_config_selectorIN3c107complexIdEEEEZZNS1_9scan_implILNS1_25lookback_scan_determinismE0ELb0ELb0ES3_PKS7_PS7_S7_ZZZN2at6native31launch_logcumsumexp_cuda_kernelERKNSE_10TensorBaseESI_lENKUlvE_clEvENKUlvE1_clEvEUlS7_S7_E_S7_EEDaPvRmT3_T4_T5_mT6_P12ihipStream_tbENKUlT_T0_E_clISt17integral_constantIbLb1EESY_IbLb0EEEEDaSU_SV_EUlSU_E0_NS1_11comp_targetILNS1_3genE5ELNS1_11target_archE942ELNS1_3gpuE9ELNS1_3repE0EEENS1_30default_config_static_selectorELNS0_4arch9wavefront6targetE0EEEvT1_,comdat
	.globl	_ZN7rocprim17ROCPRIM_400000_NS6detail17trampoline_kernelINS0_14default_configENS1_20scan_config_selectorIN3c107complexIdEEEEZZNS1_9scan_implILNS1_25lookback_scan_determinismE0ELb0ELb0ES3_PKS7_PS7_S7_ZZZN2at6native31launch_logcumsumexp_cuda_kernelERKNSE_10TensorBaseESI_lENKUlvE_clEvENKUlvE1_clEvEUlS7_S7_E_S7_EEDaPvRmT3_T4_T5_mT6_P12ihipStream_tbENKUlT_T0_E_clISt17integral_constantIbLb1EESY_IbLb0EEEEDaSU_SV_EUlSU_E0_NS1_11comp_targetILNS1_3genE5ELNS1_11target_archE942ELNS1_3gpuE9ELNS1_3repE0EEENS1_30default_config_static_selectorELNS0_4arch9wavefront6targetE0EEEvT1_ ; -- Begin function _ZN7rocprim17ROCPRIM_400000_NS6detail17trampoline_kernelINS0_14default_configENS1_20scan_config_selectorIN3c107complexIdEEEEZZNS1_9scan_implILNS1_25lookback_scan_determinismE0ELb0ELb0ES3_PKS7_PS7_S7_ZZZN2at6native31launch_logcumsumexp_cuda_kernelERKNSE_10TensorBaseESI_lENKUlvE_clEvENKUlvE1_clEvEUlS7_S7_E_S7_EEDaPvRmT3_T4_T5_mT6_P12ihipStream_tbENKUlT_T0_E_clISt17integral_constantIbLb1EESY_IbLb0EEEEDaSU_SV_EUlSU_E0_NS1_11comp_targetILNS1_3genE5ELNS1_11target_archE942ELNS1_3gpuE9ELNS1_3repE0EEENS1_30default_config_static_selectorELNS0_4arch9wavefront6targetE0EEEvT1_
	.p2align	8
	.type	_ZN7rocprim17ROCPRIM_400000_NS6detail17trampoline_kernelINS0_14default_configENS1_20scan_config_selectorIN3c107complexIdEEEEZZNS1_9scan_implILNS1_25lookback_scan_determinismE0ELb0ELb0ES3_PKS7_PS7_S7_ZZZN2at6native31launch_logcumsumexp_cuda_kernelERKNSE_10TensorBaseESI_lENKUlvE_clEvENKUlvE1_clEvEUlS7_S7_E_S7_EEDaPvRmT3_T4_T5_mT6_P12ihipStream_tbENKUlT_T0_E_clISt17integral_constantIbLb1EESY_IbLb0EEEEDaSU_SV_EUlSU_E0_NS1_11comp_targetILNS1_3genE5ELNS1_11target_archE942ELNS1_3gpuE9ELNS1_3repE0EEENS1_30default_config_static_selectorELNS0_4arch9wavefront6targetE0EEEvT1_,@function
_ZN7rocprim17ROCPRIM_400000_NS6detail17trampoline_kernelINS0_14default_configENS1_20scan_config_selectorIN3c107complexIdEEEEZZNS1_9scan_implILNS1_25lookback_scan_determinismE0ELb0ELb0ES3_PKS7_PS7_S7_ZZZN2at6native31launch_logcumsumexp_cuda_kernelERKNSE_10TensorBaseESI_lENKUlvE_clEvENKUlvE1_clEvEUlS7_S7_E_S7_EEDaPvRmT3_T4_T5_mT6_P12ihipStream_tbENKUlT_T0_E_clISt17integral_constantIbLb1EESY_IbLb0EEEEDaSU_SV_EUlSU_E0_NS1_11comp_targetILNS1_3genE5ELNS1_11target_archE942ELNS1_3gpuE9ELNS1_3repE0EEENS1_30default_config_static_selectorELNS0_4arch9wavefront6targetE0EEEvT1_: ; @_ZN7rocprim17ROCPRIM_400000_NS6detail17trampoline_kernelINS0_14default_configENS1_20scan_config_selectorIN3c107complexIdEEEEZZNS1_9scan_implILNS1_25lookback_scan_determinismE0ELb0ELb0ES3_PKS7_PS7_S7_ZZZN2at6native31launch_logcumsumexp_cuda_kernelERKNSE_10TensorBaseESI_lENKUlvE_clEvENKUlvE1_clEvEUlS7_S7_E_S7_EEDaPvRmT3_T4_T5_mT6_P12ihipStream_tbENKUlT_T0_E_clISt17integral_constantIbLb1EESY_IbLb0EEEEDaSU_SV_EUlSU_E0_NS1_11comp_targetILNS1_3genE5ELNS1_11target_archE942ELNS1_3gpuE9ELNS1_3repE0EEENS1_30default_config_static_selectorELNS0_4arch9wavefront6targetE0EEEvT1_
; %bb.0:
	.section	.rodata,"a",@progbits
	.p2align	6, 0x0
	.amdhsa_kernel _ZN7rocprim17ROCPRIM_400000_NS6detail17trampoline_kernelINS0_14default_configENS1_20scan_config_selectorIN3c107complexIdEEEEZZNS1_9scan_implILNS1_25lookback_scan_determinismE0ELb0ELb0ES3_PKS7_PS7_S7_ZZZN2at6native31launch_logcumsumexp_cuda_kernelERKNSE_10TensorBaseESI_lENKUlvE_clEvENKUlvE1_clEvEUlS7_S7_E_S7_EEDaPvRmT3_T4_T5_mT6_P12ihipStream_tbENKUlT_T0_E_clISt17integral_constantIbLb1EESY_IbLb0EEEEDaSU_SV_EUlSU_E0_NS1_11comp_targetILNS1_3genE5ELNS1_11target_archE942ELNS1_3gpuE9ELNS1_3repE0EEENS1_30default_config_static_selectorELNS0_4arch9wavefront6targetE0EEEvT1_
		.amdhsa_group_segment_fixed_size 0
		.amdhsa_private_segment_fixed_size 0
		.amdhsa_kernarg_size 48
		.amdhsa_user_sgpr_count 15
		.amdhsa_user_sgpr_dispatch_ptr 0
		.amdhsa_user_sgpr_queue_ptr 0
		.amdhsa_user_sgpr_kernarg_segment_ptr 1
		.amdhsa_user_sgpr_dispatch_id 0
		.amdhsa_user_sgpr_private_segment_size 0
		.amdhsa_wavefront_size32 1
		.amdhsa_uses_dynamic_stack 0
		.amdhsa_enable_private_segment 0
		.amdhsa_system_sgpr_workgroup_id_x 1
		.amdhsa_system_sgpr_workgroup_id_y 0
		.amdhsa_system_sgpr_workgroup_id_z 0
		.amdhsa_system_sgpr_workgroup_info 0
		.amdhsa_system_vgpr_workitem_id 0
		.amdhsa_next_free_vgpr 1
		.amdhsa_next_free_sgpr 1
		.amdhsa_reserve_vcc 0
		.amdhsa_float_round_mode_32 0
		.amdhsa_float_round_mode_16_64 0
		.amdhsa_float_denorm_mode_32 3
		.amdhsa_float_denorm_mode_16_64 3
		.amdhsa_dx10_clamp 1
		.amdhsa_ieee_mode 1
		.amdhsa_fp16_overflow 0
		.amdhsa_workgroup_processor_mode 1
		.amdhsa_memory_ordered 1
		.amdhsa_forward_progress 0
		.amdhsa_shared_vgpr_count 0
		.amdhsa_exception_fp_ieee_invalid_op 0
		.amdhsa_exception_fp_denorm_src 0
		.amdhsa_exception_fp_ieee_div_zero 0
		.amdhsa_exception_fp_ieee_overflow 0
		.amdhsa_exception_fp_ieee_underflow 0
		.amdhsa_exception_fp_ieee_inexact 0
		.amdhsa_exception_int_div_zero 0
	.end_amdhsa_kernel
	.section	.text._ZN7rocprim17ROCPRIM_400000_NS6detail17trampoline_kernelINS0_14default_configENS1_20scan_config_selectorIN3c107complexIdEEEEZZNS1_9scan_implILNS1_25lookback_scan_determinismE0ELb0ELb0ES3_PKS7_PS7_S7_ZZZN2at6native31launch_logcumsumexp_cuda_kernelERKNSE_10TensorBaseESI_lENKUlvE_clEvENKUlvE1_clEvEUlS7_S7_E_S7_EEDaPvRmT3_T4_T5_mT6_P12ihipStream_tbENKUlT_T0_E_clISt17integral_constantIbLb1EESY_IbLb0EEEEDaSU_SV_EUlSU_E0_NS1_11comp_targetILNS1_3genE5ELNS1_11target_archE942ELNS1_3gpuE9ELNS1_3repE0EEENS1_30default_config_static_selectorELNS0_4arch9wavefront6targetE0EEEvT1_,"axG",@progbits,_ZN7rocprim17ROCPRIM_400000_NS6detail17trampoline_kernelINS0_14default_configENS1_20scan_config_selectorIN3c107complexIdEEEEZZNS1_9scan_implILNS1_25lookback_scan_determinismE0ELb0ELb0ES3_PKS7_PS7_S7_ZZZN2at6native31launch_logcumsumexp_cuda_kernelERKNSE_10TensorBaseESI_lENKUlvE_clEvENKUlvE1_clEvEUlS7_S7_E_S7_EEDaPvRmT3_T4_T5_mT6_P12ihipStream_tbENKUlT_T0_E_clISt17integral_constantIbLb1EESY_IbLb0EEEEDaSU_SV_EUlSU_E0_NS1_11comp_targetILNS1_3genE5ELNS1_11target_archE942ELNS1_3gpuE9ELNS1_3repE0EEENS1_30default_config_static_selectorELNS0_4arch9wavefront6targetE0EEEvT1_,comdat
.Lfunc_end236:
	.size	_ZN7rocprim17ROCPRIM_400000_NS6detail17trampoline_kernelINS0_14default_configENS1_20scan_config_selectorIN3c107complexIdEEEEZZNS1_9scan_implILNS1_25lookback_scan_determinismE0ELb0ELb0ES3_PKS7_PS7_S7_ZZZN2at6native31launch_logcumsumexp_cuda_kernelERKNSE_10TensorBaseESI_lENKUlvE_clEvENKUlvE1_clEvEUlS7_S7_E_S7_EEDaPvRmT3_T4_T5_mT6_P12ihipStream_tbENKUlT_T0_E_clISt17integral_constantIbLb1EESY_IbLb0EEEEDaSU_SV_EUlSU_E0_NS1_11comp_targetILNS1_3genE5ELNS1_11target_archE942ELNS1_3gpuE9ELNS1_3repE0EEENS1_30default_config_static_selectorELNS0_4arch9wavefront6targetE0EEEvT1_, .Lfunc_end236-_ZN7rocprim17ROCPRIM_400000_NS6detail17trampoline_kernelINS0_14default_configENS1_20scan_config_selectorIN3c107complexIdEEEEZZNS1_9scan_implILNS1_25lookback_scan_determinismE0ELb0ELb0ES3_PKS7_PS7_S7_ZZZN2at6native31launch_logcumsumexp_cuda_kernelERKNSE_10TensorBaseESI_lENKUlvE_clEvENKUlvE1_clEvEUlS7_S7_E_S7_EEDaPvRmT3_T4_T5_mT6_P12ihipStream_tbENKUlT_T0_E_clISt17integral_constantIbLb1EESY_IbLb0EEEEDaSU_SV_EUlSU_E0_NS1_11comp_targetILNS1_3genE5ELNS1_11target_archE942ELNS1_3gpuE9ELNS1_3repE0EEENS1_30default_config_static_selectorELNS0_4arch9wavefront6targetE0EEEvT1_
                                        ; -- End function
	.section	.AMDGPU.csdata,"",@progbits
; Kernel info:
; codeLenInByte = 0
; NumSgprs: 0
; NumVgprs: 0
; ScratchSize: 0
; MemoryBound: 0
; FloatMode: 240
; IeeeMode: 1
; LDSByteSize: 0 bytes/workgroup (compile time only)
; SGPRBlocks: 0
; VGPRBlocks: 0
; NumSGPRsForWavesPerEU: 1
; NumVGPRsForWavesPerEU: 1
; Occupancy: 16
; WaveLimiterHint : 0
; COMPUTE_PGM_RSRC2:SCRATCH_EN: 0
; COMPUTE_PGM_RSRC2:USER_SGPR: 15
; COMPUTE_PGM_RSRC2:TRAP_HANDLER: 0
; COMPUTE_PGM_RSRC2:TGID_X_EN: 1
; COMPUTE_PGM_RSRC2:TGID_Y_EN: 0
; COMPUTE_PGM_RSRC2:TGID_Z_EN: 0
; COMPUTE_PGM_RSRC2:TIDIG_COMP_CNT: 0
	.section	.text._ZN7rocprim17ROCPRIM_400000_NS6detail17trampoline_kernelINS0_14default_configENS1_20scan_config_selectorIN3c107complexIdEEEEZZNS1_9scan_implILNS1_25lookback_scan_determinismE0ELb0ELb0ES3_PKS7_PS7_S7_ZZZN2at6native31launch_logcumsumexp_cuda_kernelERKNSE_10TensorBaseESI_lENKUlvE_clEvENKUlvE1_clEvEUlS7_S7_E_S7_EEDaPvRmT3_T4_T5_mT6_P12ihipStream_tbENKUlT_T0_E_clISt17integral_constantIbLb1EESY_IbLb0EEEEDaSU_SV_EUlSU_E0_NS1_11comp_targetILNS1_3genE4ELNS1_11target_archE910ELNS1_3gpuE8ELNS1_3repE0EEENS1_30default_config_static_selectorELNS0_4arch9wavefront6targetE0EEEvT1_,"axG",@progbits,_ZN7rocprim17ROCPRIM_400000_NS6detail17trampoline_kernelINS0_14default_configENS1_20scan_config_selectorIN3c107complexIdEEEEZZNS1_9scan_implILNS1_25lookback_scan_determinismE0ELb0ELb0ES3_PKS7_PS7_S7_ZZZN2at6native31launch_logcumsumexp_cuda_kernelERKNSE_10TensorBaseESI_lENKUlvE_clEvENKUlvE1_clEvEUlS7_S7_E_S7_EEDaPvRmT3_T4_T5_mT6_P12ihipStream_tbENKUlT_T0_E_clISt17integral_constantIbLb1EESY_IbLb0EEEEDaSU_SV_EUlSU_E0_NS1_11comp_targetILNS1_3genE4ELNS1_11target_archE910ELNS1_3gpuE8ELNS1_3repE0EEENS1_30default_config_static_selectorELNS0_4arch9wavefront6targetE0EEEvT1_,comdat
	.globl	_ZN7rocprim17ROCPRIM_400000_NS6detail17trampoline_kernelINS0_14default_configENS1_20scan_config_selectorIN3c107complexIdEEEEZZNS1_9scan_implILNS1_25lookback_scan_determinismE0ELb0ELb0ES3_PKS7_PS7_S7_ZZZN2at6native31launch_logcumsumexp_cuda_kernelERKNSE_10TensorBaseESI_lENKUlvE_clEvENKUlvE1_clEvEUlS7_S7_E_S7_EEDaPvRmT3_T4_T5_mT6_P12ihipStream_tbENKUlT_T0_E_clISt17integral_constantIbLb1EESY_IbLb0EEEEDaSU_SV_EUlSU_E0_NS1_11comp_targetILNS1_3genE4ELNS1_11target_archE910ELNS1_3gpuE8ELNS1_3repE0EEENS1_30default_config_static_selectorELNS0_4arch9wavefront6targetE0EEEvT1_ ; -- Begin function _ZN7rocprim17ROCPRIM_400000_NS6detail17trampoline_kernelINS0_14default_configENS1_20scan_config_selectorIN3c107complexIdEEEEZZNS1_9scan_implILNS1_25lookback_scan_determinismE0ELb0ELb0ES3_PKS7_PS7_S7_ZZZN2at6native31launch_logcumsumexp_cuda_kernelERKNSE_10TensorBaseESI_lENKUlvE_clEvENKUlvE1_clEvEUlS7_S7_E_S7_EEDaPvRmT3_T4_T5_mT6_P12ihipStream_tbENKUlT_T0_E_clISt17integral_constantIbLb1EESY_IbLb0EEEEDaSU_SV_EUlSU_E0_NS1_11comp_targetILNS1_3genE4ELNS1_11target_archE910ELNS1_3gpuE8ELNS1_3repE0EEENS1_30default_config_static_selectorELNS0_4arch9wavefront6targetE0EEEvT1_
	.p2align	8
	.type	_ZN7rocprim17ROCPRIM_400000_NS6detail17trampoline_kernelINS0_14default_configENS1_20scan_config_selectorIN3c107complexIdEEEEZZNS1_9scan_implILNS1_25lookback_scan_determinismE0ELb0ELb0ES3_PKS7_PS7_S7_ZZZN2at6native31launch_logcumsumexp_cuda_kernelERKNSE_10TensorBaseESI_lENKUlvE_clEvENKUlvE1_clEvEUlS7_S7_E_S7_EEDaPvRmT3_T4_T5_mT6_P12ihipStream_tbENKUlT_T0_E_clISt17integral_constantIbLb1EESY_IbLb0EEEEDaSU_SV_EUlSU_E0_NS1_11comp_targetILNS1_3genE4ELNS1_11target_archE910ELNS1_3gpuE8ELNS1_3repE0EEENS1_30default_config_static_selectorELNS0_4arch9wavefront6targetE0EEEvT1_,@function
_ZN7rocprim17ROCPRIM_400000_NS6detail17trampoline_kernelINS0_14default_configENS1_20scan_config_selectorIN3c107complexIdEEEEZZNS1_9scan_implILNS1_25lookback_scan_determinismE0ELb0ELb0ES3_PKS7_PS7_S7_ZZZN2at6native31launch_logcumsumexp_cuda_kernelERKNSE_10TensorBaseESI_lENKUlvE_clEvENKUlvE1_clEvEUlS7_S7_E_S7_EEDaPvRmT3_T4_T5_mT6_P12ihipStream_tbENKUlT_T0_E_clISt17integral_constantIbLb1EESY_IbLb0EEEEDaSU_SV_EUlSU_E0_NS1_11comp_targetILNS1_3genE4ELNS1_11target_archE910ELNS1_3gpuE8ELNS1_3repE0EEENS1_30default_config_static_selectorELNS0_4arch9wavefront6targetE0EEEvT1_: ; @_ZN7rocprim17ROCPRIM_400000_NS6detail17trampoline_kernelINS0_14default_configENS1_20scan_config_selectorIN3c107complexIdEEEEZZNS1_9scan_implILNS1_25lookback_scan_determinismE0ELb0ELb0ES3_PKS7_PS7_S7_ZZZN2at6native31launch_logcumsumexp_cuda_kernelERKNSE_10TensorBaseESI_lENKUlvE_clEvENKUlvE1_clEvEUlS7_S7_E_S7_EEDaPvRmT3_T4_T5_mT6_P12ihipStream_tbENKUlT_T0_E_clISt17integral_constantIbLb1EESY_IbLb0EEEEDaSU_SV_EUlSU_E0_NS1_11comp_targetILNS1_3genE4ELNS1_11target_archE910ELNS1_3gpuE8ELNS1_3repE0EEENS1_30default_config_static_selectorELNS0_4arch9wavefront6targetE0EEEvT1_
; %bb.0:
	.section	.rodata,"a",@progbits
	.p2align	6, 0x0
	.amdhsa_kernel _ZN7rocprim17ROCPRIM_400000_NS6detail17trampoline_kernelINS0_14default_configENS1_20scan_config_selectorIN3c107complexIdEEEEZZNS1_9scan_implILNS1_25lookback_scan_determinismE0ELb0ELb0ES3_PKS7_PS7_S7_ZZZN2at6native31launch_logcumsumexp_cuda_kernelERKNSE_10TensorBaseESI_lENKUlvE_clEvENKUlvE1_clEvEUlS7_S7_E_S7_EEDaPvRmT3_T4_T5_mT6_P12ihipStream_tbENKUlT_T0_E_clISt17integral_constantIbLb1EESY_IbLb0EEEEDaSU_SV_EUlSU_E0_NS1_11comp_targetILNS1_3genE4ELNS1_11target_archE910ELNS1_3gpuE8ELNS1_3repE0EEENS1_30default_config_static_selectorELNS0_4arch9wavefront6targetE0EEEvT1_
		.amdhsa_group_segment_fixed_size 0
		.amdhsa_private_segment_fixed_size 0
		.amdhsa_kernarg_size 48
		.amdhsa_user_sgpr_count 15
		.amdhsa_user_sgpr_dispatch_ptr 0
		.amdhsa_user_sgpr_queue_ptr 0
		.amdhsa_user_sgpr_kernarg_segment_ptr 1
		.amdhsa_user_sgpr_dispatch_id 0
		.amdhsa_user_sgpr_private_segment_size 0
		.amdhsa_wavefront_size32 1
		.amdhsa_uses_dynamic_stack 0
		.amdhsa_enable_private_segment 0
		.amdhsa_system_sgpr_workgroup_id_x 1
		.amdhsa_system_sgpr_workgroup_id_y 0
		.amdhsa_system_sgpr_workgroup_id_z 0
		.amdhsa_system_sgpr_workgroup_info 0
		.amdhsa_system_vgpr_workitem_id 0
		.amdhsa_next_free_vgpr 1
		.amdhsa_next_free_sgpr 1
		.amdhsa_reserve_vcc 0
		.amdhsa_float_round_mode_32 0
		.amdhsa_float_round_mode_16_64 0
		.amdhsa_float_denorm_mode_32 3
		.amdhsa_float_denorm_mode_16_64 3
		.amdhsa_dx10_clamp 1
		.amdhsa_ieee_mode 1
		.amdhsa_fp16_overflow 0
		.amdhsa_workgroup_processor_mode 1
		.amdhsa_memory_ordered 1
		.amdhsa_forward_progress 0
		.amdhsa_shared_vgpr_count 0
		.amdhsa_exception_fp_ieee_invalid_op 0
		.amdhsa_exception_fp_denorm_src 0
		.amdhsa_exception_fp_ieee_div_zero 0
		.amdhsa_exception_fp_ieee_overflow 0
		.amdhsa_exception_fp_ieee_underflow 0
		.amdhsa_exception_fp_ieee_inexact 0
		.amdhsa_exception_int_div_zero 0
	.end_amdhsa_kernel
	.section	.text._ZN7rocprim17ROCPRIM_400000_NS6detail17trampoline_kernelINS0_14default_configENS1_20scan_config_selectorIN3c107complexIdEEEEZZNS1_9scan_implILNS1_25lookback_scan_determinismE0ELb0ELb0ES3_PKS7_PS7_S7_ZZZN2at6native31launch_logcumsumexp_cuda_kernelERKNSE_10TensorBaseESI_lENKUlvE_clEvENKUlvE1_clEvEUlS7_S7_E_S7_EEDaPvRmT3_T4_T5_mT6_P12ihipStream_tbENKUlT_T0_E_clISt17integral_constantIbLb1EESY_IbLb0EEEEDaSU_SV_EUlSU_E0_NS1_11comp_targetILNS1_3genE4ELNS1_11target_archE910ELNS1_3gpuE8ELNS1_3repE0EEENS1_30default_config_static_selectorELNS0_4arch9wavefront6targetE0EEEvT1_,"axG",@progbits,_ZN7rocprim17ROCPRIM_400000_NS6detail17trampoline_kernelINS0_14default_configENS1_20scan_config_selectorIN3c107complexIdEEEEZZNS1_9scan_implILNS1_25lookback_scan_determinismE0ELb0ELb0ES3_PKS7_PS7_S7_ZZZN2at6native31launch_logcumsumexp_cuda_kernelERKNSE_10TensorBaseESI_lENKUlvE_clEvENKUlvE1_clEvEUlS7_S7_E_S7_EEDaPvRmT3_T4_T5_mT6_P12ihipStream_tbENKUlT_T0_E_clISt17integral_constantIbLb1EESY_IbLb0EEEEDaSU_SV_EUlSU_E0_NS1_11comp_targetILNS1_3genE4ELNS1_11target_archE910ELNS1_3gpuE8ELNS1_3repE0EEENS1_30default_config_static_selectorELNS0_4arch9wavefront6targetE0EEEvT1_,comdat
.Lfunc_end237:
	.size	_ZN7rocprim17ROCPRIM_400000_NS6detail17trampoline_kernelINS0_14default_configENS1_20scan_config_selectorIN3c107complexIdEEEEZZNS1_9scan_implILNS1_25lookback_scan_determinismE0ELb0ELb0ES3_PKS7_PS7_S7_ZZZN2at6native31launch_logcumsumexp_cuda_kernelERKNSE_10TensorBaseESI_lENKUlvE_clEvENKUlvE1_clEvEUlS7_S7_E_S7_EEDaPvRmT3_T4_T5_mT6_P12ihipStream_tbENKUlT_T0_E_clISt17integral_constantIbLb1EESY_IbLb0EEEEDaSU_SV_EUlSU_E0_NS1_11comp_targetILNS1_3genE4ELNS1_11target_archE910ELNS1_3gpuE8ELNS1_3repE0EEENS1_30default_config_static_selectorELNS0_4arch9wavefront6targetE0EEEvT1_, .Lfunc_end237-_ZN7rocprim17ROCPRIM_400000_NS6detail17trampoline_kernelINS0_14default_configENS1_20scan_config_selectorIN3c107complexIdEEEEZZNS1_9scan_implILNS1_25lookback_scan_determinismE0ELb0ELb0ES3_PKS7_PS7_S7_ZZZN2at6native31launch_logcumsumexp_cuda_kernelERKNSE_10TensorBaseESI_lENKUlvE_clEvENKUlvE1_clEvEUlS7_S7_E_S7_EEDaPvRmT3_T4_T5_mT6_P12ihipStream_tbENKUlT_T0_E_clISt17integral_constantIbLb1EESY_IbLb0EEEEDaSU_SV_EUlSU_E0_NS1_11comp_targetILNS1_3genE4ELNS1_11target_archE910ELNS1_3gpuE8ELNS1_3repE0EEENS1_30default_config_static_selectorELNS0_4arch9wavefront6targetE0EEEvT1_
                                        ; -- End function
	.section	.AMDGPU.csdata,"",@progbits
; Kernel info:
; codeLenInByte = 0
; NumSgprs: 0
; NumVgprs: 0
; ScratchSize: 0
; MemoryBound: 0
; FloatMode: 240
; IeeeMode: 1
; LDSByteSize: 0 bytes/workgroup (compile time only)
; SGPRBlocks: 0
; VGPRBlocks: 0
; NumSGPRsForWavesPerEU: 1
; NumVGPRsForWavesPerEU: 1
; Occupancy: 16
; WaveLimiterHint : 0
; COMPUTE_PGM_RSRC2:SCRATCH_EN: 0
; COMPUTE_PGM_RSRC2:USER_SGPR: 15
; COMPUTE_PGM_RSRC2:TRAP_HANDLER: 0
; COMPUTE_PGM_RSRC2:TGID_X_EN: 1
; COMPUTE_PGM_RSRC2:TGID_Y_EN: 0
; COMPUTE_PGM_RSRC2:TGID_Z_EN: 0
; COMPUTE_PGM_RSRC2:TIDIG_COMP_CNT: 0
	.section	.text._ZN7rocprim17ROCPRIM_400000_NS6detail17trampoline_kernelINS0_14default_configENS1_20scan_config_selectorIN3c107complexIdEEEEZZNS1_9scan_implILNS1_25lookback_scan_determinismE0ELb0ELb0ES3_PKS7_PS7_S7_ZZZN2at6native31launch_logcumsumexp_cuda_kernelERKNSE_10TensorBaseESI_lENKUlvE_clEvENKUlvE1_clEvEUlS7_S7_E_S7_EEDaPvRmT3_T4_T5_mT6_P12ihipStream_tbENKUlT_T0_E_clISt17integral_constantIbLb1EESY_IbLb0EEEEDaSU_SV_EUlSU_E0_NS1_11comp_targetILNS1_3genE3ELNS1_11target_archE908ELNS1_3gpuE7ELNS1_3repE0EEENS1_30default_config_static_selectorELNS0_4arch9wavefront6targetE0EEEvT1_,"axG",@progbits,_ZN7rocprim17ROCPRIM_400000_NS6detail17trampoline_kernelINS0_14default_configENS1_20scan_config_selectorIN3c107complexIdEEEEZZNS1_9scan_implILNS1_25lookback_scan_determinismE0ELb0ELb0ES3_PKS7_PS7_S7_ZZZN2at6native31launch_logcumsumexp_cuda_kernelERKNSE_10TensorBaseESI_lENKUlvE_clEvENKUlvE1_clEvEUlS7_S7_E_S7_EEDaPvRmT3_T4_T5_mT6_P12ihipStream_tbENKUlT_T0_E_clISt17integral_constantIbLb1EESY_IbLb0EEEEDaSU_SV_EUlSU_E0_NS1_11comp_targetILNS1_3genE3ELNS1_11target_archE908ELNS1_3gpuE7ELNS1_3repE0EEENS1_30default_config_static_selectorELNS0_4arch9wavefront6targetE0EEEvT1_,comdat
	.globl	_ZN7rocprim17ROCPRIM_400000_NS6detail17trampoline_kernelINS0_14default_configENS1_20scan_config_selectorIN3c107complexIdEEEEZZNS1_9scan_implILNS1_25lookback_scan_determinismE0ELb0ELb0ES3_PKS7_PS7_S7_ZZZN2at6native31launch_logcumsumexp_cuda_kernelERKNSE_10TensorBaseESI_lENKUlvE_clEvENKUlvE1_clEvEUlS7_S7_E_S7_EEDaPvRmT3_T4_T5_mT6_P12ihipStream_tbENKUlT_T0_E_clISt17integral_constantIbLb1EESY_IbLb0EEEEDaSU_SV_EUlSU_E0_NS1_11comp_targetILNS1_3genE3ELNS1_11target_archE908ELNS1_3gpuE7ELNS1_3repE0EEENS1_30default_config_static_selectorELNS0_4arch9wavefront6targetE0EEEvT1_ ; -- Begin function _ZN7rocprim17ROCPRIM_400000_NS6detail17trampoline_kernelINS0_14default_configENS1_20scan_config_selectorIN3c107complexIdEEEEZZNS1_9scan_implILNS1_25lookback_scan_determinismE0ELb0ELb0ES3_PKS7_PS7_S7_ZZZN2at6native31launch_logcumsumexp_cuda_kernelERKNSE_10TensorBaseESI_lENKUlvE_clEvENKUlvE1_clEvEUlS7_S7_E_S7_EEDaPvRmT3_T4_T5_mT6_P12ihipStream_tbENKUlT_T0_E_clISt17integral_constantIbLb1EESY_IbLb0EEEEDaSU_SV_EUlSU_E0_NS1_11comp_targetILNS1_3genE3ELNS1_11target_archE908ELNS1_3gpuE7ELNS1_3repE0EEENS1_30default_config_static_selectorELNS0_4arch9wavefront6targetE0EEEvT1_
	.p2align	8
	.type	_ZN7rocprim17ROCPRIM_400000_NS6detail17trampoline_kernelINS0_14default_configENS1_20scan_config_selectorIN3c107complexIdEEEEZZNS1_9scan_implILNS1_25lookback_scan_determinismE0ELb0ELb0ES3_PKS7_PS7_S7_ZZZN2at6native31launch_logcumsumexp_cuda_kernelERKNSE_10TensorBaseESI_lENKUlvE_clEvENKUlvE1_clEvEUlS7_S7_E_S7_EEDaPvRmT3_T4_T5_mT6_P12ihipStream_tbENKUlT_T0_E_clISt17integral_constantIbLb1EESY_IbLb0EEEEDaSU_SV_EUlSU_E0_NS1_11comp_targetILNS1_3genE3ELNS1_11target_archE908ELNS1_3gpuE7ELNS1_3repE0EEENS1_30default_config_static_selectorELNS0_4arch9wavefront6targetE0EEEvT1_,@function
_ZN7rocprim17ROCPRIM_400000_NS6detail17trampoline_kernelINS0_14default_configENS1_20scan_config_selectorIN3c107complexIdEEEEZZNS1_9scan_implILNS1_25lookback_scan_determinismE0ELb0ELb0ES3_PKS7_PS7_S7_ZZZN2at6native31launch_logcumsumexp_cuda_kernelERKNSE_10TensorBaseESI_lENKUlvE_clEvENKUlvE1_clEvEUlS7_S7_E_S7_EEDaPvRmT3_T4_T5_mT6_P12ihipStream_tbENKUlT_T0_E_clISt17integral_constantIbLb1EESY_IbLb0EEEEDaSU_SV_EUlSU_E0_NS1_11comp_targetILNS1_3genE3ELNS1_11target_archE908ELNS1_3gpuE7ELNS1_3repE0EEENS1_30default_config_static_selectorELNS0_4arch9wavefront6targetE0EEEvT1_: ; @_ZN7rocprim17ROCPRIM_400000_NS6detail17trampoline_kernelINS0_14default_configENS1_20scan_config_selectorIN3c107complexIdEEEEZZNS1_9scan_implILNS1_25lookback_scan_determinismE0ELb0ELb0ES3_PKS7_PS7_S7_ZZZN2at6native31launch_logcumsumexp_cuda_kernelERKNSE_10TensorBaseESI_lENKUlvE_clEvENKUlvE1_clEvEUlS7_S7_E_S7_EEDaPvRmT3_T4_T5_mT6_P12ihipStream_tbENKUlT_T0_E_clISt17integral_constantIbLb1EESY_IbLb0EEEEDaSU_SV_EUlSU_E0_NS1_11comp_targetILNS1_3genE3ELNS1_11target_archE908ELNS1_3gpuE7ELNS1_3repE0EEENS1_30default_config_static_selectorELNS0_4arch9wavefront6targetE0EEEvT1_
; %bb.0:
	.section	.rodata,"a",@progbits
	.p2align	6, 0x0
	.amdhsa_kernel _ZN7rocprim17ROCPRIM_400000_NS6detail17trampoline_kernelINS0_14default_configENS1_20scan_config_selectorIN3c107complexIdEEEEZZNS1_9scan_implILNS1_25lookback_scan_determinismE0ELb0ELb0ES3_PKS7_PS7_S7_ZZZN2at6native31launch_logcumsumexp_cuda_kernelERKNSE_10TensorBaseESI_lENKUlvE_clEvENKUlvE1_clEvEUlS7_S7_E_S7_EEDaPvRmT3_T4_T5_mT6_P12ihipStream_tbENKUlT_T0_E_clISt17integral_constantIbLb1EESY_IbLb0EEEEDaSU_SV_EUlSU_E0_NS1_11comp_targetILNS1_3genE3ELNS1_11target_archE908ELNS1_3gpuE7ELNS1_3repE0EEENS1_30default_config_static_selectorELNS0_4arch9wavefront6targetE0EEEvT1_
		.amdhsa_group_segment_fixed_size 0
		.amdhsa_private_segment_fixed_size 0
		.amdhsa_kernarg_size 48
		.amdhsa_user_sgpr_count 15
		.amdhsa_user_sgpr_dispatch_ptr 0
		.amdhsa_user_sgpr_queue_ptr 0
		.amdhsa_user_sgpr_kernarg_segment_ptr 1
		.amdhsa_user_sgpr_dispatch_id 0
		.amdhsa_user_sgpr_private_segment_size 0
		.amdhsa_wavefront_size32 1
		.amdhsa_uses_dynamic_stack 0
		.amdhsa_enable_private_segment 0
		.amdhsa_system_sgpr_workgroup_id_x 1
		.amdhsa_system_sgpr_workgroup_id_y 0
		.amdhsa_system_sgpr_workgroup_id_z 0
		.amdhsa_system_sgpr_workgroup_info 0
		.amdhsa_system_vgpr_workitem_id 0
		.amdhsa_next_free_vgpr 1
		.amdhsa_next_free_sgpr 1
		.amdhsa_reserve_vcc 0
		.amdhsa_float_round_mode_32 0
		.amdhsa_float_round_mode_16_64 0
		.amdhsa_float_denorm_mode_32 3
		.amdhsa_float_denorm_mode_16_64 3
		.amdhsa_dx10_clamp 1
		.amdhsa_ieee_mode 1
		.amdhsa_fp16_overflow 0
		.amdhsa_workgroup_processor_mode 1
		.amdhsa_memory_ordered 1
		.amdhsa_forward_progress 0
		.amdhsa_shared_vgpr_count 0
		.amdhsa_exception_fp_ieee_invalid_op 0
		.amdhsa_exception_fp_denorm_src 0
		.amdhsa_exception_fp_ieee_div_zero 0
		.amdhsa_exception_fp_ieee_overflow 0
		.amdhsa_exception_fp_ieee_underflow 0
		.amdhsa_exception_fp_ieee_inexact 0
		.amdhsa_exception_int_div_zero 0
	.end_amdhsa_kernel
	.section	.text._ZN7rocprim17ROCPRIM_400000_NS6detail17trampoline_kernelINS0_14default_configENS1_20scan_config_selectorIN3c107complexIdEEEEZZNS1_9scan_implILNS1_25lookback_scan_determinismE0ELb0ELb0ES3_PKS7_PS7_S7_ZZZN2at6native31launch_logcumsumexp_cuda_kernelERKNSE_10TensorBaseESI_lENKUlvE_clEvENKUlvE1_clEvEUlS7_S7_E_S7_EEDaPvRmT3_T4_T5_mT6_P12ihipStream_tbENKUlT_T0_E_clISt17integral_constantIbLb1EESY_IbLb0EEEEDaSU_SV_EUlSU_E0_NS1_11comp_targetILNS1_3genE3ELNS1_11target_archE908ELNS1_3gpuE7ELNS1_3repE0EEENS1_30default_config_static_selectorELNS0_4arch9wavefront6targetE0EEEvT1_,"axG",@progbits,_ZN7rocprim17ROCPRIM_400000_NS6detail17trampoline_kernelINS0_14default_configENS1_20scan_config_selectorIN3c107complexIdEEEEZZNS1_9scan_implILNS1_25lookback_scan_determinismE0ELb0ELb0ES3_PKS7_PS7_S7_ZZZN2at6native31launch_logcumsumexp_cuda_kernelERKNSE_10TensorBaseESI_lENKUlvE_clEvENKUlvE1_clEvEUlS7_S7_E_S7_EEDaPvRmT3_T4_T5_mT6_P12ihipStream_tbENKUlT_T0_E_clISt17integral_constantIbLb1EESY_IbLb0EEEEDaSU_SV_EUlSU_E0_NS1_11comp_targetILNS1_3genE3ELNS1_11target_archE908ELNS1_3gpuE7ELNS1_3repE0EEENS1_30default_config_static_selectorELNS0_4arch9wavefront6targetE0EEEvT1_,comdat
.Lfunc_end238:
	.size	_ZN7rocprim17ROCPRIM_400000_NS6detail17trampoline_kernelINS0_14default_configENS1_20scan_config_selectorIN3c107complexIdEEEEZZNS1_9scan_implILNS1_25lookback_scan_determinismE0ELb0ELb0ES3_PKS7_PS7_S7_ZZZN2at6native31launch_logcumsumexp_cuda_kernelERKNSE_10TensorBaseESI_lENKUlvE_clEvENKUlvE1_clEvEUlS7_S7_E_S7_EEDaPvRmT3_T4_T5_mT6_P12ihipStream_tbENKUlT_T0_E_clISt17integral_constantIbLb1EESY_IbLb0EEEEDaSU_SV_EUlSU_E0_NS1_11comp_targetILNS1_3genE3ELNS1_11target_archE908ELNS1_3gpuE7ELNS1_3repE0EEENS1_30default_config_static_selectorELNS0_4arch9wavefront6targetE0EEEvT1_, .Lfunc_end238-_ZN7rocprim17ROCPRIM_400000_NS6detail17trampoline_kernelINS0_14default_configENS1_20scan_config_selectorIN3c107complexIdEEEEZZNS1_9scan_implILNS1_25lookback_scan_determinismE0ELb0ELb0ES3_PKS7_PS7_S7_ZZZN2at6native31launch_logcumsumexp_cuda_kernelERKNSE_10TensorBaseESI_lENKUlvE_clEvENKUlvE1_clEvEUlS7_S7_E_S7_EEDaPvRmT3_T4_T5_mT6_P12ihipStream_tbENKUlT_T0_E_clISt17integral_constantIbLb1EESY_IbLb0EEEEDaSU_SV_EUlSU_E0_NS1_11comp_targetILNS1_3genE3ELNS1_11target_archE908ELNS1_3gpuE7ELNS1_3repE0EEENS1_30default_config_static_selectorELNS0_4arch9wavefront6targetE0EEEvT1_
                                        ; -- End function
	.section	.AMDGPU.csdata,"",@progbits
; Kernel info:
; codeLenInByte = 0
; NumSgprs: 0
; NumVgprs: 0
; ScratchSize: 0
; MemoryBound: 0
; FloatMode: 240
; IeeeMode: 1
; LDSByteSize: 0 bytes/workgroup (compile time only)
; SGPRBlocks: 0
; VGPRBlocks: 0
; NumSGPRsForWavesPerEU: 1
; NumVGPRsForWavesPerEU: 1
; Occupancy: 16
; WaveLimiterHint : 0
; COMPUTE_PGM_RSRC2:SCRATCH_EN: 0
; COMPUTE_PGM_RSRC2:USER_SGPR: 15
; COMPUTE_PGM_RSRC2:TRAP_HANDLER: 0
; COMPUTE_PGM_RSRC2:TGID_X_EN: 1
; COMPUTE_PGM_RSRC2:TGID_Y_EN: 0
; COMPUTE_PGM_RSRC2:TGID_Z_EN: 0
; COMPUTE_PGM_RSRC2:TIDIG_COMP_CNT: 0
	.section	.text._ZN7rocprim17ROCPRIM_400000_NS6detail17trampoline_kernelINS0_14default_configENS1_20scan_config_selectorIN3c107complexIdEEEEZZNS1_9scan_implILNS1_25lookback_scan_determinismE0ELb0ELb0ES3_PKS7_PS7_S7_ZZZN2at6native31launch_logcumsumexp_cuda_kernelERKNSE_10TensorBaseESI_lENKUlvE_clEvENKUlvE1_clEvEUlS7_S7_E_S7_EEDaPvRmT3_T4_T5_mT6_P12ihipStream_tbENKUlT_T0_E_clISt17integral_constantIbLb1EESY_IbLb0EEEEDaSU_SV_EUlSU_E0_NS1_11comp_targetILNS1_3genE2ELNS1_11target_archE906ELNS1_3gpuE6ELNS1_3repE0EEENS1_30default_config_static_selectorELNS0_4arch9wavefront6targetE0EEEvT1_,"axG",@progbits,_ZN7rocprim17ROCPRIM_400000_NS6detail17trampoline_kernelINS0_14default_configENS1_20scan_config_selectorIN3c107complexIdEEEEZZNS1_9scan_implILNS1_25lookback_scan_determinismE0ELb0ELb0ES3_PKS7_PS7_S7_ZZZN2at6native31launch_logcumsumexp_cuda_kernelERKNSE_10TensorBaseESI_lENKUlvE_clEvENKUlvE1_clEvEUlS7_S7_E_S7_EEDaPvRmT3_T4_T5_mT6_P12ihipStream_tbENKUlT_T0_E_clISt17integral_constantIbLb1EESY_IbLb0EEEEDaSU_SV_EUlSU_E0_NS1_11comp_targetILNS1_3genE2ELNS1_11target_archE906ELNS1_3gpuE6ELNS1_3repE0EEENS1_30default_config_static_selectorELNS0_4arch9wavefront6targetE0EEEvT1_,comdat
	.globl	_ZN7rocprim17ROCPRIM_400000_NS6detail17trampoline_kernelINS0_14default_configENS1_20scan_config_selectorIN3c107complexIdEEEEZZNS1_9scan_implILNS1_25lookback_scan_determinismE0ELb0ELb0ES3_PKS7_PS7_S7_ZZZN2at6native31launch_logcumsumexp_cuda_kernelERKNSE_10TensorBaseESI_lENKUlvE_clEvENKUlvE1_clEvEUlS7_S7_E_S7_EEDaPvRmT3_T4_T5_mT6_P12ihipStream_tbENKUlT_T0_E_clISt17integral_constantIbLb1EESY_IbLb0EEEEDaSU_SV_EUlSU_E0_NS1_11comp_targetILNS1_3genE2ELNS1_11target_archE906ELNS1_3gpuE6ELNS1_3repE0EEENS1_30default_config_static_selectorELNS0_4arch9wavefront6targetE0EEEvT1_ ; -- Begin function _ZN7rocprim17ROCPRIM_400000_NS6detail17trampoline_kernelINS0_14default_configENS1_20scan_config_selectorIN3c107complexIdEEEEZZNS1_9scan_implILNS1_25lookback_scan_determinismE0ELb0ELb0ES3_PKS7_PS7_S7_ZZZN2at6native31launch_logcumsumexp_cuda_kernelERKNSE_10TensorBaseESI_lENKUlvE_clEvENKUlvE1_clEvEUlS7_S7_E_S7_EEDaPvRmT3_T4_T5_mT6_P12ihipStream_tbENKUlT_T0_E_clISt17integral_constantIbLb1EESY_IbLb0EEEEDaSU_SV_EUlSU_E0_NS1_11comp_targetILNS1_3genE2ELNS1_11target_archE906ELNS1_3gpuE6ELNS1_3repE0EEENS1_30default_config_static_selectorELNS0_4arch9wavefront6targetE0EEEvT1_
	.p2align	8
	.type	_ZN7rocprim17ROCPRIM_400000_NS6detail17trampoline_kernelINS0_14default_configENS1_20scan_config_selectorIN3c107complexIdEEEEZZNS1_9scan_implILNS1_25lookback_scan_determinismE0ELb0ELb0ES3_PKS7_PS7_S7_ZZZN2at6native31launch_logcumsumexp_cuda_kernelERKNSE_10TensorBaseESI_lENKUlvE_clEvENKUlvE1_clEvEUlS7_S7_E_S7_EEDaPvRmT3_T4_T5_mT6_P12ihipStream_tbENKUlT_T0_E_clISt17integral_constantIbLb1EESY_IbLb0EEEEDaSU_SV_EUlSU_E0_NS1_11comp_targetILNS1_3genE2ELNS1_11target_archE906ELNS1_3gpuE6ELNS1_3repE0EEENS1_30default_config_static_selectorELNS0_4arch9wavefront6targetE0EEEvT1_,@function
_ZN7rocprim17ROCPRIM_400000_NS6detail17trampoline_kernelINS0_14default_configENS1_20scan_config_selectorIN3c107complexIdEEEEZZNS1_9scan_implILNS1_25lookback_scan_determinismE0ELb0ELb0ES3_PKS7_PS7_S7_ZZZN2at6native31launch_logcumsumexp_cuda_kernelERKNSE_10TensorBaseESI_lENKUlvE_clEvENKUlvE1_clEvEUlS7_S7_E_S7_EEDaPvRmT3_T4_T5_mT6_P12ihipStream_tbENKUlT_T0_E_clISt17integral_constantIbLb1EESY_IbLb0EEEEDaSU_SV_EUlSU_E0_NS1_11comp_targetILNS1_3genE2ELNS1_11target_archE906ELNS1_3gpuE6ELNS1_3repE0EEENS1_30default_config_static_selectorELNS0_4arch9wavefront6targetE0EEEvT1_: ; @_ZN7rocprim17ROCPRIM_400000_NS6detail17trampoline_kernelINS0_14default_configENS1_20scan_config_selectorIN3c107complexIdEEEEZZNS1_9scan_implILNS1_25lookback_scan_determinismE0ELb0ELb0ES3_PKS7_PS7_S7_ZZZN2at6native31launch_logcumsumexp_cuda_kernelERKNSE_10TensorBaseESI_lENKUlvE_clEvENKUlvE1_clEvEUlS7_S7_E_S7_EEDaPvRmT3_T4_T5_mT6_P12ihipStream_tbENKUlT_T0_E_clISt17integral_constantIbLb1EESY_IbLb0EEEEDaSU_SV_EUlSU_E0_NS1_11comp_targetILNS1_3genE2ELNS1_11target_archE906ELNS1_3gpuE6ELNS1_3repE0EEENS1_30default_config_static_selectorELNS0_4arch9wavefront6targetE0EEEvT1_
; %bb.0:
	.section	.rodata,"a",@progbits
	.p2align	6, 0x0
	.amdhsa_kernel _ZN7rocprim17ROCPRIM_400000_NS6detail17trampoline_kernelINS0_14default_configENS1_20scan_config_selectorIN3c107complexIdEEEEZZNS1_9scan_implILNS1_25lookback_scan_determinismE0ELb0ELb0ES3_PKS7_PS7_S7_ZZZN2at6native31launch_logcumsumexp_cuda_kernelERKNSE_10TensorBaseESI_lENKUlvE_clEvENKUlvE1_clEvEUlS7_S7_E_S7_EEDaPvRmT3_T4_T5_mT6_P12ihipStream_tbENKUlT_T0_E_clISt17integral_constantIbLb1EESY_IbLb0EEEEDaSU_SV_EUlSU_E0_NS1_11comp_targetILNS1_3genE2ELNS1_11target_archE906ELNS1_3gpuE6ELNS1_3repE0EEENS1_30default_config_static_selectorELNS0_4arch9wavefront6targetE0EEEvT1_
		.amdhsa_group_segment_fixed_size 0
		.amdhsa_private_segment_fixed_size 0
		.amdhsa_kernarg_size 48
		.amdhsa_user_sgpr_count 15
		.amdhsa_user_sgpr_dispatch_ptr 0
		.amdhsa_user_sgpr_queue_ptr 0
		.amdhsa_user_sgpr_kernarg_segment_ptr 1
		.amdhsa_user_sgpr_dispatch_id 0
		.amdhsa_user_sgpr_private_segment_size 0
		.amdhsa_wavefront_size32 1
		.amdhsa_uses_dynamic_stack 0
		.amdhsa_enable_private_segment 0
		.amdhsa_system_sgpr_workgroup_id_x 1
		.amdhsa_system_sgpr_workgroup_id_y 0
		.amdhsa_system_sgpr_workgroup_id_z 0
		.amdhsa_system_sgpr_workgroup_info 0
		.amdhsa_system_vgpr_workitem_id 0
		.amdhsa_next_free_vgpr 1
		.amdhsa_next_free_sgpr 1
		.amdhsa_reserve_vcc 0
		.amdhsa_float_round_mode_32 0
		.amdhsa_float_round_mode_16_64 0
		.amdhsa_float_denorm_mode_32 3
		.amdhsa_float_denorm_mode_16_64 3
		.amdhsa_dx10_clamp 1
		.amdhsa_ieee_mode 1
		.amdhsa_fp16_overflow 0
		.amdhsa_workgroup_processor_mode 1
		.amdhsa_memory_ordered 1
		.amdhsa_forward_progress 0
		.amdhsa_shared_vgpr_count 0
		.amdhsa_exception_fp_ieee_invalid_op 0
		.amdhsa_exception_fp_denorm_src 0
		.amdhsa_exception_fp_ieee_div_zero 0
		.amdhsa_exception_fp_ieee_overflow 0
		.amdhsa_exception_fp_ieee_underflow 0
		.amdhsa_exception_fp_ieee_inexact 0
		.amdhsa_exception_int_div_zero 0
	.end_amdhsa_kernel
	.section	.text._ZN7rocprim17ROCPRIM_400000_NS6detail17trampoline_kernelINS0_14default_configENS1_20scan_config_selectorIN3c107complexIdEEEEZZNS1_9scan_implILNS1_25lookback_scan_determinismE0ELb0ELb0ES3_PKS7_PS7_S7_ZZZN2at6native31launch_logcumsumexp_cuda_kernelERKNSE_10TensorBaseESI_lENKUlvE_clEvENKUlvE1_clEvEUlS7_S7_E_S7_EEDaPvRmT3_T4_T5_mT6_P12ihipStream_tbENKUlT_T0_E_clISt17integral_constantIbLb1EESY_IbLb0EEEEDaSU_SV_EUlSU_E0_NS1_11comp_targetILNS1_3genE2ELNS1_11target_archE906ELNS1_3gpuE6ELNS1_3repE0EEENS1_30default_config_static_selectorELNS0_4arch9wavefront6targetE0EEEvT1_,"axG",@progbits,_ZN7rocprim17ROCPRIM_400000_NS6detail17trampoline_kernelINS0_14default_configENS1_20scan_config_selectorIN3c107complexIdEEEEZZNS1_9scan_implILNS1_25lookback_scan_determinismE0ELb0ELb0ES3_PKS7_PS7_S7_ZZZN2at6native31launch_logcumsumexp_cuda_kernelERKNSE_10TensorBaseESI_lENKUlvE_clEvENKUlvE1_clEvEUlS7_S7_E_S7_EEDaPvRmT3_T4_T5_mT6_P12ihipStream_tbENKUlT_T0_E_clISt17integral_constantIbLb1EESY_IbLb0EEEEDaSU_SV_EUlSU_E0_NS1_11comp_targetILNS1_3genE2ELNS1_11target_archE906ELNS1_3gpuE6ELNS1_3repE0EEENS1_30default_config_static_selectorELNS0_4arch9wavefront6targetE0EEEvT1_,comdat
.Lfunc_end239:
	.size	_ZN7rocprim17ROCPRIM_400000_NS6detail17trampoline_kernelINS0_14default_configENS1_20scan_config_selectorIN3c107complexIdEEEEZZNS1_9scan_implILNS1_25lookback_scan_determinismE0ELb0ELb0ES3_PKS7_PS7_S7_ZZZN2at6native31launch_logcumsumexp_cuda_kernelERKNSE_10TensorBaseESI_lENKUlvE_clEvENKUlvE1_clEvEUlS7_S7_E_S7_EEDaPvRmT3_T4_T5_mT6_P12ihipStream_tbENKUlT_T0_E_clISt17integral_constantIbLb1EESY_IbLb0EEEEDaSU_SV_EUlSU_E0_NS1_11comp_targetILNS1_3genE2ELNS1_11target_archE906ELNS1_3gpuE6ELNS1_3repE0EEENS1_30default_config_static_selectorELNS0_4arch9wavefront6targetE0EEEvT1_, .Lfunc_end239-_ZN7rocprim17ROCPRIM_400000_NS6detail17trampoline_kernelINS0_14default_configENS1_20scan_config_selectorIN3c107complexIdEEEEZZNS1_9scan_implILNS1_25lookback_scan_determinismE0ELb0ELb0ES3_PKS7_PS7_S7_ZZZN2at6native31launch_logcumsumexp_cuda_kernelERKNSE_10TensorBaseESI_lENKUlvE_clEvENKUlvE1_clEvEUlS7_S7_E_S7_EEDaPvRmT3_T4_T5_mT6_P12ihipStream_tbENKUlT_T0_E_clISt17integral_constantIbLb1EESY_IbLb0EEEEDaSU_SV_EUlSU_E0_NS1_11comp_targetILNS1_3genE2ELNS1_11target_archE906ELNS1_3gpuE6ELNS1_3repE0EEENS1_30default_config_static_selectorELNS0_4arch9wavefront6targetE0EEEvT1_
                                        ; -- End function
	.section	.AMDGPU.csdata,"",@progbits
; Kernel info:
; codeLenInByte = 0
; NumSgprs: 0
; NumVgprs: 0
; ScratchSize: 0
; MemoryBound: 0
; FloatMode: 240
; IeeeMode: 1
; LDSByteSize: 0 bytes/workgroup (compile time only)
; SGPRBlocks: 0
; VGPRBlocks: 0
; NumSGPRsForWavesPerEU: 1
; NumVGPRsForWavesPerEU: 1
; Occupancy: 16
; WaveLimiterHint : 0
; COMPUTE_PGM_RSRC2:SCRATCH_EN: 0
; COMPUTE_PGM_RSRC2:USER_SGPR: 15
; COMPUTE_PGM_RSRC2:TRAP_HANDLER: 0
; COMPUTE_PGM_RSRC2:TGID_X_EN: 1
; COMPUTE_PGM_RSRC2:TGID_Y_EN: 0
; COMPUTE_PGM_RSRC2:TGID_Z_EN: 0
; COMPUTE_PGM_RSRC2:TIDIG_COMP_CNT: 0
	.section	.text._ZN7rocprim17ROCPRIM_400000_NS6detail17trampoline_kernelINS0_14default_configENS1_20scan_config_selectorIN3c107complexIdEEEEZZNS1_9scan_implILNS1_25lookback_scan_determinismE0ELb0ELb0ES3_PKS7_PS7_S7_ZZZN2at6native31launch_logcumsumexp_cuda_kernelERKNSE_10TensorBaseESI_lENKUlvE_clEvENKUlvE1_clEvEUlS7_S7_E_S7_EEDaPvRmT3_T4_T5_mT6_P12ihipStream_tbENKUlT_T0_E_clISt17integral_constantIbLb1EESY_IbLb0EEEEDaSU_SV_EUlSU_E0_NS1_11comp_targetILNS1_3genE10ELNS1_11target_archE1201ELNS1_3gpuE5ELNS1_3repE0EEENS1_30default_config_static_selectorELNS0_4arch9wavefront6targetE0EEEvT1_,"axG",@progbits,_ZN7rocprim17ROCPRIM_400000_NS6detail17trampoline_kernelINS0_14default_configENS1_20scan_config_selectorIN3c107complexIdEEEEZZNS1_9scan_implILNS1_25lookback_scan_determinismE0ELb0ELb0ES3_PKS7_PS7_S7_ZZZN2at6native31launch_logcumsumexp_cuda_kernelERKNSE_10TensorBaseESI_lENKUlvE_clEvENKUlvE1_clEvEUlS7_S7_E_S7_EEDaPvRmT3_T4_T5_mT6_P12ihipStream_tbENKUlT_T0_E_clISt17integral_constantIbLb1EESY_IbLb0EEEEDaSU_SV_EUlSU_E0_NS1_11comp_targetILNS1_3genE10ELNS1_11target_archE1201ELNS1_3gpuE5ELNS1_3repE0EEENS1_30default_config_static_selectorELNS0_4arch9wavefront6targetE0EEEvT1_,comdat
	.globl	_ZN7rocprim17ROCPRIM_400000_NS6detail17trampoline_kernelINS0_14default_configENS1_20scan_config_selectorIN3c107complexIdEEEEZZNS1_9scan_implILNS1_25lookback_scan_determinismE0ELb0ELb0ES3_PKS7_PS7_S7_ZZZN2at6native31launch_logcumsumexp_cuda_kernelERKNSE_10TensorBaseESI_lENKUlvE_clEvENKUlvE1_clEvEUlS7_S7_E_S7_EEDaPvRmT3_T4_T5_mT6_P12ihipStream_tbENKUlT_T0_E_clISt17integral_constantIbLb1EESY_IbLb0EEEEDaSU_SV_EUlSU_E0_NS1_11comp_targetILNS1_3genE10ELNS1_11target_archE1201ELNS1_3gpuE5ELNS1_3repE0EEENS1_30default_config_static_selectorELNS0_4arch9wavefront6targetE0EEEvT1_ ; -- Begin function _ZN7rocprim17ROCPRIM_400000_NS6detail17trampoline_kernelINS0_14default_configENS1_20scan_config_selectorIN3c107complexIdEEEEZZNS1_9scan_implILNS1_25lookback_scan_determinismE0ELb0ELb0ES3_PKS7_PS7_S7_ZZZN2at6native31launch_logcumsumexp_cuda_kernelERKNSE_10TensorBaseESI_lENKUlvE_clEvENKUlvE1_clEvEUlS7_S7_E_S7_EEDaPvRmT3_T4_T5_mT6_P12ihipStream_tbENKUlT_T0_E_clISt17integral_constantIbLb1EESY_IbLb0EEEEDaSU_SV_EUlSU_E0_NS1_11comp_targetILNS1_3genE10ELNS1_11target_archE1201ELNS1_3gpuE5ELNS1_3repE0EEENS1_30default_config_static_selectorELNS0_4arch9wavefront6targetE0EEEvT1_
	.p2align	8
	.type	_ZN7rocprim17ROCPRIM_400000_NS6detail17trampoline_kernelINS0_14default_configENS1_20scan_config_selectorIN3c107complexIdEEEEZZNS1_9scan_implILNS1_25lookback_scan_determinismE0ELb0ELb0ES3_PKS7_PS7_S7_ZZZN2at6native31launch_logcumsumexp_cuda_kernelERKNSE_10TensorBaseESI_lENKUlvE_clEvENKUlvE1_clEvEUlS7_S7_E_S7_EEDaPvRmT3_T4_T5_mT6_P12ihipStream_tbENKUlT_T0_E_clISt17integral_constantIbLb1EESY_IbLb0EEEEDaSU_SV_EUlSU_E0_NS1_11comp_targetILNS1_3genE10ELNS1_11target_archE1201ELNS1_3gpuE5ELNS1_3repE0EEENS1_30default_config_static_selectorELNS0_4arch9wavefront6targetE0EEEvT1_,@function
_ZN7rocprim17ROCPRIM_400000_NS6detail17trampoline_kernelINS0_14default_configENS1_20scan_config_selectorIN3c107complexIdEEEEZZNS1_9scan_implILNS1_25lookback_scan_determinismE0ELb0ELb0ES3_PKS7_PS7_S7_ZZZN2at6native31launch_logcumsumexp_cuda_kernelERKNSE_10TensorBaseESI_lENKUlvE_clEvENKUlvE1_clEvEUlS7_S7_E_S7_EEDaPvRmT3_T4_T5_mT6_P12ihipStream_tbENKUlT_T0_E_clISt17integral_constantIbLb1EESY_IbLb0EEEEDaSU_SV_EUlSU_E0_NS1_11comp_targetILNS1_3genE10ELNS1_11target_archE1201ELNS1_3gpuE5ELNS1_3repE0EEENS1_30default_config_static_selectorELNS0_4arch9wavefront6targetE0EEEvT1_: ; @_ZN7rocprim17ROCPRIM_400000_NS6detail17trampoline_kernelINS0_14default_configENS1_20scan_config_selectorIN3c107complexIdEEEEZZNS1_9scan_implILNS1_25lookback_scan_determinismE0ELb0ELb0ES3_PKS7_PS7_S7_ZZZN2at6native31launch_logcumsumexp_cuda_kernelERKNSE_10TensorBaseESI_lENKUlvE_clEvENKUlvE1_clEvEUlS7_S7_E_S7_EEDaPvRmT3_T4_T5_mT6_P12ihipStream_tbENKUlT_T0_E_clISt17integral_constantIbLb1EESY_IbLb0EEEEDaSU_SV_EUlSU_E0_NS1_11comp_targetILNS1_3genE10ELNS1_11target_archE1201ELNS1_3gpuE5ELNS1_3repE0EEENS1_30default_config_static_selectorELNS0_4arch9wavefront6targetE0EEEvT1_
; %bb.0:
	.section	.rodata,"a",@progbits
	.p2align	6, 0x0
	.amdhsa_kernel _ZN7rocprim17ROCPRIM_400000_NS6detail17trampoline_kernelINS0_14default_configENS1_20scan_config_selectorIN3c107complexIdEEEEZZNS1_9scan_implILNS1_25lookback_scan_determinismE0ELb0ELb0ES3_PKS7_PS7_S7_ZZZN2at6native31launch_logcumsumexp_cuda_kernelERKNSE_10TensorBaseESI_lENKUlvE_clEvENKUlvE1_clEvEUlS7_S7_E_S7_EEDaPvRmT3_T4_T5_mT6_P12ihipStream_tbENKUlT_T0_E_clISt17integral_constantIbLb1EESY_IbLb0EEEEDaSU_SV_EUlSU_E0_NS1_11comp_targetILNS1_3genE10ELNS1_11target_archE1201ELNS1_3gpuE5ELNS1_3repE0EEENS1_30default_config_static_selectorELNS0_4arch9wavefront6targetE0EEEvT1_
		.amdhsa_group_segment_fixed_size 0
		.amdhsa_private_segment_fixed_size 0
		.amdhsa_kernarg_size 48
		.amdhsa_user_sgpr_count 15
		.amdhsa_user_sgpr_dispatch_ptr 0
		.amdhsa_user_sgpr_queue_ptr 0
		.amdhsa_user_sgpr_kernarg_segment_ptr 1
		.amdhsa_user_sgpr_dispatch_id 0
		.amdhsa_user_sgpr_private_segment_size 0
		.amdhsa_wavefront_size32 1
		.amdhsa_uses_dynamic_stack 0
		.amdhsa_enable_private_segment 0
		.amdhsa_system_sgpr_workgroup_id_x 1
		.amdhsa_system_sgpr_workgroup_id_y 0
		.amdhsa_system_sgpr_workgroup_id_z 0
		.amdhsa_system_sgpr_workgroup_info 0
		.amdhsa_system_vgpr_workitem_id 0
		.amdhsa_next_free_vgpr 1
		.amdhsa_next_free_sgpr 1
		.amdhsa_reserve_vcc 0
		.amdhsa_float_round_mode_32 0
		.amdhsa_float_round_mode_16_64 0
		.amdhsa_float_denorm_mode_32 3
		.amdhsa_float_denorm_mode_16_64 3
		.amdhsa_dx10_clamp 1
		.amdhsa_ieee_mode 1
		.amdhsa_fp16_overflow 0
		.amdhsa_workgroup_processor_mode 1
		.amdhsa_memory_ordered 1
		.amdhsa_forward_progress 0
		.amdhsa_shared_vgpr_count 0
		.amdhsa_exception_fp_ieee_invalid_op 0
		.amdhsa_exception_fp_denorm_src 0
		.amdhsa_exception_fp_ieee_div_zero 0
		.amdhsa_exception_fp_ieee_overflow 0
		.amdhsa_exception_fp_ieee_underflow 0
		.amdhsa_exception_fp_ieee_inexact 0
		.amdhsa_exception_int_div_zero 0
	.end_amdhsa_kernel
	.section	.text._ZN7rocprim17ROCPRIM_400000_NS6detail17trampoline_kernelINS0_14default_configENS1_20scan_config_selectorIN3c107complexIdEEEEZZNS1_9scan_implILNS1_25lookback_scan_determinismE0ELb0ELb0ES3_PKS7_PS7_S7_ZZZN2at6native31launch_logcumsumexp_cuda_kernelERKNSE_10TensorBaseESI_lENKUlvE_clEvENKUlvE1_clEvEUlS7_S7_E_S7_EEDaPvRmT3_T4_T5_mT6_P12ihipStream_tbENKUlT_T0_E_clISt17integral_constantIbLb1EESY_IbLb0EEEEDaSU_SV_EUlSU_E0_NS1_11comp_targetILNS1_3genE10ELNS1_11target_archE1201ELNS1_3gpuE5ELNS1_3repE0EEENS1_30default_config_static_selectorELNS0_4arch9wavefront6targetE0EEEvT1_,"axG",@progbits,_ZN7rocprim17ROCPRIM_400000_NS6detail17trampoline_kernelINS0_14default_configENS1_20scan_config_selectorIN3c107complexIdEEEEZZNS1_9scan_implILNS1_25lookback_scan_determinismE0ELb0ELb0ES3_PKS7_PS7_S7_ZZZN2at6native31launch_logcumsumexp_cuda_kernelERKNSE_10TensorBaseESI_lENKUlvE_clEvENKUlvE1_clEvEUlS7_S7_E_S7_EEDaPvRmT3_T4_T5_mT6_P12ihipStream_tbENKUlT_T0_E_clISt17integral_constantIbLb1EESY_IbLb0EEEEDaSU_SV_EUlSU_E0_NS1_11comp_targetILNS1_3genE10ELNS1_11target_archE1201ELNS1_3gpuE5ELNS1_3repE0EEENS1_30default_config_static_selectorELNS0_4arch9wavefront6targetE0EEEvT1_,comdat
.Lfunc_end240:
	.size	_ZN7rocprim17ROCPRIM_400000_NS6detail17trampoline_kernelINS0_14default_configENS1_20scan_config_selectorIN3c107complexIdEEEEZZNS1_9scan_implILNS1_25lookback_scan_determinismE0ELb0ELb0ES3_PKS7_PS7_S7_ZZZN2at6native31launch_logcumsumexp_cuda_kernelERKNSE_10TensorBaseESI_lENKUlvE_clEvENKUlvE1_clEvEUlS7_S7_E_S7_EEDaPvRmT3_T4_T5_mT6_P12ihipStream_tbENKUlT_T0_E_clISt17integral_constantIbLb1EESY_IbLb0EEEEDaSU_SV_EUlSU_E0_NS1_11comp_targetILNS1_3genE10ELNS1_11target_archE1201ELNS1_3gpuE5ELNS1_3repE0EEENS1_30default_config_static_selectorELNS0_4arch9wavefront6targetE0EEEvT1_, .Lfunc_end240-_ZN7rocprim17ROCPRIM_400000_NS6detail17trampoline_kernelINS0_14default_configENS1_20scan_config_selectorIN3c107complexIdEEEEZZNS1_9scan_implILNS1_25lookback_scan_determinismE0ELb0ELb0ES3_PKS7_PS7_S7_ZZZN2at6native31launch_logcumsumexp_cuda_kernelERKNSE_10TensorBaseESI_lENKUlvE_clEvENKUlvE1_clEvEUlS7_S7_E_S7_EEDaPvRmT3_T4_T5_mT6_P12ihipStream_tbENKUlT_T0_E_clISt17integral_constantIbLb1EESY_IbLb0EEEEDaSU_SV_EUlSU_E0_NS1_11comp_targetILNS1_3genE10ELNS1_11target_archE1201ELNS1_3gpuE5ELNS1_3repE0EEENS1_30default_config_static_selectorELNS0_4arch9wavefront6targetE0EEEvT1_
                                        ; -- End function
	.section	.AMDGPU.csdata,"",@progbits
; Kernel info:
; codeLenInByte = 0
; NumSgprs: 0
; NumVgprs: 0
; ScratchSize: 0
; MemoryBound: 0
; FloatMode: 240
; IeeeMode: 1
; LDSByteSize: 0 bytes/workgroup (compile time only)
; SGPRBlocks: 0
; VGPRBlocks: 0
; NumSGPRsForWavesPerEU: 1
; NumVGPRsForWavesPerEU: 1
; Occupancy: 16
; WaveLimiterHint : 0
; COMPUTE_PGM_RSRC2:SCRATCH_EN: 0
; COMPUTE_PGM_RSRC2:USER_SGPR: 15
; COMPUTE_PGM_RSRC2:TRAP_HANDLER: 0
; COMPUTE_PGM_RSRC2:TGID_X_EN: 1
; COMPUTE_PGM_RSRC2:TGID_Y_EN: 0
; COMPUTE_PGM_RSRC2:TGID_Z_EN: 0
; COMPUTE_PGM_RSRC2:TIDIG_COMP_CNT: 0
	.section	.text._ZN7rocprim17ROCPRIM_400000_NS6detail17trampoline_kernelINS0_14default_configENS1_20scan_config_selectorIN3c107complexIdEEEEZZNS1_9scan_implILNS1_25lookback_scan_determinismE0ELb0ELb0ES3_PKS7_PS7_S7_ZZZN2at6native31launch_logcumsumexp_cuda_kernelERKNSE_10TensorBaseESI_lENKUlvE_clEvENKUlvE1_clEvEUlS7_S7_E_S7_EEDaPvRmT3_T4_T5_mT6_P12ihipStream_tbENKUlT_T0_E_clISt17integral_constantIbLb1EESY_IbLb0EEEEDaSU_SV_EUlSU_E0_NS1_11comp_targetILNS1_3genE10ELNS1_11target_archE1200ELNS1_3gpuE4ELNS1_3repE0EEENS1_30default_config_static_selectorELNS0_4arch9wavefront6targetE0EEEvT1_,"axG",@progbits,_ZN7rocprim17ROCPRIM_400000_NS6detail17trampoline_kernelINS0_14default_configENS1_20scan_config_selectorIN3c107complexIdEEEEZZNS1_9scan_implILNS1_25lookback_scan_determinismE0ELb0ELb0ES3_PKS7_PS7_S7_ZZZN2at6native31launch_logcumsumexp_cuda_kernelERKNSE_10TensorBaseESI_lENKUlvE_clEvENKUlvE1_clEvEUlS7_S7_E_S7_EEDaPvRmT3_T4_T5_mT6_P12ihipStream_tbENKUlT_T0_E_clISt17integral_constantIbLb1EESY_IbLb0EEEEDaSU_SV_EUlSU_E0_NS1_11comp_targetILNS1_3genE10ELNS1_11target_archE1200ELNS1_3gpuE4ELNS1_3repE0EEENS1_30default_config_static_selectorELNS0_4arch9wavefront6targetE0EEEvT1_,comdat
	.globl	_ZN7rocprim17ROCPRIM_400000_NS6detail17trampoline_kernelINS0_14default_configENS1_20scan_config_selectorIN3c107complexIdEEEEZZNS1_9scan_implILNS1_25lookback_scan_determinismE0ELb0ELb0ES3_PKS7_PS7_S7_ZZZN2at6native31launch_logcumsumexp_cuda_kernelERKNSE_10TensorBaseESI_lENKUlvE_clEvENKUlvE1_clEvEUlS7_S7_E_S7_EEDaPvRmT3_T4_T5_mT6_P12ihipStream_tbENKUlT_T0_E_clISt17integral_constantIbLb1EESY_IbLb0EEEEDaSU_SV_EUlSU_E0_NS1_11comp_targetILNS1_3genE10ELNS1_11target_archE1200ELNS1_3gpuE4ELNS1_3repE0EEENS1_30default_config_static_selectorELNS0_4arch9wavefront6targetE0EEEvT1_ ; -- Begin function _ZN7rocprim17ROCPRIM_400000_NS6detail17trampoline_kernelINS0_14default_configENS1_20scan_config_selectorIN3c107complexIdEEEEZZNS1_9scan_implILNS1_25lookback_scan_determinismE0ELb0ELb0ES3_PKS7_PS7_S7_ZZZN2at6native31launch_logcumsumexp_cuda_kernelERKNSE_10TensorBaseESI_lENKUlvE_clEvENKUlvE1_clEvEUlS7_S7_E_S7_EEDaPvRmT3_T4_T5_mT6_P12ihipStream_tbENKUlT_T0_E_clISt17integral_constantIbLb1EESY_IbLb0EEEEDaSU_SV_EUlSU_E0_NS1_11comp_targetILNS1_3genE10ELNS1_11target_archE1200ELNS1_3gpuE4ELNS1_3repE0EEENS1_30default_config_static_selectorELNS0_4arch9wavefront6targetE0EEEvT1_
	.p2align	8
	.type	_ZN7rocprim17ROCPRIM_400000_NS6detail17trampoline_kernelINS0_14default_configENS1_20scan_config_selectorIN3c107complexIdEEEEZZNS1_9scan_implILNS1_25lookback_scan_determinismE0ELb0ELb0ES3_PKS7_PS7_S7_ZZZN2at6native31launch_logcumsumexp_cuda_kernelERKNSE_10TensorBaseESI_lENKUlvE_clEvENKUlvE1_clEvEUlS7_S7_E_S7_EEDaPvRmT3_T4_T5_mT6_P12ihipStream_tbENKUlT_T0_E_clISt17integral_constantIbLb1EESY_IbLb0EEEEDaSU_SV_EUlSU_E0_NS1_11comp_targetILNS1_3genE10ELNS1_11target_archE1200ELNS1_3gpuE4ELNS1_3repE0EEENS1_30default_config_static_selectorELNS0_4arch9wavefront6targetE0EEEvT1_,@function
_ZN7rocprim17ROCPRIM_400000_NS6detail17trampoline_kernelINS0_14default_configENS1_20scan_config_selectorIN3c107complexIdEEEEZZNS1_9scan_implILNS1_25lookback_scan_determinismE0ELb0ELb0ES3_PKS7_PS7_S7_ZZZN2at6native31launch_logcumsumexp_cuda_kernelERKNSE_10TensorBaseESI_lENKUlvE_clEvENKUlvE1_clEvEUlS7_S7_E_S7_EEDaPvRmT3_T4_T5_mT6_P12ihipStream_tbENKUlT_T0_E_clISt17integral_constantIbLb1EESY_IbLb0EEEEDaSU_SV_EUlSU_E0_NS1_11comp_targetILNS1_3genE10ELNS1_11target_archE1200ELNS1_3gpuE4ELNS1_3repE0EEENS1_30default_config_static_selectorELNS0_4arch9wavefront6targetE0EEEvT1_: ; @_ZN7rocprim17ROCPRIM_400000_NS6detail17trampoline_kernelINS0_14default_configENS1_20scan_config_selectorIN3c107complexIdEEEEZZNS1_9scan_implILNS1_25lookback_scan_determinismE0ELb0ELb0ES3_PKS7_PS7_S7_ZZZN2at6native31launch_logcumsumexp_cuda_kernelERKNSE_10TensorBaseESI_lENKUlvE_clEvENKUlvE1_clEvEUlS7_S7_E_S7_EEDaPvRmT3_T4_T5_mT6_P12ihipStream_tbENKUlT_T0_E_clISt17integral_constantIbLb1EESY_IbLb0EEEEDaSU_SV_EUlSU_E0_NS1_11comp_targetILNS1_3genE10ELNS1_11target_archE1200ELNS1_3gpuE4ELNS1_3repE0EEENS1_30default_config_static_selectorELNS0_4arch9wavefront6targetE0EEEvT1_
; %bb.0:
	.section	.rodata,"a",@progbits
	.p2align	6, 0x0
	.amdhsa_kernel _ZN7rocprim17ROCPRIM_400000_NS6detail17trampoline_kernelINS0_14default_configENS1_20scan_config_selectorIN3c107complexIdEEEEZZNS1_9scan_implILNS1_25lookback_scan_determinismE0ELb0ELb0ES3_PKS7_PS7_S7_ZZZN2at6native31launch_logcumsumexp_cuda_kernelERKNSE_10TensorBaseESI_lENKUlvE_clEvENKUlvE1_clEvEUlS7_S7_E_S7_EEDaPvRmT3_T4_T5_mT6_P12ihipStream_tbENKUlT_T0_E_clISt17integral_constantIbLb1EESY_IbLb0EEEEDaSU_SV_EUlSU_E0_NS1_11comp_targetILNS1_3genE10ELNS1_11target_archE1200ELNS1_3gpuE4ELNS1_3repE0EEENS1_30default_config_static_selectorELNS0_4arch9wavefront6targetE0EEEvT1_
		.amdhsa_group_segment_fixed_size 0
		.amdhsa_private_segment_fixed_size 0
		.amdhsa_kernarg_size 48
		.amdhsa_user_sgpr_count 15
		.amdhsa_user_sgpr_dispatch_ptr 0
		.amdhsa_user_sgpr_queue_ptr 0
		.amdhsa_user_sgpr_kernarg_segment_ptr 1
		.amdhsa_user_sgpr_dispatch_id 0
		.amdhsa_user_sgpr_private_segment_size 0
		.amdhsa_wavefront_size32 1
		.amdhsa_uses_dynamic_stack 0
		.amdhsa_enable_private_segment 0
		.amdhsa_system_sgpr_workgroup_id_x 1
		.amdhsa_system_sgpr_workgroup_id_y 0
		.amdhsa_system_sgpr_workgroup_id_z 0
		.amdhsa_system_sgpr_workgroup_info 0
		.amdhsa_system_vgpr_workitem_id 0
		.amdhsa_next_free_vgpr 1
		.amdhsa_next_free_sgpr 1
		.amdhsa_reserve_vcc 0
		.amdhsa_float_round_mode_32 0
		.amdhsa_float_round_mode_16_64 0
		.amdhsa_float_denorm_mode_32 3
		.amdhsa_float_denorm_mode_16_64 3
		.amdhsa_dx10_clamp 1
		.amdhsa_ieee_mode 1
		.amdhsa_fp16_overflow 0
		.amdhsa_workgroup_processor_mode 1
		.amdhsa_memory_ordered 1
		.amdhsa_forward_progress 0
		.amdhsa_shared_vgpr_count 0
		.amdhsa_exception_fp_ieee_invalid_op 0
		.amdhsa_exception_fp_denorm_src 0
		.amdhsa_exception_fp_ieee_div_zero 0
		.amdhsa_exception_fp_ieee_overflow 0
		.amdhsa_exception_fp_ieee_underflow 0
		.amdhsa_exception_fp_ieee_inexact 0
		.amdhsa_exception_int_div_zero 0
	.end_amdhsa_kernel
	.section	.text._ZN7rocprim17ROCPRIM_400000_NS6detail17trampoline_kernelINS0_14default_configENS1_20scan_config_selectorIN3c107complexIdEEEEZZNS1_9scan_implILNS1_25lookback_scan_determinismE0ELb0ELb0ES3_PKS7_PS7_S7_ZZZN2at6native31launch_logcumsumexp_cuda_kernelERKNSE_10TensorBaseESI_lENKUlvE_clEvENKUlvE1_clEvEUlS7_S7_E_S7_EEDaPvRmT3_T4_T5_mT6_P12ihipStream_tbENKUlT_T0_E_clISt17integral_constantIbLb1EESY_IbLb0EEEEDaSU_SV_EUlSU_E0_NS1_11comp_targetILNS1_3genE10ELNS1_11target_archE1200ELNS1_3gpuE4ELNS1_3repE0EEENS1_30default_config_static_selectorELNS0_4arch9wavefront6targetE0EEEvT1_,"axG",@progbits,_ZN7rocprim17ROCPRIM_400000_NS6detail17trampoline_kernelINS0_14default_configENS1_20scan_config_selectorIN3c107complexIdEEEEZZNS1_9scan_implILNS1_25lookback_scan_determinismE0ELb0ELb0ES3_PKS7_PS7_S7_ZZZN2at6native31launch_logcumsumexp_cuda_kernelERKNSE_10TensorBaseESI_lENKUlvE_clEvENKUlvE1_clEvEUlS7_S7_E_S7_EEDaPvRmT3_T4_T5_mT6_P12ihipStream_tbENKUlT_T0_E_clISt17integral_constantIbLb1EESY_IbLb0EEEEDaSU_SV_EUlSU_E0_NS1_11comp_targetILNS1_3genE10ELNS1_11target_archE1200ELNS1_3gpuE4ELNS1_3repE0EEENS1_30default_config_static_selectorELNS0_4arch9wavefront6targetE0EEEvT1_,comdat
.Lfunc_end241:
	.size	_ZN7rocprim17ROCPRIM_400000_NS6detail17trampoline_kernelINS0_14default_configENS1_20scan_config_selectorIN3c107complexIdEEEEZZNS1_9scan_implILNS1_25lookback_scan_determinismE0ELb0ELb0ES3_PKS7_PS7_S7_ZZZN2at6native31launch_logcumsumexp_cuda_kernelERKNSE_10TensorBaseESI_lENKUlvE_clEvENKUlvE1_clEvEUlS7_S7_E_S7_EEDaPvRmT3_T4_T5_mT6_P12ihipStream_tbENKUlT_T0_E_clISt17integral_constantIbLb1EESY_IbLb0EEEEDaSU_SV_EUlSU_E0_NS1_11comp_targetILNS1_3genE10ELNS1_11target_archE1200ELNS1_3gpuE4ELNS1_3repE0EEENS1_30default_config_static_selectorELNS0_4arch9wavefront6targetE0EEEvT1_, .Lfunc_end241-_ZN7rocprim17ROCPRIM_400000_NS6detail17trampoline_kernelINS0_14default_configENS1_20scan_config_selectorIN3c107complexIdEEEEZZNS1_9scan_implILNS1_25lookback_scan_determinismE0ELb0ELb0ES3_PKS7_PS7_S7_ZZZN2at6native31launch_logcumsumexp_cuda_kernelERKNSE_10TensorBaseESI_lENKUlvE_clEvENKUlvE1_clEvEUlS7_S7_E_S7_EEDaPvRmT3_T4_T5_mT6_P12ihipStream_tbENKUlT_T0_E_clISt17integral_constantIbLb1EESY_IbLb0EEEEDaSU_SV_EUlSU_E0_NS1_11comp_targetILNS1_3genE10ELNS1_11target_archE1200ELNS1_3gpuE4ELNS1_3repE0EEENS1_30default_config_static_selectorELNS0_4arch9wavefront6targetE0EEEvT1_
                                        ; -- End function
	.section	.AMDGPU.csdata,"",@progbits
; Kernel info:
; codeLenInByte = 0
; NumSgprs: 0
; NumVgprs: 0
; ScratchSize: 0
; MemoryBound: 0
; FloatMode: 240
; IeeeMode: 1
; LDSByteSize: 0 bytes/workgroup (compile time only)
; SGPRBlocks: 0
; VGPRBlocks: 0
; NumSGPRsForWavesPerEU: 1
; NumVGPRsForWavesPerEU: 1
; Occupancy: 16
; WaveLimiterHint : 0
; COMPUTE_PGM_RSRC2:SCRATCH_EN: 0
; COMPUTE_PGM_RSRC2:USER_SGPR: 15
; COMPUTE_PGM_RSRC2:TRAP_HANDLER: 0
; COMPUTE_PGM_RSRC2:TGID_X_EN: 1
; COMPUTE_PGM_RSRC2:TGID_Y_EN: 0
; COMPUTE_PGM_RSRC2:TGID_Z_EN: 0
; COMPUTE_PGM_RSRC2:TIDIG_COMP_CNT: 0
	.section	.text._ZN7rocprim17ROCPRIM_400000_NS6detail17trampoline_kernelINS0_14default_configENS1_20scan_config_selectorIN3c107complexIdEEEEZZNS1_9scan_implILNS1_25lookback_scan_determinismE0ELb0ELb0ES3_PKS7_PS7_S7_ZZZN2at6native31launch_logcumsumexp_cuda_kernelERKNSE_10TensorBaseESI_lENKUlvE_clEvENKUlvE1_clEvEUlS7_S7_E_S7_EEDaPvRmT3_T4_T5_mT6_P12ihipStream_tbENKUlT_T0_E_clISt17integral_constantIbLb1EESY_IbLb0EEEEDaSU_SV_EUlSU_E0_NS1_11comp_targetILNS1_3genE9ELNS1_11target_archE1100ELNS1_3gpuE3ELNS1_3repE0EEENS1_30default_config_static_selectorELNS0_4arch9wavefront6targetE0EEEvT1_,"axG",@progbits,_ZN7rocprim17ROCPRIM_400000_NS6detail17trampoline_kernelINS0_14default_configENS1_20scan_config_selectorIN3c107complexIdEEEEZZNS1_9scan_implILNS1_25lookback_scan_determinismE0ELb0ELb0ES3_PKS7_PS7_S7_ZZZN2at6native31launch_logcumsumexp_cuda_kernelERKNSE_10TensorBaseESI_lENKUlvE_clEvENKUlvE1_clEvEUlS7_S7_E_S7_EEDaPvRmT3_T4_T5_mT6_P12ihipStream_tbENKUlT_T0_E_clISt17integral_constantIbLb1EESY_IbLb0EEEEDaSU_SV_EUlSU_E0_NS1_11comp_targetILNS1_3genE9ELNS1_11target_archE1100ELNS1_3gpuE3ELNS1_3repE0EEENS1_30default_config_static_selectorELNS0_4arch9wavefront6targetE0EEEvT1_,comdat
	.globl	_ZN7rocprim17ROCPRIM_400000_NS6detail17trampoline_kernelINS0_14default_configENS1_20scan_config_selectorIN3c107complexIdEEEEZZNS1_9scan_implILNS1_25lookback_scan_determinismE0ELb0ELb0ES3_PKS7_PS7_S7_ZZZN2at6native31launch_logcumsumexp_cuda_kernelERKNSE_10TensorBaseESI_lENKUlvE_clEvENKUlvE1_clEvEUlS7_S7_E_S7_EEDaPvRmT3_T4_T5_mT6_P12ihipStream_tbENKUlT_T0_E_clISt17integral_constantIbLb1EESY_IbLb0EEEEDaSU_SV_EUlSU_E0_NS1_11comp_targetILNS1_3genE9ELNS1_11target_archE1100ELNS1_3gpuE3ELNS1_3repE0EEENS1_30default_config_static_selectorELNS0_4arch9wavefront6targetE0EEEvT1_ ; -- Begin function _ZN7rocprim17ROCPRIM_400000_NS6detail17trampoline_kernelINS0_14default_configENS1_20scan_config_selectorIN3c107complexIdEEEEZZNS1_9scan_implILNS1_25lookback_scan_determinismE0ELb0ELb0ES3_PKS7_PS7_S7_ZZZN2at6native31launch_logcumsumexp_cuda_kernelERKNSE_10TensorBaseESI_lENKUlvE_clEvENKUlvE1_clEvEUlS7_S7_E_S7_EEDaPvRmT3_T4_T5_mT6_P12ihipStream_tbENKUlT_T0_E_clISt17integral_constantIbLb1EESY_IbLb0EEEEDaSU_SV_EUlSU_E0_NS1_11comp_targetILNS1_3genE9ELNS1_11target_archE1100ELNS1_3gpuE3ELNS1_3repE0EEENS1_30default_config_static_selectorELNS0_4arch9wavefront6targetE0EEEvT1_
	.p2align	8
	.type	_ZN7rocprim17ROCPRIM_400000_NS6detail17trampoline_kernelINS0_14default_configENS1_20scan_config_selectorIN3c107complexIdEEEEZZNS1_9scan_implILNS1_25lookback_scan_determinismE0ELb0ELb0ES3_PKS7_PS7_S7_ZZZN2at6native31launch_logcumsumexp_cuda_kernelERKNSE_10TensorBaseESI_lENKUlvE_clEvENKUlvE1_clEvEUlS7_S7_E_S7_EEDaPvRmT3_T4_T5_mT6_P12ihipStream_tbENKUlT_T0_E_clISt17integral_constantIbLb1EESY_IbLb0EEEEDaSU_SV_EUlSU_E0_NS1_11comp_targetILNS1_3genE9ELNS1_11target_archE1100ELNS1_3gpuE3ELNS1_3repE0EEENS1_30default_config_static_selectorELNS0_4arch9wavefront6targetE0EEEvT1_,@function
_ZN7rocprim17ROCPRIM_400000_NS6detail17trampoline_kernelINS0_14default_configENS1_20scan_config_selectorIN3c107complexIdEEEEZZNS1_9scan_implILNS1_25lookback_scan_determinismE0ELb0ELb0ES3_PKS7_PS7_S7_ZZZN2at6native31launch_logcumsumexp_cuda_kernelERKNSE_10TensorBaseESI_lENKUlvE_clEvENKUlvE1_clEvEUlS7_S7_E_S7_EEDaPvRmT3_T4_T5_mT6_P12ihipStream_tbENKUlT_T0_E_clISt17integral_constantIbLb1EESY_IbLb0EEEEDaSU_SV_EUlSU_E0_NS1_11comp_targetILNS1_3genE9ELNS1_11target_archE1100ELNS1_3gpuE3ELNS1_3repE0EEENS1_30default_config_static_selectorELNS0_4arch9wavefront6targetE0EEEvT1_: ; @_ZN7rocprim17ROCPRIM_400000_NS6detail17trampoline_kernelINS0_14default_configENS1_20scan_config_selectorIN3c107complexIdEEEEZZNS1_9scan_implILNS1_25lookback_scan_determinismE0ELb0ELb0ES3_PKS7_PS7_S7_ZZZN2at6native31launch_logcumsumexp_cuda_kernelERKNSE_10TensorBaseESI_lENKUlvE_clEvENKUlvE1_clEvEUlS7_S7_E_S7_EEDaPvRmT3_T4_T5_mT6_P12ihipStream_tbENKUlT_T0_E_clISt17integral_constantIbLb1EESY_IbLb0EEEEDaSU_SV_EUlSU_E0_NS1_11comp_targetILNS1_3genE9ELNS1_11target_archE1100ELNS1_3gpuE3ELNS1_3repE0EEENS1_30default_config_static_selectorELNS0_4arch9wavefront6targetE0EEEvT1_
; %bb.0:
	s_mov_b64 s[18:19], s[0:1]
	s_load_b128 s[0:3], s[0:1], 0x0
	s_mov_b32 s32, 0
	s_waitcnt lgkmcnt(0)
	s_load_b128 s[4:7], s[0:1], 0x0
	v_mov_b32_e32 v156, v0
	s_waitcnt lgkmcnt(0)
	v_dual_mov_b32 v2, s6 :: v_dual_mov_b32 v3, s7
	s_delay_alu instid0(VALU_DEP_2) | instskip(SKIP_2) | instid1(VALU_DEP_2)
	v_dual_mov_b32 v0, s4 :: v_dual_lshlrev_b32 v157, 4, v156
	v_cmp_gt_u32_e64 s17, s2, v156
	v_mov_b32_e32 v1, s5
	s_and_saveexec_b32 s3, s17
	s_cbranch_execz .LBB242_2
; %bb.1:
	global_load_b128 v[0:3], v157, s[0:1]
.LBB242_2:
	s_or_b32 exec_lo, exec_lo, s3
	v_or_b32_e32 v32, 0x100, v156
	v_dual_mov_b32 v6, s6 :: v_dual_mov_b32 v7, s7
	v_dual_mov_b32 v4, s4 :: v_dual_mov_b32 v5, s5
	s_delay_alu instid0(VALU_DEP_3) | instskip(NEXT) | instid1(VALU_DEP_1)
	v_cmp_gt_u32_e64 s20, s2, v32
	s_and_saveexec_b32 s3, s20
	s_cbranch_execz .LBB242_4
; %bb.3:
	v_lshlrev_b32_e32 v4, 4, v32
	global_load_b128 v[4:7], v4, s[0:1]
.LBB242_4:
	s_or_b32 exec_lo, exec_lo, s3
	v_or_b32_e32 v33, 0x200, v156
	v_dual_mov_b32 v11, s7 :: v_dual_mov_b32 v10, s6
	v_dual_mov_b32 v9, s5 :: v_dual_mov_b32 v8, s4
	s_delay_alu instid0(VALU_DEP_3) | instskip(NEXT) | instid1(VALU_DEP_1)
	v_cmp_gt_u32_e64 s21, s2, v33
	s_and_saveexec_b32 s3, s21
	s_cbranch_execz .LBB242_6
; %bb.5:
	v_lshlrev_b32_e32 v8, 4, v33
	global_load_b128 v[8:11], v8, s[0:1]
.LBB242_6:
	;; [unrolled: 12-line block ×7, first 2 shown]
	s_or_b32 exec_lo, exec_lo, s2
	v_lshrrev_b32_e32 v39, 1, v156
	v_lshrrev_b32_e32 v32, 1, v32
	v_lshrrev_b32_e32 v35, 1, v35
	v_lshrrev_b32_e32 v33, 1, v33
	v_lshrrev_b32_e32 v34, 1, v34
	v_and_b32_e32 v167, 0x70, v39
	v_and_b32_e32 v32, 0xf0, v32
	s_getpc_b64 s[28:29]
	s_add_u32 s28, s28, _ZZZZN2at6native31launch_logcumsumexp_cuda_kernelERKNS_10TensorBaseES3_lENKUlvE_clEvENKUlvE1_clEvENKUlN3c107complexIdEES8_E_clES8_S8_@rel32@lo+4
	s_addc_u32 s29, s29, _ZZZZN2at6native31launch_logcumsumexp_cuda_kernelERKNS_10TensorBaseES3_lENKUlvE_clEvENKUlvE1_clEvENKUlN3c107complexIdEES8_E_clES8_S8_@rel32@hi+12
	v_and_b32_e32 v33, 0x1f0, v33
	v_and_b32_e32 v34, 0x1f0, v34
	v_add_nc_u32_e32 v158, v167, v157
	v_add_nc_u32_e32 v159, v32, v157
	v_lshrrev_b32_e32 v32, 1, v36
	v_add_nc_u32_e32 v160, v33, v157
	v_add_nc_u32_e32 v161, v34, v157
	s_waitcnt vmcnt(0)
	ds_store_b128 v158, v[0:3]
	ds_store_b128 v159, v[4:7] offset:4096
	v_and_b32_e32 v0, 0x3f0, v35
	v_and_b32_e32 v1, 0x3f0, v32
	v_lshrrev_b32_e32 v2, 1, v37
	v_lshrrev_b32_e32 v3, 1, v38
	ds_store_b128 v160, v[8:11] offset:8192
	ds_store_b128 v161, v[12:15] offset:12288
	v_add_nc_u32_e32 v162, v0, v157
	v_add_nc_u32_e32 v163, v1, v157
	v_and_b32_e32 v0, 0x3f0, v2
	v_and_b32_e32 v2, 0x3f0, v3
	v_lshlrev_b32_e32 v1, 3, v156
	v_lshrrev_b32_e32 v3, 2, v156
	ds_store_b128 v162, v[16:19] offset:16384
	ds_store_b128 v163, v[20:23] offset:20480
	v_add_nc_u32_e32 v164, v0, v157
	v_add_nc_u32_e32 v165, v2, v157
	ds_store_b128 v164, v[24:27] offset:24576
	ds_store_b128 v165, v[28:31] offset:28672
	v_add_lshl_u32 v166, v3, v1, 4
	s_waitcnt lgkmcnt(0)
	s_barrier
	buffer_gl0_inv
	ds_load_b128 v[40:43], v166
	ds_load_b128 v[124:127], v166 offset:16
	ds_load_b128 v[108:111], v166 offset:32
	;; [unrolled: 1-line block ×7, first 2 shown]
	s_waitcnt lgkmcnt(0)
	s_barrier
	buffer_gl0_inv
	v_mov_b32_e32 v0, v40
	v_dual_mov_b32 v4, v124 :: v_dual_mov_b32 v1, v41
	v_dual_mov_b32 v2, v42 :: v_dual_mov_b32 v3, v43
	;; [unrolled: 1-line block ×3, first 2 shown]
	v_mov_b32_e32 v7, v127
	s_swappc_b64 s[30:31], s[28:29]
	v_dual_mov_b32 v4, v108 :: v_dual_mov_b32 v5, v109
	v_dual_mov_b32 v6, v110 :: v_dual_mov_b32 v7, v111
	v_dual_mov_b32 v56, v0 :: v_dual_mov_b32 v57, v1
	v_dual_mov_b32 v58, v2 :: v_dual_mov_b32 v59, v3
	s_swappc_b64 s[30:31], s[28:29]
	v_dual_mov_b32 v4, v92 :: v_dual_mov_b32 v5, v93
	v_dual_mov_b32 v6, v94 :: v_dual_mov_b32 v7, v95
	v_dual_mov_b32 v76, v0 :: v_dual_mov_b32 v77, v1
	v_dual_mov_b32 v78, v2 :: v_dual_mov_b32 v79, v3
	;; [unrolled: 5-line block ×6, first 2 shown]
	s_swappc_b64 s[30:31], s[28:29]
	v_dual_mov_b32 v146, v2 :: v_dual_mov_b32 v147, v3
	v_mbcnt_lo_u32_b32 v168, -1, 0
	v_dual_mov_b32 v144, v0 :: v_dual_mov_b32 v145, v1
	s_delay_alu instid0(VALU_DEP_3) | instskip(NEXT) | instid1(VALU_DEP_3)
	v_mov_b32_dpp v6, v146 row_shr:1 row_mask:0xf bank_mask:0xf
	v_dual_mov_b32 v151, v147 :: v_dual_and_b32 v152, 15, v168
	s_delay_alu instid0(VALU_DEP_3) | instskip(NEXT) | instid1(VALU_DEP_4)
	v_dual_mov_b32 v150, v146 :: v_dual_mov_b32 v149, v145
	v_mov_b32_dpp v4, v144 row_shr:1 row_mask:0xf bank_mask:0xf
	v_mov_b32_dpp v5, v145 row_shr:1 row_mask:0xf bank_mask:0xf
	;; [unrolled: 1-line block ×3, first 2 shown]
	v_mov_b32_e32 v148, v144
	s_mov_b32 s27, exec_lo
	v_cmpx_ne_u32_e32 0, v152
	s_cbranch_execz .LBB242_18
; %bb.17:
	v_dual_mov_b32 v0, v4 :: v_dual_mov_b32 v1, v5
	v_dual_mov_b32 v2, v6 :: v_dual_mov_b32 v3, v7
	v_dual_mov_b32 v4, v144 :: v_dual_mov_b32 v5, v145
	v_dual_mov_b32 v6, v146 :: v_dual_mov_b32 v7, v147
	s_swappc_b64 s[30:31], s[28:29]
	v_dual_mov_b32 v148, v0 :: v_dual_mov_b32 v149, v1
	v_dual_mov_b32 v150, v2 :: v_dual_mov_b32 v151, v3
.LBB242_18:
	s_or_b32 exec_lo, exec_lo, s27
	v_mov_b32_dpp v4, v0 row_shr:2 row_mask:0xf bank_mask:0xf
	v_mov_b32_dpp v5, v1 row_shr:2 row_mask:0xf bank_mask:0xf
	v_mov_b32_dpp v6, v2 row_shr:2 row_mask:0xf bank_mask:0xf
	v_mov_b32_dpp v7, v3 row_shr:2 row_mask:0xf bank_mask:0xf
	s_mov_b32 s27, exec_lo
	v_cmpx_lt_u32_e32 1, v152
	s_cbranch_execz .LBB242_20
; %bb.19:
	v_dual_mov_b32 v0, v4 :: v_dual_mov_b32 v1, v5
	v_dual_mov_b32 v2, v6 :: v_dual_mov_b32 v3, v7
	v_dual_mov_b32 v4, v148 :: v_dual_mov_b32 v5, v149
	v_dual_mov_b32 v6, v150 :: v_dual_mov_b32 v7, v151
	s_getpc_b64 s[0:1]
	s_add_u32 s0, s0, _ZZZZN2at6native31launch_logcumsumexp_cuda_kernelERKNS_10TensorBaseES3_lENKUlvE_clEvENKUlvE1_clEvENKUlN3c107complexIdEES8_E_clES8_S8_@rel32@lo+4
	s_addc_u32 s1, s1, _ZZZZN2at6native31launch_logcumsumexp_cuda_kernelERKNS_10TensorBaseES3_lENKUlvE_clEvENKUlvE1_clEvENKUlN3c107complexIdEES8_E_clES8_S8_@rel32@hi+12
	s_delay_alu instid0(SALU_CYCLE_1)
	s_swappc_b64 s[30:31], s[0:1]
	v_dual_mov_b32 v151, v3 :: v_dual_mov_b32 v150, v2
	v_dual_mov_b32 v149, v1 :: v_dual_mov_b32 v148, v0
.LBB242_20:
	s_or_b32 exec_lo, exec_lo, s27
	v_mov_b32_dpp v4, v0 row_shr:4 row_mask:0xf bank_mask:0xf
	v_mov_b32_dpp v5, v1 row_shr:4 row_mask:0xf bank_mask:0xf
	v_mov_b32_dpp v6, v2 row_shr:4 row_mask:0xf bank_mask:0xf
	v_mov_b32_dpp v7, v3 row_shr:4 row_mask:0xf bank_mask:0xf
	s_mov_b32 s27, exec_lo
	v_cmpx_lt_u32_e32 3, v152
	s_cbranch_execz .LBB242_22
; %bb.21:
	v_dual_mov_b32 v0, v4 :: v_dual_mov_b32 v1, v5
	v_dual_mov_b32 v2, v6 :: v_dual_mov_b32 v3, v7
	v_dual_mov_b32 v4, v148 :: v_dual_mov_b32 v5, v149
	v_dual_mov_b32 v6, v150 :: v_dual_mov_b32 v7, v151
	s_getpc_b64 s[0:1]
	s_add_u32 s0, s0, _ZZZZN2at6native31launch_logcumsumexp_cuda_kernelERKNS_10TensorBaseES3_lENKUlvE_clEvENKUlvE1_clEvENKUlN3c107complexIdEES8_E_clES8_S8_@rel32@lo+4
	s_addc_u32 s1, s1, _ZZZZN2at6native31launch_logcumsumexp_cuda_kernelERKNS_10TensorBaseES3_lENKUlvE_clEvENKUlvE1_clEvENKUlN3c107complexIdEES8_E_clES8_S8_@rel32@hi+12
	s_delay_alu instid0(SALU_CYCLE_1)
	s_swappc_b64 s[30:31], s[0:1]
	v_dual_mov_b32 v151, v3 :: v_dual_mov_b32 v150, v2
	v_dual_mov_b32 v149, v1 :: v_dual_mov_b32 v148, v0
.LBB242_22:
	;; [unrolled: 21-line block ×3, first 2 shown]
	s_or_b32 exec_lo, exec_lo, s27
	ds_swizzle_b32 v0, v0 offset:swizzle(BROADCAST,32,15)
	ds_swizzle_b32 v1, v1 offset:swizzle(BROADCAST,32,15)
	;; [unrolled: 1-line block ×4, first 2 shown]
	v_and_b32_e32 v4, 16, v168
	s_mov_b32 s27, exec_lo
	s_delay_alu instid0(VALU_DEP_1)
	v_cmpx_ne_u32_e32 0, v4
	s_cbranch_execz .LBB242_26
; %bb.25:
	v_dual_mov_b32 v4, v148 :: v_dual_mov_b32 v5, v149
	v_dual_mov_b32 v6, v150 :: v_dual_mov_b32 v7, v151
	s_getpc_b64 s[0:1]
	s_add_u32 s0, s0, _ZZZZN2at6native31launch_logcumsumexp_cuda_kernelERKNS_10TensorBaseES3_lENKUlvE_clEvENKUlvE1_clEvENKUlN3c107complexIdEES8_E_clES8_S8_@rel32@lo+4
	s_addc_u32 s1, s1, _ZZZZN2at6native31launch_logcumsumexp_cuda_kernelERKNS_10TensorBaseES3_lENKUlvE_clEvENKUlvE1_clEvENKUlN3c107complexIdEES8_E_clES8_S8_@rel32@hi+12
	s_delay_alu instid0(SALU_CYCLE_1)
	s_swappc_b64 s[30:31], s[0:1]
	v_dual_mov_b32 v148, v0 :: v_dual_mov_b32 v149, v1
	v_dual_mov_b32 v150, v2 :: v_dual_mov_b32 v151, v3
.LBB242_26:
	s_or_b32 exec_lo, exec_lo, s27
	s_waitcnt lgkmcnt(3)
	v_or_b32_e32 v0, 31, v156
	s_mov_b32 s0, exec_lo
	s_delay_alu instid0(VALU_DEP_1)
	v_cmpx_eq_u32_e64 v0, v156
	s_cbranch_execz .LBB242_28
; %bb.27:
	ds_store_b128 v167, v[148:151]
.LBB242_28:
	s_or_b32 exec_lo, exec_lo, s0
	s_load_b64 s[18:19], s[18:19], 0x28
	s_mov_b32 s27, exec_lo
	s_waitcnt lgkmcnt(0)
	s_waitcnt_vscnt null, 0x0
	s_barrier
	buffer_gl0_inv
	v_cmpx_gt_u32_e32 8, v156
	s_cbranch_execz .LBB242_36
; %bb.29:
	ds_load_b128 v[4:7], v157
	v_and_b32_e32 v152, 7, v168
	s_mov_b32 s28, exec_lo
	s_waitcnt lgkmcnt(0)
	v_mov_b32_dpp v0, v4 row_shr:1 row_mask:0xf bank_mask:0xf
	v_mov_b32_dpp v1, v5 row_shr:1 row_mask:0xf bank_mask:0xf
	;; [unrolled: 1-line block ×4, first 2 shown]
	v_cmpx_ne_u32_e32 0, v152
	s_cbranch_execz .LBB242_31
; %bb.30:
	s_getpc_b64 s[0:1]
	s_add_u32 s0, s0, _ZZZZN2at6native31launch_logcumsumexp_cuda_kernelERKNS_10TensorBaseES3_lENKUlvE_clEvENKUlvE1_clEvENKUlN3c107complexIdEES8_E_clES8_S8_@rel32@lo+4
	s_addc_u32 s1, s1, _ZZZZN2at6native31launch_logcumsumexp_cuda_kernelERKNS_10TensorBaseES3_lENKUlvE_clEvENKUlvE1_clEvENKUlN3c107complexIdEES8_E_clES8_S8_@rel32@hi+12
	s_delay_alu instid0(SALU_CYCLE_1)
	s_swappc_b64 s[30:31], s[0:1]
	v_dual_mov_b32 v4, v0 :: v_dual_mov_b32 v5, v1
	v_dual_mov_b32 v6, v2 :: v_dual_mov_b32 v7, v3
.LBB242_31:
	s_or_b32 exec_lo, exec_lo, s28
	s_delay_alu instid0(VALU_DEP_2) | instskip(NEXT) | instid1(VALU_DEP_3)
	v_mov_b32_dpp v0, v4 row_shr:2 row_mask:0xf bank_mask:0xf
	v_mov_b32_dpp v1, v5 row_shr:2 row_mask:0xf bank_mask:0xf
	s_delay_alu instid0(VALU_DEP_3)
	v_mov_b32_dpp v2, v6 row_shr:2 row_mask:0xf bank_mask:0xf
	v_mov_b32_dpp v3, v7 row_shr:2 row_mask:0xf bank_mask:0xf
	s_mov_b32 s28, exec_lo
	v_cmpx_lt_u32_e32 1, v152
	s_cbranch_execz .LBB242_33
; %bb.32:
	s_getpc_b64 s[0:1]
	s_add_u32 s0, s0, _ZZZZN2at6native31launch_logcumsumexp_cuda_kernelERKNS_10TensorBaseES3_lENKUlvE_clEvENKUlvE1_clEvENKUlN3c107complexIdEES8_E_clES8_S8_@rel32@lo+4
	s_addc_u32 s1, s1, _ZZZZN2at6native31launch_logcumsumexp_cuda_kernelERKNS_10TensorBaseES3_lENKUlvE_clEvENKUlvE1_clEvENKUlN3c107complexIdEES8_E_clES8_S8_@rel32@hi+12
	s_delay_alu instid0(SALU_CYCLE_1)
	s_swappc_b64 s[30:31], s[0:1]
	v_dual_mov_b32 v4, v0 :: v_dual_mov_b32 v5, v1
	v_dual_mov_b32 v6, v2 :: v_dual_mov_b32 v7, v3
.LBB242_33:
	s_or_b32 exec_lo, exec_lo, s28
	s_delay_alu instid0(VALU_DEP_2) | instskip(NEXT) | instid1(VALU_DEP_3)
	v_mov_b32_dpp v0, v4 row_shr:4 row_mask:0xf bank_mask:0xf
	v_mov_b32_dpp v1, v5 row_shr:4 row_mask:0xf bank_mask:0xf
	s_delay_alu instid0(VALU_DEP_3)
	v_mov_b32_dpp v2, v6 row_shr:4 row_mask:0xf bank_mask:0xf
	v_mov_b32_dpp v3, v7 row_shr:4 row_mask:0xf bank_mask:0xf
	s_mov_b32 s28, exec_lo
	v_cmpx_lt_u32_e32 3, v152
	s_cbranch_execz .LBB242_35
; %bb.34:
	s_getpc_b64 s[0:1]
	s_add_u32 s0, s0, _ZZZZN2at6native31launch_logcumsumexp_cuda_kernelERKNS_10TensorBaseES3_lENKUlvE_clEvENKUlvE1_clEvENKUlN3c107complexIdEES8_E_clES8_S8_@rel32@lo+4
	s_addc_u32 s1, s1, _ZZZZN2at6native31launch_logcumsumexp_cuda_kernelERKNS_10TensorBaseES3_lENKUlvE_clEvENKUlvE1_clEvENKUlN3c107complexIdEES8_E_clES8_S8_@rel32@hi+12
	s_delay_alu instid0(SALU_CYCLE_1)
	s_swappc_b64 s[30:31], s[0:1]
	v_dual_mov_b32 v4, v0 :: v_dual_mov_b32 v5, v1
	v_dual_mov_b32 v6, v2 :: v_dual_mov_b32 v7, v3
.LBB242_35:
	s_or_b32 exec_lo, exec_lo, s28
	ds_store_b128 v157, v[4:7]
.LBB242_36:
	s_or_b32 exec_lo, exec_lo, s27
	v_mov_b32_e32 v154, 0
	v_mov_b32_e32 v155, 0
	s_delay_alu instid0(VALU_DEP_2)
	v_mov_b32_e32 v152, v154
	s_mov_b32 s27, exec_lo
	s_waitcnt lgkmcnt(0)
	s_waitcnt_vscnt null, 0x0
	s_barrier
	v_mov_b32_e32 v153, v155
	buffer_gl0_inv
	v_cmpx_lt_u32_e32 31, v156
	s_cbranch_execz .LBB242_38
; %bb.37:
	v_dual_mov_b32 v5, v149 :: v_dual_add_nc_u32 v0, -16, v167
	s_getpc_b64 s[0:1]
	s_add_u32 s0, s0, _ZZZZN2at6native31launch_logcumsumexp_cuda_kernelERKNS_10TensorBaseES3_lENKUlvE_clEvENKUlvE1_clEvENKUlN3c107complexIdEES8_E_clES8_S8_@rel32@lo+4
	s_addc_u32 s1, s1, _ZZZZN2at6native31launch_logcumsumexp_cuda_kernelERKNS_10TensorBaseES3_lENKUlvE_clEvENKUlvE1_clEvENKUlN3c107complexIdEES8_E_clES8_S8_@rel32@hi+12
	v_mov_b32_e32 v7, v151
	ds_load_b128 v[152:155], v0
	v_mov_b32_e32 v4, v148
	s_waitcnt lgkmcnt(0)
	v_dual_mov_b32 v6, v150 :: v_dual_mov_b32 v3, v155
	v_dual_mov_b32 v0, v152 :: v_dual_mov_b32 v1, v153
	v_mov_b32_e32 v2, v154
	s_swappc_b64 s[30:31], s[0:1]
	s_delay_alu instid0(VALU_DEP_2) | instskip(NEXT) | instid1(VALU_DEP_2)
	v_dual_mov_b32 v148, v0 :: v_dual_mov_b32 v149, v1
	v_dual_mov_b32 v150, v2 :: v_dual_mov_b32 v151, v3
.LBB242_38:
	s_or_b32 exec_lo, exec_lo, s27
	v_add_nc_u32_e32 v0, -1, v168
	s_mov_b32 s27, exec_lo
	s_delay_alu instid0(VALU_DEP_1) | instskip(SKIP_1) | instid1(VALU_DEP_1)
	v_cmp_gt_i32_e32 vcc_lo, 0, v0
	v_cndmask_b32_e32 v0, v0, v168, vcc_lo
	v_lshlrev_b32_e32 v3, 2, v0
	ds_bpermute_b32 v0, v3, v148
	ds_bpermute_b32 v1, v3, v149
	ds_bpermute_b32 v2, v3, v150
	ds_bpermute_b32 v3, v3, v151
	v_cmpx_ne_u32_e32 0, v156
	s_cbranch_execz .LBB242_40
; %bb.39:
	v_cmp_eq_u32_e32 vcc_lo, 0, v168
	v_dual_mov_b32 v4, v40 :: v_dual_mov_b32 v5, v41
	v_dual_mov_b32 v6, v42 :: v_dual_mov_b32 v7, v43
	s_waitcnt lgkmcnt(2)
	v_dual_cndmask_b32 v0, v0, v152 :: v_dual_cndmask_b32 v1, v1, v153
	s_waitcnt lgkmcnt(0)
	v_dual_cndmask_b32 v2, v2, v154 :: v_dual_cndmask_b32 v3, v3, v155
	s_getpc_b64 s[28:29]
	s_add_u32 s28, s28, _ZZZZN2at6native31launch_logcumsumexp_cuda_kernelERKNS_10TensorBaseES3_lENKUlvE_clEvENKUlvE1_clEvENKUlN3c107complexIdEES8_E_clES8_S8_@rel32@lo+4
	s_addc_u32 s29, s29, _ZZZZN2at6native31launch_logcumsumexp_cuda_kernelERKNS_10TensorBaseES3_lENKUlvE_clEvENKUlvE1_clEvENKUlN3c107complexIdEES8_E_clES8_S8_@rel32@hi+12
	s_delay_alu instid0(SALU_CYCLE_1)
	s_swappc_b64 s[30:31], s[28:29]
	v_dual_mov_b32 v4, v124 :: v_dual_mov_b32 v5, v125
	v_dual_mov_b32 v6, v126 :: v_dual_mov_b32 v7, v127
	;; [unrolled: 1-line block ×4, first 2 shown]
	;;#ASMSTART
	;;#ASMEND
	s_swappc_b64 s[30:31], s[28:29]
	v_dual_mov_b32 v4, v108 :: v_dual_mov_b32 v5, v109
	v_dual_mov_b32 v6, v110 :: v_dual_mov_b32 v7, v111
	v_dual_mov_b32 v56, v0 :: v_dual_mov_b32 v57, v1
	v_dual_mov_b32 v58, v2 :: v_dual_mov_b32 v59, v3
	s_swappc_b64 s[30:31], s[28:29]
	v_dual_mov_b32 v4, v92 :: v_dual_mov_b32 v5, v93
	v_dual_mov_b32 v6, v94 :: v_dual_mov_b32 v7, v95
	v_dual_mov_b32 v76, v0 :: v_dual_mov_b32 v77, v1
	v_dual_mov_b32 v78, v2 :: v_dual_mov_b32 v79, v3
	s_swappc_b64 s[30:31], s[28:29]
	v_dual_mov_b32 v4, v88 :: v_dual_mov_b32 v5, v89
	v_dual_mov_b32 v6, v90 :: v_dual_mov_b32 v7, v91
	v_dual_mov_b32 v104, v0 :: v_dual_mov_b32 v105, v1
	v_dual_mov_b32 v106, v2 :: v_dual_mov_b32 v107, v3
	s_swappc_b64 s[30:31], s[28:29]
	v_dual_mov_b32 v4, v72 :: v_dual_mov_b32 v5, v73
	v_dual_mov_b32 v6, v74 :: v_dual_mov_b32 v7, v75
	v_dual_mov_b32 v120, v0 :: v_dual_mov_b32 v121, v1
	v_dual_mov_b32 v122, v2 :: v_dual_mov_b32 v123, v3
	s_swappc_b64 s[30:31], s[28:29]
	v_dual_mov_b32 v4, v60 :: v_dual_mov_b32 v5, v61
	v_dual_mov_b32 v6, v62 :: v_dual_mov_b32 v7, v63
	v_dual_mov_b32 v136, v0 :: v_dual_mov_b32 v137, v1
	v_dual_mov_b32 v138, v2 :: v_dual_mov_b32 v139, v3
	s_swappc_b64 s[30:31], s[28:29]
	v_dual_mov_b32 v4, v44 :: v_dual_mov_b32 v5, v45
	v_dual_mov_b32 v6, v46 :: v_dual_mov_b32 v7, v47
	v_dual_mov_b32 v140, v0 :: v_dual_mov_b32 v141, v1
	v_dual_mov_b32 v142, v2 :: v_dual_mov_b32 v143, v3
	s_swappc_b64 s[30:31], s[28:29]
	v_dual_mov_b32 v144, v0 :: v_dual_mov_b32 v145, v1
	v_dual_mov_b32 v146, v2 :: v_dual_mov_b32 v147, v3
.LBB242_40:
	s_or_b32 exec_lo, exec_lo, s27
	s_waitcnt lgkmcnt(0)
	s_waitcnt_vscnt null, 0x0
	s_barrier
	buffer_gl0_inv
	ds_store_b128 v166, v[40:43]
	ds_store_b128 v166, v[56:59] offset:16
	ds_store_b128 v166, v[76:79] offset:32
	;; [unrolled: 1-line block ×7, first 2 shown]
	s_waitcnt lgkmcnt(0)
	s_barrier
	buffer_gl0_inv
	ds_load_b128 v[24:27], v159 offset:4096
	ds_load_b128 v[20:23], v160 offset:8192
	;; [unrolled: 1-line block ×7, first 2 shown]
	v_add_co_u32 v28, s0, s18, v157
	s_delay_alu instid0(VALU_DEP_1)
	v_add_co_ci_u32_e64 v29, null, s19, 0, s0
	s_and_saveexec_b32 s0, s17
	s_cbranch_execnz .LBB242_49
; %bb.41:
	s_or_b32 exec_lo, exec_lo, s0
	s_and_saveexec_b32 s0, s20
	s_cbranch_execnz .LBB242_50
.LBB242_42:
	s_or_b32 exec_lo, exec_lo, s0
	s_and_saveexec_b32 s0, s21
	s_cbranch_execnz .LBB242_51
.LBB242_43:
	s_or_b32 exec_lo, exec_lo, s0
	s_and_saveexec_b32 s0, s22
	s_cbranch_execnz .LBB242_52
.LBB242_44:
	s_or_b32 exec_lo, exec_lo, s0
	s_and_saveexec_b32 s0, s23
	s_cbranch_execnz .LBB242_53
.LBB242_45:
	s_or_b32 exec_lo, exec_lo, s0
	s_and_saveexec_b32 s0, s24
	s_cbranch_execnz .LBB242_54
.LBB242_46:
	s_or_b32 exec_lo, exec_lo, s0
	s_and_saveexec_b32 s0, s25
	s_cbranch_execnz .LBB242_55
.LBB242_47:
	s_or_b32 exec_lo, exec_lo, s0
	s_and_saveexec_b32 s0, s26
	s_cbranch_execnz .LBB242_56
.LBB242_48:
	s_nop 0
	s_sendmsg sendmsg(MSG_DEALLOC_VGPRS)
	s_endpgm
.LBB242_49:
	ds_load_b128 v[30:33], v158
	s_waitcnt lgkmcnt(0)
	global_store_b128 v[28:29], v[30:33], off
	s_or_b32 exec_lo, exec_lo, s0
	s_and_saveexec_b32 s0, s20
	s_cbranch_execz .LBB242_42
.LBB242_50:
	v_add_co_u32 v30, vcc_lo, 0x1000, v28
	v_add_co_ci_u32_e32 v31, vcc_lo, 0, v29, vcc_lo
	s_waitcnt lgkmcnt(6)
	global_store_b128 v[30:31], v[24:27], off
	s_or_b32 exec_lo, exec_lo, s0
	s_and_saveexec_b32 s0, s21
	s_cbranch_execz .LBB242_43
.LBB242_51:
	s_waitcnt lgkmcnt(6)
	v_add_co_u32 v24, vcc_lo, 0x2000, v28
	v_add_co_ci_u32_e32 v25, vcc_lo, 0, v29, vcc_lo
	s_waitcnt lgkmcnt(5)
	global_store_b128 v[24:25], v[20:23], off
	s_or_b32 exec_lo, exec_lo, s0
	s_and_saveexec_b32 s0, s22
	s_cbranch_execz .LBB242_44
.LBB242_52:
	s_waitcnt lgkmcnt(5)
	v_add_co_u32 v20, vcc_lo, 0x3000, v28
	v_add_co_ci_u32_e32 v21, vcc_lo, 0, v29, vcc_lo
	s_waitcnt lgkmcnt(4)
	global_store_b128 v[20:21], v[16:19], off
	s_or_b32 exec_lo, exec_lo, s0
	s_and_saveexec_b32 s0, s23
	s_cbranch_execz .LBB242_45
.LBB242_53:
	s_waitcnt lgkmcnt(4)
	v_add_co_u32 v16, vcc_lo, 0x4000, v28
	v_add_co_ci_u32_e32 v17, vcc_lo, 0, v29, vcc_lo
	s_waitcnt lgkmcnt(3)
	global_store_b128 v[16:17], v[12:15], off
	s_or_b32 exec_lo, exec_lo, s0
	s_and_saveexec_b32 s0, s24
	s_cbranch_execz .LBB242_46
.LBB242_54:
	s_waitcnt lgkmcnt(3)
	v_add_co_u32 v12, vcc_lo, 0x5000, v28
	v_add_co_ci_u32_e32 v13, vcc_lo, 0, v29, vcc_lo
	s_waitcnt lgkmcnt(2)
	global_store_b128 v[12:13], v[8:11], off
	s_or_b32 exec_lo, exec_lo, s0
	s_and_saveexec_b32 s0, s25
	s_cbranch_execz .LBB242_47
.LBB242_55:
	s_waitcnt lgkmcnt(2)
	v_add_co_u32 v8, vcc_lo, 0x6000, v28
	v_add_co_ci_u32_e32 v9, vcc_lo, 0, v29, vcc_lo
	s_waitcnt lgkmcnt(1)
	global_store_b128 v[8:9], v[4:7], off
	s_or_b32 exec_lo, exec_lo, s0
	s_and_saveexec_b32 s0, s26
	s_cbranch_execz .LBB242_48
.LBB242_56:
	s_waitcnt lgkmcnt(1)
	v_add_co_u32 v4, vcc_lo, 0x7000, v28
	v_add_co_ci_u32_e32 v5, vcc_lo, 0, v29, vcc_lo
	s_waitcnt lgkmcnt(0)
	global_store_b128 v[4:5], v[0:3], off
	s_nop 0
	s_sendmsg sendmsg(MSG_DEALLOC_VGPRS)
	s_endpgm
	.section	.rodata,"a",@progbits
	.p2align	6, 0x0
	.amdhsa_kernel _ZN7rocprim17ROCPRIM_400000_NS6detail17trampoline_kernelINS0_14default_configENS1_20scan_config_selectorIN3c107complexIdEEEEZZNS1_9scan_implILNS1_25lookback_scan_determinismE0ELb0ELb0ES3_PKS7_PS7_S7_ZZZN2at6native31launch_logcumsumexp_cuda_kernelERKNSE_10TensorBaseESI_lENKUlvE_clEvENKUlvE1_clEvEUlS7_S7_E_S7_EEDaPvRmT3_T4_T5_mT6_P12ihipStream_tbENKUlT_T0_E_clISt17integral_constantIbLb1EESY_IbLb0EEEEDaSU_SV_EUlSU_E0_NS1_11comp_targetILNS1_3genE9ELNS1_11target_archE1100ELNS1_3gpuE3ELNS1_3repE0EEENS1_30default_config_static_selectorELNS0_4arch9wavefront6targetE0EEEvT1_
		.amdhsa_group_segment_fixed_size 33792
		.amdhsa_private_segment_fixed_size 0
		.amdhsa_kernarg_size 48
		.amdhsa_user_sgpr_count 15
		.amdhsa_user_sgpr_dispatch_ptr 0
		.amdhsa_user_sgpr_queue_ptr 0
		.amdhsa_user_sgpr_kernarg_segment_ptr 1
		.amdhsa_user_sgpr_dispatch_id 0
		.amdhsa_user_sgpr_private_segment_size 0
		.amdhsa_wavefront_size32 1
		.amdhsa_uses_dynamic_stack 0
		.amdhsa_enable_private_segment 0
		.amdhsa_system_sgpr_workgroup_id_x 1
		.amdhsa_system_sgpr_workgroup_id_y 0
		.amdhsa_system_sgpr_workgroup_id_z 0
		.amdhsa_system_sgpr_workgroup_info 0
		.amdhsa_system_vgpr_workitem_id 0
		.amdhsa_next_free_vgpr 169
		.amdhsa_next_free_sgpr 33
		.amdhsa_reserve_vcc 1
		.amdhsa_float_round_mode_32 0
		.amdhsa_float_round_mode_16_64 0
		.amdhsa_float_denorm_mode_32 3
		.amdhsa_float_denorm_mode_16_64 3
		.amdhsa_dx10_clamp 1
		.amdhsa_ieee_mode 1
		.amdhsa_fp16_overflow 0
		.amdhsa_workgroup_processor_mode 1
		.amdhsa_memory_ordered 1
		.amdhsa_forward_progress 0
		.amdhsa_shared_vgpr_count 0
		.amdhsa_exception_fp_ieee_invalid_op 0
		.amdhsa_exception_fp_denorm_src 0
		.amdhsa_exception_fp_ieee_div_zero 0
		.amdhsa_exception_fp_ieee_overflow 0
		.amdhsa_exception_fp_ieee_underflow 0
		.amdhsa_exception_fp_ieee_inexact 0
		.amdhsa_exception_int_div_zero 0
	.end_amdhsa_kernel
	.section	.text._ZN7rocprim17ROCPRIM_400000_NS6detail17trampoline_kernelINS0_14default_configENS1_20scan_config_selectorIN3c107complexIdEEEEZZNS1_9scan_implILNS1_25lookback_scan_determinismE0ELb0ELb0ES3_PKS7_PS7_S7_ZZZN2at6native31launch_logcumsumexp_cuda_kernelERKNSE_10TensorBaseESI_lENKUlvE_clEvENKUlvE1_clEvEUlS7_S7_E_S7_EEDaPvRmT3_T4_T5_mT6_P12ihipStream_tbENKUlT_T0_E_clISt17integral_constantIbLb1EESY_IbLb0EEEEDaSU_SV_EUlSU_E0_NS1_11comp_targetILNS1_3genE9ELNS1_11target_archE1100ELNS1_3gpuE3ELNS1_3repE0EEENS1_30default_config_static_selectorELNS0_4arch9wavefront6targetE0EEEvT1_,"axG",@progbits,_ZN7rocprim17ROCPRIM_400000_NS6detail17trampoline_kernelINS0_14default_configENS1_20scan_config_selectorIN3c107complexIdEEEEZZNS1_9scan_implILNS1_25lookback_scan_determinismE0ELb0ELb0ES3_PKS7_PS7_S7_ZZZN2at6native31launch_logcumsumexp_cuda_kernelERKNSE_10TensorBaseESI_lENKUlvE_clEvENKUlvE1_clEvEUlS7_S7_E_S7_EEDaPvRmT3_T4_T5_mT6_P12ihipStream_tbENKUlT_T0_E_clISt17integral_constantIbLb1EESY_IbLb0EEEEDaSU_SV_EUlSU_E0_NS1_11comp_targetILNS1_3genE9ELNS1_11target_archE1100ELNS1_3gpuE3ELNS1_3repE0EEENS1_30default_config_static_selectorELNS0_4arch9wavefront6targetE0EEEvT1_,comdat
.Lfunc_end242:
	.size	_ZN7rocprim17ROCPRIM_400000_NS6detail17trampoline_kernelINS0_14default_configENS1_20scan_config_selectorIN3c107complexIdEEEEZZNS1_9scan_implILNS1_25lookback_scan_determinismE0ELb0ELb0ES3_PKS7_PS7_S7_ZZZN2at6native31launch_logcumsumexp_cuda_kernelERKNSE_10TensorBaseESI_lENKUlvE_clEvENKUlvE1_clEvEUlS7_S7_E_S7_EEDaPvRmT3_T4_T5_mT6_P12ihipStream_tbENKUlT_T0_E_clISt17integral_constantIbLb1EESY_IbLb0EEEEDaSU_SV_EUlSU_E0_NS1_11comp_targetILNS1_3genE9ELNS1_11target_archE1100ELNS1_3gpuE3ELNS1_3repE0EEENS1_30default_config_static_selectorELNS0_4arch9wavefront6targetE0EEEvT1_, .Lfunc_end242-_ZN7rocprim17ROCPRIM_400000_NS6detail17trampoline_kernelINS0_14default_configENS1_20scan_config_selectorIN3c107complexIdEEEEZZNS1_9scan_implILNS1_25lookback_scan_determinismE0ELb0ELb0ES3_PKS7_PS7_S7_ZZZN2at6native31launch_logcumsumexp_cuda_kernelERKNSE_10TensorBaseESI_lENKUlvE_clEvENKUlvE1_clEvEUlS7_S7_E_S7_EEDaPvRmT3_T4_T5_mT6_P12ihipStream_tbENKUlT_T0_E_clISt17integral_constantIbLb1EESY_IbLb0EEEEDaSU_SV_EUlSU_E0_NS1_11comp_targetILNS1_3genE9ELNS1_11target_archE1100ELNS1_3gpuE3ELNS1_3repE0EEENS1_30default_config_static_selectorELNS0_4arch9wavefront6targetE0EEEvT1_
                                        ; -- End function
	.section	.AMDGPU.csdata,"",@progbits
; Kernel info:
; codeLenInByte = 3300
; NumSgprs: 35
; NumVgprs: 169
; ScratchSize: 0
; MemoryBound: 1
; FloatMode: 240
; IeeeMode: 1
; LDSByteSize: 33792 bytes/workgroup (compile time only)
; SGPRBlocks: 4
; VGPRBlocks: 21
; NumSGPRsForWavesPerEU: 35
; NumVGPRsForWavesPerEU: 169
; Occupancy: 6
; WaveLimiterHint : 0
; COMPUTE_PGM_RSRC2:SCRATCH_EN: 0
; COMPUTE_PGM_RSRC2:USER_SGPR: 15
; COMPUTE_PGM_RSRC2:TRAP_HANDLER: 0
; COMPUTE_PGM_RSRC2:TGID_X_EN: 1
; COMPUTE_PGM_RSRC2:TGID_Y_EN: 0
; COMPUTE_PGM_RSRC2:TGID_Z_EN: 0
; COMPUTE_PGM_RSRC2:TIDIG_COMP_CNT: 0
	.section	.text._ZN7rocprim17ROCPRIM_400000_NS6detail17trampoline_kernelINS0_14default_configENS1_20scan_config_selectorIN3c107complexIdEEEEZZNS1_9scan_implILNS1_25lookback_scan_determinismE0ELb0ELb0ES3_PKS7_PS7_S7_ZZZN2at6native31launch_logcumsumexp_cuda_kernelERKNSE_10TensorBaseESI_lENKUlvE_clEvENKUlvE1_clEvEUlS7_S7_E_S7_EEDaPvRmT3_T4_T5_mT6_P12ihipStream_tbENKUlT_T0_E_clISt17integral_constantIbLb1EESY_IbLb0EEEEDaSU_SV_EUlSU_E0_NS1_11comp_targetILNS1_3genE8ELNS1_11target_archE1030ELNS1_3gpuE2ELNS1_3repE0EEENS1_30default_config_static_selectorELNS0_4arch9wavefront6targetE0EEEvT1_,"axG",@progbits,_ZN7rocprim17ROCPRIM_400000_NS6detail17trampoline_kernelINS0_14default_configENS1_20scan_config_selectorIN3c107complexIdEEEEZZNS1_9scan_implILNS1_25lookback_scan_determinismE0ELb0ELb0ES3_PKS7_PS7_S7_ZZZN2at6native31launch_logcumsumexp_cuda_kernelERKNSE_10TensorBaseESI_lENKUlvE_clEvENKUlvE1_clEvEUlS7_S7_E_S7_EEDaPvRmT3_T4_T5_mT6_P12ihipStream_tbENKUlT_T0_E_clISt17integral_constantIbLb1EESY_IbLb0EEEEDaSU_SV_EUlSU_E0_NS1_11comp_targetILNS1_3genE8ELNS1_11target_archE1030ELNS1_3gpuE2ELNS1_3repE0EEENS1_30default_config_static_selectorELNS0_4arch9wavefront6targetE0EEEvT1_,comdat
	.globl	_ZN7rocprim17ROCPRIM_400000_NS6detail17trampoline_kernelINS0_14default_configENS1_20scan_config_selectorIN3c107complexIdEEEEZZNS1_9scan_implILNS1_25lookback_scan_determinismE0ELb0ELb0ES3_PKS7_PS7_S7_ZZZN2at6native31launch_logcumsumexp_cuda_kernelERKNSE_10TensorBaseESI_lENKUlvE_clEvENKUlvE1_clEvEUlS7_S7_E_S7_EEDaPvRmT3_T4_T5_mT6_P12ihipStream_tbENKUlT_T0_E_clISt17integral_constantIbLb1EESY_IbLb0EEEEDaSU_SV_EUlSU_E0_NS1_11comp_targetILNS1_3genE8ELNS1_11target_archE1030ELNS1_3gpuE2ELNS1_3repE0EEENS1_30default_config_static_selectorELNS0_4arch9wavefront6targetE0EEEvT1_ ; -- Begin function _ZN7rocprim17ROCPRIM_400000_NS6detail17trampoline_kernelINS0_14default_configENS1_20scan_config_selectorIN3c107complexIdEEEEZZNS1_9scan_implILNS1_25lookback_scan_determinismE0ELb0ELb0ES3_PKS7_PS7_S7_ZZZN2at6native31launch_logcumsumexp_cuda_kernelERKNSE_10TensorBaseESI_lENKUlvE_clEvENKUlvE1_clEvEUlS7_S7_E_S7_EEDaPvRmT3_T4_T5_mT6_P12ihipStream_tbENKUlT_T0_E_clISt17integral_constantIbLb1EESY_IbLb0EEEEDaSU_SV_EUlSU_E0_NS1_11comp_targetILNS1_3genE8ELNS1_11target_archE1030ELNS1_3gpuE2ELNS1_3repE0EEENS1_30default_config_static_selectorELNS0_4arch9wavefront6targetE0EEEvT1_
	.p2align	8
	.type	_ZN7rocprim17ROCPRIM_400000_NS6detail17trampoline_kernelINS0_14default_configENS1_20scan_config_selectorIN3c107complexIdEEEEZZNS1_9scan_implILNS1_25lookback_scan_determinismE0ELb0ELb0ES3_PKS7_PS7_S7_ZZZN2at6native31launch_logcumsumexp_cuda_kernelERKNSE_10TensorBaseESI_lENKUlvE_clEvENKUlvE1_clEvEUlS7_S7_E_S7_EEDaPvRmT3_T4_T5_mT6_P12ihipStream_tbENKUlT_T0_E_clISt17integral_constantIbLb1EESY_IbLb0EEEEDaSU_SV_EUlSU_E0_NS1_11comp_targetILNS1_3genE8ELNS1_11target_archE1030ELNS1_3gpuE2ELNS1_3repE0EEENS1_30default_config_static_selectorELNS0_4arch9wavefront6targetE0EEEvT1_,@function
_ZN7rocprim17ROCPRIM_400000_NS6detail17trampoline_kernelINS0_14default_configENS1_20scan_config_selectorIN3c107complexIdEEEEZZNS1_9scan_implILNS1_25lookback_scan_determinismE0ELb0ELb0ES3_PKS7_PS7_S7_ZZZN2at6native31launch_logcumsumexp_cuda_kernelERKNSE_10TensorBaseESI_lENKUlvE_clEvENKUlvE1_clEvEUlS7_S7_E_S7_EEDaPvRmT3_T4_T5_mT6_P12ihipStream_tbENKUlT_T0_E_clISt17integral_constantIbLb1EESY_IbLb0EEEEDaSU_SV_EUlSU_E0_NS1_11comp_targetILNS1_3genE8ELNS1_11target_archE1030ELNS1_3gpuE2ELNS1_3repE0EEENS1_30default_config_static_selectorELNS0_4arch9wavefront6targetE0EEEvT1_: ; @_ZN7rocprim17ROCPRIM_400000_NS6detail17trampoline_kernelINS0_14default_configENS1_20scan_config_selectorIN3c107complexIdEEEEZZNS1_9scan_implILNS1_25lookback_scan_determinismE0ELb0ELb0ES3_PKS7_PS7_S7_ZZZN2at6native31launch_logcumsumexp_cuda_kernelERKNSE_10TensorBaseESI_lENKUlvE_clEvENKUlvE1_clEvEUlS7_S7_E_S7_EEDaPvRmT3_T4_T5_mT6_P12ihipStream_tbENKUlT_T0_E_clISt17integral_constantIbLb1EESY_IbLb0EEEEDaSU_SV_EUlSU_E0_NS1_11comp_targetILNS1_3genE8ELNS1_11target_archE1030ELNS1_3gpuE2ELNS1_3repE0EEENS1_30default_config_static_selectorELNS0_4arch9wavefront6targetE0EEEvT1_
; %bb.0:
	.section	.rodata,"a",@progbits
	.p2align	6, 0x0
	.amdhsa_kernel _ZN7rocprim17ROCPRIM_400000_NS6detail17trampoline_kernelINS0_14default_configENS1_20scan_config_selectorIN3c107complexIdEEEEZZNS1_9scan_implILNS1_25lookback_scan_determinismE0ELb0ELb0ES3_PKS7_PS7_S7_ZZZN2at6native31launch_logcumsumexp_cuda_kernelERKNSE_10TensorBaseESI_lENKUlvE_clEvENKUlvE1_clEvEUlS7_S7_E_S7_EEDaPvRmT3_T4_T5_mT6_P12ihipStream_tbENKUlT_T0_E_clISt17integral_constantIbLb1EESY_IbLb0EEEEDaSU_SV_EUlSU_E0_NS1_11comp_targetILNS1_3genE8ELNS1_11target_archE1030ELNS1_3gpuE2ELNS1_3repE0EEENS1_30default_config_static_selectorELNS0_4arch9wavefront6targetE0EEEvT1_
		.amdhsa_group_segment_fixed_size 0
		.amdhsa_private_segment_fixed_size 0
		.amdhsa_kernarg_size 48
		.amdhsa_user_sgpr_count 15
		.amdhsa_user_sgpr_dispatch_ptr 0
		.amdhsa_user_sgpr_queue_ptr 0
		.amdhsa_user_sgpr_kernarg_segment_ptr 1
		.amdhsa_user_sgpr_dispatch_id 0
		.amdhsa_user_sgpr_private_segment_size 0
		.amdhsa_wavefront_size32 1
		.amdhsa_uses_dynamic_stack 0
		.amdhsa_enable_private_segment 0
		.amdhsa_system_sgpr_workgroup_id_x 1
		.amdhsa_system_sgpr_workgroup_id_y 0
		.amdhsa_system_sgpr_workgroup_id_z 0
		.amdhsa_system_sgpr_workgroup_info 0
		.amdhsa_system_vgpr_workitem_id 0
		.amdhsa_next_free_vgpr 1
		.amdhsa_next_free_sgpr 1
		.amdhsa_reserve_vcc 0
		.amdhsa_float_round_mode_32 0
		.amdhsa_float_round_mode_16_64 0
		.amdhsa_float_denorm_mode_32 3
		.amdhsa_float_denorm_mode_16_64 3
		.amdhsa_dx10_clamp 1
		.amdhsa_ieee_mode 1
		.amdhsa_fp16_overflow 0
		.amdhsa_workgroup_processor_mode 1
		.amdhsa_memory_ordered 1
		.amdhsa_forward_progress 0
		.amdhsa_shared_vgpr_count 0
		.amdhsa_exception_fp_ieee_invalid_op 0
		.amdhsa_exception_fp_denorm_src 0
		.amdhsa_exception_fp_ieee_div_zero 0
		.amdhsa_exception_fp_ieee_overflow 0
		.amdhsa_exception_fp_ieee_underflow 0
		.amdhsa_exception_fp_ieee_inexact 0
		.amdhsa_exception_int_div_zero 0
	.end_amdhsa_kernel
	.section	.text._ZN7rocprim17ROCPRIM_400000_NS6detail17trampoline_kernelINS0_14default_configENS1_20scan_config_selectorIN3c107complexIdEEEEZZNS1_9scan_implILNS1_25lookback_scan_determinismE0ELb0ELb0ES3_PKS7_PS7_S7_ZZZN2at6native31launch_logcumsumexp_cuda_kernelERKNSE_10TensorBaseESI_lENKUlvE_clEvENKUlvE1_clEvEUlS7_S7_E_S7_EEDaPvRmT3_T4_T5_mT6_P12ihipStream_tbENKUlT_T0_E_clISt17integral_constantIbLb1EESY_IbLb0EEEEDaSU_SV_EUlSU_E0_NS1_11comp_targetILNS1_3genE8ELNS1_11target_archE1030ELNS1_3gpuE2ELNS1_3repE0EEENS1_30default_config_static_selectorELNS0_4arch9wavefront6targetE0EEEvT1_,"axG",@progbits,_ZN7rocprim17ROCPRIM_400000_NS6detail17trampoline_kernelINS0_14default_configENS1_20scan_config_selectorIN3c107complexIdEEEEZZNS1_9scan_implILNS1_25lookback_scan_determinismE0ELb0ELb0ES3_PKS7_PS7_S7_ZZZN2at6native31launch_logcumsumexp_cuda_kernelERKNSE_10TensorBaseESI_lENKUlvE_clEvENKUlvE1_clEvEUlS7_S7_E_S7_EEDaPvRmT3_T4_T5_mT6_P12ihipStream_tbENKUlT_T0_E_clISt17integral_constantIbLb1EESY_IbLb0EEEEDaSU_SV_EUlSU_E0_NS1_11comp_targetILNS1_3genE8ELNS1_11target_archE1030ELNS1_3gpuE2ELNS1_3repE0EEENS1_30default_config_static_selectorELNS0_4arch9wavefront6targetE0EEEvT1_,comdat
.Lfunc_end243:
	.size	_ZN7rocprim17ROCPRIM_400000_NS6detail17trampoline_kernelINS0_14default_configENS1_20scan_config_selectorIN3c107complexIdEEEEZZNS1_9scan_implILNS1_25lookback_scan_determinismE0ELb0ELb0ES3_PKS7_PS7_S7_ZZZN2at6native31launch_logcumsumexp_cuda_kernelERKNSE_10TensorBaseESI_lENKUlvE_clEvENKUlvE1_clEvEUlS7_S7_E_S7_EEDaPvRmT3_T4_T5_mT6_P12ihipStream_tbENKUlT_T0_E_clISt17integral_constantIbLb1EESY_IbLb0EEEEDaSU_SV_EUlSU_E0_NS1_11comp_targetILNS1_3genE8ELNS1_11target_archE1030ELNS1_3gpuE2ELNS1_3repE0EEENS1_30default_config_static_selectorELNS0_4arch9wavefront6targetE0EEEvT1_, .Lfunc_end243-_ZN7rocprim17ROCPRIM_400000_NS6detail17trampoline_kernelINS0_14default_configENS1_20scan_config_selectorIN3c107complexIdEEEEZZNS1_9scan_implILNS1_25lookback_scan_determinismE0ELb0ELb0ES3_PKS7_PS7_S7_ZZZN2at6native31launch_logcumsumexp_cuda_kernelERKNSE_10TensorBaseESI_lENKUlvE_clEvENKUlvE1_clEvEUlS7_S7_E_S7_EEDaPvRmT3_T4_T5_mT6_P12ihipStream_tbENKUlT_T0_E_clISt17integral_constantIbLb1EESY_IbLb0EEEEDaSU_SV_EUlSU_E0_NS1_11comp_targetILNS1_3genE8ELNS1_11target_archE1030ELNS1_3gpuE2ELNS1_3repE0EEENS1_30default_config_static_selectorELNS0_4arch9wavefront6targetE0EEEvT1_
                                        ; -- End function
	.section	.AMDGPU.csdata,"",@progbits
; Kernel info:
; codeLenInByte = 0
; NumSgprs: 0
; NumVgprs: 0
; ScratchSize: 0
; MemoryBound: 0
; FloatMode: 240
; IeeeMode: 1
; LDSByteSize: 0 bytes/workgroup (compile time only)
; SGPRBlocks: 0
; VGPRBlocks: 0
; NumSGPRsForWavesPerEU: 1
; NumVGPRsForWavesPerEU: 1
; Occupancy: 16
; WaveLimiterHint : 0
; COMPUTE_PGM_RSRC2:SCRATCH_EN: 0
; COMPUTE_PGM_RSRC2:USER_SGPR: 15
; COMPUTE_PGM_RSRC2:TRAP_HANDLER: 0
; COMPUTE_PGM_RSRC2:TGID_X_EN: 1
; COMPUTE_PGM_RSRC2:TGID_Y_EN: 0
; COMPUTE_PGM_RSRC2:TGID_Z_EN: 0
; COMPUTE_PGM_RSRC2:TIDIG_COMP_CNT: 0
	.section	.text._ZN7rocprim17ROCPRIM_400000_NS6detail31init_lookback_scan_state_kernelINS1_19lookback_scan_stateIN3c107complexIdEELb0ELb0EEENS1_16block_id_wrapperIjLb1EEEEEvT_jT0_jPNSA_10value_typeE,"axG",@progbits,_ZN7rocprim17ROCPRIM_400000_NS6detail31init_lookback_scan_state_kernelINS1_19lookback_scan_stateIN3c107complexIdEELb0ELb0EEENS1_16block_id_wrapperIjLb1EEEEEvT_jT0_jPNSA_10value_typeE,comdat
	.protected	_ZN7rocprim17ROCPRIM_400000_NS6detail31init_lookback_scan_state_kernelINS1_19lookback_scan_stateIN3c107complexIdEELb0ELb0EEENS1_16block_id_wrapperIjLb1EEEEEvT_jT0_jPNSA_10value_typeE ; -- Begin function _ZN7rocprim17ROCPRIM_400000_NS6detail31init_lookback_scan_state_kernelINS1_19lookback_scan_stateIN3c107complexIdEELb0ELb0EEENS1_16block_id_wrapperIjLb1EEEEEvT_jT0_jPNSA_10value_typeE
	.globl	_ZN7rocprim17ROCPRIM_400000_NS6detail31init_lookback_scan_state_kernelINS1_19lookback_scan_stateIN3c107complexIdEELb0ELb0EEENS1_16block_id_wrapperIjLb1EEEEEvT_jT0_jPNSA_10value_typeE
	.p2align	8
	.type	_ZN7rocprim17ROCPRIM_400000_NS6detail31init_lookback_scan_state_kernelINS1_19lookback_scan_stateIN3c107complexIdEELb0ELb0EEENS1_16block_id_wrapperIjLb1EEEEEvT_jT0_jPNSA_10value_typeE,@function
_ZN7rocprim17ROCPRIM_400000_NS6detail31init_lookback_scan_state_kernelINS1_19lookback_scan_stateIN3c107complexIdEELb0ELb0EEENS1_16block_id_wrapperIjLb1EEEEEvT_jT0_jPNSA_10value_typeE: ; @_ZN7rocprim17ROCPRIM_400000_NS6detail31init_lookback_scan_state_kernelINS1_19lookback_scan_stateIN3c107complexIdEELb0ELb0EEENS1_16block_id_wrapperIjLb1EEEEEvT_jT0_jPNSA_10value_typeE
; %bb.0:
	s_clause 0x3
	s_load_b32 s4, s[0:1], 0x44
	s_load_b64 s[8:9], s[0:1], 0x30
	s_load_b64 s[2:3], s[0:1], 0x10
	s_load_b32 s14, s[0:1], 0x18
	s_waitcnt lgkmcnt(0)
	s_and_b32 s4, s4, 0xffff
	s_cmp_eq_u64 s[8:9], 0
	v_mad_u64_u32 v[1:2], null, s15, s4, v[0:1]
	s_cbranch_scc1 .LBB244_7
; %bb.1:
	s_load_b32 s4, s[0:1], 0x28
	s_mov_b32 s11, 0
	s_mov_b32 s15, exec_lo
	s_waitcnt lgkmcnt(0)
	s_cmp_lt_u32 s4, s14
	s_cselect_b32 s5, s4, 0
	s_delay_alu instid0(SALU_CYCLE_1)
	v_cmpx_eq_u32_e64 s5, v1
	s_cbranch_execz .LBB244_6
; %bb.2:
	s_add_i32 s10, s4, 32
	s_load_b128 s[4:7], s[0:1], 0x0
	v_mov_b32_e32 v0, s10
	s_add_u32 s12, s2, s10
	s_addc_u32 s13, s3, 0
	global_load_u8 v0, v0, s[2:3] glc
	s_waitcnt vmcnt(0)
	v_cmp_ne_u16_e32 vcc_lo, 0, v0
	v_readfirstlane_b32 s16, v0
	s_cbranch_vccnz .LBB244_5
; %bb.3:
	v_mov_b32_e32 v0, 0
.LBB244_4:                              ; =>This Inner Loop Header: Depth=1
	global_load_u8 v2, v0, s[12:13] glc
	s_waitcnt vmcnt(0)
	v_cmp_eq_u16_e32 vcc_lo, 0, v2
	v_readfirstlane_b32 s16, v2
	s_cbranch_vccnz .LBB244_4
.LBB244_5:
	s_delay_alu instid0(VALU_DEP_1)
	s_and_b32 s12, 0xffff, s16
	v_mov_b32_e32 v0, 0
	s_cmp_eq_u32 s12, 1
	s_waitcnt lgkmcnt(0)
	buffer_gl1_inv
	buffer_gl0_inv
	s_cselect_b32 s7, s5, s7
	s_cselect_b32 s6, s4, s6
	s_lshl_b64 s[4:5], s[10:11], 4
	s_delay_alu instid0(SALU_CYCLE_1)
	s_add_u32 s4, s6, s4
	s_addc_u32 s5, s7, s5
	global_load_b128 v[2:5], v0, s[4:5]
	s_waitcnt vmcnt(0)
	global_store_b128 v0, v[2:5], s[8:9]
.LBB244_6:
	s_or_b32 exec_lo, exec_lo, s15
.LBB244_7:
	s_delay_alu instid0(SALU_CYCLE_1) | instskip(NEXT) | instid1(VALU_DEP_1)
	s_mov_b32 s4, exec_lo
	v_cmpx_eq_u32_e32 0, v1
	s_cbranch_execz .LBB244_9
; %bb.8:
	s_load_b64 s[0:1], s[0:1], 0x20
	v_mov_b32_e32 v0, 0
	s_waitcnt lgkmcnt(0)
	global_store_b32 v0, v0, s[0:1]
.LBB244_9:
	s_or_b32 exec_lo, exec_lo, s4
	s_delay_alu instid0(SALU_CYCLE_1)
	s_mov_b32 s0, exec_lo
	v_cmpx_gt_u32_e64 s14, v1
	s_cbranch_execz .LBB244_11
; %bb.10:
	v_add_nc_u32_e32 v0, 32, v1
	v_mov_b32_e32 v2, 0
	global_store_b8 v0, v2, s[2:3]
.LBB244_11:
	s_or_b32 exec_lo, exec_lo, s0
	s_delay_alu instid0(SALU_CYCLE_1)
	s_mov_b32 s0, exec_lo
	v_cmpx_gt_u32_e32 32, v1
	s_cbranch_execz .LBB244_13
; %bb.12:
	v_mov_b32_e32 v0, 0xff
	global_store_b8 v1, v0, s[2:3]
.LBB244_13:
	s_nop 0
	s_sendmsg sendmsg(MSG_DEALLOC_VGPRS)
	s_endpgm
	.section	.rodata,"a",@progbits
	.p2align	6, 0x0
	.amdhsa_kernel _ZN7rocprim17ROCPRIM_400000_NS6detail31init_lookback_scan_state_kernelINS1_19lookback_scan_stateIN3c107complexIdEELb0ELb0EEENS1_16block_id_wrapperIjLb1EEEEEvT_jT0_jPNSA_10value_typeE
		.amdhsa_group_segment_fixed_size 0
		.amdhsa_private_segment_fixed_size 0
		.amdhsa_kernarg_size 312
		.amdhsa_user_sgpr_count 15
		.amdhsa_user_sgpr_dispatch_ptr 0
		.amdhsa_user_sgpr_queue_ptr 0
		.amdhsa_user_sgpr_kernarg_segment_ptr 1
		.amdhsa_user_sgpr_dispatch_id 0
		.amdhsa_user_sgpr_private_segment_size 0
		.amdhsa_wavefront_size32 1
		.amdhsa_uses_dynamic_stack 0
		.amdhsa_enable_private_segment 0
		.amdhsa_system_sgpr_workgroup_id_x 1
		.amdhsa_system_sgpr_workgroup_id_y 0
		.amdhsa_system_sgpr_workgroup_id_z 0
		.amdhsa_system_sgpr_workgroup_info 0
		.amdhsa_system_vgpr_workitem_id 0
		.amdhsa_next_free_vgpr 6
		.amdhsa_next_free_sgpr 17
		.amdhsa_reserve_vcc 1
		.amdhsa_float_round_mode_32 0
		.amdhsa_float_round_mode_16_64 0
		.amdhsa_float_denorm_mode_32 3
		.amdhsa_float_denorm_mode_16_64 3
		.amdhsa_dx10_clamp 1
		.amdhsa_ieee_mode 1
		.amdhsa_fp16_overflow 0
		.amdhsa_workgroup_processor_mode 1
		.amdhsa_memory_ordered 1
		.amdhsa_forward_progress 0
		.amdhsa_shared_vgpr_count 0
		.amdhsa_exception_fp_ieee_invalid_op 0
		.amdhsa_exception_fp_denorm_src 0
		.amdhsa_exception_fp_ieee_div_zero 0
		.amdhsa_exception_fp_ieee_overflow 0
		.amdhsa_exception_fp_ieee_underflow 0
		.amdhsa_exception_fp_ieee_inexact 0
		.amdhsa_exception_int_div_zero 0
	.end_amdhsa_kernel
	.section	.text._ZN7rocprim17ROCPRIM_400000_NS6detail31init_lookback_scan_state_kernelINS1_19lookback_scan_stateIN3c107complexIdEELb0ELb0EEENS1_16block_id_wrapperIjLb1EEEEEvT_jT0_jPNSA_10value_typeE,"axG",@progbits,_ZN7rocprim17ROCPRIM_400000_NS6detail31init_lookback_scan_state_kernelINS1_19lookback_scan_stateIN3c107complexIdEELb0ELb0EEENS1_16block_id_wrapperIjLb1EEEEEvT_jT0_jPNSA_10value_typeE,comdat
.Lfunc_end244:
	.size	_ZN7rocprim17ROCPRIM_400000_NS6detail31init_lookback_scan_state_kernelINS1_19lookback_scan_stateIN3c107complexIdEELb0ELb0EEENS1_16block_id_wrapperIjLb1EEEEEvT_jT0_jPNSA_10value_typeE, .Lfunc_end244-_ZN7rocprim17ROCPRIM_400000_NS6detail31init_lookback_scan_state_kernelINS1_19lookback_scan_stateIN3c107complexIdEELb0ELb0EEENS1_16block_id_wrapperIjLb1EEEEEvT_jT0_jPNSA_10value_typeE
                                        ; -- End function
	.section	.AMDGPU.csdata,"",@progbits
; Kernel info:
; codeLenInByte = 400
; NumSgprs: 19
; NumVgprs: 6
; ScratchSize: 0
; MemoryBound: 0
; FloatMode: 240
; IeeeMode: 1
; LDSByteSize: 0 bytes/workgroup (compile time only)
; SGPRBlocks: 2
; VGPRBlocks: 0
; NumSGPRsForWavesPerEU: 19
; NumVGPRsForWavesPerEU: 6
; Occupancy: 16
; WaveLimiterHint : 0
; COMPUTE_PGM_RSRC2:SCRATCH_EN: 0
; COMPUTE_PGM_RSRC2:USER_SGPR: 15
; COMPUTE_PGM_RSRC2:TRAP_HANDLER: 0
; COMPUTE_PGM_RSRC2:TGID_X_EN: 1
; COMPUTE_PGM_RSRC2:TGID_Y_EN: 0
; COMPUTE_PGM_RSRC2:TGID_Z_EN: 0
; COMPUTE_PGM_RSRC2:TIDIG_COMP_CNT: 0
	.section	.text._ZN7rocprim17ROCPRIM_400000_NS6detail17trampoline_kernelINS0_14default_configENS1_20scan_config_selectorIN3c107complexIdEEEEZZNS1_9scan_implILNS1_25lookback_scan_determinismE0ELb0ELb0ES3_PKS7_PS7_S7_ZZZN2at6native31launch_logcumsumexp_cuda_kernelERKNSE_10TensorBaseESI_lENKUlvE_clEvENKUlvE1_clEvEUlS7_S7_E_S7_EEDaPvRmT3_T4_T5_mT6_P12ihipStream_tbENKUlT_T0_E_clISt17integral_constantIbLb0EESY_IbLb1EEEEDaSU_SV_EUlSU_E_NS1_11comp_targetILNS1_3genE0ELNS1_11target_archE4294967295ELNS1_3gpuE0ELNS1_3repE0EEENS1_30default_config_static_selectorELNS0_4arch9wavefront6targetE0EEEvT1_,"axG",@progbits,_ZN7rocprim17ROCPRIM_400000_NS6detail17trampoline_kernelINS0_14default_configENS1_20scan_config_selectorIN3c107complexIdEEEEZZNS1_9scan_implILNS1_25lookback_scan_determinismE0ELb0ELb0ES3_PKS7_PS7_S7_ZZZN2at6native31launch_logcumsumexp_cuda_kernelERKNSE_10TensorBaseESI_lENKUlvE_clEvENKUlvE1_clEvEUlS7_S7_E_S7_EEDaPvRmT3_T4_T5_mT6_P12ihipStream_tbENKUlT_T0_E_clISt17integral_constantIbLb0EESY_IbLb1EEEEDaSU_SV_EUlSU_E_NS1_11comp_targetILNS1_3genE0ELNS1_11target_archE4294967295ELNS1_3gpuE0ELNS1_3repE0EEENS1_30default_config_static_selectorELNS0_4arch9wavefront6targetE0EEEvT1_,comdat
	.globl	_ZN7rocprim17ROCPRIM_400000_NS6detail17trampoline_kernelINS0_14default_configENS1_20scan_config_selectorIN3c107complexIdEEEEZZNS1_9scan_implILNS1_25lookback_scan_determinismE0ELb0ELb0ES3_PKS7_PS7_S7_ZZZN2at6native31launch_logcumsumexp_cuda_kernelERKNSE_10TensorBaseESI_lENKUlvE_clEvENKUlvE1_clEvEUlS7_S7_E_S7_EEDaPvRmT3_T4_T5_mT6_P12ihipStream_tbENKUlT_T0_E_clISt17integral_constantIbLb0EESY_IbLb1EEEEDaSU_SV_EUlSU_E_NS1_11comp_targetILNS1_3genE0ELNS1_11target_archE4294967295ELNS1_3gpuE0ELNS1_3repE0EEENS1_30default_config_static_selectorELNS0_4arch9wavefront6targetE0EEEvT1_ ; -- Begin function _ZN7rocprim17ROCPRIM_400000_NS6detail17trampoline_kernelINS0_14default_configENS1_20scan_config_selectorIN3c107complexIdEEEEZZNS1_9scan_implILNS1_25lookback_scan_determinismE0ELb0ELb0ES3_PKS7_PS7_S7_ZZZN2at6native31launch_logcumsumexp_cuda_kernelERKNSE_10TensorBaseESI_lENKUlvE_clEvENKUlvE1_clEvEUlS7_S7_E_S7_EEDaPvRmT3_T4_T5_mT6_P12ihipStream_tbENKUlT_T0_E_clISt17integral_constantIbLb0EESY_IbLb1EEEEDaSU_SV_EUlSU_E_NS1_11comp_targetILNS1_3genE0ELNS1_11target_archE4294967295ELNS1_3gpuE0ELNS1_3repE0EEENS1_30default_config_static_selectorELNS0_4arch9wavefront6targetE0EEEvT1_
	.p2align	8
	.type	_ZN7rocprim17ROCPRIM_400000_NS6detail17trampoline_kernelINS0_14default_configENS1_20scan_config_selectorIN3c107complexIdEEEEZZNS1_9scan_implILNS1_25lookback_scan_determinismE0ELb0ELb0ES3_PKS7_PS7_S7_ZZZN2at6native31launch_logcumsumexp_cuda_kernelERKNSE_10TensorBaseESI_lENKUlvE_clEvENKUlvE1_clEvEUlS7_S7_E_S7_EEDaPvRmT3_T4_T5_mT6_P12ihipStream_tbENKUlT_T0_E_clISt17integral_constantIbLb0EESY_IbLb1EEEEDaSU_SV_EUlSU_E_NS1_11comp_targetILNS1_3genE0ELNS1_11target_archE4294967295ELNS1_3gpuE0ELNS1_3repE0EEENS1_30default_config_static_selectorELNS0_4arch9wavefront6targetE0EEEvT1_,@function
_ZN7rocprim17ROCPRIM_400000_NS6detail17trampoline_kernelINS0_14default_configENS1_20scan_config_selectorIN3c107complexIdEEEEZZNS1_9scan_implILNS1_25lookback_scan_determinismE0ELb0ELb0ES3_PKS7_PS7_S7_ZZZN2at6native31launch_logcumsumexp_cuda_kernelERKNSE_10TensorBaseESI_lENKUlvE_clEvENKUlvE1_clEvEUlS7_S7_E_S7_EEDaPvRmT3_T4_T5_mT6_P12ihipStream_tbENKUlT_T0_E_clISt17integral_constantIbLb0EESY_IbLb1EEEEDaSU_SV_EUlSU_E_NS1_11comp_targetILNS1_3genE0ELNS1_11target_archE4294967295ELNS1_3gpuE0ELNS1_3repE0EEENS1_30default_config_static_selectorELNS0_4arch9wavefront6targetE0EEEvT1_: ; @_ZN7rocprim17ROCPRIM_400000_NS6detail17trampoline_kernelINS0_14default_configENS1_20scan_config_selectorIN3c107complexIdEEEEZZNS1_9scan_implILNS1_25lookback_scan_determinismE0ELb0ELb0ES3_PKS7_PS7_S7_ZZZN2at6native31launch_logcumsumexp_cuda_kernelERKNSE_10TensorBaseESI_lENKUlvE_clEvENKUlvE1_clEvEUlS7_S7_E_S7_EEDaPvRmT3_T4_T5_mT6_P12ihipStream_tbENKUlT_T0_E_clISt17integral_constantIbLb0EESY_IbLb1EEEEDaSU_SV_EUlSU_E_NS1_11comp_targetILNS1_3genE0ELNS1_11target_archE4294967295ELNS1_3gpuE0ELNS1_3repE0EEENS1_30default_config_static_selectorELNS0_4arch9wavefront6targetE0EEEvT1_
; %bb.0:
	.section	.rodata,"a",@progbits
	.p2align	6, 0x0
	.amdhsa_kernel _ZN7rocprim17ROCPRIM_400000_NS6detail17trampoline_kernelINS0_14default_configENS1_20scan_config_selectorIN3c107complexIdEEEEZZNS1_9scan_implILNS1_25lookback_scan_determinismE0ELb0ELb0ES3_PKS7_PS7_S7_ZZZN2at6native31launch_logcumsumexp_cuda_kernelERKNSE_10TensorBaseESI_lENKUlvE_clEvENKUlvE1_clEvEUlS7_S7_E_S7_EEDaPvRmT3_T4_T5_mT6_P12ihipStream_tbENKUlT_T0_E_clISt17integral_constantIbLb0EESY_IbLb1EEEEDaSU_SV_EUlSU_E_NS1_11comp_targetILNS1_3genE0ELNS1_11target_archE4294967295ELNS1_3gpuE0ELNS1_3repE0EEENS1_30default_config_static_selectorELNS0_4arch9wavefront6targetE0EEEvT1_
		.amdhsa_group_segment_fixed_size 0
		.amdhsa_private_segment_fixed_size 0
		.amdhsa_kernarg_size 128
		.amdhsa_user_sgpr_count 15
		.amdhsa_user_sgpr_dispatch_ptr 0
		.amdhsa_user_sgpr_queue_ptr 0
		.amdhsa_user_sgpr_kernarg_segment_ptr 1
		.amdhsa_user_sgpr_dispatch_id 0
		.amdhsa_user_sgpr_private_segment_size 0
		.amdhsa_wavefront_size32 1
		.amdhsa_uses_dynamic_stack 0
		.amdhsa_enable_private_segment 0
		.amdhsa_system_sgpr_workgroup_id_x 1
		.amdhsa_system_sgpr_workgroup_id_y 0
		.amdhsa_system_sgpr_workgroup_id_z 0
		.amdhsa_system_sgpr_workgroup_info 0
		.amdhsa_system_vgpr_workitem_id 0
		.amdhsa_next_free_vgpr 1
		.amdhsa_next_free_sgpr 1
		.amdhsa_reserve_vcc 0
		.amdhsa_float_round_mode_32 0
		.amdhsa_float_round_mode_16_64 0
		.amdhsa_float_denorm_mode_32 3
		.amdhsa_float_denorm_mode_16_64 3
		.amdhsa_dx10_clamp 1
		.amdhsa_ieee_mode 1
		.amdhsa_fp16_overflow 0
		.amdhsa_workgroup_processor_mode 1
		.amdhsa_memory_ordered 1
		.amdhsa_forward_progress 0
		.amdhsa_shared_vgpr_count 0
		.amdhsa_exception_fp_ieee_invalid_op 0
		.amdhsa_exception_fp_denorm_src 0
		.amdhsa_exception_fp_ieee_div_zero 0
		.amdhsa_exception_fp_ieee_overflow 0
		.amdhsa_exception_fp_ieee_underflow 0
		.amdhsa_exception_fp_ieee_inexact 0
		.amdhsa_exception_int_div_zero 0
	.end_amdhsa_kernel
	.section	.text._ZN7rocprim17ROCPRIM_400000_NS6detail17trampoline_kernelINS0_14default_configENS1_20scan_config_selectorIN3c107complexIdEEEEZZNS1_9scan_implILNS1_25lookback_scan_determinismE0ELb0ELb0ES3_PKS7_PS7_S7_ZZZN2at6native31launch_logcumsumexp_cuda_kernelERKNSE_10TensorBaseESI_lENKUlvE_clEvENKUlvE1_clEvEUlS7_S7_E_S7_EEDaPvRmT3_T4_T5_mT6_P12ihipStream_tbENKUlT_T0_E_clISt17integral_constantIbLb0EESY_IbLb1EEEEDaSU_SV_EUlSU_E_NS1_11comp_targetILNS1_3genE0ELNS1_11target_archE4294967295ELNS1_3gpuE0ELNS1_3repE0EEENS1_30default_config_static_selectorELNS0_4arch9wavefront6targetE0EEEvT1_,"axG",@progbits,_ZN7rocprim17ROCPRIM_400000_NS6detail17trampoline_kernelINS0_14default_configENS1_20scan_config_selectorIN3c107complexIdEEEEZZNS1_9scan_implILNS1_25lookback_scan_determinismE0ELb0ELb0ES3_PKS7_PS7_S7_ZZZN2at6native31launch_logcumsumexp_cuda_kernelERKNSE_10TensorBaseESI_lENKUlvE_clEvENKUlvE1_clEvEUlS7_S7_E_S7_EEDaPvRmT3_T4_T5_mT6_P12ihipStream_tbENKUlT_T0_E_clISt17integral_constantIbLb0EESY_IbLb1EEEEDaSU_SV_EUlSU_E_NS1_11comp_targetILNS1_3genE0ELNS1_11target_archE4294967295ELNS1_3gpuE0ELNS1_3repE0EEENS1_30default_config_static_selectorELNS0_4arch9wavefront6targetE0EEEvT1_,comdat
.Lfunc_end245:
	.size	_ZN7rocprim17ROCPRIM_400000_NS6detail17trampoline_kernelINS0_14default_configENS1_20scan_config_selectorIN3c107complexIdEEEEZZNS1_9scan_implILNS1_25lookback_scan_determinismE0ELb0ELb0ES3_PKS7_PS7_S7_ZZZN2at6native31launch_logcumsumexp_cuda_kernelERKNSE_10TensorBaseESI_lENKUlvE_clEvENKUlvE1_clEvEUlS7_S7_E_S7_EEDaPvRmT3_T4_T5_mT6_P12ihipStream_tbENKUlT_T0_E_clISt17integral_constantIbLb0EESY_IbLb1EEEEDaSU_SV_EUlSU_E_NS1_11comp_targetILNS1_3genE0ELNS1_11target_archE4294967295ELNS1_3gpuE0ELNS1_3repE0EEENS1_30default_config_static_selectorELNS0_4arch9wavefront6targetE0EEEvT1_, .Lfunc_end245-_ZN7rocprim17ROCPRIM_400000_NS6detail17trampoline_kernelINS0_14default_configENS1_20scan_config_selectorIN3c107complexIdEEEEZZNS1_9scan_implILNS1_25lookback_scan_determinismE0ELb0ELb0ES3_PKS7_PS7_S7_ZZZN2at6native31launch_logcumsumexp_cuda_kernelERKNSE_10TensorBaseESI_lENKUlvE_clEvENKUlvE1_clEvEUlS7_S7_E_S7_EEDaPvRmT3_T4_T5_mT6_P12ihipStream_tbENKUlT_T0_E_clISt17integral_constantIbLb0EESY_IbLb1EEEEDaSU_SV_EUlSU_E_NS1_11comp_targetILNS1_3genE0ELNS1_11target_archE4294967295ELNS1_3gpuE0ELNS1_3repE0EEENS1_30default_config_static_selectorELNS0_4arch9wavefront6targetE0EEEvT1_
                                        ; -- End function
	.section	.AMDGPU.csdata,"",@progbits
; Kernel info:
; codeLenInByte = 0
; NumSgprs: 0
; NumVgprs: 0
; ScratchSize: 0
; MemoryBound: 0
; FloatMode: 240
; IeeeMode: 1
; LDSByteSize: 0 bytes/workgroup (compile time only)
; SGPRBlocks: 0
; VGPRBlocks: 0
; NumSGPRsForWavesPerEU: 1
; NumVGPRsForWavesPerEU: 1
; Occupancy: 16
; WaveLimiterHint : 0
; COMPUTE_PGM_RSRC2:SCRATCH_EN: 0
; COMPUTE_PGM_RSRC2:USER_SGPR: 15
; COMPUTE_PGM_RSRC2:TRAP_HANDLER: 0
; COMPUTE_PGM_RSRC2:TGID_X_EN: 1
; COMPUTE_PGM_RSRC2:TGID_Y_EN: 0
; COMPUTE_PGM_RSRC2:TGID_Z_EN: 0
; COMPUTE_PGM_RSRC2:TIDIG_COMP_CNT: 0
	.section	.text._ZN7rocprim17ROCPRIM_400000_NS6detail17trampoline_kernelINS0_14default_configENS1_20scan_config_selectorIN3c107complexIdEEEEZZNS1_9scan_implILNS1_25lookback_scan_determinismE0ELb0ELb0ES3_PKS7_PS7_S7_ZZZN2at6native31launch_logcumsumexp_cuda_kernelERKNSE_10TensorBaseESI_lENKUlvE_clEvENKUlvE1_clEvEUlS7_S7_E_S7_EEDaPvRmT3_T4_T5_mT6_P12ihipStream_tbENKUlT_T0_E_clISt17integral_constantIbLb0EESY_IbLb1EEEEDaSU_SV_EUlSU_E_NS1_11comp_targetILNS1_3genE5ELNS1_11target_archE942ELNS1_3gpuE9ELNS1_3repE0EEENS1_30default_config_static_selectorELNS0_4arch9wavefront6targetE0EEEvT1_,"axG",@progbits,_ZN7rocprim17ROCPRIM_400000_NS6detail17trampoline_kernelINS0_14default_configENS1_20scan_config_selectorIN3c107complexIdEEEEZZNS1_9scan_implILNS1_25lookback_scan_determinismE0ELb0ELb0ES3_PKS7_PS7_S7_ZZZN2at6native31launch_logcumsumexp_cuda_kernelERKNSE_10TensorBaseESI_lENKUlvE_clEvENKUlvE1_clEvEUlS7_S7_E_S7_EEDaPvRmT3_T4_T5_mT6_P12ihipStream_tbENKUlT_T0_E_clISt17integral_constantIbLb0EESY_IbLb1EEEEDaSU_SV_EUlSU_E_NS1_11comp_targetILNS1_3genE5ELNS1_11target_archE942ELNS1_3gpuE9ELNS1_3repE0EEENS1_30default_config_static_selectorELNS0_4arch9wavefront6targetE0EEEvT1_,comdat
	.globl	_ZN7rocprim17ROCPRIM_400000_NS6detail17trampoline_kernelINS0_14default_configENS1_20scan_config_selectorIN3c107complexIdEEEEZZNS1_9scan_implILNS1_25lookback_scan_determinismE0ELb0ELb0ES3_PKS7_PS7_S7_ZZZN2at6native31launch_logcumsumexp_cuda_kernelERKNSE_10TensorBaseESI_lENKUlvE_clEvENKUlvE1_clEvEUlS7_S7_E_S7_EEDaPvRmT3_T4_T5_mT6_P12ihipStream_tbENKUlT_T0_E_clISt17integral_constantIbLb0EESY_IbLb1EEEEDaSU_SV_EUlSU_E_NS1_11comp_targetILNS1_3genE5ELNS1_11target_archE942ELNS1_3gpuE9ELNS1_3repE0EEENS1_30default_config_static_selectorELNS0_4arch9wavefront6targetE0EEEvT1_ ; -- Begin function _ZN7rocprim17ROCPRIM_400000_NS6detail17trampoline_kernelINS0_14default_configENS1_20scan_config_selectorIN3c107complexIdEEEEZZNS1_9scan_implILNS1_25lookback_scan_determinismE0ELb0ELb0ES3_PKS7_PS7_S7_ZZZN2at6native31launch_logcumsumexp_cuda_kernelERKNSE_10TensorBaseESI_lENKUlvE_clEvENKUlvE1_clEvEUlS7_S7_E_S7_EEDaPvRmT3_T4_T5_mT6_P12ihipStream_tbENKUlT_T0_E_clISt17integral_constantIbLb0EESY_IbLb1EEEEDaSU_SV_EUlSU_E_NS1_11comp_targetILNS1_3genE5ELNS1_11target_archE942ELNS1_3gpuE9ELNS1_3repE0EEENS1_30default_config_static_selectorELNS0_4arch9wavefront6targetE0EEEvT1_
	.p2align	8
	.type	_ZN7rocprim17ROCPRIM_400000_NS6detail17trampoline_kernelINS0_14default_configENS1_20scan_config_selectorIN3c107complexIdEEEEZZNS1_9scan_implILNS1_25lookback_scan_determinismE0ELb0ELb0ES3_PKS7_PS7_S7_ZZZN2at6native31launch_logcumsumexp_cuda_kernelERKNSE_10TensorBaseESI_lENKUlvE_clEvENKUlvE1_clEvEUlS7_S7_E_S7_EEDaPvRmT3_T4_T5_mT6_P12ihipStream_tbENKUlT_T0_E_clISt17integral_constantIbLb0EESY_IbLb1EEEEDaSU_SV_EUlSU_E_NS1_11comp_targetILNS1_3genE5ELNS1_11target_archE942ELNS1_3gpuE9ELNS1_3repE0EEENS1_30default_config_static_selectorELNS0_4arch9wavefront6targetE0EEEvT1_,@function
_ZN7rocprim17ROCPRIM_400000_NS6detail17trampoline_kernelINS0_14default_configENS1_20scan_config_selectorIN3c107complexIdEEEEZZNS1_9scan_implILNS1_25lookback_scan_determinismE0ELb0ELb0ES3_PKS7_PS7_S7_ZZZN2at6native31launch_logcumsumexp_cuda_kernelERKNSE_10TensorBaseESI_lENKUlvE_clEvENKUlvE1_clEvEUlS7_S7_E_S7_EEDaPvRmT3_T4_T5_mT6_P12ihipStream_tbENKUlT_T0_E_clISt17integral_constantIbLb0EESY_IbLb1EEEEDaSU_SV_EUlSU_E_NS1_11comp_targetILNS1_3genE5ELNS1_11target_archE942ELNS1_3gpuE9ELNS1_3repE0EEENS1_30default_config_static_selectorELNS0_4arch9wavefront6targetE0EEEvT1_: ; @_ZN7rocprim17ROCPRIM_400000_NS6detail17trampoline_kernelINS0_14default_configENS1_20scan_config_selectorIN3c107complexIdEEEEZZNS1_9scan_implILNS1_25lookback_scan_determinismE0ELb0ELb0ES3_PKS7_PS7_S7_ZZZN2at6native31launch_logcumsumexp_cuda_kernelERKNSE_10TensorBaseESI_lENKUlvE_clEvENKUlvE1_clEvEUlS7_S7_E_S7_EEDaPvRmT3_T4_T5_mT6_P12ihipStream_tbENKUlT_T0_E_clISt17integral_constantIbLb0EESY_IbLb1EEEEDaSU_SV_EUlSU_E_NS1_11comp_targetILNS1_3genE5ELNS1_11target_archE942ELNS1_3gpuE9ELNS1_3repE0EEENS1_30default_config_static_selectorELNS0_4arch9wavefront6targetE0EEEvT1_
; %bb.0:
	.section	.rodata,"a",@progbits
	.p2align	6, 0x0
	.amdhsa_kernel _ZN7rocprim17ROCPRIM_400000_NS6detail17trampoline_kernelINS0_14default_configENS1_20scan_config_selectorIN3c107complexIdEEEEZZNS1_9scan_implILNS1_25lookback_scan_determinismE0ELb0ELb0ES3_PKS7_PS7_S7_ZZZN2at6native31launch_logcumsumexp_cuda_kernelERKNSE_10TensorBaseESI_lENKUlvE_clEvENKUlvE1_clEvEUlS7_S7_E_S7_EEDaPvRmT3_T4_T5_mT6_P12ihipStream_tbENKUlT_T0_E_clISt17integral_constantIbLb0EESY_IbLb1EEEEDaSU_SV_EUlSU_E_NS1_11comp_targetILNS1_3genE5ELNS1_11target_archE942ELNS1_3gpuE9ELNS1_3repE0EEENS1_30default_config_static_selectorELNS0_4arch9wavefront6targetE0EEEvT1_
		.amdhsa_group_segment_fixed_size 0
		.amdhsa_private_segment_fixed_size 0
		.amdhsa_kernarg_size 128
		.amdhsa_user_sgpr_count 15
		.amdhsa_user_sgpr_dispatch_ptr 0
		.amdhsa_user_sgpr_queue_ptr 0
		.amdhsa_user_sgpr_kernarg_segment_ptr 1
		.amdhsa_user_sgpr_dispatch_id 0
		.amdhsa_user_sgpr_private_segment_size 0
		.amdhsa_wavefront_size32 1
		.amdhsa_uses_dynamic_stack 0
		.amdhsa_enable_private_segment 0
		.amdhsa_system_sgpr_workgroup_id_x 1
		.amdhsa_system_sgpr_workgroup_id_y 0
		.amdhsa_system_sgpr_workgroup_id_z 0
		.amdhsa_system_sgpr_workgroup_info 0
		.amdhsa_system_vgpr_workitem_id 0
		.amdhsa_next_free_vgpr 1
		.amdhsa_next_free_sgpr 1
		.amdhsa_reserve_vcc 0
		.amdhsa_float_round_mode_32 0
		.amdhsa_float_round_mode_16_64 0
		.amdhsa_float_denorm_mode_32 3
		.amdhsa_float_denorm_mode_16_64 3
		.amdhsa_dx10_clamp 1
		.amdhsa_ieee_mode 1
		.amdhsa_fp16_overflow 0
		.amdhsa_workgroup_processor_mode 1
		.amdhsa_memory_ordered 1
		.amdhsa_forward_progress 0
		.amdhsa_shared_vgpr_count 0
		.amdhsa_exception_fp_ieee_invalid_op 0
		.amdhsa_exception_fp_denorm_src 0
		.amdhsa_exception_fp_ieee_div_zero 0
		.amdhsa_exception_fp_ieee_overflow 0
		.amdhsa_exception_fp_ieee_underflow 0
		.amdhsa_exception_fp_ieee_inexact 0
		.amdhsa_exception_int_div_zero 0
	.end_amdhsa_kernel
	.section	.text._ZN7rocprim17ROCPRIM_400000_NS6detail17trampoline_kernelINS0_14default_configENS1_20scan_config_selectorIN3c107complexIdEEEEZZNS1_9scan_implILNS1_25lookback_scan_determinismE0ELb0ELb0ES3_PKS7_PS7_S7_ZZZN2at6native31launch_logcumsumexp_cuda_kernelERKNSE_10TensorBaseESI_lENKUlvE_clEvENKUlvE1_clEvEUlS7_S7_E_S7_EEDaPvRmT3_T4_T5_mT6_P12ihipStream_tbENKUlT_T0_E_clISt17integral_constantIbLb0EESY_IbLb1EEEEDaSU_SV_EUlSU_E_NS1_11comp_targetILNS1_3genE5ELNS1_11target_archE942ELNS1_3gpuE9ELNS1_3repE0EEENS1_30default_config_static_selectorELNS0_4arch9wavefront6targetE0EEEvT1_,"axG",@progbits,_ZN7rocprim17ROCPRIM_400000_NS6detail17trampoline_kernelINS0_14default_configENS1_20scan_config_selectorIN3c107complexIdEEEEZZNS1_9scan_implILNS1_25lookback_scan_determinismE0ELb0ELb0ES3_PKS7_PS7_S7_ZZZN2at6native31launch_logcumsumexp_cuda_kernelERKNSE_10TensorBaseESI_lENKUlvE_clEvENKUlvE1_clEvEUlS7_S7_E_S7_EEDaPvRmT3_T4_T5_mT6_P12ihipStream_tbENKUlT_T0_E_clISt17integral_constantIbLb0EESY_IbLb1EEEEDaSU_SV_EUlSU_E_NS1_11comp_targetILNS1_3genE5ELNS1_11target_archE942ELNS1_3gpuE9ELNS1_3repE0EEENS1_30default_config_static_selectorELNS0_4arch9wavefront6targetE0EEEvT1_,comdat
.Lfunc_end246:
	.size	_ZN7rocprim17ROCPRIM_400000_NS6detail17trampoline_kernelINS0_14default_configENS1_20scan_config_selectorIN3c107complexIdEEEEZZNS1_9scan_implILNS1_25lookback_scan_determinismE0ELb0ELb0ES3_PKS7_PS7_S7_ZZZN2at6native31launch_logcumsumexp_cuda_kernelERKNSE_10TensorBaseESI_lENKUlvE_clEvENKUlvE1_clEvEUlS7_S7_E_S7_EEDaPvRmT3_T4_T5_mT6_P12ihipStream_tbENKUlT_T0_E_clISt17integral_constantIbLb0EESY_IbLb1EEEEDaSU_SV_EUlSU_E_NS1_11comp_targetILNS1_3genE5ELNS1_11target_archE942ELNS1_3gpuE9ELNS1_3repE0EEENS1_30default_config_static_selectorELNS0_4arch9wavefront6targetE0EEEvT1_, .Lfunc_end246-_ZN7rocprim17ROCPRIM_400000_NS6detail17trampoline_kernelINS0_14default_configENS1_20scan_config_selectorIN3c107complexIdEEEEZZNS1_9scan_implILNS1_25lookback_scan_determinismE0ELb0ELb0ES3_PKS7_PS7_S7_ZZZN2at6native31launch_logcumsumexp_cuda_kernelERKNSE_10TensorBaseESI_lENKUlvE_clEvENKUlvE1_clEvEUlS7_S7_E_S7_EEDaPvRmT3_T4_T5_mT6_P12ihipStream_tbENKUlT_T0_E_clISt17integral_constantIbLb0EESY_IbLb1EEEEDaSU_SV_EUlSU_E_NS1_11comp_targetILNS1_3genE5ELNS1_11target_archE942ELNS1_3gpuE9ELNS1_3repE0EEENS1_30default_config_static_selectorELNS0_4arch9wavefront6targetE0EEEvT1_
                                        ; -- End function
	.section	.AMDGPU.csdata,"",@progbits
; Kernel info:
; codeLenInByte = 0
; NumSgprs: 0
; NumVgprs: 0
; ScratchSize: 0
; MemoryBound: 0
; FloatMode: 240
; IeeeMode: 1
; LDSByteSize: 0 bytes/workgroup (compile time only)
; SGPRBlocks: 0
; VGPRBlocks: 0
; NumSGPRsForWavesPerEU: 1
; NumVGPRsForWavesPerEU: 1
; Occupancy: 16
; WaveLimiterHint : 0
; COMPUTE_PGM_RSRC2:SCRATCH_EN: 0
; COMPUTE_PGM_RSRC2:USER_SGPR: 15
; COMPUTE_PGM_RSRC2:TRAP_HANDLER: 0
; COMPUTE_PGM_RSRC2:TGID_X_EN: 1
; COMPUTE_PGM_RSRC2:TGID_Y_EN: 0
; COMPUTE_PGM_RSRC2:TGID_Z_EN: 0
; COMPUTE_PGM_RSRC2:TIDIG_COMP_CNT: 0
	.section	.text._ZN7rocprim17ROCPRIM_400000_NS6detail17trampoline_kernelINS0_14default_configENS1_20scan_config_selectorIN3c107complexIdEEEEZZNS1_9scan_implILNS1_25lookback_scan_determinismE0ELb0ELb0ES3_PKS7_PS7_S7_ZZZN2at6native31launch_logcumsumexp_cuda_kernelERKNSE_10TensorBaseESI_lENKUlvE_clEvENKUlvE1_clEvEUlS7_S7_E_S7_EEDaPvRmT3_T4_T5_mT6_P12ihipStream_tbENKUlT_T0_E_clISt17integral_constantIbLb0EESY_IbLb1EEEEDaSU_SV_EUlSU_E_NS1_11comp_targetILNS1_3genE4ELNS1_11target_archE910ELNS1_3gpuE8ELNS1_3repE0EEENS1_30default_config_static_selectorELNS0_4arch9wavefront6targetE0EEEvT1_,"axG",@progbits,_ZN7rocprim17ROCPRIM_400000_NS6detail17trampoline_kernelINS0_14default_configENS1_20scan_config_selectorIN3c107complexIdEEEEZZNS1_9scan_implILNS1_25lookback_scan_determinismE0ELb0ELb0ES3_PKS7_PS7_S7_ZZZN2at6native31launch_logcumsumexp_cuda_kernelERKNSE_10TensorBaseESI_lENKUlvE_clEvENKUlvE1_clEvEUlS7_S7_E_S7_EEDaPvRmT3_T4_T5_mT6_P12ihipStream_tbENKUlT_T0_E_clISt17integral_constantIbLb0EESY_IbLb1EEEEDaSU_SV_EUlSU_E_NS1_11comp_targetILNS1_3genE4ELNS1_11target_archE910ELNS1_3gpuE8ELNS1_3repE0EEENS1_30default_config_static_selectorELNS0_4arch9wavefront6targetE0EEEvT1_,comdat
	.globl	_ZN7rocprim17ROCPRIM_400000_NS6detail17trampoline_kernelINS0_14default_configENS1_20scan_config_selectorIN3c107complexIdEEEEZZNS1_9scan_implILNS1_25lookback_scan_determinismE0ELb0ELb0ES3_PKS7_PS7_S7_ZZZN2at6native31launch_logcumsumexp_cuda_kernelERKNSE_10TensorBaseESI_lENKUlvE_clEvENKUlvE1_clEvEUlS7_S7_E_S7_EEDaPvRmT3_T4_T5_mT6_P12ihipStream_tbENKUlT_T0_E_clISt17integral_constantIbLb0EESY_IbLb1EEEEDaSU_SV_EUlSU_E_NS1_11comp_targetILNS1_3genE4ELNS1_11target_archE910ELNS1_3gpuE8ELNS1_3repE0EEENS1_30default_config_static_selectorELNS0_4arch9wavefront6targetE0EEEvT1_ ; -- Begin function _ZN7rocprim17ROCPRIM_400000_NS6detail17trampoline_kernelINS0_14default_configENS1_20scan_config_selectorIN3c107complexIdEEEEZZNS1_9scan_implILNS1_25lookback_scan_determinismE0ELb0ELb0ES3_PKS7_PS7_S7_ZZZN2at6native31launch_logcumsumexp_cuda_kernelERKNSE_10TensorBaseESI_lENKUlvE_clEvENKUlvE1_clEvEUlS7_S7_E_S7_EEDaPvRmT3_T4_T5_mT6_P12ihipStream_tbENKUlT_T0_E_clISt17integral_constantIbLb0EESY_IbLb1EEEEDaSU_SV_EUlSU_E_NS1_11comp_targetILNS1_3genE4ELNS1_11target_archE910ELNS1_3gpuE8ELNS1_3repE0EEENS1_30default_config_static_selectorELNS0_4arch9wavefront6targetE0EEEvT1_
	.p2align	8
	.type	_ZN7rocprim17ROCPRIM_400000_NS6detail17trampoline_kernelINS0_14default_configENS1_20scan_config_selectorIN3c107complexIdEEEEZZNS1_9scan_implILNS1_25lookback_scan_determinismE0ELb0ELb0ES3_PKS7_PS7_S7_ZZZN2at6native31launch_logcumsumexp_cuda_kernelERKNSE_10TensorBaseESI_lENKUlvE_clEvENKUlvE1_clEvEUlS7_S7_E_S7_EEDaPvRmT3_T4_T5_mT6_P12ihipStream_tbENKUlT_T0_E_clISt17integral_constantIbLb0EESY_IbLb1EEEEDaSU_SV_EUlSU_E_NS1_11comp_targetILNS1_3genE4ELNS1_11target_archE910ELNS1_3gpuE8ELNS1_3repE0EEENS1_30default_config_static_selectorELNS0_4arch9wavefront6targetE0EEEvT1_,@function
_ZN7rocprim17ROCPRIM_400000_NS6detail17trampoline_kernelINS0_14default_configENS1_20scan_config_selectorIN3c107complexIdEEEEZZNS1_9scan_implILNS1_25lookback_scan_determinismE0ELb0ELb0ES3_PKS7_PS7_S7_ZZZN2at6native31launch_logcumsumexp_cuda_kernelERKNSE_10TensorBaseESI_lENKUlvE_clEvENKUlvE1_clEvEUlS7_S7_E_S7_EEDaPvRmT3_T4_T5_mT6_P12ihipStream_tbENKUlT_T0_E_clISt17integral_constantIbLb0EESY_IbLb1EEEEDaSU_SV_EUlSU_E_NS1_11comp_targetILNS1_3genE4ELNS1_11target_archE910ELNS1_3gpuE8ELNS1_3repE0EEENS1_30default_config_static_selectorELNS0_4arch9wavefront6targetE0EEEvT1_: ; @_ZN7rocprim17ROCPRIM_400000_NS6detail17trampoline_kernelINS0_14default_configENS1_20scan_config_selectorIN3c107complexIdEEEEZZNS1_9scan_implILNS1_25lookback_scan_determinismE0ELb0ELb0ES3_PKS7_PS7_S7_ZZZN2at6native31launch_logcumsumexp_cuda_kernelERKNSE_10TensorBaseESI_lENKUlvE_clEvENKUlvE1_clEvEUlS7_S7_E_S7_EEDaPvRmT3_T4_T5_mT6_P12ihipStream_tbENKUlT_T0_E_clISt17integral_constantIbLb0EESY_IbLb1EEEEDaSU_SV_EUlSU_E_NS1_11comp_targetILNS1_3genE4ELNS1_11target_archE910ELNS1_3gpuE8ELNS1_3repE0EEENS1_30default_config_static_selectorELNS0_4arch9wavefront6targetE0EEEvT1_
; %bb.0:
	.section	.rodata,"a",@progbits
	.p2align	6, 0x0
	.amdhsa_kernel _ZN7rocprim17ROCPRIM_400000_NS6detail17trampoline_kernelINS0_14default_configENS1_20scan_config_selectorIN3c107complexIdEEEEZZNS1_9scan_implILNS1_25lookback_scan_determinismE0ELb0ELb0ES3_PKS7_PS7_S7_ZZZN2at6native31launch_logcumsumexp_cuda_kernelERKNSE_10TensorBaseESI_lENKUlvE_clEvENKUlvE1_clEvEUlS7_S7_E_S7_EEDaPvRmT3_T4_T5_mT6_P12ihipStream_tbENKUlT_T0_E_clISt17integral_constantIbLb0EESY_IbLb1EEEEDaSU_SV_EUlSU_E_NS1_11comp_targetILNS1_3genE4ELNS1_11target_archE910ELNS1_3gpuE8ELNS1_3repE0EEENS1_30default_config_static_selectorELNS0_4arch9wavefront6targetE0EEEvT1_
		.amdhsa_group_segment_fixed_size 0
		.amdhsa_private_segment_fixed_size 0
		.amdhsa_kernarg_size 128
		.amdhsa_user_sgpr_count 15
		.amdhsa_user_sgpr_dispatch_ptr 0
		.amdhsa_user_sgpr_queue_ptr 0
		.amdhsa_user_sgpr_kernarg_segment_ptr 1
		.amdhsa_user_sgpr_dispatch_id 0
		.amdhsa_user_sgpr_private_segment_size 0
		.amdhsa_wavefront_size32 1
		.amdhsa_uses_dynamic_stack 0
		.amdhsa_enable_private_segment 0
		.amdhsa_system_sgpr_workgroup_id_x 1
		.amdhsa_system_sgpr_workgroup_id_y 0
		.amdhsa_system_sgpr_workgroup_id_z 0
		.amdhsa_system_sgpr_workgroup_info 0
		.amdhsa_system_vgpr_workitem_id 0
		.amdhsa_next_free_vgpr 1
		.amdhsa_next_free_sgpr 1
		.amdhsa_reserve_vcc 0
		.amdhsa_float_round_mode_32 0
		.amdhsa_float_round_mode_16_64 0
		.amdhsa_float_denorm_mode_32 3
		.amdhsa_float_denorm_mode_16_64 3
		.amdhsa_dx10_clamp 1
		.amdhsa_ieee_mode 1
		.amdhsa_fp16_overflow 0
		.amdhsa_workgroup_processor_mode 1
		.amdhsa_memory_ordered 1
		.amdhsa_forward_progress 0
		.amdhsa_shared_vgpr_count 0
		.amdhsa_exception_fp_ieee_invalid_op 0
		.amdhsa_exception_fp_denorm_src 0
		.amdhsa_exception_fp_ieee_div_zero 0
		.amdhsa_exception_fp_ieee_overflow 0
		.amdhsa_exception_fp_ieee_underflow 0
		.amdhsa_exception_fp_ieee_inexact 0
		.amdhsa_exception_int_div_zero 0
	.end_amdhsa_kernel
	.section	.text._ZN7rocprim17ROCPRIM_400000_NS6detail17trampoline_kernelINS0_14default_configENS1_20scan_config_selectorIN3c107complexIdEEEEZZNS1_9scan_implILNS1_25lookback_scan_determinismE0ELb0ELb0ES3_PKS7_PS7_S7_ZZZN2at6native31launch_logcumsumexp_cuda_kernelERKNSE_10TensorBaseESI_lENKUlvE_clEvENKUlvE1_clEvEUlS7_S7_E_S7_EEDaPvRmT3_T4_T5_mT6_P12ihipStream_tbENKUlT_T0_E_clISt17integral_constantIbLb0EESY_IbLb1EEEEDaSU_SV_EUlSU_E_NS1_11comp_targetILNS1_3genE4ELNS1_11target_archE910ELNS1_3gpuE8ELNS1_3repE0EEENS1_30default_config_static_selectorELNS0_4arch9wavefront6targetE0EEEvT1_,"axG",@progbits,_ZN7rocprim17ROCPRIM_400000_NS6detail17trampoline_kernelINS0_14default_configENS1_20scan_config_selectorIN3c107complexIdEEEEZZNS1_9scan_implILNS1_25lookback_scan_determinismE0ELb0ELb0ES3_PKS7_PS7_S7_ZZZN2at6native31launch_logcumsumexp_cuda_kernelERKNSE_10TensorBaseESI_lENKUlvE_clEvENKUlvE1_clEvEUlS7_S7_E_S7_EEDaPvRmT3_T4_T5_mT6_P12ihipStream_tbENKUlT_T0_E_clISt17integral_constantIbLb0EESY_IbLb1EEEEDaSU_SV_EUlSU_E_NS1_11comp_targetILNS1_3genE4ELNS1_11target_archE910ELNS1_3gpuE8ELNS1_3repE0EEENS1_30default_config_static_selectorELNS0_4arch9wavefront6targetE0EEEvT1_,comdat
.Lfunc_end247:
	.size	_ZN7rocprim17ROCPRIM_400000_NS6detail17trampoline_kernelINS0_14default_configENS1_20scan_config_selectorIN3c107complexIdEEEEZZNS1_9scan_implILNS1_25lookback_scan_determinismE0ELb0ELb0ES3_PKS7_PS7_S7_ZZZN2at6native31launch_logcumsumexp_cuda_kernelERKNSE_10TensorBaseESI_lENKUlvE_clEvENKUlvE1_clEvEUlS7_S7_E_S7_EEDaPvRmT3_T4_T5_mT6_P12ihipStream_tbENKUlT_T0_E_clISt17integral_constantIbLb0EESY_IbLb1EEEEDaSU_SV_EUlSU_E_NS1_11comp_targetILNS1_3genE4ELNS1_11target_archE910ELNS1_3gpuE8ELNS1_3repE0EEENS1_30default_config_static_selectorELNS0_4arch9wavefront6targetE0EEEvT1_, .Lfunc_end247-_ZN7rocprim17ROCPRIM_400000_NS6detail17trampoline_kernelINS0_14default_configENS1_20scan_config_selectorIN3c107complexIdEEEEZZNS1_9scan_implILNS1_25lookback_scan_determinismE0ELb0ELb0ES3_PKS7_PS7_S7_ZZZN2at6native31launch_logcumsumexp_cuda_kernelERKNSE_10TensorBaseESI_lENKUlvE_clEvENKUlvE1_clEvEUlS7_S7_E_S7_EEDaPvRmT3_T4_T5_mT6_P12ihipStream_tbENKUlT_T0_E_clISt17integral_constantIbLb0EESY_IbLb1EEEEDaSU_SV_EUlSU_E_NS1_11comp_targetILNS1_3genE4ELNS1_11target_archE910ELNS1_3gpuE8ELNS1_3repE0EEENS1_30default_config_static_selectorELNS0_4arch9wavefront6targetE0EEEvT1_
                                        ; -- End function
	.section	.AMDGPU.csdata,"",@progbits
; Kernel info:
; codeLenInByte = 0
; NumSgprs: 0
; NumVgprs: 0
; ScratchSize: 0
; MemoryBound: 0
; FloatMode: 240
; IeeeMode: 1
; LDSByteSize: 0 bytes/workgroup (compile time only)
; SGPRBlocks: 0
; VGPRBlocks: 0
; NumSGPRsForWavesPerEU: 1
; NumVGPRsForWavesPerEU: 1
; Occupancy: 16
; WaveLimiterHint : 0
; COMPUTE_PGM_RSRC2:SCRATCH_EN: 0
; COMPUTE_PGM_RSRC2:USER_SGPR: 15
; COMPUTE_PGM_RSRC2:TRAP_HANDLER: 0
; COMPUTE_PGM_RSRC2:TGID_X_EN: 1
; COMPUTE_PGM_RSRC2:TGID_Y_EN: 0
; COMPUTE_PGM_RSRC2:TGID_Z_EN: 0
; COMPUTE_PGM_RSRC2:TIDIG_COMP_CNT: 0
	.section	.text._ZN7rocprim17ROCPRIM_400000_NS6detail17trampoline_kernelINS0_14default_configENS1_20scan_config_selectorIN3c107complexIdEEEEZZNS1_9scan_implILNS1_25lookback_scan_determinismE0ELb0ELb0ES3_PKS7_PS7_S7_ZZZN2at6native31launch_logcumsumexp_cuda_kernelERKNSE_10TensorBaseESI_lENKUlvE_clEvENKUlvE1_clEvEUlS7_S7_E_S7_EEDaPvRmT3_T4_T5_mT6_P12ihipStream_tbENKUlT_T0_E_clISt17integral_constantIbLb0EESY_IbLb1EEEEDaSU_SV_EUlSU_E_NS1_11comp_targetILNS1_3genE3ELNS1_11target_archE908ELNS1_3gpuE7ELNS1_3repE0EEENS1_30default_config_static_selectorELNS0_4arch9wavefront6targetE0EEEvT1_,"axG",@progbits,_ZN7rocprim17ROCPRIM_400000_NS6detail17trampoline_kernelINS0_14default_configENS1_20scan_config_selectorIN3c107complexIdEEEEZZNS1_9scan_implILNS1_25lookback_scan_determinismE0ELb0ELb0ES3_PKS7_PS7_S7_ZZZN2at6native31launch_logcumsumexp_cuda_kernelERKNSE_10TensorBaseESI_lENKUlvE_clEvENKUlvE1_clEvEUlS7_S7_E_S7_EEDaPvRmT3_T4_T5_mT6_P12ihipStream_tbENKUlT_T0_E_clISt17integral_constantIbLb0EESY_IbLb1EEEEDaSU_SV_EUlSU_E_NS1_11comp_targetILNS1_3genE3ELNS1_11target_archE908ELNS1_3gpuE7ELNS1_3repE0EEENS1_30default_config_static_selectorELNS0_4arch9wavefront6targetE0EEEvT1_,comdat
	.globl	_ZN7rocprim17ROCPRIM_400000_NS6detail17trampoline_kernelINS0_14default_configENS1_20scan_config_selectorIN3c107complexIdEEEEZZNS1_9scan_implILNS1_25lookback_scan_determinismE0ELb0ELb0ES3_PKS7_PS7_S7_ZZZN2at6native31launch_logcumsumexp_cuda_kernelERKNSE_10TensorBaseESI_lENKUlvE_clEvENKUlvE1_clEvEUlS7_S7_E_S7_EEDaPvRmT3_T4_T5_mT6_P12ihipStream_tbENKUlT_T0_E_clISt17integral_constantIbLb0EESY_IbLb1EEEEDaSU_SV_EUlSU_E_NS1_11comp_targetILNS1_3genE3ELNS1_11target_archE908ELNS1_3gpuE7ELNS1_3repE0EEENS1_30default_config_static_selectorELNS0_4arch9wavefront6targetE0EEEvT1_ ; -- Begin function _ZN7rocprim17ROCPRIM_400000_NS6detail17trampoline_kernelINS0_14default_configENS1_20scan_config_selectorIN3c107complexIdEEEEZZNS1_9scan_implILNS1_25lookback_scan_determinismE0ELb0ELb0ES3_PKS7_PS7_S7_ZZZN2at6native31launch_logcumsumexp_cuda_kernelERKNSE_10TensorBaseESI_lENKUlvE_clEvENKUlvE1_clEvEUlS7_S7_E_S7_EEDaPvRmT3_T4_T5_mT6_P12ihipStream_tbENKUlT_T0_E_clISt17integral_constantIbLb0EESY_IbLb1EEEEDaSU_SV_EUlSU_E_NS1_11comp_targetILNS1_3genE3ELNS1_11target_archE908ELNS1_3gpuE7ELNS1_3repE0EEENS1_30default_config_static_selectorELNS0_4arch9wavefront6targetE0EEEvT1_
	.p2align	8
	.type	_ZN7rocprim17ROCPRIM_400000_NS6detail17trampoline_kernelINS0_14default_configENS1_20scan_config_selectorIN3c107complexIdEEEEZZNS1_9scan_implILNS1_25lookback_scan_determinismE0ELb0ELb0ES3_PKS7_PS7_S7_ZZZN2at6native31launch_logcumsumexp_cuda_kernelERKNSE_10TensorBaseESI_lENKUlvE_clEvENKUlvE1_clEvEUlS7_S7_E_S7_EEDaPvRmT3_T4_T5_mT6_P12ihipStream_tbENKUlT_T0_E_clISt17integral_constantIbLb0EESY_IbLb1EEEEDaSU_SV_EUlSU_E_NS1_11comp_targetILNS1_3genE3ELNS1_11target_archE908ELNS1_3gpuE7ELNS1_3repE0EEENS1_30default_config_static_selectorELNS0_4arch9wavefront6targetE0EEEvT1_,@function
_ZN7rocprim17ROCPRIM_400000_NS6detail17trampoline_kernelINS0_14default_configENS1_20scan_config_selectorIN3c107complexIdEEEEZZNS1_9scan_implILNS1_25lookback_scan_determinismE0ELb0ELb0ES3_PKS7_PS7_S7_ZZZN2at6native31launch_logcumsumexp_cuda_kernelERKNSE_10TensorBaseESI_lENKUlvE_clEvENKUlvE1_clEvEUlS7_S7_E_S7_EEDaPvRmT3_T4_T5_mT6_P12ihipStream_tbENKUlT_T0_E_clISt17integral_constantIbLb0EESY_IbLb1EEEEDaSU_SV_EUlSU_E_NS1_11comp_targetILNS1_3genE3ELNS1_11target_archE908ELNS1_3gpuE7ELNS1_3repE0EEENS1_30default_config_static_selectorELNS0_4arch9wavefront6targetE0EEEvT1_: ; @_ZN7rocprim17ROCPRIM_400000_NS6detail17trampoline_kernelINS0_14default_configENS1_20scan_config_selectorIN3c107complexIdEEEEZZNS1_9scan_implILNS1_25lookback_scan_determinismE0ELb0ELb0ES3_PKS7_PS7_S7_ZZZN2at6native31launch_logcumsumexp_cuda_kernelERKNSE_10TensorBaseESI_lENKUlvE_clEvENKUlvE1_clEvEUlS7_S7_E_S7_EEDaPvRmT3_T4_T5_mT6_P12ihipStream_tbENKUlT_T0_E_clISt17integral_constantIbLb0EESY_IbLb1EEEEDaSU_SV_EUlSU_E_NS1_11comp_targetILNS1_3genE3ELNS1_11target_archE908ELNS1_3gpuE7ELNS1_3repE0EEENS1_30default_config_static_selectorELNS0_4arch9wavefront6targetE0EEEvT1_
; %bb.0:
	.section	.rodata,"a",@progbits
	.p2align	6, 0x0
	.amdhsa_kernel _ZN7rocprim17ROCPRIM_400000_NS6detail17trampoline_kernelINS0_14default_configENS1_20scan_config_selectorIN3c107complexIdEEEEZZNS1_9scan_implILNS1_25lookback_scan_determinismE0ELb0ELb0ES3_PKS7_PS7_S7_ZZZN2at6native31launch_logcumsumexp_cuda_kernelERKNSE_10TensorBaseESI_lENKUlvE_clEvENKUlvE1_clEvEUlS7_S7_E_S7_EEDaPvRmT3_T4_T5_mT6_P12ihipStream_tbENKUlT_T0_E_clISt17integral_constantIbLb0EESY_IbLb1EEEEDaSU_SV_EUlSU_E_NS1_11comp_targetILNS1_3genE3ELNS1_11target_archE908ELNS1_3gpuE7ELNS1_3repE0EEENS1_30default_config_static_selectorELNS0_4arch9wavefront6targetE0EEEvT1_
		.amdhsa_group_segment_fixed_size 0
		.amdhsa_private_segment_fixed_size 0
		.amdhsa_kernarg_size 128
		.amdhsa_user_sgpr_count 15
		.amdhsa_user_sgpr_dispatch_ptr 0
		.amdhsa_user_sgpr_queue_ptr 0
		.amdhsa_user_sgpr_kernarg_segment_ptr 1
		.amdhsa_user_sgpr_dispatch_id 0
		.amdhsa_user_sgpr_private_segment_size 0
		.amdhsa_wavefront_size32 1
		.amdhsa_uses_dynamic_stack 0
		.amdhsa_enable_private_segment 0
		.amdhsa_system_sgpr_workgroup_id_x 1
		.amdhsa_system_sgpr_workgroup_id_y 0
		.amdhsa_system_sgpr_workgroup_id_z 0
		.amdhsa_system_sgpr_workgroup_info 0
		.amdhsa_system_vgpr_workitem_id 0
		.amdhsa_next_free_vgpr 1
		.amdhsa_next_free_sgpr 1
		.amdhsa_reserve_vcc 0
		.amdhsa_float_round_mode_32 0
		.amdhsa_float_round_mode_16_64 0
		.amdhsa_float_denorm_mode_32 3
		.amdhsa_float_denorm_mode_16_64 3
		.amdhsa_dx10_clamp 1
		.amdhsa_ieee_mode 1
		.amdhsa_fp16_overflow 0
		.amdhsa_workgroup_processor_mode 1
		.amdhsa_memory_ordered 1
		.amdhsa_forward_progress 0
		.amdhsa_shared_vgpr_count 0
		.amdhsa_exception_fp_ieee_invalid_op 0
		.amdhsa_exception_fp_denorm_src 0
		.amdhsa_exception_fp_ieee_div_zero 0
		.amdhsa_exception_fp_ieee_overflow 0
		.amdhsa_exception_fp_ieee_underflow 0
		.amdhsa_exception_fp_ieee_inexact 0
		.amdhsa_exception_int_div_zero 0
	.end_amdhsa_kernel
	.section	.text._ZN7rocprim17ROCPRIM_400000_NS6detail17trampoline_kernelINS0_14default_configENS1_20scan_config_selectorIN3c107complexIdEEEEZZNS1_9scan_implILNS1_25lookback_scan_determinismE0ELb0ELb0ES3_PKS7_PS7_S7_ZZZN2at6native31launch_logcumsumexp_cuda_kernelERKNSE_10TensorBaseESI_lENKUlvE_clEvENKUlvE1_clEvEUlS7_S7_E_S7_EEDaPvRmT3_T4_T5_mT6_P12ihipStream_tbENKUlT_T0_E_clISt17integral_constantIbLb0EESY_IbLb1EEEEDaSU_SV_EUlSU_E_NS1_11comp_targetILNS1_3genE3ELNS1_11target_archE908ELNS1_3gpuE7ELNS1_3repE0EEENS1_30default_config_static_selectorELNS0_4arch9wavefront6targetE0EEEvT1_,"axG",@progbits,_ZN7rocprim17ROCPRIM_400000_NS6detail17trampoline_kernelINS0_14default_configENS1_20scan_config_selectorIN3c107complexIdEEEEZZNS1_9scan_implILNS1_25lookback_scan_determinismE0ELb0ELb0ES3_PKS7_PS7_S7_ZZZN2at6native31launch_logcumsumexp_cuda_kernelERKNSE_10TensorBaseESI_lENKUlvE_clEvENKUlvE1_clEvEUlS7_S7_E_S7_EEDaPvRmT3_T4_T5_mT6_P12ihipStream_tbENKUlT_T0_E_clISt17integral_constantIbLb0EESY_IbLb1EEEEDaSU_SV_EUlSU_E_NS1_11comp_targetILNS1_3genE3ELNS1_11target_archE908ELNS1_3gpuE7ELNS1_3repE0EEENS1_30default_config_static_selectorELNS0_4arch9wavefront6targetE0EEEvT1_,comdat
.Lfunc_end248:
	.size	_ZN7rocprim17ROCPRIM_400000_NS6detail17trampoline_kernelINS0_14default_configENS1_20scan_config_selectorIN3c107complexIdEEEEZZNS1_9scan_implILNS1_25lookback_scan_determinismE0ELb0ELb0ES3_PKS7_PS7_S7_ZZZN2at6native31launch_logcumsumexp_cuda_kernelERKNSE_10TensorBaseESI_lENKUlvE_clEvENKUlvE1_clEvEUlS7_S7_E_S7_EEDaPvRmT3_T4_T5_mT6_P12ihipStream_tbENKUlT_T0_E_clISt17integral_constantIbLb0EESY_IbLb1EEEEDaSU_SV_EUlSU_E_NS1_11comp_targetILNS1_3genE3ELNS1_11target_archE908ELNS1_3gpuE7ELNS1_3repE0EEENS1_30default_config_static_selectorELNS0_4arch9wavefront6targetE0EEEvT1_, .Lfunc_end248-_ZN7rocprim17ROCPRIM_400000_NS6detail17trampoline_kernelINS0_14default_configENS1_20scan_config_selectorIN3c107complexIdEEEEZZNS1_9scan_implILNS1_25lookback_scan_determinismE0ELb0ELb0ES3_PKS7_PS7_S7_ZZZN2at6native31launch_logcumsumexp_cuda_kernelERKNSE_10TensorBaseESI_lENKUlvE_clEvENKUlvE1_clEvEUlS7_S7_E_S7_EEDaPvRmT3_T4_T5_mT6_P12ihipStream_tbENKUlT_T0_E_clISt17integral_constantIbLb0EESY_IbLb1EEEEDaSU_SV_EUlSU_E_NS1_11comp_targetILNS1_3genE3ELNS1_11target_archE908ELNS1_3gpuE7ELNS1_3repE0EEENS1_30default_config_static_selectorELNS0_4arch9wavefront6targetE0EEEvT1_
                                        ; -- End function
	.section	.AMDGPU.csdata,"",@progbits
; Kernel info:
; codeLenInByte = 0
; NumSgprs: 0
; NumVgprs: 0
; ScratchSize: 0
; MemoryBound: 0
; FloatMode: 240
; IeeeMode: 1
; LDSByteSize: 0 bytes/workgroup (compile time only)
; SGPRBlocks: 0
; VGPRBlocks: 0
; NumSGPRsForWavesPerEU: 1
; NumVGPRsForWavesPerEU: 1
; Occupancy: 16
; WaveLimiterHint : 0
; COMPUTE_PGM_RSRC2:SCRATCH_EN: 0
; COMPUTE_PGM_RSRC2:USER_SGPR: 15
; COMPUTE_PGM_RSRC2:TRAP_HANDLER: 0
; COMPUTE_PGM_RSRC2:TGID_X_EN: 1
; COMPUTE_PGM_RSRC2:TGID_Y_EN: 0
; COMPUTE_PGM_RSRC2:TGID_Z_EN: 0
; COMPUTE_PGM_RSRC2:TIDIG_COMP_CNT: 0
	.section	.text._ZN7rocprim17ROCPRIM_400000_NS6detail17trampoline_kernelINS0_14default_configENS1_20scan_config_selectorIN3c107complexIdEEEEZZNS1_9scan_implILNS1_25lookback_scan_determinismE0ELb0ELb0ES3_PKS7_PS7_S7_ZZZN2at6native31launch_logcumsumexp_cuda_kernelERKNSE_10TensorBaseESI_lENKUlvE_clEvENKUlvE1_clEvEUlS7_S7_E_S7_EEDaPvRmT3_T4_T5_mT6_P12ihipStream_tbENKUlT_T0_E_clISt17integral_constantIbLb0EESY_IbLb1EEEEDaSU_SV_EUlSU_E_NS1_11comp_targetILNS1_3genE2ELNS1_11target_archE906ELNS1_3gpuE6ELNS1_3repE0EEENS1_30default_config_static_selectorELNS0_4arch9wavefront6targetE0EEEvT1_,"axG",@progbits,_ZN7rocprim17ROCPRIM_400000_NS6detail17trampoline_kernelINS0_14default_configENS1_20scan_config_selectorIN3c107complexIdEEEEZZNS1_9scan_implILNS1_25lookback_scan_determinismE0ELb0ELb0ES3_PKS7_PS7_S7_ZZZN2at6native31launch_logcumsumexp_cuda_kernelERKNSE_10TensorBaseESI_lENKUlvE_clEvENKUlvE1_clEvEUlS7_S7_E_S7_EEDaPvRmT3_T4_T5_mT6_P12ihipStream_tbENKUlT_T0_E_clISt17integral_constantIbLb0EESY_IbLb1EEEEDaSU_SV_EUlSU_E_NS1_11comp_targetILNS1_3genE2ELNS1_11target_archE906ELNS1_3gpuE6ELNS1_3repE0EEENS1_30default_config_static_selectorELNS0_4arch9wavefront6targetE0EEEvT1_,comdat
	.globl	_ZN7rocprim17ROCPRIM_400000_NS6detail17trampoline_kernelINS0_14default_configENS1_20scan_config_selectorIN3c107complexIdEEEEZZNS1_9scan_implILNS1_25lookback_scan_determinismE0ELb0ELb0ES3_PKS7_PS7_S7_ZZZN2at6native31launch_logcumsumexp_cuda_kernelERKNSE_10TensorBaseESI_lENKUlvE_clEvENKUlvE1_clEvEUlS7_S7_E_S7_EEDaPvRmT3_T4_T5_mT6_P12ihipStream_tbENKUlT_T0_E_clISt17integral_constantIbLb0EESY_IbLb1EEEEDaSU_SV_EUlSU_E_NS1_11comp_targetILNS1_3genE2ELNS1_11target_archE906ELNS1_3gpuE6ELNS1_3repE0EEENS1_30default_config_static_selectorELNS0_4arch9wavefront6targetE0EEEvT1_ ; -- Begin function _ZN7rocprim17ROCPRIM_400000_NS6detail17trampoline_kernelINS0_14default_configENS1_20scan_config_selectorIN3c107complexIdEEEEZZNS1_9scan_implILNS1_25lookback_scan_determinismE0ELb0ELb0ES3_PKS7_PS7_S7_ZZZN2at6native31launch_logcumsumexp_cuda_kernelERKNSE_10TensorBaseESI_lENKUlvE_clEvENKUlvE1_clEvEUlS7_S7_E_S7_EEDaPvRmT3_T4_T5_mT6_P12ihipStream_tbENKUlT_T0_E_clISt17integral_constantIbLb0EESY_IbLb1EEEEDaSU_SV_EUlSU_E_NS1_11comp_targetILNS1_3genE2ELNS1_11target_archE906ELNS1_3gpuE6ELNS1_3repE0EEENS1_30default_config_static_selectorELNS0_4arch9wavefront6targetE0EEEvT1_
	.p2align	8
	.type	_ZN7rocprim17ROCPRIM_400000_NS6detail17trampoline_kernelINS0_14default_configENS1_20scan_config_selectorIN3c107complexIdEEEEZZNS1_9scan_implILNS1_25lookback_scan_determinismE0ELb0ELb0ES3_PKS7_PS7_S7_ZZZN2at6native31launch_logcumsumexp_cuda_kernelERKNSE_10TensorBaseESI_lENKUlvE_clEvENKUlvE1_clEvEUlS7_S7_E_S7_EEDaPvRmT3_T4_T5_mT6_P12ihipStream_tbENKUlT_T0_E_clISt17integral_constantIbLb0EESY_IbLb1EEEEDaSU_SV_EUlSU_E_NS1_11comp_targetILNS1_3genE2ELNS1_11target_archE906ELNS1_3gpuE6ELNS1_3repE0EEENS1_30default_config_static_selectorELNS0_4arch9wavefront6targetE0EEEvT1_,@function
_ZN7rocprim17ROCPRIM_400000_NS6detail17trampoline_kernelINS0_14default_configENS1_20scan_config_selectorIN3c107complexIdEEEEZZNS1_9scan_implILNS1_25lookback_scan_determinismE0ELb0ELb0ES3_PKS7_PS7_S7_ZZZN2at6native31launch_logcumsumexp_cuda_kernelERKNSE_10TensorBaseESI_lENKUlvE_clEvENKUlvE1_clEvEUlS7_S7_E_S7_EEDaPvRmT3_T4_T5_mT6_P12ihipStream_tbENKUlT_T0_E_clISt17integral_constantIbLb0EESY_IbLb1EEEEDaSU_SV_EUlSU_E_NS1_11comp_targetILNS1_3genE2ELNS1_11target_archE906ELNS1_3gpuE6ELNS1_3repE0EEENS1_30default_config_static_selectorELNS0_4arch9wavefront6targetE0EEEvT1_: ; @_ZN7rocprim17ROCPRIM_400000_NS6detail17trampoline_kernelINS0_14default_configENS1_20scan_config_selectorIN3c107complexIdEEEEZZNS1_9scan_implILNS1_25lookback_scan_determinismE0ELb0ELb0ES3_PKS7_PS7_S7_ZZZN2at6native31launch_logcumsumexp_cuda_kernelERKNSE_10TensorBaseESI_lENKUlvE_clEvENKUlvE1_clEvEUlS7_S7_E_S7_EEDaPvRmT3_T4_T5_mT6_P12ihipStream_tbENKUlT_T0_E_clISt17integral_constantIbLb0EESY_IbLb1EEEEDaSU_SV_EUlSU_E_NS1_11comp_targetILNS1_3genE2ELNS1_11target_archE906ELNS1_3gpuE6ELNS1_3repE0EEENS1_30default_config_static_selectorELNS0_4arch9wavefront6targetE0EEEvT1_
; %bb.0:
	.section	.rodata,"a",@progbits
	.p2align	6, 0x0
	.amdhsa_kernel _ZN7rocprim17ROCPRIM_400000_NS6detail17trampoline_kernelINS0_14default_configENS1_20scan_config_selectorIN3c107complexIdEEEEZZNS1_9scan_implILNS1_25lookback_scan_determinismE0ELb0ELb0ES3_PKS7_PS7_S7_ZZZN2at6native31launch_logcumsumexp_cuda_kernelERKNSE_10TensorBaseESI_lENKUlvE_clEvENKUlvE1_clEvEUlS7_S7_E_S7_EEDaPvRmT3_T4_T5_mT6_P12ihipStream_tbENKUlT_T0_E_clISt17integral_constantIbLb0EESY_IbLb1EEEEDaSU_SV_EUlSU_E_NS1_11comp_targetILNS1_3genE2ELNS1_11target_archE906ELNS1_3gpuE6ELNS1_3repE0EEENS1_30default_config_static_selectorELNS0_4arch9wavefront6targetE0EEEvT1_
		.amdhsa_group_segment_fixed_size 0
		.amdhsa_private_segment_fixed_size 0
		.amdhsa_kernarg_size 128
		.amdhsa_user_sgpr_count 15
		.amdhsa_user_sgpr_dispatch_ptr 0
		.amdhsa_user_sgpr_queue_ptr 0
		.amdhsa_user_sgpr_kernarg_segment_ptr 1
		.amdhsa_user_sgpr_dispatch_id 0
		.amdhsa_user_sgpr_private_segment_size 0
		.amdhsa_wavefront_size32 1
		.amdhsa_uses_dynamic_stack 0
		.amdhsa_enable_private_segment 0
		.amdhsa_system_sgpr_workgroup_id_x 1
		.amdhsa_system_sgpr_workgroup_id_y 0
		.amdhsa_system_sgpr_workgroup_id_z 0
		.amdhsa_system_sgpr_workgroup_info 0
		.amdhsa_system_vgpr_workitem_id 0
		.amdhsa_next_free_vgpr 1
		.amdhsa_next_free_sgpr 1
		.amdhsa_reserve_vcc 0
		.amdhsa_float_round_mode_32 0
		.amdhsa_float_round_mode_16_64 0
		.amdhsa_float_denorm_mode_32 3
		.amdhsa_float_denorm_mode_16_64 3
		.amdhsa_dx10_clamp 1
		.amdhsa_ieee_mode 1
		.amdhsa_fp16_overflow 0
		.amdhsa_workgroup_processor_mode 1
		.amdhsa_memory_ordered 1
		.amdhsa_forward_progress 0
		.amdhsa_shared_vgpr_count 0
		.amdhsa_exception_fp_ieee_invalid_op 0
		.amdhsa_exception_fp_denorm_src 0
		.amdhsa_exception_fp_ieee_div_zero 0
		.amdhsa_exception_fp_ieee_overflow 0
		.amdhsa_exception_fp_ieee_underflow 0
		.amdhsa_exception_fp_ieee_inexact 0
		.amdhsa_exception_int_div_zero 0
	.end_amdhsa_kernel
	.section	.text._ZN7rocprim17ROCPRIM_400000_NS6detail17trampoline_kernelINS0_14default_configENS1_20scan_config_selectorIN3c107complexIdEEEEZZNS1_9scan_implILNS1_25lookback_scan_determinismE0ELb0ELb0ES3_PKS7_PS7_S7_ZZZN2at6native31launch_logcumsumexp_cuda_kernelERKNSE_10TensorBaseESI_lENKUlvE_clEvENKUlvE1_clEvEUlS7_S7_E_S7_EEDaPvRmT3_T4_T5_mT6_P12ihipStream_tbENKUlT_T0_E_clISt17integral_constantIbLb0EESY_IbLb1EEEEDaSU_SV_EUlSU_E_NS1_11comp_targetILNS1_3genE2ELNS1_11target_archE906ELNS1_3gpuE6ELNS1_3repE0EEENS1_30default_config_static_selectorELNS0_4arch9wavefront6targetE0EEEvT1_,"axG",@progbits,_ZN7rocprim17ROCPRIM_400000_NS6detail17trampoline_kernelINS0_14default_configENS1_20scan_config_selectorIN3c107complexIdEEEEZZNS1_9scan_implILNS1_25lookback_scan_determinismE0ELb0ELb0ES3_PKS7_PS7_S7_ZZZN2at6native31launch_logcumsumexp_cuda_kernelERKNSE_10TensorBaseESI_lENKUlvE_clEvENKUlvE1_clEvEUlS7_S7_E_S7_EEDaPvRmT3_T4_T5_mT6_P12ihipStream_tbENKUlT_T0_E_clISt17integral_constantIbLb0EESY_IbLb1EEEEDaSU_SV_EUlSU_E_NS1_11comp_targetILNS1_3genE2ELNS1_11target_archE906ELNS1_3gpuE6ELNS1_3repE0EEENS1_30default_config_static_selectorELNS0_4arch9wavefront6targetE0EEEvT1_,comdat
.Lfunc_end249:
	.size	_ZN7rocprim17ROCPRIM_400000_NS6detail17trampoline_kernelINS0_14default_configENS1_20scan_config_selectorIN3c107complexIdEEEEZZNS1_9scan_implILNS1_25lookback_scan_determinismE0ELb0ELb0ES3_PKS7_PS7_S7_ZZZN2at6native31launch_logcumsumexp_cuda_kernelERKNSE_10TensorBaseESI_lENKUlvE_clEvENKUlvE1_clEvEUlS7_S7_E_S7_EEDaPvRmT3_T4_T5_mT6_P12ihipStream_tbENKUlT_T0_E_clISt17integral_constantIbLb0EESY_IbLb1EEEEDaSU_SV_EUlSU_E_NS1_11comp_targetILNS1_3genE2ELNS1_11target_archE906ELNS1_3gpuE6ELNS1_3repE0EEENS1_30default_config_static_selectorELNS0_4arch9wavefront6targetE0EEEvT1_, .Lfunc_end249-_ZN7rocprim17ROCPRIM_400000_NS6detail17trampoline_kernelINS0_14default_configENS1_20scan_config_selectorIN3c107complexIdEEEEZZNS1_9scan_implILNS1_25lookback_scan_determinismE0ELb0ELb0ES3_PKS7_PS7_S7_ZZZN2at6native31launch_logcumsumexp_cuda_kernelERKNSE_10TensorBaseESI_lENKUlvE_clEvENKUlvE1_clEvEUlS7_S7_E_S7_EEDaPvRmT3_T4_T5_mT6_P12ihipStream_tbENKUlT_T0_E_clISt17integral_constantIbLb0EESY_IbLb1EEEEDaSU_SV_EUlSU_E_NS1_11comp_targetILNS1_3genE2ELNS1_11target_archE906ELNS1_3gpuE6ELNS1_3repE0EEENS1_30default_config_static_selectorELNS0_4arch9wavefront6targetE0EEEvT1_
                                        ; -- End function
	.section	.AMDGPU.csdata,"",@progbits
; Kernel info:
; codeLenInByte = 0
; NumSgprs: 0
; NumVgprs: 0
; ScratchSize: 0
; MemoryBound: 0
; FloatMode: 240
; IeeeMode: 1
; LDSByteSize: 0 bytes/workgroup (compile time only)
; SGPRBlocks: 0
; VGPRBlocks: 0
; NumSGPRsForWavesPerEU: 1
; NumVGPRsForWavesPerEU: 1
; Occupancy: 16
; WaveLimiterHint : 0
; COMPUTE_PGM_RSRC2:SCRATCH_EN: 0
; COMPUTE_PGM_RSRC2:USER_SGPR: 15
; COMPUTE_PGM_RSRC2:TRAP_HANDLER: 0
; COMPUTE_PGM_RSRC2:TGID_X_EN: 1
; COMPUTE_PGM_RSRC2:TGID_Y_EN: 0
; COMPUTE_PGM_RSRC2:TGID_Z_EN: 0
; COMPUTE_PGM_RSRC2:TIDIG_COMP_CNT: 0
	.section	.text._ZN7rocprim17ROCPRIM_400000_NS6detail17trampoline_kernelINS0_14default_configENS1_20scan_config_selectorIN3c107complexIdEEEEZZNS1_9scan_implILNS1_25lookback_scan_determinismE0ELb0ELb0ES3_PKS7_PS7_S7_ZZZN2at6native31launch_logcumsumexp_cuda_kernelERKNSE_10TensorBaseESI_lENKUlvE_clEvENKUlvE1_clEvEUlS7_S7_E_S7_EEDaPvRmT3_T4_T5_mT6_P12ihipStream_tbENKUlT_T0_E_clISt17integral_constantIbLb0EESY_IbLb1EEEEDaSU_SV_EUlSU_E_NS1_11comp_targetILNS1_3genE10ELNS1_11target_archE1201ELNS1_3gpuE5ELNS1_3repE0EEENS1_30default_config_static_selectorELNS0_4arch9wavefront6targetE0EEEvT1_,"axG",@progbits,_ZN7rocprim17ROCPRIM_400000_NS6detail17trampoline_kernelINS0_14default_configENS1_20scan_config_selectorIN3c107complexIdEEEEZZNS1_9scan_implILNS1_25lookback_scan_determinismE0ELb0ELb0ES3_PKS7_PS7_S7_ZZZN2at6native31launch_logcumsumexp_cuda_kernelERKNSE_10TensorBaseESI_lENKUlvE_clEvENKUlvE1_clEvEUlS7_S7_E_S7_EEDaPvRmT3_T4_T5_mT6_P12ihipStream_tbENKUlT_T0_E_clISt17integral_constantIbLb0EESY_IbLb1EEEEDaSU_SV_EUlSU_E_NS1_11comp_targetILNS1_3genE10ELNS1_11target_archE1201ELNS1_3gpuE5ELNS1_3repE0EEENS1_30default_config_static_selectorELNS0_4arch9wavefront6targetE0EEEvT1_,comdat
	.globl	_ZN7rocprim17ROCPRIM_400000_NS6detail17trampoline_kernelINS0_14default_configENS1_20scan_config_selectorIN3c107complexIdEEEEZZNS1_9scan_implILNS1_25lookback_scan_determinismE0ELb0ELb0ES3_PKS7_PS7_S7_ZZZN2at6native31launch_logcumsumexp_cuda_kernelERKNSE_10TensorBaseESI_lENKUlvE_clEvENKUlvE1_clEvEUlS7_S7_E_S7_EEDaPvRmT3_T4_T5_mT6_P12ihipStream_tbENKUlT_T0_E_clISt17integral_constantIbLb0EESY_IbLb1EEEEDaSU_SV_EUlSU_E_NS1_11comp_targetILNS1_3genE10ELNS1_11target_archE1201ELNS1_3gpuE5ELNS1_3repE0EEENS1_30default_config_static_selectorELNS0_4arch9wavefront6targetE0EEEvT1_ ; -- Begin function _ZN7rocprim17ROCPRIM_400000_NS6detail17trampoline_kernelINS0_14default_configENS1_20scan_config_selectorIN3c107complexIdEEEEZZNS1_9scan_implILNS1_25lookback_scan_determinismE0ELb0ELb0ES3_PKS7_PS7_S7_ZZZN2at6native31launch_logcumsumexp_cuda_kernelERKNSE_10TensorBaseESI_lENKUlvE_clEvENKUlvE1_clEvEUlS7_S7_E_S7_EEDaPvRmT3_T4_T5_mT6_P12ihipStream_tbENKUlT_T0_E_clISt17integral_constantIbLb0EESY_IbLb1EEEEDaSU_SV_EUlSU_E_NS1_11comp_targetILNS1_3genE10ELNS1_11target_archE1201ELNS1_3gpuE5ELNS1_3repE0EEENS1_30default_config_static_selectorELNS0_4arch9wavefront6targetE0EEEvT1_
	.p2align	8
	.type	_ZN7rocprim17ROCPRIM_400000_NS6detail17trampoline_kernelINS0_14default_configENS1_20scan_config_selectorIN3c107complexIdEEEEZZNS1_9scan_implILNS1_25lookback_scan_determinismE0ELb0ELb0ES3_PKS7_PS7_S7_ZZZN2at6native31launch_logcumsumexp_cuda_kernelERKNSE_10TensorBaseESI_lENKUlvE_clEvENKUlvE1_clEvEUlS7_S7_E_S7_EEDaPvRmT3_T4_T5_mT6_P12ihipStream_tbENKUlT_T0_E_clISt17integral_constantIbLb0EESY_IbLb1EEEEDaSU_SV_EUlSU_E_NS1_11comp_targetILNS1_3genE10ELNS1_11target_archE1201ELNS1_3gpuE5ELNS1_3repE0EEENS1_30default_config_static_selectorELNS0_4arch9wavefront6targetE0EEEvT1_,@function
_ZN7rocprim17ROCPRIM_400000_NS6detail17trampoline_kernelINS0_14default_configENS1_20scan_config_selectorIN3c107complexIdEEEEZZNS1_9scan_implILNS1_25lookback_scan_determinismE0ELb0ELb0ES3_PKS7_PS7_S7_ZZZN2at6native31launch_logcumsumexp_cuda_kernelERKNSE_10TensorBaseESI_lENKUlvE_clEvENKUlvE1_clEvEUlS7_S7_E_S7_EEDaPvRmT3_T4_T5_mT6_P12ihipStream_tbENKUlT_T0_E_clISt17integral_constantIbLb0EESY_IbLb1EEEEDaSU_SV_EUlSU_E_NS1_11comp_targetILNS1_3genE10ELNS1_11target_archE1201ELNS1_3gpuE5ELNS1_3repE0EEENS1_30default_config_static_selectorELNS0_4arch9wavefront6targetE0EEEvT1_: ; @_ZN7rocprim17ROCPRIM_400000_NS6detail17trampoline_kernelINS0_14default_configENS1_20scan_config_selectorIN3c107complexIdEEEEZZNS1_9scan_implILNS1_25lookback_scan_determinismE0ELb0ELb0ES3_PKS7_PS7_S7_ZZZN2at6native31launch_logcumsumexp_cuda_kernelERKNSE_10TensorBaseESI_lENKUlvE_clEvENKUlvE1_clEvEUlS7_S7_E_S7_EEDaPvRmT3_T4_T5_mT6_P12ihipStream_tbENKUlT_T0_E_clISt17integral_constantIbLb0EESY_IbLb1EEEEDaSU_SV_EUlSU_E_NS1_11comp_targetILNS1_3genE10ELNS1_11target_archE1201ELNS1_3gpuE5ELNS1_3repE0EEENS1_30default_config_static_selectorELNS0_4arch9wavefront6targetE0EEEvT1_
; %bb.0:
	.section	.rodata,"a",@progbits
	.p2align	6, 0x0
	.amdhsa_kernel _ZN7rocprim17ROCPRIM_400000_NS6detail17trampoline_kernelINS0_14default_configENS1_20scan_config_selectorIN3c107complexIdEEEEZZNS1_9scan_implILNS1_25lookback_scan_determinismE0ELb0ELb0ES3_PKS7_PS7_S7_ZZZN2at6native31launch_logcumsumexp_cuda_kernelERKNSE_10TensorBaseESI_lENKUlvE_clEvENKUlvE1_clEvEUlS7_S7_E_S7_EEDaPvRmT3_T4_T5_mT6_P12ihipStream_tbENKUlT_T0_E_clISt17integral_constantIbLb0EESY_IbLb1EEEEDaSU_SV_EUlSU_E_NS1_11comp_targetILNS1_3genE10ELNS1_11target_archE1201ELNS1_3gpuE5ELNS1_3repE0EEENS1_30default_config_static_selectorELNS0_4arch9wavefront6targetE0EEEvT1_
		.amdhsa_group_segment_fixed_size 0
		.amdhsa_private_segment_fixed_size 0
		.amdhsa_kernarg_size 128
		.amdhsa_user_sgpr_count 15
		.amdhsa_user_sgpr_dispatch_ptr 0
		.amdhsa_user_sgpr_queue_ptr 0
		.amdhsa_user_sgpr_kernarg_segment_ptr 1
		.amdhsa_user_sgpr_dispatch_id 0
		.amdhsa_user_sgpr_private_segment_size 0
		.amdhsa_wavefront_size32 1
		.amdhsa_uses_dynamic_stack 0
		.amdhsa_enable_private_segment 0
		.amdhsa_system_sgpr_workgroup_id_x 1
		.amdhsa_system_sgpr_workgroup_id_y 0
		.amdhsa_system_sgpr_workgroup_id_z 0
		.amdhsa_system_sgpr_workgroup_info 0
		.amdhsa_system_vgpr_workitem_id 0
		.amdhsa_next_free_vgpr 1
		.amdhsa_next_free_sgpr 1
		.amdhsa_reserve_vcc 0
		.amdhsa_float_round_mode_32 0
		.amdhsa_float_round_mode_16_64 0
		.amdhsa_float_denorm_mode_32 3
		.amdhsa_float_denorm_mode_16_64 3
		.amdhsa_dx10_clamp 1
		.amdhsa_ieee_mode 1
		.amdhsa_fp16_overflow 0
		.amdhsa_workgroup_processor_mode 1
		.amdhsa_memory_ordered 1
		.amdhsa_forward_progress 0
		.amdhsa_shared_vgpr_count 0
		.amdhsa_exception_fp_ieee_invalid_op 0
		.amdhsa_exception_fp_denorm_src 0
		.amdhsa_exception_fp_ieee_div_zero 0
		.amdhsa_exception_fp_ieee_overflow 0
		.amdhsa_exception_fp_ieee_underflow 0
		.amdhsa_exception_fp_ieee_inexact 0
		.amdhsa_exception_int_div_zero 0
	.end_amdhsa_kernel
	.section	.text._ZN7rocprim17ROCPRIM_400000_NS6detail17trampoline_kernelINS0_14default_configENS1_20scan_config_selectorIN3c107complexIdEEEEZZNS1_9scan_implILNS1_25lookback_scan_determinismE0ELb0ELb0ES3_PKS7_PS7_S7_ZZZN2at6native31launch_logcumsumexp_cuda_kernelERKNSE_10TensorBaseESI_lENKUlvE_clEvENKUlvE1_clEvEUlS7_S7_E_S7_EEDaPvRmT3_T4_T5_mT6_P12ihipStream_tbENKUlT_T0_E_clISt17integral_constantIbLb0EESY_IbLb1EEEEDaSU_SV_EUlSU_E_NS1_11comp_targetILNS1_3genE10ELNS1_11target_archE1201ELNS1_3gpuE5ELNS1_3repE0EEENS1_30default_config_static_selectorELNS0_4arch9wavefront6targetE0EEEvT1_,"axG",@progbits,_ZN7rocprim17ROCPRIM_400000_NS6detail17trampoline_kernelINS0_14default_configENS1_20scan_config_selectorIN3c107complexIdEEEEZZNS1_9scan_implILNS1_25lookback_scan_determinismE0ELb0ELb0ES3_PKS7_PS7_S7_ZZZN2at6native31launch_logcumsumexp_cuda_kernelERKNSE_10TensorBaseESI_lENKUlvE_clEvENKUlvE1_clEvEUlS7_S7_E_S7_EEDaPvRmT3_T4_T5_mT6_P12ihipStream_tbENKUlT_T0_E_clISt17integral_constantIbLb0EESY_IbLb1EEEEDaSU_SV_EUlSU_E_NS1_11comp_targetILNS1_3genE10ELNS1_11target_archE1201ELNS1_3gpuE5ELNS1_3repE0EEENS1_30default_config_static_selectorELNS0_4arch9wavefront6targetE0EEEvT1_,comdat
.Lfunc_end250:
	.size	_ZN7rocprim17ROCPRIM_400000_NS6detail17trampoline_kernelINS0_14default_configENS1_20scan_config_selectorIN3c107complexIdEEEEZZNS1_9scan_implILNS1_25lookback_scan_determinismE0ELb0ELb0ES3_PKS7_PS7_S7_ZZZN2at6native31launch_logcumsumexp_cuda_kernelERKNSE_10TensorBaseESI_lENKUlvE_clEvENKUlvE1_clEvEUlS7_S7_E_S7_EEDaPvRmT3_T4_T5_mT6_P12ihipStream_tbENKUlT_T0_E_clISt17integral_constantIbLb0EESY_IbLb1EEEEDaSU_SV_EUlSU_E_NS1_11comp_targetILNS1_3genE10ELNS1_11target_archE1201ELNS1_3gpuE5ELNS1_3repE0EEENS1_30default_config_static_selectorELNS0_4arch9wavefront6targetE0EEEvT1_, .Lfunc_end250-_ZN7rocprim17ROCPRIM_400000_NS6detail17trampoline_kernelINS0_14default_configENS1_20scan_config_selectorIN3c107complexIdEEEEZZNS1_9scan_implILNS1_25lookback_scan_determinismE0ELb0ELb0ES3_PKS7_PS7_S7_ZZZN2at6native31launch_logcumsumexp_cuda_kernelERKNSE_10TensorBaseESI_lENKUlvE_clEvENKUlvE1_clEvEUlS7_S7_E_S7_EEDaPvRmT3_T4_T5_mT6_P12ihipStream_tbENKUlT_T0_E_clISt17integral_constantIbLb0EESY_IbLb1EEEEDaSU_SV_EUlSU_E_NS1_11comp_targetILNS1_3genE10ELNS1_11target_archE1201ELNS1_3gpuE5ELNS1_3repE0EEENS1_30default_config_static_selectorELNS0_4arch9wavefront6targetE0EEEvT1_
                                        ; -- End function
	.section	.AMDGPU.csdata,"",@progbits
; Kernel info:
; codeLenInByte = 0
; NumSgprs: 0
; NumVgprs: 0
; ScratchSize: 0
; MemoryBound: 0
; FloatMode: 240
; IeeeMode: 1
; LDSByteSize: 0 bytes/workgroup (compile time only)
; SGPRBlocks: 0
; VGPRBlocks: 0
; NumSGPRsForWavesPerEU: 1
; NumVGPRsForWavesPerEU: 1
; Occupancy: 16
; WaveLimiterHint : 0
; COMPUTE_PGM_RSRC2:SCRATCH_EN: 0
; COMPUTE_PGM_RSRC2:USER_SGPR: 15
; COMPUTE_PGM_RSRC2:TRAP_HANDLER: 0
; COMPUTE_PGM_RSRC2:TGID_X_EN: 1
; COMPUTE_PGM_RSRC2:TGID_Y_EN: 0
; COMPUTE_PGM_RSRC2:TGID_Z_EN: 0
; COMPUTE_PGM_RSRC2:TIDIG_COMP_CNT: 0
	.section	.text._ZN7rocprim17ROCPRIM_400000_NS6detail17trampoline_kernelINS0_14default_configENS1_20scan_config_selectorIN3c107complexIdEEEEZZNS1_9scan_implILNS1_25lookback_scan_determinismE0ELb0ELb0ES3_PKS7_PS7_S7_ZZZN2at6native31launch_logcumsumexp_cuda_kernelERKNSE_10TensorBaseESI_lENKUlvE_clEvENKUlvE1_clEvEUlS7_S7_E_S7_EEDaPvRmT3_T4_T5_mT6_P12ihipStream_tbENKUlT_T0_E_clISt17integral_constantIbLb0EESY_IbLb1EEEEDaSU_SV_EUlSU_E_NS1_11comp_targetILNS1_3genE10ELNS1_11target_archE1200ELNS1_3gpuE4ELNS1_3repE0EEENS1_30default_config_static_selectorELNS0_4arch9wavefront6targetE0EEEvT1_,"axG",@progbits,_ZN7rocprim17ROCPRIM_400000_NS6detail17trampoline_kernelINS0_14default_configENS1_20scan_config_selectorIN3c107complexIdEEEEZZNS1_9scan_implILNS1_25lookback_scan_determinismE0ELb0ELb0ES3_PKS7_PS7_S7_ZZZN2at6native31launch_logcumsumexp_cuda_kernelERKNSE_10TensorBaseESI_lENKUlvE_clEvENKUlvE1_clEvEUlS7_S7_E_S7_EEDaPvRmT3_T4_T5_mT6_P12ihipStream_tbENKUlT_T0_E_clISt17integral_constantIbLb0EESY_IbLb1EEEEDaSU_SV_EUlSU_E_NS1_11comp_targetILNS1_3genE10ELNS1_11target_archE1200ELNS1_3gpuE4ELNS1_3repE0EEENS1_30default_config_static_selectorELNS0_4arch9wavefront6targetE0EEEvT1_,comdat
	.globl	_ZN7rocprim17ROCPRIM_400000_NS6detail17trampoline_kernelINS0_14default_configENS1_20scan_config_selectorIN3c107complexIdEEEEZZNS1_9scan_implILNS1_25lookback_scan_determinismE0ELb0ELb0ES3_PKS7_PS7_S7_ZZZN2at6native31launch_logcumsumexp_cuda_kernelERKNSE_10TensorBaseESI_lENKUlvE_clEvENKUlvE1_clEvEUlS7_S7_E_S7_EEDaPvRmT3_T4_T5_mT6_P12ihipStream_tbENKUlT_T0_E_clISt17integral_constantIbLb0EESY_IbLb1EEEEDaSU_SV_EUlSU_E_NS1_11comp_targetILNS1_3genE10ELNS1_11target_archE1200ELNS1_3gpuE4ELNS1_3repE0EEENS1_30default_config_static_selectorELNS0_4arch9wavefront6targetE0EEEvT1_ ; -- Begin function _ZN7rocprim17ROCPRIM_400000_NS6detail17trampoline_kernelINS0_14default_configENS1_20scan_config_selectorIN3c107complexIdEEEEZZNS1_9scan_implILNS1_25lookback_scan_determinismE0ELb0ELb0ES3_PKS7_PS7_S7_ZZZN2at6native31launch_logcumsumexp_cuda_kernelERKNSE_10TensorBaseESI_lENKUlvE_clEvENKUlvE1_clEvEUlS7_S7_E_S7_EEDaPvRmT3_T4_T5_mT6_P12ihipStream_tbENKUlT_T0_E_clISt17integral_constantIbLb0EESY_IbLb1EEEEDaSU_SV_EUlSU_E_NS1_11comp_targetILNS1_3genE10ELNS1_11target_archE1200ELNS1_3gpuE4ELNS1_3repE0EEENS1_30default_config_static_selectorELNS0_4arch9wavefront6targetE0EEEvT1_
	.p2align	8
	.type	_ZN7rocprim17ROCPRIM_400000_NS6detail17trampoline_kernelINS0_14default_configENS1_20scan_config_selectorIN3c107complexIdEEEEZZNS1_9scan_implILNS1_25lookback_scan_determinismE0ELb0ELb0ES3_PKS7_PS7_S7_ZZZN2at6native31launch_logcumsumexp_cuda_kernelERKNSE_10TensorBaseESI_lENKUlvE_clEvENKUlvE1_clEvEUlS7_S7_E_S7_EEDaPvRmT3_T4_T5_mT6_P12ihipStream_tbENKUlT_T0_E_clISt17integral_constantIbLb0EESY_IbLb1EEEEDaSU_SV_EUlSU_E_NS1_11comp_targetILNS1_3genE10ELNS1_11target_archE1200ELNS1_3gpuE4ELNS1_3repE0EEENS1_30default_config_static_selectorELNS0_4arch9wavefront6targetE0EEEvT1_,@function
_ZN7rocprim17ROCPRIM_400000_NS6detail17trampoline_kernelINS0_14default_configENS1_20scan_config_selectorIN3c107complexIdEEEEZZNS1_9scan_implILNS1_25lookback_scan_determinismE0ELb0ELb0ES3_PKS7_PS7_S7_ZZZN2at6native31launch_logcumsumexp_cuda_kernelERKNSE_10TensorBaseESI_lENKUlvE_clEvENKUlvE1_clEvEUlS7_S7_E_S7_EEDaPvRmT3_T4_T5_mT6_P12ihipStream_tbENKUlT_T0_E_clISt17integral_constantIbLb0EESY_IbLb1EEEEDaSU_SV_EUlSU_E_NS1_11comp_targetILNS1_3genE10ELNS1_11target_archE1200ELNS1_3gpuE4ELNS1_3repE0EEENS1_30default_config_static_selectorELNS0_4arch9wavefront6targetE0EEEvT1_: ; @_ZN7rocprim17ROCPRIM_400000_NS6detail17trampoline_kernelINS0_14default_configENS1_20scan_config_selectorIN3c107complexIdEEEEZZNS1_9scan_implILNS1_25lookback_scan_determinismE0ELb0ELb0ES3_PKS7_PS7_S7_ZZZN2at6native31launch_logcumsumexp_cuda_kernelERKNSE_10TensorBaseESI_lENKUlvE_clEvENKUlvE1_clEvEUlS7_S7_E_S7_EEDaPvRmT3_T4_T5_mT6_P12ihipStream_tbENKUlT_T0_E_clISt17integral_constantIbLb0EESY_IbLb1EEEEDaSU_SV_EUlSU_E_NS1_11comp_targetILNS1_3genE10ELNS1_11target_archE1200ELNS1_3gpuE4ELNS1_3repE0EEENS1_30default_config_static_selectorELNS0_4arch9wavefront6targetE0EEEvT1_
; %bb.0:
	.section	.rodata,"a",@progbits
	.p2align	6, 0x0
	.amdhsa_kernel _ZN7rocprim17ROCPRIM_400000_NS6detail17trampoline_kernelINS0_14default_configENS1_20scan_config_selectorIN3c107complexIdEEEEZZNS1_9scan_implILNS1_25lookback_scan_determinismE0ELb0ELb0ES3_PKS7_PS7_S7_ZZZN2at6native31launch_logcumsumexp_cuda_kernelERKNSE_10TensorBaseESI_lENKUlvE_clEvENKUlvE1_clEvEUlS7_S7_E_S7_EEDaPvRmT3_T4_T5_mT6_P12ihipStream_tbENKUlT_T0_E_clISt17integral_constantIbLb0EESY_IbLb1EEEEDaSU_SV_EUlSU_E_NS1_11comp_targetILNS1_3genE10ELNS1_11target_archE1200ELNS1_3gpuE4ELNS1_3repE0EEENS1_30default_config_static_selectorELNS0_4arch9wavefront6targetE0EEEvT1_
		.amdhsa_group_segment_fixed_size 0
		.amdhsa_private_segment_fixed_size 0
		.amdhsa_kernarg_size 128
		.amdhsa_user_sgpr_count 15
		.amdhsa_user_sgpr_dispatch_ptr 0
		.amdhsa_user_sgpr_queue_ptr 0
		.amdhsa_user_sgpr_kernarg_segment_ptr 1
		.amdhsa_user_sgpr_dispatch_id 0
		.amdhsa_user_sgpr_private_segment_size 0
		.amdhsa_wavefront_size32 1
		.amdhsa_uses_dynamic_stack 0
		.amdhsa_enable_private_segment 0
		.amdhsa_system_sgpr_workgroup_id_x 1
		.amdhsa_system_sgpr_workgroup_id_y 0
		.amdhsa_system_sgpr_workgroup_id_z 0
		.amdhsa_system_sgpr_workgroup_info 0
		.amdhsa_system_vgpr_workitem_id 0
		.amdhsa_next_free_vgpr 1
		.amdhsa_next_free_sgpr 1
		.amdhsa_reserve_vcc 0
		.amdhsa_float_round_mode_32 0
		.amdhsa_float_round_mode_16_64 0
		.amdhsa_float_denorm_mode_32 3
		.amdhsa_float_denorm_mode_16_64 3
		.amdhsa_dx10_clamp 1
		.amdhsa_ieee_mode 1
		.amdhsa_fp16_overflow 0
		.amdhsa_workgroup_processor_mode 1
		.amdhsa_memory_ordered 1
		.amdhsa_forward_progress 0
		.amdhsa_shared_vgpr_count 0
		.amdhsa_exception_fp_ieee_invalid_op 0
		.amdhsa_exception_fp_denorm_src 0
		.amdhsa_exception_fp_ieee_div_zero 0
		.amdhsa_exception_fp_ieee_overflow 0
		.amdhsa_exception_fp_ieee_underflow 0
		.amdhsa_exception_fp_ieee_inexact 0
		.amdhsa_exception_int_div_zero 0
	.end_amdhsa_kernel
	.section	.text._ZN7rocprim17ROCPRIM_400000_NS6detail17trampoline_kernelINS0_14default_configENS1_20scan_config_selectorIN3c107complexIdEEEEZZNS1_9scan_implILNS1_25lookback_scan_determinismE0ELb0ELb0ES3_PKS7_PS7_S7_ZZZN2at6native31launch_logcumsumexp_cuda_kernelERKNSE_10TensorBaseESI_lENKUlvE_clEvENKUlvE1_clEvEUlS7_S7_E_S7_EEDaPvRmT3_T4_T5_mT6_P12ihipStream_tbENKUlT_T0_E_clISt17integral_constantIbLb0EESY_IbLb1EEEEDaSU_SV_EUlSU_E_NS1_11comp_targetILNS1_3genE10ELNS1_11target_archE1200ELNS1_3gpuE4ELNS1_3repE0EEENS1_30default_config_static_selectorELNS0_4arch9wavefront6targetE0EEEvT1_,"axG",@progbits,_ZN7rocprim17ROCPRIM_400000_NS6detail17trampoline_kernelINS0_14default_configENS1_20scan_config_selectorIN3c107complexIdEEEEZZNS1_9scan_implILNS1_25lookback_scan_determinismE0ELb0ELb0ES3_PKS7_PS7_S7_ZZZN2at6native31launch_logcumsumexp_cuda_kernelERKNSE_10TensorBaseESI_lENKUlvE_clEvENKUlvE1_clEvEUlS7_S7_E_S7_EEDaPvRmT3_T4_T5_mT6_P12ihipStream_tbENKUlT_T0_E_clISt17integral_constantIbLb0EESY_IbLb1EEEEDaSU_SV_EUlSU_E_NS1_11comp_targetILNS1_3genE10ELNS1_11target_archE1200ELNS1_3gpuE4ELNS1_3repE0EEENS1_30default_config_static_selectorELNS0_4arch9wavefront6targetE0EEEvT1_,comdat
.Lfunc_end251:
	.size	_ZN7rocprim17ROCPRIM_400000_NS6detail17trampoline_kernelINS0_14default_configENS1_20scan_config_selectorIN3c107complexIdEEEEZZNS1_9scan_implILNS1_25lookback_scan_determinismE0ELb0ELb0ES3_PKS7_PS7_S7_ZZZN2at6native31launch_logcumsumexp_cuda_kernelERKNSE_10TensorBaseESI_lENKUlvE_clEvENKUlvE1_clEvEUlS7_S7_E_S7_EEDaPvRmT3_T4_T5_mT6_P12ihipStream_tbENKUlT_T0_E_clISt17integral_constantIbLb0EESY_IbLb1EEEEDaSU_SV_EUlSU_E_NS1_11comp_targetILNS1_3genE10ELNS1_11target_archE1200ELNS1_3gpuE4ELNS1_3repE0EEENS1_30default_config_static_selectorELNS0_4arch9wavefront6targetE0EEEvT1_, .Lfunc_end251-_ZN7rocprim17ROCPRIM_400000_NS6detail17trampoline_kernelINS0_14default_configENS1_20scan_config_selectorIN3c107complexIdEEEEZZNS1_9scan_implILNS1_25lookback_scan_determinismE0ELb0ELb0ES3_PKS7_PS7_S7_ZZZN2at6native31launch_logcumsumexp_cuda_kernelERKNSE_10TensorBaseESI_lENKUlvE_clEvENKUlvE1_clEvEUlS7_S7_E_S7_EEDaPvRmT3_T4_T5_mT6_P12ihipStream_tbENKUlT_T0_E_clISt17integral_constantIbLb0EESY_IbLb1EEEEDaSU_SV_EUlSU_E_NS1_11comp_targetILNS1_3genE10ELNS1_11target_archE1200ELNS1_3gpuE4ELNS1_3repE0EEENS1_30default_config_static_selectorELNS0_4arch9wavefront6targetE0EEEvT1_
                                        ; -- End function
	.section	.AMDGPU.csdata,"",@progbits
; Kernel info:
; codeLenInByte = 0
; NumSgprs: 0
; NumVgprs: 0
; ScratchSize: 0
; MemoryBound: 0
; FloatMode: 240
; IeeeMode: 1
; LDSByteSize: 0 bytes/workgroup (compile time only)
; SGPRBlocks: 0
; VGPRBlocks: 0
; NumSGPRsForWavesPerEU: 1
; NumVGPRsForWavesPerEU: 1
; Occupancy: 16
; WaveLimiterHint : 0
; COMPUTE_PGM_RSRC2:SCRATCH_EN: 0
; COMPUTE_PGM_RSRC2:USER_SGPR: 15
; COMPUTE_PGM_RSRC2:TRAP_HANDLER: 0
; COMPUTE_PGM_RSRC2:TGID_X_EN: 1
; COMPUTE_PGM_RSRC2:TGID_Y_EN: 0
; COMPUTE_PGM_RSRC2:TGID_Z_EN: 0
; COMPUTE_PGM_RSRC2:TIDIG_COMP_CNT: 0
	.section	.text._ZN7rocprim17ROCPRIM_400000_NS6detail17trampoline_kernelINS0_14default_configENS1_20scan_config_selectorIN3c107complexIdEEEEZZNS1_9scan_implILNS1_25lookback_scan_determinismE0ELb0ELb0ES3_PKS7_PS7_S7_ZZZN2at6native31launch_logcumsumexp_cuda_kernelERKNSE_10TensorBaseESI_lENKUlvE_clEvENKUlvE1_clEvEUlS7_S7_E_S7_EEDaPvRmT3_T4_T5_mT6_P12ihipStream_tbENKUlT_T0_E_clISt17integral_constantIbLb0EESY_IbLb1EEEEDaSU_SV_EUlSU_E_NS1_11comp_targetILNS1_3genE9ELNS1_11target_archE1100ELNS1_3gpuE3ELNS1_3repE0EEENS1_30default_config_static_selectorELNS0_4arch9wavefront6targetE0EEEvT1_,"axG",@progbits,_ZN7rocprim17ROCPRIM_400000_NS6detail17trampoline_kernelINS0_14default_configENS1_20scan_config_selectorIN3c107complexIdEEEEZZNS1_9scan_implILNS1_25lookback_scan_determinismE0ELb0ELb0ES3_PKS7_PS7_S7_ZZZN2at6native31launch_logcumsumexp_cuda_kernelERKNSE_10TensorBaseESI_lENKUlvE_clEvENKUlvE1_clEvEUlS7_S7_E_S7_EEDaPvRmT3_T4_T5_mT6_P12ihipStream_tbENKUlT_T0_E_clISt17integral_constantIbLb0EESY_IbLb1EEEEDaSU_SV_EUlSU_E_NS1_11comp_targetILNS1_3genE9ELNS1_11target_archE1100ELNS1_3gpuE3ELNS1_3repE0EEENS1_30default_config_static_selectorELNS0_4arch9wavefront6targetE0EEEvT1_,comdat
	.globl	_ZN7rocprim17ROCPRIM_400000_NS6detail17trampoline_kernelINS0_14default_configENS1_20scan_config_selectorIN3c107complexIdEEEEZZNS1_9scan_implILNS1_25lookback_scan_determinismE0ELb0ELb0ES3_PKS7_PS7_S7_ZZZN2at6native31launch_logcumsumexp_cuda_kernelERKNSE_10TensorBaseESI_lENKUlvE_clEvENKUlvE1_clEvEUlS7_S7_E_S7_EEDaPvRmT3_T4_T5_mT6_P12ihipStream_tbENKUlT_T0_E_clISt17integral_constantIbLb0EESY_IbLb1EEEEDaSU_SV_EUlSU_E_NS1_11comp_targetILNS1_3genE9ELNS1_11target_archE1100ELNS1_3gpuE3ELNS1_3repE0EEENS1_30default_config_static_selectorELNS0_4arch9wavefront6targetE0EEEvT1_ ; -- Begin function _ZN7rocprim17ROCPRIM_400000_NS6detail17trampoline_kernelINS0_14default_configENS1_20scan_config_selectorIN3c107complexIdEEEEZZNS1_9scan_implILNS1_25lookback_scan_determinismE0ELb0ELb0ES3_PKS7_PS7_S7_ZZZN2at6native31launch_logcumsumexp_cuda_kernelERKNSE_10TensorBaseESI_lENKUlvE_clEvENKUlvE1_clEvEUlS7_S7_E_S7_EEDaPvRmT3_T4_T5_mT6_P12ihipStream_tbENKUlT_T0_E_clISt17integral_constantIbLb0EESY_IbLb1EEEEDaSU_SV_EUlSU_E_NS1_11comp_targetILNS1_3genE9ELNS1_11target_archE1100ELNS1_3gpuE3ELNS1_3repE0EEENS1_30default_config_static_selectorELNS0_4arch9wavefront6targetE0EEEvT1_
	.p2align	8
	.type	_ZN7rocprim17ROCPRIM_400000_NS6detail17trampoline_kernelINS0_14default_configENS1_20scan_config_selectorIN3c107complexIdEEEEZZNS1_9scan_implILNS1_25lookback_scan_determinismE0ELb0ELb0ES3_PKS7_PS7_S7_ZZZN2at6native31launch_logcumsumexp_cuda_kernelERKNSE_10TensorBaseESI_lENKUlvE_clEvENKUlvE1_clEvEUlS7_S7_E_S7_EEDaPvRmT3_T4_T5_mT6_P12ihipStream_tbENKUlT_T0_E_clISt17integral_constantIbLb0EESY_IbLb1EEEEDaSU_SV_EUlSU_E_NS1_11comp_targetILNS1_3genE9ELNS1_11target_archE1100ELNS1_3gpuE3ELNS1_3repE0EEENS1_30default_config_static_selectorELNS0_4arch9wavefront6targetE0EEEvT1_,@function
_ZN7rocprim17ROCPRIM_400000_NS6detail17trampoline_kernelINS0_14default_configENS1_20scan_config_selectorIN3c107complexIdEEEEZZNS1_9scan_implILNS1_25lookback_scan_determinismE0ELb0ELb0ES3_PKS7_PS7_S7_ZZZN2at6native31launch_logcumsumexp_cuda_kernelERKNSE_10TensorBaseESI_lENKUlvE_clEvENKUlvE1_clEvEUlS7_S7_E_S7_EEDaPvRmT3_T4_T5_mT6_P12ihipStream_tbENKUlT_T0_E_clISt17integral_constantIbLb0EESY_IbLb1EEEEDaSU_SV_EUlSU_E_NS1_11comp_targetILNS1_3genE9ELNS1_11target_archE1100ELNS1_3gpuE3ELNS1_3repE0EEENS1_30default_config_static_selectorELNS0_4arch9wavefront6targetE0EEEvT1_: ; @_ZN7rocprim17ROCPRIM_400000_NS6detail17trampoline_kernelINS0_14default_configENS1_20scan_config_selectorIN3c107complexIdEEEEZZNS1_9scan_implILNS1_25lookback_scan_determinismE0ELb0ELb0ES3_PKS7_PS7_S7_ZZZN2at6native31launch_logcumsumexp_cuda_kernelERKNSE_10TensorBaseESI_lENKUlvE_clEvENKUlvE1_clEvEUlS7_S7_E_S7_EEDaPvRmT3_T4_T5_mT6_P12ihipStream_tbENKUlT_T0_E_clISt17integral_constantIbLb0EESY_IbLb1EEEEDaSU_SV_EUlSU_E_NS1_11comp_targetILNS1_3genE9ELNS1_11target_archE1100ELNS1_3gpuE3ELNS1_3repE0EEENS1_30default_config_static_selectorELNS0_4arch9wavefront6targetE0EEEvT1_
; %bb.0:
	s_clause 0x1
	s_load_b128 s[44:47], s[0:1], 0x38
	s_load_b64 s[28:29], s[0:1], 0x48
	v_mov_b32_e32 v156, v0
	s_mov_b32 s32, 0
	s_delay_alu instid0(VALU_DEP_1) | instskip(SKIP_1) | instid1(VALU_DEP_1)
	v_cmp_ne_u32_e64 s18, 0, v156
	v_cmp_eq_u32_e64 s19, 0, v156
	s_and_saveexec_b32 s2, s19
	s_cbranch_execz .LBB252_4
; %bb.1:
	s_mov_b32 s4, exec_lo
	s_mov_b32 s3, exec_lo
	v_mbcnt_lo_u32_b32 v0, s4, 0
                                        ; implicit-def: $vgpr1
	s_delay_alu instid0(VALU_DEP_1)
	v_cmpx_eq_u32_e32 0, v0
	s_cbranch_execz .LBB252_3
; %bb.2:
	s_load_b64 s[6:7], s[0:1], 0x78
	s_bcnt1_i32_b32 s4, s4
	s_delay_alu instid0(SALU_CYCLE_1)
	v_dual_mov_b32 v1, 0 :: v_dual_mov_b32 v2, s4
	s_waitcnt lgkmcnt(0)
	global_atomic_add_u32 v1, v1, v2, s[6:7] glc
.LBB252_3:
	s_or_b32 exec_lo, exec_lo, s3
	s_waitcnt vmcnt(0)
	v_readfirstlane_b32 s3, v1
	s_delay_alu instid0(VALU_DEP_1)
	v_dual_mov_b32 v1, 0 :: v_dual_add_nc_u32 v0, s3, v0
	ds_store_b32 v1, v0
.LBB252_4:
	s_or_b32 exec_lo, exec_lo, s2
	v_dual_mov_b32 v0, 0 :: v_dual_lshlrev_b32 v165, 4, v156
	s_clause 0x2
	s_load_b256 s[20:27], s[0:1], 0x0
	s_load_b32 s2, s[0:1], 0x50
	s_load_b256 s[36:43], s[0:1], 0x58
	s_waitcnt lgkmcnt(0)
	s_barrier
	buffer_gl0_inv
	ds_load_b32 v0, v0
	s_mov_b32 s1, 0
	v_lshrrev_b32_e32 v32, 1, v156
	v_or_b32_e32 v164, 0x100, v156
	v_or_b32_e32 v163, 0x200, v156
	;; [unrolled: 1-line block ×7, first 2 shown]
	s_waitcnt lgkmcnt(0)
	s_barrier
	buffer_gl0_inv
	s_lshl_b64 s[22:23], s[22:23], 4
	s_delay_alu instid0(SALU_CYCLE_1)
	s_add_u32 s3, s20, s22
	s_addc_u32 s4, s21, s23
	s_add_i32 s2, s2, -1
	v_readfirstlane_b32 s35, v0
	s_lshl_b32 s5, s2, 11
	v_cmp_ne_u32_e64 s17, s2, v0
	s_delay_alu instid0(VALU_DEP_2)
	s_lshl_b32 s0, s35, 11
	s_sub_u32 s33, s26, s5
	s_subb_u32 s34, s27, 0
	s_lshl_b64 s[26:27], s[0:1], 4
	s_mov_b32 s1, -1
	s_add_u32 s2, s3, s26
	s_addc_u32 s3, s4, s27
	s_and_b32 vcc_lo, exec_lo, s17
	s_cbranch_vccz .LBB252_6
; %bb.5:
	v_add_co_u32 v10, s0, s2, v165
	s_delay_alu instid0(VALU_DEP_1) | instskip(SKIP_1) | instid1(VALU_DEP_3)
	v_add_co_ci_u32_e64 v11, null, s3, 0, s0
	v_lshrrev_b32_e32 v34, 1, v164
	v_add_co_u32 v8, vcc_lo, v10, 0x2000
	s_delay_alu instid0(VALU_DEP_3)
	v_add_co_ci_u32_e32 v9, vcc_lo, 0, v11, vcc_lo
	v_add_co_u32 v16, vcc_lo, v10, 0x4000
	v_add_co_ci_u32_e32 v17, vcc_lo, 0, v11, vcc_lo
	v_add_co_u32 v24, vcc_lo, v10, 0x6000
	;; [unrolled: 2-line block ×3, first 2 shown]
	v_add_co_ci_u32_e32 v29, vcc_lo, 0, v11, vcc_lo
	s_clause 0x7
	global_load_b128 v[0:3], v165, s[2:3]
	global_load_b128 v[4:7], v[8:9], off offset:-4096
	global_load_b128 v[8:11], v[8:9], off
	global_load_b128 v[12:15], v[16:17], off offset:-4096
	global_load_b128 v[16:19], v[16:17], off
	;; [unrolled: 2-line block ×3, first 2 shown]
	global_load_b128 v[28:31], v[28:29], off
	v_lshrrev_b32_e32 v35, 1, v163
	v_lshrrev_b32_e32 v36, 1, v162
	;; [unrolled: 1-line block ×3, first 2 shown]
	v_and_b32_e32 v33, 0x70, v32
	v_lshrrev_b32_e32 v38, 1, v160
	v_lshrrev_b32_e32 v39, 1, v159
	;; [unrolled: 1-line block ×3, first 2 shown]
	v_and_b32_e32 v34, 0xf0, v34
	v_and_b32_e32 v35, 0x170, v35
	v_and_b32_e32 v36, 0x1f0, v36
	v_and_b32_e32 v37, 0x270, v37
	v_add_nc_u32_e32 v33, v33, v165
	v_and_b32_e32 v38, 0x2f0, v38
	v_and_b32_e32 v39, 0x370, v39
	;; [unrolled: 1-line block ×3, first 2 shown]
	v_add_nc_u32_e32 v34, v34, v165
	v_add_nc_u32_e32 v35, v35, v165
	;; [unrolled: 1-line block ×4, first 2 shown]
	s_mov_b32 s1, 0
	v_add_nc_u32_e32 v38, v38, v165
	v_add_nc_u32_e32 v39, v39, v165
	;; [unrolled: 1-line block ×3, first 2 shown]
	s_waitcnt vmcnt(7)
	ds_store_b128 v33, v[0:3]
	s_waitcnt vmcnt(6)
	ds_store_b128 v34, v[4:7] offset:4096
	s_waitcnt vmcnt(5)
	ds_store_b128 v35, v[8:11] offset:8192
	;; [unrolled: 2-line block ×7, first 2 shown]
	s_waitcnt lgkmcnt(0)
	s_barrier
.LBB252_6:
	v_cmp_gt_u32_e64 s0, s33, v156
	s_and_not1_b32 vcc_lo, exec_lo, s1
	s_cbranch_vccnz .LBB252_24
; %bb.7:
	v_mov_b32_e32 v0, 0
	global_load_b128 v[0:3], v0, s[2:3]
	s_waitcnt vmcnt(0)
	v_dual_mov_b32 v7, v3 :: v_dual_mov_b32 v6, v2
	v_dual_mov_b32 v5, v1 :: v_dual_mov_b32 v4, v0
	s_and_saveexec_b32 s1, s0
	s_cbranch_execz .LBB252_9
; %bb.8:
	global_load_b128 v[4:7], v165, s[2:3]
.LBB252_9:
	s_or_b32 exec_lo, exec_lo, s1
	v_dual_mov_b32 v11, v3 :: v_dual_mov_b32 v10, v2
	v_dual_mov_b32 v9, v1 :: v_dual_mov_b32 v8, v0
	s_mov_b32 s0, exec_lo
	v_cmpx_gt_u32_e64 s33, v164
	s_cbranch_execz .LBB252_11
; %bb.10:
	v_lshlrev_b32_e32 v8, 4, v164
	global_load_b128 v[8:11], v8, s[2:3]
.LBB252_11:
	s_or_b32 exec_lo, exec_lo, s0
	v_dual_mov_b32 v15, v3 :: v_dual_mov_b32 v14, v2
	v_dual_mov_b32 v13, v1 :: v_dual_mov_b32 v12, v0
	s_mov_b32 s0, exec_lo
	v_cmpx_gt_u32_e64 s33, v163
	s_cbranch_execz .LBB252_13
; %bb.12:
	v_lshlrev_b32_e32 v12, 4, v163
	global_load_b128 v[12:15], v12, s[2:3]
.LBB252_13:
	;; [unrolled: 10-line block ×6, first 2 shown]
	s_or_b32 exec_lo, exec_lo, s0
	s_delay_alu instid0(SALU_CYCLE_1)
	s_mov_b32 s0, exec_lo
	v_cmpx_gt_u32_e64 s33, v158
	s_cbranch_execz .LBB252_23
; %bb.22:
	v_lshlrev_b32_e32 v0, 4, v158
	global_load_b128 v[0:3], v0, s[2:3]
.LBB252_23:
	s_or_b32 exec_lo, exec_lo, s0
	v_lshrrev_b32_e32 v33, 1, v164
	v_and_b32_e32 v32, 0x70, v32
	v_lshrrev_b32_e32 v34, 1, v163
	v_lshrrev_b32_e32 v35, 1, v162
	;; [unrolled: 1-line block ×3, first 2 shown]
	v_and_b32_e32 v33, 0xf0, v33
	v_add_nc_u32_e32 v32, v32, v165
	v_lshrrev_b32_e32 v37, 1, v160
	v_lshrrev_b32_e32 v38, 1, v159
	v_and_b32_e32 v34, 0x1f0, v34
	v_add_nc_u32_e32 v33, v33, v165
	v_lshrrev_b32_e32 v39, 1, v158
	v_and_b32_e32 v35, 0x1f0, v35
	s_waitcnt vmcnt(0)
	ds_store_b128 v32, v[4:7]
	ds_store_b128 v33, v[8:11] offset:4096
	v_and_b32_e32 v4, 0x3f0, v36
	v_and_b32_e32 v5, 0x3f0, v37
	;; [unrolled: 1-line block ×3, first 2 shown]
	v_add_nc_u32_e32 v34, v34, v165
	v_and_b32_e32 v7, 0x3f0, v39
	v_add_nc_u32_e32 v8, v35, v165
	v_add_nc_u32_e32 v4, v4, v165
	;; [unrolled: 1-line block ×5, first 2 shown]
	ds_store_b128 v34, v[12:15] offset:8192
	ds_store_b128 v8, v[16:19] offset:12288
	;; [unrolled: 1-line block ×6, first 2 shown]
	s_waitcnt lgkmcnt(0)
	s_barrier
.LBB252_24:
	v_lshlrev_b32_e32 v0, 3, v156
	v_lshrrev_b32_e32 v157, 2, v156
	buffer_gl0_inv
	s_cmp_lg_u32 s35, 0
	v_add_lshl_u32 v0, v157, v0, 4
	ds_load_b128 v[40:43], v0
	ds_load_b128 v[92:95], v0 offset:16
	ds_load_b128 v[88:91], v0 offset:32
	;; [unrolled: 1-line block ×7, first 2 shown]
	s_waitcnt lgkmcnt(0)
	s_barrier
	buffer_gl0_inv
	s_cbranch_scc0 .LBB252_89
; %bb.25:
	v_dual_mov_b32 v0, v40 :: v_dual_mov_b32 v1, v41
	v_dual_mov_b32 v2, v42 :: v_dual_mov_b32 v3, v43
	;; [unrolled: 1-line block ×4, first 2 shown]
	s_getpc_b64 s[20:21]
	s_add_u32 s20, s20, _ZZZZN2at6native31launch_logcumsumexp_cuda_kernelERKNS_10TensorBaseES3_lENKUlvE_clEvENKUlvE1_clEvENKUlN3c107complexIdEES8_E_clES8_S8_@rel32@lo+4
	s_addc_u32 s21, s21, _ZZZZN2at6native31launch_logcumsumexp_cuda_kernelERKNS_10TensorBaseES3_lENKUlvE_clEvENKUlvE1_clEvENKUlN3c107complexIdEES8_E_clES8_S8_@rel32@hi+12
	s_delay_alu instid0(SALU_CYCLE_1)
	s_swappc_b64 s[30:31], s[20:21]
	v_dual_mov_b32 v4, v88 :: v_dual_mov_b32 v5, v89
	v_dual_mov_b32 v6, v90 :: v_dual_mov_b32 v7, v91
	s_swappc_b64 s[30:31], s[20:21]
	v_dual_mov_b32 v4, v76 :: v_dual_mov_b32 v5, v77
	v_dual_mov_b32 v6, v78 :: v_dual_mov_b32 v7, v79
	;; [unrolled: 3-line block ×7, first 2 shown]
	v_mbcnt_lo_u32_b32 v126, -1, 0
	s_delay_alu instid0(VALU_DEP_3) | instskip(NEXT) | instid1(VALU_DEP_4)
	v_mov_b32_dpp v0, v108 row_shr:1 row_mask:0xf bank_mask:0xf
	v_mov_b32_dpp v1, v109 row_shr:1 row_mask:0xf bank_mask:0xf
	s_delay_alu instid0(VALU_DEP_4) | instskip(SKIP_3) | instid1(VALU_DEP_1)
	v_mov_b32_dpp v2, v110 row_shr:1 row_mask:0xf bank_mask:0xf
	v_mov_b32_dpp v3, v111 row_shr:1 row_mask:0xf bank_mask:0xf
	v_and_b32_e32 v104, 15, v126
	s_mov_b32 s48, exec_lo
	v_cmpx_ne_u32_e32 0, v104
	s_cbranch_execz .LBB252_27
; %bb.26:
	v_dual_mov_b32 v4, v108 :: v_dual_mov_b32 v5, v109
	v_dual_mov_b32 v6, v110 :: v_dual_mov_b32 v7, v111
	s_swappc_b64 s[30:31], s[20:21]
	v_dual_mov_b32 v108, v0 :: v_dual_mov_b32 v109, v1
	v_dual_mov_b32 v110, v2 :: v_dual_mov_b32 v111, v3
.LBB252_27:
	s_or_b32 exec_lo, exec_lo, s48
	s_delay_alu instid0(VALU_DEP_2) | instskip(NEXT) | instid1(VALU_DEP_3)
	v_mov_b32_dpp v0, v108 row_shr:2 row_mask:0xf bank_mask:0xf
	v_mov_b32_dpp v1, v109 row_shr:2 row_mask:0xf bank_mask:0xf
	s_delay_alu instid0(VALU_DEP_3)
	v_mov_b32_dpp v2, v110 row_shr:2 row_mask:0xf bank_mask:0xf
	v_mov_b32_dpp v3, v111 row_shr:2 row_mask:0xf bank_mask:0xf
	s_mov_b32 s20, exec_lo
	v_cmpx_lt_u32_e32 1, v104
	s_cbranch_execz .LBB252_29
; %bb.28:
	v_dual_mov_b32 v4, v108 :: v_dual_mov_b32 v5, v109
	v_dual_mov_b32 v6, v110 :: v_dual_mov_b32 v7, v111
	s_getpc_b64 s[0:1]
	s_add_u32 s0, s0, _ZZZZN2at6native31launch_logcumsumexp_cuda_kernelERKNS_10TensorBaseES3_lENKUlvE_clEvENKUlvE1_clEvENKUlN3c107complexIdEES8_E_clES8_S8_@rel32@lo+4
	s_addc_u32 s1, s1, _ZZZZN2at6native31launch_logcumsumexp_cuda_kernelERKNS_10TensorBaseES3_lENKUlvE_clEvENKUlvE1_clEvENKUlN3c107complexIdEES8_E_clES8_S8_@rel32@hi+12
	s_delay_alu instid0(SALU_CYCLE_1)
	s_swappc_b64 s[30:31], s[0:1]
	v_dual_mov_b32 v108, v0 :: v_dual_mov_b32 v109, v1
	v_dual_mov_b32 v110, v2 :: v_dual_mov_b32 v111, v3
.LBB252_29:
	s_or_b32 exec_lo, exec_lo, s20
	s_delay_alu instid0(VALU_DEP_2) | instskip(NEXT) | instid1(VALU_DEP_3)
	v_mov_b32_dpp v0, v108 row_shr:4 row_mask:0xf bank_mask:0xf
	v_mov_b32_dpp v1, v109 row_shr:4 row_mask:0xf bank_mask:0xf
	s_delay_alu instid0(VALU_DEP_3)
	v_mov_b32_dpp v2, v110 row_shr:4 row_mask:0xf bank_mask:0xf
	v_mov_b32_dpp v3, v111 row_shr:4 row_mask:0xf bank_mask:0xf
	s_mov_b32 s20, exec_lo
	v_cmpx_lt_u32_e32 3, v104
	s_cbranch_execz .LBB252_31
; %bb.30:
	v_dual_mov_b32 v4, v108 :: v_dual_mov_b32 v5, v109
	v_dual_mov_b32 v6, v110 :: v_dual_mov_b32 v7, v111
	s_getpc_b64 s[0:1]
	s_add_u32 s0, s0, _ZZZZN2at6native31launch_logcumsumexp_cuda_kernelERKNS_10TensorBaseES3_lENKUlvE_clEvENKUlvE1_clEvENKUlN3c107complexIdEES8_E_clES8_S8_@rel32@lo+4
	s_addc_u32 s1, s1, _ZZZZN2at6native31launch_logcumsumexp_cuda_kernelERKNS_10TensorBaseES3_lENKUlvE_clEvENKUlvE1_clEvENKUlN3c107complexIdEES8_E_clES8_S8_@rel32@hi+12
	s_delay_alu instid0(SALU_CYCLE_1)
	s_swappc_b64 s[30:31], s[0:1]
	v_dual_mov_b32 v108, v0 :: v_dual_mov_b32 v109, v1
	v_dual_mov_b32 v110, v2 :: v_dual_mov_b32 v111, v3
.LBB252_31:
	;; [unrolled: 21-line block ×3, first 2 shown]
	s_or_b32 exec_lo, exec_lo, s20
	ds_swizzle_b32 v0, v108 offset:swizzle(BROADCAST,32,15)
	ds_swizzle_b32 v1, v109 offset:swizzle(BROADCAST,32,15)
	;; [unrolled: 1-line block ×4, first 2 shown]
	v_and_b32_e32 v4, 16, v126
	s_mov_b32 s20, exec_lo
	s_delay_alu instid0(VALU_DEP_1)
	v_cmpx_ne_u32_e32 0, v4
	s_cbranch_execz .LBB252_35
; %bb.34:
	v_dual_mov_b32 v4, v108 :: v_dual_mov_b32 v5, v109
	v_dual_mov_b32 v6, v110 :: v_dual_mov_b32 v7, v111
	s_getpc_b64 s[0:1]
	s_add_u32 s0, s0, _ZZZZN2at6native31launch_logcumsumexp_cuda_kernelERKNS_10TensorBaseES3_lENKUlvE_clEvENKUlvE1_clEvENKUlN3c107complexIdEES8_E_clES8_S8_@rel32@lo+4
	s_addc_u32 s1, s1, _ZZZZN2at6native31launch_logcumsumexp_cuda_kernelERKNS_10TensorBaseES3_lENKUlvE_clEvENKUlvE1_clEvENKUlN3c107complexIdEES8_E_clES8_S8_@rel32@hi+12
	s_delay_alu instid0(SALU_CYCLE_1)
	s_swappc_b64 s[30:31], s[0:1]
	v_dual_mov_b32 v108, v0 :: v_dual_mov_b32 v109, v1
	v_dual_mov_b32 v110, v2 :: v_dual_mov_b32 v111, v3
.LBB252_35:
	s_or_b32 exec_lo, exec_lo, s20
	s_waitcnt lgkmcnt(3)
	v_or_b32_e32 v0, 31, v156
	v_lshrrev_b32_e32 v120, 5, v156
	s_mov_b32 s0, exec_lo
	s_delay_alu instid0(VALU_DEP_2)
	v_cmpx_eq_u32_e64 v0, v156
	s_cbranch_execz .LBB252_37
; %bb.36:
	s_delay_alu instid0(VALU_DEP_2)
	v_lshlrev_b32_e32 v0, 4, v120
	ds_store_b128 v0, v[108:111]
.LBB252_37:
	s_or_b32 exec_lo, exec_lo, s0
	s_delay_alu instid0(SALU_CYCLE_1)
	s_mov_b32 s20, exec_lo
	s_waitcnt lgkmcnt(0)
	s_waitcnt_vscnt null, 0x0
	s_barrier
	buffer_gl0_inv
	v_cmpx_gt_u32_e32 8, v156
	s_cbranch_execz .LBB252_45
; %bb.38:
	ds_load_b128 v[4:7], v165
	v_and_b32_e32 v104, 7, v126
	s_mov_b32 s21, exec_lo
	s_waitcnt lgkmcnt(0)
	v_mov_b32_dpp v0, v4 row_shr:1 row_mask:0xf bank_mask:0xf
	v_mov_b32_dpp v1, v5 row_shr:1 row_mask:0xf bank_mask:0xf
	;; [unrolled: 1-line block ×4, first 2 shown]
	v_cmpx_ne_u32_e32 0, v104
	s_cbranch_execz .LBB252_40
; %bb.39:
	s_getpc_b64 s[0:1]
	s_add_u32 s0, s0, _ZZZZN2at6native31launch_logcumsumexp_cuda_kernelERKNS_10TensorBaseES3_lENKUlvE_clEvENKUlvE1_clEvENKUlN3c107complexIdEES8_E_clES8_S8_@rel32@lo+4
	s_addc_u32 s1, s1, _ZZZZN2at6native31launch_logcumsumexp_cuda_kernelERKNS_10TensorBaseES3_lENKUlvE_clEvENKUlvE1_clEvENKUlN3c107complexIdEES8_E_clES8_S8_@rel32@hi+12
	s_delay_alu instid0(SALU_CYCLE_1)
	s_swappc_b64 s[30:31], s[0:1]
	v_dual_mov_b32 v4, v0 :: v_dual_mov_b32 v5, v1
	v_dual_mov_b32 v6, v2 :: v_dual_mov_b32 v7, v3
.LBB252_40:
	s_or_b32 exec_lo, exec_lo, s21
	s_delay_alu instid0(VALU_DEP_2) | instskip(NEXT) | instid1(VALU_DEP_3)
	v_mov_b32_dpp v0, v4 row_shr:2 row_mask:0xf bank_mask:0xf
	v_mov_b32_dpp v1, v5 row_shr:2 row_mask:0xf bank_mask:0xf
	s_delay_alu instid0(VALU_DEP_3)
	v_mov_b32_dpp v2, v6 row_shr:2 row_mask:0xf bank_mask:0xf
	v_mov_b32_dpp v3, v7 row_shr:2 row_mask:0xf bank_mask:0xf
	s_mov_b32 s21, exec_lo
	v_cmpx_lt_u32_e32 1, v104
	s_cbranch_execz .LBB252_42
; %bb.41:
	s_getpc_b64 s[0:1]
	s_add_u32 s0, s0, _ZZZZN2at6native31launch_logcumsumexp_cuda_kernelERKNS_10TensorBaseES3_lENKUlvE_clEvENKUlvE1_clEvENKUlN3c107complexIdEES8_E_clES8_S8_@rel32@lo+4
	s_addc_u32 s1, s1, _ZZZZN2at6native31launch_logcumsumexp_cuda_kernelERKNS_10TensorBaseES3_lENKUlvE_clEvENKUlvE1_clEvENKUlN3c107complexIdEES8_E_clES8_S8_@rel32@hi+12
	s_delay_alu instid0(SALU_CYCLE_1)
	s_swappc_b64 s[30:31], s[0:1]
	v_dual_mov_b32 v4, v0 :: v_dual_mov_b32 v5, v1
	v_dual_mov_b32 v6, v2 :: v_dual_mov_b32 v7, v3
.LBB252_42:
	s_or_b32 exec_lo, exec_lo, s21
	s_delay_alu instid0(VALU_DEP_2) | instskip(NEXT) | instid1(VALU_DEP_3)
	v_mov_b32_dpp v0, v4 row_shr:4 row_mask:0xf bank_mask:0xf
	v_mov_b32_dpp v1, v5 row_shr:4 row_mask:0xf bank_mask:0xf
	s_delay_alu instid0(VALU_DEP_3)
	v_mov_b32_dpp v2, v6 row_shr:4 row_mask:0xf bank_mask:0xf
	v_mov_b32_dpp v3, v7 row_shr:4 row_mask:0xf bank_mask:0xf
	s_mov_b32 s21, exec_lo
	v_cmpx_lt_u32_e32 3, v104
	s_cbranch_execz .LBB252_44
; %bb.43:
	s_getpc_b64 s[0:1]
	s_add_u32 s0, s0, _ZZZZN2at6native31launch_logcumsumexp_cuda_kernelERKNS_10TensorBaseES3_lENKUlvE_clEvENKUlvE1_clEvENKUlN3c107complexIdEES8_E_clES8_S8_@rel32@lo+4
	s_addc_u32 s1, s1, _ZZZZN2at6native31launch_logcumsumexp_cuda_kernelERKNS_10TensorBaseES3_lENKUlvE_clEvENKUlvE1_clEvENKUlN3c107complexIdEES8_E_clES8_S8_@rel32@hi+12
	s_delay_alu instid0(SALU_CYCLE_1)
	s_swappc_b64 s[30:31], s[0:1]
	v_dual_mov_b32 v4, v0 :: v_dual_mov_b32 v5, v1
	v_dual_mov_b32 v6, v2 :: v_dual_mov_b32 v7, v3
.LBB252_44:
	s_or_b32 exec_lo, exec_lo, s21
	ds_store_b128 v165, v[4:7]
.LBB252_45:
	s_or_b32 exec_lo, exec_lo, s20
	v_mov_b32_e32 v106, 0
	v_mov_b32_e32 v107, 0
	v_cmp_gt_u32_e64 s21, 32, v156
	s_delay_alu instid0(VALU_DEP_3)
	v_mov_b32_e32 v104, v106
	s_mov_b32 s20, exec_lo
	s_waitcnt lgkmcnt(0)
	s_waitcnt_vscnt null, 0x0
	v_mov_b32_e32 v105, v107
	s_barrier
	buffer_gl0_inv
	v_cmpx_lt_u32_e32 31, v156
	s_cbranch_execz .LBB252_47
; %bb.46:
	v_lshl_add_u32 v0, v120, 4, -16
	v_dual_mov_b32 v4, v108 :: v_dual_mov_b32 v5, v109
	s_getpc_b64 s[0:1]
	s_add_u32 s0, s0, _ZZZZN2at6native31launch_logcumsumexp_cuda_kernelERKNS_10TensorBaseES3_lENKUlvE_clEvENKUlvE1_clEvENKUlN3c107complexIdEES8_E_clES8_S8_@rel32@lo+4
	s_addc_u32 s1, s1, _ZZZZN2at6native31launch_logcumsumexp_cuda_kernelERKNS_10TensorBaseES3_lENKUlvE_clEvENKUlvE1_clEvENKUlN3c107complexIdEES8_E_clES8_S8_@rel32@hi+12
	v_mov_b32_e32 v7, v111
	ds_load_b128 v[104:107], v0
	s_waitcnt lgkmcnt(0)
	v_dual_mov_b32 v6, v110 :: v_dual_mov_b32 v1, v105
	v_dual_mov_b32 v0, v104 :: v_dual_mov_b32 v3, v107
	v_mov_b32_e32 v2, v106
	s_swappc_b64 s[30:31], s[0:1]
	s_delay_alu instid0(VALU_DEP_2) | instskip(NEXT) | instid1(VALU_DEP_2)
	v_dual_mov_b32 v108, v0 :: v_dual_mov_b32 v109, v1
	v_dual_mov_b32 v110, v2 :: v_dual_mov_b32 v111, v3
.LBB252_47:
	s_or_b32 exec_lo, exec_lo, s20
	v_add_nc_u32_e32 v0, -1, v126
	v_cmp_eq_u32_e64 s20, 0, v126
	s_delay_alu instid0(VALU_DEP_2) | instskip(SKIP_1) | instid1(VALU_DEP_1)
	v_cmp_gt_i32_e32 vcc_lo, 0, v0
	v_cndmask_b32_e32 v0, v0, v126, vcc_lo
	v_lshlrev_b32_e32 v0, 2, v0
	ds_bpermute_b32 v127, v0, v108
	ds_bpermute_b32 v136, v0, v109
	;; [unrolled: 1-line block ×4, first 2 shown]
	s_and_saveexec_b32 s48, s21
	s_cbranch_execz .LBB252_86
; %bb.48:
	v_mov_b32_e32 v1, 0
	ds_load_b128 v[108:111], v1 offset:112
	s_and_saveexec_b32 s0, s20
	s_cbranch_execz .LBB252_50
; %bb.49:
	s_add_i32 s2, s35, 32
	s_mov_b32 s3, 0
	v_mov_b32_e32 v0, s2
	s_lshl_b64 s[4:5], s[2:3], 4
	v_mov_b32_e32 v2, 1
	s_add_u32 s2, s44, s4
	s_addc_u32 s3, s45, s5
	s_waitcnt lgkmcnt(0)
	global_store_b128 v1, v[108:111], s[2:3]
	s_waitcnt_vscnt null, 0x0
	buffer_gl1_inv
	buffer_gl0_inv
	global_store_b8 v0, v2, s[28:29]
.LBB252_50:
	s_or_b32 exec_lo, exec_lo, s0
	v_xad_u32 v124, v126, -1, s35
	s_mov_b32 s1, 0
	s_mov_b32 s0, exec_lo
	s_delay_alu instid0(VALU_DEP_1)
	v_add_nc_u32_e32 v0, 32, v124
	global_load_u8 v139, v0, s[28:29] glc
	s_waitcnt vmcnt(0)
	v_cmpx_eq_u16_e64 0, v139
	s_cbranch_execz .LBB252_54
; %bb.51:
	v_add_co_u32 v2, s2, s28, v0
	s_delay_alu instid0(VALU_DEP_1)
	v_add_co_ci_u32_e64 v3, null, s29, 0, s2
.LBB252_52:                             ; =>This Inner Loop Header: Depth=1
	global_load_u8 v139, v[2:3], off glc
	s_waitcnt vmcnt(0)
	v_cmp_ne_u16_e64 vcc_lo, 0, v139
	s_delay_alu instid0(VALU_DEP_1) | instskip(NEXT) | instid1(SALU_CYCLE_1)
	s_or_b32 s1, vcc_lo, s1
	s_and_not1_b32 exec_lo, exec_lo, s1
	s_cbranch_execnz .LBB252_52
; %bb.53:
	s_or_b32 exec_lo, exec_lo, s1
.LBB252_54:
	s_delay_alu instid0(SALU_CYCLE_1)
	s_or_b32 exec_lo, exec_lo, s0
	v_dual_mov_b32 v2, s45 :: v_dual_mov_b32 v3, s44
	v_cmp_eq_u16_e64 vcc_lo, 1, v139
	v_lshlrev_b64 v[0:1], 4, v[0:1]
	s_waitcnt lgkmcnt(0)
	s_waitcnt_vscnt null, 0x0
	buffer_gl1_inv
	buffer_gl0_inv
	v_lshlrev_b32_e64 v141, v126, -1
	s_mov_b32 s21, exec_lo
	v_cndmask_b32_e32 v3, s46, v3, vcc_lo
	v_cndmask_b32_e32 v2, s47, v2, vcc_lo
	s_delay_alu instid0(VALU_DEP_2) | instskip(NEXT) | instid1(VALU_DEP_2)
	v_add_co_u32 v0, vcc_lo, v3, v0
	v_add_co_ci_u32_e32 v1, vcc_lo, v2, v1, vcc_lo
	v_cmp_ne_u32_e32 vcc_lo, 31, v126
	global_load_b128 v[4:7], v[0:1], off
	v_add_co_ci_u32_e32 v0, vcc_lo, 0, v126, vcc_lo
	v_cmp_eq_u16_e64 vcc_lo, 2, v139
	s_delay_alu instid0(VALU_DEP_2) | instskip(NEXT) | instid1(VALU_DEP_2)
	v_lshlrev_b32_e32 v140, 2, v0
	v_and_or_b32 v8, vcc_lo, v141, 0x80000000
	s_delay_alu instid0(VALU_DEP_1)
	v_ctz_i32_b32_e32 v120, v8
	s_waitcnt vmcnt(0)
	ds_bpermute_b32 v0, v140, v4
	ds_bpermute_b32 v1, v140, v5
	;; [unrolled: 1-line block ×4, first 2 shown]
	v_cmpx_lt_u32_e64 v126, v120
	s_cbranch_execz .LBB252_56
; %bb.55:
	s_getpc_b64 s[0:1]
	s_add_u32 s0, s0, _ZZZZN2at6native31launch_logcumsumexp_cuda_kernelERKNS_10TensorBaseES3_lENKUlvE_clEvENKUlvE1_clEvENKUlN3c107complexIdEES8_E_clES8_S8_@rel32@lo+4
	s_addc_u32 s1, s1, _ZZZZN2at6native31launch_logcumsumexp_cuda_kernelERKNS_10TensorBaseES3_lENKUlvE_clEvENKUlvE1_clEvENKUlN3c107complexIdEES8_E_clES8_S8_@rel32@hi+12
	s_delay_alu instid0(SALU_CYCLE_1)
	s_swappc_b64 s[30:31], s[0:1]
	v_dual_mov_b32 v4, v0 :: v_dual_mov_b32 v5, v1
	v_dual_mov_b32 v6, v2 :: v_dual_mov_b32 v7, v3
.LBB252_56:
	s_or_b32 exec_lo, exec_lo, s21
	v_cmp_gt_u32_e32 vcc_lo, 30, v126
	v_add_nc_u32_e32 v143, 2, v126
	s_mov_b32 s21, exec_lo
	s_waitcnt lgkmcnt(3)
	v_cndmask_b32_e64 v0, 0, 1, vcc_lo
	s_delay_alu instid0(VALU_DEP_1) | instskip(NEXT) | instid1(VALU_DEP_1)
	v_lshlrev_b32_e32 v0, 1, v0
	v_add_lshl_u32 v142, v0, v126, 2
	ds_bpermute_b32 v0, v142, v4
	s_waitcnt lgkmcnt(3)
	ds_bpermute_b32 v1, v142, v5
	s_waitcnt lgkmcnt(3)
	ds_bpermute_b32 v2, v142, v6
	s_waitcnt lgkmcnt(3)
	ds_bpermute_b32 v3, v142, v7
	v_cmpx_le_u32_e64 v143, v120
	s_cbranch_execz .LBB252_58
; %bb.57:
	s_getpc_b64 s[0:1]
	s_add_u32 s0, s0, _ZZZZN2at6native31launch_logcumsumexp_cuda_kernelERKNS_10TensorBaseES3_lENKUlvE_clEvENKUlvE1_clEvENKUlN3c107complexIdEES8_E_clES8_S8_@rel32@lo+4
	s_addc_u32 s1, s1, _ZZZZN2at6native31launch_logcumsumexp_cuda_kernelERKNS_10TensorBaseES3_lENKUlvE_clEvENKUlvE1_clEvENKUlN3c107complexIdEES8_E_clES8_S8_@rel32@hi+12
	s_delay_alu instid0(SALU_CYCLE_1)
	s_swappc_b64 s[30:31], s[0:1]
	v_dual_mov_b32 v4, v0 :: v_dual_mov_b32 v5, v1
	v_dual_mov_b32 v6, v2 :: v_dual_mov_b32 v7, v3
.LBB252_58:
	s_or_b32 exec_lo, exec_lo, s21
	v_cmp_gt_u32_e32 vcc_lo, 28, v126
	v_add_nc_u32_e32 v145, 4, v126
	s_mov_b32 s21, exec_lo
	s_waitcnt lgkmcnt(3)
	v_cndmask_b32_e64 v0, 0, 1, vcc_lo
	s_delay_alu instid0(VALU_DEP_1) | instskip(NEXT) | instid1(VALU_DEP_1)
	v_lshlrev_b32_e32 v0, 2, v0
	v_add_lshl_u32 v144, v0, v126, 2
	ds_bpermute_b32 v0, v144, v4
	s_waitcnt lgkmcnt(3)
	ds_bpermute_b32 v1, v144, v5
	s_waitcnt lgkmcnt(3)
	ds_bpermute_b32 v2, v144, v6
	s_waitcnt lgkmcnt(3)
	ds_bpermute_b32 v3, v144, v7
	v_cmpx_le_u32_e64 v145, v120
	;; [unrolled: 27-line block ×4, first 2 shown]
	s_cbranch_execz .LBB252_64
; %bb.63:
	s_getpc_b64 s[0:1]
	s_add_u32 s0, s0, _ZZZZN2at6native31launch_logcumsumexp_cuda_kernelERKNS_10TensorBaseES3_lENKUlvE_clEvENKUlvE1_clEvENKUlN3c107complexIdEES8_E_clES8_S8_@rel32@lo+4
	s_addc_u32 s1, s1, _ZZZZN2at6native31launch_logcumsumexp_cuda_kernelERKNS_10TensorBaseES3_lENKUlvE_clEvENKUlvE1_clEvENKUlN3c107complexIdEES8_E_clES8_S8_@rel32@hi+12
	s_delay_alu instid0(SALU_CYCLE_1)
	s_swappc_b64 s[30:31], s[0:1]
	v_dual_mov_b32 v4, v0 :: v_dual_mov_b32 v5, v1
	v_dual_mov_b32 v6, v2 :: v_dual_mov_b32 v7, v3
.LBB252_64:
	s_or_b32 exec_lo, exec_lo, s21
	v_mov_b32_e32 v125, 0
	s_branch .LBB252_66
.LBB252_65:                             ;   in Loop: Header=BB252_66 Depth=1
	s_or_b32 exec_lo, exec_lo, s21
	s_waitcnt lgkmcnt(2)
	v_dual_mov_b32 v0, v4 :: v_dual_mov_b32 v1, v5
	s_waitcnt lgkmcnt(0)
	v_dual_mov_b32 v2, v6 :: v_dual_mov_b32 v3, v7
	v_dual_mov_b32 v4, v120 :: v_dual_mov_b32 v5, v121
	;; [unrolled: 1-line block ×3, first 2 shown]
	v_subrev_nc_u32_e32 v124, 32, v124
	s_getpc_b64 s[0:1]
	s_add_u32 s0, s0, _ZZZZN2at6native31launch_logcumsumexp_cuda_kernelERKNS_10TensorBaseES3_lENKUlvE_clEvENKUlvE1_clEvENKUlN3c107complexIdEES8_E_clES8_S8_@rel32@lo+4
	s_addc_u32 s1, s1, _ZZZZN2at6native31launch_logcumsumexp_cuda_kernelERKNS_10TensorBaseES3_lENKUlvE_clEvENKUlvE1_clEvENKUlN3c107complexIdEES8_E_clES8_S8_@rel32@hi+12
	s_delay_alu instid0(SALU_CYCLE_1)
	s_swappc_b64 s[30:31], s[0:1]
	v_dual_mov_b32 v4, v0 :: v_dual_mov_b32 v5, v1
	v_dual_mov_b32 v6, v2 :: v_dual_mov_b32 v7, v3
.LBB252_66:                             ; =>This Loop Header: Depth=1
                                        ;     Child Loop BB252_69 Depth 2
	s_waitcnt lgkmcnt(3)
	s_delay_alu instid0(VALU_DEP_1) | instskip(NEXT) | instid1(VALU_DEP_2)
	v_dual_mov_b32 v123, v7 :: v_dual_and_b32 v0, 0xff, v139
	v_dual_mov_b32 v122, v6 :: v_dual_mov_b32 v121, v5
	v_mov_b32_e32 v120, v4
	s_delay_alu instid0(VALU_DEP_3) | instskip(SKIP_2) | instid1(VALU_DEP_1)
	v_cmp_ne_u16_e32 vcc_lo, 2, v0
	v_cndmask_b32_e64 v0, 0, 1, vcc_lo
	;;#ASMSTART
	;;#ASMEND
	v_cmp_ne_u32_e32 vcc_lo, 0, v0
	s_cmp_lg_u32 vcc_lo, exec_lo
	s_cbranch_scc1 .LBB252_81
; %bb.67:                               ;   in Loop: Header=BB252_66 Depth=1
	global_load_u8 v139, v124, s[28:29] glc
	s_mov_b32 s0, exec_lo
	s_waitcnt vmcnt(0)
	v_cmpx_eq_u16_e64 0, v139
	s_cbranch_execz .LBB252_71
; %bb.68:                               ;   in Loop: Header=BB252_66 Depth=1
	v_add_co_u32 v0, s1, s28, v124
	s_waitcnt lgkmcnt(2)
	v_add_co_ci_u32_e64 v1, null, s29, 0, s1
	s_mov_b32 s1, 0
.LBB252_69:                             ;   Parent Loop BB252_66 Depth=1
                                        ; =>  This Inner Loop Header: Depth=2
	global_load_u8 v139, v[0:1], off glc
	s_waitcnt vmcnt(0)
	v_cmp_ne_u16_e64 vcc_lo, 0, v139
	s_delay_alu instid0(VALU_DEP_1) | instskip(NEXT) | instid1(SALU_CYCLE_1)
	s_or_b32 s1, vcc_lo, s1
	s_and_not1_b32 exec_lo, exec_lo, s1
	s_cbranch_execnz .LBB252_69
; %bb.70:                               ;   in Loop: Header=BB252_66 Depth=1
	s_or_b32 exec_lo, exec_lo, s1
.LBB252_71:                             ;   in Loop: Header=BB252_66 Depth=1
	s_delay_alu instid0(SALU_CYCLE_1)
	s_or_b32 exec_lo, exec_lo, s0
	s_waitcnt lgkmcnt(0)
	v_dual_mov_b32 v2, s45 :: v_dual_mov_b32 v3, s44
	v_cmp_eq_u16_e64 vcc_lo, 1, v139
	v_lshlrev_b64 v[0:1], 4, v[124:125]
	s_waitcnt_vscnt null, 0x0
	buffer_gl1_inv
	buffer_gl0_inv
	s_mov_b32 s21, exec_lo
	v_cndmask_b32_e32 v3, s46, v3, vcc_lo
	v_cndmask_b32_e32 v2, s47, v2, vcc_lo
	s_delay_alu instid0(VALU_DEP_2) | instskip(NEXT) | instid1(VALU_DEP_2)
	v_add_co_u32 v0, vcc_lo, v3, v0
	v_add_co_ci_u32_e32 v1, vcc_lo, v2, v1, vcc_lo
	v_cmp_eq_u16_e64 vcc_lo, 2, v139
	global_load_b128 v[4:7], v[0:1], off
	v_and_or_b32 v8, vcc_lo, v141, 0x80000000
	s_delay_alu instid0(VALU_DEP_1)
	v_ctz_i32_b32_e32 v150, v8
	s_waitcnt vmcnt(0)
	ds_bpermute_b32 v0, v140, v4
	ds_bpermute_b32 v1, v140, v5
	;; [unrolled: 1-line block ×4, first 2 shown]
	v_cmpx_lt_u32_e64 v126, v150
	s_cbranch_execz .LBB252_73
; %bb.72:                               ;   in Loop: Header=BB252_66 Depth=1
	s_getpc_b64 s[0:1]
	s_add_u32 s0, s0, _ZZZZN2at6native31launch_logcumsumexp_cuda_kernelERKNS_10TensorBaseES3_lENKUlvE_clEvENKUlvE1_clEvENKUlN3c107complexIdEES8_E_clES8_S8_@rel32@lo+4
	s_addc_u32 s1, s1, _ZZZZN2at6native31launch_logcumsumexp_cuda_kernelERKNS_10TensorBaseES3_lENKUlvE_clEvENKUlvE1_clEvENKUlN3c107complexIdEES8_E_clES8_S8_@rel32@hi+12
	s_delay_alu instid0(SALU_CYCLE_1)
	s_swappc_b64 s[30:31], s[0:1]
	v_dual_mov_b32 v4, v0 :: v_dual_mov_b32 v5, v1
	v_dual_mov_b32 v6, v2 :: v_dual_mov_b32 v7, v3
.LBB252_73:                             ;   in Loop: Header=BB252_66 Depth=1
	s_or_b32 exec_lo, exec_lo, s21
	s_waitcnt lgkmcnt(3)
	ds_bpermute_b32 v0, v142, v4
	s_waitcnt lgkmcnt(3)
	ds_bpermute_b32 v1, v142, v5
	s_waitcnt lgkmcnt(3)
	ds_bpermute_b32 v2, v142, v6
	s_waitcnt lgkmcnt(3)
	ds_bpermute_b32 v3, v142, v7
	s_mov_b32 s21, exec_lo
	v_cmpx_le_u32_e64 v143, v150
	s_cbranch_execz .LBB252_75
; %bb.74:                               ;   in Loop: Header=BB252_66 Depth=1
	s_getpc_b64 s[0:1]
	s_add_u32 s0, s0, _ZZZZN2at6native31launch_logcumsumexp_cuda_kernelERKNS_10TensorBaseES3_lENKUlvE_clEvENKUlvE1_clEvENKUlN3c107complexIdEES8_E_clES8_S8_@rel32@lo+4
	s_addc_u32 s1, s1, _ZZZZN2at6native31launch_logcumsumexp_cuda_kernelERKNS_10TensorBaseES3_lENKUlvE_clEvENKUlvE1_clEvENKUlN3c107complexIdEES8_E_clES8_S8_@rel32@hi+12
	s_delay_alu instid0(SALU_CYCLE_1)
	s_swappc_b64 s[30:31], s[0:1]
	v_dual_mov_b32 v4, v0 :: v_dual_mov_b32 v5, v1
	v_dual_mov_b32 v6, v2 :: v_dual_mov_b32 v7, v3
.LBB252_75:                             ;   in Loop: Header=BB252_66 Depth=1
	s_or_b32 exec_lo, exec_lo, s21
	s_waitcnt lgkmcnt(3)
	ds_bpermute_b32 v0, v144, v4
	s_waitcnt lgkmcnt(3)
	ds_bpermute_b32 v1, v144, v5
	s_waitcnt lgkmcnt(3)
	ds_bpermute_b32 v2, v144, v6
	s_waitcnt lgkmcnt(3)
	ds_bpermute_b32 v3, v144, v7
	s_mov_b32 s21, exec_lo
	v_cmpx_le_u32_e64 v145, v150
	;; [unrolled: 21-line block ×4, first 2 shown]
	s_cbranch_execz .LBB252_65
; %bb.80:                               ;   in Loop: Header=BB252_66 Depth=1
	s_getpc_b64 s[0:1]
	s_add_u32 s0, s0, _ZZZZN2at6native31launch_logcumsumexp_cuda_kernelERKNS_10TensorBaseES3_lENKUlvE_clEvENKUlvE1_clEvENKUlN3c107complexIdEES8_E_clES8_S8_@rel32@lo+4
	s_addc_u32 s1, s1, _ZZZZN2at6native31launch_logcumsumexp_cuda_kernelERKNS_10TensorBaseES3_lENKUlvE_clEvENKUlvE1_clEvENKUlN3c107complexIdEES8_E_clES8_S8_@rel32@hi+12
	s_delay_alu instid0(SALU_CYCLE_1)
	s_swappc_b64 s[30:31], s[0:1]
	v_dual_mov_b32 v4, v0 :: v_dual_mov_b32 v5, v1
	v_dual_mov_b32 v6, v2 :: v_dual_mov_b32 v7, v3
	s_branch .LBB252_65
.LBB252_81:                             ;   in Loop: Header=BB252_66 Depth=1
                                        ; implicit-def: $vgpr6_vgpr7
                                        ; implicit-def: $vgpr139
	s_cbranch_execz .LBB252_66
; %bb.82:
	s_and_saveexec_b32 s21, s20
	s_cbranch_execz .LBB252_84
; %bb.83:
	s_waitcnt lgkmcnt(2)
	v_dual_mov_b32 v0, v120 :: v_dual_mov_b32 v1, v121
	s_waitcnt lgkmcnt(0)
	v_dual_mov_b32 v2, v122 :: v_dual_mov_b32 v3, v123
	v_dual_mov_b32 v4, v108 :: v_dual_mov_b32 v5, v109
	;; [unrolled: 1-line block ×3, first 2 shown]
	s_getpc_b64 s[0:1]
	s_add_u32 s0, s0, _ZZZZN2at6native31launch_logcumsumexp_cuda_kernelERKNS_10TensorBaseES3_lENKUlvE_clEvENKUlvE1_clEvENKUlN3c107complexIdEES8_E_clES8_S8_@rel32@lo+4
	s_addc_u32 s1, s1, _ZZZZN2at6native31launch_logcumsumexp_cuda_kernelERKNS_10TensorBaseES3_lENKUlvE_clEvENKUlvE1_clEvENKUlN3c107complexIdEES8_E_clES8_S8_@rel32@hi+12
	s_delay_alu instid0(SALU_CYCLE_1)
	s_swappc_b64 s[30:31], s[0:1]
	s_add_i32 s0, s35, 32
	s_mov_b32 s1, 0
	v_dual_mov_b32 v4, 0 :: v_dual_mov_b32 v5, s0
	s_lshl_b64 s[2:3], s[0:1], 4
	v_mov_b32_e32 v6, 2
	s_add_u32 s2, s46, s2
	s_addc_u32 s3, s47, s3
	global_store_b128 v4, v[0:3], s[2:3]
	s_waitcnt_vscnt null, 0x0
	buffer_gl1_inv
	buffer_gl0_inv
	global_store_b8 v5, v6, s[28:29]
.LBB252_84:
	s_or_b32 exec_lo, exec_lo, s21
	s_delay_alu instid0(SALU_CYCLE_1)
	s_and_b32 exec_lo, exec_lo, s19
	s_cbranch_execz .LBB252_86
; %bb.85:
	v_mov_b32_e32 v0, 0
	ds_store_b128 v0, v[120:123] offset:112
.LBB252_86:
	s_or_b32 exec_lo, exec_lo, s48
	v_mov_b32_e32 v0, 0
	v_mov_b32_e32 v6, v42
	s_waitcnt lgkmcnt(0)
	s_waitcnt_vscnt null, 0x0
	s_barrier
	buffer_gl0_inv
	v_mov_b32_e32 v7, v43
	ds_load_b128 v[108:111], v0 offset:112
	v_dual_mov_b32 v4, v40 :: v_dual_mov_b32 v5, v41
	s_and_saveexec_b32 s21, s18
	s_cbranch_execz .LBB252_88
; %bb.87:
	v_cndmask_b32_e64 v2, v138, v106, s20
	v_cndmask_b32_e64 v0, v127, v104, s20
	;; [unrolled: 1-line block ×4, first 2 shown]
	v_dual_mov_b32 v4, v40 :: v_dual_mov_b32 v5, v41
	v_dual_mov_b32 v6, v42 :: v_dual_mov_b32 v7, v43
	s_getpc_b64 s[0:1]
	s_add_u32 s0, s0, _ZZZZN2at6native31launch_logcumsumexp_cuda_kernelERKNS_10TensorBaseES3_lENKUlvE_clEvENKUlvE1_clEvENKUlN3c107complexIdEES8_E_clES8_S8_@rel32@lo+4
	s_addc_u32 s1, s1, _ZZZZN2at6native31launch_logcumsumexp_cuda_kernelERKNS_10TensorBaseES3_lENKUlvE_clEvENKUlvE1_clEvENKUlN3c107complexIdEES8_E_clES8_S8_@rel32@hi+12
	s_delay_alu instid0(SALU_CYCLE_1)
	s_swappc_b64 s[30:31], s[0:1]
	v_dual_mov_b32 v4, v0 :: v_dual_mov_b32 v5, v1
	v_dual_mov_b32 v6, v2 :: v_dual_mov_b32 v7, v3
.LBB252_88:
	s_or_b32 exec_lo, exec_lo, s21
	s_waitcnt lgkmcnt(0)
	v_dual_mov_b32 v0, v108 :: v_dual_mov_b32 v1, v109
	v_dual_mov_b32 v2, v110 :: v_dual_mov_b32 v3, v111
	s_getpc_b64 s[20:21]
	s_add_u32 s20, s20, _ZZZZN2at6native31launch_logcumsumexp_cuda_kernelERKNS_10TensorBaseES3_lENKUlvE_clEvENKUlvE1_clEvENKUlN3c107complexIdEES8_E_clES8_S8_@rel32@lo+4
	s_addc_u32 s21, s21, _ZZZZN2at6native31launch_logcumsumexp_cuda_kernelERKNS_10TensorBaseES3_lENKUlvE_clEvENKUlvE1_clEvENKUlN3c107complexIdEES8_E_clES8_S8_@rel32@hi+12
	s_delay_alu instid0(SALU_CYCLE_1)
	s_swappc_b64 s[30:31], s[20:21]
	v_dual_mov_b32 v4, v92 :: v_dual_mov_b32 v5, v93
	v_dual_mov_b32 v6, v94 :: v_dual_mov_b32 v7, v95
	v_dual_mov_b32 v148, v0 :: v_dual_mov_b32 v149, v1
	v_dual_mov_b32 v150, v2 :: v_dual_mov_b32 v151, v3
	s_swappc_b64 s[30:31], s[20:21]
	v_dual_mov_b32 v4, v88 :: v_dual_mov_b32 v5, v89
	v_dual_mov_b32 v6, v90 :: v_dual_mov_b32 v7, v91
	v_dual_mov_b32 v104, v0 :: v_dual_mov_b32 v105, v1
	v_dual_mov_b32 v106, v2 :: v_dual_mov_b32 v107, v3
	;; [unrolled: 5-line block ×7, first 2 shown]
	s_swappc_b64 s[30:31], s[20:21]
	v_dual_mov_b32 v144, v0 :: v_dual_mov_b32 v145, v1
	v_dual_mov_b32 v146, v2 :: v_dual_mov_b32 v147, v3
	s_branch .LBB252_119
.LBB252_89:
                                        ; implicit-def: $vgpr148_vgpr149
                                        ; implicit-def: $vgpr104_vgpr105
                                        ; implicit-def: $vgpr108_vgpr109
                                        ; implicit-def: $vgpr120_vgpr121
                                        ; implicit-def: $vgpr124_vgpr125
                                        ; implicit-def: $vgpr136_vgpr137
                                        ; implicit-def: $vgpr140_vgpr141
                                        ; implicit-def: $vgpr144_vgpr145
	s_cbranch_execz .LBB252_119
; %bb.90:
	s_cmp_lg_u64 s[40:41], 0
	s_cselect_b32 s0, -1, 0
	s_delay_alu instid0(SALU_CYCLE_1) | instskip(NEXT) | instid1(SALU_CYCLE_1)
	s_and_b32 s0, s19, s0
	s_and_saveexec_b32 s19, s0
	s_cbranch_execz .LBB252_92
; %bb.91:
	v_dual_mov_b32 v0, 0 :: v_dual_mov_b32 v5, v41
	v_dual_mov_b32 v4, v40 :: v_dual_mov_b32 v7, v43
	v_mov_b32_e32 v6, v42
	global_load_b128 v[0:3], v0, s[36:37]
	s_getpc_b64 s[0:1]
	s_add_u32 s0, s0, _ZZZZN2at6native31launch_logcumsumexp_cuda_kernelERKNS_10TensorBaseES3_lENKUlvE_clEvENKUlvE1_clEvENKUlN3c107complexIdEES8_E_clES8_S8_@rel32@lo+4
	s_addc_u32 s1, s1, _ZZZZN2at6native31launch_logcumsumexp_cuda_kernelERKNS_10TensorBaseES3_lENKUlvE_clEvENKUlvE1_clEvENKUlN3c107complexIdEES8_E_clES8_S8_@rel32@hi+12
	s_delay_alu instid0(SALU_CYCLE_1)
	s_swappc_b64 s[30:31], s[0:1]
	v_dual_mov_b32 v40, v0 :: v_dual_mov_b32 v41, v1
	v_dual_mov_b32 v42, v2 :: v_dual_mov_b32 v43, v3
.LBB252_92:
	s_or_b32 exec_lo, exec_lo, s19
	s_delay_alu instid0(VALU_DEP_2) | instskip(NEXT) | instid1(VALU_DEP_2)
	v_dual_mov_b32 v0, v40 :: v_dual_mov_b32 v1, v41
	v_dual_mov_b32 v2, v42 :: v_dual_mov_b32 v3, v43
	;; [unrolled: 1-line block ×4, first 2 shown]
	s_getpc_b64 s[20:21]
	s_add_u32 s20, s20, _ZZZZN2at6native31launch_logcumsumexp_cuda_kernelERKNS_10TensorBaseES3_lENKUlvE_clEvENKUlvE1_clEvENKUlN3c107complexIdEES8_E_clES8_S8_@rel32@lo+4
	s_addc_u32 s21, s21, _ZZZZN2at6native31launch_logcumsumexp_cuda_kernelERKNS_10TensorBaseES3_lENKUlvE_clEvENKUlvE1_clEvENKUlN3c107complexIdEES8_E_clES8_S8_@rel32@hi+12
	s_delay_alu instid0(SALU_CYCLE_1)
	s_swappc_b64 s[30:31], s[20:21]
	v_dual_mov_b32 v4, v88 :: v_dual_mov_b32 v5, v89
	v_dual_mov_b32 v6, v90 :: v_dual_mov_b32 v7, v91
	v_dual_mov_b32 v104, v0 :: v_dual_mov_b32 v105, v1
	v_dual_mov_b32 v106, v2 :: v_dual_mov_b32 v107, v3
	s_swappc_b64 s[30:31], s[20:21]
	v_dual_mov_b32 v4, v76 :: v_dual_mov_b32 v5, v77
	v_dual_mov_b32 v6, v78 :: v_dual_mov_b32 v7, v79
	v_dual_mov_b32 v108, v0 :: v_dual_mov_b32 v109, v1
	v_dual_mov_b32 v110, v2 :: v_dual_mov_b32 v111, v3
	;; [unrolled: 5-line block ×6, first 2 shown]
	s_swappc_b64 s[30:31], s[20:21]
	v_dual_mov_b32 v146, v2 :: v_dual_mov_b32 v147, v3
	v_mbcnt_lo_u32_b32 v166, -1, 0
	v_dual_mov_b32 v144, v0 :: v_dual_mov_b32 v145, v1
	s_delay_alu instid0(VALU_DEP_3) | instskip(NEXT) | instid1(VALU_DEP_3)
	v_mov_b32_dpp v6, v146 row_shr:1 row_mask:0xf bank_mask:0xf
	v_dual_mov_b32 v151, v147 :: v_dual_and_b32 v152, 15, v166
	s_delay_alu instid0(VALU_DEP_3) | instskip(NEXT) | instid1(VALU_DEP_4)
	v_dual_mov_b32 v150, v146 :: v_dual_mov_b32 v149, v145
	v_mov_b32_dpp v4, v144 row_shr:1 row_mask:0xf bank_mask:0xf
	v_mov_b32_dpp v5, v145 row_shr:1 row_mask:0xf bank_mask:0xf
	v_mov_b32_dpp v7, v147 row_shr:1 row_mask:0xf bank_mask:0xf
	v_mov_b32_e32 v148, v144
	s_mov_b32 s19, exec_lo
	v_cmpx_ne_u32_e32 0, v152
	s_cbranch_execz .LBB252_94
; %bb.93:
	v_dual_mov_b32 v0, v4 :: v_dual_mov_b32 v1, v5
	v_dual_mov_b32 v2, v6 :: v_dual_mov_b32 v3, v7
	;; [unrolled: 1-line block ×4, first 2 shown]
	s_swappc_b64 s[30:31], s[20:21]
	v_dual_mov_b32 v148, v0 :: v_dual_mov_b32 v149, v1
	v_dual_mov_b32 v150, v2 :: v_dual_mov_b32 v151, v3
.LBB252_94:
	s_or_b32 exec_lo, exec_lo, s19
	v_mov_b32_dpp v4, v0 row_shr:2 row_mask:0xf bank_mask:0xf
	v_mov_b32_dpp v5, v1 row_shr:2 row_mask:0xf bank_mask:0xf
	v_mov_b32_dpp v6, v2 row_shr:2 row_mask:0xf bank_mask:0xf
	v_mov_b32_dpp v7, v3 row_shr:2 row_mask:0xf bank_mask:0xf
	s_mov_b32 s19, exec_lo
	v_cmpx_lt_u32_e32 1, v152
	s_cbranch_execz .LBB252_96
; %bb.95:
	v_dual_mov_b32 v0, v4 :: v_dual_mov_b32 v1, v5
	v_dual_mov_b32 v2, v6 :: v_dual_mov_b32 v3, v7
	v_dual_mov_b32 v4, v148 :: v_dual_mov_b32 v5, v149
	v_dual_mov_b32 v6, v150 :: v_dual_mov_b32 v7, v151
	s_getpc_b64 s[0:1]
	s_add_u32 s0, s0, _ZZZZN2at6native31launch_logcumsumexp_cuda_kernelERKNS_10TensorBaseES3_lENKUlvE_clEvENKUlvE1_clEvENKUlN3c107complexIdEES8_E_clES8_S8_@rel32@lo+4
	s_addc_u32 s1, s1, _ZZZZN2at6native31launch_logcumsumexp_cuda_kernelERKNS_10TensorBaseES3_lENKUlvE_clEvENKUlvE1_clEvENKUlN3c107complexIdEES8_E_clES8_S8_@rel32@hi+12
	s_delay_alu instid0(SALU_CYCLE_1)
	s_swappc_b64 s[30:31], s[0:1]
	v_dual_mov_b32 v151, v3 :: v_dual_mov_b32 v150, v2
	v_dual_mov_b32 v149, v1 :: v_dual_mov_b32 v148, v0
.LBB252_96:
	s_or_b32 exec_lo, exec_lo, s19
	v_mov_b32_dpp v4, v0 row_shr:4 row_mask:0xf bank_mask:0xf
	v_mov_b32_dpp v5, v1 row_shr:4 row_mask:0xf bank_mask:0xf
	v_mov_b32_dpp v6, v2 row_shr:4 row_mask:0xf bank_mask:0xf
	v_mov_b32_dpp v7, v3 row_shr:4 row_mask:0xf bank_mask:0xf
	s_mov_b32 s19, exec_lo
	v_cmpx_lt_u32_e32 3, v152
	s_cbranch_execz .LBB252_98
; %bb.97:
	v_dual_mov_b32 v0, v4 :: v_dual_mov_b32 v1, v5
	v_dual_mov_b32 v2, v6 :: v_dual_mov_b32 v3, v7
	v_dual_mov_b32 v4, v148 :: v_dual_mov_b32 v5, v149
	v_dual_mov_b32 v6, v150 :: v_dual_mov_b32 v7, v151
	s_getpc_b64 s[0:1]
	s_add_u32 s0, s0, _ZZZZN2at6native31launch_logcumsumexp_cuda_kernelERKNS_10TensorBaseES3_lENKUlvE_clEvENKUlvE1_clEvENKUlN3c107complexIdEES8_E_clES8_S8_@rel32@lo+4
	s_addc_u32 s1, s1, _ZZZZN2at6native31launch_logcumsumexp_cuda_kernelERKNS_10TensorBaseES3_lENKUlvE_clEvENKUlvE1_clEvENKUlN3c107complexIdEES8_E_clES8_S8_@rel32@hi+12
	s_delay_alu instid0(SALU_CYCLE_1)
	s_swappc_b64 s[30:31], s[0:1]
	v_dual_mov_b32 v151, v3 :: v_dual_mov_b32 v150, v2
	v_dual_mov_b32 v149, v1 :: v_dual_mov_b32 v148, v0
.LBB252_98:
	s_or_b32 exec_lo, exec_lo, s19
	v_mov_b32_dpp v4, v0 row_shr:8 row_mask:0xf bank_mask:0xf
	v_mov_b32_dpp v5, v1 row_shr:8 row_mask:0xf bank_mask:0xf
	v_mov_b32_dpp v6, v2 row_shr:8 row_mask:0xf bank_mask:0xf
	v_mov_b32_dpp v7, v3 row_shr:8 row_mask:0xf bank_mask:0xf
	s_mov_b32 s19, exec_lo
	v_cmpx_lt_u32_e32 7, v152
	s_cbranch_execz .LBB252_100
; %bb.99:
	v_dual_mov_b32 v0, v4 :: v_dual_mov_b32 v1, v5
	v_dual_mov_b32 v2, v6 :: v_dual_mov_b32 v3, v7
	v_dual_mov_b32 v4, v148 :: v_dual_mov_b32 v5, v149
	v_dual_mov_b32 v6, v150 :: v_dual_mov_b32 v7, v151
	s_getpc_b64 s[0:1]
	s_add_u32 s0, s0, _ZZZZN2at6native31launch_logcumsumexp_cuda_kernelERKNS_10TensorBaseES3_lENKUlvE_clEvENKUlvE1_clEvENKUlN3c107complexIdEES8_E_clES8_S8_@rel32@lo+4
	s_addc_u32 s1, s1, _ZZZZN2at6native31launch_logcumsumexp_cuda_kernelERKNS_10TensorBaseES3_lENKUlvE_clEvENKUlvE1_clEvENKUlN3c107complexIdEES8_E_clES8_S8_@rel32@hi+12
	s_delay_alu instid0(SALU_CYCLE_1)
	s_swappc_b64 s[30:31], s[0:1]
	v_dual_mov_b32 v148, v0 :: v_dual_mov_b32 v149, v1
	v_dual_mov_b32 v150, v2 :: v_dual_mov_b32 v151, v3
.LBB252_100:
	s_or_b32 exec_lo, exec_lo, s19
	ds_swizzle_b32 v0, v0 offset:swizzle(BROADCAST,32,15)
	ds_swizzle_b32 v1, v1 offset:swizzle(BROADCAST,32,15)
	;; [unrolled: 1-line block ×4, first 2 shown]
	v_and_b32_e32 v4, 16, v166
	s_mov_b32 s19, exec_lo
	s_delay_alu instid0(VALU_DEP_1)
	v_cmpx_ne_u32_e32 0, v4
	s_cbranch_execz .LBB252_102
; %bb.101:
	v_dual_mov_b32 v4, v148 :: v_dual_mov_b32 v5, v149
	v_dual_mov_b32 v6, v150 :: v_dual_mov_b32 v7, v151
	s_getpc_b64 s[0:1]
	s_add_u32 s0, s0, _ZZZZN2at6native31launch_logcumsumexp_cuda_kernelERKNS_10TensorBaseES3_lENKUlvE_clEvENKUlvE1_clEvENKUlN3c107complexIdEES8_E_clES8_S8_@rel32@lo+4
	s_addc_u32 s1, s1, _ZZZZN2at6native31launch_logcumsumexp_cuda_kernelERKNS_10TensorBaseES3_lENKUlvE_clEvENKUlvE1_clEvENKUlN3c107complexIdEES8_E_clES8_S8_@rel32@hi+12
	s_delay_alu instid0(SALU_CYCLE_1)
	s_swappc_b64 s[30:31], s[0:1]
	v_dual_mov_b32 v148, v0 :: v_dual_mov_b32 v149, v1
	v_dual_mov_b32 v150, v2 :: v_dual_mov_b32 v151, v3
.LBB252_102:
	s_or_b32 exec_lo, exec_lo, s19
	s_waitcnt lgkmcnt(3)
	v_or_b32_e32 v0, 31, v156
	v_lshrrev_b32_e32 v167, 5, v156
	s_mov_b32 s0, exec_lo
	s_delay_alu instid0(VALU_DEP_2)
	v_cmpx_eq_u32_e64 v0, v156
	s_cbranch_execz .LBB252_104
; %bb.103:
	s_delay_alu instid0(VALU_DEP_2)
	v_lshlrev_b32_e32 v0, 4, v167
	ds_store_b128 v0, v[148:151]
.LBB252_104:
	s_or_b32 exec_lo, exec_lo, s0
	s_delay_alu instid0(SALU_CYCLE_1)
	s_mov_b32 s19, exec_lo
	s_waitcnt lgkmcnt(0)
	s_waitcnt_vscnt null, 0x0
	s_barrier
	buffer_gl0_inv
	v_cmpx_gt_u32_e32 8, v156
	s_cbranch_execz .LBB252_112
; %bb.105:
	ds_load_b128 v[4:7], v165
	v_and_b32_e32 v152, 7, v166
	s_mov_b32 s20, exec_lo
	s_waitcnt lgkmcnt(0)
	v_mov_b32_dpp v0, v4 row_shr:1 row_mask:0xf bank_mask:0xf
	v_mov_b32_dpp v1, v5 row_shr:1 row_mask:0xf bank_mask:0xf
	;; [unrolled: 1-line block ×4, first 2 shown]
	v_cmpx_ne_u32_e32 0, v152
	s_cbranch_execz .LBB252_107
; %bb.106:
	s_getpc_b64 s[0:1]
	s_add_u32 s0, s0, _ZZZZN2at6native31launch_logcumsumexp_cuda_kernelERKNS_10TensorBaseES3_lENKUlvE_clEvENKUlvE1_clEvENKUlN3c107complexIdEES8_E_clES8_S8_@rel32@lo+4
	s_addc_u32 s1, s1, _ZZZZN2at6native31launch_logcumsumexp_cuda_kernelERKNS_10TensorBaseES3_lENKUlvE_clEvENKUlvE1_clEvENKUlN3c107complexIdEES8_E_clES8_S8_@rel32@hi+12
	s_delay_alu instid0(SALU_CYCLE_1)
	s_swappc_b64 s[30:31], s[0:1]
	v_dual_mov_b32 v4, v0 :: v_dual_mov_b32 v5, v1
	v_dual_mov_b32 v6, v2 :: v_dual_mov_b32 v7, v3
.LBB252_107:
	s_or_b32 exec_lo, exec_lo, s20
	s_delay_alu instid0(VALU_DEP_2) | instskip(NEXT) | instid1(VALU_DEP_3)
	v_mov_b32_dpp v0, v4 row_shr:2 row_mask:0xf bank_mask:0xf
	v_mov_b32_dpp v1, v5 row_shr:2 row_mask:0xf bank_mask:0xf
	s_delay_alu instid0(VALU_DEP_3)
	v_mov_b32_dpp v2, v6 row_shr:2 row_mask:0xf bank_mask:0xf
	v_mov_b32_dpp v3, v7 row_shr:2 row_mask:0xf bank_mask:0xf
	s_mov_b32 s20, exec_lo
	v_cmpx_lt_u32_e32 1, v152
	s_cbranch_execz .LBB252_109
; %bb.108:
	s_getpc_b64 s[0:1]
	s_add_u32 s0, s0, _ZZZZN2at6native31launch_logcumsumexp_cuda_kernelERKNS_10TensorBaseES3_lENKUlvE_clEvENKUlvE1_clEvENKUlN3c107complexIdEES8_E_clES8_S8_@rel32@lo+4
	s_addc_u32 s1, s1, _ZZZZN2at6native31launch_logcumsumexp_cuda_kernelERKNS_10TensorBaseES3_lENKUlvE_clEvENKUlvE1_clEvENKUlN3c107complexIdEES8_E_clES8_S8_@rel32@hi+12
	s_delay_alu instid0(SALU_CYCLE_1)
	s_swappc_b64 s[30:31], s[0:1]
	v_dual_mov_b32 v4, v0 :: v_dual_mov_b32 v5, v1
	v_dual_mov_b32 v6, v2 :: v_dual_mov_b32 v7, v3
.LBB252_109:
	s_or_b32 exec_lo, exec_lo, s20
	s_delay_alu instid0(VALU_DEP_2) | instskip(NEXT) | instid1(VALU_DEP_3)
	v_mov_b32_dpp v0, v4 row_shr:4 row_mask:0xf bank_mask:0xf
	v_mov_b32_dpp v1, v5 row_shr:4 row_mask:0xf bank_mask:0xf
	s_delay_alu instid0(VALU_DEP_3)
	v_mov_b32_dpp v2, v6 row_shr:4 row_mask:0xf bank_mask:0xf
	v_mov_b32_dpp v3, v7 row_shr:4 row_mask:0xf bank_mask:0xf
	s_mov_b32 s20, exec_lo
	v_cmpx_lt_u32_e32 3, v152
	s_cbranch_execz .LBB252_111
; %bb.110:
	s_getpc_b64 s[0:1]
	s_add_u32 s0, s0, _ZZZZN2at6native31launch_logcumsumexp_cuda_kernelERKNS_10TensorBaseES3_lENKUlvE_clEvENKUlvE1_clEvENKUlN3c107complexIdEES8_E_clES8_S8_@rel32@lo+4
	s_addc_u32 s1, s1, _ZZZZN2at6native31launch_logcumsumexp_cuda_kernelERKNS_10TensorBaseES3_lENKUlvE_clEvENKUlvE1_clEvENKUlN3c107complexIdEES8_E_clES8_S8_@rel32@hi+12
	s_delay_alu instid0(SALU_CYCLE_1)
	s_swappc_b64 s[30:31], s[0:1]
	v_dual_mov_b32 v4, v0 :: v_dual_mov_b32 v5, v1
	v_dual_mov_b32 v6, v2 :: v_dual_mov_b32 v7, v3
.LBB252_111:
	s_or_b32 exec_lo, exec_lo, s20
	ds_store_b128 v165, v[4:7]
.LBB252_112:
	s_or_b32 exec_lo, exec_lo, s19
	v_mov_b32_e32 v154, 0
	v_mov_b32_e32 v155, 0
	s_delay_alu instid0(VALU_DEP_2)
	v_mov_b32_e32 v152, v154
	s_mov_b32 s19, exec_lo
	s_waitcnt lgkmcnt(0)
	s_waitcnt_vscnt null, 0x0
	s_barrier
	v_mov_b32_e32 v153, v155
	buffer_gl0_inv
	v_cmpx_lt_u32_e32 31, v156
	s_cbranch_execz .LBB252_114
; %bb.113:
	v_lshl_add_u32 v0, v167, 4, -16
	v_dual_mov_b32 v4, v148 :: v_dual_mov_b32 v5, v149
	s_getpc_b64 s[0:1]
	s_add_u32 s0, s0, _ZZZZN2at6native31launch_logcumsumexp_cuda_kernelERKNS_10TensorBaseES3_lENKUlvE_clEvENKUlvE1_clEvENKUlN3c107complexIdEES8_E_clES8_S8_@rel32@lo+4
	s_addc_u32 s1, s1, _ZZZZN2at6native31launch_logcumsumexp_cuda_kernelERKNS_10TensorBaseES3_lENKUlvE_clEvENKUlvE1_clEvENKUlN3c107complexIdEES8_E_clES8_S8_@rel32@hi+12
	v_mov_b32_e32 v7, v151
	ds_load_b128 v[152:155], v0
	s_waitcnt lgkmcnt(0)
	v_dual_mov_b32 v6, v150 :: v_dual_mov_b32 v1, v153
	v_dual_mov_b32 v0, v152 :: v_dual_mov_b32 v3, v155
	v_mov_b32_e32 v2, v154
	s_swappc_b64 s[30:31], s[0:1]
	s_delay_alu instid0(VALU_DEP_2) | instskip(NEXT) | instid1(VALU_DEP_2)
	v_dual_mov_b32 v148, v0 :: v_dual_mov_b32 v149, v1
	v_dual_mov_b32 v150, v2 :: v_dual_mov_b32 v151, v3
.LBB252_114:
	s_or_b32 exec_lo, exec_lo, s19
	v_add_nc_u32_e32 v0, -1, v166
	s_delay_alu instid0(VALU_DEP_1) | instskip(SKIP_1) | instid1(VALU_DEP_1)
	v_cmp_gt_i32_e32 vcc_lo, 0, v0
	v_cndmask_b32_e32 v0, v0, v166, vcc_lo
	v_lshlrev_b32_e32 v3, 2, v0
	ds_bpermute_b32 v0, v3, v148
	ds_bpermute_b32 v1, v3, v149
	;; [unrolled: 1-line block ×4, first 2 shown]
	s_and_saveexec_b32 s20, s18
	s_cbranch_execz .LBB252_116
; %bb.115:
	v_cmp_eq_u32_e32 vcc_lo, 0, v166
	v_dual_mov_b32 v4, v40 :: v_dual_mov_b32 v5, v41
	v_dual_mov_b32 v6, v42 :: v_dual_mov_b32 v7, v43
	s_waitcnt lgkmcnt(2)
	v_dual_cndmask_b32 v0, v0, v152 :: v_dual_cndmask_b32 v1, v1, v153
	s_waitcnt lgkmcnt(0)
	v_dual_cndmask_b32 v2, v2, v154 :: v_dual_cndmask_b32 v3, v3, v155
	s_getpc_b64 s[18:19]
	s_add_u32 s18, s18, _ZZZZN2at6native31launch_logcumsumexp_cuda_kernelERKNS_10TensorBaseES3_lENKUlvE_clEvENKUlvE1_clEvENKUlN3c107complexIdEES8_E_clES8_S8_@rel32@lo+4
	s_addc_u32 s19, s19, _ZZZZN2at6native31launch_logcumsumexp_cuda_kernelERKNS_10TensorBaseES3_lENKUlvE_clEvENKUlvE1_clEvENKUlN3c107complexIdEES8_E_clES8_S8_@rel32@hi+12
	s_delay_alu instid0(SALU_CYCLE_1)
	s_swappc_b64 s[30:31], s[18:19]
	v_dual_mov_b32 v4, v92 :: v_dual_mov_b32 v5, v93
	v_dual_mov_b32 v6, v94 :: v_dual_mov_b32 v7, v95
	;; [unrolled: 1-line block ×4, first 2 shown]
	;;#ASMSTART
	;;#ASMEND
	s_swappc_b64 s[30:31], s[18:19]
	v_dual_mov_b32 v4, v88 :: v_dual_mov_b32 v5, v89
	v_dual_mov_b32 v6, v90 :: v_dual_mov_b32 v7, v91
	v_dual_mov_b32 v104, v0 :: v_dual_mov_b32 v105, v1
	v_dual_mov_b32 v106, v2 :: v_dual_mov_b32 v107, v3
	s_swappc_b64 s[30:31], s[18:19]
	v_dual_mov_b32 v4, v76 :: v_dual_mov_b32 v5, v77
	v_dual_mov_b32 v6, v78 :: v_dual_mov_b32 v7, v79
	v_dual_mov_b32 v108, v0 :: v_dual_mov_b32 v109, v1
	v_dual_mov_b32 v110, v2 :: v_dual_mov_b32 v111, v3
	s_swappc_b64 s[30:31], s[18:19]
	v_dual_mov_b32 v4, v72 :: v_dual_mov_b32 v5, v73
	v_dual_mov_b32 v6, v74 :: v_dual_mov_b32 v7, v75
	v_dual_mov_b32 v120, v0 :: v_dual_mov_b32 v121, v1
	v_dual_mov_b32 v122, v2 :: v_dual_mov_b32 v123, v3
	s_swappc_b64 s[30:31], s[18:19]
	v_dual_mov_b32 v4, v60 :: v_dual_mov_b32 v5, v61
	v_dual_mov_b32 v6, v62 :: v_dual_mov_b32 v7, v63
	v_dual_mov_b32 v124, v0 :: v_dual_mov_b32 v125, v1
	v_dual_mov_b32 v126, v2 :: v_dual_mov_b32 v127, v3
	s_swappc_b64 s[30:31], s[18:19]
	v_dual_mov_b32 v4, v56 :: v_dual_mov_b32 v5, v57
	v_dual_mov_b32 v6, v58 :: v_dual_mov_b32 v7, v59
	v_dual_mov_b32 v136, v0 :: v_dual_mov_b32 v137, v1
	v_dual_mov_b32 v138, v2 :: v_dual_mov_b32 v139, v3
	s_swappc_b64 s[30:31], s[18:19]
	v_dual_mov_b32 v4, v44 :: v_dual_mov_b32 v5, v45
	v_dual_mov_b32 v6, v46 :: v_dual_mov_b32 v7, v47
	v_dual_mov_b32 v140, v0 :: v_dual_mov_b32 v141, v1
	v_dual_mov_b32 v142, v2 :: v_dual_mov_b32 v143, v3
	s_swappc_b64 s[30:31], s[18:19]
	v_dual_mov_b32 v144, v0 :: v_dual_mov_b32 v145, v1
	v_dual_mov_b32 v146, v2 :: v_dual_mov_b32 v147, v3
.LBB252_116:
	s_or_b32 exec_lo, exec_lo, s20
	s_delay_alu instid0(SALU_CYCLE_1)
	s_mov_b32 s0, exec_lo
	v_cmpx_eq_u32_e32 0xff, v156
	s_cbranch_execz .LBB252_118
; %bb.117:
	s_waitcnt lgkmcnt(2)
	v_dual_mov_b32 v0, 0 :: v_dual_mov_b32 v1, 2
	global_store_b128 v0, v[144:147], s[46:47] offset:512
	s_waitcnt lgkmcnt(0)
	s_waitcnt_vscnt null, 0x0
	buffer_gl1_inv
	buffer_gl0_inv
	global_store_b8 v0, v1, s[28:29] offset:32
.LBB252_118:
	s_or_b32 exec_lo, exec_lo, s0
	v_dual_mov_b32 v149, v41 :: v_dual_mov_b32 v148, v40
	v_dual_mov_b32 v151, v43 :: v_dual_mov_b32 v150, v42
.LBB252_119:
	s_add_u32 s0, s24, s22
	s_waitcnt lgkmcnt(2)
	v_lshlrev_b32_e32 v1, 7, v156
	v_lshrrev_b32_e32 v0, 5, v156
	s_addc_u32 s1, s25, s23
	s_add_u32 s0, s0, s26
	s_addc_u32 s1, s1, s27
	s_and_b32 vcc_lo, exec_lo, s17
	s_mov_b32 s2, -1
	s_waitcnt lgkmcnt(0)
	s_waitcnt_vscnt null, 0x0
	s_barrier
	buffer_gl0_inv
	s_cbranch_vccz .LBB252_121
; %bb.120:
	v_lshl_add_u32 v2, v157, 4, v1
	v_lshrrev_b32_e32 v10, 5, v163
	v_lshrrev_b32_e32 v11, 5, v162
	;; [unrolled: 1-line block ×4, first 2 shown]
	ds_store_b128 v2, v[148:151]
	ds_store_b128 v2, v[104:107] offset:16
	ds_store_b128 v2, v[108:111] offset:32
	;; [unrolled: 1-line block ×7, first 2 shown]
	v_lshrrev_b32_e32 v2, 5, v164
	v_lshrrev_b32_e32 v26, 5, v159
	v_add_lshl_u32 v3, v0, v156, 4
	v_add_lshl_u32 v10, v10, v156, 4
	v_lshrrev_b32_e32 v27, 5, v158
	v_add_lshl_u32 v6, v2, v156, 4
	v_add_lshl_u32 v14, v11, v156, 4
	;; [unrolled: 1-line block ×5, first 2 shown]
	s_waitcnt lgkmcnt(0)
	s_barrier
	buffer_gl0_inv
	ds_load_b128 v[2:5], v3
	ds_load_b128 v[6:9], v6 offset:4096
	ds_load_b128 v[10:13], v10 offset:8192
	;; [unrolled: 1-line block ×5, first 2 shown]
	v_add_lshl_u32 v30, v27, v156, 4
	v_add_co_u32 v38, s2, s0, v165
	ds_load_b128 v[26:29], v26 offset:24576
	ds_load_b128 v[30:33], v30 offset:28672
	v_add_co_ci_u32_e64 v39, null, s1, 0, s2
	v_add_co_u32 v34, vcc_lo, v38, 0x2000
	s_mov_b32 s2, 0
	s_delay_alu instid0(VALU_DEP_2)
	v_add_co_ci_u32_e32 v35, vcc_lo, 0, v39, vcc_lo
	v_add_co_u32 v36, vcc_lo, v38, 0x4000
	v_add_co_ci_u32_e32 v37, vcc_lo, 0, v39, vcc_lo
	s_waitcnt lgkmcnt(5)
	global_store_b128 v[34:35], v[10:13], off
	s_waitcnt lgkmcnt(4)
	global_store_b128 v[36:37], v[14:17], off offset:-4096
	v_add_co_u32 v10, vcc_lo, v38, 0x6000
	v_add_co_ci_u32_e32 v11, vcc_lo, 0, v39, vcc_lo
	v_add_co_u32 v12, vcc_lo, 0x7000, v38
	v_add_co_ci_u32_e32 v13, vcc_lo, 0, v39, vcc_lo
	s_waitcnt lgkmcnt(3)
	global_store_b128 v[36:37], v[18:21], off
	s_waitcnt lgkmcnt(2)
	s_clause 0x1
	global_store_b128 v[10:11], v[22:25], off offset:-4096
	global_store_b128 v165, v[2:5], s[0:1]
	s_waitcnt lgkmcnt(1)
	s_clause 0x1
	global_store_b128 v[10:11], v[26:29], off
	global_store_b128 v[34:35], v[6:9], off offset:-4096
	s_waitcnt lgkmcnt(0)
	global_store_b128 v[12:13], v[30:33], off
.LBB252_121:
	s_and_not1_b32 vcc_lo, exec_lo, s2
	s_cbranch_vccnz .LBB252_131
; %bb.122:
	v_lshrrev_b32_e32 v8, 5, v163
	v_lshl_add_u32 v1, v157, 4, v1
	v_lshrrev_b32_e32 v2, 5, v164
	v_lshrrev_b32_e32 v9, 5, v162
	;; [unrolled: 1-line block ×6, first 2 shown]
	v_add_lshl_u32 v0, v0, v156, 4
	v_add_lshl_u32 v8, v8, v156, 4
	ds_store_b128 v1, v[148:151]
	ds_store_b128 v1, v[104:107] offset:16
	ds_store_b128 v1, v[108:111] offset:32
	;; [unrolled: 1-line block ×7, first 2 shown]
	v_add_lshl_u32 v1, v2, v156, 4
	v_add_lshl_u32 v14, v9, v156, 4
	;; [unrolled: 1-line block ×6, first 2 shown]
	s_waitcnt lgkmcnt(0)
	s_waitcnt_vscnt null, 0x0
	s_barrier
	buffer_gl0_inv
	ds_load_b128 v[4:7], v0
	ds_load_b128 v[0:3], v1 offset:4096
	ds_load_b128 v[8:11], v8 offset:8192
	;; [unrolled: 1-line block ×7, first 2 shown]
	v_add_co_u32 v32, s0, s0, v165
	v_mov_b32_e32 v157, 0
	v_add_co_ci_u32_e64 v33, null, s1, 0, s0
	s_mov_b32 s0, exec_lo
	v_cmpx_gt_u32_e64 s33, v156
	s_cbranch_execnz .LBB252_132
; %bb.123:
	s_or_b32 exec_lo, exec_lo, s0
	s_delay_alu instid0(SALU_CYCLE_1)
	s_mov_b32 s0, exec_lo
	v_cmpx_gt_u32_e64 s33, v164
	s_cbranch_execnz .LBB252_133
.LBB252_124:
	s_or_b32 exec_lo, exec_lo, s0
	s_delay_alu instid0(SALU_CYCLE_1)
	s_mov_b32 s0, exec_lo
	v_cmpx_gt_u32_e64 s33, v163
	s_cbranch_execnz .LBB252_134
.LBB252_125:
	s_or_b32 exec_lo, exec_lo, s0
	s_delay_alu instid0(SALU_CYCLE_1)
	s_mov_b32 s0, exec_lo
	v_cmpx_gt_u32_e64 s33, v162
	s_cbranch_execnz .LBB252_135
.LBB252_126:
	s_or_b32 exec_lo, exec_lo, s0
	s_delay_alu instid0(SALU_CYCLE_1)
	s_mov_b32 s0, exec_lo
	v_cmpx_gt_u32_e64 s33, v161
	s_cbranch_execnz .LBB252_136
.LBB252_127:
	s_or_b32 exec_lo, exec_lo, s0
	s_delay_alu instid0(SALU_CYCLE_1)
	s_mov_b32 s0, exec_lo
	v_cmpx_gt_u32_e64 s33, v160
	s_cbranch_execnz .LBB252_137
.LBB252_128:
	s_or_b32 exec_lo, exec_lo, s0
	s_delay_alu instid0(SALU_CYCLE_1)
	s_mov_b32 s0, exec_lo
	v_cmpx_gt_u32_e64 s33, v159
	s_cbranch_execnz .LBB252_138
.LBB252_129:
	s_or_b32 exec_lo, exec_lo, s0
	s_delay_alu instid0(SALU_CYCLE_1)
	s_mov_b32 s0, exec_lo
	v_cmpx_gt_u32_e64 s33, v158
	s_cbranch_execnz .LBB252_139
.LBB252_130:
	s_or_b32 exec_lo, exec_lo, s0
	v_cmp_lt_u64_e64 s0, s[42:43], 2
	s_delay_alu instid0(VALU_DEP_1)
	s_and_b32 vcc_lo, exec_lo, s0
	s_cbranch_vccz .LBB252_140
.LBB252_131:
	s_nop 0
	s_sendmsg sendmsg(MSG_DEALLOC_VGPRS)
	s_endpgm
.LBB252_132:
	s_waitcnt lgkmcnt(7)
	global_store_b128 v[32:33], v[4:7], off
	s_or_b32 exec_lo, exec_lo, s0
	s_delay_alu instid0(SALU_CYCLE_1)
	s_mov_b32 s0, exec_lo
	v_cmpx_gt_u32_e64 s33, v164
	s_cbranch_execz .LBB252_124
.LBB252_133:
	v_add_co_u32 v34, vcc_lo, 0x1000, v32
	v_add_co_ci_u32_e32 v35, vcc_lo, 0, v33, vcc_lo
	s_waitcnt lgkmcnt(6)
	global_store_b128 v[34:35], v[0:3], off
	s_or_b32 exec_lo, exec_lo, s0
	s_delay_alu instid0(SALU_CYCLE_1)
	s_mov_b32 s0, exec_lo
	v_cmpx_gt_u32_e64 s33, v163
	s_cbranch_execz .LBB252_125
.LBB252_134:
	v_add_co_u32 v34, vcc_lo, 0x2000, v32
	v_add_co_ci_u32_e32 v35, vcc_lo, 0, v33, vcc_lo
	s_waitcnt lgkmcnt(5)
	global_store_b128 v[34:35], v[8:11], off
	s_or_b32 exec_lo, exec_lo, s0
	s_delay_alu instid0(SALU_CYCLE_1)
	s_mov_b32 s0, exec_lo
	v_cmpx_gt_u32_e64 s33, v162
	s_cbranch_execz .LBB252_126
.LBB252_135:
	v_add_co_u32 v34, vcc_lo, 0x3000, v32
	v_add_co_ci_u32_e32 v35, vcc_lo, 0, v33, vcc_lo
	s_waitcnt lgkmcnt(4)
	global_store_b128 v[34:35], v[12:15], off
	s_or_b32 exec_lo, exec_lo, s0
	s_delay_alu instid0(SALU_CYCLE_1)
	s_mov_b32 s0, exec_lo
	v_cmpx_gt_u32_e64 s33, v161
	s_cbranch_execz .LBB252_127
.LBB252_136:
	v_add_co_u32 v34, vcc_lo, 0x4000, v32
	v_add_co_ci_u32_e32 v35, vcc_lo, 0, v33, vcc_lo
	s_waitcnt lgkmcnt(3)
	global_store_b128 v[34:35], v[16:19], off
	s_or_b32 exec_lo, exec_lo, s0
	s_delay_alu instid0(SALU_CYCLE_1)
	s_mov_b32 s0, exec_lo
	v_cmpx_gt_u32_e64 s33, v160
	s_cbranch_execz .LBB252_128
.LBB252_137:
	v_add_co_u32 v34, vcc_lo, 0x5000, v32
	v_add_co_ci_u32_e32 v35, vcc_lo, 0, v33, vcc_lo
	s_waitcnt lgkmcnt(2)
	global_store_b128 v[34:35], v[20:23], off
	s_or_b32 exec_lo, exec_lo, s0
	s_delay_alu instid0(SALU_CYCLE_1)
	s_mov_b32 s0, exec_lo
	v_cmpx_gt_u32_e64 s33, v159
	s_cbranch_execz .LBB252_129
.LBB252_138:
	v_add_co_u32 v34, vcc_lo, 0x6000, v32
	v_add_co_ci_u32_e32 v35, vcc_lo, 0, v33, vcc_lo
	s_waitcnt lgkmcnt(1)
	global_store_b128 v[34:35], v[24:27], off
	s_or_b32 exec_lo, exec_lo, s0
	s_delay_alu instid0(SALU_CYCLE_1)
	s_mov_b32 s0, exec_lo
	v_cmpx_gt_u32_e64 s33, v158
	s_cbranch_execz .LBB252_130
.LBB252_139:
	v_add_co_u32 v32, vcc_lo, 0x7000, v32
	v_add_co_ci_u32_e32 v33, vcc_lo, 0, v33, vcc_lo
	s_waitcnt lgkmcnt(0)
	global_store_b128 v[32:33], v[28:31], off
	s_or_b32 exec_lo, exec_lo, s0
	v_cmp_lt_u64_e64 s0, s[42:43], 2
	s_delay_alu instid0(VALU_DEP_1)
	s_and_b32 vcc_lo, exec_lo, s0
	s_cbranch_vccnz .LBB252_131
.LBB252_140:
	s_add_u32 s0, s33, -1
	s_addc_u32 s1, s34, -1
	s_delay_alu instid0(SALU_CYCLE_1)
	s_lshr_b64 s[2:3], s[0:1], 3
	s_mov_b32 s1, exec_lo
	v_cmpx_eq_u64_e64 s[2:3], v[156:157]
	s_cbranch_execz .LBB252_131
; %bb.141:
	s_and_b32 s0, s0, 7
	s_mov_b32 s1, 0
	s_delay_alu instid0(SALU_CYCLE_1) | instskip(NEXT) | instid1(VALU_DEP_1)
	v_cmp_lt_i64_e64 s2, s[0:1], 4
	s_and_b32 vcc_lo, exec_lo, s2
	s_mov_b32 s2, -1
	s_cbranch_vccnz .LBB252_154
; %bb.142:
	v_cmp_lt_i64_e64 s2, s[0:1], 6
	s_delay_alu instid0(VALU_DEP_1)
	s_and_b32 vcc_lo, exec_lo, s2
	s_mov_b32 s2, -1
	s_cbranch_vccnz .LBB252_148
; %bb.143:
	v_cmp_gt_i64_e64 s2, s[0:1], 6
	s_delay_alu instid0(VALU_DEP_1)
	s_and_b32 vcc_lo, exec_lo, s2
	s_mov_b32 s2, -1
	s_cbranch_vccz .LBB252_145
; %bb.144:
	v_mov_b32_e32 v32, 0
	s_mov_b32 s2, 0
	s_waitcnt lgkmcnt(0)
	global_store_b128 v32, v[28:31], s[38:39]
.LBB252_145:
	s_and_not1_b32 vcc_lo, exec_lo, s2
	s_cbranch_vccnz .LBB252_147
; %bb.146:
	s_waitcnt lgkmcnt(0)
	v_mov_b32_e32 v28, 0
	global_store_b128 v28, v[24:27], s[38:39]
.LBB252_147:
	s_mov_b32 s2, 0
.LBB252_148:
	s_delay_alu instid0(SALU_CYCLE_1)
	s_and_not1_b32 vcc_lo, exec_lo, s2
	s_cbranch_vccnz .LBB252_153
; %bb.149:
	v_cmp_gt_i64_e64 s2, s[0:1], 4
	s_delay_alu instid0(VALU_DEP_1)
	s_and_b32 vcc_lo, exec_lo, s2
	s_mov_b32 s2, -1
	s_cbranch_vccz .LBB252_151
; %bb.150:
	s_waitcnt lgkmcnt(1)
	v_mov_b32_e32 v24, 0
	s_mov_b32 s2, 0
	global_store_b128 v24, v[20:23], s[38:39]
.LBB252_151:
	s_and_not1_b32 vcc_lo, exec_lo, s2
	s_cbranch_vccnz .LBB252_153
; %bb.152:
	s_waitcnt lgkmcnt(2)
	v_mov_b32_e32 v20, 0
	global_store_b128 v20, v[16:19], s[38:39]
.LBB252_153:
	s_mov_b32 s2, 0
.LBB252_154:
	s_delay_alu instid0(SALU_CYCLE_1)
	s_and_not1_b32 vcc_lo, exec_lo, s2
	s_cbranch_vccnz .LBB252_131
; %bb.155:
	v_cmp_lt_i64_e64 s2, s[0:1], 2
	s_delay_alu instid0(VALU_DEP_1)
	s_and_b32 vcc_lo, exec_lo, s2
	s_mov_b32 s2, -1
	s_cbranch_vccnz .LBB252_161
; %bb.156:
	v_cmp_gt_i64_e64 s2, s[0:1], 2
	s_delay_alu instid0(VALU_DEP_1)
	s_and_b32 vcc_lo, exec_lo, s2
	s_mov_b32 s2, -1
	s_cbranch_vccz .LBB252_158
; %bb.157:
	s_waitcnt lgkmcnt(3)
	v_mov_b32_e32 v16, 0
	s_mov_b32 s2, 0
	global_store_b128 v16, v[12:15], s[38:39]
.LBB252_158:
	s_and_not1_b32 vcc_lo, exec_lo, s2
	s_cbranch_vccnz .LBB252_160
; %bb.159:
	s_waitcnt lgkmcnt(4)
	v_mov_b32_e32 v12, 0
	global_store_b128 v12, v[8:11], s[38:39]
.LBB252_160:
	s_mov_b32 s2, 0
.LBB252_161:
	s_delay_alu instid0(SALU_CYCLE_1)
	s_and_not1_b32 vcc_lo, exec_lo, s2
	s_cbranch_vccnz .LBB252_131
; %bb.162:
	s_cmp_eq_u64 s[0:1], 1
	s_mov_b32 s0, -1
	s_cbranch_scc1 .LBB252_164
; %bb.163:
	s_waitcnt lgkmcnt(5)
	v_mov_b32_e32 v8, 0
	s_mov_b32 s0, 0
	global_store_b128 v8, v[4:7], s[38:39]
.LBB252_164:
	s_and_not1_b32 vcc_lo, exec_lo, s0
	s_cbranch_vccnz .LBB252_131
; %bb.165:
	s_waitcnt lgkmcnt(7)
	v_mov_b32_e32 v4, 0
	s_waitcnt lgkmcnt(6)
	global_store_b128 v4, v[0:3], s[38:39]
	s_nop 0
	s_sendmsg sendmsg(MSG_DEALLOC_VGPRS)
	s_endpgm
	.section	.rodata,"a",@progbits
	.p2align	6, 0x0
	.amdhsa_kernel _ZN7rocprim17ROCPRIM_400000_NS6detail17trampoline_kernelINS0_14default_configENS1_20scan_config_selectorIN3c107complexIdEEEEZZNS1_9scan_implILNS1_25lookback_scan_determinismE0ELb0ELb0ES3_PKS7_PS7_S7_ZZZN2at6native31launch_logcumsumexp_cuda_kernelERKNSE_10TensorBaseESI_lENKUlvE_clEvENKUlvE1_clEvEUlS7_S7_E_S7_EEDaPvRmT3_T4_T5_mT6_P12ihipStream_tbENKUlT_T0_E_clISt17integral_constantIbLb0EESY_IbLb1EEEEDaSU_SV_EUlSU_E_NS1_11comp_targetILNS1_3genE9ELNS1_11target_archE1100ELNS1_3gpuE3ELNS1_3repE0EEENS1_30default_config_static_selectorELNS0_4arch9wavefront6targetE0EEEvT1_
		.amdhsa_group_segment_fixed_size 33792
		.amdhsa_private_segment_fixed_size 0
		.amdhsa_kernarg_size 128
		.amdhsa_user_sgpr_count 15
		.amdhsa_user_sgpr_dispatch_ptr 0
		.amdhsa_user_sgpr_queue_ptr 0
		.amdhsa_user_sgpr_kernarg_segment_ptr 1
		.amdhsa_user_sgpr_dispatch_id 0
		.amdhsa_user_sgpr_private_segment_size 0
		.amdhsa_wavefront_size32 1
		.amdhsa_uses_dynamic_stack 0
		.amdhsa_enable_private_segment 0
		.amdhsa_system_sgpr_workgroup_id_x 1
		.amdhsa_system_sgpr_workgroup_id_y 0
		.amdhsa_system_sgpr_workgroup_id_z 0
		.amdhsa_system_sgpr_workgroup_info 0
		.amdhsa_system_vgpr_workitem_id 0
		.amdhsa_next_free_vgpr 168
		.amdhsa_next_free_sgpr 49
		.amdhsa_reserve_vcc 1
		.amdhsa_float_round_mode_32 0
		.amdhsa_float_round_mode_16_64 0
		.amdhsa_float_denorm_mode_32 3
		.amdhsa_float_denorm_mode_16_64 3
		.amdhsa_dx10_clamp 1
		.amdhsa_ieee_mode 1
		.amdhsa_fp16_overflow 0
		.amdhsa_workgroup_processor_mode 1
		.amdhsa_memory_ordered 1
		.amdhsa_forward_progress 0
		.amdhsa_shared_vgpr_count 0
		.amdhsa_exception_fp_ieee_invalid_op 0
		.amdhsa_exception_fp_denorm_src 0
		.amdhsa_exception_fp_ieee_div_zero 0
		.amdhsa_exception_fp_ieee_overflow 0
		.amdhsa_exception_fp_ieee_underflow 0
		.amdhsa_exception_fp_ieee_inexact 0
		.amdhsa_exception_int_div_zero 0
	.end_amdhsa_kernel
	.section	.text._ZN7rocprim17ROCPRIM_400000_NS6detail17trampoline_kernelINS0_14default_configENS1_20scan_config_selectorIN3c107complexIdEEEEZZNS1_9scan_implILNS1_25lookback_scan_determinismE0ELb0ELb0ES3_PKS7_PS7_S7_ZZZN2at6native31launch_logcumsumexp_cuda_kernelERKNSE_10TensorBaseESI_lENKUlvE_clEvENKUlvE1_clEvEUlS7_S7_E_S7_EEDaPvRmT3_T4_T5_mT6_P12ihipStream_tbENKUlT_T0_E_clISt17integral_constantIbLb0EESY_IbLb1EEEEDaSU_SV_EUlSU_E_NS1_11comp_targetILNS1_3genE9ELNS1_11target_archE1100ELNS1_3gpuE3ELNS1_3repE0EEENS1_30default_config_static_selectorELNS0_4arch9wavefront6targetE0EEEvT1_,"axG",@progbits,_ZN7rocprim17ROCPRIM_400000_NS6detail17trampoline_kernelINS0_14default_configENS1_20scan_config_selectorIN3c107complexIdEEEEZZNS1_9scan_implILNS1_25lookback_scan_determinismE0ELb0ELb0ES3_PKS7_PS7_S7_ZZZN2at6native31launch_logcumsumexp_cuda_kernelERKNSE_10TensorBaseESI_lENKUlvE_clEvENKUlvE1_clEvEUlS7_S7_E_S7_EEDaPvRmT3_T4_T5_mT6_P12ihipStream_tbENKUlT_T0_E_clISt17integral_constantIbLb0EESY_IbLb1EEEEDaSU_SV_EUlSU_E_NS1_11comp_targetILNS1_3genE9ELNS1_11target_archE1100ELNS1_3gpuE3ELNS1_3repE0EEENS1_30default_config_static_selectorELNS0_4arch9wavefront6targetE0EEEvT1_,comdat
.Lfunc_end252:
	.size	_ZN7rocprim17ROCPRIM_400000_NS6detail17trampoline_kernelINS0_14default_configENS1_20scan_config_selectorIN3c107complexIdEEEEZZNS1_9scan_implILNS1_25lookback_scan_determinismE0ELb0ELb0ES3_PKS7_PS7_S7_ZZZN2at6native31launch_logcumsumexp_cuda_kernelERKNSE_10TensorBaseESI_lENKUlvE_clEvENKUlvE1_clEvEUlS7_S7_E_S7_EEDaPvRmT3_T4_T5_mT6_P12ihipStream_tbENKUlT_T0_E_clISt17integral_constantIbLb0EESY_IbLb1EEEEDaSU_SV_EUlSU_E_NS1_11comp_targetILNS1_3genE9ELNS1_11target_archE1100ELNS1_3gpuE3ELNS1_3repE0EEENS1_30default_config_static_selectorELNS0_4arch9wavefront6targetE0EEEvT1_, .Lfunc_end252-_ZN7rocprim17ROCPRIM_400000_NS6detail17trampoline_kernelINS0_14default_configENS1_20scan_config_selectorIN3c107complexIdEEEEZZNS1_9scan_implILNS1_25lookback_scan_determinismE0ELb0ELb0ES3_PKS7_PS7_S7_ZZZN2at6native31launch_logcumsumexp_cuda_kernelERKNSE_10TensorBaseESI_lENKUlvE_clEvENKUlvE1_clEvEUlS7_S7_E_S7_EEDaPvRmT3_T4_T5_mT6_P12ihipStream_tbENKUlT_T0_E_clISt17integral_constantIbLb0EESY_IbLb1EEEEDaSU_SV_EUlSU_E_NS1_11comp_targetILNS1_3genE9ELNS1_11target_archE1100ELNS1_3gpuE3ELNS1_3repE0EEENS1_30default_config_static_selectorELNS0_4arch9wavefront6targetE0EEEvT1_
                                        ; -- End function
	.section	.AMDGPU.csdata,"",@progbits
; Kernel info:
; codeLenInByte = 9348
; NumSgprs: 51
; NumVgprs: 168
; ScratchSize: 0
; MemoryBound: 1
; FloatMode: 240
; IeeeMode: 1
; LDSByteSize: 33792 bytes/workgroup (compile time only)
; SGPRBlocks: 6
; VGPRBlocks: 20
; NumSGPRsForWavesPerEU: 51
; NumVGPRsForWavesPerEU: 168
; Occupancy: 6
; WaveLimiterHint : 0
; COMPUTE_PGM_RSRC2:SCRATCH_EN: 0
; COMPUTE_PGM_RSRC2:USER_SGPR: 15
; COMPUTE_PGM_RSRC2:TRAP_HANDLER: 0
; COMPUTE_PGM_RSRC2:TGID_X_EN: 1
; COMPUTE_PGM_RSRC2:TGID_Y_EN: 0
; COMPUTE_PGM_RSRC2:TGID_Z_EN: 0
; COMPUTE_PGM_RSRC2:TIDIG_COMP_CNT: 0
	.section	.text._ZN7rocprim17ROCPRIM_400000_NS6detail17trampoline_kernelINS0_14default_configENS1_20scan_config_selectorIN3c107complexIdEEEEZZNS1_9scan_implILNS1_25lookback_scan_determinismE0ELb0ELb0ES3_PKS7_PS7_S7_ZZZN2at6native31launch_logcumsumexp_cuda_kernelERKNSE_10TensorBaseESI_lENKUlvE_clEvENKUlvE1_clEvEUlS7_S7_E_S7_EEDaPvRmT3_T4_T5_mT6_P12ihipStream_tbENKUlT_T0_E_clISt17integral_constantIbLb0EESY_IbLb1EEEEDaSU_SV_EUlSU_E_NS1_11comp_targetILNS1_3genE8ELNS1_11target_archE1030ELNS1_3gpuE2ELNS1_3repE0EEENS1_30default_config_static_selectorELNS0_4arch9wavefront6targetE0EEEvT1_,"axG",@progbits,_ZN7rocprim17ROCPRIM_400000_NS6detail17trampoline_kernelINS0_14default_configENS1_20scan_config_selectorIN3c107complexIdEEEEZZNS1_9scan_implILNS1_25lookback_scan_determinismE0ELb0ELb0ES3_PKS7_PS7_S7_ZZZN2at6native31launch_logcumsumexp_cuda_kernelERKNSE_10TensorBaseESI_lENKUlvE_clEvENKUlvE1_clEvEUlS7_S7_E_S7_EEDaPvRmT3_T4_T5_mT6_P12ihipStream_tbENKUlT_T0_E_clISt17integral_constantIbLb0EESY_IbLb1EEEEDaSU_SV_EUlSU_E_NS1_11comp_targetILNS1_3genE8ELNS1_11target_archE1030ELNS1_3gpuE2ELNS1_3repE0EEENS1_30default_config_static_selectorELNS0_4arch9wavefront6targetE0EEEvT1_,comdat
	.globl	_ZN7rocprim17ROCPRIM_400000_NS6detail17trampoline_kernelINS0_14default_configENS1_20scan_config_selectorIN3c107complexIdEEEEZZNS1_9scan_implILNS1_25lookback_scan_determinismE0ELb0ELb0ES3_PKS7_PS7_S7_ZZZN2at6native31launch_logcumsumexp_cuda_kernelERKNSE_10TensorBaseESI_lENKUlvE_clEvENKUlvE1_clEvEUlS7_S7_E_S7_EEDaPvRmT3_T4_T5_mT6_P12ihipStream_tbENKUlT_T0_E_clISt17integral_constantIbLb0EESY_IbLb1EEEEDaSU_SV_EUlSU_E_NS1_11comp_targetILNS1_3genE8ELNS1_11target_archE1030ELNS1_3gpuE2ELNS1_3repE0EEENS1_30default_config_static_selectorELNS0_4arch9wavefront6targetE0EEEvT1_ ; -- Begin function _ZN7rocprim17ROCPRIM_400000_NS6detail17trampoline_kernelINS0_14default_configENS1_20scan_config_selectorIN3c107complexIdEEEEZZNS1_9scan_implILNS1_25lookback_scan_determinismE0ELb0ELb0ES3_PKS7_PS7_S7_ZZZN2at6native31launch_logcumsumexp_cuda_kernelERKNSE_10TensorBaseESI_lENKUlvE_clEvENKUlvE1_clEvEUlS7_S7_E_S7_EEDaPvRmT3_T4_T5_mT6_P12ihipStream_tbENKUlT_T0_E_clISt17integral_constantIbLb0EESY_IbLb1EEEEDaSU_SV_EUlSU_E_NS1_11comp_targetILNS1_3genE8ELNS1_11target_archE1030ELNS1_3gpuE2ELNS1_3repE0EEENS1_30default_config_static_selectorELNS0_4arch9wavefront6targetE0EEEvT1_
	.p2align	8
	.type	_ZN7rocprim17ROCPRIM_400000_NS6detail17trampoline_kernelINS0_14default_configENS1_20scan_config_selectorIN3c107complexIdEEEEZZNS1_9scan_implILNS1_25lookback_scan_determinismE0ELb0ELb0ES3_PKS7_PS7_S7_ZZZN2at6native31launch_logcumsumexp_cuda_kernelERKNSE_10TensorBaseESI_lENKUlvE_clEvENKUlvE1_clEvEUlS7_S7_E_S7_EEDaPvRmT3_T4_T5_mT6_P12ihipStream_tbENKUlT_T0_E_clISt17integral_constantIbLb0EESY_IbLb1EEEEDaSU_SV_EUlSU_E_NS1_11comp_targetILNS1_3genE8ELNS1_11target_archE1030ELNS1_3gpuE2ELNS1_3repE0EEENS1_30default_config_static_selectorELNS0_4arch9wavefront6targetE0EEEvT1_,@function
_ZN7rocprim17ROCPRIM_400000_NS6detail17trampoline_kernelINS0_14default_configENS1_20scan_config_selectorIN3c107complexIdEEEEZZNS1_9scan_implILNS1_25lookback_scan_determinismE0ELb0ELb0ES3_PKS7_PS7_S7_ZZZN2at6native31launch_logcumsumexp_cuda_kernelERKNSE_10TensorBaseESI_lENKUlvE_clEvENKUlvE1_clEvEUlS7_S7_E_S7_EEDaPvRmT3_T4_T5_mT6_P12ihipStream_tbENKUlT_T0_E_clISt17integral_constantIbLb0EESY_IbLb1EEEEDaSU_SV_EUlSU_E_NS1_11comp_targetILNS1_3genE8ELNS1_11target_archE1030ELNS1_3gpuE2ELNS1_3repE0EEENS1_30default_config_static_selectorELNS0_4arch9wavefront6targetE0EEEvT1_: ; @_ZN7rocprim17ROCPRIM_400000_NS6detail17trampoline_kernelINS0_14default_configENS1_20scan_config_selectorIN3c107complexIdEEEEZZNS1_9scan_implILNS1_25lookback_scan_determinismE0ELb0ELb0ES3_PKS7_PS7_S7_ZZZN2at6native31launch_logcumsumexp_cuda_kernelERKNSE_10TensorBaseESI_lENKUlvE_clEvENKUlvE1_clEvEUlS7_S7_E_S7_EEDaPvRmT3_T4_T5_mT6_P12ihipStream_tbENKUlT_T0_E_clISt17integral_constantIbLb0EESY_IbLb1EEEEDaSU_SV_EUlSU_E_NS1_11comp_targetILNS1_3genE8ELNS1_11target_archE1030ELNS1_3gpuE2ELNS1_3repE0EEENS1_30default_config_static_selectorELNS0_4arch9wavefront6targetE0EEEvT1_
; %bb.0:
	.section	.rodata,"a",@progbits
	.p2align	6, 0x0
	.amdhsa_kernel _ZN7rocprim17ROCPRIM_400000_NS6detail17trampoline_kernelINS0_14default_configENS1_20scan_config_selectorIN3c107complexIdEEEEZZNS1_9scan_implILNS1_25lookback_scan_determinismE0ELb0ELb0ES3_PKS7_PS7_S7_ZZZN2at6native31launch_logcumsumexp_cuda_kernelERKNSE_10TensorBaseESI_lENKUlvE_clEvENKUlvE1_clEvEUlS7_S7_E_S7_EEDaPvRmT3_T4_T5_mT6_P12ihipStream_tbENKUlT_T0_E_clISt17integral_constantIbLb0EESY_IbLb1EEEEDaSU_SV_EUlSU_E_NS1_11comp_targetILNS1_3genE8ELNS1_11target_archE1030ELNS1_3gpuE2ELNS1_3repE0EEENS1_30default_config_static_selectorELNS0_4arch9wavefront6targetE0EEEvT1_
		.amdhsa_group_segment_fixed_size 0
		.amdhsa_private_segment_fixed_size 0
		.amdhsa_kernarg_size 128
		.amdhsa_user_sgpr_count 15
		.amdhsa_user_sgpr_dispatch_ptr 0
		.amdhsa_user_sgpr_queue_ptr 0
		.amdhsa_user_sgpr_kernarg_segment_ptr 1
		.amdhsa_user_sgpr_dispatch_id 0
		.amdhsa_user_sgpr_private_segment_size 0
		.amdhsa_wavefront_size32 1
		.amdhsa_uses_dynamic_stack 0
		.amdhsa_enable_private_segment 0
		.amdhsa_system_sgpr_workgroup_id_x 1
		.amdhsa_system_sgpr_workgroup_id_y 0
		.amdhsa_system_sgpr_workgroup_id_z 0
		.amdhsa_system_sgpr_workgroup_info 0
		.amdhsa_system_vgpr_workitem_id 0
		.amdhsa_next_free_vgpr 1
		.amdhsa_next_free_sgpr 1
		.amdhsa_reserve_vcc 0
		.amdhsa_float_round_mode_32 0
		.amdhsa_float_round_mode_16_64 0
		.amdhsa_float_denorm_mode_32 3
		.amdhsa_float_denorm_mode_16_64 3
		.amdhsa_dx10_clamp 1
		.amdhsa_ieee_mode 1
		.amdhsa_fp16_overflow 0
		.amdhsa_workgroup_processor_mode 1
		.amdhsa_memory_ordered 1
		.amdhsa_forward_progress 0
		.amdhsa_shared_vgpr_count 0
		.amdhsa_exception_fp_ieee_invalid_op 0
		.amdhsa_exception_fp_denorm_src 0
		.amdhsa_exception_fp_ieee_div_zero 0
		.amdhsa_exception_fp_ieee_overflow 0
		.amdhsa_exception_fp_ieee_underflow 0
		.amdhsa_exception_fp_ieee_inexact 0
		.amdhsa_exception_int_div_zero 0
	.end_amdhsa_kernel
	.section	.text._ZN7rocprim17ROCPRIM_400000_NS6detail17trampoline_kernelINS0_14default_configENS1_20scan_config_selectorIN3c107complexIdEEEEZZNS1_9scan_implILNS1_25lookback_scan_determinismE0ELb0ELb0ES3_PKS7_PS7_S7_ZZZN2at6native31launch_logcumsumexp_cuda_kernelERKNSE_10TensorBaseESI_lENKUlvE_clEvENKUlvE1_clEvEUlS7_S7_E_S7_EEDaPvRmT3_T4_T5_mT6_P12ihipStream_tbENKUlT_T0_E_clISt17integral_constantIbLb0EESY_IbLb1EEEEDaSU_SV_EUlSU_E_NS1_11comp_targetILNS1_3genE8ELNS1_11target_archE1030ELNS1_3gpuE2ELNS1_3repE0EEENS1_30default_config_static_selectorELNS0_4arch9wavefront6targetE0EEEvT1_,"axG",@progbits,_ZN7rocprim17ROCPRIM_400000_NS6detail17trampoline_kernelINS0_14default_configENS1_20scan_config_selectorIN3c107complexIdEEEEZZNS1_9scan_implILNS1_25lookback_scan_determinismE0ELb0ELb0ES3_PKS7_PS7_S7_ZZZN2at6native31launch_logcumsumexp_cuda_kernelERKNSE_10TensorBaseESI_lENKUlvE_clEvENKUlvE1_clEvEUlS7_S7_E_S7_EEDaPvRmT3_T4_T5_mT6_P12ihipStream_tbENKUlT_T0_E_clISt17integral_constantIbLb0EESY_IbLb1EEEEDaSU_SV_EUlSU_E_NS1_11comp_targetILNS1_3genE8ELNS1_11target_archE1030ELNS1_3gpuE2ELNS1_3repE0EEENS1_30default_config_static_selectorELNS0_4arch9wavefront6targetE0EEEvT1_,comdat
.Lfunc_end253:
	.size	_ZN7rocprim17ROCPRIM_400000_NS6detail17trampoline_kernelINS0_14default_configENS1_20scan_config_selectorIN3c107complexIdEEEEZZNS1_9scan_implILNS1_25lookback_scan_determinismE0ELb0ELb0ES3_PKS7_PS7_S7_ZZZN2at6native31launch_logcumsumexp_cuda_kernelERKNSE_10TensorBaseESI_lENKUlvE_clEvENKUlvE1_clEvEUlS7_S7_E_S7_EEDaPvRmT3_T4_T5_mT6_P12ihipStream_tbENKUlT_T0_E_clISt17integral_constantIbLb0EESY_IbLb1EEEEDaSU_SV_EUlSU_E_NS1_11comp_targetILNS1_3genE8ELNS1_11target_archE1030ELNS1_3gpuE2ELNS1_3repE0EEENS1_30default_config_static_selectorELNS0_4arch9wavefront6targetE0EEEvT1_, .Lfunc_end253-_ZN7rocprim17ROCPRIM_400000_NS6detail17trampoline_kernelINS0_14default_configENS1_20scan_config_selectorIN3c107complexIdEEEEZZNS1_9scan_implILNS1_25lookback_scan_determinismE0ELb0ELb0ES3_PKS7_PS7_S7_ZZZN2at6native31launch_logcumsumexp_cuda_kernelERKNSE_10TensorBaseESI_lENKUlvE_clEvENKUlvE1_clEvEUlS7_S7_E_S7_EEDaPvRmT3_T4_T5_mT6_P12ihipStream_tbENKUlT_T0_E_clISt17integral_constantIbLb0EESY_IbLb1EEEEDaSU_SV_EUlSU_E_NS1_11comp_targetILNS1_3genE8ELNS1_11target_archE1030ELNS1_3gpuE2ELNS1_3repE0EEENS1_30default_config_static_selectorELNS0_4arch9wavefront6targetE0EEEvT1_
                                        ; -- End function
	.section	.AMDGPU.csdata,"",@progbits
; Kernel info:
; codeLenInByte = 0
; NumSgprs: 0
; NumVgprs: 0
; ScratchSize: 0
; MemoryBound: 0
; FloatMode: 240
; IeeeMode: 1
; LDSByteSize: 0 bytes/workgroup (compile time only)
; SGPRBlocks: 0
; VGPRBlocks: 0
; NumSGPRsForWavesPerEU: 1
; NumVGPRsForWavesPerEU: 1
; Occupancy: 16
; WaveLimiterHint : 0
; COMPUTE_PGM_RSRC2:SCRATCH_EN: 0
; COMPUTE_PGM_RSRC2:USER_SGPR: 15
; COMPUTE_PGM_RSRC2:TRAP_HANDLER: 0
; COMPUTE_PGM_RSRC2:TGID_X_EN: 1
; COMPUTE_PGM_RSRC2:TGID_Y_EN: 0
; COMPUTE_PGM_RSRC2:TGID_Z_EN: 0
; COMPUTE_PGM_RSRC2:TIDIG_COMP_CNT: 0
	.section	.text._ZN7rocprim17ROCPRIM_400000_NS6detail17trampoline_kernelINS0_14default_configENS1_20scan_config_selectorIN3c107complexIdEEEEZZNS1_9scan_implILNS1_25lookback_scan_determinismE0ELb0ELb0ES3_PKS7_PS7_S7_ZZZN2at6native31launch_logcumsumexp_cuda_kernelERKNSE_10TensorBaseESI_lENKUlvE_clEvENKUlvE1_clEvEUlS7_S7_E_S7_EEDaPvRmT3_T4_T5_mT6_P12ihipStream_tbENKUlT_T0_E_clISt17integral_constantIbLb0EESY_IbLb1EEEEDaSU_SV_EUlSU_E0_NS1_11comp_targetILNS1_3genE0ELNS1_11target_archE4294967295ELNS1_3gpuE0ELNS1_3repE0EEENS1_30default_config_static_selectorELNS0_4arch9wavefront6targetE0EEEvT1_,"axG",@progbits,_ZN7rocprim17ROCPRIM_400000_NS6detail17trampoline_kernelINS0_14default_configENS1_20scan_config_selectorIN3c107complexIdEEEEZZNS1_9scan_implILNS1_25lookback_scan_determinismE0ELb0ELb0ES3_PKS7_PS7_S7_ZZZN2at6native31launch_logcumsumexp_cuda_kernelERKNSE_10TensorBaseESI_lENKUlvE_clEvENKUlvE1_clEvEUlS7_S7_E_S7_EEDaPvRmT3_T4_T5_mT6_P12ihipStream_tbENKUlT_T0_E_clISt17integral_constantIbLb0EESY_IbLb1EEEEDaSU_SV_EUlSU_E0_NS1_11comp_targetILNS1_3genE0ELNS1_11target_archE4294967295ELNS1_3gpuE0ELNS1_3repE0EEENS1_30default_config_static_selectorELNS0_4arch9wavefront6targetE0EEEvT1_,comdat
	.globl	_ZN7rocprim17ROCPRIM_400000_NS6detail17trampoline_kernelINS0_14default_configENS1_20scan_config_selectorIN3c107complexIdEEEEZZNS1_9scan_implILNS1_25lookback_scan_determinismE0ELb0ELb0ES3_PKS7_PS7_S7_ZZZN2at6native31launch_logcumsumexp_cuda_kernelERKNSE_10TensorBaseESI_lENKUlvE_clEvENKUlvE1_clEvEUlS7_S7_E_S7_EEDaPvRmT3_T4_T5_mT6_P12ihipStream_tbENKUlT_T0_E_clISt17integral_constantIbLb0EESY_IbLb1EEEEDaSU_SV_EUlSU_E0_NS1_11comp_targetILNS1_3genE0ELNS1_11target_archE4294967295ELNS1_3gpuE0ELNS1_3repE0EEENS1_30default_config_static_selectorELNS0_4arch9wavefront6targetE0EEEvT1_ ; -- Begin function _ZN7rocprim17ROCPRIM_400000_NS6detail17trampoline_kernelINS0_14default_configENS1_20scan_config_selectorIN3c107complexIdEEEEZZNS1_9scan_implILNS1_25lookback_scan_determinismE0ELb0ELb0ES3_PKS7_PS7_S7_ZZZN2at6native31launch_logcumsumexp_cuda_kernelERKNSE_10TensorBaseESI_lENKUlvE_clEvENKUlvE1_clEvEUlS7_S7_E_S7_EEDaPvRmT3_T4_T5_mT6_P12ihipStream_tbENKUlT_T0_E_clISt17integral_constantIbLb0EESY_IbLb1EEEEDaSU_SV_EUlSU_E0_NS1_11comp_targetILNS1_3genE0ELNS1_11target_archE4294967295ELNS1_3gpuE0ELNS1_3repE0EEENS1_30default_config_static_selectorELNS0_4arch9wavefront6targetE0EEEvT1_
	.p2align	8
	.type	_ZN7rocprim17ROCPRIM_400000_NS6detail17trampoline_kernelINS0_14default_configENS1_20scan_config_selectorIN3c107complexIdEEEEZZNS1_9scan_implILNS1_25lookback_scan_determinismE0ELb0ELb0ES3_PKS7_PS7_S7_ZZZN2at6native31launch_logcumsumexp_cuda_kernelERKNSE_10TensorBaseESI_lENKUlvE_clEvENKUlvE1_clEvEUlS7_S7_E_S7_EEDaPvRmT3_T4_T5_mT6_P12ihipStream_tbENKUlT_T0_E_clISt17integral_constantIbLb0EESY_IbLb1EEEEDaSU_SV_EUlSU_E0_NS1_11comp_targetILNS1_3genE0ELNS1_11target_archE4294967295ELNS1_3gpuE0ELNS1_3repE0EEENS1_30default_config_static_selectorELNS0_4arch9wavefront6targetE0EEEvT1_,@function
_ZN7rocprim17ROCPRIM_400000_NS6detail17trampoline_kernelINS0_14default_configENS1_20scan_config_selectorIN3c107complexIdEEEEZZNS1_9scan_implILNS1_25lookback_scan_determinismE0ELb0ELb0ES3_PKS7_PS7_S7_ZZZN2at6native31launch_logcumsumexp_cuda_kernelERKNSE_10TensorBaseESI_lENKUlvE_clEvENKUlvE1_clEvEUlS7_S7_E_S7_EEDaPvRmT3_T4_T5_mT6_P12ihipStream_tbENKUlT_T0_E_clISt17integral_constantIbLb0EESY_IbLb1EEEEDaSU_SV_EUlSU_E0_NS1_11comp_targetILNS1_3genE0ELNS1_11target_archE4294967295ELNS1_3gpuE0ELNS1_3repE0EEENS1_30default_config_static_selectorELNS0_4arch9wavefront6targetE0EEEvT1_: ; @_ZN7rocprim17ROCPRIM_400000_NS6detail17trampoline_kernelINS0_14default_configENS1_20scan_config_selectorIN3c107complexIdEEEEZZNS1_9scan_implILNS1_25lookback_scan_determinismE0ELb0ELb0ES3_PKS7_PS7_S7_ZZZN2at6native31launch_logcumsumexp_cuda_kernelERKNSE_10TensorBaseESI_lENKUlvE_clEvENKUlvE1_clEvEUlS7_S7_E_S7_EEDaPvRmT3_T4_T5_mT6_P12ihipStream_tbENKUlT_T0_E_clISt17integral_constantIbLb0EESY_IbLb1EEEEDaSU_SV_EUlSU_E0_NS1_11comp_targetILNS1_3genE0ELNS1_11target_archE4294967295ELNS1_3gpuE0ELNS1_3repE0EEENS1_30default_config_static_selectorELNS0_4arch9wavefront6targetE0EEEvT1_
; %bb.0:
	.section	.rodata,"a",@progbits
	.p2align	6, 0x0
	.amdhsa_kernel _ZN7rocprim17ROCPRIM_400000_NS6detail17trampoline_kernelINS0_14default_configENS1_20scan_config_selectorIN3c107complexIdEEEEZZNS1_9scan_implILNS1_25lookback_scan_determinismE0ELb0ELb0ES3_PKS7_PS7_S7_ZZZN2at6native31launch_logcumsumexp_cuda_kernelERKNSE_10TensorBaseESI_lENKUlvE_clEvENKUlvE1_clEvEUlS7_S7_E_S7_EEDaPvRmT3_T4_T5_mT6_P12ihipStream_tbENKUlT_T0_E_clISt17integral_constantIbLb0EESY_IbLb1EEEEDaSU_SV_EUlSU_E0_NS1_11comp_targetILNS1_3genE0ELNS1_11target_archE4294967295ELNS1_3gpuE0ELNS1_3repE0EEENS1_30default_config_static_selectorELNS0_4arch9wavefront6targetE0EEEvT1_
		.amdhsa_group_segment_fixed_size 0
		.amdhsa_private_segment_fixed_size 0
		.amdhsa_kernarg_size 48
		.amdhsa_user_sgpr_count 15
		.amdhsa_user_sgpr_dispatch_ptr 0
		.amdhsa_user_sgpr_queue_ptr 0
		.amdhsa_user_sgpr_kernarg_segment_ptr 1
		.amdhsa_user_sgpr_dispatch_id 0
		.amdhsa_user_sgpr_private_segment_size 0
		.amdhsa_wavefront_size32 1
		.amdhsa_uses_dynamic_stack 0
		.amdhsa_enable_private_segment 0
		.amdhsa_system_sgpr_workgroup_id_x 1
		.amdhsa_system_sgpr_workgroup_id_y 0
		.amdhsa_system_sgpr_workgroup_id_z 0
		.amdhsa_system_sgpr_workgroup_info 0
		.amdhsa_system_vgpr_workitem_id 0
		.amdhsa_next_free_vgpr 1
		.amdhsa_next_free_sgpr 1
		.amdhsa_reserve_vcc 0
		.amdhsa_float_round_mode_32 0
		.amdhsa_float_round_mode_16_64 0
		.amdhsa_float_denorm_mode_32 3
		.amdhsa_float_denorm_mode_16_64 3
		.amdhsa_dx10_clamp 1
		.amdhsa_ieee_mode 1
		.amdhsa_fp16_overflow 0
		.amdhsa_workgroup_processor_mode 1
		.amdhsa_memory_ordered 1
		.amdhsa_forward_progress 0
		.amdhsa_shared_vgpr_count 0
		.amdhsa_exception_fp_ieee_invalid_op 0
		.amdhsa_exception_fp_denorm_src 0
		.amdhsa_exception_fp_ieee_div_zero 0
		.amdhsa_exception_fp_ieee_overflow 0
		.amdhsa_exception_fp_ieee_underflow 0
		.amdhsa_exception_fp_ieee_inexact 0
		.amdhsa_exception_int_div_zero 0
	.end_amdhsa_kernel
	.section	.text._ZN7rocprim17ROCPRIM_400000_NS6detail17trampoline_kernelINS0_14default_configENS1_20scan_config_selectorIN3c107complexIdEEEEZZNS1_9scan_implILNS1_25lookback_scan_determinismE0ELb0ELb0ES3_PKS7_PS7_S7_ZZZN2at6native31launch_logcumsumexp_cuda_kernelERKNSE_10TensorBaseESI_lENKUlvE_clEvENKUlvE1_clEvEUlS7_S7_E_S7_EEDaPvRmT3_T4_T5_mT6_P12ihipStream_tbENKUlT_T0_E_clISt17integral_constantIbLb0EESY_IbLb1EEEEDaSU_SV_EUlSU_E0_NS1_11comp_targetILNS1_3genE0ELNS1_11target_archE4294967295ELNS1_3gpuE0ELNS1_3repE0EEENS1_30default_config_static_selectorELNS0_4arch9wavefront6targetE0EEEvT1_,"axG",@progbits,_ZN7rocprim17ROCPRIM_400000_NS6detail17trampoline_kernelINS0_14default_configENS1_20scan_config_selectorIN3c107complexIdEEEEZZNS1_9scan_implILNS1_25lookback_scan_determinismE0ELb0ELb0ES3_PKS7_PS7_S7_ZZZN2at6native31launch_logcumsumexp_cuda_kernelERKNSE_10TensorBaseESI_lENKUlvE_clEvENKUlvE1_clEvEUlS7_S7_E_S7_EEDaPvRmT3_T4_T5_mT6_P12ihipStream_tbENKUlT_T0_E_clISt17integral_constantIbLb0EESY_IbLb1EEEEDaSU_SV_EUlSU_E0_NS1_11comp_targetILNS1_3genE0ELNS1_11target_archE4294967295ELNS1_3gpuE0ELNS1_3repE0EEENS1_30default_config_static_selectorELNS0_4arch9wavefront6targetE0EEEvT1_,comdat
.Lfunc_end254:
	.size	_ZN7rocprim17ROCPRIM_400000_NS6detail17trampoline_kernelINS0_14default_configENS1_20scan_config_selectorIN3c107complexIdEEEEZZNS1_9scan_implILNS1_25lookback_scan_determinismE0ELb0ELb0ES3_PKS7_PS7_S7_ZZZN2at6native31launch_logcumsumexp_cuda_kernelERKNSE_10TensorBaseESI_lENKUlvE_clEvENKUlvE1_clEvEUlS7_S7_E_S7_EEDaPvRmT3_T4_T5_mT6_P12ihipStream_tbENKUlT_T0_E_clISt17integral_constantIbLb0EESY_IbLb1EEEEDaSU_SV_EUlSU_E0_NS1_11comp_targetILNS1_3genE0ELNS1_11target_archE4294967295ELNS1_3gpuE0ELNS1_3repE0EEENS1_30default_config_static_selectorELNS0_4arch9wavefront6targetE0EEEvT1_, .Lfunc_end254-_ZN7rocprim17ROCPRIM_400000_NS6detail17trampoline_kernelINS0_14default_configENS1_20scan_config_selectorIN3c107complexIdEEEEZZNS1_9scan_implILNS1_25lookback_scan_determinismE0ELb0ELb0ES3_PKS7_PS7_S7_ZZZN2at6native31launch_logcumsumexp_cuda_kernelERKNSE_10TensorBaseESI_lENKUlvE_clEvENKUlvE1_clEvEUlS7_S7_E_S7_EEDaPvRmT3_T4_T5_mT6_P12ihipStream_tbENKUlT_T0_E_clISt17integral_constantIbLb0EESY_IbLb1EEEEDaSU_SV_EUlSU_E0_NS1_11comp_targetILNS1_3genE0ELNS1_11target_archE4294967295ELNS1_3gpuE0ELNS1_3repE0EEENS1_30default_config_static_selectorELNS0_4arch9wavefront6targetE0EEEvT1_
                                        ; -- End function
	.section	.AMDGPU.csdata,"",@progbits
; Kernel info:
; codeLenInByte = 0
; NumSgprs: 0
; NumVgprs: 0
; ScratchSize: 0
; MemoryBound: 0
; FloatMode: 240
; IeeeMode: 1
; LDSByteSize: 0 bytes/workgroup (compile time only)
; SGPRBlocks: 0
; VGPRBlocks: 0
; NumSGPRsForWavesPerEU: 1
; NumVGPRsForWavesPerEU: 1
; Occupancy: 16
; WaveLimiterHint : 0
; COMPUTE_PGM_RSRC2:SCRATCH_EN: 0
; COMPUTE_PGM_RSRC2:USER_SGPR: 15
; COMPUTE_PGM_RSRC2:TRAP_HANDLER: 0
; COMPUTE_PGM_RSRC2:TGID_X_EN: 1
; COMPUTE_PGM_RSRC2:TGID_Y_EN: 0
; COMPUTE_PGM_RSRC2:TGID_Z_EN: 0
; COMPUTE_PGM_RSRC2:TIDIG_COMP_CNT: 0
	.section	.text._ZN7rocprim17ROCPRIM_400000_NS6detail17trampoline_kernelINS0_14default_configENS1_20scan_config_selectorIN3c107complexIdEEEEZZNS1_9scan_implILNS1_25lookback_scan_determinismE0ELb0ELb0ES3_PKS7_PS7_S7_ZZZN2at6native31launch_logcumsumexp_cuda_kernelERKNSE_10TensorBaseESI_lENKUlvE_clEvENKUlvE1_clEvEUlS7_S7_E_S7_EEDaPvRmT3_T4_T5_mT6_P12ihipStream_tbENKUlT_T0_E_clISt17integral_constantIbLb0EESY_IbLb1EEEEDaSU_SV_EUlSU_E0_NS1_11comp_targetILNS1_3genE5ELNS1_11target_archE942ELNS1_3gpuE9ELNS1_3repE0EEENS1_30default_config_static_selectorELNS0_4arch9wavefront6targetE0EEEvT1_,"axG",@progbits,_ZN7rocprim17ROCPRIM_400000_NS6detail17trampoline_kernelINS0_14default_configENS1_20scan_config_selectorIN3c107complexIdEEEEZZNS1_9scan_implILNS1_25lookback_scan_determinismE0ELb0ELb0ES3_PKS7_PS7_S7_ZZZN2at6native31launch_logcumsumexp_cuda_kernelERKNSE_10TensorBaseESI_lENKUlvE_clEvENKUlvE1_clEvEUlS7_S7_E_S7_EEDaPvRmT3_T4_T5_mT6_P12ihipStream_tbENKUlT_T0_E_clISt17integral_constantIbLb0EESY_IbLb1EEEEDaSU_SV_EUlSU_E0_NS1_11comp_targetILNS1_3genE5ELNS1_11target_archE942ELNS1_3gpuE9ELNS1_3repE0EEENS1_30default_config_static_selectorELNS0_4arch9wavefront6targetE0EEEvT1_,comdat
	.globl	_ZN7rocprim17ROCPRIM_400000_NS6detail17trampoline_kernelINS0_14default_configENS1_20scan_config_selectorIN3c107complexIdEEEEZZNS1_9scan_implILNS1_25lookback_scan_determinismE0ELb0ELb0ES3_PKS7_PS7_S7_ZZZN2at6native31launch_logcumsumexp_cuda_kernelERKNSE_10TensorBaseESI_lENKUlvE_clEvENKUlvE1_clEvEUlS7_S7_E_S7_EEDaPvRmT3_T4_T5_mT6_P12ihipStream_tbENKUlT_T0_E_clISt17integral_constantIbLb0EESY_IbLb1EEEEDaSU_SV_EUlSU_E0_NS1_11comp_targetILNS1_3genE5ELNS1_11target_archE942ELNS1_3gpuE9ELNS1_3repE0EEENS1_30default_config_static_selectorELNS0_4arch9wavefront6targetE0EEEvT1_ ; -- Begin function _ZN7rocprim17ROCPRIM_400000_NS6detail17trampoline_kernelINS0_14default_configENS1_20scan_config_selectorIN3c107complexIdEEEEZZNS1_9scan_implILNS1_25lookback_scan_determinismE0ELb0ELb0ES3_PKS7_PS7_S7_ZZZN2at6native31launch_logcumsumexp_cuda_kernelERKNSE_10TensorBaseESI_lENKUlvE_clEvENKUlvE1_clEvEUlS7_S7_E_S7_EEDaPvRmT3_T4_T5_mT6_P12ihipStream_tbENKUlT_T0_E_clISt17integral_constantIbLb0EESY_IbLb1EEEEDaSU_SV_EUlSU_E0_NS1_11comp_targetILNS1_3genE5ELNS1_11target_archE942ELNS1_3gpuE9ELNS1_3repE0EEENS1_30default_config_static_selectorELNS0_4arch9wavefront6targetE0EEEvT1_
	.p2align	8
	.type	_ZN7rocprim17ROCPRIM_400000_NS6detail17trampoline_kernelINS0_14default_configENS1_20scan_config_selectorIN3c107complexIdEEEEZZNS1_9scan_implILNS1_25lookback_scan_determinismE0ELb0ELb0ES3_PKS7_PS7_S7_ZZZN2at6native31launch_logcumsumexp_cuda_kernelERKNSE_10TensorBaseESI_lENKUlvE_clEvENKUlvE1_clEvEUlS7_S7_E_S7_EEDaPvRmT3_T4_T5_mT6_P12ihipStream_tbENKUlT_T0_E_clISt17integral_constantIbLb0EESY_IbLb1EEEEDaSU_SV_EUlSU_E0_NS1_11comp_targetILNS1_3genE5ELNS1_11target_archE942ELNS1_3gpuE9ELNS1_3repE0EEENS1_30default_config_static_selectorELNS0_4arch9wavefront6targetE0EEEvT1_,@function
_ZN7rocprim17ROCPRIM_400000_NS6detail17trampoline_kernelINS0_14default_configENS1_20scan_config_selectorIN3c107complexIdEEEEZZNS1_9scan_implILNS1_25lookback_scan_determinismE0ELb0ELb0ES3_PKS7_PS7_S7_ZZZN2at6native31launch_logcumsumexp_cuda_kernelERKNSE_10TensorBaseESI_lENKUlvE_clEvENKUlvE1_clEvEUlS7_S7_E_S7_EEDaPvRmT3_T4_T5_mT6_P12ihipStream_tbENKUlT_T0_E_clISt17integral_constantIbLb0EESY_IbLb1EEEEDaSU_SV_EUlSU_E0_NS1_11comp_targetILNS1_3genE5ELNS1_11target_archE942ELNS1_3gpuE9ELNS1_3repE0EEENS1_30default_config_static_selectorELNS0_4arch9wavefront6targetE0EEEvT1_: ; @_ZN7rocprim17ROCPRIM_400000_NS6detail17trampoline_kernelINS0_14default_configENS1_20scan_config_selectorIN3c107complexIdEEEEZZNS1_9scan_implILNS1_25lookback_scan_determinismE0ELb0ELb0ES3_PKS7_PS7_S7_ZZZN2at6native31launch_logcumsumexp_cuda_kernelERKNSE_10TensorBaseESI_lENKUlvE_clEvENKUlvE1_clEvEUlS7_S7_E_S7_EEDaPvRmT3_T4_T5_mT6_P12ihipStream_tbENKUlT_T0_E_clISt17integral_constantIbLb0EESY_IbLb1EEEEDaSU_SV_EUlSU_E0_NS1_11comp_targetILNS1_3genE5ELNS1_11target_archE942ELNS1_3gpuE9ELNS1_3repE0EEENS1_30default_config_static_selectorELNS0_4arch9wavefront6targetE0EEEvT1_
; %bb.0:
	.section	.rodata,"a",@progbits
	.p2align	6, 0x0
	.amdhsa_kernel _ZN7rocprim17ROCPRIM_400000_NS6detail17trampoline_kernelINS0_14default_configENS1_20scan_config_selectorIN3c107complexIdEEEEZZNS1_9scan_implILNS1_25lookback_scan_determinismE0ELb0ELb0ES3_PKS7_PS7_S7_ZZZN2at6native31launch_logcumsumexp_cuda_kernelERKNSE_10TensorBaseESI_lENKUlvE_clEvENKUlvE1_clEvEUlS7_S7_E_S7_EEDaPvRmT3_T4_T5_mT6_P12ihipStream_tbENKUlT_T0_E_clISt17integral_constantIbLb0EESY_IbLb1EEEEDaSU_SV_EUlSU_E0_NS1_11comp_targetILNS1_3genE5ELNS1_11target_archE942ELNS1_3gpuE9ELNS1_3repE0EEENS1_30default_config_static_selectorELNS0_4arch9wavefront6targetE0EEEvT1_
		.amdhsa_group_segment_fixed_size 0
		.amdhsa_private_segment_fixed_size 0
		.amdhsa_kernarg_size 48
		.amdhsa_user_sgpr_count 15
		.amdhsa_user_sgpr_dispatch_ptr 0
		.amdhsa_user_sgpr_queue_ptr 0
		.amdhsa_user_sgpr_kernarg_segment_ptr 1
		.amdhsa_user_sgpr_dispatch_id 0
		.amdhsa_user_sgpr_private_segment_size 0
		.amdhsa_wavefront_size32 1
		.amdhsa_uses_dynamic_stack 0
		.amdhsa_enable_private_segment 0
		.amdhsa_system_sgpr_workgroup_id_x 1
		.amdhsa_system_sgpr_workgroup_id_y 0
		.amdhsa_system_sgpr_workgroup_id_z 0
		.amdhsa_system_sgpr_workgroup_info 0
		.amdhsa_system_vgpr_workitem_id 0
		.amdhsa_next_free_vgpr 1
		.amdhsa_next_free_sgpr 1
		.amdhsa_reserve_vcc 0
		.amdhsa_float_round_mode_32 0
		.amdhsa_float_round_mode_16_64 0
		.amdhsa_float_denorm_mode_32 3
		.amdhsa_float_denorm_mode_16_64 3
		.amdhsa_dx10_clamp 1
		.amdhsa_ieee_mode 1
		.amdhsa_fp16_overflow 0
		.amdhsa_workgroup_processor_mode 1
		.amdhsa_memory_ordered 1
		.amdhsa_forward_progress 0
		.amdhsa_shared_vgpr_count 0
		.amdhsa_exception_fp_ieee_invalid_op 0
		.amdhsa_exception_fp_denorm_src 0
		.amdhsa_exception_fp_ieee_div_zero 0
		.amdhsa_exception_fp_ieee_overflow 0
		.amdhsa_exception_fp_ieee_underflow 0
		.amdhsa_exception_fp_ieee_inexact 0
		.amdhsa_exception_int_div_zero 0
	.end_amdhsa_kernel
	.section	.text._ZN7rocprim17ROCPRIM_400000_NS6detail17trampoline_kernelINS0_14default_configENS1_20scan_config_selectorIN3c107complexIdEEEEZZNS1_9scan_implILNS1_25lookback_scan_determinismE0ELb0ELb0ES3_PKS7_PS7_S7_ZZZN2at6native31launch_logcumsumexp_cuda_kernelERKNSE_10TensorBaseESI_lENKUlvE_clEvENKUlvE1_clEvEUlS7_S7_E_S7_EEDaPvRmT3_T4_T5_mT6_P12ihipStream_tbENKUlT_T0_E_clISt17integral_constantIbLb0EESY_IbLb1EEEEDaSU_SV_EUlSU_E0_NS1_11comp_targetILNS1_3genE5ELNS1_11target_archE942ELNS1_3gpuE9ELNS1_3repE0EEENS1_30default_config_static_selectorELNS0_4arch9wavefront6targetE0EEEvT1_,"axG",@progbits,_ZN7rocprim17ROCPRIM_400000_NS6detail17trampoline_kernelINS0_14default_configENS1_20scan_config_selectorIN3c107complexIdEEEEZZNS1_9scan_implILNS1_25lookback_scan_determinismE0ELb0ELb0ES3_PKS7_PS7_S7_ZZZN2at6native31launch_logcumsumexp_cuda_kernelERKNSE_10TensorBaseESI_lENKUlvE_clEvENKUlvE1_clEvEUlS7_S7_E_S7_EEDaPvRmT3_T4_T5_mT6_P12ihipStream_tbENKUlT_T0_E_clISt17integral_constantIbLb0EESY_IbLb1EEEEDaSU_SV_EUlSU_E0_NS1_11comp_targetILNS1_3genE5ELNS1_11target_archE942ELNS1_3gpuE9ELNS1_3repE0EEENS1_30default_config_static_selectorELNS0_4arch9wavefront6targetE0EEEvT1_,comdat
.Lfunc_end255:
	.size	_ZN7rocprim17ROCPRIM_400000_NS6detail17trampoline_kernelINS0_14default_configENS1_20scan_config_selectorIN3c107complexIdEEEEZZNS1_9scan_implILNS1_25lookback_scan_determinismE0ELb0ELb0ES3_PKS7_PS7_S7_ZZZN2at6native31launch_logcumsumexp_cuda_kernelERKNSE_10TensorBaseESI_lENKUlvE_clEvENKUlvE1_clEvEUlS7_S7_E_S7_EEDaPvRmT3_T4_T5_mT6_P12ihipStream_tbENKUlT_T0_E_clISt17integral_constantIbLb0EESY_IbLb1EEEEDaSU_SV_EUlSU_E0_NS1_11comp_targetILNS1_3genE5ELNS1_11target_archE942ELNS1_3gpuE9ELNS1_3repE0EEENS1_30default_config_static_selectorELNS0_4arch9wavefront6targetE0EEEvT1_, .Lfunc_end255-_ZN7rocprim17ROCPRIM_400000_NS6detail17trampoline_kernelINS0_14default_configENS1_20scan_config_selectorIN3c107complexIdEEEEZZNS1_9scan_implILNS1_25lookback_scan_determinismE0ELb0ELb0ES3_PKS7_PS7_S7_ZZZN2at6native31launch_logcumsumexp_cuda_kernelERKNSE_10TensorBaseESI_lENKUlvE_clEvENKUlvE1_clEvEUlS7_S7_E_S7_EEDaPvRmT3_T4_T5_mT6_P12ihipStream_tbENKUlT_T0_E_clISt17integral_constantIbLb0EESY_IbLb1EEEEDaSU_SV_EUlSU_E0_NS1_11comp_targetILNS1_3genE5ELNS1_11target_archE942ELNS1_3gpuE9ELNS1_3repE0EEENS1_30default_config_static_selectorELNS0_4arch9wavefront6targetE0EEEvT1_
                                        ; -- End function
	.section	.AMDGPU.csdata,"",@progbits
; Kernel info:
; codeLenInByte = 0
; NumSgprs: 0
; NumVgprs: 0
; ScratchSize: 0
; MemoryBound: 0
; FloatMode: 240
; IeeeMode: 1
; LDSByteSize: 0 bytes/workgroup (compile time only)
; SGPRBlocks: 0
; VGPRBlocks: 0
; NumSGPRsForWavesPerEU: 1
; NumVGPRsForWavesPerEU: 1
; Occupancy: 16
; WaveLimiterHint : 0
; COMPUTE_PGM_RSRC2:SCRATCH_EN: 0
; COMPUTE_PGM_RSRC2:USER_SGPR: 15
; COMPUTE_PGM_RSRC2:TRAP_HANDLER: 0
; COMPUTE_PGM_RSRC2:TGID_X_EN: 1
; COMPUTE_PGM_RSRC2:TGID_Y_EN: 0
; COMPUTE_PGM_RSRC2:TGID_Z_EN: 0
; COMPUTE_PGM_RSRC2:TIDIG_COMP_CNT: 0
	.section	.text._ZN7rocprim17ROCPRIM_400000_NS6detail17trampoline_kernelINS0_14default_configENS1_20scan_config_selectorIN3c107complexIdEEEEZZNS1_9scan_implILNS1_25lookback_scan_determinismE0ELb0ELb0ES3_PKS7_PS7_S7_ZZZN2at6native31launch_logcumsumexp_cuda_kernelERKNSE_10TensorBaseESI_lENKUlvE_clEvENKUlvE1_clEvEUlS7_S7_E_S7_EEDaPvRmT3_T4_T5_mT6_P12ihipStream_tbENKUlT_T0_E_clISt17integral_constantIbLb0EESY_IbLb1EEEEDaSU_SV_EUlSU_E0_NS1_11comp_targetILNS1_3genE4ELNS1_11target_archE910ELNS1_3gpuE8ELNS1_3repE0EEENS1_30default_config_static_selectorELNS0_4arch9wavefront6targetE0EEEvT1_,"axG",@progbits,_ZN7rocprim17ROCPRIM_400000_NS6detail17trampoline_kernelINS0_14default_configENS1_20scan_config_selectorIN3c107complexIdEEEEZZNS1_9scan_implILNS1_25lookback_scan_determinismE0ELb0ELb0ES3_PKS7_PS7_S7_ZZZN2at6native31launch_logcumsumexp_cuda_kernelERKNSE_10TensorBaseESI_lENKUlvE_clEvENKUlvE1_clEvEUlS7_S7_E_S7_EEDaPvRmT3_T4_T5_mT6_P12ihipStream_tbENKUlT_T0_E_clISt17integral_constantIbLb0EESY_IbLb1EEEEDaSU_SV_EUlSU_E0_NS1_11comp_targetILNS1_3genE4ELNS1_11target_archE910ELNS1_3gpuE8ELNS1_3repE0EEENS1_30default_config_static_selectorELNS0_4arch9wavefront6targetE0EEEvT1_,comdat
	.globl	_ZN7rocprim17ROCPRIM_400000_NS6detail17trampoline_kernelINS0_14default_configENS1_20scan_config_selectorIN3c107complexIdEEEEZZNS1_9scan_implILNS1_25lookback_scan_determinismE0ELb0ELb0ES3_PKS7_PS7_S7_ZZZN2at6native31launch_logcumsumexp_cuda_kernelERKNSE_10TensorBaseESI_lENKUlvE_clEvENKUlvE1_clEvEUlS7_S7_E_S7_EEDaPvRmT3_T4_T5_mT6_P12ihipStream_tbENKUlT_T0_E_clISt17integral_constantIbLb0EESY_IbLb1EEEEDaSU_SV_EUlSU_E0_NS1_11comp_targetILNS1_3genE4ELNS1_11target_archE910ELNS1_3gpuE8ELNS1_3repE0EEENS1_30default_config_static_selectorELNS0_4arch9wavefront6targetE0EEEvT1_ ; -- Begin function _ZN7rocprim17ROCPRIM_400000_NS6detail17trampoline_kernelINS0_14default_configENS1_20scan_config_selectorIN3c107complexIdEEEEZZNS1_9scan_implILNS1_25lookback_scan_determinismE0ELb0ELb0ES3_PKS7_PS7_S7_ZZZN2at6native31launch_logcumsumexp_cuda_kernelERKNSE_10TensorBaseESI_lENKUlvE_clEvENKUlvE1_clEvEUlS7_S7_E_S7_EEDaPvRmT3_T4_T5_mT6_P12ihipStream_tbENKUlT_T0_E_clISt17integral_constantIbLb0EESY_IbLb1EEEEDaSU_SV_EUlSU_E0_NS1_11comp_targetILNS1_3genE4ELNS1_11target_archE910ELNS1_3gpuE8ELNS1_3repE0EEENS1_30default_config_static_selectorELNS0_4arch9wavefront6targetE0EEEvT1_
	.p2align	8
	.type	_ZN7rocprim17ROCPRIM_400000_NS6detail17trampoline_kernelINS0_14default_configENS1_20scan_config_selectorIN3c107complexIdEEEEZZNS1_9scan_implILNS1_25lookback_scan_determinismE0ELb0ELb0ES3_PKS7_PS7_S7_ZZZN2at6native31launch_logcumsumexp_cuda_kernelERKNSE_10TensorBaseESI_lENKUlvE_clEvENKUlvE1_clEvEUlS7_S7_E_S7_EEDaPvRmT3_T4_T5_mT6_P12ihipStream_tbENKUlT_T0_E_clISt17integral_constantIbLb0EESY_IbLb1EEEEDaSU_SV_EUlSU_E0_NS1_11comp_targetILNS1_3genE4ELNS1_11target_archE910ELNS1_3gpuE8ELNS1_3repE0EEENS1_30default_config_static_selectorELNS0_4arch9wavefront6targetE0EEEvT1_,@function
_ZN7rocprim17ROCPRIM_400000_NS6detail17trampoline_kernelINS0_14default_configENS1_20scan_config_selectorIN3c107complexIdEEEEZZNS1_9scan_implILNS1_25lookback_scan_determinismE0ELb0ELb0ES3_PKS7_PS7_S7_ZZZN2at6native31launch_logcumsumexp_cuda_kernelERKNSE_10TensorBaseESI_lENKUlvE_clEvENKUlvE1_clEvEUlS7_S7_E_S7_EEDaPvRmT3_T4_T5_mT6_P12ihipStream_tbENKUlT_T0_E_clISt17integral_constantIbLb0EESY_IbLb1EEEEDaSU_SV_EUlSU_E0_NS1_11comp_targetILNS1_3genE4ELNS1_11target_archE910ELNS1_3gpuE8ELNS1_3repE0EEENS1_30default_config_static_selectorELNS0_4arch9wavefront6targetE0EEEvT1_: ; @_ZN7rocprim17ROCPRIM_400000_NS6detail17trampoline_kernelINS0_14default_configENS1_20scan_config_selectorIN3c107complexIdEEEEZZNS1_9scan_implILNS1_25lookback_scan_determinismE0ELb0ELb0ES3_PKS7_PS7_S7_ZZZN2at6native31launch_logcumsumexp_cuda_kernelERKNSE_10TensorBaseESI_lENKUlvE_clEvENKUlvE1_clEvEUlS7_S7_E_S7_EEDaPvRmT3_T4_T5_mT6_P12ihipStream_tbENKUlT_T0_E_clISt17integral_constantIbLb0EESY_IbLb1EEEEDaSU_SV_EUlSU_E0_NS1_11comp_targetILNS1_3genE4ELNS1_11target_archE910ELNS1_3gpuE8ELNS1_3repE0EEENS1_30default_config_static_selectorELNS0_4arch9wavefront6targetE0EEEvT1_
; %bb.0:
	.section	.rodata,"a",@progbits
	.p2align	6, 0x0
	.amdhsa_kernel _ZN7rocprim17ROCPRIM_400000_NS6detail17trampoline_kernelINS0_14default_configENS1_20scan_config_selectorIN3c107complexIdEEEEZZNS1_9scan_implILNS1_25lookback_scan_determinismE0ELb0ELb0ES3_PKS7_PS7_S7_ZZZN2at6native31launch_logcumsumexp_cuda_kernelERKNSE_10TensorBaseESI_lENKUlvE_clEvENKUlvE1_clEvEUlS7_S7_E_S7_EEDaPvRmT3_T4_T5_mT6_P12ihipStream_tbENKUlT_T0_E_clISt17integral_constantIbLb0EESY_IbLb1EEEEDaSU_SV_EUlSU_E0_NS1_11comp_targetILNS1_3genE4ELNS1_11target_archE910ELNS1_3gpuE8ELNS1_3repE0EEENS1_30default_config_static_selectorELNS0_4arch9wavefront6targetE0EEEvT1_
		.amdhsa_group_segment_fixed_size 0
		.amdhsa_private_segment_fixed_size 0
		.amdhsa_kernarg_size 48
		.amdhsa_user_sgpr_count 15
		.amdhsa_user_sgpr_dispatch_ptr 0
		.amdhsa_user_sgpr_queue_ptr 0
		.amdhsa_user_sgpr_kernarg_segment_ptr 1
		.amdhsa_user_sgpr_dispatch_id 0
		.amdhsa_user_sgpr_private_segment_size 0
		.amdhsa_wavefront_size32 1
		.amdhsa_uses_dynamic_stack 0
		.amdhsa_enable_private_segment 0
		.amdhsa_system_sgpr_workgroup_id_x 1
		.amdhsa_system_sgpr_workgroup_id_y 0
		.amdhsa_system_sgpr_workgroup_id_z 0
		.amdhsa_system_sgpr_workgroup_info 0
		.amdhsa_system_vgpr_workitem_id 0
		.amdhsa_next_free_vgpr 1
		.amdhsa_next_free_sgpr 1
		.amdhsa_reserve_vcc 0
		.amdhsa_float_round_mode_32 0
		.amdhsa_float_round_mode_16_64 0
		.amdhsa_float_denorm_mode_32 3
		.amdhsa_float_denorm_mode_16_64 3
		.amdhsa_dx10_clamp 1
		.amdhsa_ieee_mode 1
		.amdhsa_fp16_overflow 0
		.amdhsa_workgroup_processor_mode 1
		.amdhsa_memory_ordered 1
		.amdhsa_forward_progress 0
		.amdhsa_shared_vgpr_count 0
		.amdhsa_exception_fp_ieee_invalid_op 0
		.amdhsa_exception_fp_denorm_src 0
		.amdhsa_exception_fp_ieee_div_zero 0
		.amdhsa_exception_fp_ieee_overflow 0
		.amdhsa_exception_fp_ieee_underflow 0
		.amdhsa_exception_fp_ieee_inexact 0
		.amdhsa_exception_int_div_zero 0
	.end_amdhsa_kernel
	.section	.text._ZN7rocprim17ROCPRIM_400000_NS6detail17trampoline_kernelINS0_14default_configENS1_20scan_config_selectorIN3c107complexIdEEEEZZNS1_9scan_implILNS1_25lookback_scan_determinismE0ELb0ELb0ES3_PKS7_PS7_S7_ZZZN2at6native31launch_logcumsumexp_cuda_kernelERKNSE_10TensorBaseESI_lENKUlvE_clEvENKUlvE1_clEvEUlS7_S7_E_S7_EEDaPvRmT3_T4_T5_mT6_P12ihipStream_tbENKUlT_T0_E_clISt17integral_constantIbLb0EESY_IbLb1EEEEDaSU_SV_EUlSU_E0_NS1_11comp_targetILNS1_3genE4ELNS1_11target_archE910ELNS1_3gpuE8ELNS1_3repE0EEENS1_30default_config_static_selectorELNS0_4arch9wavefront6targetE0EEEvT1_,"axG",@progbits,_ZN7rocprim17ROCPRIM_400000_NS6detail17trampoline_kernelINS0_14default_configENS1_20scan_config_selectorIN3c107complexIdEEEEZZNS1_9scan_implILNS1_25lookback_scan_determinismE0ELb0ELb0ES3_PKS7_PS7_S7_ZZZN2at6native31launch_logcumsumexp_cuda_kernelERKNSE_10TensorBaseESI_lENKUlvE_clEvENKUlvE1_clEvEUlS7_S7_E_S7_EEDaPvRmT3_T4_T5_mT6_P12ihipStream_tbENKUlT_T0_E_clISt17integral_constantIbLb0EESY_IbLb1EEEEDaSU_SV_EUlSU_E0_NS1_11comp_targetILNS1_3genE4ELNS1_11target_archE910ELNS1_3gpuE8ELNS1_3repE0EEENS1_30default_config_static_selectorELNS0_4arch9wavefront6targetE0EEEvT1_,comdat
.Lfunc_end256:
	.size	_ZN7rocprim17ROCPRIM_400000_NS6detail17trampoline_kernelINS0_14default_configENS1_20scan_config_selectorIN3c107complexIdEEEEZZNS1_9scan_implILNS1_25lookback_scan_determinismE0ELb0ELb0ES3_PKS7_PS7_S7_ZZZN2at6native31launch_logcumsumexp_cuda_kernelERKNSE_10TensorBaseESI_lENKUlvE_clEvENKUlvE1_clEvEUlS7_S7_E_S7_EEDaPvRmT3_T4_T5_mT6_P12ihipStream_tbENKUlT_T0_E_clISt17integral_constantIbLb0EESY_IbLb1EEEEDaSU_SV_EUlSU_E0_NS1_11comp_targetILNS1_3genE4ELNS1_11target_archE910ELNS1_3gpuE8ELNS1_3repE0EEENS1_30default_config_static_selectorELNS0_4arch9wavefront6targetE0EEEvT1_, .Lfunc_end256-_ZN7rocprim17ROCPRIM_400000_NS6detail17trampoline_kernelINS0_14default_configENS1_20scan_config_selectorIN3c107complexIdEEEEZZNS1_9scan_implILNS1_25lookback_scan_determinismE0ELb0ELb0ES3_PKS7_PS7_S7_ZZZN2at6native31launch_logcumsumexp_cuda_kernelERKNSE_10TensorBaseESI_lENKUlvE_clEvENKUlvE1_clEvEUlS7_S7_E_S7_EEDaPvRmT3_T4_T5_mT6_P12ihipStream_tbENKUlT_T0_E_clISt17integral_constantIbLb0EESY_IbLb1EEEEDaSU_SV_EUlSU_E0_NS1_11comp_targetILNS1_3genE4ELNS1_11target_archE910ELNS1_3gpuE8ELNS1_3repE0EEENS1_30default_config_static_selectorELNS0_4arch9wavefront6targetE0EEEvT1_
                                        ; -- End function
	.section	.AMDGPU.csdata,"",@progbits
; Kernel info:
; codeLenInByte = 0
; NumSgprs: 0
; NumVgprs: 0
; ScratchSize: 0
; MemoryBound: 0
; FloatMode: 240
; IeeeMode: 1
; LDSByteSize: 0 bytes/workgroup (compile time only)
; SGPRBlocks: 0
; VGPRBlocks: 0
; NumSGPRsForWavesPerEU: 1
; NumVGPRsForWavesPerEU: 1
; Occupancy: 16
; WaveLimiterHint : 0
; COMPUTE_PGM_RSRC2:SCRATCH_EN: 0
; COMPUTE_PGM_RSRC2:USER_SGPR: 15
; COMPUTE_PGM_RSRC2:TRAP_HANDLER: 0
; COMPUTE_PGM_RSRC2:TGID_X_EN: 1
; COMPUTE_PGM_RSRC2:TGID_Y_EN: 0
; COMPUTE_PGM_RSRC2:TGID_Z_EN: 0
; COMPUTE_PGM_RSRC2:TIDIG_COMP_CNT: 0
	.section	.text._ZN7rocprim17ROCPRIM_400000_NS6detail17trampoline_kernelINS0_14default_configENS1_20scan_config_selectorIN3c107complexIdEEEEZZNS1_9scan_implILNS1_25lookback_scan_determinismE0ELb0ELb0ES3_PKS7_PS7_S7_ZZZN2at6native31launch_logcumsumexp_cuda_kernelERKNSE_10TensorBaseESI_lENKUlvE_clEvENKUlvE1_clEvEUlS7_S7_E_S7_EEDaPvRmT3_T4_T5_mT6_P12ihipStream_tbENKUlT_T0_E_clISt17integral_constantIbLb0EESY_IbLb1EEEEDaSU_SV_EUlSU_E0_NS1_11comp_targetILNS1_3genE3ELNS1_11target_archE908ELNS1_3gpuE7ELNS1_3repE0EEENS1_30default_config_static_selectorELNS0_4arch9wavefront6targetE0EEEvT1_,"axG",@progbits,_ZN7rocprim17ROCPRIM_400000_NS6detail17trampoline_kernelINS0_14default_configENS1_20scan_config_selectorIN3c107complexIdEEEEZZNS1_9scan_implILNS1_25lookback_scan_determinismE0ELb0ELb0ES3_PKS7_PS7_S7_ZZZN2at6native31launch_logcumsumexp_cuda_kernelERKNSE_10TensorBaseESI_lENKUlvE_clEvENKUlvE1_clEvEUlS7_S7_E_S7_EEDaPvRmT3_T4_T5_mT6_P12ihipStream_tbENKUlT_T0_E_clISt17integral_constantIbLb0EESY_IbLb1EEEEDaSU_SV_EUlSU_E0_NS1_11comp_targetILNS1_3genE3ELNS1_11target_archE908ELNS1_3gpuE7ELNS1_3repE0EEENS1_30default_config_static_selectorELNS0_4arch9wavefront6targetE0EEEvT1_,comdat
	.globl	_ZN7rocprim17ROCPRIM_400000_NS6detail17trampoline_kernelINS0_14default_configENS1_20scan_config_selectorIN3c107complexIdEEEEZZNS1_9scan_implILNS1_25lookback_scan_determinismE0ELb0ELb0ES3_PKS7_PS7_S7_ZZZN2at6native31launch_logcumsumexp_cuda_kernelERKNSE_10TensorBaseESI_lENKUlvE_clEvENKUlvE1_clEvEUlS7_S7_E_S7_EEDaPvRmT3_T4_T5_mT6_P12ihipStream_tbENKUlT_T0_E_clISt17integral_constantIbLb0EESY_IbLb1EEEEDaSU_SV_EUlSU_E0_NS1_11comp_targetILNS1_3genE3ELNS1_11target_archE908ELNS1_3gpuE7ELNS1_3repE0EEENS1_30default_config_static_selectorELNS0_4arch9wavefront6targetE0EEEvT1_ ; -- Begin function _ZN7rocprim17ROCPRIM_400000_NS6detail17trampoline_kernelINS0_14default_configENS1_20scan_config_selectorIN3c107complexIdEEEEZZNS1_9scan_implILNS1_25lookback_scan_determinismE0ELb0ELb0ES3_PKS7_PS7_S7_ZZZN2at6native31launch_logcumsumexp_cuda_kernelERKNSE_10TensorBaseESI_lENKUlvE_clEvENKUlvE1_clEvEUlS7_S7_E_S7_EEDaPvRmT3_T4_T5_mT6_P12ihipStream_tbENKUlT_T0_E_clISt17integral_constantIbLb0EESY_IbLb1EEEEDaSU_SV_EUlSU_E0_NS1_11comp_targetILNS1_3genE3ELNS1_11target_archE908ELNS1_3gpuE7ELNS1_3repE0EEENS1_30default_config_static_selectorELNS0_4arch9wavefront6targetE0EEEvT1_
	.p2align	8
	.type	_ZN7rocprim17ROCPRIM_400000_NS6detail17trampoline_kernelINS0_14default_configENS1_20scan_config_selectorIN3c107complexIdEEEEZZNS1_9scan_implILNS1_25lookback_scan_determinismE0ELb0ELb0ES3_PKS7_PS7_S7_ZZZN2at6native31launch_logcumsumexp_cuda_kernelERKNSE_10TensorBaseESI_lENKUlvE_clEvENKUlvE1_clEvEUlS7_S7_E_S7_EEDaPvRmT3_T4_T5_mT6_P12ihipStream_tbENKUlT_T0_E_clISt17integral_constantIbLb0EESY_IbLb1EEEEDaSU_SV_EUlSU_E0_NS1_11comp_targetILNS1_3genE3ELNS1_11target_archE908ELNS1_3gpuE7ELNS1_3repE0EEENS1_30default_config_static_selectorELNS0_4arch9wavefront6targetE0EEEvT1_,@function
_ZN7rocprim17ROCPRIM_400000_NS6detail17trampoline_kernelINS0_14default_configENS1_20scan_config_selectorIN3c107complexIdEEEEZZNS1_9scan_implILNS1_25lookback_scan_determinismE0ELb0ELb0ES3_PKS7_PS7_S7_ZZZN2at6native31launch_logcumsumexp_cuda_kernelERKNSE_10TensorBaseESI_lENKUlvE_clEvENKUlvE1_clEvEUlS7_S7_E_S7_EEDaPvRmT3_T4_T5_mT6_P12ihipStream_tbENKUlT_T0_E_clISt17integral_constantIbLb0EESY_IbLb1EEEEDaSU_SV_EUlSU_E0_NS1_11comp_targetILNS1_3genE3ELNS1_11target_archE908ELNS1_3gpuE7ELNS1_3repE0EEENS1_30default_config_static_selectorELNS0_4arch9wavefront6targetE0EEEvT1_: ; @_ZN7rocprim17ROCPRIM_400000_NS6detail17trampoline_kernelINS0_14default_configENS1_20scan_config_selectorIN3c107complexIdEEEEZZNS1_9scan_implILNS1_25lookback_scan_determinismE0ELb0ELb0ES3_PKS7_PS7_S7_ZZZN2at6native31launch_logcumsumexp_cuda_kernelERKNSE_10TensorBaseESI_lENKUlvE_clEvENKUlvE1_clEvEUlS7_S7_E_S7_EEDaPvRmT3_T4_T5_mT6_P12ihipStream_tbENKUlT_T0_E_clISt17integral_constantIbLb0EESY_IbLb1EEEEDaSU_SV_EUlSU_E0_NS1_11comp_targetILNS1_3genE3ELNS1_11target_archE908ELNS1_3gpuE7ELNS1_3repE0EEENS1_30default_config_static_selectorELNS0_4arch9wavefront6targetE0EEEvT1_
; %bb.0:
	.section	.rodata,"a",@progbits
	.p2align	6, 0x0
	.amdhsa_kernel _ZN7rocprim17ROCPRIM_400000_NS6detail17trampoline_kernelINS0_14default_configENS1_20scan_config_selectorIN3c107complexIdEEEEZZNS1_9scan_implILNS1_25lookback_scan_determinismE0ELb0ELb0ES3_PKS7_PS7_S7_ZZZN2at6native31launch_logcumsumexp_cuda_kernelERKNSE_10TensorBaseESI_lENKUlvE_clEvENKUlvE1_clEvEUlS7_S7_E_S7_EEDaPvRmT3_T4_T5_mT6_P12ihipStream_tbENKUlT_T0_E_clISt17integral_constantIbLb0EESY_IbLb1EEEEDaSU_SV_EUlSU_E0_NS1_11comp_targetILNS1_3genE3ELNS1_11target_archE908ELNS1_3gpuE7ELNS1_3repE0EEENS1_30default_config_static_selectorELNS0_4arch9wavefront6targetE0EEEvT1_
		.amdhsa_group_segment_fixed_size 0
		.amdhsa_private_segment_fixed_size 0
		.amdhsa_kernarg_size 48
		.amdhsa_user_sgpr_count 15
		.amdhsa_user_sgpr_dispatch_ptr 0
		.amdhsa_user_sgpr_queue_ptr 0
		.amdhsa_user_sgpr_kernarg_segment_ptr 1
		.amdhsa_user_sgpr_dispatch_id 0
		.amdhsa_user_sgpr_private_segment_size 0
		.amdhsa_wavefront_size32 1
		.amdhsa_uses_dynamic_stack 0
		.amdhsa_enable_private_segment 0
		.amdhsa_system_sgpr_workgroup_id_x 1
		.amdhsa_system_sgpr_workgroup_id_y 0
		.amdhsa_system_sgpr_workgroup_id_z 0
		.amdhsa_system_sgpr_workgroup_info 0
		.amdhsa_system_vgpr_workitem_id 0
		.amdhsa_next_free_vgpr 1
		.amdhsa_next_free_sgpr 1
		.amdhsa_reserve_vcc 0
		.amdhsa_float_round_mode_32 0
		.amdhsa_float_round_mode_16_64 0
		.amdhsa_float_denorm_mode_32 3
		.amdhsa_float_denorm_mode_16_64 3
		.amdhsa_dx10_clamp 1
		.amdhsa_ieee_mode 1
		.amdhsa_fp16_overflow 0
		.amdhsa_workgroup_processor_mode 1
		.amdhsa_memory_ordered 1
		.amdhsa_forward_progress 0
		.amdhsa_shared_vgpr_count 0
		.amdhsa_exception_fp_ieee_invalid_op 0
		.amdhsa_exception_fp_denorm_src 0
		.amdhsa_exception_fp_ieee_div_zero 0
		.amdhsa_exception_fp_ieee_overflow 0
		.amdhsa_exception_fp_ieee_underflow 0
		.amdhsa_exception_fp_ieee_inexact 0
		.amdhsa_exception_int_div_zero 0
	.end_amdhsa_kernel
	.section	.text._ZN7rocprim17ROCPRIM_400000_NS6detail17trampoline_kernelINS0_14default_configENS1_20scan_config_selectorIN3c107complexIdEEEEZZNS1_9scan_implILNS1_25lookback_scan_determinismE0ELb0ELb0ES3_PKS7_PS7_S7_ZZZN2at6native31launch_logcumsumexp_cuda_kernelERKNSE_10TensorBaseESI_lENKUlvE_clEvENKUlvE1_clEvEUlS7_S7_E_S7_EEDaPvRmT3_T4_T5_mT6_P12ihipStream_tbENKUlT_T0_E_clISt17integral_constantIbLb0EESY_IbLb1EEEEDaSU_SV_EUlSU_E0_NS1_11comp_targetILNS1_3genE3ELNS1_11target_archE908ELNS1_3gpuE7ELNS1_3repE0EEENS1_30default_config_static_selectorELNS0_4arch9wavefront6targetE0EEEvT1_,"axG",@progbits,_ZN7rocprim17ROCPRIM_400000_NS6detail17trampoline_kernelINS0_14default_configENS1_20scan_config_selectorIN3c107complexIdEEEEZZNS1_9scan_implILNS1_25lookback_scan_determinismE0ELb0ELb0ES3_PKS7_PS7_S7_ZZZN2at6native31launch_logcumsumexp_cuda_kernelERKNSE_10TensorBaseESI_lENKUlvE_clEvENKUlvE1_clEvEUlS7_S7_E_S7_EEDaPvRmT3_T4_T5_mT6_P12ihipStream_tbENKUlT_T0_E_clISt17integral_constantIbLb0EESY_IbLb1EEEEDaSU_SV_EUlSU_E0_NS1_11comp_targetILNS1_3genE3ELNS1_11target_archE908ELNS1_3gpuE7ELNS1_3repE0EEENS1_30default_config_static_selectorELNS0_4arch9wavefront6targetE0EEEvT1_,comdat
.Lfunc_end257:
	.size	_ZN7rocprim17ROCPRIM_400000_NS6detail17trampoline_kernelINS0_14default_configENS1_20scan_config_selectorIN3c107complexIdEEEEZZNS1_9scan_implILNS1_25lookback_scan_determinismE0ELb0ELb0ES3_PKS7_PS7_S7_ZZZN2at6native31launch_logcumsumexp_cuda_kernelERKNSE_10TensorBaseESI_lENKUlvE_clEvENKUlvE1_clEvEUlS7_S7_E_S7_EEDaPvRmT3_T4_T5_mT6_P12ihipStream_tbENKUlT_T0_E_clISt17integral_constantIbLb0EESY_IbLb1EEEEDaSU_SV_EUlSU_E0_NS1_11comp_targetILNS1_3genE3ELNS1_11target_archE908ELNS1_3gpuE7ELNS1_3repE0EEENS1_30default_config_static_selectorELNS0_4arch9wavefront6targetE0EEEvT1_, .Lfunc_end257-_ZN7rocprim17ROCPRIM_400000_NS6detail17trampoline_kernelINS0_14default_configENS1_20scan_config_selectorIN3c107complexIdEEEEZZNS1_9scan_implILNS1_25lookback_scan_determinismE0ELb0ELb0ES3_PKS7_PS7_S7_ZZZN2at6native31launch_logcumsumexp_cuda_kernelERKNSE_10TensorBaseESI_lENKUlvE_clEvENKUlvE1_clEvEUlS7_S7_E_S7_EEDaPvRmT3_T4_T5_mT6_P12ihipStream_tbENKUlT_T0_E_clISt17integral_constantIbLb0EESY_IbLb1EEEEDaSU_SV_EUlSU_E0_NS1_11comp_targetILNS1_3genE3ELNS1_11target_archE908ELNS1_3gpuE7ELNS1_3repE0EEENS1_30default_config_static_selectorELNS0_4arch9wavefront6targetE0EEEvT1_
                                        ; -- End function
	.section	.AMDGPU.csdata,"",@progbits
; Kernel info:
; codeLenInByte = 0
; NumSgprs: 0
; NumVgprs: 0
; ScratchSize: 0
; MemoryBound: 0
; FloatMode: 240
; IeeeMode: 1
; LDSByteSize: 0 bytes/workgroup (compile time only)
; SGPRBlocks: 0
; VGPRBlocks: 0
; NumSGPRsForWavesPerEU: 1
; NumVGPRsForWavesPerEU: 1
; Occupancy: 16
; WaveLimiterHint : 0
; COMPUTE_PGM_RSRC2:SCRATCH_EN: 0
; COMPUTE_PGM_RSRC2:USER_SGPR: 15
; COMPUTE_PGM_RSRC2:TRAP_HANDLER: 0
; COMPUTE_PGM_RSRC2:TGID_X_EN: 1
; COMPUTE_PGM_RSRC2:TGID_Y_EN: 0
; COMPUTE_PGM_RSRC2:TGID_Z_EN: 0
; COMPUTE_PGM_RSRC2:TIDIG_COMP_CNT: 0
	.section	.text._ZN7rocprim17ROCPRIM_400000_NS6detail17trampoline_kernelINS0_14default_configENS1_20scan_config_selectorIN3c107complexIdEEEEZZNS1_9scan_implILNS1_25lookback_scan_determinismE0ELb0ELb0ES3_PKS7_PS7_S7_ZZZN2at6native31launch_logcumsumexp_cuda_kernelERKNSE_10TensorBaseESI_lENKUlvE_clEvENKUlvE1_clEvEUlS7_S7_E_S7_EEDaPvRmT3_T4_T5_mT6_P12ihipStream_tbENKUlT_T0_E_clISt17integral_constantIbLb0EESY_IbLb1EEEEDaSU_SV_EUlSU_E0_NS1_11comp_targetILNS1_3genE2ELNS1_11target_archE906ELNS1_3gpuE6ELNS1_3repE0EEENS1_30default_config_static_selectorELNS0_4arch9wavefront6targetE0EEEvT1_,"axG",@progbits,_ZN7rocprim17ROCPRIM_400000_NS6detail17trampoline_kernelINS0_14default_configENS1_20scan_config_selectorIN3c107complexIdEEEEZZNS1_9scan_implILNS1_25lookback_scan_determinismE0ELb0ELb0ES3_PKS7_PS7_S7_ZZZN2at6native31launch_logcumsumexp_cuda_kernelERKNSE_10TensorBaseESI_lENKUlvE_clEvENKUlvE1_clEvEUlS7_S7_E_S7_EEDaPvRmT3_T4_T5_mT6_P12ihipStream_tbENKUlT_T0_E_clISt17integral_constantIbLb0EESY_IbLb1EEEEDaSU_SV_EUlSU_E0_NS1_11comp_targetILNS1_3genE2ELNS1_11target_archE906ELNS1_3gpuE6ELNS1_3repE0EEENS1_30default_config_static_selectorELNS0_4arch9wavefront6targetE0EEEvT1_,comdat
	.globl	_ZN7rocprim17ROCPRIM_400000_NS6detail17trampoline_kernelINS0_14default_configENS1_20scan_config_selectorIN3c107complexIdEEEEZZNS1_9scan_implILNS1_25lookback_scan_determinismE0ELb0ELb0ES3_PKS7_PS7_S7_ZZZN2at6native31launch_logcumsumexp_cuda_kernelERKNSE_10TensorBaseESI_lENKUlvE_clEvENKUlvE1_clEvEUlS7_S7_E_S7_EEDaPvRmT3_T4_T5_mT6_P12ihipStream_tbENKUlT_T0_E_clISt17integral_constantIbLb0EESY_IbLb1EEEEDaSU_SV_EUlSU_E0_NS1_11comp_targetILNS1_3genE2ELNS1_11target_archE906ELNS1_3gpuE6ELNS1_3repE0EEENS1_30default_config_static_selectorELNS0_4arch9wavefront6targetE0EEEvT1_ ; -- Begin function _ZN7rocprim17ROCPRIM_400000_NS6detail17trampoline_kernelINS0_14default_configENS1_20scan_config_selectorIN3c107complexIdEEEEZZNS1_9scan_implILNS1_25lookback_scan_determinismE0ELb0ELb0ES3_PKS7_PS7_S7_ZZZN2at6native31launch_logcumsumexp_cuda_kernelERKNSE_10TensorBaseESI_lENKUlvE_clEvENKUlvE1_clEvEUlS7_S7_E_S7_EEDaPvRmT3_T4_T5_mT6_P12ihipStream_tbENKUlT_T0_E_clISt17integral_constantIbLb0EESY_IbLb1EEEEDaSU_SV_EUlSU_E0_NS1_11comp_targetILNS1_3genE2ELNS1_11target_archE906ELNS1_3gpuE6ELNS1_3repE0EEENS1_30default_config_static_selectorELNS0_4arch9wavefront6targetE0EEEvT1_
	.p2align	8
	.type	_ZN7rocprim17ROCPRIM_400000_NS6detail17trampoline_kernelINS0_14default_configENS1_20scan_config_selectorIN3c107complexIdEEEEZZNS1_9scan_implILNS1_25lookback_scan_determinismE0ELb0ELb0ES3_PKS7_PS7_S7_ZZZN2at6native31launch_logcumsumexp_cuda_kernelERKNSE_10TensorBaseESI_lENKUlvE_clEvENKUlvE1_clEvEUlS7_S7_E_S7_EEDaPvRmT3_T4_T5_mT6_P12ihipStream_tbENKUlT_T0_E_clISt17integral_constantIbLb0EESY_IbLb1EEEEDaSU_SV_EUlSU_E0_NS1_11comp_targetILNS1_3genE2ELNS1_11target_archE906ELNS1_3gpuE6ELNS1_3repE0EEENS1_30default_config_static_selectorELNS0_4arch9wavefront6targetE0EEEvT1_,@function
_ZN7rocprim17ROCPRIM_400000_NS6detail17trampoline_kernelINS0_14default_configENS1_20scan_config_selectorIN3c107complexIdEEEEZZNS1_9scan_implILNS1_25lookback_scan_determinismE0ELb0ELb0ES3_PKS7_PS7_S7_ZZZN2at6native31launch_logcumsumexp_cuda_kernelERKNSE_10TensorBaseESI_lENKUlvE_clEvENKUlvE1_clEvEUlS7_S7_E_S7_EEDaPvRmT3_T4_T5_mT6_P12ihipStream_tbENKUlT_T0_E_clISt17integral_constantIbLb0EESY_IbLb1EEEEDaSU_SV_EUlSU_E0_NS1_11comp_targetILNS1_3genE2ELNS1_11target_archE906ELNS1_3gpuE6ELNS1_3repE0EEENS1_30default_config_static_selectorELNS0_4arch9wavefront6targetE0EEEvT1_: ; @_ZN7rocprim17ROCPRIM_400000_NS6detail17trampoline_kernelINS0_14default_configENS1_20scan_config_selectorIN3c107complexIdEEEEZZNS1_9scan_implILNS1_25lookback_scan_determinismE0ELb0ELb0ES3_PKS7_PS7_S7_ZZZN2at6native31launch_logcumsumexp_cuda_kernelERKNSE_10TensorBaseESI_lENKUlvE_clEvENKUlvE1_clEvEUlS7_S7_E_S7_EEDaPvRmT3_T4_T5_mT6_P12ihipStream_tbENKUlT_T0_E_clISt17integral_constantIbLb0EESY_IbLb1EEEEDaSU_SV_EUlSU_E0_NS1_11comp_targetILNS1_3genE2ELNS1_11target_archE906ELNS1_3gpuE6ELNS1_3repE0EEENS1_30default_config_static_selectorELNS0_4arch9wavefront6targetE0EEEvT1_
; %bb.0:
	.section	.rodata,"a",@progbits
	.p2align	6, 0x0
	.amdhsa_kernel _ZN7rocprim17ROCPRIM_400000_NS6detail17trampoline_kernelINS0_14default_configENS1_20scan_config_selectorIN3c107complexIdEEEEZZNS1_9scan_implILNS1_25lookback_scan_determinismE0ELb0ELb0ES3_PKS7_PS7_S7_ZZZN2at6native31launch_logcumsumexp_cuda_kernelERKNSE_10TensorBaseESI_lENKUlvE_clEvENKUlvE1_clEvEUlS7_S7_E_S7_EEDaPvRmT3_T4_T5_mT6_P12ihipStream_tbENKUlT_T0_E_clISt17integral_constantIbLb0EESY_IbLb1EEEEDaSU_SV_EUlSU_E0_NS1_11comp_targetILNS1_3genE2ELNS1_11target_archE906ELNS1_3gpuE6ELNS1_3repE0EEENS1_30default_config_static_selectorELNS0_4arch9wavefront6targetE0EEEvT1_
		.amdhsa_group_segment_fixed_size 0
		.amdhsa_private_segment_fixed_size 0
		.amdhsa_kernarg_size 48
		.amdhsa_user_sgpr_count 15
		.amdhsa_user_sgpr_dispatch_ptr 0
		.amdhsa_user_sgpr_queue_ptr 0
		.amdhsa_user_sgpr_kernarg_segment_ptr 1
		.amdhsa_user_sgpr_dispatch_id 0
		.amdhsa_user_sgpr_private_segment_size 0
		.amdhsa_wavefront_size32 1
		.amdhsa_uses_dynamic_stack 0
		.amdhsa_enable_private_segment 0
		.amdhsa_system_sgpr_workgroup_id_x 1
		.amdhsa_system_sgpr_workgroup_id_y 0
		.amdhsa_system_sgpr_workgroup_id_z 0
		.amdhsa_system_sgpr_workgroup_info 0
		.amdhsa_system_vgpr_workitem_id 0
		.amdhsa_next_free_vgpr 1
		.amdhsa_next_free_sgpr 1
		.amdhsa_reserve_vcc 0
		.amdhsa_float_round_mode_32 0
		.amdhsa_float_round_mode_16_64 0
		.amdhsa_float_denorm_mode_32 3
		.amdhsa_float_denorm_mode_16_64 3
		.amdhsa_dx10_clamp 1
		.amdhsa_ieee_mode 1
		.amdhsa_fp16_overflow 0
		.amdhsa_workgroup_processor_mode 1
		.amdhsa_memory_ordered 1
		.amdhsa_forward_progress 0
		.amdhsa_shared_vgpr_count 0
		.amdhsa_exception_fp_ieee_invalid_op 0
		.amdhsa_exception_fp_denorm_src 0
		.amdhsa_exception_fp_ieee_div_zero 0
		.amdhsa_exception_fp_ieee_overflow 0
		.amdhsa_exception_fp_ieee_underflow 0
		.amdhsa_exception_fp_ieee_inexact 0
		.amdhsa_exception_int_div_zero 0
	.end_amdhsa_kernel
	.section	.text._ZN7rocprim17ROCPRIM_400000_NS6detail17trampoline_kernelINS0_14default_configENS1_20scan_config_selectorIN3c107complexIdEEEEZZNS1_9scan_implILNS1_25lookback_scan_determinismE0ELb0ELb0ES3_PKS7_PS7_S7_ZZZN2at6native31launch_logcumsumexp_cuda_kernelERKNSE_10TensorBaseESI_lENKUlvE_clEvENKUlvE1_clEvEUlS7_S7_E_S7_EEDaPvRmT3_T4_T5_mT6_P12ihipStream_tbENKUlT_T0_E_clISt17integral_constantIbLb0EESY_IbLb1EEEEDaSU_SV_EUlSU_E0_NS1_11comp_targetILNS1_3genE2ELNS1_11target_archE906ELNS1_3gpuE6ELNS1_3repE0EEENS1_30default_config_static_selectorELNS0_4arch9wavefront6targetE0EEEvT1_,"axG",@progbits,_ZN7rocprim17ROCPRIM_400000_NS6detail17trampoline_kernelINS0_14default_configENS1_20scan_config_selectorIN3c107complexIdEEEEZZNS1_9scan_implILNS1_25lookback_scan_determinismE0ELb0ELb0ES3_PKS7_PS7_S7_ZZZN2at6native31launch_logcumsumexp_cuda_kernelERKNSE_10TensorBaseESI_lENKUlvE_clEvENKUlvE1_clEvEUlS7_S7_E_S7_EEDaPvRmT3_T4_T5_mT6_P12ihipStream_tbENKUlT_T0_E_clISt17integral_constantIbLb0EESY_IbLb1EEEEDaSU_SV_EUlSU_E0_NS1_11comp_targetILNS1_3genE2ELNS1_11target_archE906ELNS1_3gpuE6ELNS1_3repE0EEENS1_30default_config_static_selectorELNS0_4arch9wavefront6targetE0EEEvT1_,comdat
.Lfunc_end258:
	.size	_ZN7rocprim17ROCPRIM_400000_NS6detail17trampoline_kernelINS0_14default_configENS1_20scan_config_selectorIN3c107complexIdEEEEZZNS1_9scan_implILNS1_25lookback_scan_determinismE0ELb0ELb0ES3_PKS7_PS7_S7_ZZZN2at6native31launch_logcumsumexp_cuda_kernelERKNSE_10TensorBaseESI_lENKUlvE_clEvENKUlvE1_clEvEUlS7_S7_E_S7_EEDaPvRmT3_T4_T5_mT6_P12ihipStream_tbENKUlT_T0_E_clISt17integral_constantIbLb0EESY_IbLb1EEEEDaSU_SV_EUlSU_E0_NS1_11comp_targetILNS1_3genE2ELNS1_11target_archE906ELNS1_3gpuE6ELNS1_3repE0EEENS1_30default_config_static_selectorELNS0_4arch9wavefront6targetE0EEEvT1_, .Lfunc_end258-_ZN7rocprim17ROCPRIM_400000_NS6detail17trampoline_kernelINS0_14default_configENS1_20scan_config_selectorIN3c107complexIdEEEEZZNS1_9scan_implILNS1_25lookback_scan_determinismE0ELb0ELb0ES3_PKS7_PS7_S7_ZZZN2at6native31launch_logcumsumexp_cuda_kernelERKNSE_10TensorBaseESI_lENKUlvE_clEvENKUlvE1_clEvEUlS7_S7_E_S7_EEDaPvRmT3_T4_T5_mT6_P12ihipStream_tbENKUlT_T0_E_clISt17integral_constantIbLb0EESY_IbLb1EEEEDaSU_SV_EUlSU_E0_NS1_11comp_targetILNS1_3genE2ELNS1_11target_archE906ELNS1_3gpuE6ELNS1_3repE0EEENS1_30default_config_static_selectorELNS0_4arch9wavefront6targetE0EEEvT1_
                                        ; -- End function
	.section	.AMDGPU.csdata,"",@progbits
; Kernel info:
; codeLenInByte = 0
; NumSgprs: 0
; NumVgprs: 0
; ScratchSize: 0
; MemoryBound: 0
; FloatMode: 240
; IeeeMode: 1
; LDSByteSize: 0 bytes/workgroup (compile time only)
; SGPRBlocks: 0
; VGPRBlocks: 0
; NumSGPRsForWavesPerEU: 1
; NumVGPRsForWavesPerEU: 1
; Occupancy: 16
; WaveLimiterHint : 0
; COMPUTE_PGM_RSRC2:SCRATCH_EN: 0
; COMPUTE_PGM_RSRC2:USER_SGPR: 15
; COMPUTE_PGM_RSRC2:TRAP_HANDLER: 0
; COMPUTE_PGM_RSRC2:TGID_X_EN: 1
; COMPUTE_PGM_RSRC2:TGID_Y_EN: 0
; COMPUTE_PGM_RSRC2:TGID_Z_EN: 0
; COMPUTE_PGM_RSRC2:TIDIG_COMP_CNT: 0
	.section	.text._ZN7rocprim17ROCPRIM_400000_NS6detail17trampoline_kernelINS0_14default_configENS1_20scan_config_selectorIN3c107complexIdEEEEZZNS1_9scan_implILNS1_25lookback_scan_determinismE0ELb0ELb0ES3_PKS7_PS7_S7_ZZZN2at6native31launch_logcumsumexp_cuda_kernelERKNSE_10TensorBaseESI_lENKUlvE_clEvENKUlvE1_clEvEUlS7_S7_E_S7_EEDaPvRmT3_T4_T5_mT6_P12ihipStream_tbENKUlT_T0_E_clISt17integral_constantIbLb0EESY_IbLb1EEEEDaSU_SV_EUlSU_E0_NS1_11comp_targetILNS1_3genE10ELNS1_11target_archE1201ELNS1_3gpuE5ELNS1_3repE0EEENS1_30default_config_static_selectorELNS0_4arch9wavefront6targetE0EEEvT1_,"axG",@progbits,_ZN7rocprim17ROCPRIM_400000_NS6detail17trampoline_kernelINS0_14default_configENS1_20scan_config_selectorIN3c107complexIdEEEEZZNS1_9scan_implILNS1_25lookback_scan_determinismE0ELb0ELb0ES3_PKS7_PS7_S7_ZZZN2at6native31launch_logcumsumexp_cuda_kernelERKNSE_10TensorBaseESI_lENKUlvE_clEvENKUlvE1_clEvEUlS7_S7_E_S7_EEDaPvRmT3_T4_T5_mT6_P12ihipStream_tbENKUlT_T0_E_clISt17integral_constantIbLb0EESY_IbLb1EEEEDaSU_SV_EUlSU_E0_NS1_11comp_targetILNS1_3genE10ELNS1_11target_archE1201ELNS1_3gpuE5ELNS1_3repE0EEENS1_30default_config_static_selectorELNS0_4arch9wavefront6targetE0EEEvT1_,comdat
	.globl	_ZN7rocprim17ROCPRIM_400000_NS6detail17trampoline_kernelINS0_14default_configENS1_20scan_config_selectorIN3c107complexIdEEEEZZNS1_9scan_implILNS1_25lookback_scan_determinismE0ELb0ELb0ES3_PKS7_PS7_S7_ZZZN2at6native31launch_logcumsumexp_cuda_kernelERKNSE_10TensorBaseESI_lENKUlvE_clEvENKUlvE1_clEvEUlS7_S7_E_S7_EEDaPvRmT3_T4_T5_mT6_P12ihipStream_tbENKUlT_T0_E_clISt17integral_constantIbLb0EESY_IbLb1EEEEDaSU_SV_EUlSU_E0_NS1_11comp_targetILNS1_3genE10ELNS1_11target_archE1201ELNS1_3gpuE5ELNS1_3repE0EEENS1_30default_config_static_selectorELNS0_4arch9wavefront6targetE0EEEvT1_ ; -- Begin function _ZN7rocprim17ROCPRIM_400000_NS6detail17trampoline_kernelINS0_14default_configENS1_20scan_config_selectorIN3c107complexIdEEEEZZNS1_9scan_implILNS1_25lookback_scan_determinismE0ELb0ELb0ES3_PKS7_PS7_S7_ZZZN2at6native31launch_logcumsumexp_cuda_kernelERKNSE_10TensorBaseESI_lENKUlvE_clEvENKUlvE1_clEvEUlS7_S7_E_S7_EEDaPvRmT3_T4_T5_mT6_P12ihipStream_tbENKUlT_T0_E_clISt17integral_constantIbLb0EESY_IbLb1EEEEDaSU_SV_EUlSU_E0_NS1_11comp_targetILNS1_3genE10ELNS1_11target_archE1201ELNS1_3gpuE5ELNS1_3repE0EEENS1_30default_config_static_selectorELNS0_4arch9wavefront6targetE0EEEvT1_
	.p2align	8
	.type	_ZN7rocprim17ROCPRIM_400000_NS6detail17trampoline_kernelINS0_14default_configENS1_20scan_config_selectorIN3c107complexIdEEEEZZNS1_9scan_implILNS1_25lookback_scan_determinismE0ELb0ELb0ES3_PKS7_PS7_S7_ZZZN2at6native31launch_logcumsumexp_cuda_kernelERKNSE_10TensorBaseESI_lENKUlvE_clEvENKUlvE1_clEvEUlS7_S7_E_S7_EEDaPvRmT3_T4_T5_mT6_P12ihipStream_tbENKUlT_T0_E_clISt17integral_constantIbLb0EESY_IbLb1EEEEDaSU_SV_EUlSU_E0_NS1_11comp_targetILNS1_3genE10ELNS1_11target_archE1201ELNS1_3gpuE5ELNS1_3repE0EEENS1_30default_config_static_selectorELNS0_4arch9wavefront6targetE0EEEvT1_,@function
_ZN7rocprim17ROCPRIM_400000_NS6detail17trampoline_kernelINS0_14default_configENS1_20scan_config_selectorIN3c107complexIdEEEEZZNS1_9scan_implILNS1_25lookback_scan_determinismE0ELb0ELb0ES3_PKS7_PS7_S7_ZZZN2at6native31launch_logcumsumexp_cuda_kernelERKNSE_10TensorBaseESI_lENKUlvE_clEvENKUlvE1_clEvEUlS7_S7_E_S7_EEDaPvRmT3_T4_T5_mT6_P12ihipStream_tbENKUlT_T0_E_clISt17integral_constantIbLb0EESY_IbLb1EEEEDaSU_SV_EUlSU_E0_NS1_11comp_targetILNS1_3genE10ELNS1_11target_archE1201ELNS1_3gpuE5ELNS1_3repE0EEENS1_30default_config_static_selectorELNS0_4arch9wavefront6targetE0EEEvT1_: ; @_ZN7rocprim17ROCPRIM_400000_NS6detail17trampoline_kernelINS0_14default_configENS1_20scan_config_selectorIN3c107complexIdEEEEZZNS1_9scan_implILNS1_25lookback_scan_determinismE0ELb0ELb0ES3_PKS7_PS7_S7_ZZZN2at6native31launch_logcumsumexp_cuda_kernelERKNSE_10TensorBaseESI_lENKUlvE_clEvENKUlvE1_clEvEUlS7_S7_E_S7_EEDaPvRmT3_T4_T5_mT6_P12ihipStream_tbENKUlT_T0_E_clISt17integral_constantIbLb0EESY_IbLb1EEEEDaSU_SV_EUlSU_E0_NS1_11comp_targetILNS1_3genE10ELNS1_11target_archE1201ELNS1_3gpuE5ELNS1_3repE0EEENS1_30default_config_static_selectorELNS0_4arch9wavefront6targetE0EEEvT1_
; %bb.0:
	.section	.rodata,"a",@progbits
	.p2align	6, 0x0
	.amdhsa_kernel _ZN7rocprim17ROCPRIM_400000_NS6detail17trampoline_kernelINS0_14default_configENS1_20scan_config_selectorIN3c107complexIdEEEEZZNS1_9scan_implILNS1_25lookback_scan_determinismE0ELb0ELb0ES3_PKS7_PS7_S7_ZZZN2at6native31launch_logcumsumexp_cuda_kernelERKNSE_10TensorBaseESI_lENKUlvE_clEvENKUlvE1_clEvEUlS7_S7_E_S7_EEDaPvRmT3_T4_T5_mT6_P12ihipStream_tbENKUlT_T0_E_clISt17integral_constantIbLb0EESY_IbLb1EEEEDaSU_SV_EUlSU_E0_NS1_11comp_targetILNS1_3genE10ELNS1_11target_archE1201ELNS1_3gpuE5ELNS1_3repE0EEENS1_30default_config_static_selectorELNS0_4arch9wavefront6targetE0EEEvT1_
		.amdhsa_group_segment_fixed_size 0
		.amdhsa_private_segment_fixed_size 0
		.amdhsa_kernarg_size 48
		.amdhsa_user_sgpr_count 15
		.amdhsa_user_sgpr_dispatch_ptr 0
		.amdhsa_user_sgpr_queue_ptr 0
		.amdhsa_user_sgpr_kernarg_segment_ptr 1
		.amdhsa_user_sgpr_dispatch_id 0
		.amdhsa_user_sgpr_private_segment_size 0
		.amdhsa_wavefront_size32 1
		.amdhsa_uses_dynamic_stack 0
		.amdhsa_enable_private_segment 0
		.amdhsa_system_sgpr_workgroup_id_x 1
		.amdhsa_system_sgpr_workgroup_id_y 0
		.amdhsa_system_sgpr_workgroup_id_z 0
		.amdhsa_system_sgpr_workgroup_info 0
		.amdhsa_system_vgpr_workitem_id 0
		.amdhsa_next_free_vgpr 1
		.amdhsa_next_free_sgpr 1
		.amdhsa_reserve_vcc 0
		.amdhsa_float_round_mode_32 0
		.amdhsa_float_round_mode_16_64 0
		.amdhsa_float_denorm_mode_32 3
		.amdhsa_float_denorm_mode_16_64 3
		.amdhsa_dx10_clamp 1
		.amdhsa_ieee_mode 1
		.amdhsa_fp16_overflow 0
		.amdhsa_workgroup_processor_mode 1
		.amdhsa_memory_ordered 1
		.amdhsa_forward_progress 0
		.amdhsa_shared_vgpr_count 0
		.amdhsa_exception_fp_ieee_invalid_op 0
		.amdhsa_exception_fp_denorm_src 0
		.amdhsa_exception_fp_ieee_div_zero 0
		.amdhsa_exception_fp_ieee_overflow 0
		.amdhsa_exception_fp_ieee_underflow 0
		.amdhsa_exception_fp_ieee_inexact 0
		.amdhsa_exception_int_div_zero 0
	.end_amdhsa_kernel
	.section	.text._ZN7rocprim17ROCPRIM_400000_NS6detail17trampoline_kernelINS0_14default_configENS1_20scan_config_selectorIN3c107complexIdEEEEZZNS1_9scan_implILNS1_25lookback_scan_determinismE0ELb0ELb0ES3_PKS7_PS7_S7_ZZZN2at6native31launch_logcumsumexp_cuda_kernelERKNSE_10TensorBaseESI_lENKUlvE_clEvENKUlvE1_clEvEUlS7_S7_E_S7_EEDaPvRmT3_T4_T5_mT6_P12ihipStream_tbENKUlT_T0_E_clISt17integral_constantIbLb0EESY_IbLb1EEEEDaSU_SV_EUlSU_E0_NS1_11comp_targetILNS1_3genE10ELNS1_11target_archE1201ELNS1_3gpuE5ELNS1_3repE0EEENS1_30default_config_static_selectorELNS0_4arch9wavefront6targetE0EEEvT1_,"axG",@progbits,_ZN7rocprim17ROCPRIM_400000_NS6detail17trampoline_kernelINS0_14default_configENS1_20scan_config_selectorIN3c107complexIdEEEEZZNS1_9scan_implILNS1_25lookback_scan_determinismE0ELb0ELb0ES3_PKS7_PS7_S7_ZZZN2at6native31launch_logcumsumexp_cuda_kernelERKNSE_10TensorBaseESI_lENKUlvE_clEvENKUlvE1_clEvEUlS7_S7_E_S7_EEDaPvRmT3_T4_T5_mT6_P12ihipStream_tbENKUlT_T0_E_clISt17integral_constantIbLb0EESY_IbLb1EEEEDaSU_SV_EUlSU_E0_NS1_11comp_targetILNS1_3genE10ELNS1_11target_archE1201ELNS1_3gpuE5ELNS1_3repE0EEENS1_30default_config_static_selectorELNS0_4arch9wavefront6targetE0EEEvT1_,comdat
.Lfunc_end259:
	.size	_ZN7rocprim17ROCPRIM_400000_NS6detail17trampoline_kernelINS0_14default_configENS1_20scan_config_selectorIN3c107complexIdEEEEZZNS1_9scan_implILNS1_25lookback_scan_determinismE0ELb0ELb0ES3_PKS7_PS7_S7_ZZZN2at6native31launch_logcumsumexp_cuda_kernelERKNSE_10TensorBaseESI_lENKUlvE_clEvENKUlvE1_clEvEUlS7_S7_E_S7_EEDaPvRmT3_T4_T5_mT6_P12ihipStream_tbENKUlT_T0_E_clISt17integral_constantIbLb0EESY_IbLb1EEEEDaSU_SV_EUlSU_E0_NS1_11comp_targetILNS1_3genE10ELNS1_11target_archE1201ELNS1_3gpuE5ELNS1_3repE0EEENS1_30default_config_static_selectorELNS0_4arch9wavefront6targetE0EEEvT1_, .Lfunc_end259-_ZN7rocprim17ROCPRIM_400000_NS6detail17trampoline_kernelINS0_14default_configENS1_20scan_config_selectorIN3c107complexIdEEEEZZNS1_9scan_implILNS1_25lookback_scan_determinismE0ELb0ELb0ES3_PKS7_PS7_S7_ZZZN2at6native31launch_logcumsumexp_cuda_kernelERKNSE_10TensorBaseESI_lENKUlvE_clEvENKUlvE1_clEvEUlS7_S7_E_S7_EEDaPvRmT3_T4_T5_mT6_P12ihipStream_tbENKUlT_T0_E_clISt17integral_constantIbLb0EESY_IbLb1EEEEDaSU_SV_EUlSU_E0_NS1_11comp_targetILNS1_3genE10ELNS1_11target_archE1201ELNS1_3gpuE5ELNS1_3repE0EEENS1_30default_config_static_selectorELNS0_4arch9wavefront6targetE0EEEvT1_
                                        ; -- End function
	.section	.AMDGPU.csdata,"",@progbits
; Kernel info:
; codeLenInByte = 0
; NumSgprs: 0
; NumVgprs: 0
; ScratchSize: 0
; MemoryBound: 0
; FloatMode: 240
; IeeeMode: 1
; LDSByteSize: 0 bytes/workgroup (compile time only)
; SGPRBlocks: 0
; VGPRBlocks: 0
; NumSGPRsForWavesPerEU: 1
; NumVGPRsForWavesPerEU: 1
; Occupancy: 16
; WaveLimiterHint : 0
; COMPUTE_PGM_RSRC2:SCRATCH_EN: 0
; COMPUTE_PGM_RSRC2:USER_SGPR: 15
; COMPUTE_PGM_RSRC2:TRAP_HANDLER: 0
; COMPUTE_PGM_RSRC2:TGID_X_EN: 1
; COMPUTE_PGM_RSRC2:TGID_Y_EN: 0
; COMPUTE_PGM_RSRC2:TGID_Z_EN: 0
; COMPUTE_PGM_RSRC2:TIDIG_COMP_CNT: 0
	.section	.text._ZN7rocprim17ROCPRIM_400000_NS6detail17trampoline_kernelINS0_14default_configENS1_20scan_config_selectorIN3c107complexIdEEEEZZNS1_9scan_implILNS1_25lookback_scan_determinismE0ELb0ELb0ES3_PKS7_PS7_S7_ZZZN2at6native31launch_logcumsumexp_cuda_kernelERKNSE_10TensorBaseESI_lENKUlvE_clEvENKUlvE1_clEvEUlS7_S7_E_S7_EEDaPvRmT3_T4_T5_mT6_P12ihipStream_tbENKUlT_T0_E_clISt17integral_constantIbLb0EESY_IbLb1EEEEDaSU_SV_EUlSU_E0_NS1_11comp_targetILNS1_3genE10ELNS1_11target_archE1200ELNS1_3gpuE4ELNS1_3repE0EEENS1_30default_config_static_selectorELNS0_4arch9wavefront6targetE0EEEvT1_,"axG",@progbits,_ZN7rocprim17ROCPRIM_400000_NS6detail17trampoline_kernelINS0_14default_configENS1_20scan_config_selectorIN3c107complexIdEEEEZZNS1_9scan_implILNS1_25lookback_scan_determinismE0ELb0ELb0ES3_PKS7_PS7_S7_ZZZN2at6native31launch_logcumsumexp_cuda_kernelERKNSE_10TensorBaseESI_lENKUlvE_clEvENKUlvE1_clEvEUlS7_S7_E_S7_EEDaPvRmT3_T4_T5_mT6_P12ihipStream_tbENKUlT_T0_E_clISt17integral_constantIbLb0EESY_IbLb1EEEEDaSU_SV_EUlSU_E0_NS1_11comp_targetILNS1_3genE10ELNS1_11target_archE1200ELNS1_3gpuE4ELNS1_3repE0EEENS1_30default_config_static_selectorELNS0_4arch9wavefront6targetE0EEEvT1_,comdat
	.globl	_ZN7rocprim17ROCPRIM_400000_NS6detail17trampoline_kernelINS0_14default_configENS1_20scan_config_selectorIN3c107complexIdEEEEZZNS1_9scan_implILNS1_25lookback_scan_determinismE0ELb0ELb0ES3_PKS7_PS7_S7_ZZZN2at6native31launch_logcumsumexp_cuda_kernelERKNSE_10TensorBaseESI_lENKUlvE_clEvENKUlvE1_clEvEUlS7_S7_E_S7_EEDaPvRmT3_T4_T5_mT6_P12ihipStream_tbENKUlT_T0_E_clISt17integral_constantIbLb0EESY_IbLb1EEEEDaSU_SV_EUlSU_E0_NS1_11comp_targetILNS1_3genE10ELNS1_11target_archE1200ELNS1_3gpuE4ELNS1_3repE0EEENS1_30default_config_static_selectorELNS0_4arch9wavefront6targetE0EEEvT1_ ; -- Begin function _ZN7rocprim17ROCPRIM_400000_NS6detail17trampoline_kernelINS0_14default_configENS1_20scan_config_selectorIN3c107complexIdEEEEZZNS1_9scan_implILNS1_25lookback_scan_determinismE0ELb0ELb0ES3_PKS7_PS7_S7_ZZZN2at6native31launch_logcumsumexp_cuda_kernelERKNSE_10TensorBaseESI_lENKUlvE_clEvENKUlvE1_clEvEUlS7_S7_E_S7_EEDaPvRmT3_T4_T5_mT6_P12ihipStream_tbENKUlT_T0_E_clISt17integral_constantIbLb0EESY_IbLb1EEEEDaSU_SV_EUlSU_E0_NS1_11comp_targetILNS1_3genE10ELNS1_11target_archE1200ELNS1_3gpuE4ELNS1_3repE0EEENS1_30default_config_static_selectorELNS0_4arch9wavefront6targetE0EEEvT1_
	.p2align	8
	.type	_ZN7rocprim17ROCPRIM_400000_NS6detail17trampoline_kernelINS0_14default_configENS1_20scan_config_selectorIN3c107complexIdEEEEZZNS1_9scan_implILNS1_25lookback_scan_determinismE0ELb0ELb0ES3_PKS7_PS7_S7_ZZZN2at6native31launch_logcumsumexp_cuda_kernelERKNSE_10TensorBaseESI_lENKUlvE_clEvENKUlvE1_clEvEUlS7_S7_E_S7_EEDaPvRmT3_T4_T5_mT6_P12ihipStream_tbENKUlT_T0_E_clISt17integral_constantIbLb0EESY_IbLb1EEEEDaSU_SV_EUlSU_E0_NS1_11comp_targetILNS1_3genE10ELNS1_11target_archE1200ELNS1_3gpuE4ELNS1_3repE0EEENS1_30default_config_static_selectorELNS0_4arch9wavefront6targetE0EEEvT1_,@function
_ZN7rocprim17ROCPRIM_400000_NS6detail17trampoline_kernelINS0_14default_configENS1_20scan_config_selectorIN3c107complexIdEEEEZZNS1_9scan_implILNS1_25lookback_scan_determinismE0ELb0ELb0ES3_PKS7_PS7_S7_ZZZN2at6native31launch_logcumsumexp_cuda_kernelERKNSE_10TensorBaseESI_lENKUlvE_clEvENKUlvE1_clEvEUlS7_S7_E_S7_EEDaPvRmT3_T4_T5_mT6_P12ihipStream_tbENKUlT_T0_E_clISt17integral_constantIbLb0EESY_IbLb1EEEEDaSU_SV_EUlSU_E0_NS1_11comp_targetILNS1_3genE10ELNS1_11target_archE1200ELNS1_3gpuE4ELNS1_3repE0EEENS1_30default_config_static_selectorELNS0_4arch9wavefront6targetE0EEEvT1_: ; @_ZN7rocprim17ROCPRIM_400000_NS6detail17trampoline_kernelINS0_14default_configENS1_20scan_config_selectorIN3c107complexIdEEEEZZNS1_9scan_implILNS1_25lookback_scan_determinismE0ELb0ELb0ES3_PKS7_PS7_S7_ZZZN2at6native31launch_logcumsumexp_cuda_kernelERKNSE_10TensorBaseESI_lENKUlvE_clEvENKUlvE1_clEvEUlS7_S7_E_S7_EEDaPvRmT3_T4_T5_mT6_P12ihipStream_tbENKUlT_T0_E_clISt17integral_constantIbLb0EESY_IbLb1EEEEDaSU_SV_EUlSU_E0_NS1_11comp_targetILNS1_3genE10ELNS1_11target_archE1200ELNS1_3gpuE4ELNS1_3repE0EEENS1_30default_config_static_selectorELNS0_4arch9wavefront6targetE0EEEvT1_
; %bb.0:
	.section	.rodata,"a",@progbits
	.p2align	6, 0x0
	.amdhsa_kernel _ZN7rocprim17ROCPRIM_400000_NS6detail17trampoline_kernelINS0_14default_configENS1_20scan_config_selectorIN3c107complexIdEEEEZZNS1_9scan_implILNS1_25lookback_scan_determinismE0ELb0ELb0ES3_PKS7_PS7_S7_ZZZN2at6native31launch_logcumsumexp_cuda_kernelERKNSE_10TensorBaseESI_lENKUlvE_clEvENKUlvE1_clEvEUlS7_S7_E_S7_EEDaPvRmT3_T4_T5_mT6_P12ihipStream_tbENKUlT_T0_E_clISt17integral_constantIbLb0EESY_IbLb1EEEEDaSU_SV_EUlSU_E0_NS1_11comp_targetILNS1_3genE10ELNS1_11target_archE1200ELNS1_3gpuE4ELNS1_3repE0EEENS1_30default_config_static_selectorELNS0_4arch9wavefront6targetE0EEEvT1_
		.amdhsa_group_segment_fixed_size 0
		.amdhsa_private_segment_fixed_size 0
		.amdhsa_kernarg_size 48
		.amdhsa_user_sgpr_count 15
		.amdhsa_user_sgpr_dispatch_ptr 0
		.amdhsa_user_sgpr_queue_ptr 0
		.amdhsa_user_sgpr_kernarg_segment_ptr 1
		.amdhsa_user_sgpr_dispatch_id 0
		.amdhsa_user_sgpr_private_segment_size 0
		.amdhsa_wavefront_size32 1
		.amdhsa_uses_dynamic_stack 0
		.amdhsa_enable_private_segment 0
		.amdhsa_system_sgpr_workgroup_id_x 1
		.amdhsa_system_sgpr_workgroup_id_y 0
		.amdhsa_system_sgpr_workgroup_id_z 0
		.amdhsa_system_sgpr_workgroup_info 0
		.amdhsa_system_vgpr_workitem_id 0
		.amdhsa_next_free_vgpr 1
		.amdhsa_next_free_sgpr 1
		.amdhsa_reserve_vcc 0
		.amdhsa_float_round_mode_32 0
		.amdhsa_float_round_mode_16_64 0
		.amdhsa_float_denorm_mode_32 3
		.amdhsa_float_denorm_mode_16_64 3
		.amdhsa_dx10_clamp 1
		.amdhsa_ieee_mode 1
		.amdhsa_fp16_overflow 0
		.amdhsa_workgroup_processor_mode 1
		.amdhsa_memory_ordered 1
		.amdhsa_forward_progress 0
		.amdhsa_shared_vgpr_count 0
		.amdhsa_exception_fp_ieee_invalid_op 0
		.amdhsa_exception_fp_denorm_src 0
		.amdhsa_exception_fp_ieee_div_zero 0
		.amdhsa_exception_fp_ieee_overflow 0
		.amdhsa_exception_fp_ieee_underflow 0
		.amdhsa_exception_fp_ieee_inexact 0
		.amdhsa_exception_int_div_zero 0
	.end_amdhsa_kernel
	.section	.text._ZN7rocprim17ROCPRIM_400000_NS6detail17trampoline_kernelINS0_14default_configENS1_20scan_config_selectorIN3c107complexIdEEEEZZNS1_9scan_implILNS1_25lookback_scan_determinismE0ELb0ELb0ES3_PKS7_PS7_S7_ZZZN2at6native31launch_logcumsumexp_cuda_kernelERKNSE_10TensorBaseESI_lENKUlvE_clEvENKUlvE1_clEvEUlS7_S7_E_S7_EEDaPvRmT3_T4_T5_mT6_P12ihipStream_tbENKUlT_T0_E_clISt17integral_constantIbLb0EESY_IbLb1EEEEDaSU_SV_EUlSU_E0_NS1_11comp_targetILNS1_3genE10ELNS1_11target_archE1200ELNS1_3gpuE4ELNS1_3repE0EEENS1_30default_config_static_selectorELNS0_4arch9wavefront6targetE0EEEvT1_,"axG",@progbits,_ZN7rocprim17ROCPRIM_400000_NS6detail17trampoline_kernelINS0_14default_configENS1_20scan_config_selectorIN3c107complexIdEEEEZZNS1_9scan_implILNS1_25lookback_scan_determinismE0ELb0ELb0ES3_PKS7_PS7_S7_ZZZN2at6native31launch_logcumsumexp_cuda_kernelERKNSE_10TensorBaseESI_lENKUlvE_clEvENKUlvE1_clEvEUlS7_S7_E_S7_EEDaPvRmT3_T4_T5_mT6_P12ihipStream_tbENKUlT_T0_E_clISt17integral_constantIbLb0EESY_IbLb1EEEEDaSU_SV_EUlSU_E0_NS1_11comp_targetILNS1_3genE10ELNS1_11target_archE1200ELNS1_3gpuE4ELNS1_3repE0EEENS1_30default_config_static_selectorELNS0_4arch9wavefront6targetE0EEEvT1_,comdat
.Lfunc_end260:
	.size	_ZN7rocprim17ROCPRIM_400000_NS6detail17trampoline_kernelINS0_14default_configENS1_20scan_config_selectorIN3c107complexIdEEEEZZNS1_9scan_implILNS1_25lookback_scan_determinismE0ELb0ELb0ES3_PKS7_PS7_S7_ZZZN2at6native31launch_logcumsumexp_cuda_kernelERKNSE_10TensorBaseESI_lENKUlvE_clEvENKUlvE1_clEvEUlS7_S7_E_S7_EEDaPvRmT3_T4_T5_mT6_P12ihipStream_tbENKUlT_T0_E_clISt17integral_constantIbLb0EESY_IbLb1EEEEDaSU_SV_EUlSU_E0_NS1_11comp_targetILNS1_3genE10ELNS1_11target_archE1200ELNS1_3gpuE4ELNS1_3repE0EEENS1_30default_config_static_selectorELNS0_4arch9wavefront6targetE0EEEvT1_, .Lfunc_end260-_ZN7rocprim17ROCPRIM_400000_NS6detail17trampoline_kernelINS0_14default_configENS1_20scan_config_selectorIN3c107complexIdEEEEZZNS1_9scan_implILNS1_25lookback_scan_determinismE0ELb0ELb0ES3_PKS7_PS7_S7_ZZZN2at6native31launch_logcumsumexp_cuda_kernelERKNSE_10TensorBaseESI_lENKUlvE_clEvENKUlvE1_clEvEUlS7_S7_E_S7_EEDaPvRmT3_T4_T5_mT6_P12ihipStream_tbENKUlT_T0_E_clISt17integral_constantIbLb0EESY_IbLb1EEEEDaSU_SV_EUlSU_E0_NS1_11comp_targetILNS1_3genE10ELNS1_11target_archE1200ELNS1_3gpuE4ELNS1_3repE0EEENS1_30default_config_static_selectorELNS0_4arch9wavefront6targetE0EEEvT1_
                                        ; -- End function
	.section	.AMDGPU.csdata,"",@progbits
; Kernel info:
; codeLenInByte = 0
; NumSgprs: 0
; NumVgprs: 0
; ScratchSize: 0
; MemoryBound: 0
; FloatMode: 240
; IeeeMode: 1
; LDSByteSize: 0 bytes/workgroup (compile time only)
; SGPRBlocks: 0
; VGPRBlocks: 0
; NumSGPRsForWavesPerEU: 1
; NumVGPRsForWavesPerEU: 1
; Occupancy: 16
; WaveLimiterHint : 0
; COMPUTE_PGM_RSRC2:SCRATCH_EN: 0
; COMPUTE_PGM_RSRC2:USER_SGPR: 15
; COMPUTE_PGM_RSRC2:TRAP_HANDLER: 0
; COMPUTE_PGM_RSRC2:TGID_X_EN: 1
; COMPUTE_PGM_RSRC2:TGID_Y_EN: 0
; COMPUTE_PGM_RSRC2:TGID_Z_EN: 0
; COMPUTE_PGM_RSRC2:TIDIG_COMP_CNT: 0
	.section	.text._ZN7rocprim17ROCPRIM_400000_NS6detail17trampoline_kernelINS0_14default_configENS1_20scan_config_selectorIN3c107complexIdEEEEZZNS1_9scan_implILNS1_25lookback_scan_determinismE0ELb0ELb0ES3_PKS7_PS7_S7_ZZZN2at6native31launch_logcumsumexp_cuda_kernelERKNSE_10TensorBaseESI_lENKUlvE_clEvENKUlvE1_clEvEUlS7_S7_E_S7_EEDaPvRmT3_T4_T5_mT6_P12ihipStream_tbENKUlT_T0_E_clISt17integral_constantIbLb0EESY_IbLb1EEEEDaSU_SV_EUlSU_E0_NS1_11comp_targetILNS1_3genE9ELNS1_11target_archE1100ELNS1_3gpuE3ELNS1_3repE0EEENS1_30default_config_static_selectorELNS0_4arch9wavefront6targetE0EEEvT1_,"axG",@progbits,_ZN7rocprim17ROCPRIM_400000_NS6detail17trampoline_kernelINS0_14default_configENS1_20scan_config_selectorIN3c107complexIdEEEEZZNS1_9scan_implILNS1_25lookback_scan_determinismE0ELb0ELb0ES3_PKS7_PS7_S7_ZZZN2at6native31launch_logcumsumexp_cuda_kernelERKNSE_10TensorBaseESI_lENKUlvE_clEvENKUlvE1_clEvEUlS7_S7_E_S7_EEDaPvRmT3_T4_T5_mT6_P12ihipStream_tbENKUlT_T0_E_clISt17integral_constantIbLb0EESY_IbLb1EEEEDaSU_SV_EUlSU_E0_NS1_11comp_targetILNS1_3genE9ELNS1_11target_archE1100ELNS1_3gpuE3ELNS1_3repE0EEENS1_30default_config_static_selectorELNS0_4arch9wavefront6targetE0EEEvT1_,comdat
	.globl	_ZN7rocprim17ROCPRIM_400000_NS6detail17trampoline_kernelINS0_14default_configENS1_20scan_config_selectorIN3c107complexIdEEEEZZNS1_9scan_implILNS1_25lookback_scan_determinismE0ELb0ELb0ES3_PKS7_PS7_S7_ZZZN2at6native31launch_logcumsumexp_cuda_kernelERKNSE_10TensorBaseESI_lENKUlvE_clEvENKUlvE1_clEvEUlS7_S7_E_S7_EEDaPvRmT3_T4_T5_mT6_P12ihipStream_tbENKUlT_T0_E_clISt17integral_constantIbLb0EESY_IbLb1EEEEDaSU_SV_EUlSU_E0_NS1_11comp_targetILNS1_3genE9ELNS1_11target_archE1100ELNS1_3gpuE3ELNS1_3repE0EEENS1_30default_config_static_selectorELNS0_4arch9wavefront6targetE0EEEvT1_ ; -- Begin function _ZN7rocprim17ROCPRIM_400000_NS6detail17trampoline_kernelINS0_14default_configENS1_20scan_config_selectorIN3c107complexIdEEEEZZNS1_9scan_implILNS1_25lookback_scan_determinismE0ELb0ELb0ES3_PKS7_PS7_S7_ZZZN2at6native31launch_logcumsumexp_cuda_kernelERKNSE_10TensorBaseESI_lENKUlvE_clEvENKUlvE1_clEvEUlS7_S7_E_S7_EEDaPvRmT3_T4_T5_mT6_P12ihipStream_tbENKUlT_T0_E_clISt17integral_constantIbLb0EESY_IbLb1EEEEDaSU_SV_EUlSU_E0_NS1_11comp_targetILNS1_3genE9ELNS1_11target_archE1100ELNS1_3gpuE3ELNS1_3repE0EEENS1_30default_config_static_selectorELNS0_4arch9wavefront6targetE0EEEvT1_
	.p2align	8
	.type	_ZN7rocprim17ROCPRIM_400000_NS6detail17trampoline_kernelINS0_14default_configENS1_20scan_config_selectorIN3c107complexIdEEEEZZNS1_9scan_implILNS1_25lookback_scan_determinismE0ELb0ELb0ES3_PKS7_PS7_S7_ZZZN2at6native31launch_logcumsumexp_cuda_kernelERKNSE_10TensorBaseESI_lENKUlvE_clEvENKUlvE1_clEvEUlS7_S7_E_S7_EEDaPvRmT3_T4_T5_mT6_P12ihipStream_tbENKUlT_T0_E_clISt17integral_constantIbLb0EESY_IbLb1EEEEDaSU_SV_EUlSU_E0_NS1_11comp_targetILNS1_3genE9ELNS1_11target_archE1100ELNS1_3gpuE3ELNS1_3repE0EEENS1_30default_config_static_selectorELNS0_4arch9wavefront6targetE0EEEvT1_,@function
_ZN7rocprim17ROCPRIM_400000_NS6detail17trampoline_kernelINS0_14default_configENS1_20scan_config_selectorIN3c107complexIdEEEEZZNS1_9scan_implILNS1_25lookback_scan_determinismE0ELb0ELb0ES3_PKS7_PS7_S7_ZZZN2at6native31launch_logcumsumexp_cuda_kernelERKNSE_10TensorBaseESI_lENKUlvE_clEvENKUlvE1_clEvEUlS7_S7_E_S7_EEDaPvRmT3_T4_T5_mT6_P12ihipStream_tbENKUlT_T0_E_clISt17integral_constantIbLb0EESY_IbLb1EEEEDaSU_SV_EUlSU_E0_NS1_11comp_targetILNS1_3genE9ELNS1_11target_archE1100ELNS1_3gpuE3ELNS1_3repE0EEENS1_30default_config_static_selectorELNS0_4arch9wavefront6targetE0EEEvT1_: ; @_ZN7rocprim17ROCPRIM_400000_NS6detail17trampoline_kernelINS0_14default_configENS1_20scan_config_selectorIN3c107complexIdEEEEZZNS1_9scan_implILNS1_25lookback_scan_determinismE0ELb0ELb0ES3_PKS7_PS7_S7_ZZZN2at6native31launch_logcumsumexp_cuda_kernelERKNSE_10TensorBaseESI_lENKUlvE_clEvENKUlvE1_clEvEUlS7_S7_E_S7_EEDaPvRmT3_T4_T5_mT6_P12ihipStream_tbENKUlT_T0_E_clISt17integral_constantIbLb0EESY_IbLb1EEEEDaSU_SV_EUlSU_E0_NS1_11comp_targetILNS1_3genE9ELNS1_11target_archE1100ELNS1_3gpuE3ELNS1_3repE0EEENS1_30default_config_static_selectorELNS0_4arch9wavefront6targetE0EEEvT1_
; %bb.0:
	s_mov_b64 s[18:19], s[0:1]
	s_load_b128 s[0:3], s[0:1], 0x0
	s_mov_b32 s32, 0
	s_waitcnt lgkmcnt(0)
	s_load_b128 s[4:7], s[0:1], 0x0
	v_mov_b32_e32 v156, v0
	s_waitcnt lgkmcnt(0)
	v_dual_mov_b32 v2, s6 :: v_dual_mov_b32 v3, s7
	s_delay_alu instid0(VALU_DEP_2) | instskip(SKIP_2) | instid1(VALU_DEP_2)
	v_dual_mov_b32 v0, s4 :: v_dual_lshlrev_b32 v157, 4, v156
	v_cmp_gt_u32_e64 s17, s2, v156
	v_mov_b32_e32 v1, s5
	s_and_saveexec_b32 s3, s17
	s_cbranch_execz .LBB261_2
; %bb.1:
	global_load_b128 v[0:3], v157, s[0:1]
.LBB261_2:
	s_or_b32 exec_lo, exec_lo, s3
	v_or_b32_e32 v32, 0x100, v156
	v_dual_mov_b32 v6, s6 :: v_dual_mov_b32 v7, s7
	v_dual_mov_b32 v4, s4 :: v_dual_mov_b32 v5, s5
	s_delay_alu instid0(VALU_DEP_3) | instskip(NEXT) | instid1(VALU_DEP_1)
	v_cmp_gt_u32_e64 s20, s2, v32
	s_and_saveexec_b32 s3, s20
	s_cbranch_execz .LBB261_4
; %bb.3:
	v_lshlrev_b32_e32 v4, 4, v32
	global_load_b128 v[4:7], v4, s[0:1]
.LBB261_4:
	s_or_b32 exec_lo, exec_lo, s3
	v_or_b32_e32 v33, 0x200, v156
	v_dual_mov_b32 v11, s7 :: v_dual_mov_b32 v10, s6
	v_dual_mov_b32 v9, s5 :: v_dual_mov_b32 v8, s4
	s_delay_alu instid0(VALU_DEP_3) | instskip(NEXT) | instid1(VALU_DEP_1)
	v_cmp_gt_u32_e64 s21, s2, v33
	s_and_saveexec_b32 s3, s21
	s_cbranch_execz .LBB261_6
; %bb.5:
	v_lshlrev_b32_e32 v8, 4, v33
	global_load_b128 v[8:11], v8, s[0:1]
.LBB261_6:
	;; [unrolled: 12-line block ×7, first 2 shown]
	s_or_b32 exec_lo, exec_lo, s2
	v_lshrrev_b32_e32 v39, 1, v156
	v_lshrrev_b32_e32 v32, 1, v32
	;; [unrolled: 1-line block ×5, first 2 shown]
	v_and_b32_e32 v167, 0x70, v39
	v_and_b32_e32 v32, 0xf0, v32
	s_getpc_b64 s[28:29]
	s_add_u32 s28, s28, _ZZZZN2at6native31launch_logcumsumexp_cuda_kernelERKNS_10TensorBaseES3_lENKUlvE_clEvENKUlvE1_clEvENKUlN3c107complexIdEES8_E_clES8_S8_@rel32@lo+4
	s_addc_u32 s29, s29, _ZZZZN2at6native31launch_logcumsumexp_cuda_kernelERKNS_10TensorBaseES3_lENKUlvE_clEvENKUlvE1_clEvENKUlN3c107complexIdEES8_E_clES8_S8_@rel32@hi+12
	v_and_b32_e32 v33, 0x1f0, v33
	v_and_b32_e32 v34, 0x1f0, v34
	v_add_nc_u32_e32 v158, v167, v157
	v_add_nc_u32_e32 v159, v32, v157
	v_lshrrev_b32_e32 v32, 1, v36
	v_add_nc_u32_e32 v160, v33, v157
	v_add_nc_u32_e32 v161, v34, v157
	s_waitcnt vmcnt(0)
	ds_store_b128 v158, v[0:3]
	ds_store_b128 v159, v[4:7] offset:4096
	v_and_b32_e32 v0, 0x3f0, v35
	v_and_b32_e32 v1, 0x3f0, v32
	v_lshrrev_b32_e32 v2, 1, v37
	v_lshrrev_b32_e32 v3, 1, v38
	ds_store_b128 v160, v[8:11] offset:8192
	ds_store_b128 v161, v[12:15] offset:12288
	v_add_nc_u32_e32 v162, v0, v157
	v_add_nc_u32_e32 v163, v1, v157
	v_and_b32_e32 v0, 0x3f0, v2
	v_and_b32_e32 v2, 0x3f0, v3
	v_lshlrev_b32_e32 v1, 3, v156
	v_lshrrev_b32_e32 v3, 2, v156
	ds_store_b128 v162, v[16:19] offset:16384
	ds_store_b128 v163, v[20:23] offset:20480
	v_add_nc_u32_e32 v164, v0, v157
	v_add_nc_u32_e32 v165, v2, v157
	ds_store_b128 v164, v[24:27] offset:24576
	ds_store_b128 v165, v[28:31] offset:28672
	v_add_lshl_u32 v166, v3, v1, 4
	s_waitcnt lgkmcnt(0)
	s_barrier
	buffer_gl0_inv
	ds_load_b128 v[40:43], v166
	ds_load_b128 v[124:127], v166 offset:16
	ds_load_b128 v[108:111], v166 offset:32
	;; [unrolled: 1-line block ×7, first 2 shown]
	s_waitcnt lgkmcnt(0)
	s_barrier
	buffer_gl0_inv
	v_mov_b32_e32 v0, v40
	v_dual_mov_b32 v4, v124 :: v_dual_mov_b32 v1, v41
	v_dual_mov_b32 v2, v42 :: v_dual_mov_b32 v3, v43
	;; [unrolled: 1-line block ×3, first 2 shown]
	v_mov_b32_e32 v7, v127
	s_swappc_b64 s[30:31], s[28:29]
	v_dual_mov_b32 v4, v108 :: v_dual_mov_b32 v5, v109
	v_dual_mov_b32 v6, v110 :: v_dual_mov_b32 v7, v111
	v_dual_mov_b32 v56, v0 :: v_dual_mov_b32 v57, v1
	v_dual_mov_b32 v58, v2 :: v_dual_mov_b32 v59, v3
	s_swappc_b64 s[30:31], s[28:29]
	v_dual_mov_b32 v4, v92 :: v_dual_mov_b32 v5, v93
	v_dual_mov_b32 v6, v94 :: v_dual_mov_b32 v7, v95
	v_dual_mov_b32 v76, v0 :: v_dual_mov_b32 v77, v1
	v_dual_mov_b32 v78, v2 :: v_dual_mov_b32 v79, v3
	;; [unrolled: 5-line block ×6, first 2 shown]
	s_swappc_b64 s[30:31], s[28:29]
	v_dual_mov_b32 v146, v2 :: v_dual_mov_b32 v147, v3
	v_mbcnt_lo_u32_b32 v168, -1, 0
	v_dual_mov_b32 v144, v0 :: v_dual_mov_b32 v145, v1
	s_delay_alu instid0(VALU_DEP_3) | instskip(NEXT) | instid1(VALU_DEP_3)
	v_mov_b32_dpp v6, v146 row_shr:1 row_mask:0xf bank_mask:0xf
	v_dual_mov_b32 v151, v147 :: v_dual_and_b32 v152, 15, v168
	s_delay_alu instid0(VALU_DEP_3) | instskip(NEXT) | instid1(VALU_DEP_4)
	v_dual_mov_b32 v150, v146 :: v_dual_mov_b32 v149, v145
	v_mov_b32_dpp v4, v144 row_shr:1 row_mask:0xf bank_mask:0xf
	v_mov_b32_dpp v5, v145 row_shr:1 row_mask:0xf bank_mask:0xf
	;; [unrolled: 1-line block ×3, first 2 shown]
	v_mov_b32_e32 v148, v144
	s_mov_b32 s27, exec_lo
	v_cmpx_ne_u32_e32 0, v152
	s_cbranch_execz .LBB261_18
; %bb.17:
	v_dual_mov_b32 v0, v4 :: v_dual_mov_b32 v1, v5
	v_dual_mov_b32 v2, v6 :: v_dual_mov_b32 v3, v7
	;; [unrolled: 1-line block ×4, first 2 shown]
	s_swappc_b64 s[30:31], s[28:29]
	v_dual_mov_b32 v148, v0 :: v_dual_mov_b32 v149, v1
	v_dual_mov_b32 v150, v2 :: v_dual_mov_b32 v151, v3
.LBB261_18:
	s_or_b32 exec_lo, exec_lo, s27
	v_mov_b32_dpp v4, v0 row_shr:2 row_mask:0xf bank_mask:0xf
	v_mov_b32_dpp v5, v1 row_shr:2 row_mask:0xf bank_mask:0xf
	v_mov_b32_dpp v6, v2 row_shr:2 row_mask:0xf bank_mask:0xf
	v_mov_b32_dpp v7, v3 row_shr:2 row_mask:0xf bank_mask:0xf
	s_mov_b32 s27, exec_lo
	v_cmpx_lt_u32_e32 1, v152
	s_cbranch_execz .LBB261_20
; %bb.19:
	v_dual_mov_b32 v0, v4 :: v_dual_mov_b32 v1, v5
	v_dual_mov_b32 v2, v6 :: v_dual_mov_b32 v3, v7
	v_dual_mov_b32 v4, v148 :: v_dual_mov_b32 v5, v149
	v_dual_mov_b32 v6, v150 :: v_dual_mov_b32 v7, v151
	s_getpc_b64 s[0:1]
	s_add_u32 s0, s0, _ZZZZN2at6native31launch_logcumsumexp_cuda_kernelERKNS_10TensorBaseES3_lENKUlvE_clEvENKUlvE1_clEvENKUlN3c107complexIdEES8_E_clES8_S8_@rel32@lo+4
	s_addc_u32 s1, s1, _ZZZZN2at6native31launch_logcumsumexp_cuda_kernelERKNS_10TensorBaseES3_lENKUlvE_clEvENKUlvE1_clEvENKUlN3c107complexIdEES8_E_clES8_S8_@rel32@hi+12
	s_delay_alu instid0(SALU_CYCLE_1)
	s_swappc_b64 s[30:31], s[0:1]
	v_dual_mov_b32 v151, v3 :: v_dual_mov_b32 v150, v2
	v_dual_mov_b32 v149, v1 :: v_dual_mov_b32 v148, v0
.LBB261_20:
	s_or_b32 exec_lo, exec_lo, s27
	v_mov_b32_dpp v4, v0 row_shr:4 row_mask:0xf bank_mask:0xf
	v_mov_b32_dpp v5, v1 row_shr:4 row_mask:0xf bank_mask:0xf
	v_mov_b32_dpp v6, v2 row_shr:4 row_mask:0xf bank_mask:0xf
	v_mov_b32_dpp v7, v3 row_shr:4 row_mask:0xf bank_mask:0xf
	s_mov_b32 s27, exec_lo
	v_cmpx_lt_u32_e32 3, v152
	s_cbranch_execz .LBB261_22
; %bb.21:
	v_dual_mov_b32 v0, v4 :: v_dual_mov_b32 v1, v5
	v_dual_mov_b32 v2, v6 :: v_dual_mov_b32 v3, v7
	v_dual_mov_b32 v4, v148 :: v_dual_mov_b32 v5, v149
	v_dual_mov_b32 v6, v150 :: v_dual_mov_b32 v7, v151
	s_getpc_b64 s[0:1]
	s_add_u32 s0, s0, _ZZZZN2at6native31launch_logcumsumexp_cuda_kernelERKNS_10TensorBaseES3_lENKUlvE_clEvENKUlvE1_clEvENKUlN3c107complexIdEES8_E_clES8_S8_@rel32@lo+4
	s_addc_u32 s1, s1, _ZZZZN2at6native31launch_logcumsumexp_cuda_kernelERKNS_10TensorBaseES3_lENKUlvE_clEvENKUlvE1_clEvENKUlN3c107complexIdEES8_E_clES8_S8_@rel32@hi+12
	s_delay_alu instid0(SALU_CYCLE_1)
	s_swappc_b64 s[30:31], s[0:1]
	v_dual_mov_b32 v151, v3 :: v_dual_mov_b32 v150, v2
	v_dual_mov_b32 v149, v1 :: v_dual_mov_b32 v148, v0
.LBB261_22:
	;; [unrolled: 21-line block ×3, first 2 shown]
	s_or_b32 exec_lo, exec_lo, s27
	ds_swizzle_b32 v0, v0 offset:swizzle(BROADCAST,32,15)
	ds_swizzle_b32 v1, v1 offset:swizzle(BROADCAST,32,15)
	;; [unrolled: 1-line block ×4, first 2 shown]
	v_and_b32_e32 v4, 16, v168
	s_mov_b32 s27, exec_lo
	s_delay_alu instid0(VALU_DEP_1)
	v_cmpx_ne_u32_e32 0, v4
	s_cbranch_execz .LBB261_26
; %bb.25:
	v_dual_mov_b32 v4, v148 :: v_dual_mov_b32 v5, v149
	v_dual_mov_b32 v6, v150 :: v_dual_mov_b32 v7, v151
	s_getpc_b64 s[0:1]
	s_add_u32 s0, s0, _ZZZZN2at6native31launch_logcumsumexp_cuda_kernelERKNS_10TensorBaseES3_lENKUlvE_clEvENKUlvE1_clEvENKUlN3c107complexIdEES8_E_clES8_S8_@rel32@lo+4
	s_addc_u32 s1, s1, _ZZZZN2at6native31launch_logcumsumexp_cuda_kernelERKNS_10TensorBaseES3_lENKUlvE_clEvENKUlvE1_clEvENKUlN3c107complexIdEES8_E_clES8_S8_@rel32@hi+12
	s_delay_alu instid0(SALU_CYCLE_1)
	s_swappc_b64 s[30:31], s[0:1]
	v_dual_mov_b32 v148, v0 :: v_dual_mov_b32 v149, v1
	v_dual_mov_b32 v150, v2 :: v_dual_mov_b32 v151, v3
.LBB261_26:
	s_or_b32 exec_lo, exec_lo, s27
	s_waitcnt lgkmcnt(3)
	v_or_b32_e32 v0, 31, v156
	s_mov_b32 s0, exec_lo
	s_delay_alu instid0(VALU_DEP_1)
	v_cmpx_eq_u32_e64 v0, v156
	s_cbranch_execz .LBB261_28
; %bb.27:
	ds_store_b128 v167, v[148:151]
.LBB261_28:
	s_or_b32 exec_lo, exec_lo, s0
	s_load_b64 s[18:19], s[18:19], 0x28
	s_mov_b32 s27, exec_lo
	s_waitcnt lgkmcnt(0)
	s_waitcnt_vscnt null, 0x0
	s_barrier
	buffer_gl0_inv
	v_cmpx_gt_u32_e32 8, v156
	s_cbranch_execz .LBB261_36
; %bb.29:
	ds_load_b128 v[4:7], v157
	v_and_b32_e32 v152, 7, v168
	s_mov_b32 s28, exec_lo
	s_waitcnt lgkmcnt(0)
	v_mov_b32_dpp v0, v4 row_shr:1 row_mask:0xf bank_mask:0xf
	v_mov_b32_dpp v1, v5 row_shr:1 row_mask:0xf bank_mask:0xf
	;; [unrolled: 1-line block ×4, first 2 shown]
	v_cmpx_ne_u32_e32 0, v152
	s_cbranch_execz .LBB261_31
; %bb.30:
	s_getpc_b64 s[0:1]
	s_add_u32 s0, s0, _ZZZZN2at6native31launch_logcumsumexp_cuda_kernelERKNS_10TensorBaseES3_lENKUlvE_clEvENKUlvE1_clEvENKUlN3c107complexIdEES8_E_clES8_S8_@rel32@lo+4
	s_addc_u32 s1, s1, _ZZZZN2at6native31launch_logcumsumexp_cuda_kernelERKNS_10TensorBaseES3_lENKUlvE_clEvENKUlvE1_clEvENKUlN3c107complexIdEES8_E_clES8_S8_@rel32@hi+12
	s_delay_alu instid0(SALU_CYCLE_1)
	s_swappc_b64 s[30:31], s[0:1]
	v_dual_mov_b32 v4, v0 :: v_dual_mov_b32 v5, v1
	v_dual_mov_b32 v6, v2 :: v_dual_mov_b32 v7, v3
.LBB261_31:
	s_or_b32 exec_lo, exec_lo, s28
	s_delay_alu instid0(VALU_DEP_2) | instskip(NEXT) | instid1(VALU_DEP_3)
	v_mov_b32_dpp v0, v4 row_shr:2 row_mask:0xf bank_mask:0xf
	v_mov_b32_dpp v1, v5 row_shr:2 row_mask:0xf bank_mask:0xf
	s_delay_alu instid0(VALU_DEP_3)
	v_mov_b32_dpp v2, v6 row_shr:2 row_mask:0xf bank_mask:0xf
	v_mov_b32_dpp v3, v7 row_shr:2 row_mask:0xf bank_mask:0xf
	s_mov_b32 s28, exec_lo
	v_cmpx_lt_u32_e32 1, v152
	s_cbranch_execz .LBB261_33
; %bb.32:
	s_getpc_b64 s[0:1]
	s_add_u32 s0, s0, _ZZZZN2at6native31launch_logcumsumexp_cuda_kernelERKNS_10TensorBaseES3_lENKUlvE_clEvENKUlvE1_clEvENKUlN3c107complexIdEES8_E_clES8_S8_@rel32@lo+4
	s_addc_u32 s1, s1, _ZZZZN2at6native31launch_logcumsumexp_cuda_kernelERKNS_10TensorBaseES3_lENKUlvE_clEvENKUlvE1_clEvENKUlN3c107complexIdEES8_E_clES8_S8_@rel32@hi+12
	s_delay_alu instid0(SALU_CYCLE_1)
	s_swappc_b64 s[30:31], s[0:1]
	v_dual_mov_b32 v4, v0 :: v_dual_mov_b32 v5, v1
	v_dual_mov_b32 v6, v2 :: v_dual_mov_b32 v7, v3
.LBB261_33:
	s_or_b32 exec_lo, exec_lo, s28
	s_delay_alu instid0(VALU_DEP_2) | instskip(NEXT) | instid1(VALU_DEP_3)
	v_mov_b32_dpp v0, v4 row_shr:4 row_mask:0xf bank_mask:0xf
	v_mov_b32_dpp v1, v5 row_shr:4 row_mask:0xf bank_mask:0xf
	s_delay_alu instid0(VALU_DEP_3)
	v_mov_b32_dpp v2, v6 row_shr:4 row_mask:0xf bank_mask:0xf
	v_mov_b32_dpp v3, v7 row_shr:4 row_mask:0xf bank_mask:0xf
	s_mov_b32 s28, exec_lo
	v_cmpx_lt_u32_e32 3, v152
	s_cbranch_execz .LBB261_35
; %bb.34:
	s_getpc_b64 s[0:1]
	s_add_u32 s0, s0, _ZZZZN2at6native31launch_logcumsumexp_cuda_kernelERKNS_10TensorBaseES3_lENKUlvE_clEvENKUlvE1_clEvENKUlN3c107complexIdEES8_E_clES8_S8_@rel32@lo+4
	s_addc_u32 s1, s1, _ZZZZN2at6native31launch_logcumsumexp_cuda_kernelERKNS_10TensorBaseES3_lENKUlvE_clEvENKUlvE1_clEvENKUlN3c107complexIdEES8_E_clES8_S8_@rel32@hi+12
	s_delay_alu instid0(SALU_CYCLE_1)
	s_swappc_b64 s[30:31], s[0:1]
	v_dual_mov_b32 v4, v0 :: v_dual_mov_b32 v5, v1
	v_dual_mov_b32 v6, v2 :: v_dual_mov_b32 v7, v3
.LBB261_35:
	s_or_b32 exec_lo, exec_lo, s28
	ds_store_b128 v157, v[4:7]
.LBB261_36:
	s_or_b32 exec_lo, exec_lo, s27
	v_mov_b32_e32 v154, 0
	v_mov_b32_e32 v155, 0
	s_delay_alu instid0(VALU_DEP_2)
	v_mov_b32_e32 v152, v154
	s_mov_b32 s27, exec_lo
	s_waitcnt lgkmcnt(0)
	s_waitcnt_vscnt null, 0x0
	s_barrier
	v_mov_b32_e32 v153, v155
	buffer_gl0_inv
	v_cmpx_lt_u32_e32 31, v156
	s_cbranch_execz .LBB261_38
; %bb.37:
	v_dual_mov_b32 v5, v149 :: v_dual_add_nc_u32 v0, -16, v167
	s_getpc_b64 s[0:1]
	s_add_u32 s0, s0, _ZZZZN2at6native31launch_logcumsumexp_cuda_kernelERKNS_10TensorBaseES3_lENKUlvE_clEvENKUlvE1_clEvENKUlN3c107complexIdEES8_E_clES8_S8_@rel32@lo+4
	s_addc_u32 s1, s1, _ZZZZN2at6native31launch_logcumsumexp_cuda_kernelERKNS_10TensorBaseES3_lENKUlvE_clEvENKUlvE1_clEvENKUlN3c107complexIdEES8_E_clES8_S8_@rel32@hi+12
	v_mov_b32_e32 v7, v151
	ds_load_b128 v[152:155], v0
	v_mov_b32_e32 v4, v148
	s_waitcnt lgkmcnt(0)
	v_dual_mov_b32 v6, v150 :: v_dual_mov_b32 v3, v155
	v_dual_mov_b32 v0, v152 :: v_dual_mov_b32 v1, v153
	v_mov_b32_e32 v2, v154
	s_swappc_b64 s[30:31], s[0:1]
	s_delay_alu instid0(VALU_DEP_2) | instskip(NEXT) | instid1(VALU_DEP_2)
	v_dual_mov_b32 v148, v0 :: v_dual_mov_b32 v149, v1
	v_dual_mov_b32 v150, v2 :: v_dual_mov_b32 v151, v3
.LBB261_38:
	s_or_b32 exec_lo, exec_lo, s27
	v_add_nc_u32_e32 v0, -1, v168
	s_mov_b32 s27, exec_lo
	s_delay_alu instid0(VALU_DEP_1) | instskip(SKIP_1) | instid1(VALU_DEP_1)
	v_cmp_gt_i32_e32 vcc_lo, 0, v0
	v_cndmask_b32_e32 v0, v0, v168, vcc_lo
	v_lshlrev_b32_e32 v3, 2, v0
	ds_bpermute_b32 v0, v3, v148
	ds_bpermute_b32 v1, v3, v149
	;; [unrolled: 1-line block ×4, first 2 shown]
	v_cmpx_ne_u32_e32 0, v156
	s_cbranch_execz .LBB261_40
; %bb.39:
	v_cmp_eq_u32_e32 vcc_lo, 0, v168
	v_dual_mov_b32 v4, v40 :: v_dual_mov_b32 v5, v41
	v_dual_mov_b32 v6, v42 :: v_dual_mov_b32 v7, v43
	s_waitcnt lgkmcnt(2)
	v_dual_cndmask_b32 v0, v0, v152 :: v_dual_cndmask_b32 v1, v1, v153
	s_waitcnt lgkmcnt(0)
	v_dual_cndmask_b32 v2, v2, v154 :: v_dual_cndmask_b32 v3, v3, v155
	s_getpc_b64 s[28:29]
	s_add_u32 s28, s28, _ZZZZN2at6native31launch_logcumsumexp_cuda_kernelERKNS_10TensorBaseES3_lENKUlvE_clEvENKUlvE1_clEvENKUlN3c107complexIdEES8_E_clES8_S8_@rel32@lo+4
	s_addc_u32 s29, s29, _ZZZZN2at6native31launch_logcumsumexp_cuda_kernelERKNS_10TensorBaseES3_lENKUlvE_clEvENKUlvE1_clEvENKUlN3c107complexIdEES8_E_clES8_S8_@rel32@hi+12
	s_delay_alu instid0(SALU_CYCLE_1)
	s_swappc_b64 s[30:31], s[28:29]
	v_dual_mov_b32 v4, v124 :: v_dual_mov_b32 v5, v125
	v_dual_mov_b32 v6, v126 :: v_dual_mov_b32 v7, v127
	;; [unrolled: 1-line block ×4, first 2 shown]
	;;#ASMSTART
	;;#ASMEND
	s_swappc_b64 s[30:31], s[28:29]
	v_dual_mov_b32 v4, v108 :: v_dual_mov_b32 v5, v109
	v_dual_mov_b32 v6, v110 :: v_dual_mov_b32 v7, v111
	v_dual_mov_b32 v56, v0 :: v_dual_mov_b32 v57, v1
	v_dual_mov_b32 v58, v2 :: v_dual_mov_b32 v59, v3
	s_swappc_b64 s[30:31], s[28:29]
	v_dual_mov_b32 v4, v92 :: v_dual_mov_b32 v5, v93
	v_dual_mov_b32 v6, v94 :: v_dual_mov_b32 v7, v95
	v_dual_mov_b32 v76, v0 :: v_dual_mov_b32 v77, v1
	v_dual_mov_b32 v78, v2 :: v_dual_mov_b32 v79, v3
	;; [unrolled: 5-line block ×6, first 2 shown]
	s_swappc_b64 s[30:31], s[28:29]
	v_dual_mov_b32 v144, v0 :: v_dual_mov_b32 v145, v1
	v_dual_mov_b32 v146, v2 :: v_dual_mov_b32 v147, v3
.LBB261_40:
	s_or_b32 exec_lo, exec_lo, s27
	s_waitcnt lgkmcnt(0)
	s_waitcnt_vscnt null, 0x0
	s_barrier
	buffer_gl0_inv
	ds_store_b128 v166, v[40:43]
	ds_store_b128 v166, v[56:59] offset:16
	ds_store_b128 v166, v[76:79] offset:32
	;; [unrolled: 1-line block ×7, first 2 shown]
	s_waitcnt lgkmcnt(0)
	s_barrier
	buffer_gl0_inv
	ds_load_b128 v[24:27], v159 offset:4096
	ds_load_b128 v[20:23], v160 offset:8192
	;; [unrolled: 1-line block ×7, first 2 shown]
	v_add_co_u32 v28, s0, s18, v157
	s_delay_alu instid0(VALU_DEP_1)
	v_add_co_ci_u32_e64 v29, null, s19, 0, s0
	s_and_saveexec_b32 s0, s17
	s_cbranch_execnz .LBB261_49
; %bb.41:
	s_or_b32 exec_lo, exec_lo, s0
	s_and_saveexec_b32 s0, s20
	s_cbranch_execnz .LBB261_50
.LBB261_42:
	s_or_b32 exec_lo, exec_lo, s0
	s_and_saveexec_b32 s0, s21
	s_cbranch_execnz .LBB261_51
.LBB261_43:
	s_or_b32 exec_lo, exec_lo, s0
	s_and_saveexec_b32 s0, s22
	s_cbranch_execnz .LBB261_52
.LBB261_44:
	s_or_b32 exec_lo, exec_lo, s0
	s_and_saveexec_b32 s0, s23
	s_cbranch_execnz .LBB261_53
.LBB261_45:
	s_or_b32 exec_lo, exec_lo, s0
	s_and_saveexec_b32 s0, s24
	s_cbranch_execnz .LBB261_54
.LBB261_46:
	s_or_b32 exec_lo, exec_lo, s0
	s_and_saveexec_b32 s0, s25
	s_cbranch_execnz .LBB261_55
.LBB261_47:
	s_or_b32 exec_lo, exec_lo, s0
	s_and_saveexec_b32 s0, s26
	s_cbranch_execnz .LBB261_56
.LBB261_48:
	s_nop 0
	s_sendmsg sendmsg(MSG_DEALLOC_VGPRS)
	s_endpgm
.LBB261_49:
	ds_load_b128 v[30:33], v158
	s_waitcnt lgkmcnt(0)
	global_store_b128 v[28:29], v[30:33], off
	s_or_b32 exec_lo, exec_lo, s0
	s_and_saveexec_b32 s0, s20
	s_cbranch_execz .LBB261_42
.LBB261_50:
	v_add_co_u32 v30, vcc_lo, 0x1000, v28
	v_add_co_ci_u32_e32 v31, vcc_lo, 0, v29, vcc_lo
	s_waitcnt lgkmcnt(6)
	global_store_b128 v[30:31], v[24:27], off
	s_or_b32 exec_lo, exec_lo, s0
	s_and_saveexec_b32 s0, s21
	s_cbranch_execz .LBB261_43
.LBB261_51:
	s_waitcnt lgkmcnt(6)
	v_add_co_u32 v24, vcc_lo, 0x2000, v28
	v_add_co_ci_u32_e32 v25, vcc_lo, 0, v29, vcc_lo
	s_waitcnt lgkmcnt(5)
	global_store_b128 v[24:25], v[20:23], off
	s_or_b32 exec_lo, exec_lo, s0
	s_and_saveexec_b32 s0, s22
	s_cbranch_execz .LBB261_44
.LBB261_52:
	s_waitcnt lgkmcnt(5)
	v_add_co_u32 v20, vcc_lo, 0x3000, v28
	v_add_co_ci_u32_e32 v21, vcc_lo, 0, v29, vcc_lo
	s_waitcnt lgkmcnt(4)
	global_store_b128 v[20:21], v[16:19], off
	s_or_b32 exec_lo, exec_lo, s0
	s_and_saveexec_b32 s0, s23
	s_cbranch_execz .LBB261_45
.LBB261_53:
	s_waitcnt lgkmcnt(4)
	v_add_co_u32 v16, vcc_lo, 0x4000, v28
	v_add_co_ci_u32_e32 v17, vcc_lo, 0, v29, vcc_lo
	s_waitcnt lgkmcnt(3)
	global_store_b128 v[16:17], v[12:15], off
	s_or_b32 exec_lo, exec_lo, s0
	s_and_saveexec_b32 s0, s24
	s_cbranch_execz .LBB261_46
.LBB261_54:
	s_waitcnt lgkmcnt(3)
	v_add_co_u32 v12, vcc_lo, 0x5000, v28
	v_add_co_ci_u32_e32 v13, vcc_lo, 0, v29, vcc_lo
	s_waitcnt lgkmcnt(2)
	global_store_b128 v[12:13], v[8:11], off
	s_or_b32 exec_lo, exec_lo, s0
	s_and_saveexec_b32 s0, s25
	s_cbranch_execz .LBB261_47
.LBB261_55:
	s_waitcnt lgkmcnt(2)
	v_add_co_u32 v8, vcc_lo, 0x6000, v28
	v_add_co_ci_u32_e32 v9, vcc_lo, 0, v29, vcc_lo
	s_waitcnt lgkmcnt(1)
	global_store_b128 v[8:9], v[4:7], off
	s_or_b32 exec_lo, exec_lo, s0
	s_and_saveexec_b32 s0, s26
	s_cbranch_execz .LBB261_48
.LBB261_56:
	s_waitcnt lgkmcnt(1)
	v_add_co_u32 v4, vcc_lo, 0x7000, v28
	v_add_co_ci_u32_e32 v5, vcc_lo, 0, v29, vcc_lo
	s_waitcnt lgkmcnt(0)
	global_store_b128 v[4:5], v[0:3], off
	s_nop 0
	s_sendmsg sendmsg(MSG_DEALLOC_VGPRS)
	s_endpgm
	.section	.rodata,"a",@progbits
	.p2align	6, 0x0
	.amdhsa_kernel _ZN7rocprim17ROCPRIM_400000_NS6detail17trampoline_kernelINS0_14default_configENS1_20scan_config_selectorIN3c107complexIdEEEEZZNS1_9scan_implILNS1_25lookback_scan_determinismE0ELb0ELb0ES3_PKS7_PS7_S7_ZZZN2at6native31launch_logcumsumexp_cuda_kernelERKNSE_10TensorBaseESI_lENKUlvE_clEvENKUlvE1_clEvEUlS7_S7_E_S7_EEDaPvRmT3_T4_T5_mT6_P12ihipStream_tbENKUlT_T0_E_clISt17integral_constantIbLb0EESY_IbLb1EEEEDaSU_SV_EUlSU_E0_NS1_11comp_targetILNS1_3genE9ELNS1_11target_archE1100ELNS1_3gpuE3ELNS1_3repE0EEENS1_30default_config_static_selectorELNS0_4arch9wavefront6targetE0EEEvT1_
		.amdhsa_group_segment_fixed_size 33792
		.amdhsa_private_segment_fixed_size 0
		.amdhsa_kernarg_size 48
		.amdhsa_user_sgpr_count 15
		.amdhsa_user_sgpr_dispatch_ptr 0
		.amdhsa_user_sgpr_queue_ptr 0
		.amdhsa_user_sgpr_kernarg_segment_ptr 1
		.amdhsa_user_sgpr_dispatch_id 0
		.amdhsa_user_sgpr_private_segment_size 0
		.amdhsa_wavefront_size32 1
		.amdhsa_uses_dynamic_stack 0
		.amdhsa_enable_private_segment 0
		.amdhsa_system_sgpr_workgroup_id_x 1
		.amdhsa_system_sgpr_workgroup_id_y 0
		.amdhsa_system_sgpr_workgroup_id_z 0
		.amdhsa_system_sgpr_workgroup_info 0
		.amdhsa_system_vgpr_workitem_id 0
		.amdhsa_next_free_vgpr 169
		.amdhsa_next_free_sgpr 33
		.amdhsa_reserve_vcc 1
		.amdhsa_float_round_mode_32 0
		.amdhsa_float_round_mode_16_64 0
		.amdhsa_float_denorm_mode_32 3
		.amdhsa_float_denorm_mode_16_64 3
		.amdhsa_dx10_clamp 1
		.amdhsa_ieee_mode 1
		.amdhsa_fp16_overflow 0
		.amdhsa_workgroup_processor_mode 1
		.amdhsa_memory_ordered 1
		.amdhsa_forward_progress 0
		.amdhsa_shared_vgpr_count 0
		.amdhsa_exception_fp_ieee_invalid_op 0
		.amdhsa_exception_fp_denorm_src 0
		.amdhsa_exception_fp_ieee_div_zero 0
		.amdhsa_exception_fp_ieee_overflow 0
		.amdhsa_exception_fp_ieee_underflow 0
		.amdhsa_exception_fp_ieee_inexact 0
		.amdhsa_exception_int_div_zero 0
	.end_amdhsa_kernel
	.section	.text._ZN7rocprim17ROCPRIM_400000_NS6detail17trampoline_kernelINS0_14default_configENS1_20scan_config_selectorIN3c107complexIdEEEEZZNS1_9scan_implILNS1_25lookback_scan_determinismE0ELb0ELb0ES3_PKS7_PS7_S7_ZZZN2at6native31launch_logcumsumexp_cuda_kernelERKNSE_10TensorBaseESI_lENKUlvE_clEvENKUlvE1_clEvEUlS7_S7_E_S7_EEDaPvRmT3_T4_T5_mT6_P12ihipStream_tbENKUlT_T0_E_clISt17integral_constantIbLb0EESY_IbLb1EEEEDaSU_SV_EUlSU_E0_NS1_11comp_targetILNS1_3genE9ELNS1_11target_archE1100ELNS1_3gpuE3ELNS1_3repE0EEENS1_30default_config_static_selectorELNS0_4arch9wavefront6targetE0EEEvT1_,"axG",@progbits,_ZN7rocprim17ROCPRIM_400000_NS6detail17trampoline_kernelINS0_14default_configENS1_20scan_config_selectorIN3c107complexIdEEEEZZNS1_9scan_implILNS1_25lookback_scan_determinismE0ELb0ELb0ES3_PKS7_PS7_S7_ZZZN2at6native31launch_logcumsumexp_cuda_kernelERKNSE_10TensorBaseESI_lENKUlvE_clEvENKUlvE1_clEvEUlS7_S7_E_S7_EEDaPvRmT3_T4_T5_mT6_P12ihipStream_tbENKUlT_T0_E_clISt17integral_constantIbLb0EESY_IbLb1EEEEDaSU_SV_EUlSU_E0_NS1_11comp_targetILNS1_3genE9ELNS1_11target_archE1100ELNS1_3gpuE3ELNS1_3repE0EEENS1_30default_config_static_selectorELNS0_4arch9wavefront6targetE0EEEvT1_,comdat
.Lfunc_end261:
	.size	_ZN7rocprim17ROCPRIM_400000_NS6detail17trampoline_kernelINS0_14default_configENS1_20scan_config_selectorIN3c107complexIdEEEEZZNS1_9scan_implILNS1_25lookback_scan_determinismE0ELb0ELb0ES3_PKS7_PS7_S7_ZZZN2at6native31launch_logcumsumexp_cuda_kernelERKNSE_10TensorBaseESI_lENKUlvE_clEvENKUlvE1_clEvEUlS7_S7_E_S7_EEDaPvRmT3_T4_T5_mT6_P12ihipStream_tbENKUlT_T0_E_clISt17integral_constantIbLb0EESY_IbLb1EEEEDaSU_SV_EUlSU_E0_NS1_11comp_targetILNS1_3genE9ELNS1_11target_archE1100ELNS1_3gpuE3ELNS1_3repE0EEENS1_30default_config_static_selectorELNS0_4arch9wavefront6targetE0EEEvT1_, .Lfunc_end261-_ZN7rocprim17ROCPRIM_400000_NS6detail17trampoline_kernelINS0_14default_configENS1_20scan_config_selectorIN3c107complexIdEEEEZZNS1_9scan_implILNS1_25lookback_scan_determinismE0ELb0ELb0ES3_PKS7_PS7_S7_ZZZN2at6native31launch_logcumsumexp_cuda_kernelERKNSE_10TensorBaseESI_lENKUlvE_clEvENKUlvE1_clEvEUlS7_S7_E_S7_EEDaPvRmT3_T4_T5_mT6_P12ihipStream_tbENKUlT_T0_E_clISt17integral_constantIbLb0EESY_IbLb1EEEEDaSU_SV_EUlSU_E0_NS1_11comp_targetILNS1_3genE9ELNS1_11target_archE1100ELNS1_3gpuE3ELNS1_3repE0EEENS1_30default_config_static_selectorELNS0_4arch9wavefront6targetE0EEEvT1_
                                        ; -- End function
	.section	.AMDGPU.csdata,"",@progbits
; Kernel info:
; codeLenInByte = 3300
; NumSgprs: 35
; NumVgprs: 169
; ScratchSize: 0
; MemoryBound: 1
; FloatMode: 240
; IeeeMode: 1
; LDSByteSize: 33792 bytes/workgroup (compile time only)
; SGPRBlocks: 4
; VGPRBlocks: 21
; NumSGPRsForWavesPerEU: 35
; NumVGPRsForWavesPerEU: 169
; Occupancy: 6
; WaveLimiterHint : 0
; COMPUTE_PGM_RSRC2:SCRATCH_EN: 0
; COMPUTE_PGM_RSRC2:USER_SGPR: 15
; COMPUTE_PGM_RSRC2:TRAP_HANDLER: 0
; COMPUTE_PGM_RSRC2:TGID_X_EN: 1
; COMPUTE_PGM_RSRC2:TGID_Y_EN: 0
; COMPUTE_PGM_RSRC2:TGID_Z_EN: 0
; COMPUTE_PGM_RSRC2:TIDIG_COMP_CNT: 0
	.section	.text._ZN7rocprim17ROCPRIM_400000_NS6detail17trampoline_kernelINS0_14default_configENS1_20scan_config_selectorIN3c107complexIdEEEEZZNS1_9scan_implILNS1_25lookback_scan_determinismE0ELb0ELb0ES3_PKS7_PS7_S7_ZZZN2at6native31launch_logcumsumexp_cuda_kernelERKNSE_10TensorBaseESI_lENKUlvE_clEvENKUlvE1_clEvEUlS7_S7_E_S7_EEDaPvRmT3_T4_T5_mT6_P12ihipStream_tbENKUlT_T0_E_clISt17integral_constantIbLb0EESY_IbLb1EEEEDaSU_SV_EUlSU_E0_NS1_11comp_targetILNS1_3genE8ELNS1_11target_archE1030ELNS1_3gpuE2ELNS1_3repE0EEENS1_30default_config_static_selectorELNS0_4arch9wavefront6targetE0EEEvT1_,"axG",@progbits,_ZN7rocprim17ROCPRIM_400000_NS6detail17trampoline_kernelINS0_14default_configENS1_20scan_config_selectorIN3c107complexIdEEEEZZNS1_9scan_implILNS1_25lookback_scan_determinismE0ELb0ELb0ES3_PKS7_PS7_S7_ZZZN2at6native31launch_logcumsumexp_cuda_kernelERKNSE_10TensorBaseESI_lENKUlvE_clEvENKUlvE1_clEvEUlS7_S7_E_S7_EEDaPvRmT3_T4_T5_mT6_P12ihipStream_tbENKUlT_T0_E_clISt17integral_constantIbLb0EESY_IbLb1EEEEDaSU_SV_EUlSU_E0_NS1_11comp_targetILNS1_3genE8ELNS1_11target_archE1030ELNS1_3gpuE2ELNS1_3repE0EEENS1_30default_config_static_selectorELNS0_4arch9wavefront6targetE0EEEvT1_,comdat
	.globl	_ZN7rocprim17ROCPRIM_400000_NS6detail17trampoline_kernelINS0_14default_configENS1_20scan_config_selectorIN3c107complexIdEEEEZZNS1_9scan_implILNS1_25lookback_scan_determinismE0ELb0ELb0ES3_PKS7_PS7_S7_ZZZN2at6native31launch_logcumsumexp_cuda_kernelERKNSE_10TensorBaseESI_lENKUlvE_clEvENKUlvE1_clEvEUlS7_S7_E_S7_EEDaPvRmT3_T4_T5_mT6_P12ihipStream_tbENKUlT_T0_E_clISt17integral_constantIbLb0EESY_IbLb1EEEEDaSU_SV_EUlSU_E0_NS1_11comp_targetILNS1_3genE8ELNS1_11target_archE1030ELNS1_3gpuE2ELNS1_3repE0EEENS1_30default_config_static_selectorELNS0_4arch9wavefront6targetE0EEEvT1_ ; -- Begin function _ZN7rocprim17ROCPRIM_400000_NS6detail17trampoline_kernelINS0_14default_configENS1_20scan_config_selectorIN3c107complexIdEEEEZZNS1_9scan_implILNS1_25lookback_scan_determinismE0ELb0ELb0ES3_PKS7_PS7_S7_ZZZN2at6native31launch_logcumsumexp_cuda_kernelERKNSE_10TensorBaseESI_lENKUlvE_clEvENKUlvE1_clEvEUlS7_S7_E_S7_EEDaPvRmT3_T4_T5_mT6_P12ihipStream_tbENKUlT_T0_E_clISt17integral_constantIbLb0EESY_IbLb1EEEEDaSU_SV_EUlSU_E0_NS1_11comp_targetILNS1_3genE8ELNS1_11target_archE1030ELNS1_3gpuE2ELNS1_3repE0EEENS1_30default_config_static_selectorELNS0_4arch9wavefront6targetE0EEEvT1_
	.p2align	8
	.type	_ZN7rocprim17ROCPRIM_400000_NS6detail17trampoline_kernelINS0_14default_configENS1_20scan_config_selectorIN3c107complexIdEEEEZZNS1_9scan_implILNS1_25lookback_scan_determinismE0ELb0ELb0ES3_PKS7_PS7_S7_ZZZN2at6native31launch_logcumsumexp_cuda_kernelERKNSE_10TensorBaseESI_lENKUlvE_clEvENKUlvE1_clEvEUlS7_S7_E_S7_EEDaPvRmT3_T4_T5_mT6_P12ihipStream_tbENKUlT_T0_E_clISt17integral_constantIbLb0EESY_IbLb1EEEEDaSU_SV_EUlSU_E0_NS1_11comp_targetILNS1_3genE8ELNS1_11target_archE1030ELNS1_3gpuE2ELNS1_3repE0EEENS1_30default_config_static_selectorELNS0_4arch9wavefront6targetE0EEEvT1_,@function
_ZN7rocprim17ROCPRIM_400000_NS6detail17trampoline_kernelINS0_14default_configENS1_20scan_config_selectorIN3c107complexIdEEEEZZNS1_9scan_implILNS1_25lookback_scan_determinismE0ELb0ELb0ES3_PKS7_PS7_S7_ZZZN2at6native31launch_logcumsumexp_cuda_kernelERKNSE_10TensorBaseESI_lENKUlvE_clEvENKUlvE1_clEvEUlS7_S7_E_S7_EEDaPvRmT3_T4_T5_mT6_P12ihipStream_tbENKUlT_T0_E_clISt17integral_constantIbLb0EESY_IbLb1EEEEDaSU_SV_EUlSU_E0_NS1_11comp_targetILNS1_3genE8ELNS1_11target_archE1030ELNS1_3gpuE2ELNS1_3repE0EEENS1_30default_config_static_selectorELNS0_4arch9wavefront6targetE0EEEvT1_: ; @_ZN7rocprim17ROCPRIM_400000_NS6detail17trampoline_kernelINS0_14default_configENS1_20scan_config_selectorIN3c107complexIdEEEEZZNS1_9scan_implILNS1_25lookback_scan_determinismE0ELb0ELb0ES3_PKS7_PS7_S7_ZZZN2at6native31launch_logcumsumexp_cuda_kernelERKNSE_10TensorBaseESI_lENKUlvE_clEvENKUlvE1_clEvEUlS7_S7_E_S7_EEDaPvRmT3_T4_T5_mT6_P12ihipStream_tbENKUlT_T0_E_clISt17integral_constantIbLb0EESY_IbLb1EEEEDaSU_SV_EUlSU_E0_NS1_11comp_targetILNS1_3genE8ELNS1_11target_archE1030ELNS1_3gpuE2ELNS1_3repE0EEENS1_30default_config_static_selectorELNS0_4arch9wavefront6targetE0EEEvT1_
; %bb.0:
	.section	.rodata,"a",@progbits
	.p2align	6, 0x0
	.amdhsa_kernel _ZN7rocprim17ROCPRIM_400000_NS6detail17trampoline_kernelINS0_14default_configENS1_20scan_config_selectorIN3c107complexIdEEEEZZNS1_9scan_implILNS1_25lookback_scan_determinismE0ELb0ELb0ES3_PKS7_PS7_S7_ZZZN2at6native31launch_logcumsumexp_cuda_kernelERKNSE_10TensorBaseESI_lENKUlvE_clEvENKUlvE1_clEvEUlS7_S7_E_S7_EEDaPvRmT3_T4_T5_mT6_P12ihipStream_tbENKUlT_T0_E_clISt17integral_constantIbLb0EESY_IbLb1EEEEDaSU_SV_EUlSU_E0_NS1_11comp_targetILNS1_3genE8ELNS1_11target_archE1030ELNS1_3gpuE2ELNS1_3repE0EEENS1_30default_config_static_selectorELNS0_4arch9wavefront6targetE0EEEvT1_
		.amdhsa_group_segment_fixed_size 0
		.amdhsa_private_segment_fixed_size 0
		.amdhsa_kernarg_size 48
		.amdhsa_user_sgpr_count 15
		.amdhsa_user_sgpr_dispatch_ptr 0
		.amdhsa_user_sgpr_queue_ptr 0
		.amdhsa_user_sgpr_kernarg_segment_ptr 1
		.amdhsa_user_sgpr_dispatch_id 0
		.amdhsa_user_sgpr_private_segment_size 0
		.amdhsa_wavefront_size32 1
		.amdhsa_uses_dynamic_stack 0
		.amdhsa_enable_private_segment 0
		.amdhsa_system_sgpr_workgroup_id_x 1
		.amdhsa_system_sgpr_workgroup_id_y 0
		.amdhsa_system_sgpr_workgroup_id_z 0
		.amdhsa_system_sgpr_workgroup_info 0
		.amdhsa_system_vgpr_workitem_id 0
		.amdhsa_next_free_vgpr 1
		.amdhsa_next_free_sgpr 1
		.amdhsa_reserve_vcc 0
		.amdhsa_float_round_mode_32 0
		.amdhsa_float_round_mode_16_64 0
		.amdhsa_float_denorm_mode_32 3
		.amdhsa_float_denorm_mode_16_64 3
		.amdhsa_dx10_clamp 1
		.amdhsa_ieee_mode 1
		.amdhsa_fp16_overflow 0
		.amdhsa_workgroup_processor_mode 1
		.amdhsa_memory_ordered 1
		.amdhsa_forward_progress 0
		.amdhsa_shared_vgpr_count 0
		.amdhsa_exception_fp_ieee_invalid_op 0
		.amdhsa_exception_fp_denorm_src 0
		.amdhsa_exception_fp_ieee_div_zero 0
		.amdhsa_exception_fp_ieee_overflow 0
		.amdhsa_exception_fp_ieee_underflow 0
		.amdhsa_exception_fp_ieee_inexact 0
		.amdhsa_exception_int_div_zero 0
	.end_amdhsa_kernel
	.section	.text._ZN7rocprim17ROCPRIM_400000_NS6detail17trampoline_kernelINS0_14default_configENS1_20scan_config_selectorIN3c107complexIdEEEEZZNS1_9scan_implILNS1_25lookback_scan_determinismE0ELb0ELb0ES3_PKS7_PS7_S7_ZZZN2at6native31launch_logcumsumexp_cuda_kernelERKNSE_10TensorBaseESI_lENKUlvE_clEvENKUlvE1_clEvEUlS7_S7_E_S7_EEDaPvRmT3_T4_T5_mT6_P12ihipStream_tbENKUlT_T0_E_clISt17integral_constantIbLb0EESY_IbLb1EEEEDaSU_SV_EUlSU_E0_NS1_11comp_targetILNS1_3genE8ELNS1_11target_archE1030ELNS1_3gpuE2ELNS1_3repE0EEENS1_30default_config_static_selectorELNS0_4arch9wavefront6targetE0EEEvT1_,"axG",@progbits,_ZN7rocprim17ROCPRIM_400000_NS6detail17trampoline_kernelINS0_14default_configENS1_20scan_config_selectorIN3c107complexIdEEEEZZNS1_9scan_implILNS1_25lookback_scan_determinismE0ELb0ELb0ES3_PKS7_PS7_S7_ZZZN2at6native31launch_logcumsumexp_cuda_kernelERKNSE_10TensorBaseESI_lENKUlvE_clEvENKUlvE1_clEvEUlS7_S7_E_S7_EEDaPvRmT3_T4_T5_mT6_P12ihipStream_tbENKUlT_T0_E_clISt17integral_constantIbLb0EESY_IbLb1EEEEDaSU_SV_EUlSU_E0_NS1_11comp_targetILNS1_3genE8ELNS1_11target_archE1030ELNS1_3gpuE2ELNS1_3repE0EEENS1_30default_config_static_selectorELNS0_4arch9wavefront6targetE0EEEvT1_,comdat
.Lfunc_end262:
	.size	_ZN7rocprim17ROCPRIM_400000_NS6detail17trampoline_kernelINS0_14default_configENS1_20scan_config_selectorIN3c107complexIdEEEEZZNS1_9scan_implILNS1_25lookback_scan_determinismE0ELb0ELb0ES3_PKS7_PS7_S7_ZZZN2at6native31launch_logcumsumexp_cuda_kernelERKNSE_10TensorBaseESI_lENKUlvE_clEvENKUlvE1_clEvEUlS7_S7_E_S7_EEDaPvRmT3_T4_T5_mT6_P12ihipStream_tbENKUlT_T0_E_clISt17integral_constantIbLb0EESY_IbLb1EEEEDaSU_SV_EUlSU_E0_NS1_11comp_targetILNS1_3genE8ELNS1_11target_archE1030ELNS1_3gpuE2ELNS1_3repE0EEENS1_30default_config_static_selectorELNS0_4arch9wavefront6targetE0EEEvT1_, .Lfunc_end262-_ZN7rocprim17ROCPRIM_400000_NS6detail17trampoline_kernelINS0_14default_configENS1_20scan_config_selectorIN3c107complexIdEEEEZZNS1_9scan_implILNS1_25lookback_scan_determinismE0ELb0ELb0ES3_PKS7_PS7_S7_ZZZN2at6native31launch_logcumsumexp_cuda_kernelERKNSE_10TensorBaseESI_lENKUlvE_clEvENKUlvE1_clEvEUlS7_S7_E_S7_EEDaPvRmT3_T4_T5_mT6_P12ihipStream_tbENKUlT_T0_E_clISt17integral_constantIbLb0EESY_IbLb1EEEEDaSU_SV_EUlSU_E0_NS1_11comp_targetILNS1_3genE8ELNS1_11target_archE1030ELNS1_3gpuE2ELNS1_3repE0EEENS1_30default_config_static_selectorELNS0_4arch9wavefront6targetE0EEEvT1_
                                        ; -- End function
	.section	.AMDGPU.csdata,"",@progbits
; Kernel info:
; codeLenInByte = 0
; NumSgprs: 0
; NumVgprs: 0
; ScratchSize: 0
; MemoryBound: 0
; FloatMode: 240
; IeeeMode: 1
; LDSByteSize: 0 bytes/workgroup (compile time only)
; SGPRBlocks: 0
; VGPRBlocks: 0
; NumSGPRsForWavesPerEU: 1
; NumVGPRsForWavesPerEU: 1
; Occupancy: 16
; WaveLimiterHint : 0
; COMPUTE_PGM_RSRC2:SCRATCH_EN: 0
; COMPUTE_PGM_RSRC2:USER_SGPR: 15
; COMPUTE_PGM_RSRC2:TRAP_HANDLER: 0
; COMPUTE_PGM_RSRC2:TGID_X_EN: 1
; COMPUTE_PGM_RSRC2:TGID_Y_EN: 0
; COMPUTE_PGM_RSRC2:TGID_Z_EN: 0
; COMPUTE_PGM_RSRC2:TIDIG_COMP_CNT: 0
	.section	.text._ZN2at6native32tensor_kernel_scan_innermost_dimIN3c107complexIdEEZZZNS0_31launch_logcumsumexp_cuda_kernelERKNS_10TensorBaseES7_lENKUlvE_clEvENKUlvE1_clEvEUlS4_S4_E_EEvPT_PKSB_jjjSB_T0_,"axG",@progbits,_ZN2at6native32tensor_kernel_scan_innermost_dimIN3c107complexIdEEZZZNS0_31launch_logcumsumexp_cuda_kernelERKNS_10TensorBaseES7_lENKUlvE_clEvENKUlvE1_clEvEUlS4_S4_E_EEvPT_PKSB_jjjSB_T0_,comdat
	.globl	_ZN2at6native32tensor_kernel_scan_innermost_dimIN3c107complexIdEEZZZNS0_31launch_logcumsumexp_cuda_kernelERKNS_10TensorBaseES7_lENKUlvE_clEvENKUlvE1_clEvEUlS4_S4_E_EEvPT_PKSB_jjjSB_T0_ ; -- Begin function _ZN2at6native32tensor_kernel_scan_innermost_dimIN3c107complexIdEEZZZNS0_31launch_logcumsumexp_cuda_kernelERKNS_10TensorBaseES7_lENKUlvE_clEvENKUlvE1_clEvEUlS4_S4_E_EEvPT_PKSB_jjjSB_T0_
	.p2align	8
	.type	_ZN2at6native32tensor_kernel_scan_innermost_dimIN3c107complexIdEEZZZNS0_31launch_logcumsumexp_cuda_kernelERKNS_10TensorBaseES7_lENKUlvE_clEvENKUlvE1_clEvEUlS4_S4_E_EEvPT_PKSB_jjjSB_T0_,@function
_ZN2at6native32tensor_kernel_scan_innermost_dimIN3c107complexIdEEZZZNS0_31launch_logcumsumexp_cuda_kernelERKNS_10TensorBaseES7_lENKUlvE_clEvENKUlvE1_clEvEUlS4_S4_E_EEvPT_PKSB_jjjSB_T0_: ; @_ZN2at6native32tensor_kernel_scan_innermost_dimIN3c107complexIdEEZZZNS0_31launch_logcumsumexp_cuda_kernelERKNS_10TensorBaseES7_lENKUlvE_clEvENKUlvE1_clEvEUlS4_S4_E_EEvPT_PKSB_jjjSB_T0_
; %bb.0:
	s_clause 0x1
	s_load_b256 s[36:43], s[0:1], 0x0
	s_load_b128 s[24:27], s[0:1], 0x20
	v_mov_b32_e32 v40, v0
	s_mov_b64 s[18:19], s[0:1]
	s_mov_b32 s17, s15
	s_mov_b32 s32, 0
	s_delay_alu instid0(VALU_DEP_1) | instskip(SKIP_3) | instid1(VALU_DEP_1)
	v_bfe_u32 v46, v40, 10, 10
	s_waitcnt lgkmcnt(0)
	s_lshl_b32 s23, 2, s42
	s_mul_hi_u32 s0, s40, s41
	v_mul_lo_u32 v0, s23, v46
	s_mov_b32 s28, s40
	s_cmp_lg_u32 s0, 0
	s_mov_b32 s0, -1
	s_delay_alu instid0(VALU_DEP_1)
	v_lshl_add_u32 v47, v0, 4, 0
	s_cbranch_scc1 .LBB263_30
; %bb.1:
	s_load_b32 s2, s[18:19], 0x44
	s_add_u32 s0, s18, 56
	s_addc_u32 s1, s19, 0
	s_waitcnt lgkmcnt(0)
	s_lshr_b32 s2, s2, 16
	s_delay_alu instid0(SALU_CYCLE_1) | instskip(NEXT) | instid1(SALU_CYCLE_1)
	s_mul_i32 s29, s17, s2
	s_cmp_ge_u32 s29, s40
	s_cbranch_scc1 .LBB263_29
; %bb.2:
	s_load_b32 s35, s[0:1], 0x0
	v_dual_mov_b32 v42, 0 :: v_dual_and_b32 v45, 0x3ff, v40
	s_lshl_b32 s33, 1, s42
	s_cmp_lg_u32 s41, 0
	s_delay_alu instid0(VALU_DEP_1)
	v_lshl_add_u32 v56, v45, 4, v47
	s_cselect_b32 s34, -1, 0
	s_lshl_b32 s0, s23, 4
	v_cmp_eq_u32_e64 s20, 0, v45
	v_add3_u32 v57, v47, s0, -16
	v_lshl_add_u32 v58, s33, 4, v56
	s_add_i32 s43, s42, 1
	s_waitcnt lgkmcnt(0)
	s_mul_i32 s35, s35, s2
	s_branch .LBB263_4
.LBB263_3:                              ;   in Loop: Header=BB263_4 Depth=1
	s_add_i32 s29, s29, s35
	s_delay_alu instid0(SALU_CYCLE_1)
	s_cmp_ge_u32 s29, s40
	s_cbranch_scc1 .LBB263_29
.LBB263_4:                              ; =>This Loop Header: Depth=1
                                        ;     Child Loop BB263_7 Depth 2
                                        ;       Child Loop BB263_18 Depth 3
	s_and_not1_b32 vcc_lo, exec_lo, s34
	s_cbranch_vccnz .LBB263_3
; %bb.5:                                ;   in Loop: Header=BB263_4 Depth=1
	v_add_nc_u32_e32 v2, s29, v46
	v_dual_mov_b32 v6, s26 :: v_dual_mov_b32 v7, s27
	v_dual_mov_b32 v4, s24 :: v_dual_mov_b32 v5, s25
	s_delay_alu instid0(VALU_DEP_3) | instskip(SKIP_3) | instid1(VALU_DEP_3)
	v_mul_lo_u32 v41, v2, s41
	v_cmp_gt_u32_e64 s21, s40, v2
	v_cmp_le_u32_e64 s22, s40, v2
	s_mov_b32 s44, 0
	v_lshlrev_b64 v[0:1], 4, v[41:42]
	s_delay_alu instid0(VALU_DEP_1) | instskip(NEXT) | instid1(VALU_DEP_2)
	v_add_co_u32 v59, vcc_lo, s38, v0
	v_add_co_ci_u32_e32 v60, vcc_lo, s39, v1, vcc_lo
	v_add_co_u32 v61, vcc_lo, s36, v0
	v_add_co_ci_u32_e32 v62, vcc_lo, s37, v1, vcc_lo
	s_branch .LBB263_7
.LBB263_6:                              ;   in Loop: Header=BB263_7 Depth=2
	s_or_b32 exec_lo, exec_lo, s0
	ds_load_b128 v[4:7], v57
	s_add_i32 s44, s44, s23
	s_waitcnt lgkmcnt(0)
	s_waitcnt_vscnt null, 0x0
	s_cmp_ge_u32 s44, s41
	s_barrier
	buffer_gl0_inv
	s_cbranch_scc1 .LBB263_3
.LBB263_7:                              ;   Parent Loop BB263_4 Depth=1
                                        ; =>  This Loop Header: Depth=2
                                        ;       Child Loop BB263_18 Depth 3
	v_add_nc_u32_e32 v41, s44, v45
	s_delay_alu instid0(VALU_DEP_1)
	v_add_nc_u32_e32 v43, s33, v41
	s_and_saveexec_b32 s45, s21
	s_cbranch_execz .LBB263_16
; %bb.8:                                ;   in Loop: Header=BB263_7 Depth=2
	s_mov_b32 s0, exec_lo
	v_cmpx_le_u32_e64 s41, v41
	s_xor_b32 s0, exec_lo, s0
	s_cbranch_execz .LBB263_10
; %bb.9:                                ;   in Loop: Header=BB263_7 Depth=2
	v_dual_mov_b32 v0, s24 :: v_dual_mov_b32 v1, s25
	v_dual_mov_b32 v2, s26 :: v_dual_mov_b32 v3, s27
	ds_store_b128 v56, v[0:3]
.LBB263_10:                             ;   in Loop: Header=BB263_7 Depth=2
	s_and_not1_saveexec_b32 s0, s0
	s_cbranch_execz .LBB263_12
; %bb.11:                               ;   in Loop: Header=BB263_7 Depth=2
	v_lshlrev_b64 v[0:1], 4, v[41:42]
	s_delay_alu instid0(VALU_DEP_1) | instskip(NEXT) | instid1(VALU_DEP_2)
	v_add_co_u32 v0, vcc_lo, v59, v0
	v_add_co_ci_u32_e32 v1, vcc_lo, v60, v1, vcc_lo
	global_load_b128 v[0:3], v[0:1], off
	s_waitcnt vmcnt(0)
	ds_store_b128 v56, v[0:3]
.LBB263_12:                             ;   in Loop: Header=BB263_7 Depth=2
	s_or_b32 exec_lo, exec_lo, s0
	s_delay_alu instid0(SALU_CYCLE_1)
	s_mov_b32 s0, exec_lo
	v_cmpx_le_u32_e64 s41, v43
	s_xor_b32 s0, exec_lo, s0
	s_cbranch_execnz .LBB263_27
; %bb.13:                               ;   in Loop: Header=BB263_7 Depth=2
	s_and_not1_saveexec_b32 s0, s0
	s_cbranch_execnz .LBB263_28
.LBB263_14:                             ;   in Loop: Header=BB263_7 Depth=2
	s_or_b32 exec_lo, exec_lo, s0
	s_delay_alu instid0(SALU_CYCLE_1)
	s_and_b32 exec_lo, exec_lo, s20
	s_cbranch_execz .LBB263_16
.LBB263_15:                             ;   in Loop: Header=BB263_7 Depth=2
	ds_load_b128 v[0:3], v47
	s_getpc_b64 s[0:1]
	s_add_u32 s0, s0, _ZZZZN2at6native31launch_logcumsumexp_cuda_kernelERKNS_10TensorBaseES3_lENKUlvE_clEvENKUlvE1_clEvENKUlN3c107complexIdEES8_E_clES8_S8_@rel32@lo+4
	s_addc_u32 s1, s1, _ZZZZN2at6native31launch_logcumsumexp_cuda_kernelERKNS_10TensorBaseES3_lENKUlvE_clEvENKUlvE1_clEvENKUlN3c107complexIdEES8_E_clES8_S8_@rel32@hi+12
	s_delay_alu instid0(SALU_CYCLE_1)
	s_swappc_b64 s[30:31], s[0:1]
	ds_store_b128 v47, v[0:3]
.LBB263_16:                             ;   in Loop: Header=BB263_7 Depth=2
	s_or_b32 exec_lo, exec_lo, s45
	v_mov_b32_e32 v4, 0
	s_mov_b32 s45, 0
	s_waitcnt lgkmcnt(0)
	s_waitcnt_vscnt null, 0x0
	s_barrier
	buffer_gl0_inv
	s_set_inst_prefetch_distance 0x1
	s_branch .LBB263_18
	.p2align	6
.LBB263_17:                             ;   in Loop: Header=BB263_18 Depth=3
	s_or_b32 exec_lo, exec_lo, s46
	s_delay_alu instid0(VALU_DEP_1)
	v_cmp_eq_u32_e32 vcc_lo, s43, v4
	s_waitcnt lgkmcnt(0)
	s_waitcnt_vscnt null, 0x0
	s_barrier
	buffer_gl0_inv
	s_or_b32 s45, vcc_lo, s45
	s_delay_alu instid0(SALU_CYCLE_1)
	s_and_not1_b32 exec_lo, exec_lo, s45
	s_cbranch_execz .LBB263_22
.LBB263_18:                             ;   Parent Loop BB263_4 Depth=1
                                        ;     Parent Loop BB263_7 Depth=2
                                        ; =>    This Inner Loop Header: Depth=3
	v_add_nc_u32_e32 v44, 1, v4
	s_and_saveexec_b32 s0, s22
	s_delay_alu instid0(SALU_CYCLE_1)
	s_xor_b32 s0, exec_lo, s0
; %bb.19:                               ;   in Loop: Header=BB263_18 Depth=3
	v_add_nc_u32_e32 v4, 1, v4
                                        ; implicit-def: $vgpr44
; %bb.20:                               ;   in Loop: Header=BB263_18 Depth=3
	s_and_not1_saveexec_b32 s46, s0
	s_cbranch_execz .LBB263_17
; %bb.21:                               ;   in Loop: Header=BB263_18 Depth=3
	s_delay_alu instid0(VALU_DEP_1)
	v_lshlrev_b32_e64 v0, v4, 1
	v_lshrrev_b32_e32 v1, v4, v45
	v_bfm_b32 v2, v4, 0
	s_getpc_b64 s[0:1]
	s_add_u32 s0, s0, _ZZZZN2at6native31launch_logcumsumexp_cuda_kernelERKNS_10TensorBaseES3_lENKUlvE_clEvENKUlvE1_clEvENKUlN3c107complexIdEES8_E_clES8_S8_@rel32@lo+4
	s_addc_u32 s1, s1, _ZZZZN2at6native31launch_logcumsumexp_cuda_kernelERKNS_10TensorBaseES3_lENKUlvE_clEvENKUlvE1_clEvENKUlN3c107complexIdEES8_E_clES8_S8_@rel32@hi+12
	v_lshl_or_b32 v0, v1, v44, v0
	v_and_b32_e32 v1, v2, v45
	s_delay_alu instid0(VALU_DEP_2) | instskip(NEXT) | instid1(VALU_DEP_1)
	v_lshl_add_u32 v0, v0, 4, v47
	v_lshl_add_u32 v63, v1, 4, v0
	v_add_nc_u32_e32 v4, -16, v0
	ds_load_b128 v[0:3], v63
	ds_load_b128 v[4:7], v4
	s_swappc_b64 s[30:31], s[0:1]
	v_mov_b32_e32 v4, v44
	ds_store_b128 v63, v[0:3]
	s_branch .LBB263_17
.LBB263_22:                             ;   in Loop: Header=BB263_7 Depth=2
	s_set_inst_prefetch_distance 0x2
	s_or_b32 exec_lo, exec_lo, s45
	s_and_saveexec_b32 s0, s21
	s_cbranch_execz .LBB263_6
; %bb.23:                               ;   in Loop: Header=BB263_7 Depth=2
	s_mov_b32 s1, exec_lo
	v_cmpx_gt_u32_e64 s41, v41
	s_cbranch_execz .LBB263_25
; %bb.24:                               ;   in Loop: Header=BB263_7 Depth=2
	ds_load_b128 v[0:3], v56
	v_lshlrev_b64 v[4:5], 4, v[41:42]
	s_delay_alu instid0(VALU_DEP_1) | instskip(NEXT) | instid1(VALU_DEP_2)
	v_add_co_u32 v4, vcc_lo, v61, v4
	v_add_co_ci_u32_e32 v5, vcc_lo, v62, v5, vcc_lo
	s_waitcnt lgkmcnt(0)
	global_store_b128 v[4:5], v[0:3], off
.LBB263_25:                             ;   in Loop: Header=BB263_7 Depth=2
	s_or_b32 exec_lo, exec_lo, s1
	v_cmp_gt_u32_e32 vcc_lo, s41, v43
	s_and_b32 exec_lo, exec_lo, vcc_lo
	s_cbranch_execz .LBB263_6
; %bb.26:                               ;   in Loop: Header=BB263_7 Depth=2
	ds_load_b128 v[0:3], v58
	v_mov_b32_e32 v44, v42
	s_delay_alu instid0(VALU_DEP_1) | instskip(NEXT) | instid1(VALU_DEP_1)
	v_lshlrev_b64 v[4:5], 4, v[43:44]
	v_add_co_u32 v4, vcc_lo, v61, v4
	s_delay_alu instid0(VALU_DEP_2)
	v_add_co_ci_u32_e32 v5, vcc_lo, v62, v5, vcc_lo
	s_waitcnt lgkmcnt(0)
	global_store_b128 v[4:5], v[0:3], off
	s_branch .LBB263_6
.LBB263_27:                             ;   in Loop: Header=BB263_7 Depth=2
	v_dual_mov_b32 v0, s24 :: v_dual_mov_b32 v1, s25
	v_dual_mov_b32 v2, s26 :: v_dual_mov_b32 v3, s27
	ds_store_b128 v58, v[0:3]
	s_and_not1_saveexec_b32 s0, s0
	s_cbranch_execz .LBB263_14
.LBB263_28:                             ;   in Loop: Header=BB263_7 Depth=2
	v_mov_b32_e32 v44, v42
	s_delay_alu instid0(VALU_DEP_1) | instskip(NEXT) | instid1(VALU_DEP_1)
	v_lshlrev_b64 v[0:1], 4, v[43:44]
	v_add_co_u32 v0, vcc_lo, v59, v0
	s_delay_alu instid0(VALU_DEP_2) | instskip(SKIP_4) | instid1(SALU_CYCLE_1)
	v_add_co_ci_u32_e32 v1, vcc_lo, v60, v1, vcc_lo
	global_load_b128 v[0:3], v[0:1], off
	s_waitcnt vmcnt(0)
	ds_store_b128 v58, v[0:3]
	s_or_b32 exec_lo, exec_lo, s0
	s_and_b32 exec_lo, exec_lo, s20
	s_cbranch_execnz .LBB263_15
	s_branch .LBB263_16
.LBB263_29:
	s_mov_b32 s0, 0
.LBB263_30:
	s_delay_alu instid0(SALU_CYCLE_1)
	s_and_not1_b32 vcc_lo, exec_lo, s0
	s_cbranch_vccnz .LBB263_61
; %bb.31:
	s_load_b32 s2, s[18:19], 0x44
	s_add_u32 s0, s18, 56
	s_addc_u32 s1, s19, 0
	s_mov_b32 s29, 0
	s_waitcnt lgkmcnt(0)
	s_lshr_b32 s2, s2, 16
	s_delay_alu instid0(SALU_CYCLE_1) | instskip(SKIP_1) | instid1(SALU_CYCLE_1)
	s_mul_hi_u32 s21, s2, s17
	s_mul_i32 s20, s2, s17
	v_cmp_ge_u64_e64 s3, s[20:21], s[28:29]
	s_delay_alu instid0(VALU_DEP_1)
	s_and_b32 vcc_lo, exec_lo, s3
	s_cbranch_vccnz .LBB263_61
; %bb.32:
	s_load_b32 s0, s[0:1], 0x0
	v_dual_mov_b32 v41, 0 :: v_dual_and_b32 v40, 0x3ff, v40
	s_lshl_b32 s22, 1, s42
	s_and_b32 s1, 0xffff, s2
	s_ashr_i32 s23, s22, 31
	s_cmp_lg_u32 s41, 0
	v_lshl_add_u32 v56, v40, 4, v47
	s_mov_b32 s34, s41
	s_cselect_b32 s33, -1, 0
	s_lshl_b64 s[40:41], s[22:23], 1
	v_cmp_eq_u32_e64 s17, 0, v40
	s_lshl_b32 s2, s40, 4
	v_lshl_add_u32 v58, s22, 4, v56
	v_add3_u32 v57, v47, s2, -16
	s_mov_b32 s35, s29
	s_add_i32 s45, s42, 1
	s_waitcnt lgkmcnt(0)
	s_mul_i32 s44, s0, s1
	s_branch .LBB263_34
.LBB263_33:                             ;   in Loop: Header=BB263_34 Depth=1
	s_add_u32 s20, s20, s44
	s_addc_u32 s21, s21, 0
	s_delay_alu instid0(SALU_CYCLE_1) | instskip(NEXT) | instid1(VALU_DEP_1)
	v_cmp_ge_u64_e64 s0, s[20:21], s[28:29]
	s_and_b32 vcc_lo, exec_lo, s0
	s_cbranch_vccnz .LBB263_61
.LBB263_34:                             ; =>This Loop Header: Depth=1
                                        ;     Child Loop BB263_37 Depth 2
                                        ;       Child Loop BB263_49 Depth 3
	s_and_not1_b32 vcc_lo, exec_lo, s33
	s_cbranch_vccnz .LBB263_33
; %bb.35:                               ;   in Loop: Header=BB263_34 Depth=1
	v_add_co_u32 v0, s0, s20, v46
	s_delay_alu instid0(VALU_DEP_1) | instskip(SKIP_1) | instid1(VALU_DEP_2)
	v_add_co_ci_u32_e64 v1, null, s21, 0, s0
	s_mov_b64 s[42:43], 0
	v_mad_u64_u32 v[2:3], null, v0, s34, 0
	s_delay_alu instid0(VALU_DEP_2) | instskip(SKIP_2) | instid1(VALU_DEP_4)
	v_cmp_gt_u64_e64 s18, s[28:29], v[0:1]
	v_cmp_le_u64_e64 s19, s[28:29], v[0:1]
	v_dual_mov_b32 v6, s26 :: v_dual_mov_b32 v7, s27
	v_mad_u64_u32 v[4:5], null, v1, s34, v[3:4]
	s_delay_alu instid0(VALU_DEP_1) | instskip(SKIP_1) | instid1(VALU_DEP_2)
	v_dual_mov_b32 v3, v4 :: v_dual_mov_b32 v4, s24
	v_mov_b32_e32 v5, s25
	v_lshlrev_b64 v[2:3], 4, v[2:3]
	s_delay_alu instid0(VALU_DEP_1) | instskip(NEXT) | instid1(VALU_DEP_2)
	v_add_co_u32 v59, vcc_lo, s38, v2
	v_add_co_ci_u32_e32 v60, vcc_lo, s39, v3, vcc_lo
	v_add_co_u32 v61, vcc_lo, s36, v2
	v_add_co_ci_u32_e32 v62, vcc_lo, s37, v3, vcc_lo
	s_branch .LBB263_37
.LBB263_36:                             ;   in Loop: Header=BB263_37 Depth=2
	s_or_b32 exec_lo, exec_lo, s0
	ds_load_b128 v[4:7], v57
	s_add_u32 s42, s42, s40
	s_addc_u32 s43, s43, s41
	s_waitcnt lgkmcnt(0)
	s_waitcnt_vscnt null, 0x0
	v_cmp_ge_u64_e64 s0, s[42:43], s[34:35]
	s_barrier
	buffer_gl0_inv
	s_and_b32 vcc_lo, exec_lo, s0
	s_cbranch_vccnz .LBB263_33
.LBB263_37:                             ;   Parent Loop BB263_34 Depth=1
                                        ; =>  This Loop Header: Depth=2
                                        ;       Child Loop BB263_49 Depth 3
	v_add_co_u32 v44, s0, s42, v40
	s_delay_alu instid0(VALU_DEP_1) | instskip(NEXT) | instid1(VALU_DEP_2)
	v_add_co_ci_u32_e64 v45, null, s43, 0, s0
	v_add_co_u32 v42, vcc_lo, v44, s22
	s_delay_alu instid0(VALU_DEP_2)
	v_add_co_ci_u32_e32 v43, vcc_lo, s23, v45, vcc_lo
	s_and_saveexec_b32 s46, s18
	s_cbranch_execz .LBB263_46
; %bb.38:                               ;   in Loop: Header=BB263_37 Depth=2
	s_mov_b32 s0, exec_lo
	v_cmpx_le_u64_e64 s[34:35], v[44:45]
	s_xor_b32 s0, exec_lo, s0
	s_cbranch_execz .LBB263_40
; %bb.39:                               ;   in Loop: Header=BB263_37 Depth=2
	v_dual_mov_b32 v0, s24 :: v_dual_mov_b32 v1, s25
	v_dual_mov_b32 v2, s26 :: v_dual_mov_b32 v3, s27
	ds_store_b128 v56, v[0:3]
.LBB263_40:                             ;   in Loop: Header=BB263_37 Depth=2
	s_and_not1_saveexec_b32 s0, s0
	s_cbranch_execz .LBB263_42
; %bb.41:                               ;   in Loop: Header=BB263_37 Depth=2
	v_lshlrev_b64 v[0:1], 4, v[44:45]
	s_delay_alu instid0(VALU_DEP_1) | instskip(NEXT) | instid1(VALU_DEP_2)
	v_add_co_u32 v0, vcc_lo, v59, v0
	v_add_co_ci_u32_e32 v1, vcc_lo, v60, v1, vcc_lo
	global_load_b128 v[0:3], v[0:1], off
	s_waitcnt vmcnt(0)
	ds_store_b128 v56, v[0:3]
.LBB263_42:                             ;   in Loop: Header=BB263_37 Depth=2
	s_or_b32 exec_lo, exec_lo, s0
	s_delay_alu instid0(SALU_CYCLE_1)
	s_mov_b32 s0, exec_lo
	v_cmpx_le_u64_e64 s[34:35], v[42:43]
	s_xor_b32 s0, exec_lo, s0
	s_cbranch_execnz .LBB263_59
; %bb.43:                               ;   in Loop: Header=BB263_37 Depth=2
	s_and_not1_saveexec_b32 s0, s0
	s_cbranch_execnz .LBB263_60
.LBB263_44:                             ;   in Loop: Header=BB263_37 Depth=2
	s_or_b32 exec_lo, exec_lo, s0
	s_delay_alu instid0(SALU_CYCLE_1)
	s_and_b32 exec_lo, exec_lo, s17
	s_cbranch_execz .LBB263_46
.LBB263_45:                             ;   in Loop: Header=BB263_37 Depth=2
	ds_load_b128 v[0:3], v47
	s_getpc_b64 s[0:1]
	s_add_u32 s0, s0, _ZZZZN2at6native31launch_logcumsumexp_cuda_kernelERKNS_10TensorBaseES3_lENKUlvE_clEvENKUlvE1_clEvENKUlN3c107complexIdEES8_E_clES8_S8_@rel32@lo+4
	s_addc_u32 s1, s1, _ZZZZN2at6native31launch_logcumsumexp_cuda_kernelERKNS_10TensorBaseES3_lENKUlvE_clEvENKUlvE1_clEvENKUlN3c107complexIdEES8_E_clES8_S8_@rel32@hi+12
	s_delay_alu instid0(SALU_CYCLE_1)
	s_swappc_b64 s[30:31], s[0:1]
	ds_store_b128 v47, v[0:3]
.LBB263_46:                             ;   in Loop: Header=BB263_37 Depth=2
	s_or_b32 exec_lo, exec_lo, s46
	v_mov_b32_e32 v3, 0
	s_mov_b32 s46, 0
	s_waitcnt lgkmcnt(0)
	s_waitcnt_vscnt null, 0x0
	s_barrier
	buffer_gl0_inv
	s_branch .LBB263_49
.LBB263_47:                             ;   in Loop: Header=BB263_49 Depth=3
	s_or_b32 exec_lo, exec_lo, s0
	v_lshrrev_b32_e32 v2, v3, v40
	s_getpc_b64 s[0:1]
	s_add_u32 s0, s0, _ZZZZN2at6native31launch_logcumsumexp_cuda_kernelERKNS_10TensorBaseES3_lENKUlvE_clEvENKUlvE1_clEvENKUlN3c107complexIdEES8_E_clES8_S8_@rel32@lo+4
	s_addc_u32 s1, s1, _ZZZZN2at6native31launch_logcumsumexp_cuda_kernelERKNS_10TensorBaseES3_lENKUlvE_clEvENKUlvE1_clEvENKUlN3c107complexIdEES8_E_clES8_S8_@rel32@hi+12
	s_delay_alu instid0(VALU_DEP_1) | instskip(NEXT) | instid1(VALU_DEP_1)
	v_lshl_or_b32 v0, v2, v63, v0
	v_lshl_add_u32 v0, v0, 4, v47
	s_delay_alu instid0(VALU_DEP_1)
	v_lshl_add_u32 v72, v1, 4, v0
	v_add_nc_u32_e32 v4, -16, v0
	ds_load_b128 v[0:3], v72
	ds_load_b128 v[4:7], v4
	s_swappc_b64 s[30:31], s[0:1]
	ds_store_b128 v72, v[0:3]
.LBB263_48:                             ;   in Loop: Header=BB263_49 Depth=3
	s_or_b32 exec_lo, exec_lo, s47
	s_delay_alu instid0(VALU_DEP_1)
	v_cmp_eq_u32_e32 vcc_lo, s45, v63
	v_mov_b32_e32 v3, v63
	s_waitcnt lgkmcnt(0)
	s_waitcnt_vscnt null, 0x0
	s_barrier
	buffer_gl0_inv
	s_or_b32 s46, vcc_lo, s46
	s_delay_alu instid0(SALU_CYCLE_1)
	s_and_not1_b32 exec_lo, exec_lo, s46
	s_cbranch_execz .LBB263_54
.LBB263_49:                             ;   Parent Loop BB263_34 Depth=1
                                        ;     Parent Loop BB263_37 Depth=2
                                        ; =>    This Inner Loop Header: Depth=3
	v_add_nc_u32_e32 v63, 1, v3
	s_and_saveexec_b32 s0, s19
	s_delay_alu instid0(SALU_CYCLE_1)
	s_xor_b32 s0, exec_lo, s0
; %bb.50:                               ;   in Loop: Header=BB263_49 Depth=3
	v_add_nc_u32_e32 v63, 1, v3
                                        ; implicit-def: $vgpr3
; %bb.51:                               ;   in Loop: Header=BB263_49 Depth=3
	s_and_not1_saveexec_b32 s47, s0
	s_cbranch_execz .LBB263_48
; %bb.52:                               ;   in Loop: Header=BB263_49 Depth=3
	v_lshlrev_b32_e64 v0, v3, 1
	s_delay_alu instid0(VALU_DEP_1) | instskip(NEXT) | instid1(VALU_DEP_1)
	v_ashrrev_i32_e32 v1, 31, v0
	v_cmp_ge_u64_e32 vcc_lo, v[40:41], v[0:1]
	v_dual_mov_b32 v1, v40 :: v_dual_mov_b32 v2, v41
	s_and_saveexec_b32 s0, vcc_lo
	s_cbranch_execz .LBB263_47
; %bb.53:                               ;   in Loop: Header=BB263_49 Depth=3
	v_cvt_f32_u32_e32 v1, v0
	v_sub_nc_u32_e32 v2, 0, v0
	s_delay_alu instid0(VALU_DEP_2) | instskip(SKIP_2) | instid1(VALU_DEP_1)
	v_rcp_iflag_f32_e32 v1, v1
	s_waitcnt_depctr 0xfff
	v_mul_f32_e32 v1, 0x4f7ffffe, v1
	v_cvt_u32_f32_e32 v1, v1
	s_delay_alu instid0(VALU_DEP_1) | instskip(NEXT) | instid1(VALU_DEP_1)
	v_mul_lo_u32 v2, v2, v1
	v_mul_hi_u32 v2, v1, v2
	s_delay_alu instid0(VALU_DEP_1) | instskip(NEXT) | instid1(VALU_DEP_1)
	v_add_nc_u32_e32 v1, v1, v2
	v_mul_hi_u32 v1, v40, v1
	s_delay_alu instid0(VALU_DEP_1) | instskip(NEXT) | instid1(VALU_DEP_1)
	v_mul_lo_u32 v1, v1, v0
	v_sub_nc_u32_e32 v1, v40, v1
	s_delay_alu instid0(VALU_DEP_1) | instskip(SKIP_1) | instid1(VALU_DEP_2)
	v_sub_nc_u32_e32 v2, v1, v0
	v_cmp_ge_u32_e32 vcc_lo, v1, v0
	v_cndmask_b32_e32 v1, v1, v2, vcc_lo
	s_delay_alu instid0(VALU_DEP_1) | instskip(SKIP_1) | instid1(VALU_DEP_2)
	v_sub_nc_u32_e32 v2, v1, v0
	v_cmp_ge_u32_e32 vcc_lo, v1, v0
	v_cndmask_b32_e32 v1, v1, v2, vcc_lo
	s_branch .LBB263_47
.LBB263_54:                             ;   in Loop: Header=BB263_37 Depth=2
	s_or_b32 exec_lo, exec_lo, s46
	s_and_saveexec_b32 s0, s18
	s_cbranch_execz .LBB263_36
; %bb.55:                               ;   in Loop: Header=BB263_37 Depth=2
	s_mov_b32 s1, exec_lo
	v_cmpx_gt_u64_e64 s[34:35], v[44:45]
	s_cbranch_execz .LBB263_57
; %bb.56:                               ;   in Loop: Header=BB263_37 Depth=2
	ds_load_b128 v[0:3], v56
	v_lshlrev_b64 v[4:5], 4, v[44:45]
	s_delay_alu instid0(VALU_DEP_1) | instskip(NEXT) | instid1(VALU_DEP_2)
	v_add_co_u32 v4, vcc_lo, v61, v4
	v_add_co_ci_u32_e32 v5, vcc_lo, v62, v5, vcc_lo
	s_waitcnt lgkmcnt(0)
	global_store_b128 v[4:5], v[0:3], off
.LBB263_57:                             ;   in Loop: Header=BB263_37 Depth=2
	s_or_b32 exec_lo, exec_lo, s1
	v_cmp_gt_u64_e32 vcc_lo, s[34:35], v[42:43]
	s_and_b32 exec_lo, exec_lo, vcc_lo
	s_cbranch_execz .LBB263_36
; %bb.58:                               ;   in Loop: Header=BB263_37 Depth=2
	ds_load_b128 v[0:3], v58
	v_lshlrev_b64 v[4:5], 4, v[42:43]
	s_delay_alu instid0(VALU_DEP_1) | instskip(NEXT) | instid1(VALU_DEP_2)
	v_add_co_u32 v4, vcc_lo, v61, v4
	v_add_co_ci_u32_e32 v5, vcc_lo, v62, v5, vcc_lo
	s_waitcnt lgkmcnt(0)
	global_store_b128 v[4:5], v[0:3], off
	s_branch .LBB263_36
.LBB263_59:                             ;   in Loop: Header=BB263_37 Depth=2
	v_dual_mov_b32 v0, s24 :: v_dual_mov_b32 v1, s25
	v_dual_mov_b32 v2, s26 :: v_dual_mov_b32 v3, s27
	ds_store_b128 v58, v[0:3]
	s_and_not1_saveexec_b32 s0, s0
	s_cbranch_execz .LBB263_44
.LBB263_60:                             ;   in Loop: Header=BB263_37 Depth=2
	v_lshlrev_b64 v[0:1], 4, v[42:43]
	s_delay_alu instid0(VALU_DEP_1) | instskip(NEXT) | instid1(VALU_DEP_2)
	v_add_co_u32 v0, vcc_lo, v59, v0
	v_add_co_ci_u32_e32 v1, vcc_lo, v60, v1, vcc_lo
	global_load_b128 v[0:3], v[0:1], off
	s_waitcnt vmcnt(0)
	ds_store_b128 v58, v[0:3]
	s_or_b32 exec_lo, exec_lo, s0
	s_delay_alu instid0(SALU_CYCLE_1)
	s_and_b32 exec_lo, exec_lo, s17
	s_cbranch_execnz .LBB263_45
	s_branch .LBB263_46
.LBB263_61:
	s_endpgm
	.section	.rodata,"a",@progbits
	.p2align	6, 0x0
	.amdhsa_kernel _ZN2at6native32tensor_kernel_scan_innermost_dimIN3c107complexIdEEZZZNS0_31launch_logcumsumexp_cuda_kernelERKNS_10TensorBaseES7_lENKUlvE_clEvENKUlvE1_clEvEUlS4_S4_E_EEvPT_PKSB_jjjSB_T0_
		.amdhsa_group_segment_fixed_size 0
		.amdhsa_private_segment_fixed_size 0
		.amdhsa_kernarg_size 312
		.amdhsa_user_sgpr_count 15
		.amdhsa_user_sgpr_dispatch_ptr 0
		.amdhsa_user_sgpr_queue_ptr 0
		.amdhsa_user_sgpr_kernarg_segment_ptr 1
		.amdhsa_user_sgpr_dispatch_id 0
		.amdhsa_user_sgpr_private_segment_size 0
		.amdhsa_wavefront_size32 1
		.amdhsa_uses_dynamic_stack 0
		.amdhsa_enable_private_segment 0
		.amdhsa_system_sgpr_workgroup_id_x 1
		.amdhsa_system_sgpr_workgroup_id_y 0
		.amdhsa_system_sgpr_workgroup_id_z 0
		.amdhsa_system_sgpr_workgroup_info 0
		.amdhsa_system_vgpr_workitem_id 1
		.amdhsa_next_free_vgpr 136
		.amdhsa_next_free_sgpr 48
		.amdhsa_reserve_vcc 1
		.amdhsa_float_round_mode_32 0
		.amdhsa_float_round_mode_16_64 0
		.amdhsa_float_denorm_mode_32 3
		.amdhsa_float_denorm_mode_16_64 3
		.amdhsa_dx10_clamp 1
		.amdhsa_ieee_mode 1
		.amdhsa_fp16_overflow 0
		.amdhsa_workgroup_processor_mode 1
		.amdhsa_memory_ordered 1
		.amdhsa_forward_progress 0
		.amdhsa_shared_vgpr_count 0
		.amdhsa_exception_fp_ieee_invalid_op 0
		.amdhsa_exception_fp_denorm_src 0
		.amdhsa_exception_fp_ieee_div_zero 0
		.amdhsa_exception_fp_ieee_overflow 0
		.amdhsa_exception_fp_ieee_underflow 0
		.amdhsa_exception_fp_ieee_inexact 0
		.amdhsa_exception_int_div_zero 0
	.end_amdhsa_kernel
	.section	.text._ZN2at6native32tensor_kernel_scan_innermost_dimIN3c107complexIdEEZZZNS0_31launch_logcumsumexp_cuda_kernelERKNS_10TensorBaseES7_lENKUlvE_clEvENKUlvE1_clEvEUlS4_S4_E_EEvPT_PKSB_jjjSB_T0_,"axG",@progbits,_ZN2at6native32tensor_kernel_scan_innermost_dimIN3c107complexIdEEZZZNS0_31launch_logcumsumexp_cuda_kernelERKNS_10TensorBaseES7_lENKUlvE_clEvENKUlvE1_clEvEUlS4_S4_E_EEvPT_PKSB_jjjSB_T0_,comdat
.Lfunc_end263:
	.size	_ZN2at6native32tensor_kernel_scan_innermost_dimIN3c107complexIdEEZZZNS0_31launch_logcumsumexp_cuda_kernelERKNS_10TensorBaseES7_lENKUlvE_clEvENKUlvE1_clEvEUlS4_S4_E_EEvPT_PKSB_jjjSB_T0_, .Lfunc_end263-_ZN2at6native32tensor_kernel_scan_innermost_dimIN3c107complexIdEEZZZNS0_31launch_logcumsumexp_cuda_kernelERKNS_10TensorBaseES7_lENKUlvE_clEvENKUlvE1_clEvEUlS4_S4_E_EEvPT_PKSB_jjjSB_T0_
                                        ; -- End function
	.section	.AMDGPU.csdata,"",@progbits
; Kernel info:
; codeLenInByte = 2312
; NumSgprs: 50
; NumVgprs: 136
; ScratchSize: 0
; MemoryBound: 0
; FloatMode: 240
; IeeeMode: 1
; LDSByteSize: 0 bytes/workgroup (compile time only)
; SGPRBlocks: 6
; VGPRBlocks: 16
; NumSGPRsForWavesPerEU: 50
; NumVGPRsForWavesPerEU: 136
; Occupancy: 10
; WaveLimiterHint : 0
; COMPUTE_PGM_RSRC2:SCRATCH_EN: 0
; COMPUTE_PGM_RSRC2:USER_SGPR: 15
; COMPUTE_PGM_RSRC2:TRAP_HANDLER: 0
; COMPUTE_PGM_RSRC2:TGID_X_EN: 1
; COMPUTE_PGM_RSRC2:TGID_Y_EN: 0
; COMPUTE_PGM_RSRC2:TGID_Z_EN: 0
; COMPUTE_PGM_RSRC2:TIDIG_COMP_CNT: 1
	.section	.text._ZN2at6native28tensor_kernel_scan_outer_dimIN3c107complexIdEEjZZZNS0_31launch_logcumsumexp_cuda_kernelERKNS_10TensorBaseES7_lENKUlvE_clEvENKUlvE1_clEvEUlS4_S4_E_EEvPT_PKSB_jjjSB_T1_,"axG",@progbits,_ZN2at6native28tensor_kernel_scan_outer_dimIN3c107complexIdEEjZZZNS0_31launch_logcumsumexp_cuda_kernelERKNS_10TensorBaseES7_lENKUlvE_clEvENKUlvE1_clEvEUlS4_S4_E_EEvPT_PKSB_jjjSB_T1_,comdat
	.globl	_ZN2at6native28tensor_kernel_scan_outer_dimIN3c107complexIdEEjZZZNS0_31launch_logcumsumexp_cuda_kernelERKNS_10TensorBaseES7_lENKUlvE_clEvENKUlvE1_clEvEUlS4_S4_E_EEvPT_PKSB_jjjSB_T1_ ; -- Begin function _ZN2at6native28tensor_kernel_scan_outer_dimIN3c107complexIdEEjZZZNS0_31launch_logcumsumexp_cuda_kernelERKNS_10TensorBaseES7_lENKUlvE_clEvENKUlvE1_clEvEUlS4_S4_E_EEvPT_PKSB_jjjSB_T1_
	.p2align	8
	.type	_ZN2at6native28tensor_kernel_scan_outer_dimIN3c107complexIdEEjZZZNS0_31launch_logcumsumexp_cuda_kernelERKNS_10TensorBaseES7_lENKUlvE_clEvENKUlvE1_clEvEUlS4_S4_E_EEvPT_PKSB_jjjSB_T1_,@function
_ZN2at6native28tensor_kernel_scan_outer_dimIN3c107complexIdEEjZZZNS0_31launch_logcumsumexp_cuda_kernelERKNS_10TensorBaseES7_lENKUlvE_clEvENKUlvE1_clEvEUlS4_S4_E_EEvPT_PKSB_jjjSB_T1_: ; @_ZN2at6native28tensor_kernel_scan_outer_dimIN3c107complexIdEEjZZZNS0_31launch_logcumsumexp_cuda_kernelERKNS_10TensorBaseES7_lENKUlvE_clEvENKUlvE1_clEvEUlS4_S4_E_EEvPT_PKSB_jjjSB_T1_
; %bb.0:
	s_load_b128 s[20:23], s[0:1], 0x10
	s_mov_b32 s32, 0
	s_waitcnt lgkmcnt(0)
	s_cmp_ge_u32 s14, s20
	s_cbranch_scc1 .LBB264_9
; %bb.1:
	s_clause 0x3
	s_load_b32 s2, s[0:1], 0x44
	s_load_b32 s19, s[0:1], 0x38
	s_load_b128 s[24:27], s[0:1], 0x0
	s_load_b128 s[36:39], s[0:1], 0x20
	s_add_u32 s28, s0, 56
	s_addc_u32 s29, s1, 0
	s_mul_i32 s0, s14, s22
	v_mov_b32_e32 v42, 0
	s_mov_b32 s35, 0
	s_mov_b32 s34, s21
	s_mul_i32 s0, s0, s21
	s_mov_b32 s17, s14
	s_waitcnt lgkmcnt(0)
	s_and_b32 s23, s2, 0xffff
	s_cmp_lg_u32 s22, 0
	v_mad_u64_u32 v[40:41], null, s15, s23, v[0:1]
	s_mul_i32 s44, s19, s22
	s_cselect_b32 s33, -1, 0
	s_mul_i32 s44, s44, s21
	s_lshl_b64 s[40:41], s[34:35], 4
	s_mov_b32 s34, s0
	s_delay_alu instid0(VALU_DEP_1)
	v_cmp_gt_u32_e64 s18, s21, v40
	s_branch .LBB264_3
.LBB264_2:                              ;   in Loop: Header=BB264_3 Depth=1
	s_set_inst_prefetch_distance 0x2
	s_or_b32 exec_lo, exec_lo, s45
	s_add_i32 s17, s19, s17
	s_add_i32 s34, s34, s44
	s_cmp_ge_u32 s17, s20
	s_cbranch_scc1 .LBB264_9
.LBB264_3:                              ; =>This Loop Header: Depth=1
                                        ;     Child Loop BB264_6 Depth 2
                                        ;       Child Loop BB264_8 Depth 3
	s_delay_alu instid0(VALU_DEP_1)
	s_and_saveexec_b32 s45, s18
	s_cbranch_execz .LBB264_2
; %bb.4:                                ;   in Loop: Header=BB264_3 Depth=1
	s_load_b32 s46, s[28:29], 0x4
	v_mov_b32_e32 v41, v40
	s_lshl_b64 s[42:43], s[34:35], 4
	s_mov_b32 s47, 0
	s_waitcnt lgkmcnt(0)
	s_mul_i32 s46, s46, s23
	s_set_inst_prefetch_distance 0x1
	s_branch .LBB264_6
	.p2align	6
.LBB264_5:                              ;   in Loop: Header=BB264_6 Depth=2
	v_add_nc_u32_e32 v41, s46, v41
	s_delay_alu instid0(VALU_DEP_1) | instskip(SKIP_1) | instid1(SALU_CYCLE_1)
	v_cmp_le_u32_e32 vcc_lo, s21, v41
	s_or_b32 s47, vcc_lo, s47
	s_and_not1_b32 exec_lo, exec_lo, s47
	s_cbranch_execz .LBB264_2
.LBB264_6:                              ;   Parent Loop BB264_3 Depth=1
                                        ; =>  This Loop Header: Depth=2
                                        ;       Child Loop BB264_8 Depth 3
	s_and_not1_b32 vcc_lo, exec_lo, s33
	s_cbranch_vccnz .LBB264_5
; %bb.7:                                ;   in Loop: Header=BB264_6 Depth=2
	v_lshlrev_b64 v[0:1], 4, v[41:42]
	v_dual_mov_b32 v2, s38 :: v_dual_mov_b32 v3, s39
	s_mov_b32 s48, s22
	s_delay_alu instid0(VALU_DEP_2) | instskip(NEXT) | instid1(VALU_DEP_3)
	v_add_co_u32 v43, vcc_lo, s42, v0
	v_add_co_ci_u32_e32 v44, vcc_lo, s43, v1, vcc_lo
	v_dual_mov_b32 v0, s36 :: v_dual_mov_b32 v1, s37
	.p2align	6
.LBB264_8:                              ;   Parent Loop BB264_3 Depth=1
                                        ;     Parent Loop BB264_6 Depth=2
                                        ; =>    This Inner Loop Header: Depth=3
	s_delay_alu instid0(VALU_DEP_3) | instskip(NEXT) | instid1(VALU_DEP_3)
	v_add_co_u32 v4, vcc_lo, s26, v43
	v_add_co_ci_u32_e32 v5, vcc_lo, s27, v44, vcc_lo
	v_add_co_u32 v45, vcc_lo, s24, v43
	v_add_co_ci_u32_e32 v46, vcc_lo, s25, v44, vcc_lo
	global_load_b128 v[4:7], v[4:5], off
	s_getpc_b64 s[0:1]
	s_add_u32 s0, s0, _ZZZZN2at6native31launch_logcumsumexp_cuda_kernelERKNS_10TensorBaseES3_lENKUlvE_clEvENKUlvE1_clEvENKUlN3c107complexIdEES8_E_clES8_S8_@rel32@lo+4
	s_addc_u32 s1, s1, _ZZZZN2at6native31launch_logcumsumexp_cuda_kernelERKNS_10TensorBaseES3_lENKUlvE_clEvENKUlvE1_clEvENKUlN3c107complexIdEES8_E_clES8_S8_@rel32@hi+12
	s_delay_alu instid0(SALU_CYCLE_1)
	s_swappc_b64 s[30:31], s[0:1]
	v_add_co_u32 v43, vcc_lo, v43, s40
	v_add_co_ci_u32_e32 v44, vcc_lo, s41, v44, vcc_lo
	s_add_i32 s48, s48, -1
	global_store_b128 v[45:46], v[0:3], off
	s_cmp_eq_u32 s48, 0
	s_cbranch_scc0 .LBB264_8
	s_branch .LBB264_5
.LBB264_9:
	s_endpgm
	.section	.rodata,"a",@progbits
	.p2align	6, 0x0
	.amdhsa_kernel _ZN2at6native28tensor_kernel_scan_outer_dimIN3c107complexIdEEjZZZNS0_31launch_logcumsumexp_cuda_kernelERKNS_10TensorBaseES7_lENKUlvE_clEvENKUlvE1_clEvEUlS4_S4_E_EEvPT_PKSB_jjjSB_T1_
		.amdhsa_group_segment_fixed_size 0
		.amdhsa_private_segment_fixed_size 0
		.amdhsa_kernarg_size 312
		.amdhsa_user_sgpr_count 14
		.amdhsa_user_sgpr_dispatch_ptr 0
		.amdhsa_user_sgpr_queue_ptr 0
		.amdhsa_user_sgpr_kernarg_segment_ptr 1
		.amdhsa_user_sgpr_dispatch_id 0
		.amdhsa_user_sgpr_private_segment_size 0
		.amdhsa_wavefront_size32 1
		.amdhsa_uses_dynamic_stack 0
		.amdhsa_enable_private_segment 0
		.amdhsa_system_sgpr_workgroup_id_x 1
		.amdhsa_system_sgpr_workgroup_id_y 1
		.amdhsa_system_sgpr_workgroup_id_z 0
		.amdhsa_system_sgpr_workgroup_info 0
		.amdhsa_system_vgpr_workitem_id 0
		.amdhsa_next_free_vgpr 136
		.amdhsa_next_free_sgpr 49
		.amdhsa_reserve_vcc 1
		.amdhsa_float_round_mode_32 0
		.amdhsa_float_round_mode_16_64 0
		.amdhsa_float_denorm_mode_32 3
		.amdhsa_float_denorm_mode_16_64 3
		.amdhsa_dx10_clamp 1
		.amdhsa_ieee_mode 1
		.amdhsa_fp16_overflow 0
		.amdhsa_workgroup_processor_mode 1
		.amdhsa_memory_ordered 1
		.amdhsa_forward_progress 0
		.amdhsa_shared_vgpr_count 0
		.amdhsa_exception_fp_ieee_invalid_op 0
		.amdhsa_exception_fp_denorm_src 0
		.amdhsa_exception_fp_ieee_div_zero 0
		.amdhsa_exception_fp_ieee_overflow 0
		.amdhsa_exception_fp_ieee_underflow 0
		.amdhsa_exception_fp_ieee_inexact 0
		.amdhsa_exception_int_div_zero 0
	.end_amdhsa_kernel
	.section	.text._ZN2at6native28tensor_kernel_scan_outer_dimIN3c107complexIdEEjZZZNS0_31launch_logcumsumexp_cuda_kernelERKNS_10TensorBaseES7_lENKUlvE_clEvENKUlvE1_clEvEUlS4_S4_E_EEvPT_PKSB_jjjSB_T1_,"axG",@progbits,_ZN2at6native28tensor_kernel_scan_outer_dimIN3c107complexIdEEjZZZNS0_31launch_logcumsumexp_cuda_kernelERKNS_10TensorBaseES7_lENKUlvE_clEvENKUlvE1_clEvEUlS4_S4_E_EEvPT_PKSB_jjjSB_T1_,comdat
.Lfunc_end264:
	.size	_ZN2at6native28tensor_kernel_scan_outer_dimIN3c107complexIdEEjZZZNS0_31launch_logcumsumexp_cuda_kernelERKNS_10TensorBaseES7_lENKUlvE_clEvENKUlvE1_clEvEUlS4_S4_E_EEvPT_PKSB_jjjSB_T1_, .Lfunc_end264-_ZN2at6native28tensor_kernel_scan_outer_dimIN3c107complexIdEEjZZZNS0_31launch_logcumsumexp_cuda_kernelERKNS_10TensorBaseES7_lENKUlvE_clEvENKUlvE1_clEvEUlS4_S4_E_EEvPT_PKSB_jjjSB_T1_
                                        ; -- End function
	.section	.AMDGPU.csdata,"",@progbits
; Kernel info:
; codeLenInByte = 404
; NumSgprs: 51
; NumVgprs: 136
; ScratchSize: 0
; MemoryBound: 0
; FloatMode: 240
; IeeeMode: 1
; LDSByteSize: 0 bytes/workgroup (compile time only)
; SGPRBlocks: 6
; VGPRBlocks: 16
; NumSGPRsForWavesPerEU: 51
; NumVGPRsForWavesPerEU: 136
; Occupancy: 10
; WaveLimiterHint : 0
; COMPUTE_PGM_RSRC2:SCRATCH_EN: 0
; COMPUTE_PGM_RSRC2:USER_SGPR: 14
; COMPUTE_PGM_RSRC2:TRAP_HANDLER: 0
; COMPUTE_PGM_RSRC2:TGID_X_EN: 1
; COMPUTE_PGM_RSRC2:TGID_Y_EN: 1
; COMPUTE_PGM_RSRC2:TGID_Z_EN: 0
; COMPUTE_PGM_RSRC2:TIDIG_COMP_CNT: 0
	.section	.text._ZN2at6native28tensor_kernel_scan_outer_dimIN3c107complexIdEEmZZZNS0_31launch_logcumsumexp_cuda_kernelERKNS_10TensorBaseES7_lENKUlvE_clEvENKUlvE1_clEvEUlS4_S4_E_EEvPT_PKSB_jjjSB_T1_,"axG",@progbits,_ZN2at6native28tensor_kernel_scan_outer_dimIN3c107complexIdEEmZZZNS0_31launch_logcumsumexp_cuda_kernelERKNS_10TensorBaseES7_lENKUlvE_clEvENKUlvE1_clEvEUlS4_S4_E_EEvPT_PKSB_jjjSB_T1_,comdat
	.globl	_ZN2at6native28tensor_kernel_scan_outer_dimIN3c107complexIdEEmZZZNS0_31launch_logcumsumexp_cuda_kernelERKNS_10TensorBaseES7_lENKUlvE_clEvENKUlvE1_clEvEUlS4_S4_E_EEvPT_PKSB_jjjSB_T1_ ; -- Begin function _ZN2at6native28tensor_kernel_scan_outer_dimIN3c107complexIdEEmZZZNS0_31launch_logcumsumexp_cuda_kernelERKNS_10TensorBaseES7_lENKUlvE_clEvENKUlvE1_clEvEUlS4_S4_E_EEvPT_PKSB_jjjSB_T1_
	.p2align	8
	.type	_ZN2at6native28tensor_kernel_scan_outer_dimIN3c107complexIdEEmZZZNS0_31launch_logcumsumexp_cuda_kernelERKNS_10TensorBaseES7_lENKUlvE_clEvENKUlvE1_clEvEUlS4_S4_E_EEvPT_PKSB_jjjSB_T1_,@function
_ZN2at6native28tensor_kernel_scan_outer_dimIN3c107complexIdEEmZZZNS0_31launch_logcumsumexp_cuda_kernelERKNS_10TensorBaseES7_lENKUlvE_clEvENKUlvE1_clEvEUlS4_S4_E_EEvPT_PKSB_jjjSB_T1_: ; @_ZN2at6native28tensor_kernel_scan_outer_dimIN3c107complexIdEEmZZZNS0_31launch_logcumsumexp_cuda_kernelERKNS_10TensorBaseES7_lENKUlvE_clEvENKUlvE1_clEvEUlS4_S4_E_EEvPT_PKSB_jjjSB_T1_
; %bb.0:
	s_load_b128 s[20:23], s[0:1], 0x10
	s_mov_b32 s32, 0
	s_waitcnt lgkmcnt(0)
	s_cmp_ge_u32 s14, s20
	s_cbranch_scc1 .LBB265_9
; %bb.1:
	s_clause 0x3
	s_load_b32 s2, s[0:1], 0x44
	s_load_b32 s19, s[0:1], 0x38
	s_load_b128 s[24:27], s[0:1], 0x0
	s_load_b128 s[36:39], s[0:1], 0x20
	s_add_u32 s28, s0, 56
	s_addc_u32 s29, s1, 0
	v_mov_b32_e32 v42, 0
	s_mov_b32 s1, 0
	s_mul_hi_u32 s3, s22, s21
	s_mov_b32 s0, s21
	s_mov_b32 s17, s14
	s_waitcnt lgkmcnt(0)
	s_and_b32 s23, s2, 0xffff
	s_cmp_lg_u32 s22, 0
	v_mad_u64_u32 v[40:41], null, s15, s23, v[0:1]
	s_mul_i32 s2, s22, s21
	s_cselect_b32 s33, -1, 0
	s_lshl_b64 s[34:35], s[2:3], 4
	s_lshl_b64 s[40:41], s[0:1], 4
	s_delay_alu instid0(VALU_DEP_1)
	v_cmp_gt_u32_e64 s18, s21, v40
	s_branch .LBB265_3
.LBB265_2:                              ;   in Loop: Header=BB265_3 Depth=1
	s_set_inst_prefetch_distance 0x2
	s_or_b32 exec_lo, exec_lo, s42
	s_add_i32 s17, s17, s19
	s_delay_alu instid0(SALU_CYCLE_1)
	s_cmp_ge_u32 s17, s20
	s_cbranch_scc1 .LBB265_9
.LBB265_3:                              ; =>This Loop Header: Depth=1
                                        ;     Child Loop BB265_6 Depth 2
                                        ;       Child Loop BB265_8 Depth 3
	s_delay_alu instid0(VALU_DEP_1)
	s_and_saveexec_b32 s42, s18
	s_cbranch_execz .LBB265_2
; %bb.4:                                ;   in Loop: Header=BB265_3 Depth=1
	s_load_b32 s45, s[28:29], 0x4
	v_mov_b32_e32 v41, v40
	s_mul_i32 s0, s35, s17
	s_mul_hi_u32 s1, s34, s17
	s_mul_i32 s43, s34, s17
	s_add_i32 s44, s1, s0
	s_mov_b32 s46, 0
	s_waitcnt lgkmcnt(0)
	s_mul_i32 s45, s45, s23
	s_set_inst_prefetch_distance 0x1
	s_branch .LBB265_6
	.p2align	6
.LBB265_5:                              ;   in Loop: Header=BB265_6 Depth=2
	v_add_nc_u32_e32 v41, s45, v41
	s_delay_alu instid0(VALU_DEP_1) | instskip(SKIP_1) | instid1(SALU_CYCLE_1)
	v_cmp_le_u32_e32 vcc_lo, s21, v41
	s_or_b32 s46, vcc_lo, s46
	s_and_not1_b32 exec_lo, exec_lo, s46
	s_cbranch_execz .LBB265_2
.LBB265_6:                              ;   Parent Loop BB265_3 Depth=1
                                        ; =>  This Loop Header: Depth=2
                                        ;       Child Loop BB265_8 Depth 3
	s_and_not1_b32 vcc_lo, exec_lo, s33
	s_cbranch_vccnz .LBB265_5
; %bb.7:                                ;   in Loop: Header=BB265_6 Depth=2
	v_lshlrev_b64 v[0:1], 4, v[41:42]
	v_dual_mov_b32 v2, s38 :: v_dual_mov_b32 v3, s39
	s_mov_b32 s47, s22
	s_delay_alu instid0(VALU_DEP_2) | instskip(NEXT) | instid1(VALU_DEP_3)
	v_add_co_u32 v43, vcc_lo, s43, v0
	v_add_co_ci_u32_e32 v44, vcc_lo, s44, v1, vcc_lo
	v_dual_mov_b32 v0, s36 :: v_dual_mov_b32 v1, s37
	.p2align	6
.LBB265_8:                              ;   Parent Loop BB265_3 Depth=1
                                        ;     Parent Loop BB265_6 Depth=2
                                        ; =>    This Inner Loop Header: Depth=3
	s_delay_alu instid0(VALU_DEP_3) | instskip(NEXT) | instid1(VALU_DEP_3)
	v_add_co_u32 v4, vcc_lo, s26, v43
	v_add_co_ci_u32_e32 v5, vcc_lo, s27, v44, vcc_lo
	v_add_co_u32 v45, vcc_lo, s24, v43
	v_add_co_ci_u32_e32 v46, vcc_lo, s25, v44, vcc_lo
	global_load_b128 v[4:7], v[4:5], off
	s_getpc_b64 s[0:1]
	s_add_u32 s0, s0, _ZZZZN2at6native31launch_logcumsumexp_cuda_kernelERKNS_10TensorBaseES3_lENKUlvE_clEvENKUlvE1_clEvENKUlN3c107complexIdEES8_E_clES8_S8_@rel32@lo+4
	s_addc_u32 s1, s1, _ZZZZN2at6native31launch_logcumsumexp_cuda_kernelERKNS_10TensorBaseES3_lENKUlvE_clEvENKUlvE1_clEvENKUlN3c107complexIdEES8_E_clES8_S8_@rel32@hi+12
	s_delay_alu instid0(SALU_CYCLE_1)
	s_swappc_b64 s[30:31], s[0:1]
	v_add_co_u32 v43, vcc_lo, v43, s40
	v_add_co_ci_u32_e32 v44, vcc_lo, s41, v44, vcc_lo
	s_add_i32 s47, s47, -1
	global_store_b128 v[45:46], v[0:3], off
	s_cmp_eq_u32 s47, 0
	s_cbranch_scc0 .LBB265_8
	s_branch .LBB265_5
.LBB265_9:
	s_endpgm
	.section	.rodata,"a",@progbits
	.p2align	6, 0x0
	.amdhsa_kernel _ZN2at6native28tensor_kernel_scan_outer_dimIN3c107complexIdEEmZZZNS0_31launch_logcumsumexp_cuda_kernelERKNS_10TensorBaseES7_lENKUlvE_clEvENKUlvE1_clEvEUlS4_S4_E_EEvPT_PKSB_jjjSB_T1_
		.amdhsa_group_segment_fixed_size 0
		.amdhsa_private_segment_fixed_size 0
		.amdhsa_kernarg_size 312
		.amdhsa_user_sgpr_count 14
		.amdhsa_user_sgpr_dispatch_ptr 0
		.amdhsa_user_sgpr_queue_ptr 0
		.amdhsa_user_sgpr_kernarg_segment_ptr 1
		.amdhsa_user_sgpr_dispatch_id 0
		.amdhsa_user_sgpr_private_segment_size 0
		.amdhsa_wavefront_size32 1
		.amdhsa_uses_dynamic_stack 0
		.amdhsa_enable_private_segment 0
		.amdhsa_system_sgpr_workgroup_id_x 1
		.amdhsa_system_sgpr_workgroup_id_y 1
		.amdhsa_system_sgpr_workgroup_id_z 0
		.amdhsa_system_sgpr_workgroup_info 0
		.amdhsa_system_vgpr_workitem_id 0
		.amdhsa_next_free_vgpr 136
		.amdhsa_next_free_sgpr 48
		.amdhsa_reserve_vcc 1
		.amdhsa_float_round_mode_32 0
		.amdhsa_float_round_mode_16_64 0
		.amdhsa_float_denorm_mode_32 3
		.amdhsa_float_denorm_mode_16_64 3
		.amdhsa_dx10_clamp 1
		.amdhsa_ieee_mode 1
		.amdhsa_fp16_overflow 0
		.amdhsa_workgroup_processor_mode 1
		.amdhsa_memory_ordered 1
		.amdhsa_forward_progress 0
		.amdhsa_shared_vgpr_count 0
		.amdhsa_exception_fp_ieee_invalid_op 0
		.amdhsa_exception_fp_denorm_src 0
		.amdhsa_exception_fp_ieee_div_zero 0
		.amdhsa_exception_fp_ieee_overflow 0
		.amdhsa_exception_fp_ieee_underflow 0
		.amdhsa_exception_fp_ieee_inexact 0
		.amdhsa_exception_int_div_zero 0
	.end_amdhsa_kernel
	.section	.text._ZN2at6native28tensor_kernel_scan_outer_dimIN3c107complexIdEEmZZZNS0_31launch_logcumsumexp_cuda_kernelERKNS_10TensorBaseES7_lENKUlvE_clEvENKUlvE1_clEvEUlS4_S4_E_EEvPT_PKSB_jjjSB_T1_,"axG",@progbits,_ZN2at6native28tensor_kernel_scan_outer_dimIN3c107complexIdEEmZZZNS0_31launch_logcumsumexp_cuda_kernelERKNS_10TensorBaseES7_lENKUlvE_clEvENKUlvE1_clEvEUlS4_S4_E_EEvPT_PKSB_jjjSB_T1_,comdat
.Lfunc_end265:
	.size	_ZN2at6native28tensor_kernel_scan_outer_dimIN3c107complexIdEEmZZZNS0_31launch_logcumsumexp_cuda_kernelERKNS_10TensorBaseES7_lENKUlvE_clEvENKUlvE1_clEvEUlS4_S4_E_EEvPT_PKSB_jjjSB_T1_, .Lfunc_end265-_ZN2at6native28tensor_kernel_scan_outer_dimIN3c107complexIdEEmZZZNS0_31launch_logcumsumexp_cuda_kernelERKNS_10TensorBaseES7_lENKUlvE_clEvENKUlvE1_clEvEUlS4_S4_E_EEvPT_PKSB_jjjSB_T1_
                                        ; -- End function
	.section	.AMDGPU.csdata,"",@progbits
; Kernel info:
; codeLenInByte = 408
; NumSgprs: 50
; NumVgprs: 136
; ScratchSize: 0
; MemoryBound: 0
; FloatMode: 240
; IeeeMode: 1
; LDSByteSize: 0 bytes/workgroup (compile time only)
; SGPRBlocks: 6
; VGPRBlocks: 16
; NumSGPRsForWavesPerEU: 50
; NumVGPRsForWavesPerEU: 136
; Occupancy: 10
; WaveLimiterHint : 0
; COMPUTE_PGM_RSRC2:SCRATCH_EN: 0
; COMPUTE_PGM_RSRC2:USER_SGPR: 14
; COMPUTE_PGM_RSRC2:TRAP_HANDLER: 0
; COMPUTE_PGM_RSRC2:TGID_X_EN: 1
; COMPUTE_PGM_RSRC2:TGID_Y_EN: 1
; COMPUTE_PGM_RSRC2:TGID_Z_EN: 0
; COMPUTE_PGM_RSRC2:TIDIG_COMP_CNT: 0
	.section	.text._ZN7rocprim17ROCPRIM_400000_NS6detail31init_lookback_scan_state_kernelINS1_19lookback_scan_stateIN3c107complexIfEELb0ELb1EEENS1_16block_id_wrapperIjLb0EEEEEvT_jT0_jPNSA_10value_typeE,"axG",@progbits,_ZN7rocprim17ROCPRIM_400000_NS6detail31init_lookback_scan_state_kernelINS1_19lookback_scan_stateIN3c107complexIfEELb0ELb1EEENS1_16block_id_wrapperIjLb0EEEEEvT_jT0_jPNSA_10value_typeE,comdat
	.protected	_ZN7rocprim17ROCPRIM_400000_NS6detail31init_lookback_scan_state_kernelINS1_19lookback_scan_stateIN3c107complexIfEELb0ELb1EEENS1_16block_id_wrapperIjLb0EEEEEvT_jT0_jPNSA_10value_typeE ; -- Begin function _ZN7rocprim17ROCPRIM_400000_NS6detail31init_lookback_scan_state_kernelINS1_19lookback_scan_stateIN3c107complexIfEELb0ELb1EEENS1_16block_id_wrapperIjLb0EEEEEvT_jT0_jPNSA_10value_typeE
	.globl	_ZN7rocprim17ROCPRIM_400000_NS6detail31init_lookback_scan_state_kernelINS1_19lookback_scan_stateIN3c107complexIfEELb0ELb1EEENS1_16block_id_wrapperIjLb0EEEEEvT_jT0_jPNSA_10value_typeE
	.p2align	8
	.type	_ZN7rocprim17ROCPRIM_400000_NS6detail31init_lookback_scan_state_kernelINS1_19lookback_scan_stateIN3c107complexIfEELb0ELb1EEENS1_16block_id_wrapperIjLb0EEEEEvT_jT0_jPNSA_10value_typeE,@function
_ZN7rocprim17ROCPRIM_400000_NS6detail31init_lookback_scan_state_kernelINS1_19lookback_scan_stateIN3c107complexIfEELb0ELb1EEENS1_16block_id_wrapperIjLb0EEEEEvT_jT0_jPNSA_10value_typeE: ; @_ZN7rocprim17ROCPRIM_400000_NS6detail31init_lookback_scan_state_kernelINS1_19lookback_scan_stateIN3c107complexIfEELb0ELb1EEENS1_16block_id_wrapperIjLb0EEEEEvT_jT0_jPNSA_10value_typeE
; %bb.0:
	s_clause 0x3
	s_load_b32 s7, s[0:1], 0x2c
	s_load_b64 s[4:5], s[0:1], 0x18
	s_load_b64 s[2:3], s[0:1], 0x0
	s_load_b32 s6, s[0:1], 0x8
	s_waitcnt lgkmcnt(0)
	s_and_b32 s7, s7, 0xffff
	s_cmp_eq_u64 s[4:5], 0
	v_mad_u64_u32 v[1:2], null, s15, s7, v[0:1]
	s_cbranch_scc1 .LBB266_8
; %bb.1:
	s_load_b32 s0, s[0:1], 0x10
	s_waitcnt lgkmcnt(0)
	s_cmp_lt_u32 s0, s6
	s_cselect_b32 s1, s0, 0
	s_delay_alu instid0(VALU_DEP_1) | instid1(SALU_CYCLE_1)
	v_cmp_eq_u32_e32 vcc_lo, s1, v1
	s_mov_b32 s1, 0
	s_and_saveexec_b32 s7, vcc_lo
	s_cbranch_execz .LBB266_7
; %bb.2:
	s_add_i32 s0, s0, 32
	s_mov_b32 s8, exec_lo
	s_lshl_b64 s[0:1], s[0:1], 4
	v_mov_b32_e32 v6, 0
	s_add_u32 s0, s2, s0
	s_addc_u32 s1, s3, s1
	s_delay_alu instid0(SALU_CYCLE_1) | instskip(SKIP_2) | instid1(VALU_DEP_1)
	v_dual_mov_b32 v3, s1 :: v_dual_mov_b32 v2, s0
	;;#ASMSTART
	global_load_dwordx4 v[2:5], v[2:3] off glc	
s_waitcnt vmcnt(0)
	;;#ASMEND
	v_and_b32_e32 v5, 0xff, v4
	v_cmpx_eq_u64_e32 0, v[5:6]
	s_cbranch_execz .LBB266_6
; %bb.3:
	v_dual_mov_b32 v8, s1 :: v_dual_mov_b32 v7, s0
	s_mov_b32 s0, 0
.LBB266_4:                              ; =>This Inner Loop Header: Depth=1
	;;#ASMSTART
	global_load_dwordx4 v[2:5], v[7:8] off glc	
s_waitcnt vmcnt(0)
	;;#ASMEND
	v_and_b32_e32 v5, 0xff, v4
	s_delay_alu instid0(VALU_DEP_1) | instskip(SKIP_1) | instid1(SALU_CYCLE_1)
	v_cmp_ne_u64_e32 vcc_lo, 0, v[5:6]
	s_or_b32 s0, vcc_lo, s0
	s_and_not1_b32 exec_lo, exec_lo, s0
	s_cbranch_execnz .LBB266_4
; %bb.5:
	s_or_b32 exec_lo, exec_lo, s0
.LBB266_6:
	s_delay_alu instid0(SALU_CYCLE_1)
	s_or_b32 exec_lo, exec_lo, s8
	v_mov_b32_e32 v0, 0
	global_store_b64 v0, v[2:3], s[4:5]
.LBB266_7:
	s_or_b32 exec_lo, exec_lo, s7
.LBB266_8:
	s_delay_alu instid0(SALU_CYCLE_1) | instskip(NEXT) | instid1(VALU_DEP_1)
	s_mov_b32 s0, exec_lo
	v_cmpx_gt_u32_e64 s6, v1
	s_cbranch_execz .LBB266_10
; %bb.9:
	v_dual_mov_b32 v3, 0 :: v_dual_add_nc_u32 v2, 32, v1
	s_delay_alu instid0(VALU_DEP_1) | instskip(SKIP_2) | instid1(VALU_DEP_3)
	v_lshlrev_b64 v[5:6], 4, v[2:3]
	v_mov_b32_e32 v2, v3
	v_mov_b32_e32 v4, v3
	v_add_co_u32 v7, vcc_lo, s2, v5
	s_delay_alu instid0(VALU_DEP_4)
	v_add_co_ci_u32_e32 v8, vcc_lo, s3, v6, vcc_lo
	v_mov_b32_e32 v5, v3
	global_store_b128 v[7:8], v[2:5], off
.LBB266_10:
	s_or_b32 exec_lo, exec_lo, s0
	s_delay_alu instid0(SALU_CYCLE_1)
	s_mov_b32 s0, exec_lo
	v_cmpx_gt_u32_e32 32, v1
	s_cbranch_execz .LBB266_12
; %bb.11:
	v_dual_mov_b32 v2, 0 :: v_dual_mov_b32 v3, 0xff
	s_delay_alu instid0(VALU_DEP_1) | instskip(SKIP_1) | instid1(VALU_DEP_2)
	v_lshlrev_b64 v[4:5], 4, v[1:2]
	v_mov_b32_e32 v1, v2
	v_add_co_u32 v6, vcc_lo, s2, v4
	s_delay_alu instid0(VALU_DEP_3)
	v_add_co_ci_u32_e32 v7, vcc_lo, s3, v5, vcc_lo
	v_mov_b32_e32 v4, v2
	global_store_b128 v[6:7], v[1:4], off
.LBB266_12:
	s_nop 0
	s_sendmsg sendmsg(MSG_DEALLOC_VGPRS)
	s_endpgm
	.section	.rodata,"a",@progbits
	.p2align	6, 0x0
	.amdhsa_kernel _ZN7rocprim17ROCPRIM_400000_NS6detail31init_lookback_scan_state_kernelINS1_19lookback_scan_stateIN3c107complexIfEELb0ELb1EEENS1_16block_id_wrapperIjLb0EEEEEvT_jT0_jPNSA_10value_typeE
		.amdhsa_group_segment_fixed_size 0
		.amdhsa_private_segment_fixed_size 0
		.amdhsa_kernarg_size 288
		.amdhsa_user_sgpr_count 15
		.amdhsa_user_sgpr_dispatch_ptr 0
		.amdhsa_user_sgpr_queue_ptr 0
		.amdhsa_user_sgpr_kernarg_segment_ptr 1
		.amdhsa_user_sgpr_dispatch_id 0
		.amdhsa_user_sgpr_private_segment_size 0
		.amdhsa_wavefront_size32 1
		.amdhsa_uses_dynamic_stack 0
		.amdhsa_enable_private_segment 0
		.amdhsa_system_sgpr_workgroup_id_x 1
		.amdhsa_system_sgpr_workgroup_id_y 0
		.amdhsa_system_sgpr_workgroup_id_z 0
		.amdhsa_system_sgpr_workgroup_info 0
		.amdhsa_system_vgpr_workitem_id 0
		.amdhsa_next_free_vgpr 9
		.amdhsa_next_free_sgpr 16
		.amdhsa_reserve_vcc 1
		.amdhsa_float_round_mode_32 0
		.amdhsa_float_round_mode_16_64 0
		.amdhsa_float_denorm_mode_32 3
		.amdhsa_float_denorm_mode_16_64 3
		.amdhsa_dx10_clamp 1
		.amdhsa_ieee_mode 1
		.amdhsa_fp16_overflow 0
		.amdhsa_workgroup_processor_mode 1
		.amdhsa_memory_ordered 1
		.amdhsa_forward_progress 0
		.amdhsa_shared_vgpr_count 0
		.amdhsa_exception_fp_ieee_invalid_op 0
		.amdhsa_exception_fp_denorm_src 0
		.amdhsa_exception_fp_ieee_div_zero 0
		.amdhsa_exception_fp_ieee_overflow 0
		.amdhsa_exception_fp_ieee_underflow 0
		.amdhsa_exception_fp_ieee_inexact 0
		.amdhsa_exception_int_div_zero 0
	.end_amdhsa_kernel
	.section	.text._ZN7rocprim17ROCPRIM_400000_NS6detail31init_lookback_scan_state_kernelINS1_19lookback_scan_stateIN3c107complexIfEELb0ELb1EEENS1_16block_id_wrapperIjLb0EEEEEvT_jT0_jPNSA_10value_typeE,"axG",@progbits,_ZN7rocprim17ROCPRIM_400000_NS6detail31init_lookback_scan_state_kernelINS1_19lookback_scan_stateIN3c107complexIfEELb0ELb1EEENS1_16block_id_wrapperIjLb0EEEEEvT_jT0_jPNSA_10value_typeE,comdat
.Lfunc_end266:
	.size	_ZN7rocprim17ROCPRIM_400000_NS6detail31init_lookback_scan_state_kernelINS1_19lookback_scan_stateIN3c107complexIfEELb0ELb1EEENS1_16block_id_wrapperIjLb0EEEEEvT_jT0_jPNSA_10value_typeE, .Lfunc_end266-_ZN7rocprim17ROCPRIM_400000_NS6detail31init_lookback_scan_state_kernelINS1_19lookback_scan_stateIN3c107complexIfEELb0ELb1EEENS1_16block_id_wrapperIjLb0EEEEEvT_jT0_jPNSA_10value_typeE
                                        ; -- End function
	.section	.AMDGPU.csdata,"",@progbits
; Kernel info:
; codeLenInByte = 468
; NumSgprs: 18
; NumVgprs: 9
; ScratchSize: 0
; MemoryBound: 0
; FloatMode: 240
; IeeeMode: 1
; LDSByteSize: 0 bytes/workgroup (compile time only)
; SGPRBlocks: 2
; VGPRBlocks: 1
; NumSGPRsForWavesPerEU: 18
; NumVGPRsForWavesPerEU: 9
; Occupancy: 16
; WaveLimiterHint : 0
; COMPUTE_PGM_RSRC2:SCRATCH_EN: 0
; COMPUTE_PGM_RSRC2:USER_SGPR: 15
; COMPUTE_PGM_RSRC2:TRAP_HANDLER: 0
; COMPUTE_PGM_RSRC2:TGID_X_EN: 1
; COMPUTE_PGM_RSRC2:TGID_Y_EN: 0
; COMPUTE_PGM_RSRC2:TGID_Z_EN: 0
; COMPUTE_PGM_RSRC2:TIDIG_COMP_CNT: 0
	.section	.text._ZN7rocprim17ROCPRIM_400000_NS6detail17trampoline_kernelINS0_14default_configENS1_20scan_config_selectorIN3c107complexIfEEEEZZNS1_9scan_implILNS1_25lookback_scan_determinismE0ELb0ELb0ES3_PKS7_PS7_S7_ZZZN2at6native31launch_logcumsumexp_cuda_kernelERKNSE_10TensorBaseESI_lENKUlvE_clEvENKUlvE2_clEvEUlS7_S7_E_S7_EEDaPvRmT3_T4_T5_mT6_P12ihipStream_tbENKUlT_T0_E_clISt17integral_constantIbLb0EESZ_EEDaSU_SV_EUlSU_E_NS1_11comp_targetILNS1_3genE0ELNS1_11target_archE4294967295ELNS1_3gpuE0ELNS1_3repE0EEENS1_30default_config_static_selectorELNS0_4arch9wavefront6targetE0EEEvT1_,"axG",@progbits,_ZN7rocprim17ROCPRIM_400000_NS6detail17trampoline_kernelINS0_14default_configENS1_20scan_config_selectorIN3c107complexIfEEEEZZNS1_9scan_implILNS1_25lookback_scan_determinismE0ELb0ELb0ES3_PKS7_PS7_S7_ZZZN2at6native31launch_logcumsumexp_cuda_kernelERKNSE_10TensorBaseESI_lENKUlvE_clEvENKUlvE2_clEvEUlS7_S7_E_S7_EEDaPvRmT3_T4_T5_mT6_P12ihipStream_tbENKUlT_T0_E_clISt17integral_constantIbLb0EESZ_EEDaSU_SV_EUlSU_E_NS1_11comp_targetILNS1_3genE0ELNS1_11target_archE4294967295ELNS1_3gpuE0ELNS1_3repE0EEENS1_30default_config_static_selectorELNS0_4arch9wavefront6targetE0EEEvT1_,comdat
	.globl	_ZN7rocprim17ROCPRIM_400000_NS6detail17trampoline_kernelINS0_14default_configENS1_20scan_config_selectorIN3c107complexIfEEEEZZNS1_9scan_implILNS1_25lookback_scan_determinismE0ELb0ELb0ES3_PKS7_PS7_S7_ZZZN2at6native31launch_logcumsumexp_cuda_kernelERKNSE_10TensorBaseESI_lENKUlvE_clEvENKUlvE2_clEvEUlS7_S7_E_S7_EEDaPvRmT3_T4_T5_mT6_P12ihipStream_tbENKUlT_T0_E_clISt17integral_constantIbLb0EESZ_EEDaSU_SV_EUlSU_E_NS1_11comp_targetILNS1_3genE0ELNS1_11target_archE4294967295ELNS1_3gpuE0ELNS1_3repE0EEENS1_30default_config_static_selectorELNS0_4arch9wavefront6targetE0EEEvT1_ ; -- Begin function _ZN7rocprim17ROCPRIM_400000_NS6detail17trampoline_kernelINS0_14default_configENS1_20scan_config_selectorIN3c107complexIfEEEEZZNS1_9scan_implILNS1_25lookback_scan_determinismE0ELb0ELb0ES3_PKS7_PS7_S7_ZZZN2at6native31launch_logcumsumexp_cuda_kernelERKNSE_10TensorBaseESI_lENKUlvE_clEvENKUlvE2_clEvEUlS7_S7_E_S7_EEDaPvRmT3_T4_T5_mT6_P12ihipStream_tbENKUlT_T0_E_clISt17integral_constantIbLb0EESZ_EEDaSU_SV_EUlSU_E_NS1_11comp_targetILNS1_3genE0ELNS1_11target_archE4294967295ELNS1_3gpuE0ELNS1_3repE0EEENS1_30default_config_static_selectorELNS0_4arch9wavefront6targetE0EEEvT1_
	.p2align	8
	.type	_ZN7rocprim17ROCPRIM_400000_NS6detail17trampoline_kernelINS0_14default_configENS1_20scan_config_selectorIN3c107complexIfEEEEZZNS1_9scan_implILNS1_25lookback_scan_determinismE0ELb0ELb0ES3_PKS7_PS7_S7_ZZZN2at6native31launch_logcumsumexp_cuda_kernelERKNSE_10TensorBaseESI_lENKUlvE_clEvENKUlvE2_clEvEUlS7_S7_E_S7_EEDaPvRmT3_T4_T5_mT6_P12ihipStream_tbENKUlT_T0_E_clISt17integral_constantIbLb0EESZ_EEDaSU_SV_EUlSU_E_NS1_11comp_targetILNS1_3genE0ELNS1_11target_archE4294967295ELNS1_3gpuE0ELNS1_3repE0EEENS1_30default_config_static_selectorELNS0_4arch9wavefront6targetE0EEEvT1_,@function
_ZN7rocprim17ROCPRIM_400000_NS6detail17trampoline_kernelINS0_14default_configENS1_20scan_config_selectorIN3c107complexIfEEEEZZNS1_9scan_implILNS1_25lookback_scan_determinismE0ELb0ELb0ES3_PKS7_PS7_S7_ZZZN2at6native31launch_logcumsumexp_cuda_kernelERKNSE_10TensorBaseESI_lENKUlvE_clEvENKUlvE2_clEvEUlS7_S7_E_S7_EEDaPvRmT3_T4_T5_mT6_P12ihipStream_tbENKUlT_T0_E_clISt17integral_constantIbLb0EESZ_EEDaSU_SV_EUlSU_E_NS1_11comp_targetILNS1_3genE0ELNS1_11target_archE4294967295ELNS1_3gpuE0ELNS1_3repE0EEENS1_30default_config_static_selectorELNS0_4arch9wavefront6targetE0EEEvT1_: ; @_ZN7rocprim17ROCPRIM_400000_NS6detail17trampoline_kernelINS0_14default_configENS1_20scan_config_selectorIN3c107complexIfEEEEZZNS1_9scan_implILNS1_25lookback_scan_determinismE0ELb0ELb0ES3_PKS7_PS7_S7_ZZZN2at6native31launch_logcumsumexp_cuda_kernelERKNSE_10TensorBaseESI_lENKUlvE_clEvENKUlvE2_clEvEUlS7_S7_E_S7_EEDaPvRmT3_T4_T5_mT6_P12ihipStream_tbENKUlT_T0_E_clISt17integral_constantIbLb0EESZ_EEDaSU_SV_EUlSU_E_NS1_11comp_targetILNS1_3genE0ELNS1_11target_archE4294967295ELNS1_3gpuE0ELNS1_3repE0EEENS1_30default_config_static_selectorELNS0_4arch9wavefront6targetE0EEEvT1_
; %bb.0:
	.section	.rodata,"a",@progbits
	.p2align	6, 0x0
	.amdhsa_kernel _ZN7rocprim17ROCPRIM_400000_NS6detail17trampoline_kernelINS0_14default_configENS1_20scan_config_selectorIN3c107complexIfEEEEZZNS1_9scan_implILNS1_25lookback_scan_determinismE0ELb0ELb0ES3_PKS7_PS7_S7_ZZZN2at6native31launch_logcumsumexp_cuda_kernelERKNSE_10TensorBaseESI_lENKUlvE_clEvENKUlvE2_clEvEUlS7_S7_E_S7_EEDaPvRmT3_T4_T5_mT6_P12ihipStream_tbENKUlT_T0_E_clISt17integral_constantIbLb0EESZ_EEDaSU_SV_EUlSU_E_NS1_11comp_targetILNS1_3genE0ELNS1_11target_archE4294967295ELNS1_3gpuE0ELNS1_3repE0EEENS1_30default_config_static_selectorELNS0_4arch9wavefront6targetE0EEEvT1_
		.amdhsa_group_segment_fixed_size 0
		.amdhsa_private_segment_fixed_size 0
		.amdhsa_kernarg_size 104
		.amdhsa_user_sgpr_count 15
		.amdhsa_user_sgpr_dispatch_ptr 0
		.amdhsa_user_sgpr_queue_ptr 0
		.amdhsa_user_sgpr_kernarg_segment_ptr 1
		.amdhsa_user_sgpr_dispatch_id 0
		.amdhsa_user_sgpr_private_segment_size 0
		.amdhsa_wavefront_size32 1
		.amdhsa_uses_dynamic_stack 0
		.amdhsa_enable_private_segment 0
		.amdhsa_system_sgpr_workgroup_id_x 1
		.amdhsa_system_sgpr_workgroup_id_y 0
		.amdhsa_system_sgpr_workgroup_id_z 0
		.amdhsa_system_sgpr_workgroup_info 0
		.amdhsa_system_vgpr_workitem_id 0
		.amdhsa_next_free_vgpr 1
		.amdhsa_next_free_sgpr 1
		.amdhsa_reserve_vcc 0
		.amdhsa_float_round_mode_32 0
		.amdhsa_float_round_mode_16_64 0
		.amdhsa_float_denorm_mode_32 3
		.amdhsa_float_denorm_mode_16_64 3
		.amdhsa_dx10_clamp 1
		.amdhsa_ieee_mode 1
		.amdhsa_fp16_overflow 0
		.amdhsa_workgroup_processor_mode 1
		.amdhsa_memory_ordered 1
		.amdhsa_forward_progress 0
		.amdhsa_shared_vgpr_count 0
		.amdhsa_exception_fp_ieee_invalid_op 0
		.amdhsa_exception_fp_denorm_src 0
		.amdhsa_exception_fp_ieee_div_zero 0
		.amdhsa_exception_fp_ieee_overflow 0
		.amdhsa_exception_fp_ieee_underflow 0
		.amdhsa_exception_fp_ieee_inexact 0
		.amdhsa_exception_int_div_zero 0
	.end_amdhsa_kernel
	.section	.text._ZN7rocprim17ROCPRIM_400000_NS6detail17trampoline_kernelINS0_14default_configENS1_20scan_config_selectorIN3c107complexIfEEEEZZNS1_9scan_implILNS1_25lookback_scan_determinismE0ELb0ELb0ES3_PKS7_PS7_S7_ZZZN2at6native31launch_logcumsumexp_cuda_kernelERKNSE_10TensorBaseESI_lENKUlvE_clEvENKUlvE2_clEvEUlS7_S7_E_S7_EEDaPvRmT3_T4_T5_mT6_P12ihipStream_tbENKUlT_T0_E_clISt17integral_constantIbLb0EESZ_EEDaSU_SV_EUlSU_E_NS1_11comp_targetILNS1_3genE0ELNS1_11target_archE4294967295ELNS1_3gpuE0ELNS1_3repE0EEENS1_30default_config_static_selectorELNS0_4arch9wavefront6targetE0EEEvT1_,"axG",@progbits,_ZN7rocprim17ROCPRIM_400000_NS6detail17trampoline_kernelINS0_14default_configENS1_20scan_config_selectorIN3c107complexIfEEEEZZNS1_9scan_implILNS1_25lookback_scan_determinismE0ELb0ELb0ES3_PKS7_PS7_S7_ZZZN2at6native31launch_logcumsumexp_cuda_kernelERKNSE_10TensorBaseESI_lENKUlvE_clEvENKUlvE2_clEvEUlS7_S7_E_S7_EEDaPvRmT3_T4_T5_mT6_P12ihipStream_tbENKUlT_T0_E_clISt17integral_constantIbLb0EESZ_EEDaSU_SV_EUlSU_E_NS1_11comp_targetILNS1_3genE0ELNS1_11target_archE4294967295ELNS1_3gpuE0ELNS1_3repE0EEENS1_30default_config_static_selectorELNS0_4arch9wavefront6targetE0EEEvT1_,comdat
.Lfunc_end267:
	.size	_ZN7rocprim17ROCPRIM_400000_NS6detail17trampoline_kernelINS0_14default_configENS1_20scan_config_selectorIN3c107complexIfEEEEZZNS1_9scan_implILNS1_25lookback_scan_determinismE0ELb0ELb0ES3_PKS7_PS7_S7_ZZZN2at6native31launch_logcumsumexp_cuda_kernelERKNSE_10TensorBaseESI_lENKUlvE_clEvENKUlvE2_clEvEUlS7_S7_E_S7_EEDaPvRmT3_T4_T5_mT6_P12ihipStream_tbENKUlT_T0_E_clISt17integral_constantIbLb0EESZ_EEDaSU_SV_EUlSU_E_NS1_11comp_targetILNS1_3genE0ELNS1_11target_archE4294967295ELNS1_3gpuE0ELNS1_3repE0EEENS1_30default_config_static_selectorELNS0_4arch9wavefront6targetE0EEEvT1_, .Lfunc_end267-_ZN7rocprim17ROCPRIM_400000_NS6detail17trampoline_kernelINS0_14default_configENS1_20scan_config_selectorIN3c107complexIfEEEEZZNS1_9scan_implILNS1_25lookback_scan_determinismE0ELb0ELb0ES3_PKS7_PS7_S7_ZZZN2at6native31launch_logcumsumexp_cuda_kernelERKNSE_10TensorBaseESI_lENKUlvE_clEvENKUlvE2_clEvEUlS7_S7_E_S7_EEDaPvRmT3_T4_T5_mT6_P12ihipStream_tbENKUlT_T0_E_clISt17integral_constantIbLb0EESZ_EEDaSU_SV_EUlSU_E_NS1_11comp_targetILNS1_3genE0ELNS1_11target_archE4294967295ELNS1_3gpuE0ELNS1_3repE0EEENS1_30default_config_static_selectorELNS0_4arch9wavefront6targetE0EEEvT1_
                                        ; -- End function
	.section	.AMDGPU.csdata,"",@progbits
; Kernel info:
; codeLenInByte = 0
; NumSgprs: 0
; NumVgprs: 0
; ScratchSize: 0
; MemoryBound: 0
; FloatMode: 240
; IeeeMode: 1
; LDSByteSize: 0 bytes/workgroup (compile time only)
; SGPRBlocks: 0
; VGPRBlocks: 0
; NumSGPRsForWavesPerEU: 1
; NumVGPRsForWavesPerEU: 1
; Occupancy: 16
; WaveLimiterHint : 0
; COMPUTE_PGM_RSRC2:SCRATCH_EN: 0
; COMPUTE_PGM_RSRC2:USER_SGPR: 15
; COMPUTE_PGM_RSRC2:TRAP_HANDLER: 0
; COMPUTE_PGM_RSRC2:TGID_X_EN: 1
; COMPUTE_PGM_RSRC2:TGID_Y_EN: 0
; COMPUTE_PGM_RSRC2:TGID_Z_EN: 0
; COMPUTE_PGM_RSRC2:TIDIG_COMP_CNT: 0
	.section	.text._ZN7rocprim17ROCPRIM_400000_NS6detail17trampoline_kernelINS0_14default_configENS1_20scan_config_selectorIN3c107complexIfEEEEZZNS1_9scan_implILNS1_25lookback_scan_determinismE0ELb0ELb0ES3_PKS7_PS7_S7_ZZZN2at6native31launch_logcumsumexp_cuda_kernelERKNSE_10TensorBaseESI_lENKUlvE_clEvENKUlvE2_clEvEUlS7_S7_E_S7_EEDaPvRmT3_T4_T5_mT6_P12ihipStream_tbENKUlT_T0_E_clISt17integral_constantIbLb0EESZ_EEDaSU_SV_EUlSU_E_NS1_11comp_targetILNS1_3genE5ELNS1_11target_archE942ELNS1_3gpuE9ELNS1_3repE0EEENS1_30default_config_static_selectorELNS0_4arch9wavefront6targetE0EEEvT1_,"axG",@progbits,_ZN7rocprim17ROCPRIM_400000_NS6detail17trampoline_kernelINS0_14default_configENS1_20scan_config_selectorIN3c107complexIfEEEEZZNS1_9scan_implILNS1_25lookback_scan_determinismE0ELb0ELb0ES3_PKS7_PS7_S7_ZZZN2at6native31launch_logcumsumexp_cuda_kernelERKNSE_10TensorBaseESI_lENKUlvE_clEvENKUlvE2_clEvEUlS7_S7_E_S7_EEDaPvRmT3_T4_T5_mT6_P12ihipStream_tbENKUlT_T0_E_clISt17integral_constantIbLb0EESZ_EEDaSU_SV_EUlSU_E_NS1_11comp_targetILNS1_3genE5ELNS1_11target_archE942ELNS1_3gpuE9ELNS1_3repE0EEENS1_30default_config_static_selectorELNS0_4arch9wavefront6targetE0EEEvT1_,comdat
	.globl	_ZN7rocprim17ROCPRIM_400000_NS6detail17trampoline_kernelINS0_14default_configENS1_20scan_config_selectorIN3c107complexIfEEEEZZNS1_9scan_implILNS1_25lookback_scan_determinismE0ELb0ELb0ES3_PKS7_PS7_S7_ZZZN2at6native31launch_logcumsumexp_cuda_kernelERKNSE_10TensorBaseESI_lENKUlvE_clEvENKUlvE2_clEvEUlS7_S7_E_S7_EEDaPvRmT3_T4_T5_mT6_P12ihipStream_tbENKUlT_T0_E_clISt17integral_constantIbLb0EESZ_EEDaSU_SV_EUlSU_E_NS1_11comp_targetILNS1_3genE5ELNS1_11target_archE942ELNS1_3gpuE9ELNS1_3repE0EEENS1_30default_config_static_selectorELNS0_4arch9wavefront6targetE0EEEvT1_ ; -- Begin function _ZN7rocprim17ROCPRIM_400000_NS6detail17trampoline_kernelINS0_14default_configENS1_20scan_config_selectorIN3c107complexIfEEEEZZNS1_9scan_implILNS1_25lookback_scan_determinismE0ELb0ELb0ES3_PKS7_PS7_S7_ZZZN2at6native31launch_logcumsumexp_cuda_kernelERKNSE_10TensorBaseESI_lENKUlvE_clEvENKUlvE2_clEvEUlS7_S7_E_S7_EEDaPvRmT3_T4_T5_mT6_P12ihipStream_tbENKUlT_T0_E_clISt17integral_constantIbLb0EESZ_EEDaSU_SV_EUlSU_E_NS1_11comp_targetILNS1_3genE5ELNS1_11target_archE942ELNS1_3gpuE9ELNS1_3repE0EEENS1_30default_config_static_selectorELNS0_4arch9wavefront6targetE0EEEvT1_
	.p2align	8
	.type	_ZN7rocprim17ROCPRIM_400000_NS6detail17trampoline_kernelINS0_14default_configENS1_20scan_config_selectorIN3c107complexIfEEEEZZNS1_9scan_implILNS1_25lookback_scan_determinismE0ELb0ELb0ES3_PKS7_PS7_S7_ZZZN2at6native31launch_logcumsumexp_cuda_kernelERKNSE_10TensorBaseESI_lENKUlvE_clEvENKUlvE2_clEvEUlS7_S7_E_S7_EEDaPvRmT3_T4_T5_mT6_P12ihipStream_tbENKUlT_T0_E_clISt17integral_constantIbLb0EESZ_EEDaSU_SV_EUlSU_E_NS1_11comp_targetILNS1_3genE5ELNS1_11target_archE942ELNS1_3gpuE9ELNS1_3repE0EEENS1_30default_config_static_selectorELNS0_4arch9wavefront6targetE0EEEvT1_,@function
_ZN7rocprim17ROCPRIM_400000_NS6detail17trampoline_kernelINS0_14default_configENS1_20scan_config_selectorIN3c107complexIfEEEEZZNS1_9scan_implILNS1_25lookback_scan_determinismE0ELb0ELb0ES3_PKS7_PS7_S7_ZZZN2at6native31launch_logcumsumexp_cuda_kernelERKNSE_10TensorBaseESI_lENKUlvE_clEvENKUlvE2_clEvEUlS7_S7_E_S7_EEDaPvRmT3_T4_T5_mT6_P12ihipStream_tbENKUlT_T0_E_clISt17integral_constantIbLb0EESZ_EEDaSU_SV_EUlSU_E_NS1_11comp_targetILNS1_3genE5ELNS1_11target_archE942ELNS1_3gpuE9ELNS1_3repE0EEENS1_30default_config_static_selectorELNS0_4arch9wavefront6targetE0EEEvT1_: ; @_ZN7rocprim17ROCPRIM_400000_NS6detail17trampoline_kernelINS0_14default_configENS1_20scan_config_selectorIN3c107complexIfEEEEZZNS1_9scan_implILNS1_25lookback_scan_determinismE0ELb0ELb0ES3_PKS7_PS7_S7_ZZZN2at6native31launch_logcumsumexp_cuda_kernelERKNSE_10TensorBaseESI_lENKUlvE_clEvENKUlvE2_clEvEUlS7_S7_E_S7_EEDaPvRmT3_T4_T5_mT6_P12ihipStream_tbENKUlT_T0_E_clISt17integral_constantIbLb0EESZ_EEDaSU_SV_EUlSU_E_NS1_11comp_targetILNS1_3genE5ELNS1_11target_archE942ELNS1_3gpuE9ELNS1_3repE0EEENS1_30default_config_static_selectorELNS0_4arch9wavefront6targetE0EEEvT1_
; %bb.0:
	.section	.rodata,"a",@progbits
	.p2align	6, 0x0
	.amdhsa_kernel _ZN7rocprim17ROCPRIM_400000_NS6detail17trampoline_kernelINS0_14default_configENS1_20scan_config_selectorIN3c107complexIfEEEEZZNS1_9scan_implILNS1_25lookback_scan_determinismE0ELb0ELb0ES3_PKS7_PS7_S7_ZZZN2at6native31launch_logcumsumexp_cuda_kernelERKNSE_10TensorBaseESI_lENKUlvE_clEvENKUlvE2_clEvEUlS7_S7_E_S7_EEDaPvRmT3_T4_T5_mT6_P12ihipStream_tbENKUlT_T0_E_clISt17integral_constantIbLb0EESZ_EEDaSU_SV_EUlSU_E_NS1_11comp_targetILNS1_3genE5ELNS1_11target_archE942ELNS1_3gpuE9ELNS1_3repE0EEENS1_30default_config_static_selectorELNS0_4arch9wavefront6targetE0EEEvT1_
		.amdhsa_group_segment_fixed_size 0
		.amdhsa_private_segment_fixed_size 0
		.amdhsa_kernarg_size 104
		.amdhsa_user_sgpr_count 15
		.amdhsa_user_sgpr_dispatch_ptr 0
		.amdhsa_user_sgpr_queue_ptr 0
		.amdhsa_user_sgpr_kernarg_segment_ptr 1
		.amdhsa_user_sgpr_dispatch_id 0
		.amdhsa_user_sgpr_private_segment_size 0
		.amdhsa_wavefront_size32 1
		.amdhsa_uses_dynamic_stack 0
		.amdhsa_enable_private_segment 0
		.amdhsa_system_sgpr_workgroup_id_x 1
		.amdhsa_system_sgpr_workgroup_id_y 0
		.amdhsa_system_sgpr_workgroup_id_z 0
		.amdhsa_system_sgpr_workgroup_info 0
		.amdhsa_system_vgpr_workitem_id 0
		.amdhsa_next_free_vgpr 1
		.amdhsa_next_free_sgpr 1
		.amdhsa_reserve_vcc 0
		.amdhsa_float_round_mode_32 0
		.amdhsa_float_round_mode_16_64 0
		.amdhsa_float_denorm_mode_32 3
		.amdhsa_float_denorm_mode_16_64 3
		.amdhsa_dx10_clamp 1
		.amdhsa_ieee_mode 1
		.amdhsa_fp16_overflow 0
		.amdhsa_workgroup_processor_mode 1
		.amdhsa_memory_ordered 1
		.amdhsa_forward_progress 0
		.amdhsa_shared_vgpr_count 0
		.amdhsa_exception_fp_ieee_invalid_op 0
		.amdhsa_exception_fp_denorm_src 0
		.amdhsa_exception_fp_ieee_div_zero 0
		.amdhsa_exception_fp_ieee_overflow 0
		.amdhsa_exception_fp_ieee_underflow 0
		.amdhsa_exception_fp_ieee_inexact 0
		.amdhsa_exception_int_div_zero 0
	.end_amdhsa_kernel
	.section	.text._ZN7rocprim17ROCPRIM_400000_NS6detail17trampoline_kernelINS0_14default_configENS1_20scan_config_selectorIN3c107complexIfEEEEZZNS1_9scan_implILNS1_25lookback_scan_determinismE0ELb0ELb0ES3_PKS7_PS7_S7_ZZZN2at6native31launch_logcumsumexp_cuda_kernelERKNSE_10TensorBaseESI_lENKUlvE_clEvENKUlvE2_clEvEUlS7_S7_E_S7_EEDaPvRmT3_T4_T5_mT6_P12ihipStream_tbENKUlT_T0_E_clISt17integral_constantIbLb0EESZ_EEDaSU_SV_EUlSU_E_NS1_11comp_targetILNS1_3genE5ELNS1_11target_archE942ELNS1_3gpuE9ELNS1_3repE0EEENS1_30default_config_static_selectorELNS0_4arch9wavefront6targetE0EEEvT1_,"axG",@progbits,_ZN7rocprim17ROCPRIM_400000_NS6detail17trampoline_kernelINS0_14default_configENS1_20scan_config_selectorIN3c107complexIfEEEEZZNS1_9scan_implILNS1_25lookback_scan_determinismE0ELb0ELb0ES3_PKS7_PS7_S7_ZZZN2at6native31launch_logcumsumexp_cuda_kernelERKNSE_10TensorBaseESI_lENKUlvE_clEvENKUlvE2_clEvEUlS7_S7_E_S7_EEDaPvRmT3_T4_T5_mT6_P12ihipStream_tbENKUlT_T0_E_clISt17integral_constantIbLb0EESZ_EEDaSU_SV_EUlSU_E_NS1_11comp_targetILNS1_3genE5ELNS1_11target_archE942ELNS1_3gpuE9ELNS1_3repE0EEENS1_30default_config_static_selectorELNS0_4arch9wavefront6targetE0EEEvT1_,comdat
.Lfunc_end268:
	.size	_ZN7rocprim17ROCPRIM_400000_NS6detail17trampoline_kernelINS0_14default_configENS1_20scan_config_selectorIN3c107complexIfEEEEZZNS1_9scan_implILNS1_25lookback_scan_determinismE0ELb0ELb0ES3_PKS7_PS7_S7_ZZZN2at6native31launch_logcumsumexp_cuda_kernelERKNSE_10TensorBaseESI_lENKUlvE_clEvENKUlvE2_clEvEUlS7_S7_E_S7_EEDaPvRmT3_T4_T5_mT6_P12ihipStream_tbENKUlT_T0_E_clISt17integral_constantIbLb0EESZ_EEDaSU_SV_EUlSU_E_NS1_11comp_targetILNS1_3genE5ELNS1_11target_archE942ELNS1_3gpuE9ELNS1_3repE0EEENS1_30default_config_static_selectorELNS0_4arch9wavefront6targetE0EEEvT1_, .Lfunc_end268-_ZN7rocprim17ROCPRIM_400000_NS6detail17trampoline_kernelINS0_14default_configENS1_20scan_config_selectorIN3c107complexIfEEEEZZNS1_9scan_implILNS1_25lookback_scan_determinismE0ELb0ELb0ES3_PKS7_PS7_S7_ZZZN2at6native31launch_logcumsumexp_cuda_kernelERKNSE_10TensorBaseESI_lENKUlvE_clEvENKUlvE2_clEvEUlS7_S7_E_S7_EEDaPvRmT3_T4_T5_mT6_P12ihipStream_tbENKUlT_T0_E_clISt17integral_constantIbLb0EESZ_EEDaSU_SV_EUlSU_E_NS1_11comp_targetILNS1_3genE5ELNS1_11target_archE942ELNS1_3gpuE9ELNS1_3repE0EEENS1_30default_config_static_selectorELNS0_4arch9wavefront6targetE0EEEvT1_
                                        ; -- End function
	.section	.AMDGPU.csdata,"",@progbits
; Kernel info:
; codeLenInByte = 0
; NumSgprs: 0
; NumVgprs: 0
; ScratchSize: 0
; MemoryBound: 0
; FloatMode: 240
; IeeeMode: 1
; LDSByteSize: 0 bytes/workgroup (compile time only)
; SGPRBlocks: 0
; VGPRBlocks: 0
; NumSGPRsForWavesPerEU: 1
; NumVGPRsForWavesPerEU: 1
; Occupancy: 16
; WaveLimiterHint : 0
; COMPUTE_PGM_RSRC2:SCRATCH_EN: 0
; COMPUTE_PGM_RSRC2:USER_SGPR: 15
; COMPUTE_PGM_RSRC2:TRAP_HANDLER: 0
; COMPUTE_PGM_RSRC2:TGID_X_EN: 1
; COMPUTE_PGM_RSRC2:TGID_Y_EN: 0
; COMPUTE_PGM_RSRC2:TGID_Z_EN: 0
; COMPUTE_PGM_RSRC2:TIDIG_COMP_CNT: 0
	.section	.text._ZN7rocprim17ROCPRIM_400000_NS6detail17trampoline_kernelINS0_14default_configENS1_20scan_config_selectorIN3c107complexIfEEEEZZNS1_9scan_implILNS1_25lookback_scan_determinismE0ELb0ELb0ES3_PKS7_PS7_S7_ZZZN2at6native31launch_logcumsumexp_cuda_kernelERKNSE_10TensorBaseESI_lENKUlvE_clEvENKUlvE2_clEvEUlS7_S7_E_S7_EEDaPvRmT3_T4_T5_mT6_P12ihipStream_tbENKUlT_T0_E_clISt17integral_constantIbLb0EESZ_EEDaSU_SV_EUlSU_E_NS1_11comp_targetILNS1_3genE4ELNS1_11target_archE910ELNS1_3gpuE8ELNS1_3repE0EEENS1_30default_config_static_selectorELNS0_4arch9wavefront6targetE0EEEvT1_,"axG",@progbits,_ZN7rocprim17ROCPRIM_400000_NS6detail17trampoline_kernelINS0_14default_configENS1_20scan_config_selectorIN3c107complexIfEEEEZZNS1_9scan_implILNS1_25lookback_scan_determinismE0ELb0ELb0ES3_PKS7_PS7_S7_ZZZN2at6native31launch_logcumsumexp_cuda_kernelERKNSE_10TensorBaseESI_lENKUlvE_clEvENKUlvE2_clEvEUlS7_S7_E_S7_EEDaPvRmT3_T4_T5_mT6_P12ihipStream_tbENKUlT_T0_E_clISt17integral_constantIbLb0EESZ_EEDaSU_SV_EUlSU_E_NS1_11comp_targetILNS1_3genE4ELNS1_11target_archE910ELNS1_3gpuE8ELNS1_3repE0EEENS1_30default_config_static_selectorELNS0_4arch9wavefront6targetE0EEEvT1_,comdat
	.globl	_ZN7rocprim17ROCPRIM_400000_NS6detail17trampoline_kernelINS0_14default_configENS1_20scan_config_selectorIN3c107complexIfEEEEZZNS1_9scan_implILNS1_25lookback_scan_determinismE0ELb0ELb0ES3_PKS7_PS7_S7_ZZZN2at6native31launch_logcumsumexp_cuda_kernelERKNSE_10TensorBaseESI_lENKUlvE_clEvENKUlvE2_clEvEUlS7_S7_E_S7_EEDaPvRmT3_T4_T5_mT6_P12ihipStream_tbENKUlT_T0_E_clISt17integral_constantIbLb0EESZ_EEDaSU_SV_EUlSU_E_NS1_11comp_targetILNS1_3genE4ELNS1_11target_archE910ELNS1_3gpuE8ELNS1_3repE0EEENS1_30default_config_static_selectorELNS0_4arch9wavefront6targetE0EEEvT1_ ; -- Begin function _ZN7rocprim17ROCPRIM_400000_NS6detail17trampoline_kernelINS0_14default_configENS1_20scan_config_selectorIN3c107complexIfEEEEZZNS1_9scan_implILNS1_25lookback_scan_determinismE0ELb0ELb0ES3_PKS7_PS7_S7_ZZZN2at6native31launch_logcumsumexp_cuda_kernelERKNSE_10TensorBaseESI_lENKUlvE_clEvENKUlvE2_clEvEUlS7_S7_E_S7_EEDaPvRmT3_T4_T5_mT6_P12ihipStream_tbENKUlT_T0_E_clISt17integral_constantIbLb0EESZ_EEDaSU_SV_EUlSU_E_NS1_11comp_targetILNS1_3genE4ELNS1_11target_archE910ELNS1_3gpuE8ELNS1_3repE0EEENS1_30default_config_static_selectorELNS0_4arch9wavefront6targetE0EEEvT1_
	.p2align	8
	.type	_ZN7rocprim17ROCPRIM_400000_NS6detail17trampoline_kernelINS0_14default_configENS1_20scan_config_selectorIN3c107complexIfEEEEZZNS1_9scan_implILNS1_25lookback_scan_determinismE0ELb0ELb0ES3_PKS7_PS7_S7_ZZZN2at6native31launch_logcumsumexp_cuda_kernelERKNSE_10TensorBaseESI_lENKUlvE_clEvENKUlvE2_clEvEUlS7_S7_E_S7_EEDaPvRmT3_T4_T5_mT6_P12ihipStream_tbENKUlT_T0_E_clISt17integral_constantIbLb0EESZ_EEDaSU_SV_EUlSU_E_NS1_11comp_targetILNS1_3genE4ELNS1_11target_archE910ELNS1_3gpuE8ELNS1_3repE0EEENS1_30default_config_static_selectorELNS0_4arch9wavefront6targetE0EEEvT1_,@function
_ZN7rocprim17ROCPRIM_400000_NS6detail17trampoline_kernelINS0_14default_configENS1_20scan_config_selectorIN3c107complexIfEEEEZZNS1_9scan_implILNS1_25lookback_scan_determinismE0ELb0ELb0ES3_PKS7_PS7_S7_ZZZN2at6native31launch_logcumsumexp_cuda_kernelERKNSE_10TensorBaseESI_lENKUlvE_clEvENKUlvE2_clEvEUlS7_S7_E_S7_EEDaPvRmT3_T4_T5_mT6_P12ihipStream_tbENKUlT_T0_E_clISt17integral_constantIbLb0EESZ_EEDaSU_SV_EUlSU_E_NS1_11comp_targetILNS1_3genE4ELNS1_11target_archE910ELNS1_3gpuE8ELNS1_3repE0EEENS1_30default_config_static_selectorELNS0_4arch9wavefront6targetE0EEEvT1_: ; @_ZN7rocprim17ROCPRIM_400000_NS6detail17trampoline_kernelINS0_14default_configENS1_20scan_config_selectorIN3c107complexIfEEEEZZNS1_9scan_implILNS1_25lookback_scan_determinismE0ELb0ELb0ES3_PKS7_PS7_S7_ZZZN2at6native31launch_logcumsumexp_cuda_kernelERKNSE_10TensorBaseESI_lENKUlvE_clEvENKUlvE2_clEvEUlS7_S7_E_S7_EEDaPvRmT3_T4_T5_mT6_P12ihipStream_tbENKUlT_T0_E_clISt17integral_constantIbLb0EESZ_EEDaSU_SV_EUlSU_E_NS1_11comp_targetILNS1_3genE4ELNS1_11target_archE910ELNS1_3gpuE8ELNS1_3repE0EEENS1_30default_config_static_selectorELNS0_4arch9wavefront6targetE0EEEvT1_
; %bb.0:
	.section	.rodata,"a",@progbits
	.p2align	6, 0x0
	.amdhsa_kernel _ZN7rocprim17ROCPRIM_400000_NS6detail17trampoline_kernelINS0_14default_configENS1_20scan_config_selectorIN3c107complexIfEEEEZZNS1_9scan_implILNS1_25lookback_scan_determinismE0ELb0ELb0ES3_PKS7_PS7_S7_ZZZN2at6native31launch_logcumsumexp_cuda_kernelERKNSE_10TensorBaseESI_lENKUlvE_clEvENKUlvE2_clEvEUlS7_S7_E_S7_EEDaPvRmT3_T4_T5_mT6_P12ihipStream_tbENKUlT_T0_E_clISt17integral_constantIbLb0EESZ_EEDaSU_SV_EUlSU_E_NS1_11comp_targetILNS1_3genE4ELNS1_11target_archE910ELNS1_3gpuE8ELNS1_3repE0EEENS1_30default_config_static_selectorELNS0_4arch9wavefront6targetE0EEEvT1_
		.amdhsa_group_segment_fixed_size 0
		.amdhsa_private_segment_fixed_size 0
		.amdhsa_kernarg_size 104
		.amdhsa_user_sgpr_count 15
		.amdhsa_user_sgpr_dispatch_ptr 0
		.amdhsa_user_sgpr_queue_ptr 0
		.amdhsa_user_sgpr_kernarg_segment_ptr 1
		.amdhsa_user_sgpr_dispatch_id 0
		.amdhsa_user_sgpr_private_segment_size 0
		.amdhsa_wavefront_size32 1
		.amdhsa_uses_dynamic_stack 0
		.amdhsa_enable_private_segment 0
		.amdhsa_system_sgpr_workgroup_id_x 1
		.amdhsa_system_sgpr_workgroup_id_y 0
		.amdhsa_system_sgpr_workgroup_id_z 0
		.amdhsa_system_sgpr_workgroup_info 0
		.amdhsa_system_vgpr_workitem_id 0
		.amdhsa_next_free_vgpr 1
		.amdhsa_next_free_sgpr 1
		.amdhsa_reserve_vcc 0
		.amdhsa_float_round_mode_32 0
		.amdhsa_float_round_mode_16_64 0
		.amdhsa_float_denorm_mode_32 3
		.amdhsa_float_denorm_mode_16_64 3
		.amdhsa_dx10_clamp 1
		.amdhsa_ieee_mode 1
		.amdhsa_fp16_overflow 0
		.amdhsa_workgroup_processor_mode 1
		.amdhsa_memory_ordered 1
		.amdhsa_forward_progress 0
		.amdhsa_shared_vgpr_count 0
		.amdhsa_exception_fp_ieee_invalid_op 0
		.amdhsa_exception_fp_denorm_src 0
		.amdhsa_exception_fp_ieee_div_zero 0
		.amdhsa_exception_fp_ieee_overflow 0
		.amdhsa_exception_fp_ieee_underflow 0
		.amdhsa_exception_fp_ieee_inexact 0
		.amdhsa_exception_int_div_zero 0
	.end_amdhsa_kernel
	.section	.text._ZN7rocprim17ROCPRIM_400000_NS6detail17trampoline_kernelINS0_14default_configENS1_20scan_config_selectorIN3c107complexIfEEEEZZNS1_9scan_implILNS1_25lookback_scan_determinismE0ELb0ELb0ES3_PKS7_PS7_S7_ZZZN2at6native31launch_logcumsumexp_cuda_kernelERKNSE_10TensorBaseESI_lENKUlvE_clEvENKUlvE2_clEvEUlS7_S7_E_S7_EEDaPvRmT3_T4_T5_mT6_P12ihipStream_tbENKUlT_T0_E_clISt17integral_constantIbLb0EESZ_EEDaSU_SV_EUlSU_E_NS1_11comp_targetILNS1_3genE4ELNS1_11target_archE910ELNS1_3gpuE8ELNS1_3repE0EEENS1_30default_config_static_selectorELNS0_4arch9wavefront6targetE0EEEvT1_,"axG",@progbits,_ZN7rocprim17ROCPRIM_400000_NS6detail17trampoline_kernelINS0_14default_configENS1_20scan_config_selectorIN3c107complexIfEEEEZZNS1_9scan_implILNS1_25lookback_scan_determinismE0ELb0ELb0ES3_PKS7_PS7_S7_ZZZN2at6native31launch_logcumsumexp_cuda_kernelERKNSE_10TensorBaseESI_lENKUlvE_clEvENKUlvE2_clEvEUlS7_S7_E_S7_EEDaPvRmT3_T4_T5_mT6_P12ihipStream_tbENKUlT_T0_E_clISt17integral_constantIbLb0EESZ_EEDaSU_SV_EUlSU_E_NS1_11comp_targetILNS1_3genE4ELNS1_11target_archE910ELNS1_3gpuE8ELNS1_3repE0EEENS1_30default_config_static_selectorELNS0_4arch9wavefront6targetE0EEEvT1_,comdat
.Lfunc_end269:
	.size	_ZN7rocprim17ROCPRIM_400000_NS6detail17trampoline_kernelINS0_14default_configENS1_20scan_config_selectorIN3c107complexIfEEEEZZNS1_9scan_implILNS1_25lookback_scan_determinismE0ELb0ELb0ES3_PKS7_PS7_S7_ZZZN2at6native31launch_logcumsumexp_cuda_kernelERKNSE_10TensorBaseESI_lENKUlvE_clEvENKUlvE2_clEvEUlS7_S7_E_S7_EEDaPvRmT3_T4_T5_mT6_P12ihipStream_tbENKUlT_T0_E_clISt17integral_constantIbLb0EESZ_EEDaSU_SV_EUlSU_E_NS1_11comp_targetILNS1_3genE4ELNS1_11target_archE910ELNS1_3gpuE8ELNS1_3repE0EEENS1_30default_config_static_selectorELNS0_4arch9wavefront6targetE0EEEvT1_, .Lfunc_end269-_ZN7rocprim17ROCPRIM_400000_NS6detail17trampoline_kernelINS0_14default_configENS1_20scan_config_selectorIN3c107complexIfEEEEZZNS1_9scan_implILNS1_25lookback_scan_determinismE0ELb0ELb0ES3_PKS7_PS7_S7_ZZZN2at6native31launch_logcumsumexp_cuda_kernelERKNSE_10TensorBaseESI_lENKUlvE_clEvENKUlvE2_clEvEUlS7_S7_E_S7_EEDaPvRmT3_T4_T5_mT6_P12ihipStream_tbENKUlT_T0_E_clISt17integral_constantIbLb0EESZ_EEDaSU_SV_EUlSU_E_NS1_11comp_targetILNS1_3genE4ELNS1_11target_archE910ELNS1_3gpuE8ELNS1_3repE0EEENS1_30default_config_static_selectorELNS0_4arch9wavefront6targetE0EEEvT1_
                                        ; -- End function
	.section	.AMDGPU.csdata,"",@progbits
; Kernel info:
; codeLenInByte = 0
; NumSgprs: 0
; NumVgprs: 0
; ScratchSize: 0
; MemoryBound: 0
; FloatMode: 240
; IeeeMode: 1
; LDSByteSize: 0 bytes/workgroup (compile time only)
; SGPRBlocks: 0
; VGPRBlocks: 0
; NumSGPRsForWavesPerEU: 1
; NumVGPRsForWavesPerEU: 1
; Occupancy: 16
; WaveLimiterHint : 0
; COMPUTE_PGM_RSRC2:SCRATCH_EN: 0
; COMPUTE_PGM_RSRC2:USER_SGPR: 15
; COMPUTE_PGM_RSRC2:TRAP_HANDLER: 0
; COMPUTE_PGM_RSRC2:TGID_X_EN: 1
; COMPUTE_PGM_RSRC2:TGID_Y_EN: 0
; COMPUTE_PGM_RSRC2:TGID_Z_EN: 0
; COMPUTE_PGM_RSRC2:TIDIG_COMP_CNT: 0
	.section	.text._ZN7rocprim17ROCPRIM_400000_NS6detail17trampoline_kernelINS0_14default_configENS1_20scan_config_selectorIN3c107complexIfEEEEZZNS1_9scan_implILNS1_25lookback_scan_determinismE0ELb0ELb0ES3_PKS7_PS7_S7_ZZZN2at6native31launch_logcumsumexp_cuda_kernelERKNSE_10TensorBaseESI_lENKUlvE_clEvENKUlvE2_clEvEUlS7_S7_E_S7_EEDaPvRmT3_T4_T5_mT6_P12ihipStream_tbENKUlT_T0_E_clISt17integral_constantIbLb0EESZ_EEDaSU_SV_EUlSU_E_NS1_11comp_targetILNS1_3genE3ELNS1_11target_archE908ELNS1_3gpuE7ELNS1_3repE0EEENS1_30default_config_static_selectorELNS0_4arch9wavefront6targetE0EEEvT1_,"axG",@progbits,_ZN7rocprim17ROCPRIM_400000_NS6detail17trampoline_kernelINS0_14default_configENS1_20scan_config_selectorIN3c107complexIfEEEEZZNS1_9scan_implILNS1_25lookback_scan_determinismE0ELb0ELb0ES3_PKS7_PS7_S7_ZZZN2at6native31launch_logcumsumexp_cuda_kernelERKNSE_10TensorBaseESI_lENKUlvE_clEvENKUlvE2_clEvEUlS7_S7_E_S7_EEDaPvRmT3_T4_T5_mT6_P12ihipStream_tbENKUlT_T0_E_clISt17integral_constantIbLb0EESZ_EEDaSU_SV_EUlSU_E_NS1_11comp_targetILNS1_3genE3ELNS1_11target_archE908ELNS1_3gpuE7ELNS1_3repE0EEENS1_30default_config_static_selectorELNS0_4arch9wavefront6targetE0EEEvT1_,comdat
	.globl	_ZN7rocprim17ROCPRIM_400000_NS6detail17trampoline_kernelINS0_14default_configENS1_20scan_config_selectorIN3c107complexIfEEEEZZNS1_9scan_implILNS1_25lookback_scan_determinismE0ELb0ELb0ES3_PKS7_PS7_S7_ZZZN2at6native31launch_logcumsumexp_cuda_kernelERKNSE_10TensorBaseESI_lENKUlvE_clEvENKUlvE2_clEvEUlS7_S7_E_S7_EEDaPvRmT3_T4_T5_mT6_P12ihipStream_tbENKUlT_T0_E_clISt17integral_constantIbLb0EESZ_EEDaSU_SV_EUlSU_E_NS1_11comp_targetILNS1_3genE3ELNS1_11target_archE908ELNS1_3gpuE7ELNS1_3repE0EEENS1_30default_config_static_selectorELNS0_4arch9wavefront6targetE0EEEvT1_ ; -- Begin function _ZN7rocprim17ROCPRIM_400000_NS6detail17trampoline_kernelINS0_14default_configENS1_20scan_config_selectorIN3c107complexIfEEEEZZNS1_9scan_implILNS1_25lookback_scan_determinismE0ELb0ELb0ES3_PKS7_PS7_S7_ZZZN2at6native31launch_logcumsumexp_cuda_kernelERKNSE_10TensorBaseESI_lENKUlvE_clEvENKUlvE2_clEvEUlS7_S7_E_S7_EEDaPvRmT3_T4_T5_mT6_P12ihipStream_tbENKUlT_T0_E_clISt17integral_constantIbLb0EESZ_EEDaSU_SV_EUlSU_E_NS1_11comp_targetILNS1_3genE3ELNS1_11target_archE908ELNS1_3gpuE7ELNS1_3repE0EEENS1_30default_config_static_selectorELNS0_4arch9wavefront6targetE0EEEvT1_
	.p2align	8
	.type	_ZN7rocprim17ROCPRIM_400000_NS6detail17trampoline_kernelINS0_14default_configENS1_20scan_config_selectorIN3c107complexIfEEEEZZNS1_9scan_implILNS1_25lookback_scan_determinismE0ELb0ELb0ES3_PKS7_PS7_S7_ZZZN2at6native31launch_logcumsumexp_cuda_kernelERKNSE_10TensorBaseESI_lENKUlvE_clEvENKUlvE2_clEvEUlS7_S7_E_S7_EEDaPvRmT3_T4_T5_mT6_P12ihipStream_tbENKUlT_T0_E_clISt17integral_constantIbLb0EESZ_EEDaSU_SV_EUlSU_E_NS1_11comp_targetILNS1_3genE3ELNS1_11target_archE908ELNS1_3gpuE7ELNS1_3repE0EEENS1_30default_config_static_selectorELNS0_4arch9wavefront6targetE0EEEvT1_,@function
_ZN7rocprim17ROCPRIM_400000_NS6detail17trampoline_kernelINS0_14default_configENS1_20scan_config_selectorIN3c107complexIfEEEEZZNS1_9scan_implILNS1_25lookback_scan_determinismE0ELb0ELb0ES3_PKS7_PS7_S7_ZZZN2at6native31launch_logcumsumexp_cuda_kernelERKNSE_10TensorBaseESI_lENKUlvE_clEvENKUlvE2_clEvEUlS7_S7_E_S7_EEDaPvRmT3_T4_T5_mT6_P12ihipStream_tbENKUlT_T0_E_clISt17integral_constantIbLb0EESZ_EEDaSU_SV_EUlSU_E_NS1_11comp_targetILNS1_3genE3ELNS1_11target_archE908ELNS1_3gpuE7ELNS1_3repE0EEENS1_30default_config_static_selectorELNS0_4arch9wavefront6targetE0EEEvT1_: ; @_ZN7rocprim17ROCPRIM_400000_NS6detail17trampoline_kernelINS0_14default_configENS1_20scan_config_selectorIN3c107complexIfEEEEZZNS1_9scan_implILNS1_25lookback_scan_determinismE0ELb0ELb0ES3_PKS7_PS7_S7_ZZZN2at6native31launch_logcumsumexp_cuda_kernelERKNSE_10TensorBaseESI_lENKUlvE_clEvENKUlvE2_clEvEUlS7_S7_E_S7_EEDaPvRmT3_T4_T5_mT6_P12ihipStream_tbENKUlT_T0_E_clISt17integral_constantIbLb0EESZ_EEDaSU_SV_EUlSU_E_NS1_11comp_targetILNS1_3genE3ELNS1_11target_archE908ELNS1_3gpuE7ELNS1_3repE0EEENS1_30default_config_static_selectorELNS0_4arch9wavefront6targetE0EEEvT1_
; %bb.0:
	.section	.rodata,"a",@progbits
	.p2align	6, 0x0
	.amdhsa_kernel _ZN7rocprim17ROCPRIM_400000_NS6detail17trampoline_kernelINS0_14default_configENS1_20scan_config_selectorIN3c107complexIfEEEEZZNS1_9scan_implILNS1_25lookback_scan_determinismE0ELb0ELb0ES3_PKS7_PS7_S7_ZZZN2at6native31launch_logcumsumexp_cuda_kernelERKNSE_10TensorBaseESI_lENKUlvE_clEvENKUlvE2_clEvEUlS7_S7_E_S7_EEDaPvRmT3_T4_T5_mT6_P12ihipStream_tbENKUlT_T0_E_clISt17integral_constantIbLb0EESZ_EEDaSU_SV_EUlSU_E_NS1_11comp_targetILNS1_3genE3ELNS1_11target_archE908ELNS1_3gpuE7ELNS1_3repE0EEENS1_30default_config_static_selectorELNS0_4arch9wavefront6targetE0EEEvT1_
		.amdhsa_group_segment_fixed_size 0
		.amdhsa_private_segment_fixed_size 0
		.amdhsa_kernarg_size 104
		.amdhsa_user_sgpr_count 15
		.amdhsa_user_sgpr_dispatch_ptr 0
		.amdhsa_user_sgpr_queue_ptr 0
		.amdhsa_user_sgpr_kernarg_segment_ptr 1
		.amdhsa_user_sgpr_dispatch_id 0
		.amdhsa_user_sgpr_private_segment_size 0
		.amdhsa_wavefront_size32 1
		.amdhsa_uses_dynamic_stack 0
		.amdhsa_enable_private_segment 0
		.amdhsa_system_sgpr_workgroup_id_x 1
		.amdhsa_system_sgpr_workgroup_id_y 0
		.amdhsa_system_sgpr_workgroup_id_z 0
		.amdhsa_system_sgpr_workgroup_info 0
		.amdhsa_system_vgpr_workitem_id 0
		.amdhsa_next_free_vgpr 1
		.amdhsa_next_free_sgpr 1
		.amdhsa_reserve_vcc 0
		.amdhsa_float_round_mode_32 0
		.amdhsa_float_round_mode_16_64 0
		.amdhsa_float_denorm_mode_32 3
		.amdhsa_float_denorm_mode_16_64 3
		.amdhsa_dx10_clamp 1
		.amdhsa_ieee_mode 1
		.amdhsa_fp16_overflow 0
		.amdhsa_workgroup_processor_mode 1
		.amdhsa_memory_ordered 1
		.amdhsa_forward_progress 0
		.amdhsa_shared_vgpr_count 0
		.amdhsa_exception_fp_ieee_invalid_op 0
		.amdhsa_exception_fp_denorm_src 0
		.amdhsa_exception_fp_ieee_div_zero 0
		.amdhsa_exception_fp_ieee_overflow 0
		.amdhsa_exception_fp_ieee_underflow 0
		.amdhsa_exception_fp_ieee_inexact 0
		.amdhsa_exception_int_div_zero 0
	.end_amdhsa_kernel
	.section	.text._ZN7rocprim17ROCPRIM_400000_NS6detail17trampoline_kernelINS0_14default_configENS1_20scan_config_selectorIN3c107complexIfEEEEZZNS1_9scan_implILNS1_25lookback_scan_determinismE0ELb0ELb0ES3_PKS7_PS7_S7_ZZZN2at6native31launch_logcumsumexp_cuda_kernelERKNSE_10TensorBaseESI_lENKUlvE_clEvENKUlvE2_clEvEUlS7_S7_E_S7_EEDaPvRmT3_T4_T5_mT6_P12ihipStream_tbENKUlT_T0_E_clISt17integral_constantIbLb0EESZ_EEDaSU_SV_EUlSU_E_NS1_11comp_targetILNS1_3genE3ELNS1_11target_archE908ELNS1_3gpuE7ELNS1_3repE0EEENS1_30default_config_static_selectorELNS0_4arch9wavefront6targetE0EEEvT1_,"axG",@progbits,_ZN7rocprim17ROCPRIM_400000_NS6detail17trampoline_kernelINS0_14default_configENS1_20scan_config_selectorIN3c107complexIfEEEEZZNS1_9scan_implILNS1_25lookback_scan_determinismE0ELb0ELb0ES3_PKS7_PS7_S7_ZZZN2at6native31launch_logcumsumexp_cuda_kernelERKNSE_10TensorBaseESI_lENKUlvE_clEvENKUlvE2_clEvEUlS7_S7_E_S7_EEDaPvRmT3_T4_T5_mT6_P12ihipStream_tbENKUlT_T0_E_clISt17integral_constantIbLb0EESZ_EEDaSU_SV_EUlSU_E_NS1_11comp_targetILNS1_3genE3ELNS1_11target_archE908ELNS1_3gpuE7ELNS1_3repE0EEENS1_30default_config_static_selectorELNS0_4arch9wavefront6targetE0EEEvT1_,comdat
.Lfunc_end270:
	.size	_ZN7rocprim17ROCPRIM_400000_NS6detail17trampoline_kernelINS0_14default_configENS1_20scan_config_selectorIN3c107complexIfEEEEZZNS1_9scan_implILNS1_25lookback_scan_determinismE0ELb0ELb0ES3_PKS7_PS7_S7_ZZZN2at6native31launch_logcumsumexp_cuda_kernelERKNSE_10TensorBaseESI_lENKUlvE_clEvENKUlvE2_clEvEUlS7_S7_E_S7_EEDaPvRmT3_T4_T5_mT6_P12ihipStream_tbENKUlT_T0_E_clISt17integral_constantIbLb0EESZ_EEDaSU_SV_EUlSU_E_NS1_11comp_targetILNS1_3genE3ELNS1_11target_archE908ELNS1_3gpuE7ELNS1_3repE0EEENS1_30default_config_static_selectorELNS0_4arch9wavefront6targetE0EEEvT1_, .Lfunc_end270-_ZN7rocprim17ROCPRIM_400000_NS6detail17trampoline_kernelINS0_14default_configENS1_20scan_config_selectorIN3c107complexIfEEEEZZNS1_9scan_implILNS1_25lookback_scan_determinismE0ELb0ELb0ES3_PKS7_PS7_S7_ZZZN2at6native31launch_logcumsumexp_cuda_kernelERKNSE_10TensorBaseESI_lENKUlvE_clEvENKUlvE2_clEvEUlS7_S7_E_S7_EEDaPvRmT3_T4_T5_mT6_P12ihipStream_tbENKUlT_T0_E_clISt17integral_constantIbLb0EESZ_EEDaSU_SV_EUlSU_E_NS1_11comp_targetILNS1_3genE3ELNS1_11target_archE908ELNS1_3gpuE7ELNS1_3repE0EEENS1_30default_config_static_selectorELNS0_4arch9wavefront6targetE0EEEvT1_
                                        ; -- End function
	.section	.AMDGPU.csdata,"",@progbits
; Kernel info:
; codeLenInByte = 0
; NumSgprs: 0
; NumVgprs: 0
; ScratchSize: 0
; MemoryBound: 0
; FloatMode: 240
; IeeeMode: 1
; LDSByteSize: 0 bytes/workgroup (compile time only)
; SGPRBlocks: 0
; VGPRBlocks: 0
; NumSGPRsForWavesPerEU: 1
; NumVGPRsForWavesPerEU: 1
; Occupancy: 16
; WaveLimiterHint : 0
; COMPUTE_PGM_RSRC2:SCRATCH_EN: 0
; COMPUTE_PGM_RSRC2:USER_SGPR: 15
; COMPUTE_PGM_RSRC2:TRAP_HANDLER: 0
; COMPUTE_PGM_RSRC2:TGID_X_EN: 1
; COMPUTE_PGM_RSRC2:TGID_Y_EN: 0
; COMPUTE_PGM_RSRC2:TGID_Z_EN: 0
; COMPUTE_PGM_RSRC2:TIDIG_COMP_CNT: 0
	.section	.text._ZN7rocprim17ROCPRIM_400000_NS6detail17trampoline_kernelINS0_14default_configENS1_20scan_config_selectorIN3c107complexIfEEEEZZNS1_9scan_implILNS1_25lookback_scan_determinismE0ELb0ELb0ES3_PKS7_PS7_S7_ZZZN2at6native31launch_logcumsumexp_cuda_kernelERKNSE_10TensorBaseESI_lENKUlvE_clEvENKUlvE2_clEvEUlS7_S7_E_S7_EEDaPvRmT3_T4_T5_mT6_P12ihipStream_tbENKUlT_T0_E_clISt17integral_constantIbLb0EESZ_EEDaSU_SV_EUlSU_E_NS1_11comp_targetILNS1_3genE2ELNS1_11target_archE906ELNS1_3gpuE6ELNS1_3repE0EEENS1_30default_config_static_selectorELNS0_4arch9wavefront6targetE0EEEvT1_,"axG",@progbits,_ZN7rocprim17ROCPRIM_400000_NS6detail17trampoline_kernelINS0_14default_configENS1_20scan_config_selectorIN3c107complexIfEEEEZZNS1_9scan_implILNS1_25lookback_scan_determinismE0ELb0ELb0ES3_PKS7_PS7_S7_ZZZN2at6native31launch_logcumsumexp_cuda_kernelERKNSE_10TensorBaseESI_lENKUlvE_clEvENKUlvE2_clEvEUlS7_S7_E_S7_EEDaPvRmT3_T4_T5_mT6_P12ihipStream_tbENKUlT_T0_E_clISt17integral_constantIbLb0EESZ_EEDaSU_SV_EUlSU_E_NS1_11comp_targetILNS1_3genE2ELNS1_11target_archE906ELNS1_3gpuE6ELNS1_3repE0EEENS1_30default_config_static_selectorELNS0_4arch9wavefront6targetE0EEEvT1_,comdat
	.globl	_ZN7rocprim17ROCPRIM_400000_NS6detail17trampoline_kernelINS0_14default_configENS1_20scan_config_selectorIN3c107complexIfEEEEZZNS1_9scan_implILNS1_25lookback_scan_determinismE0ELb0ELb0ES3_PKS7_PS7_S7_ZZZN2at6native31launch_logcumsumexp_cuda_kernelERKNSE_10TensorBaseESI_lENKUlvE_clEvENKUlvE2_clEvEUlS7_S7_E_S7_EEDaPvRmT3_T4_T5_mT6_P12ihipStream_tbENKUlT_T0_E_clISt17integral_constantIbLb0EESZ_EEDaSU_SV_EUlSU_E_NS1_11comp_targetILNS1_3genE2ELNS1_11target_archE906ELNS1_3gpuE6ELNS1_3repE0EEENS1_30default_config_static_selectorELNS0_4arch9wavefront6targetE0EEEvT1_ ; -- Begin function _ZN7rocprim17ROCPRIM_400000_NS6detail17trampoline_kernelINS0_14default_configENS1_20scan_config_selectorIN3c107complexIfEEEEZZNS1_9scan_implILNS1_25lookback_scan_determinismE0ELb0ELb0ES3_PKS7_PS7_S7_ZZZN2at6native31launch_logcumsumexp_cuda_kernelERKNSE_10TensorBaseESI_lENKUlvE_clEvENKUlvE2_clEvEUlS7_S7_E_S7_EEDaPvRmT3_T4_T5_mT6_P12ihipStream_tbENKUlT_T0_E_clISt17integral_constantIbLb0EESZ_EEDaSU_SV_EUlSU_E_NS1_11comp_targetILNS1_3genE2ELNS1_11target_archE906ELNS1_3gpuE6ELNS1_3repE0EEENS1_30default_config_static_selectorELNS0_4arch9wavefront6targetE0EEEvT1_
	.p2align	8
	.type	_ZN7rocprim17ROCPRIM_400000_NS6detail17trampoline_kernelINS0_14default_configENS1_20scan_config_selectorIN3c107complexIfEEEEZZNS1_9scan_implILNS1_25lookback_scan_determinismE0ELb0ELb0ES3_PKS7_PS7_S7_ZZZN2at6native31launch_logcumsumexp_cuda_kernelERKNSE_10TensorBaseESI_lENKUlvE_clEvENKUlvE2_clEvEUlS7_S7_E_S7_EEDaPvRmT3_T4_T5_mT6_P12ihipStream_tbENKUlT_T0_E_clISt17integral_constantIbLb0EESZ_EEDaSU_SV_EUlSU_E_NS1_11comp_targetILNS1_3genE2ELNS1_11target_archE906ELNS1_3gpuE6ELNS1_3repE0EEENS1_30default_config_static_selectorELNS0_4arch9wavefront6targetE0EEEvT1_,@function
_ZN7rocprim17ROCPRIM_400000_NS6detail17trampoline_kernelINS0_14default_configENS1_20scan_config_selectorIN3c107complexIfEEEEZZNS1_9scan_implILNS1_25lookback_scan_determinismE0ELb0ELb0ES3_PKS7_PS7_S7_ZZZN2at6native31launch_logcumsumexp_cuda_kernelERKNSE_10TensorBaseESI_lENKUlvE_clEvENKUlvE2_clEvEUlS7_S7_E_S7_EEDaPvRmT3_T4_T5_mT6_P12ihipStream_tbENKUlT_T0_E_clISt17integral_constantIbLb0EESZ_EEDaSU_SV_EUlSU_E_NS1_11comp_targetILNS1_3genE2ELNS1_11target_archE906ELNS1_3gpuE6ELNS1_3repE0EEENS1_30default_config_static_selectorELNS0_4arch9wavefront6targetE0EEEvT1_: ; @_ZN7rocprim17ROCPRIM_400000_NS6detail17trampoline_kernelINS0_14default_configENS1_20scan_config_selectorIN3c107complexIfEEEEZZNS1_9scan_implILNS1_25lookback_scan_determinismE0ELb0ELb0ES3_PKS7_PS7_S7_ZZZN2at6native31launch_logcumsumexp_cuda_kernelERKNSE_10TensorBaseESI_lENKUlvE_clEvENKUlvE2_clEvEUlS7_S7_E_S7_EEDaPvRmT3_T4_T5_mT6_P12ihipStream_tbENKUlT_T0_E_clISt17integral_constantIbLb0EESZ_EEDaSU_SV_EUlSU_E_NS1_11comp_targetILNS1_3genE2ELNS1_11target_archE906ELNS1_3gpuE6ELNS1_3repE0EEENS1_30default_config_static_selectorELNS0_4arch9wavefront6targetE0EEEvT1_
; %bb.0:
	.section	.rodata,"a",@progbits
	.p2align	6, 0x0
	.amdhsa_kernel _ZN7rocprim17ROCPRIM_400000_NS6detail17trampoline_kernelINS0_14default_configENS1_20scan_config_selectorIN3c107complexIfEEEEZZNS1_9scan_implILNS1_25lookback_scan_determinismE0ELb0ELb0ES3_PKS7_PS7_S7_ZZZN2at6native31launch_logcumsumexp_cuda_kernelERKNSE_10TensorBaseESI_lENKUlvE_clEvENKUlvE2_clEvEUlS7_S7_E_S7_EEDaPvRmT3_T4_T5_mT6_P12ihipStream_tbENKUlT_T0_E_clISt17integral_constantIbLb0EESZ_EEDaSU_SV_EUlSU_E_NS1_11comp_targetILNS1_3genE2ELNS1_11target_archE906ELNS1_3gpuE6ELNS1_3repE0EEENS1_30default_config_static_selectorELNS0_4arch9wavefront6targetE0EEEvT1_
		.amdhsa_group_segment_fixed_size 0
		.amdhsa_private_segment_fixed_size 0
		.amdhsa_kernarg_size 104
		.amdhsa_user_sgpr_count 15
		.amdhsa_user_sgpr_dispatch_ptr 0
		.amdhsa_user_sgpr_queue_ptr 0
		.amdhsa_user_sgpr_kernarg_segment_ptr 1
		.amdhsa_user_sgpr_dispatch_id 0
		.amdhsa_user_sgpr_private_segment_size 0
		.amdhsa_wavefront_size32 1
		.amdhsa_uses_dynamic_stack 0
		.amdhsa_enable_private_segment 0
		.amdhsa_system_sgpr_workgroup_id_x 1
		.amdhsa_system_sgpr_workgroup_id_y 0
		.amdhsa_system_sgpr_workgroup_id_z 0
		.amdhsa_system_sgpr_workgroup_info 0
		.amdhsa_system_vgpr_workitem_id 0
		.amdhsa_next_free_vgpr 1
		.amdhsa_next_free_sgpr 1
		.amdhsa_reserve_vcc 0
		.amdhsa_float_round_mode_32 0
		.amdhsa_float_round_mode_16_64 0
		.amdhsa_float_denorm_mode_32 3
		.amdhsa_float_denorm_mode_16_64 3
		.amdhsa_dx10_clamp 1
		.amdhsa_ieee_mode 1
		.amdhsa_fp16_overflow 0
		.amdhsa_workgroup_processor_mode 1
		.amdhsa_memory_ordered 1
		.amdhsa_forward_progress 0
		.amdhsa_shared_vgpr_count 0
		.amdhsa_exception_fp_ieee_invalid_op 0
		.amdhsa_exception_fp_denorm_src 0
		.amdhsa_exception_fp_ieee_div_zero 0
		.amdhsa_exception_fp_ieee_overflow 0
		.amdhsa_exception_fp_ieee_underflow 0
		.amdhsa_exception_fp_ieee_inexact 0
		.amdhsa_exception_int_div_zero 0
	.end_amdhsa_kernel
	.section	.text._ZN7rocprim17ROCPRIM_400000_NS6detail17trampoline_kernelINS0_14default_configENS1_20scan_config_selectorIN3c107complexIfEEEEZZNS1_9scan_implILNS1_25lookback_scan_determinismE0ELb0ELb0ES3_PKS7_PS7_S7_ZZZN2at6native31launch_logcumsumexp_cuda_kernelERKNSE_10TensorBaseESI_lENKUlvE_clEvENKUlvE2_clEvEUlS7_S7_E_S7_EEDaPvRmT3_T4_T5_mT6_P12ihipStream_tbENKUlT_T0_E_clISt17integral_constantIbLb0EESZ_EEDaSU_SV_EUlSU_E_NS1_11comp_targetILNS1_3genE2ELNS1_11target_archE906ELNS1_3gpuE6ELNS1_3repE0EEENS1_30default_config_static_selectorELNS0_4arch9wavefront6targetE0EEEvT1_,"axG",@progbits,_ZN7rocprim17ROCPRIM_400000_NS6detail17trampoline_kernelINS0_14default_configENS1_20scan_config_selectorIN3c107complexIfEEEEZZNS1_9scan_implILNS1_25lookback_scan_determinismE0ELb0ELb0ES3_PKS7_PS7_S7_ZZZN2at6native31launch_logcumsumexp_cuda_kernelERKNSE_10TensorBaseESI_lENKUlvE_clEvENKUlvE2_clEvEUlS7_S7_E_S7_EEDaPvRmT3_T4_T5_mT6_P12ihipStream_tbENKUlT_T0_E_clISt17integral_constantIbLb0EESZ_EEDaSU_SV_EUlSU_E_NS1_11comp_targetILNS1_3genE2ELNS1_11target_archE906ELNS1_3gpuE6ELNS1_3repE0EEENS1_30default_config_static_selectorELNS0_4arch9wavefront6targetE0EEEvT1_,comdat
.Lfunc_end271:
	.size	_ZN7rocprim17ROCPRIM_400000_NS6detail17trampoline_kernelINS0_14default_configENS1_20scan_config_selectorIN3c107complexIfEEEEZZNS1_9scan_implILNS1_25lookback_scan_determinismE0ELb0ELb0ES3_PKS7_PS7_S7_ZZZN2at6native31launch_logcumsumexp_cuda_kernelERKNSE_10TensorBaseESI_lENKUlvE_clEvENKUlvE2_clEvEUlS7_S7_E_S7_EEDaPvRmT3_T4_T5_mT6_P12ihipStream_tbENKUlT_T0_E_clISt17integral_constantIbLb0EESZ_EEDaSU_SV_EUlSU_E_NS1_11comp_targetILNS1_3genE2ELNS1_11target_archE906ELNS1_3gpuE6ELNS1_3repE0EEENS1_30default_config_static_selectorELNS0_4arch9wavefront6targetE0EEEvT1_, .Lfunc_end271-_ZN7rocprim17ROCPRIM_400000_NS6detail17trampoline_kernelINS0_14default_configENS1_20scan_config_selectorIN3c107complexIfEEEEZZNS1_9scan_implILNS1_25lookback_scan_determinismE0ELb0ELb0ES3_PKS7_PS7_S7_ZZZN2at6native31launch_logcumsumexp_cuda_kernelERKNSE_10TensorBaseESI_lENKUlvE_clEvENKUlvE2_clEvEUlS7_S7_E_S7_EEDaPvRmT3_T4_T5_mT6_P12ihipStream_tbENKUlT_T0_E_clISt17integral_constantIbLb0EESZ_EEDaSU_SV_EUlSU_E_NS1_11comp_targetILNS1_3genE2ELNS1_11target_archE906ELNS1_3gpuE6ELNS1_3repE0EEENS1_30default_config_static_selectorELNS0_4arch9wavefront6targetE0EEEvT1_
                                        ; -- End function
	.section	.AMDGPU.csdata,"",@progbits
; Kernel info:
; codeLenInByte = 0
; NumSgprs: 0
; NumVgprs: 0
; ScratchSize: 0
; MemoryBound: 0
; FloatMode: 240
; IeeeMode: 1
; LDSByteSize: 0 bytes/workgroup (compile time only)
; SGPRBlocks: 0
; VGPRBlocks: 0
; NumSGPRsForWavesPerEU: 1
; NumVGPRsForWavesPerEU: 1
; Occupancy: 16
; WaveLimiterHint : 0
; COMPUTE_PGM_RSRC2:SCRATCH_EN: 0
; COMPUTE_PGM_RSRC2:USER_SGPR: 15
; COMPUTE_PGM_RSRC2:TRAP_HANDLER: 0
; COMPUTE_PGM_RSRC2:TGID_X_EN: 1
; COMPUTE_PGM_RSRC2:TGID_Y_EN: 0
; COMPUTE_PGM_RSRC2:TGID_Z_EN: 0
; COMPUTE_PGM_RSRC2:TIDIG_COMP_CNT: 0
	.section	.text._ZN7rocprim17ROCPRIM_400000_NS6detail17trampoline_kernelINS0_14default_configENS1_20scan_config_selectorIN3c107complexIfEEEEZZNS1_9scan_implILNS1_25lookback_scan_determinismE0ELb0ELb0ES3_PKS7_PS7_S7_ZZZN2at6native31launch_logcumsumexp_cuda_kernelERKNSE_10TensorBaseESI_lENKUlvE_clEvENKUlvE2_clEvEUlS7_S7_E_S7_EEDaPvRmT3_T4_T5_mT6_P12ihipStream_tbENKUlT_T0_E_clISt17integral_constantIbLb0EESZ_EEDaSU_SV_EUlSU_E_NS1_11comp_targetILNS1_3genE10ELNS1_11target_archE1201ELNS1_3gpuE5ELNS1_3repE0EEENS1_30default_config_static_selectorELNS0_4arch9wavefront6targetE0EEEvT1_,"axG",@progbits,_ZN7rocprim17ROCPRIM_400000_NS6detail17trampoline_kernelINS0_14default_configENS1_20scan_config_selectorIN3c107complexIfEEEEZZNS1_9scan_implILNS1_25lookback_scan_determinismE0ELb0ELb0ES3_PKS7_PS7_S7_ZZZN2at6native31launch_logcumsumexp_cuda_kernelERKNSE_10TensorBaseESI_lENKUlvE_clEvENKUlvE2_clEvEUlS7_S7_E_S7_EEDaPvRmT3_T4_T5_mT6_P12ihipStream_tbENKUlT_T0_E_clISt17integral_constantIbLb0EESZ_EEDaSU_SV_EUlSU_E_NS1_11comp_targetILNS1_3genE10ELNS1_11target_archE1201ELNS1_3gpuE5ELNS1_3repE0EEENS1_30default_config_static_selectorELNS0_4arch9wavefront6targetE0EEEvT1_,comdat
	.globl	_ZN7rocprim17ROCPRIM_400000_NS6detail17trampoline_kernelINS0_14default_configENS1_20scan_config_selectorIN3c107complexIfEEEEZZNS1_9scan_implILNS1_25lookback_scan_determinismE0ELb0ELb0ES3_PKS7_PS7_S7_ZZZN2at6native31launch_logcumsumexp_cuda_kernelERKNSE_10TensorBaseESI_lENKUlvE_clEvENKUlvE2_clEvEUlS7_S7_E_S7_EEDaPvRmT3_T4_T5_mT6_P12ihipStream_tbENKUlT_T0_E_clISt17integral_constantIbLb0EESZ_EEDaSU_SV_EUlSU_E_NS1_11comp_targetILNS1_3genE10ELNS1_11target_archE1201ELNS1_3gpuE5ELNS1_3repE0EEENS1_30default_config_static_selectorELNS0_4arch9wavefront6targetE0EEEvT1_ ; -- Begin function _ZN7rocprim17ROCPRIM_400000_NS6detail17trampoline_kernelINS0_14default_configENS1_20scan_config_selectorIN3c107complexIfEEEEZZNS1_9scan_implILNS1_25lookback_scan_determinismE0ELb0ELb0ES3_PKS7_PS7_S7_ZZZN2at6native31launch_logcumsumexp_cuda_kernelERKNSE_10TensorBaseESI_lENKUlvE_clEvENKUlvE2_clEvEUlS7_S7_E_S7_EEDaPvRmT3_T4_T5_mT6_P12ihipStream_tbENKUlT_T0_E_clISt17integral_constantIbLb0EESZ_EEDaSU_SV_EUlSU_E_NS1_11comp_targetILNS1_3genE10ELNS1_11target_archE1201ELNS1_3gpuE5ELNS1_3repE0EEENS1_30default_config_static_selectorELNS0_4arch9wavefront6targetE0EEEvT1_
	.p2align	8
	.type	_ZN7rocprim17ROCPRIM_400000_NS6detail17trampoline_kernelINS0_14default_configENS1_20scan_config_selectorIN3c107complexIfEEEEZZNS1_9scan_implILNS1_25lookback_scan_determinismE0ELb0ELb0ES3_PKS7_PS7_S7_ZZZN2at6native31launch_logcumsumexp_cuda_kernelERKNSE_10TensorBaseESI_lENKUlvE_clEvENKUlvE2_clEvEUlS7_S7_E_S7_EEDaPvRmT3_T4_T5_mT6_P12ihipStream_tbENKUlT_T0_E_clISt17integral_constantIbLb0EESZ_EEDaSU_SV_EUlSU_E_NS1_11comp_targetILNS1_3genE10ELNS1_11target_archE1201ELNS1_3gpuE5ELNS1_3repE0EEENS1_30default_config_static_selectorELNS0_4arch9wavefront6targetE0EEEvT1_,@function
_ZN7rocprim17ROCPRIM_400000_NS6detail17trampoline_kernelINS0_14default_configENS1_20scan_config_selectorIN3c107complexIfEEEEZZNS1_9scan_implILNS1_25lookback_scan_determinismE0ELb0ELb0ES3_PKS7_PS7_S7_ZZZN2at6native31launch_logcumsumexp_cuda_kernelERKNSE_10TensorBaseESI_lENKUlvE_clEvENKUlvE2_clEvEUlS7_S7_E_S7_EEDaPvRmT3_T4_T5_mT6_P12ihipStream_tbENKUlT_T0_E_clISt17integral_constantIbLb0EESZ_EEDaSU_SV_EUlSU_E_NS1_11comp_targetILNS1_3genE10ELNS1_11target_archE1201ELNS1_3gpuE5ELNS1_3repE0EEENS1_30default_config_static_selectorELNS0_4arch9wavefront6targetE0EEEvT1_: ; @_ZN7rocprim17ROCPRIM_400000_NS6detail17trampoline_kernelINS0_14default_configENS1_20scan_config_selectorIN3c107complexIfEEEEZZNS1_9scan_implILNS1_25lookback_scan_determinismE0ELb0ELb0ES3_PKS7_PS7_S7_ZZZN2at6native31launch_logcumsumexp_cuda_kernelERKNSE_10TensorBaseESI_lENKUlvE_clEvENKUlvE2_clEvEUlS7_S7_E_S7_EEDaPvRmT3_T4_T5_mT6_P12ihipStream_tbENKUlT_T0_E_clISt17integral_constantIbLb0EESZ_EEDaSU_SV_EUlSU_E_NS1_11comp_targetILNS1_3genE10ELNS1_11target_archE1201ELNS1_3gpuE5ELNS1_3repE0EEENS1_30default_config_static_selectorELNS0_4arch9wavefront6targetE0EEEvT1_
; %bb.0:
	.section	.rodata,"a",@progbits
	.p2align	6, 0x0
	.amdhsa_kernel _ZN7rocprim17ROCPRIM_400000_NS6detail17trampoline_kernelINS0_14default_configENS1_20scan_config_selectorIN3c107complexIfEEEEZZNS1_9scan_implILNS1_25lookback_scan_determinismE0ELb0ELb0ES3_PKS7_PS7_S7_ZZZN2at6native31launch_logcumsumexp_cuda_kernelERKNSE_10TensorBaseESI_lENKUlvE_clEvENKUlvE2_clEvEUlS7_S7_E_S7_EEDaPvRmT3_T4_T5_mT6_P12ihipStream_tbENKUlT_T0_E_clISt17integral_constantIbLb0EESZ_EEDaSU_SV_EUlSU_E_NS1_11comp_targetILNS1_3genE10ELNS1_11target_archE1201ELNS1_3gpuE5ELNS1_3repE0EEENS1_30default_config_static_selectorELNS0_4arch9wavefront6targetE0EEEvT1_
		.amdhsa_group_segment_fixed_size 0
		.amdhsa_private_segment_fixed_size 0
		.amdhsa_kernarg_size 104
		.amdhsa_user_sgpr_count 15
		.amdhsa_user_sgpr_dispatch_ptr 0
		.amdhsa_user_sgpr_queue_ptr 0
		.amdhsa_user_sgpr_kernarg_segment_ptr 1
		.amdhsa_user_sgpr_dispatch_id 0
		.amdhsa_user_sgpr_private_segment_size 0
		.amdhsa_wavefront_size32 1
		.amdhsa_uses_dynamic_stack 0
		.amdhsa_enable_private_segment 0
		.amdhsa_system_sgpr_workgroup_id_x 1
		.amdhsa_system_sgpr_workgroup_id_y 0
		.amdhsa_system_sgpr_workgroup_id_z 0
		.amdhsa_system_sgpr_workgroup_info 0
		.amdhsa_system_vgpr_workitem_id 0
		.amdhsa_next_free_vgpr 1
		.amdhsa_next_free_sgpr 1
		.amdhsa_reserve_vcc 0
		.amdhsa_float_round_mode_32 0
		.amdhsa_float_round_mode_16_64 0
		.amdhsa_float_denorm_mode_32 3
		.amdhsa_float_denorm_mode_16_64 3
		.amdhsa_dx10_clamp 1
		.amdhsa_ieee_mode 1
		.amdhsa_fp16_overflow 0
		.amdhsa_workgroup_processor_mode 1
		.amdhsa_memory_ordered 1
		.amdhsa_forward_progress 0
		.amdhsa_shared_vgpr_count 0
		.amdhsa_exception_fp_ieee_invalid_op 0
		.amdhsa_exception_fp_denorm_src 0
		.amdhsa_exception_fp_ieee_div_zero 0
		.amdhsa_exception_fp_ieee_overflow 0
		.amdhsa_exception_fp_ieee_underflow 0
		.amdhsa_exception_fp_ieee_inexact 0
		.amdhsa_exception_int_div_zero 0
	.end_amdhsa_kernel
	.section	.text._ZN7rocprim17ROCPRIM_400000_NS6detail17trampoline_kernelINS0_14default_configENS1_20scan_config_selectorIN3c107complexIfEEEEZZNS1_9scan_implILNS1_25lookback_scan_determinismE0ELb0ELb0ES3_PKS7_PS7_S7_ZZZN2at6native31launch_logcumsumexp_cuda_kernelERKNSE_10TensorBaseESI_lENKUlvE_clEvENKUlvE2_clEvEUlS7_S7_E_S7_EEDaPvRmT3_T4_T5_mT6_P12ihipStream_tbENKUlT_T0_E_clISt17integral_constantIbLb0EESZ_EEDaSU_SV_EUlSU_E_NS1_11comp_targetILNS1_3genE10ELNS1_11target_archE1201ELNS1_3gpuE5ELNS1_3repE0EEENS1_30default_config_static_selectorELNS0_4arch9wavefront6targetE0EEEvT1_,"axG",@progbits,_ZN7rocprim17ROCPRIM_400000_NS6detail17trampoline_kernelINS0_14default_configENS1_20scan_config_selectorIN3c107complexIfEEEEZZNS1_9scan_implILNS1_25lookback_scan_determinismE0ELb0ELb0ES3_PKS7_PS7_S7_ZZZN2at6native31launch_logcumsumexp_cuda_kernelERKNSE_10TensorBaseESI_lENKUlvE_clEvENKUlvE2_clEvEUlS7_S7_E_S7_EEDaPvRmT3_T4_T5_mT6_P12ihipStream_tbENKUlT_T0_E_clISt17integral_constantIbLb0EESZ_EEDaSU_SV_EUlSU_E_NS1_11comp_targetILNS1_3genE10ELNS1_11target_archE1201ELNS1_3gpuE5ELNS1_3repE0EEENS1_30default_config_static_selectorELNS0_4arch9wavefront6targetE0EEEvT1_,comdat
.Lfunc_end272:
	.size	_ZN7rocprim17ROCPRIM_400000_NS6detail17trampoline_kernelINS0_14default_configENS1_20scan_config_selectorIN3c107complexIfEEEEZZNS1_9scan_implILNS1_25lookback_scan_determinismE0ELb0ELb0ES3_PKS7_PS7_S7_ZZZN2at6native31launch_logcumsumexp_cuda_kernelERKNSE_10TensorBaseESI_lENKUlvE_clEvENKUlvE2_clEvEUlS7_S7_E_S7_EEDaPvRmT3_T4_T5_mT6_P12ihipStream_tbENKUlT_T0_E_clISt17integral_constantIbLb0EESZ_EEDaSU_SV_EUlSU_E_NS1_11comp_targetILNS1_3genE10ELNS1_11target_archE1201ELNS1_3gpuE5ELNS1_3repE0EEENS1_30default_config_static_selectorELNS0_4arch9wavefront6targetE0EEEvT1_, .Lfunc_end272-_ZN7rocprim17ROCPRIM_400000_NS6detail17trampoline_kernelINS0_14default_configENS1_20scan_config_selectorIN3c107complexIfEEEEZZNS1_9scan_implILNS1_25lookback_scan_determinismE0ELb0ELb0ES3_PKS7_PS7_S7_ZZZN2at6native31launch_logcumsumexp_cuda_kernelERKNSE_10TensorBaseESI_lENKUlvE_clEvENKUlvE2_clEvEUlS7_S7_E_S7_EEDaPvRmT3_T4_T5_mT6_P12ihipStream_tbENKUlT_T0_E_clISt17integral_constantIbLb0EESZ_EEDaSU_SV_EUlSU_E_NS1_11comp_targetILNS1_3genE10ELNS1_11target_archE1201ELNS1_3gpuE5ELNS1_3repE0EEENS1_30default_config_static_selectorELNS0_4arch9wavefront6targetE0EEEvT1_
                                        ; -- End function
	.section	.AMDGPU.csdata,"",@progbits
; Kernel info:
; codeLenInByte = 0
; NumSgprs: 0
; NumVgprs: 0
; ScratchSize: 0
; MemoryBound: 0
; FloatMode: 240
; IeeeMode: 1
; LDSByteSize: 0 bytes/workgroup (compile time only)
; SGPRBlocks: 0
; VGPRBlocks: 0
; NumSGPRsForWavesPerEU: 1
; NumVGPRsForWavesPerEU: 1
; Occupancy: 16
; WaveLimiterHint : 0
; COMPUTE_PGM_RSRC2:SCRATCH_EN: 0
; COMPUTE_PGM_RSRC2:USER_SGPR: 15
; COMPUTE_PGM_RSRC2:TRAP_HANDLER: 0
; COMPUTE_PGM_RSRC2:TGID_X_EN: 1
; COMPUTE_PGM_RSRC2:TGID_Y_EN: 0
; COMPUTE_PGM_RSRC2:TGID_Z_EN: 0
; COMPUTE_PGM_RSRC2:TIDIG_COMP_CNT: 0
	.section	.text._ZN7rocprim17ROCPRIM_400000_NS6detail17trampoline_kernelINS0_14default_configENS1_20scan_config_selectorIN3c107complexIfEEEEZZNS1_9scan_implILNS1_25lookback_scan_determinismE0ELb0ELb0ES3_PKS7_PS7_S7_ZZZN2at6native31launch_logcumsumexp_cuda_kernelERKNSE_10TensorBaseESI_lENKUlvE_clEvENKUlvE2_clEvEUlS7_S7_E_S7_EEDaPvRmT3_T4_T5_mT6_P12ihipStream_tbENKUlT_T0_E_clISt17integral_constantIbLb0EESZ_EEDaSU_SV_EUlSU_E_NS1_11comp_targetILNS1_3genE10ELNS1_11target_archE1200ELNS1_3gpuE4ELNS1_3repE0EEENS1_30default_config_static_selectorELNS0_4arch9wavefront6targetE0EEEvT1_,"axG",@progbits,_ZN7rocprim17ROCPRIM_400000_NS6detail17trampoline_kernelINS0_14default_configENS1_20scan_config_selectorIN3c107complexIfEEEEZZNS1_9scan_implILNS1_25lookback_scan_determinismE0ELb0ELb0ES3_PKS7_PS7_S7_ZZZN2at6native31launch_logcumsumexp_cuda_kernelERKNSE_10TensorBaseESI_lENKUlvE_clEvENKUlvE2_clEvEUlS7_S7_E_S7_EEDaPvRmT3_T4_T5_mT6_P12ihipStream_tbENKUlT_T0_E_clISt17integral_constantIbLb0EESZ_EEDaSU_SV_EUlSU_E_NS1_11comp_targetILNS1_3genE10ELNS1_11target_archE1200ELNS1_3gpuE4ELNS1_3repE0EEENS1_30default_config_static_selectorELNS0_4arch9wavefront6targetE0EEEvT1_,comdat
	.globl	_ZN7rocprim17ROCPRIM_400000_NS6detail17trampoline_kernelINS0_14default_configENS1_20scan_config_selectorIN3c107complexIfEEEEZZNS1_9scan_implILNS1_25lookback_scan_determinismE0ELb0ELb0ES3_PKS7_PS7_S7_ZZZN2at6native31launch_logcumsumexp_cuda_kernelERKNSE_10TensorBaseESI_lENKUlvE_clEvENKUlvE2_clEvEUlS7_S7_E_S7_EEDaPvRmT3_T4_T5_mT6_P12ihipStream_tbENKUlT_T0_E_clISt17integral_constantIbLb0EESZ_EEDaSU_SV_EUlSU_E_NS1_11comp_targetILNS1_3genE10ELNS1_11target_archE1200ELNS1_3gpuE4ELNS1_3repE0EEENS1_30default_config_static_selectorELNS0_4arch9wavefront6targetE0EEEvT1_ ; -- Begin function _ZN7rocprim17ROCPRIM_400000_NS6detail17trampoline_kernelINS0_14default_configENS1_20scan_config_selectorIN3c107complexIfEEEEZZNS1_9scan_implILNS1_25lookback_scan_determinismE0ELb0ELb0ES3_PKS7_PS7_S7_ZZZN2at6native31launch_logcumsumexp_cuda_kernelERKNSE_10TensorBaseESI_lENKUlvE_clEvENKUlvE2_clEvEUlS7_S7_E_S7_EEDaPvRmT3_T4_T5_mT6_P12ihipStream_tbENKUlT_T0_E_clISt17integral_constantIbLb0EESZ_EEDaSU_SV_EUlSU_E_NS1_11comp_targetILNS1_3genE10ELNS1_11target_archE1200ELNS1_3gpuE4ELNS1_3repE0EEENS1_30default_config_static_selectorELNS0_4arch9wavefront6targetE0EEEvT1_
	.p2align	8
	.type	_ZN7rocprim17ROCPRIM_400000_NS6detail17trampoline_kernelINS0_14default_configENS1_20scan_config_selectorIN3c107complexIfEEEEZZNS1_9scan_implILNS1_25lookback_scan_determinismE0ELb0ELb0ES3_PKS7_PS7_S7_ZZZN2at6native31launch_logcumsumexp_cuda_kernelERKNSE_10TensorBaseESI_lENKUlvE_clEvENKUlvE2_clEvEUlS7_S7_E_S7_EEDaPvRmT3_T4_T5_mT6_P12ihipStream_tbENKUlT_T0_E_clISt17integral_constantIbLb0EESZ_EEDaSU_SV_EUlSU_E_NS1_11comp_targetILNS1_3genE10ELNS1_11target_archE1200ELNS1_3gpuE4ELNS1_3repE0EEENS1_30default_config_static_selectorELNS0_4arch9wavefront6targetE0EEEvT1_,@function
_ZN7rocprim17ROCPRIM_400000_NS6detail17trampoline_kernelINS0_14default_configENS1_20scan_config_selectorIN3c107complexIfEEEEZZNS1_9scan_implILNS1_25lookback_scan_determinismE0ELb0ELb0ES3_PKS7_PS7_S7_ZZZN2at6native31launch_logcumsumexp_cuda_kernelERKNSE_10TensorBaseESI_lENKUlvE_clEvENKUlvE2_clEvEUlS7_S7_E_S7_EEDaPvRmT3_T4_T5_mT6_P12ihipStream_tbENKUlT_T0_E_clISt17integral_constantIbLb0EESZ_EEDaSU_SV_EUlSU_E_NS1_11comp_targetILNS1_3genE10ELNS1_11target_archE1200ELNS1_3gpuE4ELNS1_3repE0EEENS1_30default_config_static_selectorELNS0_4arch9wavefront6targetE0EEEvT1_: ; @_ZN7rocprim17ROCPRIM_400000_NS6detail17trampoline_kernelINS0_14default_configENS1_20scan_config_selectorIN3c107complexIfEEEEZZNS1_9scan_implILNS1_25lookback_scan_determinismE0ELb0ELb0ES3_PKS7_PS7_S7_ZZZN2at6native31launch_logcumsumexp_cuda_kernelERKNSE_10TensorBaseESI_lENKUlvE_clEvENKUlvE2_clEvEUlS7_S7_E_S7_EEDaPvRmT3_T4_T5_mT6_P12ihipStream_tbENKUlT_T0_E_clISt17integral_constantIbLb0EESZ_EEDaSU_SV_EUlSU_E_NS1_11comp_targetILNS1_3genE10ELNS1_11target_archE1200ELNS1_3gpuE4ELNS1_3repE0EEENS1_30default_config_static_selectorELNS0_4arch9wavefront6targetE0EEEvT1_
; %bb.0:
	.section	.rodata,"a",@progbits
	.p2align	6, 0x0
	.amdhsa_kernel _ZN7rocprim17ROCPRIM_400000_NS6detail17trampoline_kernelINS0_14default_configENS1_20scan_config_selectorIN3c107complexIfEEEEZZNS1_9scan_implILNS1_25lookback_scan_determinismE0ELb0ELb0ES3_PKS7_PS7_S7_ZZZN2at6native31launch_logcumsumexp_cuda_kernelERKNSE_10TensorBaseESI_lENKUlvE_clEvENKUlvE2_clEvEUlS7_S7_E_S7_EEDaPvRmT3_T4_T5_mT6_P12ihipStream_tbENKUlT_T0_E_clISt17integral_constantIbLb0EESZ_EEDaSU_SV_EUlSU_E_NS1_11comp_targetILNS1_3genE10ELNS1_11target_archE1200ELNS1_3gpuE4ELNS1_3repE0EEENS1_30default_config_static_selectorELNS0_4arch9wavefront6targetE0EEEvT1_
		.amdhsa_group_segment_fixed_size 0
		.amdhsa_private_segment_fixed_size 0
		.amdhsa_kernarg_size 104
		.amdhsa_user_sgpr_count 15
		.amdhsa_user_sgpr_dispatch_ptr 0
		.amdhsa_user_sgpr_queue_ptr 0
		.amdhsa_user_sgpr_kernarg_segment_ptr 1
		.amdhsa_user_sgpr_dispatch_id 0
		.amdhsa_user_sgpr_private_segment_size 0
		.amdhsa_wavefront_size32 1
		.amdhsa_uses_dynamic_stack 0
		.amdhsa_enable_private_segment 0
		.amdhsa_system_sgpr_workgroup_id_x 1
		.amdhsa_system_sgpr_workgroup_id_y 0
		.amdhsa_system_sgpr_workgroup_id_z 0
		.amdhsa_system_sgpr_workgroup_info 0
		.amdhsa_system_vgpr_workitem_id 0
		.amdhsa_next_free_vgpr 1
		.amdhsa_next_free_sgpr 1
		.amdhsa_reserve_vcc 0
		.amdhsa_float_round_mode_32 0
		.amdhsa_float_round_mode_16_64 0
		.amdhsa_float_denorm_mode_32 3
		.amdhsa_float_denorm_mode_16_64 3
		.amdhsa_dx10_clamp 1
		.amdhsa_ieee_mode 1
		.amdhsa_fp16_overflow 0
		.amdhsa_workgroup_processor_mode 1
		.amdhsa_memory_ordered 1
		.amdhsa_forward_progress 0
		.amdhsa_shared_vgpr_count 0
		.amdhsa_exception_fp_ieee_invalid_op 0
		.amdhsa_exception_fp_denorm_src 0
		.amdhsa_exception_fp_ieee_div_zero 0
		.amdhsa_exception_fp_ieee_overflow 0
		.amdhsa_exception_fp_ieee_underflow 0
		.amdhsa_exception_fp_ieee_inexact 0
		.amdhsa_exception_int_div_zero 0
	.end_amdhsa_kernel
	.section	.text._ZN7rocprim17ROCPRIM_400000_NS6detail17trampoline_kernelINS0_14default_configENS1_20scan_config_selectorIN3c107complexIfEEEEZZNS1_9scan_implILNS1_25lookback_scan_determinismE0ELb0ELb0ES3_PKS7_PS7_S7_ZZZN2at6native31launch_logcumsumexp_cuda_kernelERKNSE_10TensorBaseESI_lENKUlvE_clEvENKUlvE2_clEvEUlS7_S7_E_S7_EEDaPvRmT3_T4_T5_mT6_P12ihipStream_tbENKUlT_T0_E_clISt17integral_constantIbLb0EESZ_EEDaSU_SV_EUlSU_E_NS1_11comp_targetILNS1_3genE10ELNS1_11target_archE1200ELNS1_3gpuE4ELNS1_3repE0EEENS1_30default_config_static_selectorELNS0_4arch9wavefront6targetE0EEEvT1_,"axG",@progbits,_ZN7rocprim17ROCPRIM_400000_NS6detail17trampoline_kernelINS0_14default_configENS1_20scan_config_selectorIN3c107complexIfEEEEZZNS1_9scan_implILNS1_25lookback_scan_determinismE0ELb0ELb0ES3_PKS7_PS7_S7_ZZZN2at6native31launch_logcumsumexp_cuda_kernelERKNSE_10TensorBaseESI_lENKUlvE_clEvENKUlvE2_clEvEUlS7_S7_E_S7_EEDaPvRmT3_T4_T5_mT6_P12ihipStream_tbENKUlT_T0_E_clISt17integral_constantIbLb0EESZ_EEDaSU_SV_EUlSU_E_NS1_11comp_targetILNS1_3genE10ELNS1_11target_archE1200ELNS1_3gpuE4ELNS1_3repE0EEENS1_30default_config_static_selectorELNS0_4arch9wavefront6targetE0EEEvT1_,comdat
.Lfunc_end273:
	.size	_ZN7rocprim17ROCPRIM_400000_NS6detail17trampoline_kernelINS0_14default_configENS1_20scan_config_selectorIN3c107complexIfEEEEZZNS1_9scan_implILNS1_25lookback_scan_determinismE0ELb0ELb0ES3_PKS7_PS7_S7_ZZZN2at6native31launch_logcumsumexp_cuda_kernelERKNSE_10TensorBaseESI_lENKUlvE_clEvENKUlvE2_clEvEUlS7_S7_E_S7_EEDaPvRmT3_T4_T5_mT6_P12ihipStream_tbENKUlT_T0_E_clISt17integral_constantIbLb0EESZ_EEDaSU_SV_EUlSU_E_NS1_11comp_targetILNS1_3genE10ELNS1_11target_archE1200ELNS1_3gpuE4ELNS1_3repE0EEENS1_30default_config_static_selectorELNS0_4arch9wavefront6targetE0EEEvT1_, .Lfunc_end273-_ZN7rocprim17ROCPRIM_400000_NS6detail17trampoline_kernelINS0_14default_configENS1_20scan_config_selectorIN3c107complexIfEEEEZZNS1_9scan_implILNS1_25lookback_scan_determinismE0ELb0ELb0ES3_PKS7_PS7_S7_ZZZN2at6native31launch_logcumsumexp_cuda_kernelERKNSE_10TensorBaseESI_lENKUlvE_clEvENKUlvE2_clEvEUlS7_S7_E_S7_EEDaPvRmT3_T4_T5_mT6_P12ihipStream_tbENKUlT_T0_E_clISt17integral_constantIbLb0EESZ_EEDaSU_SV_EUlSU_E_NS1_11comp_targetILNS1_3genE10ELNS1_11target_archE1200ELNS1_3gpuE4ELNS1_3repE0EEENS1_30default_config_static_selectorELNS0_4arch9wavefront6targetE0EEEvT1_
                                        ; -- End function
	.section	.AMDGPU.csdata,"",@progbits
; Kernel info:
; codeLenInByte = 0
; NumSgprs: 0
; NumVgprs: 0
; ScratchSize: 0
; MemoryBound: 0
; FloatMode: 240
; IeeeMode: 1
; LDSByteSize: 0 bytes/workgroup (compile time only)
; SGPRBlocks: 0
; VGPRBlocks: 0
; NumSGPRsForWavesPerEU: 1
; NumVGPRsForWavesPerEU: 1
; Occupancy: 16
; WaveLimiterHint : 0
; COMPUTE_PGM_RSRC2:SCRATCH_EN: 0
; COMPUTE_PGM_RSRC2:USER_SGPR: 15
; COMPUTE_PGM_RSRC2:TRAP_HANDLER: 0
; COMPUTE_PGM_RSRC2:TGID_X_EN: 1
; COMPUTE_PGM_RSRC2:TGID_Y_EN: 0
; COMPUTE_PGM_RSRC2:TGID_Z_EN: 0
; COMPUTE_PGM_RSRC2:TIDIG_COMP_CNT: 0
	.text
	.p2align	2                               ; -- Begin function _ZZZZN2at6native31launch_logcumsumexp_cuda_kernelERKNS_10TensorBaseES3_lENKUlvE_clEvENKUlvE2_clEvENKUlN3c107complexIfEES8_E_clES8_S8_
	.type	_ZZZZN2at6native31launch_logcumsumexp_cuda_kernelERKNS_10TensorBaseES3_lENKUlvE_clEvENKUlvE2_clEvENKUlN3c107complexIfEES8_E_clES8_S8_,@function
_ZZZZN2at6native31launch_logcumsumexp_cuda_kernelERKNS_10TensorBaseES3_lENKUlvE_clEvENKUlvE2_clEvENKUlN3c107complexIfEES8_E_clES8_S8_: ; @_ZZZZN2at6native31launch_logcumsumexp_cuda_kernelERKNS_10TensorBaseES3_lENKUlvE_clEvENKUlvE2_clEvENKUlN3c107complexIfEES8_E_clES8_S8_
; %bb.0:
	s_waitcnt vmcnt(0) expcnt(0) lgkmcnt(0)
	v_cmp_o_f32_e32 vcc_lo, v2, v2
	v_cmp_o_f32_e64 s0, v3, v3
	v_dual_mov_b32 v4, v3 :: v_dual_mov_b32 v5, v2
	s_delay_alu instid0(VALU_DEP_2) | instskip(NEXT) | instid1(SALU_CYCLE_1)
	s_and_b32 s2, vcc_lo, s0
	s_and_saveexec_b32 s3, s2
; %bb.1:
	v_cmp_u_f32_e32 vcc_lo, v0, v0
	v_cmp_u_f32_e64 s0, v1, v1
	v_cmp_lt_f32_e64 s1, v0, v2
	s_delay_alu instid0(VALU_DEP_2)
	s_or_b32 s0, vcc_lo, s0
	s_delay_alu instid0(VALU_DEP_1) | instid1(SALU_CYCLE_1)
	s_or_b32 vcc_lo, s0, s1
	v_dual_cndmask_b32 v4, v3, v1 :: v_dual_cndmask_b32 v5, v2, v0
; %bb.2:
	s_or_b32 exec_lo, exec_lo, s3
	s_and_saveexec_b32 s3, s2
; %bb.3:
	v_cmp_u_f32_e32 vcc_lo, v0, v0
	v_cmp_u_f32_e64 s0, v1, v1
	v_cmp_ge_f32_e64 s1, v0, v2
	s_delay_alu instid0(VALU_DEP_2)
	s_or_b32 s0, vcc_lo, s0
	s_delay_alu instid0(VALU_DEP_1) | instid1(SALU_CYCLE_1)
	s_or_b32 vcc_lo, s0, s1
	v_dual_cndmask_b32 v3, v3, v1 :: v_dual_cndmask_b32 v2, v2, v0
; %bb.4:
	s_or_b32 exec_lo, exec_lo, s3
	v_cmp_o_f32_e32 vcc_lo, v5, v5
	v_cmp_o_f32_e64 s0, v4, v4
	v_dual_mov_b32 v0, 0x7fc00000 :: v_dual_mov_b32 v1, 0x7fc00000
	s_delay_alu instid0(VALU_DEP_2) | instskip(NEXT) | instid1(SALU_CYCLE_1)
	s_and_b32 s0, vcc_lo, s0
	s_and_saveexec_b32 s3, s0
	s_cbranch_execz .LBB274_48
; %bb.5:
	v_cmp_class_f32_e64 s0, v5, 0x1f8
	v_cmp_neq_f32_e32 vcc_lo, v2, v5
	s_delay_alu instid0(VALU_DEP_2) | instskip(NEXT) | instid1(SALU_CYCLE_1)
	s_or_b32 s0, s0, vcc_lo
	s_and_saveexec_b32 s1, s0
	s_delay_alu instid0(SALU_CYCLE_1)
	s_xor_b32 s4, exec_lo, s1
	s_cbranch_execz .LBB274_21
; %bb.6:
	v_sub_f32_e32 v0, v4, v3
                                        ; implicit-def: $vgpr6
                                        ; implicit-def: $vgpr4
	s_delay_alu instid0(VALU_DEP_1) | instskip(SKIP_1) | instid1(VALU_DEP_2)
	v_and_b32_e32 v1, 0x7fffffff, v0
	v_cmp_ngt_f32_e64 s5, 0x48000000, |v0|
	v_lshrrev_b32_e32 v7, 23, v1
	s_delay_alu instid0(VALU_DEP_2) | instskip(NEXT) | instid1(SALU_CYCLE_1)
	s_and_saveexec_b32 s0, s5
	s_xor_b32 s6, exec_lo, s0
	s_cbranch_execz .LBB274_8
; %bb.7:
	s_mov_b32 s0, 0x7fffff
	v_mov_b32_e32 v10, 0
	v_and_or_b32 v4, v1, s0, 0x800000
	v_add_nc_u32_e32 v6, 0xffffff88, v7
	s_delay_alu instid0(VALU_DEP_2) | instskip(NEXT) | instid1(VALU_DEP_2)
	v_mad_u64_u32 v[8:9], null, 0xfe5163ab, v4, 0
	v_cmp_lt_u32_e32 vcc_lo, 63, v6
	v_cndmask_b32_e64 v16, 0, 0xffffffc0, vcc_lo
	s_delay_alu instid0(VALU_DEP_3) | instskip(NEXT) | instid1(VALU_DEP_2)
	v_mad_u64_u32 v[11:12], null, 0x3c439041, v4, v[9:10]
	v_add_nc_u32_e32 v6, v16, v6
	s_delay_alu instid0(VALU_DEP_2) | instskip(NEXT) | instid1(VALU_DEP_2)
	v_mov_b32_e32 v9, v12
	v_cmp_lt_u32_e64 s0, 31, v6
	s_delay_alu instid0(VALU_DEP_2) | instskip(NEXT) | instid1(VALU_DEP_2)
	v_mad_u64_u32 v[12:13], null, 0xdb629599, v4, v[9:10]
	v_cndmask_b32_e64 v17, 0, 0xffffffe0, s0
	s_delay_alu instid0(VALU_DEP_1) | instskip(NEXT) | instid1(VALU_DEP_3)
	v_add_nc_u32_e32 v6, v17, v6
	v_dual_mov_b32 v9, v13 :: v_dual_cndmask_b32 v8, v12, v8
	s_delay_alu instid0(VALU_DEP_2) | instskip(NEXT) | instid1(VALU_DEP_2)
	v_cmp_lt_u32_e64 s1, 31, v6
	v_mad_u64_u32 v[13:14], null, 0xf534ddc0, v4, v[9:10]
	s_delay_alu instid0(VALU_DEP_1) | instskip(NEXT) | instid1(VALU_DEP_1)
	v_mov_b32_e32 v9, v14
	v_mad_u64_u32 v[14:15], null, 0xfc2757d1, v4, v[9:10]
	s_delay_alu instid0(VALU_DEP_1) | instskip(NEXT) | instid1(VALU_DEP_1)
	v_mov_b32_e32 v9, v15
	;; [unrolled: 3-line block ×3, first 2 shown]
	v_mad_u64_u32 v[16:17], null, 0xa2f9836e, v4, v[9:10]
	v_cndmask_b32_e64 v4, 0, 0xffffffe0, s1
	s_delay_alu instid0(VALU_DEP_1) | instskip(NEXT) | instid1(VALU_DEP_3)
	v_dual_cndmask_b32 v9, v15, v13 :: v_dual_add_nc_u32 v4, v4, v6
	v_dual_cndmask_b32 v10, v16, v14 :: v_dual_cndmask_b32 v15, v17, v15
	v_cndmask_b32_e32 v14, v14, v12, vcc_lo
	v_cndmask_b32_e32 v6, v13, v11, vcc_lo
	s_delay_alu instid0(VALU_DEP_4) | instskip(NEXT) | instid1(VALU_DEP_4)
	v_sub_nc_u32_e32 v13, 32, v4
	v_cndmask_b32_e64 v11, v10, v9, s0
	v_cndmask_b32_e64 v10, v15, v10, s0
	v_cndmask_b32_e64 v9, v9, v14, s0
	v_cndmask_b32_e64 v14, v14, v6, s0
	v_cmp_eq_u32_e64 s2, 0, v4
	v_cndmask_b32_e64 v6, v6, v8, s0
	v_cndmask_b32_e64 v10, v10, v11, s1
	;; [unrolled: 1-line block ×4, first 2 shown]
	s_delay_alu instid0(VALU_DEP_4) | instskip(NEXT) | instid1(VALU_DEP_3)
	v_cndmask_b32_e64 v6, v14, v6, s1
	v_alignbit_b32 v15, v10, v11, v13
	s_delay_alu instid0(VALU_DEP_3) | instskip(NEXT) | instid1(VALU_DEP_3)
	v_alignbit_b32 v16, v11, v9, v13
	v_alignbit_b32 v13, v9, v6, v13
	s_delay_alu instid0(VALU_DEP_3) | instskip(NEXT) | instid1(VALU_DEP_3)
	v_cndmask_b32_e64 v4, v15, v10, s2
	v_cndmask_b32_e64 v10, v16, v11, s2
	s_delay_alu instid0(VALU_DEP_3) | instskip(NEXT) | instid1(VALU_DEP_3)
	v_cndmask_b32_e64 v9, v13, v9, s2
	v_bfe_u32 v11, v4, 29, 1
	s_delay_alu instid0(VALU_DEP_3) | instskip(NEXT) | instid1(VALU_DEP_3)
	v_alignbit_b32 v8, v4, v10, 30
	v_alignbit_b32 v10, v10, v9, 30
	;; [unrolled: 1-line block ×3, first 2 shown]
	s_delay_alu instid0(VALU_DEP_4) | instskip(NEXT) | instid1(VALU_DEP_1)
	v_sub_nc_u32_e32 v12, 0, v11
	v_xor_b32_e32 v14, v8, v12
	v_cmp_ne_u32_e32 vcc_lo, v8, v12
	v_xor_b32_e32 v9, v10, v12
	v_xor_b32_e32 v6, v6, v12
	s_delay_alu instid0(VALU_DEP_4) | instskip(NEXT) | instid1(VALU_DEP_1)
	v_clz_i32_u32_e32 v15, v14
	v_add_nc_u32_e32 v13, 1, v15
	s_delay_alu instid0(VALU_DEP_1) | instskip(NEXT) | instid1(VALU_DEP_1)
	v_cndmask_b32_e32 v8, 33, v13, vcc_lo
	v_sub_nc_u32_e32 v10, 32, v8
	s_delay_alu instid0(VALU_DEP_1) | instskip(SKIP_2) | instid1(VALU_DEP_2)
	v_alignbit_b32 v12, v14, v9, v10
	v_alignbit_b32 v6, v9, v6, v10
	v_lshrrev_b32_e32 v9, 29, v4
	v_alignbit_b32 v10, v12, v6, 9
	s_delay_alu instid0(VALU_DEP_2) | instskip(SKIP_1) | instid1(VALU_DEP_3)
	v_lshlrev_b32_e32 v9, 31, v9
	v_alignbit_b32 v12, v8, v12, 9
	v_clz_i32_u32_e32 v13, v10
	s_delay_alu instid0(VALU_DEP_2) | instskip(SKIP_1) | instid1(VALU_DEP_3)
	v_or_b32_e32 v12, v12, v9
	v_or_b32_e32 v9, 0x33800000, v9
	v_min_u32_e32 v13, 32, v13
	s_delay_alu instid0(VALU_DEP_3) | instskip(NEXT) | instid1(VALU_DEP_2)
	v_xor_b32_e32 v12, 1.0, v12
	v_sub_nc_u32_e32 v14, 31, v13
	v_add_lshl_u32 v8, v13, v8, 23
	s_delay_alu instid0(VALU_DEP_3) | instskip(NEXT) | instid1(VALU_DEP_3)
	v_mul_f32_e32 v13, 0x3fc90fda, v12
	v_alignbit_b32 v6, v10, v6, v14
	s_delay_alu instid0(VALU_DEP_3) | instskip(NEXT) | instid1(VALU_DEP_3)
	v_sub_nc_u32_e32 v8, v9, v8
	v_fma_f32 v9, 0x3fc90fda, v12, -v13
	s_delay_alu instid0(VALU_DEP_3) | instskip(NEXT) | instid1(VALU_DEP_2)
	v_lshrrev_b32_e32 v6, 9, v6
	v_fmamk_f32 v9, v12, 0x33a22168, v9
	s_delay_alu instid0(VALU_DEP_2) | instskip(NEXT) | instid1(VALU_DEP_1)
	v_or_b32_e32 v6, v8, v6
	v_fmac_f32_e32 v9, 0x3fc90fda, v6
	v_lshrrev_b32_e32 v6, 30, v4
	s_delay_alu instid0(VALU_DEP_2) | instskip(NEXT) | instid1(VALU_DEP_2)
	v_add_f32_e32 v4, v13, v9
	v_add_nc_u32_e32 v6, v11, v6
	s_or_saveexec_b32 s0, s6
	v_mul_f32_e64 v10, 0x3f22f983, |v0|
	s_xor_b32 exec_lo, exec_lo, s0
	s_branch .LBB274_9
.LBB274_8:
	s_or_saveexec_b32 s0, s6
	v_mul_f32_e64 v10, 0x3f22f983, |v0|
	s_xor_b32 exec_lo, exec_lo, s0
.LBB274_9:
	s_delay_alu instid0(VALU_DEP_1) | instskip(NEXT) | instid1(VALU_DEP_1)
	v_rndne_f32_e32 v6, v10
	v_fma_f32 v4, 0xbfc90fda, v6, |v0|
	s_delay_alu instid0(VALU_DEP_1) | instskip(NEXT) | instid1(VALU_DEP_1)
	v_fmamk_f32 v4, v6, 0xb3a22168, v4
	v_fmamk_f32 v4, v6, 0xa7c234c4, v4
	v_cvt_i32_f32_e32 v6, v6
; %bb.10:
	s_or_b32 exec_lo, exec_lo, s0
                                        ; implicit-def: $vgpr9
                                        ; implicit-def: $vgpr8
	s_and_saveexec_b32 s0, s5
	s_delay_alu instid0(SALU_CYCLE_1)
	s_xor_b32 s5, exec_lo, s0
	s_cbranch_execz .LBB274_12
; %bb.11:
	s_mov_b32 s0, 0x7fffff
	v_mov_b32_e32 v10, 0
	v_and_or_b32 v18, v1, s0, 0x800000
	s_delay_alu instid0(VALU_DEP_1) | instskip(NEXT) | instid1(VALU_DEP_1)
	v_mad_u64_u32 v[8:9], null, 0xfe5163ab, v18, 0
	v_mad_u64_u32 v[11:12], null, 0x3c439041, v18, v[9:10]
	s_delay_alu instid0(VALU_DEP_1) | instskip(NEXT) | instid1(VALU_DEP_1)
	v_mov_b32_e32 v9, v12
	v_mad_u64_u32 v[12:13], null, 0xdb629599, v18, v[9:10]
	v_add_nc_u32_e32 v7, 0xffffff88, v7
	s_delay_alu instid0(VALU_DEP_1) | instskip(NEXT) | instid1(VALU_DEP_3)
	v_cmp_lt_u32_e32 vcc_lo, 63, v7
	v_mov_b32_e32 v9, v13
	v_cndmask_b32_e64 v16, 0, 0xffffffc0, vcc_lo
	s_delay_alu instid0(VALU_DEP_2) | instskip(SKIP_1) | instid1(VALU_DEP_3)
	v_mad_u64_u32 v[13:14], null, 0xf534ddc0, v18, v[9:10]
	v_cndmask_b32_e32 v8, v12, v8, vcc_lo
	v_add_nc_u32_e32 v7, v16, v7
	s_delay_alu instid0(VALU_DEP_3) | instskip(NEXT) | instid1(VALU_DEP_2)
	v_mov_b32_e32 v9, v14
	v_cmp_lt_u32_e64 s0, 31, v7
	s_delay_alu instid0(VALU_DEP_2) | instskip(NEXT) | instid1(VALU_DEP_2)
	v_mad_u64_u32 v[14:15], null, 0xfc2757d1, v18, v[9:10]
	v_cndmask_b32_e64 v17, 0, 0xffffffe0, s0
	s_delay_alu instid0(VALU_DEP_1) | instskip(NEXT) | instid1(VALU_DEP_3)
	v_add_nc_u32_e32 v7, v17, v7
	v_mov_b32_e32 v9, v15
	s_delay_alu instid0(VALU_DEP_2) | instskip(NEXT) | instid1(VALU_DEP_2)
	v_cmp_lt_u32_e64 s1, 31, v7
	v_mad_u64_u32 v[15:16], null, 0x4e441529, v18, v[9:10]
	s_delay_alu instid0(VALU_DEP_1) | instskip(NEXT) | instid1(VALU_DEP_1)
	v_mov_b32_e32 v9, v16
	v_mad_u64_u32 v[16:17], null, 0xa2f9836e, v18, v[9:10]
	s_delay_alu instid0(VALU_DEP_4) | instskip(NEXT) | instid1(VALU_DEP_1)
	v_cndmask_b32_e64 v9, 0, 0xffffffe0, s1
	v_dual_cndmask_b32 v10, v15, v13 :: v_dual_add_nc_u32 v7, v9, v7
	s_delay_alu instid0(VALU_DEP_3) | instskip(SKIP_1) | instid1(VALU_DEP_3)
	v_dual_cndmask_b32 v16, v16, v14 :: v_dual_cndmask_b32 v15, v17, v15
	v_dual_cndmask_b32 v14, v14, v12 :: v_dual_cndmask_b32 v9, v13, v11
	v_cmp_eq_u32_e64 s2, 0, v7
	s_delay_alu instid0(VALU_DEP_3) | instskip(NEXT) | instid1(VALU_DEP_4)
	v_cndmask_b32_e64 v11, v16, v10, s0
	v_cndmask_b32_e64 v13, v15, v16, s0
	s_delay_alu instid0(VALU_DEP_4)
	v_cndmask_b32_e64 v10, v10, v14, s0
	v_sub_nc_u32_e32 v15, 32, v7
	v_cndmask_b32_e64 v14, v14, v9, s0
	v_cndmask_b32_e64 v8, v9, v8, s0
	;; [unrolled: 1-line block ×4, first 2 shown]
	s_delay_alu instid0(VALU_DEP_4) | instskip(NEXT) | instid1(VALU_DEP_4)
	v_cndmask_b32_e64 v10, v10, v14, s1
	v_cndmask_b32_e64 v8, v14, v8, s1
	s_delay_alu instid0(VALU_DEP_3) | instskip(NEXT) | instid1(VALU_DEP_3)
	v_alignbit_b32 v16, v13, v11, v15
	v_alignbit_b32 v17, v11, v10, v15
	s_delay_alu instid0(VALU_DEP_3) | instskip(NEXT) | instid1(VALU_DEP_3)
	v_alignbit_b32 v15, v10, v8, v15
	v_cndmask_b32_e64 v7, v16, v13, s2
	s_delay_alu instid0(VALU_DEP_3) | instskip(NEXT) | instid1(VALU_DEP_3)
	v_cndmask_b32_e64 v11, v17, v11, s2
	v_cndmask_b32_e64 v10, v15, v10, s2
	s_delay_alu instid0(VALU_DEP_3) | instskip(NEXT) | instid1(VALU_DEP_3)
	v_bfe_u32 v12, v7, 29, 1
	v_alignbit_b32 v9, v7, v11, 30
	s_delay_alu instid0(VALU_DEP_3) | instskip(SKIP_1) | instid1(VALU_DEP_4)
	v_alignbit_b32 v11, v11, v10, 30
	v_alignbit_b32 v8, v10, v8, 30
	v_sub_nc_u32_e32 v13, 0, v12
	s_delay_alu instid0(VALU_DEP_1) | instskip(SKIP_3) | instid1(VALU_DEP_4)
	v_xor_b32_e32 v14, v9, v13
	v_cmp_ne_u32_e32 vcc_lo, v9, v13
	v_xor_b32_e32 v10, v11, v13
	v_xor_b32_e32 v8, v8, v13
	v_clz_i32_u32_e32 v16, v14
	s_delay_alu instid0(VALU_DEP_1) | instskip(NEXT) | instid1(VALU_DEP_1)
	v_add_nc_u32_e32 v15, 1, v16
	v_cndmask_b32_e32 v9, 33, v15, vcc_lo
	s_delay_alu instid0(VALU_DEP_1) | instskip(NEXT) | instid1(VALU_DEP_1)
	v_sub_nc_u32_e32 v11, 32, v9
	v_alignbit_b32 v13, v14, v10, v11
	v_alignbit_b32 v8, v10, v8, v11
	v_lshrrev_b32_e32 v10, 29, v7
	v_lshrrev_b32_e32 v7, 30, v7
	s_delay_alu instid0(VALU_DEP_3) | instskip(NEXT) | instid1(VALU_DEP_3)
	v_alignbit_b32 v11, v13, v8, 9
	v_lshlrev_b32_e32 v10, 31, v10
	v_alignbit_b32 v13, v9, v13, 9
	s_delay_alu instid0(VALU_DEP_3) | instskip(NEXT) | instid1(VALU_DEP_2)
	v_clz_i32_u32_e32 v14, v11
	v_or_b32_e32 v13, v13, v10
	v_or_b32_e32 v10, 0x33800000, v10
	s_delay_alu instid0(VALU_DEP_3) | instskip(NEXT) | instid1(VALU_DEP_3)
	v_min_u32_e32 v14, 32, v14
	v_xor_b32_e32 v13, 1.0, v13
	s_delay_alu instid0(VALU_DEP_2) | instskip(SKIP_1) | instid1(VALU_DEP_3)
	v_sub_nc_u32_e32 v15, 31, v14
	v_add_lshl_u32 v9, v14, v9, 23
	v_mul_f32_e32 v14, 0x3fc90fda, v13
	s_delay_alu instid0(VALU_DEP_3) | instskip(NEXT) | instid1(VALU_DEP_3)
	v_alignbit_b32 v8, v11, v8, v15
	v_sub_nc_u32_e32 v9, v10, v9
	s_delay_alu instid0(VALU_DEP_3) | instskip(NEXT) | instid1(VALU_DEP_3)
	v_fma_f32 v10, 0x3fc90fda, v13, -v14
	v_lshrrev_b32_e32 v8, 9, v8
	s_delay_alu instid0(VALU_DEP_2) | instskip(NEXT) | instid1(VALU_DEP_2)
	v_fmamk_f32 v10, v13, 0x33a22168, v10
	v_or_b32_e32 v8, v9, v8
	s_delay_alu instid0(VALU_DEP_1) | instskip(NEXT) | instid1(VALU_DEP_1)
	v_dual_fmac_f32 v10, 0x3fc90fda, v8 :: v_dual_add_nc_u32 v9, v12, v7
	v_add_f32_e32 v8, v14, v10
                                        ; implicit-def: $vgpr10
	s_and_not1_saveexec_b32 s0, s5
	s_cbranch_execnz .LBB274_13
	s_branch .LBB274_14
.LBB274_12:
	s_and_not1_saveexec_b32 s0, s5
.LBB274_13:
	v_rndne_f32_e32 v7, v10
	s_delay_alu instid0(VALU_DEP_1) | instskip(SKIP_1) | instid1(VALU_DEP_2)
	v_fma_f32 v8, 0xbfc90fda, v7, |v0|
	v_cvt_i32_f32_e32 v9, v7
	v_fmamk_f32 v8, v7, 0xb3a22168, v8
	s_delay_alu instid0(VALU_DEP_1)
	v_fmamk_f32 v8, v7, 0xa7c234c4, v8
.LBB274_14:
	s_or_b32 exec_lo, exec_lo, s0
	s_delay_alu instid0(VALU_DEP_1) | instskip(SKIP_2) | instid1(VALU_DEP_3)
	v_dual_sub_f32 v5, v5, v2 :: v_dual_mul_f32 v12, v8, v8
	v_lshlrev_b32_e32 v7, 30, v6
	v_dual_mul_f32 v11, v4, v4 :: v_dual_and_b32 v6, 1, v6
	v_mul_f32_e32 v10, 0x3fb8aa3b, v5
	s_mov_b32 s0, 0x37d75334
	s_mov_b32 s1, 0xb94c1982
	s_delay_alu instid0(VALU_DEP_2)
	v_cmp_eq_u32_e32 vcc_lo, 0, v6
	v_dual_fmaak_f32 v17, s1, v11, 0x3c0881c4 :: v_dual_fmaak_f32 v18, s1, v12, 0x3c0881c4
	v_fma_f32 v13, 0x3fb8aa3b, v5, -v10
	v_rndne_f32_e32 v14, v10
	v_and_b32_e32 v15, 1, v9
	v_dual_fmaak_f32 v16, s0, v11, 0xbab64f3b :: v_dual_lshlrev_b32 v9, 30, v9
	s_delay_alu instid0(VALU_DEP_3) | instskip(SKIP_3) | instid1(VALU_DEP_4)
	v_dual_fmamk_f32 v13, v5, 0x32a5705f, v13 :: v_dual_sub_f32 v10, v10, v14
	v_and_b32_e32 v7, 0x80000000, v7
	v_cvt_i32_f32_e32 v14, v14
	v_xor_b32_e32 v1, v1, v0
	v_dual_add_f32 v10, v10, v13 :: v_dual_fmaak_f32 v13, v11, v16, 0x3d2aabf7
	v_dual_fmaak_f32 v16, v11, v17, 0xbe2aaa9d :: v_dual_fmaak_f32 v17, v12, v18, 0xbe2aaa9d
	s_delay_alu instid0(VALU_DEP_2) | instskip(NEXT) | instid1(VALU_DEP_1)
	v_exp_f32_e32 v10, v10
	v_dual_mul_f32 v16, v11, v16 :: v_dual_mul_f32 v17, v12, v17
	v_fmaak_f32 v19, s0, v12, 0xbab64f3b
	v_cmp_nlt_f32_e64 s0, 0x42b17218, v5
	s_delay_alu instid0(VALU_DEP_3) | instskip(NEXT) | instid1(VALU_DEP_3)
	v_fmac_f32_e32 v8, v8, v17
	v_fmaak_f32 v18, v12, v19, 0x3d2aabf7
	v_fmaak_f32 v13, v11, v13, 0xbf000004
	s_delay_alu instid0(TRANS32_DEP_1) | instskip(SKIP_1) | instid1(VALU_DEP_4)
	v_ldexp_f32 v10, v10, v14
	v_fmac_f32_e32 v4, v4, v16
	v_fmaak_f32 v18, v12, v18, 0xbf000004
	s_delay_alu instid0(VALU_DEP_4) | instskip(NEXT) | instid1(VALU_DEP_2)
	v_fma_f32 v11, v11, v13, 1.0
	v_fma_f32 v12, v12, v18, 1.0
	s_delay_alu instid0(VALU_DEP_2) | instskip(SKIP_1) | instid1(VALU_DEP_2)
	v_cndmask_b32_e64 v4, -v4, v11, vcc_lo
	v_cmp_eq_u32_e32 vcc_lo, 0, v15
	v_xor_b32_e32 v4, v7, v4
	s_delay_alu instid0(VALU_DEP_4) | instskip(SKIP_4) | instid1(VALU_DEP_4)
	v_cndmask_b32_e32 v6, v12, v8, vcc_lo
	v_and_b32_e32 v8, 0x80000000, v9
	v_cmp_ngt_f32_e32 vcc_lo, 0xc2ce8ed0, v5
	v_cndmask_b32_e32 v9, 0, v10, vcc_lo
	v_cmp_class_f32_e64 vcc_lo, v0, 0x1f8
	v_xor3_b32 v0, v1, v8, v6
	s_delay_alu instid0(VALU_DEP_3) | instskip(SKIP_1) | instid1(VALU_DEP_3)
	v_cndmask_b32_e64 v1, 0x7f800000, v9, s0
	v_cndmask_b32_e32 v7, 0x7fc00000, v4, vcc_lo
	v_cndmask_b32_e32 v0, 0x7fc00000, v0, vcc_lo
	s_delay_alu instid0(VALU_DEP_2) | instskip(NEXT) | instid1(VALU_DEP_2)
	v_mul_f32_e32 v6, v1, v7
	v_mul_f32_e32 v0, v1, v0
	v_fma_f32 v1, v1, v7, 1.0
	s_delay_alu instid0(VALU_DEP_2) | instskip(NEXT) | instid1(VALU_DEP_1)
	v_max_f32_e64 v8, |v6|, |v0|
	v_cvt_f64_f32_e32 v[4:5], v8
	v_cmp_eq_f32_e32 vcc_lo, 0x7f800000, v8
	s_delay_alu instid0(VALU_DEP_2) | instskip(NEXT) | instid1(VALU_DEP_1)
	v_frexp_exp_i32_f64_e32 v4, v[4:5]
	v_sub_nc_u32_e32 v5, 0, v4
	s_delay_alu instid0(VALU_DEP_1) | instskip(SKIP_1) | instid1(VALU_DEP_2)
	v_ldexp_f32 v9, |v0|, v5
	v_ldexp_f32 v5, |v6|, v5
	v_mul_f32_e32 v9, v9, v9
	s_delay_alu instid0(VALU_DEP_1) | instskip(NEXT) | instid1(VALU_DEP_1)
	v_fmac_f32_e32 v9, v5, v5
	v_sqrt_f32_e32 v5, v9
	s_waitcnt_depctr 0xfff
	v_ldexp_f32 v4, v5, v4
	s_delay_alu instid0(VALU_DEP_1) | instskip(SKIP_1) | instid1(VALU_DEP_2)
	v_cmp_ngt_f32_e64 s0, 0.5, v4
	v_max_f32_e64 v4, |v1|, |v0|
	s_or_b32 s0, vcc_lo, s0
	s_delay_alu instid0(SALU_CYCLE_1) | instskip(NEXT) | instid1(SALU_CYCLE_1)
	s_and_saveexec_b32 s1, s0
	s_xor_b32 s1, exec_lo, s1
	s_cbranch_execz .LBB274_16
; %bb.15:
	v_cvt_f64_f32_e32 v[5:6], v4
	v_cmp_neq_f32_e32 vcc_lo, 0x7f800000, v4
	s_delay_alu instid0(VALU_DEP_2) | instskip(NEXT) | instid1(VALU_DEP_1)
	v_frexp_exp_i32_f64_e32 v5, v[5:6]
	v_sub_nc_u32_e32 v6, 0, v5
	s_delay_alu instid0(VALU_DEP_1) | instskip(SKIP_1) | instid1(VALU_DEP_2)
	v_ldexp_f32 v7, |v0|, v6
	v_ldexp_f32 v6, |v1|, v6
	v_mul_f32_e32 v7, v7, v7
	s_delay_alu instid0(VALU_DEP_1) | instskip(NEXT) | instid1(VALU_DEP_1)
	v_fmac_f32_e32 v7, v6, v6
	v_sqrt_f32_e32 v6, v7
	s_waitcnt_depctr 0xfff
	v_ldexp_f32 v5, v6, v5
	s_delay_alu instid0(VALU_DEP_1) | instskip(NEXT) | instid1(VALU_DEP_1)
	v_cndmask_b32_e32 v5, 0x7f800000, v5, vcc_lo
	v_cmp_gt_f32_e32 vcc_lo, 0x800000, v5
	v_cndmask_b32_e64 v6, 1.0, 0x4f800000, vcc_lo
	s_delay_alu instid0(VALU_DEP_1) | instskip(NEXT) | instid1(VALU_DEP_1)
	v_mul_f32_e32 v5, v5, v6
	v_log_f32_e32 v5, v5
	s_waitcnt_depctr 0xfff
	v_mul_f32_e32 v6, 0x3f317217, v5
	v_cmp_gt_f32_e64 s0, 0x7f800000, |v5|
	s_delay_alu instid0(VALU_DEP_2) | instskip(NEXT) | instid1(VALU_DEP_1)
	v_fma_f32 v7, 0x3f317217, v5, -v6
	v_fmamk_f32 v7, v5, 0x3377d1cf, v7
	s_delay_alu instid0(VALU_DEP_1) | instskip(NEXT) | instid1(VALU_DEP_1)
	v_add_f32_e32 v6, v6, v7
	v_cndmask_b32_e64 v5, v5, v6, s0
	v_cndmask_b32_e64 v6, 0, 0x41b17218, vcc_lo
	s_delay_alu instid0(VALU_DEP_1)
	v_sub_f32_e32 v6, v5, v6
.LBB274_16:
	s_and_not1_saveexec_b32 s0, s1
	s_cbranch_execz .LBB274_20
; %bb.17:
	s_delay_alu instid0(VALU_DEP_1) | instskip(SKIP_2) | instid1(VALU_DEP_1)
	v_add_f32_e32 v7, 2.0, v6
	v_mul_f32_e32 v5, v0, v0
	s_mov_b32 s1, exec_lo
	v_fmac_f32_e32 v5, v6, v7
	s_delay_alu instid0(VALU_DEP_1)
	v_cmpx_neq_f32_e32 0, v5
	s_cbranch_execz .LBB274_19
; %bb.18:
	v_add_f32_e32 v8, 1.0, v5
	s_mov_b32 s2, 0x3e9b6dac
	s_delay_alu instid0(VALU_DEP_1) | instskip(NEXT) | instid1(VALU_DEP_1)
	v_cvt_f64_f32_e32 v[6:7], v8
	v_frexp_exp_i32_f64_e32 v6, v[6:7]
	v_frexp_mant_f32_e32 v7, v8
	s_delay_alu instid0(VALU_DEP_1) | instskip(SKIP_1) | instid1(VALU_DEP_1)
	v_cmp_gt_f32_e32 vcc_lo, 0x3f2aaaab, v7
	v_add_f32_e32 v7, -1.0, v8
	v_sub_f32_e32 v10, v7, v8
	s_delay_alu instid0(VALU_DEP_1) | instskip(SKIP_2) | instid1(VALU_DEP_2)
	v_dual_add_f32 v10, 1.0, v10 :: v_dual_sub_f32 v7, v5, v7
	v_subrev_co_ci_u32_e32 v6, vcc_lo, 0, v6, vcc_lo
	v_cmp_eq_f32_e32 vcc_lo, 0x7f800000, v5
	v_sub_nc_u32_e32 v9, 0, v6
	v_cvt_f32_i32_e32 v6, v6
	s_delay_alu instid0(VALU_DEP_2) | instskip(NEXT) | instid1(VALU_DEP_1)
	v_ldexp_f32 v8, v8, v9
	v_add_f32_e32 v11, 1.0, v8
	s_delay_alu instid0(VALU_DEP_1) | instskip(NEXT) | instid1(VALU_DEP_1)
	v_dual_add_f32 v7, v7, v10 :: v_dual_add_f32 v10, -1.0, v11
	v_ldexp_f32 v7, v7, v9
	s_delay_alu instid0(VALU_DEP_2) | instskip(NEXT) | instid1(VALU_DEP_1)
	v_dual_sub_f32 v10, v8, v10 :: v_dual_add_f32 v9, -1.0, v8
	v_add_f32_e32 v10, v7, v10
	s_delay_alu instid0(VALU_DEP_2) | instskip(NEXT) | instid1(VALU_DEP_1)
	v_add_f32_e32 v12, 1.0, v9
	v_sub_f32_e32 v8, v8, v12
	s_delay_alu instid0(VALU_DEP_1) | instskip(NEXT) | instid1(VALU_DEP_1)
	v_add_f32_e32 v7, v7, v8
	v_dual_add_f32 v13, v9, v7 :: v_dual_add_f32 v12, v11, v10
	s_delay_alu instid0(VALU_DEP_1) | instskip(NEXT) | instid1(VALU_DEP_2)
	v_sub_f32_e32 v9, v13, v9
	v_rcp_f32_e32 v8, v12
	v_sub_f32_e32 v11, v12, v11
	s_delay_alu instid0(VALU_DEP_1) | instskip(SKIP_2) | instid1(VALU_DEP_1)
	v_dual_sub_f32 v7, v7, v9 :: v_dual_sub_f32 v10, v10, v11
	s_waitcnt_depctr 0xfff
	v_mul_f32_e32 v14, v13, v8
	v_mul_f32_e32 v15, v12, v14
	s_delay_alu instid0(VALU_DEP_1) | instskip(NEXT) | instid1(VALU_DEP_1)
	v_fma_f32 v11, v14, v12, -v15
	v_fmac_f32_e32 v11, v14, v10
	s_delay_alu instid0(VALU_DEP_1) | instskip(NEXT) | instid1(VALU_DEP_1)
	v_add_f32_e32 v16, v15, v11
	v_sub_f32_e32 v17, v13, v16
	v_sub_f32_e32 v9, v16, v15
	s_delay_alu instid0(VALU_DEP_2) | instskip(NEXT) | instid1(VALU_DEP_2)
	v_sub_f32_e32 v13, v13, v17
	v_sub_f32_e32 v9, v9, v11
	s_delay_alu instid0(VALU_DEP_2) | instskip(NEXT) | instid1(VALU_DEP_1)
	v_sub_f32_e32 v13, v13, v16
	v_add_f32_e32 v7, v7, v13
	s_delay_alu instid0(VALU_DEP_1) | instskip(NEXT) | instid1(VALU_DEP_1)
	v_add_f32_e32 v7, v9, v7
	v_add_f32_e32 v9, v17, v7
	s_delay_alu instid0(VALU_DEP_1) | instskip(NEXT) | instid1(VALU_DEP_1)
	v_mul_f32_e32 v11, v8, v9
	v_dual_sub_f32 v16, v17, v9 :: v_dual_mul_f32 v13, v12, v11
	s_delay_alu instid0(VALU_DEP_1) | instskip(NEXT) | instid1(VALU_DEP_2)
	v_add_f32_e32 v7, v7, v16
	v_fma_f32 v12, v11, v12, -v13
	s_delay_alu instid0(VALU_DEP_1) | instskip(NEXT) | instid1(VALU_DEP_1)
	v_fmac_f32_e32 v12, v11, v10
	v_add_f32_e32 v10, v13, v12
	s_delay_alu instid0(VALU_DEP_1) | instskip(SKIP_1) | instid1(VALU_DEP_2)
	v_sub_f32_e32 v15, v9, v10
	v_sub_f32_e32 v13, v10, v13
	;; [unrolled: 1-line block ×3, first 2 shown]
	s_delay_alu instid0(VALU_DEP_1) | instskip(NEXT) | instid1(VALU_DEP_1)
	v_sub_f32_e32 v9, v9, v10
	v_dual_sub_f32 v10, v13, v12 :: v_dual_add_f32 v7, v7, v9
	v_add_f32_e32 v9, v14, v11
	s_delay_alu instid0(VALU_DEP_1) | instskip(NEXT) | instid1(VALU_DEP_1)
	v_dual_add_f32 v7, v10, v7 :: v_dual_sub_f32 v10, v9, v14
	v_add_f32_e32 v7, v15, v7
	s_delay_alu instid0(VALU_DEP_1) | instskip(NEXT) | instid1(VALU_DEP_1)
	v_dual_sub_f32 v10, v11, v10 :: v_dual_mul_f32 v7, v8, v7
	v_add_f32_e32 v7, v10, v7
	s_delay_alu instid0(VALU_DEP_1) | instskip(NEXT) | instid1(VALU_DEP_1)
	v_add_f32_e32 v8, v9, v7
	v_mul_f32_e32 v10, v8, v8
	s_delay_alu instid0(VALU_DEP_1) | instskip(SKIP_1) | instid1(VALU_DEP_2)
	v_fmaak_f32 v11, s2, v10, 0x3ecc95a3
	v_mul_f32_e32 v12, v8, v10
	v_fmaak_f32 v10, v10, v11, 0x3f2aaada
	v_ldexp_f32 v11, v8, 1
	v_sub_f32_e32 v8, v8, v9
	s_delay_alu instid0(VALU_DEP_3) | instskip(NEXT) | instid1(VALU_DEP_2)
	v_mul_f32_e32 v10, v12, v10
	v_dual_mul_f32 v12, 0x3f317218, v6 :: v_dual_sub_f32 v7, v7, v8
	s_delay_alu instid0(VALU_DEP_2) | instskip(NEXT) | instid1(VALU_DEP_2)
	v_add_f32_e32 v9, v11, v10
	v_ldexp_f32 v7, v7, 1
	s_delay_alu instid0(VALU_DEP_2) | instskip(NEXT) | instid1(VALU_DEP_4)
	v_sub_f32_e32 v8, v9, v11
	v_fma_f32 v11, 0x3f317218, v6, -v12
	s_delay_alu instid0(VALU_DEP_2) | instskip(NEXT) | instid1(VALU_DEP_1)
	v_sub_f32_e32 v8, v10, v8
	v_dual_fmamk_f32 v6, v6, 0xb102e308, v11 :: v_dual_add_f32 v7, v7, v8
	s_delay_alu instid0(VALU_DEP_1) | instskip(NEXT) | instid1(VALU_DEP_2)
	v_add_f32_e32 v8, v12, v6
	v_add_f32_e32 v10, v9, v7
	s_delay_alu instid0(VALU_DEP_2) | instskip(NEXT) | instid1(VALU_DEP_2)
	v_sub_f32_e32 v12, v8, v12
	v_add_f32_e32 v11, v8, v10
	v_sub_f32_e32 v9, v10, v9
	s_delay_alu instid0(VALU_DEP_3) | instskip(NEXT) | instid1(VALU_DEP_3)
	v_sub_f32_e32 v6, v6, v12
	v_sub_f32_e32 v13, v11, v8
	s_delay_alu instid0(VALU_DEP_3) | instskip(NEXT) | instid1(VALU_DEP_2)
	v_sub_f32_e32 v7, v7, v9
	v_sub_f32_e32 v14, v11, v13
	v_sub_f32_e32 v9, v10, v13
	s_delay_alu instid0(VALU_DEP_3) | instskip(NEXT) | instid1(VALU_DEP_3)
	v_add_f32_e32 v10, v6, v7
	v_sub_f32_e32 v8, v8, v14
	s_delay_alu instid0(VALU_DEP_1) | instskip(NEXT) | instid1(VALU_DEP_1)
	v_dual_add_f32 v8, v9, v8 :: v_dual_sub_f32 v9, v10, v6
	v_add_f32_e32 v8, v10, v8
	s_delay_alu instid0(VALU_DEP_2) | instskip(NEXT) | instid1(VALU_DEP_2)
	v_sub_f32_e32 v10, v10, v9
	v_add_f32_e32 v12, v11, v8
	s_delay_alu instid0(VALU_DEP_2) | instskip(NEXT) | instid1(VALU_DEP_1)
	v_dual_sub_f32 v6, v6, v10 :: v_dual_sub_f32 v7, v7, v9
	v_dual_sub_f32 v9, v12, v11 :: v_dual_add_f32 v6, v7, v6
	s_delay_alu instid0(VALU_DEP_1) | instskip(NEXT) | instid1(VALU_DEP_1)
	v_sub_f32_e32 v7, v8, v9
	v_add_f32_e32 v6, v6, v7
	s_delay_alu instid0(VALU_DEP_1) | instskip(NEXT) | instid1(VALU_DEP_1)
	v_add_f32_e32 v6, v12, v6
	v_cndmask_b32_e32 v6, v6, v5, vcc_lo
	v_cmp_ngt_f32_e32 vcc_lo, -1.0, v5
	s_delay_alu instid0(VALU_DEP_2) | instskip(SKIP_1) | instid1(VALU_DEP_2)
	v_cndmask_b32_e32 v6, 0x7fc00000, v6, vcc_lo
	v_cmp_neq_f32_e32 vcc_lo, -1.0, v5
	v_cndmask_b32_e32 v6, 0xff800000, v6, vcc_lo
	v_cmp_gt_f32_e64 vcc_lo, 0x33800000, |v5|
	s_delay_alu instid0(VALU_DEP_2) | instskip(NEXT) | instid1(VALU_DEP_1)
	v_cndmask_b32_e32 v5, v6, v5, vcc_lo
	v_mul_f32_e32 v6, 0.5, v5
.LBB274_19:
	s_or_b32 exec_lo, exec_lo, s1
.LBB274_20:
	s_delay_alu instid0(SALU_CYCLE_1)
	s_or_b32 exec_lo, exec_lo, s0
	v_max_f32_e64 v5, |v0|, |v0|
	v_max_f32_e64 v7, |v1|, |v1|
	v_frexp_mant_f32_e32 v8, v4
	v_frexp_exp_i32_f32_e32 v4, v4
	s_mov_b32 s0, 0x3b2d2a58
	v_cmp_gt_f32_e64 vcc_lo, |v0|, |v1|
	v_min_f32_e32 v5, v7, v5
	v_rcp_f32_e32 v7, v8
	v_cmp_class_f32_e64 s1, v1, 0x204
	s_delay_alu instid0(VALU_DEP_2) | instskip(SKIP_4) | instid1(VALU_DEP_1)
	v_frexp_mant_f32_e32 v8, v5
	v_frexp_exp_i32_f32_e32 v5, v5
	s_waitcnt_depctr 0xfff
	v_mul_f32_e32 v7, v8, v7
	v_sub_nc_u32_e32 v4, v5, v4
	v_ldexp_f32 v4, v7, v4
	s_delay_alu instid0(VALU_DEP_1) | instskip(NEXT) | instid1(VALU_DEP_1)
	v_mul_f32_e32 v5, v4, v4
	v_fmaak_f32 v7, s0, v5, 0xbc7a590c
	v_cmp_gt_i32_e64 s0, 0, v1
	s_delay_alu instid0(VALU_DEP_2) | instskip(NEXT) | instid1(VALU_DEP_2)
	v_fmaak_f32 v7, v5, v7, 0x3d29fb3f
	v_cndmask_b32_e64 v8, 0, 0x40490fdb, s0
	v_cmp_class_f32_e64 s0, v0, 0x204
	s_delay_alu instid0(VALU_DEP_3) | instskip(NEXT) | instid1(VALU_DEP_1)
	v_fmaak_f32 v7, v5, v7, 0xbd97d4d7
	v_fmaak_f32 v7, v5, v7, 0x3dd931b2
	s_delay_alu instid0(VALU_DEP_1) | instskip(NEXT) | instid1(VALU_DEP_1)
	v_fmaak_f32 v7, v5, v7, 0xbe1160e6
	v_fmaak_f32 v7, v5, v7, 0x3e4cb8bf
	s_delay_alu instid0(VALU_DEP_1) | instskip(NEXT) | instid1(VALU_DEP_1)
	v_fmaak_f32 v7, v5, v7, 0xbeaaaa62
	v_mul_f32_e32 v5, v5, v7
	s_delay_alu instid0(VALU_DEP_1) | instskip(NEXT) | instid1(VALU_DEP_1)
	v_fmac_f32_e32 v4, v4, v5
	v_sub_f32_e32 v5, 0x3fc90fdb, v4
	s_delay_alu instid0(VALU_DEP_1) | instskip(SKIP_1) | instid1(VALU_DEP_2)
	v_dual_cndmask_b32 v4, v4, v5 :: v_dual_mov_b32 v5, 0x4016cbe4
	v_cmp_gt_f32_e32 vcc_lo, 0, v1
	v_sub_f32_e32 v7, 0x40490fdb, v4
	s_delay_alu instid0(VALU_DEP_3) | instskip(NEXT) | instid1(VALU_DEP_2)
	v_cndmask_b32_e32 v5, 0x3f490fdb, v5, vcc_lo
	v_cndmask_b32_e32 v4, v4, v7, vcc_lo
	v_cmp_eq_f32_e32 vcc_lo, 0, v0
	s_delay_alu instid0(VALU_DEP_2) | instskip(SKIP_1) | instid1(VALU_DEP_1)
	v_cndmask_b32_e32 v4, v4, v8, vcc_lo
	s_and_b32 vcc_lo, s1, s0
	v_cndmask_b32_e32 v4, v4, v5, vcc_lo
	v_cmp_o_f32_e32 vcc_lo, v1, v0
	v_add_f32_e32 v5, v2, v6
	s_delay_alu instid0(VALU_DEP_3) | instskip(NEXT) | instid1(VALU_DEP_1)
	v_cndmask_b32_e32 v1, 0x7fc00000, v4, vcc_lo
	v_bfi_b32 v0, 0x7fffffff, v1, v0
	s_delay_alu instid0(VALU_DEP_1)
	v_add_f32_e32 v4, v0, v3
                                        ; implicit-def: $vgpr3
.LBB274_21:
	s_and_not1_saveexec_b32 s4, s4
	s_cbranch_execz .LBB274_47
; %bb.22:
	s_mov_b32 s5, exec_lo
	v_cmpx_ngt_f32_e32 0, v5
	s_cbranch_execz .LBB274_46
; %bb.23:
	v_and_b32_e32 v0, 0x7fffffff, v4
	v_cmp_ngt_f32_e64 s6, 0x48000000, |v4|
                                        ; implicit-def: $vgpr2
                                        ; implicit-def: $vgpr1
	s_delay_alu instid0(VALU_DEP_2) | instskip(NEXT) | instid1(VALU_DEP_2)
	v_lshrrev_b32_e32 v6, 23, v0
	s_and_saveexec_b32 s0, s6
	s_delay_alu instid0(SALU_CYCLE_1)
	s_xor_b32 s7, exec_lo, s0
	s_cbranch_execz .LBB274_25
; %bb.24:
	s_mov_b32 s0, 0x7fffff
	s_delay_alu instid0(SALU_CYCLE_1) | instskip(NEXT) | instid1(VALU_DEP_1)
	v_and_or_b32 v5, v0, s0, 0x800000
	v_mad_u64_u32 v[1:2], null, 0xfe5163ab, v5, 0
	s_delay_alu instid0(VALU_DEP_1) | instskip(SKIP_1) | instid1(VALU_DEP_2)
	v_dual_mov_b32 v8, 0 :: v_dual_mov_b32 v7, v2
	v_add_nc_u32_e32 v2, 0xffffff88, v6
	v_mad_u64_u32 v[9:10], null, 0x3c439041, v5, v[7:8]
	s_delay_alu instid0(VALU_DEP_2) | instskip(SKIP_1) | instid1(VALU_DEP_3)
	v_cmp_lt_u32_e32 vcc_lo, 63, v2
	v_cndmask_b32_e64 v14, 0, 0xffffffc0, vcc_lo
	v_mov_b32_e32 v7, v10
	s_delay_alu instid0(VALU_DEP_2) | instskip(NEXT) | instid1(VALU_DEP_2)
	v_add_nc_u32_e32 v2, v14, v2
	v_mad_u64_u32 v[10:11], null, 0xdb629599, v5, v[7:8]
	s_delay_alu instid0(VALU_DEP_2) | instskip(NEXT) | instid1(VALU_DEP_2)
	v_cmp_lt_u32_e64 s0, 31, v2
	v_mov_b32_e32 v7, v11
	s_delay_alu instid0(VALU_DEP_3) | instskip(NEXT) | instid1(VALU_DEP_3)
	v_cndmask_b32_e32 v1, v10, v1, vcc_lo
	v_cndmask_b32_e64 v15, 0, 0xffffffe0, s0
	s_delay_alu instid0(VALU_DEP_3) | instskip(NEXT) | instid1(VALU_DEP_2)
	v_mad_u64_u32 v[11:12], null, 0xf534ddc0, v5, v[7:8]
	v_add_nc_u32_e32 v2, v15, v2
	s_delay_alu instid0(VALU_DEP_1) | instskip(NEXT) | instid1(VALU_DEP_3)
	v_cmp_lt_u32_e64 s1, 31, v2
	v_mov_b32_e32 v7, v12
	s_delay_alu instid0(VALU_DEP_1) | instskip(NEXT) | instid1(VALU_DEP_1)
	v_mad_u64_u32 v[12:13], null, 0xfc2757d1, v5, v[7:8]
	v_mov_b32_e32 v7, v13
	s_delay_alu instid0(VALU_DEP_1) | instskip(NEXT) | instid1(VALU_DEP_1)
	v_mad_u64_u32 v[13:14], null, 0x4e441529, v5, v[7:8]
	v_mov_b32_e32 v7, v14
	s_delay_alu instid0(VALU_DEP_1) | instskip(SKIP_1) | instid1(VALU_DEP_4)
	v_mad_u64_u32 v[14:15], null, 0xa2f9836e, v5, v[7:8]
	v_cndmask_b32_e64 v5, 0, 0xffffffe0, s1
	v_cndmask_b32_e32 v7, v13, v11, vcc_lo
	s_delay_alu instid0(VALU_DEP_2) | instskip(NEXT) | instid1(VALU_DEP_4)
	v_add_nc_u32_e32 v2, v5, v2
	v_cndmask_b32_e32 v8, v14, v12, vcc_lo
	v_dual_cndmask_b32 v12, v12, v10 :: v_dual_cndmask_b32 v13, v15, v13
	v_cndmask_b32_e32 v5, v11, v9, vcc_lo
	s_delay_alu instid0(VALU_DEP_4) | instskip(NEXT) | instid1(VALU_DEP_4)
	v_sub_nc_u32_e32 v11, 32, v2
	v_cndmask_b32_e64 v9, v8, v7, s0
	s_delay_alu instid0(VALU_DEP_4) | instskip(SKIP_4) | instid1(VALU_DEP_4)
	v_cndmask_b32_e64 v7, v7, v12, s0
	v_cndmask_b32_e64 v8, v13, v8, s0
	;; [unrolled: 1-line block ×3, first 2 shown]
	v_cmp_eq_u32_e64 s2, 0, v2
	v_cndmask_b32_e64 v1, v5, v1, s0
	v_cndmask_b32_e64 v8, v8, v9, s1
	;; [unrolled: 1-line block ×4, first 2 shown]
	s_delay_alu instid0(VALU_DEP_4) | instskip(NEXT) | instid1(VALU_DEP_3)
	v_cndmask_b32_e64 v1, v12, v1, s1
	v_alignbit_b32 v13, v8, v9, v11
	s_delay_alu instid0(VALU_DEP_3) | instskip(NEXT) | instid1(VALU_DEP_3)
	v_alignbit_b32 v14, v9, v7, v11
	v_alignbit_b32 v11, v7, v1, v11
	s_delay_alu instid0(VALU_DEP_3) | instskip(NEXT) | instid1(VALU_DEP_3)
	v_cndmask_b32_e64 v2, v13, v8, s2
	v_cndmask_b32_e64 v8, v14, v9, s2
	s_delay_alu instid0(VALU_DEP_3) | instskip(NEXT) | instid1(VALU_DEP_3)
	v_cndmask_b32_e64 v7, v11, v7, s2
	v_bfe_u32 v9, v2, 29, 1
	s_delay_alu instid0(VALU_DEP_3) | instskip(NEXT) | instid1(VALU_DEP_3)
	v_alignbit_b32 v5, v2, v8, 30
	v_alignbit_b32 v8, v8, v7, 30
	;; [unrolled: 1-line block ×3, first 2 shown]
	s_delay_alu instid0(VALU_DEP_4) | instskip(NEXT) | instid1(VALU_DEP_1)
	v_sub_nc_u32_e32 v10, 0, v9
	v_xor_b32_e32 v12, v5, v10
	v_cmp_ne_u32_e32 vcc_lo, v5, v10
	v_xor_b32_e32 v7, v8, v10
	v_xor_b32_e32 v1, v1, v10
	s_delay_alu instid0(VALU_DEP_4) | instskip(NEXT) | instid1(VALU_DEP_1)
	v_clz_i32_u32_e32 v13, v12
	v_add_nc_u32_e32 v11, 1, v13
	s_delay_alu instid0(VALU_DEP_1) | instskip(NEXT) | instid1(VALU_DEP_1)
	v_cndmask_b32_e32 v5, 33, v11, vcc_lo
	v_sub_nc_u32_e32 v8, 32, v5
	s_delay_alu instid0(VALU_DEP_1) | instskip(SKIP_3) | instid1(VALU_DEP_3)
	v_alignbit_b32 v10, v12, v7, v8
	v_alignbit_b32 v1, v7, v1, v8
	v_lshrrev_b32_e32 v7, 29, v2
	v_lshrrev_b32_e32 v2, 30, v2
	v_alignbit_b32 v8, v10, v1, 9
	s_delay_alu instid0(VALU_DEP_3) | instskip(NEXT) | instid1(VALU_DEP_3)
	v_lshlrev_b32_e32 v7, 31, v7
	v_add_nc_u32_e32 v2, v9, v2
	v_alignbit_b32 v10, v5, v10, 9
	s_delay_alu instid0(VALU_DEP_4) | instskip(NEXT) | instid1(VALU_DEP_2)
	v_clz_i32_u32_e32 v11, v8
	v_or_b32_e32 v10, v10, v7
	v_or_b32_e32 v7, 0x33800000, v7
	s_delay_alu instid0(VALU_DEP_3) | instskip(NEXT) | instid1(VALU_DEP_3)
	v_min_u32_e32 v11, 32, v11
	v_xor_b32_e32 v10, 1.0, v10
	s_delay_alu instid0(VALU_DEP_2) | instskip(SKIP_1) | instid1(VALU_DEP_3)
	v_sub_nc_u32_e32 v12, 31, v11
	v_add_lshl_u32 v5, v11, v5, 23
	v_mul_f32_e32 v11, 0x3fc90fda, v10
	s_delay_alu instid0(VALU_DEP_3) | instskip(NEXT) | instid1(VALU_DEP_3)
	v_alignbit_b32 v1, v8, v1, v12
	v_sub_nc_u32_e32 v5, v7, v5
	s_delay_alu instid0(VALU_DEP_3) | instskip(NEXT) | instid1(VALU_DEP_3)
	v_fma_f32 v7, 0x3fc90fda, v10, -v11
	v_lshrrev_b32_e32 v1, 9, v1
	s_delay_alu instid0(VALU_DEP_2) | instskip(NEXT) | instid1(VALU_DEP_2)
	v_fmamk_f32 v7, v10, 0x33a22168, v7
	v_or_b32_e32 v1, v5, v1
	s_delay_alu instid0(VALU_DEP_1) | instskip(NEXT) | instid1(VALU_DEP_1)
	v_fmac_f32_e32 v7, 0x3fc90fda, v1
	v_add_f32_e32 v1, v11, v7
	s_or_saveexec_b32 s0, s7
	v_mul_f32_e64 v8, 0x3f22f983, |v4|
	s_xor_b32 exec_lo, exec_lo, s0
	s_branch .LBB274_26
.LBB274_25:
	s_or_saveexec_b32 s0, s7
	v_mul_f32_e64 v8, 0x3f22f983, |v4|
	s_xor_b32 exec_lo, exec_lo, s0
.LBB274_26:
	s_delay_alu instid0(VALU_DEP_1) | instskip(NEXT) | instid1(VALU_DEP_1)
	v_rndne_f32_e32 v2, v8
	v_fma_f32 v1, 0xbfc90fda, v2, |v4|
	s_delay_alu instid0(VALU_DEP_1) | instskip(NEXT) | instid1(VALU_DEP_1)
	v_fmamk_f32 v1, v2, 0xb3a22168, v1
	v_fmamk_f32 v1, v2, 0xa7c234c4, v1
	v_cvt_i32_f32_e32 v2, v2
; %bb.27:
	s_or_b32 exec_lo, exec_lo, s0
                                        ; implicit-def: $vgpr7
                                        ; implicit-def: $vgpr5
	s_and_saveexec_b32 s0, s6
	s_delay_alu instid0(SALU_CYCLE_1)
	s_xor_b32 s6, exec_lo, s0
	s_cbranch_execz .LBB274_29
; %bb.28:
	s_mov_b32 s0, 0x7fffff
	v_mov_b32_e32 v9, 0
	v_and_or_b32 v16, v0, s0, 0x800000
	s_delay_alu instid0(VALU_DEP_1) | instskip(NEXT) | instid1(VALU_DEP_1)
	v_mad_u64_u32 v[7:8], null, 0xfe5163ab, v16, 0
	v_mad_u64_u32 v[10:11], null, 0x3c439041, v16, v[8:9]
	s_delay_alu instid0(VALU_DEP_1) | instskip(NEXT) | instid1(VALU_DEP_1)
	v_mov_b32_e32 v8, v11
	v_mad_u64_u32 v[11:12], null, 0xdb629599, v16, v[8:9]
	s_delay_alu instid0(VALU_DEP_1) | instskip(NEXT) | instid1(VALU_DEP_1)
	v_mov_b32_e32 v8, v12
	v_mad_u64_u32 v[12:13], null, 0xf534ddc0, v16, v[8:9]
	s_delay_alu instid0(VALU_DEP_1) | instskip(NEXT) | instid1(VALU_DEP_1)
	v_dual_mov_b32 v8, v13 :: v_dual_add_nc_u32 v13, 0xffffff88, v6
	v_mad_u64_u32 v[5:6], null, 0xfc2757d1, v16, v[8:9]
	s_delay_alu instid0(VALU_DEP_2) | instskip(SKIP_1) | instid1(VALU_DEP_3)
	v_cmp_lt_u32_e32 vcc_lo, 63, v13
	v_cndmask_b32_e64 v14, 0, 0xffffffc0, vcc_lo
	v_dual_mov_b32 v8, v6 :: v_dual_cndmask_b32 v7, v11, v7
	s_delay_alu instid0(VALU_DEP_2) | instskip(NEXT) | instid1(VALU_DEP_2)
	v_add_nc_u32_e32 v6, v14, v13
	v_mad_u64_u32 v[13:14], null, 0x4e441529, v16, v[8:9]
	s_delay_alu instid0(VALU_DEP_2) | instskip(NEXT) | instid1(VALU_DEP_2)
	v_cmp_lt_u32_e64 s0, 31, v6
	v_mov_b32_e32 v8, v14
	s_delay_alu instid0(VALU_DEP_2) | instskip(NEXT) | instid1(VALU_DEP_1)
	v_cndmask_b32_e64 v15, 0, 0xffffffe0, s0
	v_add_nc_u32_e32 v6, v15, v6
	s_delay_alu instid0(VALU_DEP_3) | instskip(SKIP_1) | instid1(VALU_DEP_3)
	v_mad_u64_u32 v[14:15], null, 0xa2f9836e, v16, v[8:9]
	v_cndmask_b32_e32 v9, v13, v12, vcc_lo
	v_cmp_lt_u32_e64 s1, 31, v6
	s_delay_alu instid0(VALU_DEP_3) | instskip(NEXT) | instid1(VALU_DEP_2)
	v_cndmask_b32_e32 v14, v14, v5, vcc_lo
	v_cndmask_b32_e64 v8, 0, 0xffffffe0, s1
	v_cndmask_b32_e32 v13, v15, v13, vcc_lo
	s_delay_alu instid0(VALU_DEP_2) | instskip(SKIP_2) | instid1(VALU_DEP_4)
	v_dual_cndmask_b32 v5, v5, v11 :: v_dual_add_nc_u32 v6, v8, v6
	v_cndmask_b32_e32 v8, v12, v10, vcc_lo
	v_cndmask_b32_e64 v10, v14, v9, s0
	v_cndmask_b32_e64 v12, v13, v14, s0
	s_delay_alu instid0(VALU_DEP_4)
	v_cndmask_b32_e64 v9, v9, v5, s0
	v_sub_nc_u32_e32 v13, 32, v6
	v_cndmask_b32_e64 v5, v5, v8, s0
	v_cmp_eq_u32_e64 s2, 0, v6
	v_cndmask_b32_e64 v12, v12, v10, s1
	v_cndmask_b32_e64 v10, v10, v9, s1
	;; [unrolled: 1-line block ×4, first 2 shown]
	s_delay_alu instid0(VALU_DEP_3) | instskip(NEXT) | instid1(VALU_DEP_3)
	v_alignbit_b32 v14, v12, v10, v13
	v_cndmask_b32_e64 v5, v5, v7, s1
	s_delay_alu instid0(VALU_DEP_3) | instskip(NEXT) | instid1(VALU_DEP_3)
	v_alignbit_b32 v15, v10, v9, v13
	v_cndmask_b32_e64 v6, v14, v12, s2
	;; [unrolled: 3-line block ×3, first 2 shown]
	s_delay_alu instid0(VALU_DEP_3) | instskip(NEXT) | instid1(VALU_DEP_3)
	v_bfe_u32 v11, v6, 29, 1
	v_cndmask_b32_e64 v9, v13, v9, s2
	s_delay_alu instid0(VALU_DEP_3) | instskip(NEXT) | instid1(VALU_DEP_3)
	v_alignbit_b32 v8, v6, v10, 30
	v_sub_nc_u32_e32 v12, 0, v11
	s_delay_alu instid0(VALU_DEP_3) | instskip(SKIP_1) | instid1(VALU_DEP_3)
	v_alignbit_b32 v10, v10, v9, 30
	v_alignbit_b32 v5, v9, v5, 30
	v_xor_b32_e32 v7, v8, v12
	v_cmp_ne_u32_e32 vcc_lo, v8, v12
	s_delay_alu instid0(VALU_DEP_4) | instskip(NEXT) | instid1(VALU_DEP_4)
	v_xor_b32_e32 v9, v10, v12
	v_xor_b32_e32 v5, v5, v12
	s_delay_alu instid0(VALU_DEP_4) | instskip(NEXT) | instid1(VALU_DEP_1)
	v_clz_i32_u32_e32 v14, v7
	v_add_nc_u32_e32 v13, 1, v14
	s_delay_alu instid0(VALU_DEP_1) | instskip(NEXT) | instid1(VALU_DEP_1)
	v_cndmask_b32_e32 v8, 33, v13, vcc_lo
	v_sub_nc_u32_e32 v10, 32, v8
	s_delay_alu instid0(VALU_DEP_1) | instskip(SKIP_3) | instid1(VALU_DEP_3)
	v_alignbit_b32 v7, v7, v9, v10
	v_alignbit_b32 v5, v9, v5, v10
	v_lshrrev_b32_e32 v9, 29, v6
	v_lshrrev_b32_e32 v6, 30, v6
	v_alignbit_b32 v10, v7, v5, 9
	s_delay_alu instid0(VALU_DEP_3) | instskip(SKIP_1) | instid1(VALU_DEP_3)
	v_lshlrev_b32_e32 v9, 31, v9
	v_alignbit_b32 v7, v8, v7, 9
	v_clz_i32_u32_e32 v12, v10
	s_delay_alu instid0(VALU_DEP_2) | instskip(SKIP_1) | instid1(VALU_DEP_3)
	v_or_b32_e32 v7, v7, v9
	v_or_b32_e32 v9, 0x33800000, v9
	v_min_u32_e32 v12, 32, v12
	s_delay_alu instid0(VALU_DEP_3) | instskip(NEXT) | instid1(VALU_DEP_2)
	v_xor_b32_e32 v7, 1.0, v7
	v_sub_nc_u32_e32 v13, 31, v12
	v_add_lshl_u32 v8, v12, v8, 23
	s_delay_alu instid0(VALU_DEP_3) | instskip(NEXT) | instid1(VALU_DEP_3)
	v_mul_f32_e32 v12, 0x3fc90fda, v7
	v_alignbit_b32 v5, v10, v5, v13
	s_delay_alu instid0(VALU_DEP_3) | instskip(NEXT) | instid1(VALU_DEP_3)
	v_sub_nc_u32_e32 v8, v9, v8
	v_fma_f32 v9, 0x3fc90fda, v7, -v12
	s_delay_alu instid0(VALU_DEP_3) | instskip(NEXT) | instid1(VALU_DEP_2)
	v_lshrrev_b32_e32 v5, 9, v5
	v_fmamk_f32 v7, v7, 0x33a22168, v9
	s_delay_alu instid0(VALU_DEP_2) | instskip(NEXT) | instid1(VALU_DEP_1)
	v_or_b32_e32 v5, v8, v5
                                        ; implicit-def: $vgpr8
	v_fmac_f32_e32 v7, 0x3fc90fda, v5
	s_delay_alu instid0(VALU_DEP_1)
	v_add_f32_e32 v5, v12, v7
	v_add_nc_u32_e32 v7, v11, v6
	s_and_not1_saveexec_b32 s0, s6
	s_cbranch_execnz .LBB274_30
	s_branch .LBB274_31
.LBB274_29:
	s_and_not1_saveexec_b32 s0, s6
.LBB274_30:
	v_rndne_f32_e32 v6, v8
	s_delay_alu instid0(VALU_DEP_1) | instskip(SKIP_1) | instid1(VALU_DEP_2)
	v_fma_f32 v5, 0xbfc90fda, v6, |v4|
	v_cvt_i32_f32_e32 v7, v6
	v_fmamk_f32 v5, v6, 0xb3a22168, v5
	s_delay_alu instid0(VALU_DEP_1)
	v_fmamk_f32 v5, v6, 0xa7c234c4, v5
.LBB274_31:
	s_or_b32 exec_lo, exec_lo, s0
	v_and_b32_e32 v6, 0x7fffffff, v3
	v_cmp_ngt_f32_e64 s6, 0x48000000, |v3|
                                        ; implicit-def: $vgpr9
                                        ; implicit-def: $vgpr8
	s_delay_alu instid0(VALU_DEP_2) | instskip(NEXT) | instid1(VALU_DEP_2)
	v_lshrrev_b32_e32 v10, 23, v6
	s_and_saveexec_b32 s0, s6
	s_delay_alu instid0(SALU_CYCLE_1)
	s_xor_b32 s7, exec_lo, s0
	s_cbranch_execz .LBB274_33
; %bb.32:
	s_mov_b32 s0, 0x7fffff
	s_delay_alu instid0(SALU_CYCLE_1) | instskip(NEXT) | instid1(VALU_DEP_1)
	v_and_or_b32 v20, v6, s0, 0x800000
	v_mad_u64_u32 v[8:9], null, 0xfe5163ab, v20, 0
	s_delay_alu instid0(VALU_DEP_1) | instskip(SKIP_1) | instid1(VALU_DEP_2)
	v_dual_mov_b32 v12, 0 :: v_dual_mov_b32 v11, v9
	v_add_nc_u32_e32 v9, 0xffffff88, v10
	v_mad_u64_u32 v[13:14], null, 0x3c439041, v20, v[11:12]
	s_delay_alu instid0(VALU_DEP_2) | instskip(SKIP_1) | instid1(VALU_DEP_3)
	v_cmp_lt_u32_e32 vcc_lo, 63, v9
	v_cndmask_b32_e64 v18, 0, 0xffffffc0, vcc_lo
	v_mov_b32_e32 v11, v14
	s_delay_alu instid0(VALU_DEP_2) | instskip(NEXT) | instid1(VALU_DEP_2)
	v_add_nc_u32_e32 v9, v18, v9
	v_mad_u64_u32 v[14:15], null, 0xdb629599, v20, v[11:12]
	s_delay_alu instid0(VALU_DEP_2) | instskip(NEXT) | instid1(VALU_DEP_2)
	v_cmp_lt_u32_e64 s0, 31, v9
	v_mov_b32_e32 v11, v15
	s_delay_alu instid0(VALU_DEP_2) | instskip(NEXT) | instid1(VALU_DEP_4)
	v_cndmask_b32_e64 v19, 0, 0xffffffe0, s0
	v_cndmask_b32_e32 v8, v14, v8, vcc_lo
	s_delay_alu instid0(VALU_DEP_3) | instskip(NEXT) | instid1(VALU_DEP_3)
	v_mad_u64_u32 v[15:16], null, 0xf534ddc0, v20, v[11:12]
	v_add_nc_u32_e32 v9, v19, v9
	s_delay_alu instid0(VALU_DEP_1) | instskip(NEXT) | instid1(VALU_DEP_3)
	v_cmp_lt_u32_e64 s1, 31, v9
	v_mov_b32_e32 v11, v16
	s_delay_alu instid0(VALU_DEP_1) | instskip(NEXT) | instid1(VALU_DEP_1)
	v_mad_u64_u32 v[16:17], null, 0xfc2757d1, v20, v[11:12]
	v_mov_b32_e32 v11, v17
	s_delay_alu instid0(VALU_DEP_1) | instskip(NEXT) | instid1(VALU_DEP_1)
	v_mad_u64_u32 v[17:18], null, 0x4e441529, v20, v[11:12]
	v_mov_b32_e32 v11, v18
	s_delay_alu instid0(VALU_DEP_1) | instskip(SKIP_1) | instid1(VALU_DEP_1)
	v_mad_u64_u32 v[18:19], null, 0xa2f9836e, v20, v[11:12]
	v_cndmask_b32_e64 v11, 0, 0xffffffe0, s1
	v_dual_cndmask_b32 v12, v17, v15 :: v_dual_add_nc_u32 v9, v11, v9
	s_delay_alu instid0(VALU_DEP_3) | instskip(SKIP_1) | instid1(VALU_DEP_3)
	v_dual_cndmask_b32 v18, v18, v16 :: v_dual_cndmask_b32 v17, v19, v17
	v_dual_cndmask_b32 v16, v16, v14 :: v_dual_cndmask_b32 v11, v15, v13
	v_cmp_eq_u32_e64 s2, 0, v9
	s_delay_alu instid0(VALU_DEP_3) | instskip(NEXT) | instid1(VALU_DEP_4)
	v_cndmask_b32_e64 v13, v18, v12, s0
	v_cndmask_b32_e64 v15, v17, v18, s0
	s_delay_alu instid0(VALU_DEP_4)
	v_cndmask_b32_e64 v12, v12, v16, s0
	v_sub_nc_u32_e32 v17, 32, v9
	v_cndmask_b32_e64 v16, v16, v11, s0
	v_cndmask_b32_e64 v8, v11, v8, s0
	;; [unrolled: 1-line block ×4, first 2 shown]
	s_delay_alu instid0(VALU_DEP_4) | instskip(NEXT) | instid1(VALU_DEP_4)
	v_cndmask_b32_e64 v12, v12, v16, s1
	v_cndmask_b32_e64 v8, v16, v8, s1
	s_delay_alu instid0(VALU_DEP_3) | instskip(NEXT) | instid1(VALU_DEP_3)
	v_alignbit_b32 v18, v15, v13, v17
	v_alignbit_b32 v19, v13, v12, v17
	s_delay_alu instid0(VALU_DEP_3) | instskip(NEXT) | instid1(VALU_DEP_3)
	v_alignbit_b32 v17, v12, v8, v17
	v_cndmask_b32_e64 v9, v18, v15, s2
	s_delay_alu instid0(VALU_DEP_3) | instskip(NEXT) | instid1(VALU_DEP_3)
	v_cndmask_b32_e64 v13, v19, v13, s2
	v_cndmask_b32_e64 v12, v17, v12, s2
	s_delay_alu instid0(VALU_DEP_3) | instskip(NEXT) | instid1(VALU_DEP_3)
	v_bfe_u32 v14, v9, 29, 1
	v_alignbit_b32 v11, v9, v13, 30
	s_delay_alu instid0(VALU_DEP_3) | instskip(SKIP_1) | instid1(VALU_DEP_4)
	v_alignbit_b32 v13, v13, v12, 30
	v_alignbit_b32 v8, v12, v8, 30
	v_sub_nc_u32_e32 v15, 0, v14
	s_delay_alu instid0(VALU_DEP_1) | instskip(SKIP_3) | instid1(VALU_DEP_4)
	v_xor_b32_e32 v16, v11, v15
	v_cmp_ne_u32_e32 vcc_lo, v11, v15
	v_xor_b32_e32 v12, v13, v15
	v_xor_b32_e32 v8, v8, v15
	v_clz_i32_u32_e32 v18, v16
	s_delay_alu instid0(VALU_DEP_1) | instskip(NEXT) | instid1(VALU_DEP_1)
	v_add_nc_u32_e32 v17, 1, v18
	v_cndmask_b32_e32 v11, 33, v17, vcc_lo
	s_delay_alu instid0(VALU_DEP_1) | instskip(NEXT) | instid1(VALU_DEP_1)
	v_sub_nc_u32_e32 v13, 32, v11
	v_alignbit_b32 v15, v16, v12, v13
	v_alignbit_b32 v8, v12, v8, v13
	v_lshrrev_b32_e32 v12, 29, v9
	v_lshrrev_b32_e32 v9, 30, v9
	s_delay_alu instid0(VALU_DEP_3) | instskip(NEXT) | instid1(VALU_DEP_3)
	v_alignbit_b32 v13, v15, v8, 9
	v_lshlrev_b32_e32 v12, 31, v12
	v_alignbit_b32 v15, v11, v15, 9
	s_delay_alu instid0(VALU_DEP_4) | instskip(NEXT) | instid1(VALU_DEP_4)
	v_add_nc_u32_e32 v9, v14, v9
	v_clz_i32_u32_e32 v16, v13
	s_delay_alu instid0(VALU_DEP_3) | instskip(SKIP_1) | instid1(VALU_DEP_3)
	v_or_b32_e32 v15, v15, v12
	v_or_b32_e32 v12, 0x33800000, v12
	v_min_u32_e32 v16, 32, v16
	s_delay_alu instid0(VALU_DEP_3) | instskip(NEXT) | instid1(VALU_DEP_2)
	v_xor_b32_e32 v15, 1.0, v15
	v_sub_nc_u32_e32 v17, 31, v16
	v_add_lshl_u32 v11, v16, v11, 23
	s_delay_alu instid0(VALU_DEP_3) | instskip(NEXT) | instid1(VALU_DEP_3)
	v_mul_f32_e32 v16, 0x3fc90fda, v15
	v_alignbit_b32 v8, v13, v8, v17
	s_delay_alu instid0(VALU_DEP_3) | instskip(NEXT) | instid1(VALU_DEP_3)
	v_sub_nc_u32_e32 v11, v12, v11
	v_fma_f32 v12, 0x3fc90fda, v15, -v16
	s_delay_alu instid0(VALU_DEP_3) | instskip(NEXT) | instid1(VALU_DEP_2)
	v_lshrrev_b32_e32 v8, 9, v8
	v_fmamk_f32 v12, v15, 0x33a22168, v12
	s_delay_alu instid0(VALU_DEP_2) | instskip(NEXT) | instid1(VALU_DEP_1)
	v_or_b32_e32 v8, v11, v8
	v_fmac_f32_e32 v12, 0x3fc90fda, v8
	s_delay_alu instid0(VALU_DEP_1)
	v_add_f32_e32 v8, v16, v12
	s_or_saveexec_b32 s0, s7
	v_mul_f32_e64 v13, 0x3f22f983, |v3|
	s_xor_b32 exec_lo, exec_lo, s0
	s_branch .LBB274_34
.LBB274_33:
	s_or_saveexec_b32 s0, s7
	v_mul_f32_e64 v13, 0x3f22f983, |v3|
	s_xor_b32 exec_lo, exec_lo, s0
.LBB274_34:
	s_delay_alu instid0(VALU_DEP_1) | instskip(NEXT) | instid1(VALU_DEP_1)
	v_rndne_f32_e32 v9, v13
	v_fma_f32 v8, 0xbfc90fda, v9, |v3|
	s_delay_alu instid0(VALU_DEP_1) | instskip(NEXT) | instid1(VALU_DEP_1)
	v_fmamk_f32 v8, v9, 0xb3a22168, v8
	v_fmamk_f32 v8, v9, 0xa7c234c4, v8
	v_cvt_i32_f32_e32 v9, v9
; %bb.35:
	s_or_b32 exec_lo, exec_lo, s0
                                        ; implicit-def: $vgpr12
                                        ; implicit-def: $vgpr11
	s_and_saveexec_b32 s0, s6
	s_delay_alu instid0(SALU_CYCLE_1)
	s_xor_b32 s6, exec_lo, s0
	s_cbranch_execz .LBB274_37
; %bb.36:
	s_mov_b32 s0, 0x7fffff
	v_mov_b32_e32 v13, 0
	v_and_or_b32 v21, v6, s0, 0x800000
	s_delay_alu instid0(VALU_DEP_1) | instskip(NEXT) | instid1(VALU_DEP_1)
	v_mad_u64_u32 v[11:12], null, 0xfe5163ab, v21, 0
	v_mad_u64_u32 v[14:15], null, 0x3c439041, v21, v[12:13]
	s_delay_alu instid0(VALU_DEP_1) | instskip(NEXT) | instid1(VALU_DEP_1)
	v_mov_b32_e32 v12, v15
	v_mad_u64_u32 v[15:16], null, 0xdb629599, v21, v[12:13]
	v_add_nc_u32_e32 v10, 0xffffff88, v10
	s_delay_alu instid0(VALU_DEP_1) | instskip(NEXT) | instid1(VALU_DEP_3)
	v_cmp_lt_u32_e32 vcc_lo, 63, v10
	v_mov_b32_e32 v12, v16
	v_cndmask_b32_e64 v19, 0, 0xffffffc0, vcc_lo
	s_delay_alu instid0(VALU_DEP_2) | instskip(SKIP_1) | instid1(VALU_DEP_3)
	v_mad_u64_u32 v[16:17], null, 0xf534ddc0, v21, v[12:13]
	v_cndmask_b32_e32 v11, v15, v11, vcc_lo
	v_add_nc_u32_e32 v10, v19, v10
	s_delay_alu instid0(VALU_DEP_3) | instskip(NEXT) | instid1(VALU_DEP_2)
	v_mov_b32_e32 v12, v17
	v_cmp_lt_u32_e64 s0, 31, v10
	s_delay_alu instid0(VALU_DEP_2) | instskip(NEXT) | instid1(VALU_DEP_2)
	v_mad_u64_u32 v[17:18], null, 0xfc2757d1, v21, v[12:13]
	v_cndmask_b32_e64 v20, 0, 0xffffffe0, s0
	s_delay_alu instid0(VALU_DEP_1) | instskip(NEXT) | instid1(VALU_DEP_3)
	v_add_nc_u32_e32 v10, v20, v10
	v_mov_b32_e32 v12, v18
	s_delay_alu instid0(VALU_DEP_2) | instskip(NEXT) | instid1(VALU_DEP_2)
	v_cmp_lt_u32_e64 s1, 31, v10
	v_mad_u64_u32 v[18:19], null, 0x4e441529, v21, v[12:13]
	s_delay_alu instid0(VALU_DEP_1) | instskip(NEXT) | instid1(VALU_DEP_1)
	v_mov_b32_e32 v12, v19
	v_mad_u64_u32 v[19:20], null, 0xa2f9836e, v21, v[12:13]
	s_delay_alu instid0(VALU_DEP_4) | instskip(NEXT) | instid1(VALU_DEP_1)
	v_cndmask_b32_e64 v12, 0, 0xffffffe0, s1
	v_dual_cndmask_b32 v13, v18, v16 :: v_dual_add_nc_u32 v10, v12, v10
	s_delay_alu instid0(VALU_DEP_3) | instskip(SKIP_1) | instid1(VALU_DEP_3)
	v_dual_cndmask_b32 v19, v19, v17 :: v_dual_cndmask_b32 v18, v20, v18
	v_dual_cndmask_b32 v17, v17, v15 :: v_dual_cndmask_b32 v12, v16, v14
	v_cmp_eq_u32_e64 s2, 0, v10
	s_delay_alu instid0(VALU_DEP_3) | instskip(NEXT) | instid1(VALU_DEP_4)
	v_cndmask_b32_e64 v14, v19, v13, s0
	v_cndmask_b32_e64 v16, v18, v19, s0
	s_delay_alu instid0(VALU_DEP_4)
	v_cndmask_b32_e64 v13, v13, v17, s0
	v_sub_nc_u32_e32 v18, 32, v10
	v_cndmask_b32_e64 v17, v17, v12, s0
	v_cndmask_b32_e64 v11, v12, v11, s0
	;; [unrolled: 1-line block ×4, first 2 shown]
	s_delay_alu instid0(VALU_DEP_4) | instskip(NEXT) | instid1(VALU_DEP_4)
	v_cndmask_b32_e64 v13, v13, v17, s1
	v_cndmask_b32_e64 v11, v17, v11, s1
	s_delay_alu instid0(VALU_DEP_3) | instskip(NEXT) | instid1(VALU_DEP_3)
	v_alignbit_b32 v19, v16, v14, v18
	v_alignbit_b32 v20, v14, v13, v18
	s_delay_alu instid0(VALU_DEP_3) | instskip(NEXT) | instid1(VALU_DEP_3)
	v_alignbit_b32 v18, v13, v11, v18
	v_cndmask_b32_e64 v10, v19, v16, s2
	s_delay_alu instid0(VALU_DEP_3) | instskip(NEXT) | instid1(VALU_DEP_3)
	v_cndmask_b32_e64 v14, v20, v14, s2
	v_cndmask_b32_e64 v13, v18, v13, s2
	s_delay_alu instid0(VALU_DEP_3) | instskip(NEXT) | instid1(VALU_DEP_3)
	v_bfe_u32 v15, v10, 29, 1
	v_alignbit_b32 v12, v10, v14, 30
	s_delay_alu instid0(VALU_DEP_3) | instskip(SKIP_1) | instid1(VALU_DEP_4)
	v_alignbit_b32 v14, v14, v13, 30
	v_alignbit_b32 v11, v13, v11, 30
	v_sub_nc_u32_e32 v16, 0, v15
	s_delay_alu instid0(VALU_DEP_1) | instskip(SKIP_3) | instid1(VALU_DEP_4)
	v_xor_b32_e32 v17, v12, v16
	v_cmp_ne_u32_e32 vcc_lo, v12, v16
	v_xor_b32_e32 v13, v14, v16
	v_xor_b32_e32 v11, v11, v16
	v_clz_i32_u32_e32 v19, v17
	s_delay_alu instid0(VALU_DEP_1) | instskip(NEXT) | instid1(VALU_DEP_1)
	v_add_nc_u32_e32 v18, 1, v19
	v_cndmask_b32_e32 v12, 33, v18, vcc_lo
	s_delay_alu instid0(VALU_DEP_1) | instskip(NEXT) | instid1(VALU_DEP_1)
	v_sub_nc_u32_e32 v14, 32, v12
	v_alignbit_b32 v16, v17, v13, v14
	v_alignbit_b32 v11, v13, v11, v14
	v_lshrrev_b32_e32 v13, 29, v10
	v_lshrrev_b32_e32 v10, 30, v10
	s_delay_alu instid0(VALU_DEP_3) | instskip(NEXT) | instid1(VALU_DEP_3)
	v_alignbit_b32 v14, v16, v11, 9
	v_lshlrev_b32_e32 v13, 31, v13
	v_alignbit_b32 v16, v12, v16, 9
	s_delay_alu instid0(VALU_DEP_3) | instskip(NEXT) | instid1(VALU_DEP_2)
	v_clz_i32_u32_e32 v17, v14
	v_or_b32_e32 v16, v16, v13
	v_or_b32_e32 v13, 0x33800000, v13
	s_delay_alu instid0(VALU_DEP_3) | instskip(NEXT) | instid1(VALU_DEP_3)
	v_min_u32_e32 v17, 32, v17
	v_xor_b32_e32 v16, 1.0, v16
	s_delay_alu instid0(VALU_DEP_2) | instskip(SKIP_1) | instid1(VALU_DEP_3)
	v_sub_nc_u32_e32 v18, 31, v17
	v_add_lshl_u32 v12, v17, v12, 23
	v_mul_f32_e32 v17, 0x3fc90fda, v16
	s_delay_alu instid0(VALU_DEP_3) | instskip(NEXT) | instid1(VALU_DEP_3)
	v_alignbit_b32 v11, v14, v11, v18
	v_sub_nc_u32_e32 v12, v13, v12
	s_delay_alu instid0(VALU_DEP_3) | instskip(NEXT) | instid1(VALU_DEP_3)
	v_fma_f32 v13, 0x3fc90fda, v16, -v17
	v_lshrrev_b32_e32 v11, 9, v11
	s_delay_alu instid0(VALU_DEP_2) | instskip(NEXT) | instid1(VALU_DEP_2)
	v_fmamk_f32 v13, v16, 0x33a22168, v13
	v_or_b32_e32 v11, v12, v11
	s_delay_alu instid0(VALU_DEP_1) | instskip(NEXT) | instid1(VALU_DEP_1)
	v_dual_fmac_f32 v13, 0x3fc90fda, v11 :: v_dual_add_nc_u32 v12, v15, v10
	v_add_f32_e32 v11, v17, v13
                                        ; implicit-def: $vgpr13
	s_and_not1_saveexec_b32 s0, s6
	s_cbranch_execnz .LBB274_38
	s_branch .LBB274_39
.LBB274_37:
	s_and_not1_saveexec_b32 s0, s6
.LBB274_38:
	v_rndne_f32_e32 v10, v13
	s_delay_alu instid0(VALU_DEP_1) | instskip(SKIP_1) | instid1(VALU_DEP_2)
	v_fma_f32 v11, 0xbfc90fda, v10, |v3|
	v_cvt_i32_f32_e32 v12, v10
	v_fmamk_f32 v11, v10, 0xb3a22168, v11
	s_delay_alu instid0(VALU_DEP_1)
	v_fmamk_f32 v11, v10, 0xa7c234c4, v11
.LBB274_39:
	s_or_b32 exec_lo, exec_lo, s0
	v_dual_mul_f32 v10, v1, v1 :: v_dual_lshlrev_b32 v13, 30, v2
	s_mov_b32 s0, 0xb94c1982
	s_mov_b32 s1, 0x37d75334
	v_mul_f32_e32 v16, v5, v5
	s_delay_alu instid0(VALU_DEP_2) | instskip(SKIP_3) | instid1(VALU_DEP_4)
	v_dual_fmaak_f32 v14, s0, v10, 0x3c0881c4 :: v_dual_and_b32 v17, 1, v7
	v_fmaak_f32 v15, s1, v10, 0xbab64f3b
	v_and_b32_e32 v2, 1, v2
	v_and_b32_e32 v13, 0x80000000, v13
	v_dual_fmaak_f32 v14, v10, v14, 0xbe2aaa9d :: v_dual_lshlrev_b32 v7, 30, v7
	s_delay_alu instid0(VALU_DEP_4) | instskip(SKIP_2) | instid1(VALU_DEP_4)
	v_fmaak_f32 v15, v10, v15, 0x3d2aabf7
	v_fmaak_f32 v19, s1, v16, 0xbab64f3b
	v_cmp_eq_u32_e32 vcc_lo, 0, v2
	v_mul_f32_e32 v14, v10, v14
	v_fmaak_f32 v18, s0, v16, 0x3c0881c4
	s_delay_alu instid0(VALU_DEP_4) | instskip(NEXT) | instid1(VALU_DEP_3)
	v_fmaak_f32 v19, v16, v19, 0x3d2aabf7
	v_fmac_f32_e32 v1, v1, v14
	s_delay_alu instid0(VALU_DEP_3) | instskip(NEXT) | instid1(VALU_DEP_1)
	v_fmaak_f32 v18, v16, v18, 0xbe2aaa9d
	v_dual_fmaak_f32 v15, v10, v15, 0xbf000004 :: v_dual_mul_f32 v14, v16, v18
	s_delay_alu instid0(VALU_DEP_1) | instskip(NEXT) | instid1(VALU_DEP_2)
	v_fma_f32 v10, v10, v15, 1.0
	v_fmac_f32_e32 v5, v5, v14
	s_delay_alu instid0(VALU_DEP_2) | instskip(SKIP_3) | instid1(VALU_DEP_3)
	v_dual_cndmask_b32 v1, v10, v1 :: v_dual_mul_f32 v10, v8, v8
	v_xor_b32_e32 v0, v0, v13
	v_mul_f32_e32 v13, v11, v11
	v_cmp_eq_u32_e32 vcc_lo, 0, v17
	v_xor3_b32 v0, v0, v1, v4
	s_delay_alu instid0(VALU_DEP_3) | instskip(NEXT) | instid1(VALU_DEP_1)
	v_fmaak_f32 v14, s0, v13, 0x3c0881c4
	v_fmaak_f32 v14, v13, v14, 0xbe2aaa9d
	s_delay_alu instid0(VALU_DEP_1) | instskip(NEXT) | instid1(VALU_DEP_1)
	v_dual_fmaak_f32 v15, v16, v19, 0xbf000004 :: v_dual_mul_f32 v14, v13, v14
	v_fma_f32 v2, v16, v15, 1.0
	v_lshlrev_b32_e32 v16, 30, v9
	v_and_b32_e32 v9, 1, v9
	s_delay_alu instid0(VALU_DEP_3)
	v_cndmask_b32_e64 v1, -v5, v2, vcc_lo
	v_fmaak_f32 v5, s0, v10, 0x3c0881c4
	v_and_b32_e32 v2, 0x80000000, v7
	v_and_b32_e32 v16, 0x80000000, v16
	v_fmaak_f32 v15, s1, v13, 0xbab64f3b
	v_cmp_eq_u32_e32 vcc_lo, 0, v9
	v_fmaak_f32 v5, v10, v5, 0xbe2aaa9d
	v_xor_b32_e32 v1, v2, v1
	v_xor_b32_e32 v6, v6, v16
	v_cmp_class_f32_e64 s0, v3, 0x1f8
	s_delay_alu instid0(VALU_DEP_4) | instskip(NEXT) | instid1(VALU_DEP_1)
	v_mul_f32_e32 v5, v10, v5
	v_dual_fmaak_f32 v7, s1, v10, 0xbab64f3b :: v_dual_fmac_f32 v8, v8, v5
	s_delay_alu instid0(VALU_DEP_1) | instskip(NEXT) | instid1(VALU_DEP_1)
	v_fmaak_f32 v7, v10, v7, 0x3d2aabf7
	v_fmaak_f32 v7, v10, v7, 0xbf000004
	s_delay_alu instid0(VALU_DEP_1) | instskip(SKIP_3) | instid1(VALU_DEP_4)
	v_fma_f32 v5, v10, v7, 1.0
	v_and_b32_e32 v10, 1, v12
	v_dual_fmaak_f32 v15, v13, v15, 0x3d2aabf7 :: v_dual_lshlrev_b32 v12, 30, v12
	v_fmac_f32_e32 v11, v11, v14
	v_cndmask_b32_e32 v5, v5, v8, vcc_lo
	s_delay_alu instid0(VALU_DEP_4) | instskip(NEXT) | instid1(VALU_DEP_4)
	v_cmp_eq_u32_e32 vcc_lo, 0, v10
	v_and_b32_e32 v8, 0x80000000, v12
	v_fmaak_f32 v15, v13, v15, 0xbf000004
	s_delay_alu instid0(VALU_DEP_1) | instskip(NEXT) | instid1(VALU_DEP_1)
	v_fma_f32 v7, v13, v15, 1.0
	v_cndmask_b32_e64 v7, -v11, v7, vcc_lo
	v_cmp_class_f32_e64 vcc_lo, v4, 0x1f8
	v_cndmask_b32_e32 v1, 0x7fc00000, v1, vcc_lo
	v_cndmask_b32_e32 v0, 0x7fc00000, v0, vcc_lo
	s_delay_alu instid0(VALU_DEP_2) | instskip(SKIP_3) | instid1(VALU_DEP_3)
	v_mul_f32_e32 v4, 0x7f800000, v1
	v_xor3_b32 v2, v6, v5, v3
	v_xor_b32_e32 v3, v8, v7
	v_cmp_neq_f32_e32 vcc_lo, 0, v1
	v_cndmask_b32_e64 v2, 0x7fc00000, v2, s0
	s_delay_alu instid0(VALU_DEP_3) | instskip(SKIP_2) | instid1(VALU_DEP_3)
	v_cndmask_b32_e64 v3, 0x7fc00000, v3, s0
	v_cndmask_b32_e32 v1, 0, v4, vcc_lo
	v_mul_f32_e32 v4, 0x7f800000, v0
	v_dual_mul_f32 v6, 0x7f800000, v2 :: v_dual_mul_f32 v5, 0x7f800000, v3
	v_cmp_neq_f32_e32 vcc_lo, 0, v3
	s_delay_alu instid0(VALU_DEP_2) | instskip(SKIP_1) | instid1(VALU_DEP_2)
	v_cndmask_b32_e32 v3, 0, v5, vcc_lo
	v_cmp_neq_f32_e32 vcc_lo, 0, v0
	v_dual_add_f32 v1, v1, v3 :: v_dual_cndmask_b32 v0, 0, v4
	v_cmp_neq_f32_e32 vcc_lo, 0, v2
	s_delay_alu instid0(VALU_DEP_2) | instskip(NEXT) | instid1(VALU_DEP_1)
	v_dual_add_f32 v5, -1.0, v1 :: v_dual_cndmask_b32 v2, 0, v6
	v_add_f32_e32 v0, v0, v2
	s_delay_alu instid0(VALU_DEP_1) | instskip(NEXT) | instid1(VALU_DEP_1)
	v_max_f32_e64 v3, |v5|, |v0|
	v_cvt_f64_f32_e32 v[1:2], v3
	v_cmp_eq_f32_e32 vcc_lo, 0x7f800000, v3
	s_delay_alu instid0(VALU_DEP_2) | instskip(NEXT) | instid1(VALU_DEP_1)
	v_frexp_exp_i32_f64_e32 v1, v[1:2]
	v_sub_nc_u32_e32 v2, 0, v1
	s_delay_alu instid0(VALU_DEP_1) | instskip(SKIP_1) | instid1(VALU_DEP_2)
	v_ldexp_f32 v4, |v0|, v2
	v_ldexp_f32 v2, |v5|, v2
	v_mul_f32_e32 v4, v4, v4
	s_delay_alu instid0(VALU_DEP_1) | instskip(NEXT) | instid1(VALU_DEP_1)
	v_fmac_f32_e32 v4, v2, v2
	v_sqrt_f32_e32 v2, v4
	s_waitcnt_depctr 0xfff
	v_ldexp_f32 v2, v2, v1
	v_add_f32_e32 v1, 1.0, v5
	s_delay_alu instid0(VALU_DEP_2) | instskip(NEXT) | instid1(VALU_DEP_2)
	v_cmp_ngt_f32_e64 s0, 0.5, v2
	v_max_f32_e64 v2, |v1|, |v0|
	s_delay_alu instid0(VALU_DEP_2) | instskip(NEXT) | instid1(SALU_CYCLE_1)
	s_or_b32 s0, vcc_lo, s0
	s_and_saveexec_b32 s1, s0
	s_delay_alu instid0(SALU_CYCLE_1)
	s_xor_b32 s1, exec_lo, s1
	s_cbranch_execz .LBB274_41
; %bb.40:
	v_cvt_f64_f32_e32 v[3:4], v2
	v_cmp_neq_f32_e32 vcc_lo, 0x7f800000, v2
	s_delay_alu instid0(VALU_DEP_2) | instskip(NEXT) | instid1(VALU_DEP_1)
	v_frexp_exp_i32_f64_e32 v3, v[3:4]
	v_sub_nc_u32_e32 v4, 0, v3
	s_delay_alu instid0(VALU_DEP_1) | instskip(SKIP_1) | instid1(VALU_DEP_2)
	v_ldexp_f32 v5, |v0|, v4
	v_ldexp_f32 v4, |v1|, v4
	v_mul_f32_e32 v5, v5, v5
	s_delay_alu instid0(VALU_DEP_1) | instskip(NEXT) | instid1(VALU_DEP_1)
	v_fmac_f32_e32 v5, v4, v4
	v_sqrt_f32_e32 v4, v5
	s_waitcnt_depctr 0xfff
	v_ldexp_f32 v3, v4, v3
	s_delay_alu instid0(VALU_DEP_1) | instskip(NEXT) | instid1(VALU_DEP_1)
	v_cndmask_b32_e32 v3, 0x7f800000, v3, vcc_lo
	v_cmp_gt_f32_e32 vcc_lo, 0x800000, v3
	v_cndmask_b32_e64 v4, 1.0, 0x4f800000, vcc_lo
	s_delay_alu instid0(VALU_DEP_1) | instskip(NEXT) | instid1(VALU_DEP_1)
	v_mul_f32_e32 v3, v3, v4
	v_log_f32_e32 v3, v3
	s_waitcnt_depctr 0xfff
	v_mul_f32_e32 v4, 0x3f317217, v3
	v_cmp_gt_f32_e64 s0, 0x7f800000, |v3|
	s_delay_alu instid0(VALU_DEP_2) | instskip(NEXT) | instid1(VALU_DEP_1)
	v_fma_f32 v5, 0x3f317217, v3, -v4
	v_fmamk_f32 v5, v3, 0x3377d1cf, v5
	s_delay_alu instid0(VALU_DEP_1) | instskip(NEXT) | instid1(VALU_DEP_1)
	v_add_f32_e32 v4, v4, v5
	v_cndmask_b32_e64 v3, v3, v4, s0
	v_cndmask_b32_e64 v4, 0, 0x41b17218, vcc_lo
	s_delay_alu instid0(VALU_DEP_1)
	v_sub_f32_e32 v5, v3, v4
.LBB274_41:
	s_and_not1_saveexec_b32 s0, s1
	s_cbranch_execz .LBB274_45
; %bb.42:
	s_delay_alu instid0(VALU_DEP_1) | instskip(SKIP_1) | instid1(VALU_DEP_1)
	v_add_f32_e32 v3, 2.0, v5
	s_mov_b32 s1, exec_lo
	v_mul_f32_e32 v3, v5, v3
	s_delay_alu instid0(VALU_DEP_1) | instskip(NEXT) | instid1(VALU_DEP_1)
	v_fmac_f32_e32 v3, v0, v0
	v_cmpx_neq_f32_e32 0, v3
	s_cbranch_execz .LBB274_44
; %bb.43:
	v_add_f32_e32 v6, 1.0, v3
	s_mov_b32 s2, 0x3e9b6dac
	s_delay_alu instid0(VALU_DEP_1) | instskip(NEXT) | instid1(VALU_DEP_1)
	v_cvt_f64_f32_e32 v[4:5], v6
	v_frexp_exp_i32_f64_e32 v4, v[4:5]
	v_frexp_mant_f32_e32 v5, v6
	s_delay_alu instid0(VALU_DEP_1) | instskip(SKIP_1) | instid1(VALU_DEP_1)
	v_cmp_gt_f32_e32 vcc_lo, 0x3f2aaaab, v5
	v_add_f32_e32 v5, -1.0, v6
	v_sub_f32_e32 v8, v5, v6
	s_delay_alu instid0(VALU_DEP_1) | instskip(SKIP_2) | instid1(VALU_DEP_2)
	v_dual_add_f32 v8, 1.0, v8 :: v_dual_sub_f32 v5, v3, v5
	v_subrev_co_ci_u32_e32 v4, vcc_lo, 0, v4, vcc_lo
	v_cmp_eq_f32_e32 vcc_lo, 0x7f800000, v3
	v_sub_nc_u32_e32 v7, 0, v4
	v_cvt_f32_i32_e32 v4, v4
	s_delay_alu instid0(VALU_DEP_2) | instskip(NEXT) | instid1(VALU_DEP_1)
	v_ldexp_f32 v6, v6, v7
	v_add_f32_e32 v9, 1.0, v6
	s_delay_alu instid0(VALU_DEP_1) | instskip(NEXT) | instid1(VALU_DEP_1)
	v_dual_add_f32 v5, v5, v8 :: v_dual_add_f32 v8, -1.0, v9
	v_ldexp_f32 v5, v5, v7
	s_delay_alu instid0(VALU_DEP_2) | instskip(NEXT) | instid1(VALU_DEP_1)
	v_dual_sub_f32 v8, v6, v8 :: v_dual_add_f32 v7, -1.0, v6
	v_add_f32_e32 v8, v5, v8
	s_delay_alu instid0(VALU_DEP_2) | instskip(NEXT) | instid1(VALU_DEP_1)
	v_add_f32_e32 v10, 1.0, v7
	v_sub_f32_e32 v6, v6, v10
	s_delay_alu instid0(VALU_DEP_1) | instskip(NEXT) | instid1(VALU_DEP_1)
	v_add_f32_e32 v5, v5, v6
	v_dual_add_f32 v11, v7, v5 :: v_dual_add_f32 v10, v9, v8
	s_delay_alu instid0(VALU_DEP_1) | instskip(NEXT) | instid1(VALU_DEP_2)
	v_sub_f32_e32 v7, v11, v7
	v_rcp_f32_e32 v6, v10
	v_sub_f32_e32 v9, v10, v9
	s_delay_alu instid0(VALU_DEP_1) | instskip(SKIP_2) | instid1(VALU_DEP_1)
	v_dual_sub_f32 v5, v5, v7 :: v_dual_sub_f32 v8, v8, v9
	s_waitcnt_depctr 0xfff
	v_mul_f32_e32 v12, v11, v6
	v_mul_f32_e32 v13, v10, v12
	s_delay_alu instid0(VALU_DEP_1) | instskip(NEXT) | instid1(VALU_DEP_1)
	v_fma_f32 v9, v12, v10, -v13
	v_fmac_f32_e32 v9, v12, v8
	s_delay_alu instid0(VALU_DEP_1) | instskip(NEXT) | instid1(VALU_DEP_1)
	v_add_f32_e32 v14, v13, v9
	v_sub_f32_e32 v15, v11, v14
	v_sub_f32_e32 v7, v14, v13
	s_delay_alu instid0(VALU_DEP_2) | instskip(NEXT) | instid1(VALU_DEP_2)
	v_sub_f32_e32 v11, v11, v15
	v_sub_f32_e32 v7, v7, v9
	s_delay_alu instid0(VALU_DEP_2) | instskip(NEXT) | instid1(VALU_DEP_1)
	v_sub_f32_e32 v11, v11, v14
	v_add_f32_e32 v5, v5, v11
	s_delay_alu instid0(VALU_DEP_1) | instskip(NEXT) | instid1(VALU_DEP_1)
	v_add_f32_e32 v5, v7, v5
	v_add_f32_e32 v7, v15, v5
	s_delay_alu instid0(VALU_DEP_1) | instskip(NEXT) | instid1(VALU_DEP_1)
	v_mul_f32_e32 v9, v6, v7
	v_dual_sub_f32 v14, v15, v7 :: v_dual_mul_f32 v11, v10, v9
	s_delay_alu instid0(VALU_DEP_1) | instskip(NEXT) | instid1(VALU_DEP_2)
	v_add_f32_e32 v5, v5, v14
	v_fma_f32 v10, v9, v10, -v11
	s_delay_alu instid0(VALU_DEP_1) | instskip(NEXT) | instid1(VALU_DEP_1)
	v_fmac_f32_e32 v10, v9, v8
	v_add_f32_e32 v8, v11, v10
	s_delay_alu instid0(VALU_DEP_1) | instskip(SKIP_1) | instid1(VALU_DEP_2)
	v_sub_f32_e32 v13, v7, v8
	v_sub_f32_e32 v11, v8, v11
	;; [unrolled: 1-line block ×3, first 2 shown]
	s_delay_alu instid0(VALU_DEP_1) | instskip(NEXT) | instid1(VALU_DEP_1)
	v_sub_f32_e32 v7, v7, v8
	v_dual_sub_f32 v8, v11, v10 :: v_dual_add_f32 v5, v5, v7
	v_add_f32_e32 v7, v12, v9
	s_delay_alu instid0(VALU_DEP_1) | instskip(NEXT) | instid1(VALU_DEP_1)
	v_dual_add_f32 v5, v8, v5 :: v_dual_sub_f32 v8, v7, v12
	v_add_f32_e32 v5, v13, v5
	s_delay_alu instid0(VALU_DEP_1) | instskip(NEXT) | instid1(VALU_DEP_1)
	v_dual_sub_f32 v8, v9, v8 :: v_dual_mul_f32 v5, v6, v5
	v_add_f32_e32 v5, v8, v5
	s_delay_alu instid0(VALU_DEP_1) | instskip(NEXT) | instid1(VALU_DEP_1)
	v_add_f32_e32 v6, v7, v5
	v_mul_f32_e32 v8, v6, v6
	s_delay_alu instid0(VALU_DEP_1) | instskip(SKIP_1) | instid1(VALU_DEP_2)
	v_fmaak_f32 v9, s2, v8, 0x3ecc95a3
	v_mul_f32_e32 v10, v6, v8
	v_fmaak_f32 v8, v8, v9, 0x3f2aaada
	v_ldexp_f32 v9, v6, 1
	v_sub_f32_e32 v6, v6, v7
	s_delay_alu instid0(VALU_DEP_3) | instskip(NEXT) | instid1(VALU_DEP_2)
	v_mul_f32_e32 v8, v10, v8
	v_dual_mul_f32 v10, 0x3f317218, v4 :: v_dual_sub_f32 v5, v5, v6
	s_delay_alu instid0(VALU_DEP_2) | instskip(NEXT) | instid1(VALU_DEP_2)
	v_add_f32_e32 v7, v9, v8
	v_ldexp_f32 v5, v5, 1
	s_delay_alu instid0(VALU_DEP_2) | instskip(NEXT) | instid1(VALU_DEP_4)
	v_sub_f32_e32 v6, v7, v9
	v_fma_f32 v9, 0x3f317218, v4, -v10
	s_delay_alu instid0(VALU_DEP_2) | instskip(NEXT) | instid1(VALU_DEP_1)
	v_sub_f32_e32 v6, v8, v6
	v_dual_fmamk_f32 v4, v4, 0xb102e308, v9 :: v_dual_add_f32 v5, v5, v6
	s_delay_alu instid0(VALU_DEP_1) | instskip(NEXT) | instid1(VALU_DEP_2)
	v_add_f32_e32 v6, v10, v4
	v_add_f32_e32 v8, v7, v5
	s_delay_alu instid0(VALU_DEP_2) | instskip(NEXT) | instid1(VALU_DEP_2)
	v_sub_f32_e32 v10, v6, v10
	v_add_f32_e32 v9, v6, v8
	v_sub_f32_e32 v7, v8, v7
	s_delay_alu instid0(VALU_DEP_3) | instskip(NEXT) | instid1(VALU_DEP_3)
	v_sub_f32_e32 v4, v4, v10
	v_sub_f32_e32 v11, v9, v6
	s_delay_alu instid0(VALU_DEP_3) | instskip(NEXT) | instid1(VALU_DEP_2)
	v_sub_f32_e32 v5, v5, v7
	v_sub_f32_e32 v12, v9, v11
	;; [unrolled: 1-line block ×3, first 2 shown]
	s_delay_alu instid0(VALU_DEP_3) | instskip(NEXT) | instid1(VALU_DEP_3)
	v_add_f32_e32 v8, v4, v5
	v_sub_f32_e32 v6, v6, v12
	s_delay_alu instid0(VALU_DEP_1) | instskip(NEXT) | instid1(VALU_DEP_1)
	v_dual_add_f32 v6, v7, v6 :: v_dual_sub_f32 v7, v8, v4
	v_add_f32_e32 v6, v8, v6
	s_delay_alu instid0(VALU_DEP_2) | instskip(NEXT) | instid1(VALU_DEP_2)
	v_sub_f32_e32 v8, v8, v7
	v_add_f32_e32 v10, v9, v6
	s_delay_alu instid0(VALU_DEP_2) | instskip(NEXT) | instid1(VALU_DEP_1)
	v_dual_sub_f32 v4, v4, v8 :: v_dual_sub_f32 v5, v5, v7
	v_dual_sub_f32 v7, v10, v9 :: v_dual_add_f32 v4, v5, v4
	s_delay_alu instid0(VALU_DEP_1) | instskip(NEXT) | instid1(VALU_DEP_1)
	v_sub_f32_e32 v5, v6, v7
	v_add_f32_e32 v4, v4, v5
	s_delay_alu instid0(VALU_DEP_1) | instskip(NEXT) | instid1(VALU_DEP_1)
	v_add_f32_e32 v4, v10, v4
	v_cndmask_b32_e32 v4, v4, v3, vcc_lo
	v_cmp_ngt_f32_e32 vcc_lo, -1.0, v3
	s_delay_alu instid0(VALU_DEP_2) | instskip(SKIP_1) | instid1(VALU_DEP_2)
	v_cndmask_b32_e32 v4, 0x7fc00000, v4, vcc_lo
	v_cmp_neq_f32_e32 vcc_lo, -1.0, v3
	v_cndmask_b32_e32 v4, 0xff800000, v4, vcc_lo
	v_cmp_gt_f32_e64 vcc_lo, 0x33800000, |v3|
	s_delay_alu instid0(VALU_DEP_2) | instskip(NEXT) | instid1(VALU_DEP_1)
	v_cndmask_b32_e32 v3, v4, v3, vcc_lo
	v_mul_f32_e32 v5, 0.5, v3
.LBB274_44:
	s_or_b32 exec_lo, exec_lo, s1
.LBB274_45:
	s_delay_alu instid0(SALU_CYCLE_1)
	s_or_b32 exec_lo, exec_lo, s0
	v_max_f32_e64 v3, |v0|, |v0|
	v_max_f32_e64 v4, |v1|, |v1|
	v_frexp_mant_f32_e32 v6, v2
	v_frexp_exp_i32_f32_e32 v2, v2
	s_mov_b32 s0, 0x3b2d2a58
	v_cmp_gt_f32_e64 vcc_lo, |v0|, |v1|
	v_min_f32_e32 v3, v4, v3
	v_rcp_f32_e32 v4, v6
	v_cmp_class_f32_e64 s1, v1, 0x204
	s_delay_alu instid0(VALU_DEP_2) | instskip(SKIP_3) | instid1(VALU_DEP_1)
	v_frexp_mant_f32_e32 v6, v3
	s_waitcnt_depctr 0xfff
	v_mul_f32_e32 v4, v6, v4
	v_frexp_exp_i32_f32_e32 v3, v3
	v_sub_nc_u32_e32 v2, v3, v2
	s_delay_alu instid0(VALU_DEP_1) | instskip(NEXT) | instid1(VALU_DEP_1)
	v_ldexp_f32 v2, v4, v2
	v_mul_f32_e32 v3, v2, v2
	s_delay_alu instid0(VALU_DEP_1) | instskip(SKIP_1) | instid1(VALU_DEP_2)
	v_fmaak_f32 v4, s0, v3, 0xbc7a590c
	v_cmp_gt_i32_e64 s0, 0, v1
	v_fmaak_f32 v4, v3, v4, 0x3d29fb3f
	s_delay_alu instid0(VALU_DEP_2) | instskip(SKIP_1) | instid1(VALU_DEP_3)
	v_cndmask_b32_e64 v6, 0, 0x40490fdb, s0
	v_cmp_class_f32_e64 s0, v0, 0x204
	v_fmaak_f32 v4, v3, v4, 0xbd97d4d7
	s_delay_alu instid0(VALU_DEP_1) | instskip(NEXT) | instid1(VALU_DEP_1)
	v_fmaak_f32 v4, v3, v4, 0x3dd931b2
	v_fmaak_f32 v4, v3, v4, 0xbe1160e6
	s_delay_alu instid0(VALU_DEP_1) | instskip(NEXT) | instid1(VALU_DEP_1)
	v_fmaak_f32 v4, v3, v4, 0x3e4cb8bf
	v_fmaak_f32 v4, v3, v4, 0xbeaaaa62
	s_delay_alu instid0(VALU_DEP_1) | instskip(NEXT) | instid1(VALU_DEP_1)
	v_mul_f32_e32 v3, v3, v4
	v_fmac_f32_e32 v2, v2, v3
	s_delay_alu instid0(VALU_DEP_1) | instskip(NEXT) | instid1(VALU_DEP_1)
	v_sub_f32_e32 v3, 0x3fc90fdb, v2
	v_dual_cndmask_b32 v2, v2, v3 :: v_dual_mov_b32 v3, 0x4016cbe4
	v_cmp_gt_f32_e32 vcc_lo, 0, v1
	s_delay_alu instid0(VALU_DEP_2) | instskip(NEXT) | instid1(VALU_DEP_3)
	v_sub_f32_e32 v4, 0x40490fdb, v2
	v_cndmask_b32_e32 v3, 0x3f490fdb, v3, vcc_lo
	s_delay_alu instid0(VALU_DEP_2) | instskip(SKIP_1) | instid1(VALU_DEP_2)
	v_cndmask_b32_e32 v2, v2, v4, vcc_lo
	v_cmp_eq_f32_e32 vcc_lo, 0, v0
	v_cndmask_b32_e32 v2, v2, v6, vcc_lo
	s_and_b32 vcc_lo, s0, s1
	s_delay_alu instid0(VALU_DEP_1) | instskip(SKIP_1) | instid1(VALU_DEP_2)
	v_cndmask_b32_e32 v2, v2, v3, vcc_lo
	v_cmp_o_f32_e32 vcc_lo, v1, v0
	v_cndmask_b32_e32 v1, 0x7fc00000, v2, vcc_lo
	s_delay_alu instid0(VALU_DEP_1)
	v_bfi_b32 v4, 0x7fffffff, v1, v0
.LBB274_46:
	s_or_b32 exec_lo, exec_lo, s5
.LBB274_47:
	s_delay_alu instid0(SALU_CYCLE_1) | instskip(NEXT) | instid1(VALU_DEP_1)
	s_or_b32 exec_lo, exec_lo, s4
	v_dual_mov_b32 v0, v5 :: v_dual_mov_b32 v1, v4
.LBB274_48:
	s_or_b32 exec_lo, exec_lo, s3
	s_setpc_b64 s[30:31]
.Lfunc_end274:
	.size	_ZZZZN2at6native31launch_logcumsumexp_cuda_kernelERKNS_10TensorBaseES3_lENKUlvE_clEvENKUlvE2_clEvENKUlN3c107complexIfEES8_E_clES8_S8_, .Lfunc_end274-_ZZZZN2at6native31launch_logcumsumexp_cuda_kernelERKNS_10TensorBaseES3_lENKUlvE_clEvENKUlvE2_clEvENKUlN3c107complexIfEES8_E_clES8_S8_
                                        ; -- End function
	.section	.AMDGPU.csdata,"",@progbits
; Function info:
; codeLenInByte = 8860
; NumSgprs: 34
; NumVgprs: 22
; ScratchSize: 0
; MemoryBound: 0
	.section	.text._ZN7rocprim17ROCPRIM_400000_NS6detail17trampoline_kernelINS0_14default_configENS1_20scan_config_selectorIN3c107complexIfEEEEZZNS1_9scan_implILNS1_25lookback_scan_determinismE0ELb0ELb0ES3_PKS7_PS7_S7_ZZZN2at6native31launch_logcumsumexp_cuda_kernelERKNSE_10TensorBaseESI_lENKUlvE_clEvENKUlvE2_clEvEUlS7_S7_E_S7_EEDaPvRmT3_T4_T5_mT6_P12ihipStream_tbENKUlT_T0_E_clISt17integral_constantIbLb0EESZ_EEDaSU_SV_EUlSU_E_NS1_11comp_targetILNS1_3genE9ELNS1_11target_archE1100ELNS1_3gpuE3ELNS1_3repE0EEENS1_30default_config_static_selectorELNS0_4arch9wavefront6targetE0EEEvT1_,"axG",@progbits,_ZN7rocprim17ROCPRIM_400000_NS6detail17trampoline_kernelINS0_14default_configENS1_20scan_config_selectorIN3c107complexIfEEEEZZNS1_9scan_implILNS1_25lookback_scan_determinismE0ELb0ELb0ES3_PKS7_PS7_S7_ZZZN2at6native31launch_logcumsumexp_cuda_kernelERKNSE_10TensorBaseESI_lENKUlvE_clEvENKUlvE2_clEvEUlS7_S7_E_S7_EEDaPvRmT3_T4_T5_mT6_P12ihipStream_tbENKUlT_T0_E_clISt17integral_constantIbLb0EESZ_EEDaSU_SV_EUlSU_E_NS1_11comp_targetILNS1_3genE9ELNS1_11target_archE1100ELNS1_3gpuE3ELNS1_3repE0EEENS1_30default_config_static_selectorELNS0_4arch9wavefront6targetE0EEEvT1_,comdat
	.globl	_ZN7rocprim17ROCPRIM_400000_NS6detail17trampoline_kernelINS0_14default_configENS1_20scan_config_selectorIN3c107complexIfEEEEZZNS1_9scan_implILNS1_25lookback_scan_determinismE0ELb0ELb0ES3_PKS7_PS7_S7_ZZZN2at6native31launch_logcumsumexp_cuda_kernelERKNSE_10TensorBaseESI_lENKUlvE_clEvENKUlvE2_clEvEUlS7_S7_E_S7_EEDaPvRmT3_T4_T5_mT6_P12ihipStream_tbENKUlT_T0_E_clISt17integral_constantIbLb0EESZ_EEDaSU_SV_EUlSU_E_NS1_11comp_targetILNS1_3genE9ELNS1_11target_archE1100ELNS1_3gpuE3ELNS1_3repE0EEENS1_30default_config_static_selectorELNS0_4arch9wavefront6targetE0EEEvT1_ ; -- Begin function _ZN7rocprim17ROCPRIM_400000_NS6detail17trampoline_kernelINS0_14default_configENS1_20scan_config_selectorIN3c107complexIfEEEEZZNS1_9scan_implILNS1_25lookback_scan_determinismE0ELb0ELb0ES3_PKS7_PS7_S7_ZZZN2at6native31launch_logcumsumexp_cuda_kernelERKNSE_10TensorBaseESI_lENKUlvE_clEvENKUlvE2_clEvEUlS7_S7_E_S7_EEDaPvRmT3_T4_T5_mT6_P12ihipStream_tbENKUlT_T0_E_clISt17integral_constantIbLb0EESZ_EEDaSU_SV_EUlSU_E_NS1_11comp_targetILNS1_3genE9ELNS1_11target_archE1100ELNS1_3gpuE3ELNS1_3repE0EEENS1_30default_config_static_selectorELNS0_4arch9wavefront6targetE0EEEvT1_
	.p2align	8
	.type	_ZN7rocprim17ROCPRIM_400000_NS6detail17trampoline_kernelINS0_14default_configENS1_20scan_config_selectorIN3c107complexIfEEEEZZNS1_9scan_implILNS1_25lookback_scan_determinismE0ELb0ELb0ES3_PKS7_PS7_S7_ZZZN2at6native31launch_logcumsumexp_cuda_kernelERKNSE_10TensorBaseESI_lENKUlvE_clEvENKUlvE2_clEvEUlS7_S7_E_S7_EEDaPvRmT3_T4_T5_mT6_P12ihipStream_tbENKUlT_T0_E_clISt17integral_constantIbLb0EESZ_EEDaSU_SV_EUlSU_E_NS1_11comp_targetILNS1_3genE9ELNS1_11target_archE1100ELNS1_3gpuE3ELNS1_3repE0EEENS1_30default_config_static_selectorELNS0_4arch9wavefront6targetE0EEEvT1_,@function
_ZN7rocprim17ROCPRIM_400000_NS6detail17trampoline_kernelINS0_14default_configENS1_20scan_config_selectorIN3c107complexIfEEEEZZNS1_9scan_implILNS1_25lookback_scan_determinismE0ELb0ELb0ES3_PKS7_PS7_S7_ZZZN2at6native31launch_logcumsumexp_cuda_kernelERKNSE_10TensorBaseESI_lENKUlvE_clEvENKUlvE2_clEvEUlS7_S7_E_S7_EEDaPvRmT3_T4_T5_mT6_P12ihipStream_tbENKUlT_T0_E_clISt17integral_constantIbLb0EESZ_EEDaSU_SV_EUlSU_E_NS1_11comp_targetILNS1_3genE9ELNS1_11target_archE1100ELNS1_3gpuE3ELNS1_3repE0EEENS1_30default_config_static_selectorELNS0_4arch9wavefront6targetE0EEEvT1_: ; @_ZN7rocprim17ROCPRIM_400000_NS6detail17trampoline_kernelINS0_14default_configENS1_20scan_config_selectorIN3c107complexIfEEEEZZNS1_9scan_implILNS1_25lookback_scan_determinismE0ELb0ELb0ES3_PKS7_PS7_S7_ZZZN2at6native31launch_logcumsumexp_cuda_kernelERKNSE_10TensorBaseESI_lENKUlvE_clEvENKUlvE2_clEvEUlS7_S7_E_S7_EEDaPvRmT3_T4_T5_mT6_P12ihipStream_tbENKUlT_T0_E_clISt17integral_constantIbLb0EESZ_EEDaSU_SV_EUlSU_E_NS1_11comp_targetILNS1_3genE9ELNS1_11target_archE1100ELNS1_3gpuE3ELNS1_3repE0EEENS1_30default_config_static_selectorELNS0_4arch9wavefront6targetE0EEEvT1_
; %bb.0:
	s_mov_b64 s[8:9], s[0:1]
	s_clause 0x1
	s_load_b256 s[16:23], s[0:1], 0x0
	s_load_b32 s0, s[0:1], 0x38
	v_mov_b32_e32 v59, v0
	s_mov_b32 s1, 0
	s_mov_b32 s32, 0
	s_delay_alu instid0(VALU_DEP_1)
	v_lshlrev_b32_e32 v109, 3, v59
	v_lshrrev_b32_e32 v32, 2, v59
	v_or_b32_e32 v108, 0x100, v59
	v_or_b32_e32 v107, 0x200, v59
	;; [unrolled: 1-line block ×11, first 2 shown]
	s_waitcnt lgkmcnt(0)
	s_lshl_b64 s[24:25], s[18:19], 3
	v_or_b32_e32 v97, 0xc00, v59
	s_add_u32 s2, s16, s24
	s_addc_u32 s3, s17, s25
	s_add_i32 s4, s0, -1
	s_lshl_b32 s0, s15, 12
	s_lshl_b32 s5, s4, 12
	v_or_b32_e32 v96, 0xd00, v59
	s_sub_u32 s28, s22, s5
	s_subb_u32 s29, s23, 0
	s_cmp_lg_u32 s15, s4
	v_or_b32_e32 v95, 0xe00, v59
	s_cselect_b32 s33, -1, 0
	s_lshl_b64 s[22:23], s[0:1], 3
	v_or_b32_e32 v94, 0xf00, v59
	s_add_u32 s2, s2, s22
	s_addc_u32 s3, s3, s23
	s_and_b32 vcc_lo, exec_lo, s33
	s_mov_b32 s1, -1
	s_cbranch_vccz .LBB275_2
; %bb.1:
	v_add_co_u32 v26, s0, s2, v109
	s_delay_alu instid0(VALU_DEP_1)
	v_add_co_ci_u32_e64 v27, null, s3, 0, s0
	s_clause 0x1
	global_load_b64 v[0:1], v109, s[2:3]
	global_load_b64 v[2:3], v109, s[2:3] offset:2048
	v_add_co_u32 v4, vcc_lo, 0x1000, v26
	v_add_co_ci_u32_e32 v5, vcc_lo, 0, v27, vcc_lo
	v_add_co_u32 v6, vcc_lo, v26, 0x2000
	v_add_co_ci_u32_e32 v7, vcc_lo, 0, v27, vcc_lo
	;; [unrolled: 2-line block ×10, first 2 shown]
	s_clause 0xd
	global_load_b64 v[16:17], v[6:7], off offset:-4096
	global_load_b64 v[6:7], v[6:7], off
	global_load_b64 v[18:19], v[12:13], off offset:-4096
	global_load_b64 v[12:13], v[12:13], off
	global_load_b64 v[4:5], v[4:5], off offset:2048
	global_load_b64 v[8:9], v[8:9], off offset:2048
	global_load_b64 v[10:11], v[10:11], off offset:2048
	global_load_b64 v[14:15], v[14:15], off offset:2048
	global_load_b64 v[28:29], v[22:23], off offset:-4096
	global_load_b64 v[20:21], v[20:21], off offset:2048
	global_load_b64 v[22:23], v[22:23], off
	global_load_b64 v[24:25], v[24:25], off offset:2048
	global_load_b64 v[30:31], v[26:27], off
	global_load_b64 v[26:27], v[26:27], off offset:2048
	v_lshrrev_b32_e32 v34, 2, v108
	v_lshrrev_b32_e32 v35, 2, v107
	;; [unrolled: 1-line block ×4, first 2 shown]
	v_and_b32_e32 v33, 56, v32
	v_lshrrev_b32_e32 v38, 2, v104
	v_lshrrev_b32_e32 v39, 2, v103
	;; [unrolled: 1-line block ×11, first 2 shown]
	v_and_b32_e32 v34, 0x78, v34
	v_and_b32_e32 v35, 0xb8, v35
	;; [unrolled: 1-line block ×4, first 2 shown]
	v_add_nc_u32_e32 v33, v33, v109
	v_and_b32_e32 v38, 0x178, v38
	v_and_b32_e32 v39, 0x1b8, v39
	v_and_b32_e32 v40, 0x1f8, v40
	v_and_b32_e32 v41, 0x238, v41
	v_and_b32_e32 v42, 0x278, v42
	v_and_b32_e32 v43, 0x2b8, v43
	v_and_b32_e32 v44, 0x2f8, v44
	v_and_b32_e32 v45, 0x338, v45
	v_and_b32_e32 v46, 0x378, v46
	v_and_b32_e32 v47, 0x3b8, v47
	v_and_b32_e32 v48, 0x3f8, v48
	v_add_nc_u32_e32 v34, v34, v109
	v_add_nc_u32_e32 v35, v35, v109
	;; [unrolled: 1-line block ×4, first 2 shown]
	s_mov_b32 s1, 0
	v_add_nc_u32_e32 v38, v38, v109
	v_add_nc_u32_e32 v39, v39, v109
	;; [unrolled: 1-line block ×11, first 2 shown]
	s_waitcnt vmcnt(15)
	ds_store_b64 v33, v[0:1]
	s_waitcnt vmcnt(14)
	ds_store_b64 v34, v[2:3] offset:2048
	s_waitcnt vmcnt(13)
	ds_store_b64 v35, v[16:17] offset:4096
	;; [unrolled: 2-line block ×3, first 2 shown]
	ds_store_b64 v37, v[6:7] offset:8192
	s_waitcnt vmcnt(8)
	ds_store_b64 v38, v[8:9] offset:10240
	ds_store_b64 v39, v[18:19] offset:12288
	s_waitcnt vmcnt(7)
	ds_store_b64 v40, v[10:11] offset:14336
	;; [unrolled: 3-line block ×3, first 2 shown]
	s_waitcnt vmcnt(5)
	ds_store_b64 v43, v[28:29] offset:20480
	s_waitcnt vmcnt(4)
	ds_store_b64 v44, v[20:21] offset:22528
	;; [unrolled: 2-line block ×6, first 2 shown]
	s_waitcnt lgkmcnt(0)
	s_barrier
.LBB275_2:
	s_load_b64 s[26:27], s[8:9], 0x30
	v_cmp_gt_u32_e64 s0, s28, v59
	s_and_not1_b32 vcc_lo, exec_lo, s1
	s_cbranch_vccnz .LBB275_36
; %bb.3:
	s_load_b64 s[4:5], s[2:3], 0x0
	s_waitcnt lgkmcnt(0)
	v_dual_mov_b32 v1, s5 :: v_dual_mov_b32 v0, s4
	s_and_saveexec_b32 s1, s0
	s_cbranch_execz .LBB275_5
; %bb.4:
	global_load_b64 v[0:1], v109, s[2:3]
.LBB275_5:
	s_or_b32 exec_lo, exec_lo, s1
	v_dual_mov_b32 v3, s5 :: v_dual_mov_b32 v2, s4
	s_mov_b32 s0, exec_lo
	v_cmpx_gt_u32_e64 s28, v108
	s_cbranch_execz .LBB275_7
; %bb.6:
	global_load_b64 v[2:3], v109, s[2:3] offset:2048
.LBB275_7:
	s_or_b32 exec_lo, exec_lo, s0
	v_dual_mov_b32 v5, s5 :: v_dual_mov_b32 v4, s4
	s_mov_b32 s0, exec_lo
	v_cmpx_gt_u32_e64 s28, v107
	s_cbranch_execz .LBB275_9
; %bb.8:
	v_lshlrev_b32_e32 v4, 3, v107
	global_load_b64 v[4:5], v4, s[2:3]
.LBB275_9:
	s_or_b32 exec_lo, exec_lo, s0
	v_dual_mov_b32 v9, s5 :: v_dual_mov_b32 v8, s4
	s_mov_b32 s0, exec_lo
	v_cmpx_gt_u32_e64 s28, v106
	s_cbranch_execz .LBB275_11
; %bb.10:
	v_lshlrev_b32_e32 v6, 3, v106
	global_load_b64 v[8:9], v6, s[2:3]
.LBB275_11:
	;; [unrolled: 9-line block ×14, first 2 shown]
	s_or_b32 exec_lo, exec_lo, s0
	v_lshrrev_b32_e32 v33, 2, v108
	v_lshrrev_b32_e32 v34, 2, v107
	;; [unrolled: 1-line block ×3, first 2 shown]
	v_and_b32_e32 v32, 56, v32
	v_lshrrev_b32_e32 v36, 2, v105
	v_and_b32_e32 v33, 0x78, v33
	v_and_b32_e32 v34, 0xf8, v34
	;; [unrolled: 1-line block ×3, first 2 shown]
	v_lshrrev_b32_e32 v37, 2, v104
	v_add_nc_u32_e32 v32, v32, v109
	v_add_nc_u32_e32 v33, v33, v109
	v_lshrrev_b32_e32 v38, 2, v103
	v_add_nc_u32_e32 v34, v34, v109
	v_lshrrev_b32_e32 v39, 2, v102
	v_add_nc_u32_e32 v35, v35, v109
	v_and_b32_e32 v36, 0x1f8, v36
	v_and_b32_e32 v37, 0x1f8, v37
	s_waitcnt vmcnt(0)
	ds_store_b64 v32, v[0:1]
	ds_store_b64 v33, v[2:3] offset:2048
	ds_store_b64 v34, v[4:5] offset:4096
	;; [unrolled: 1-line block ×3, first 2 shown]
	v_lshrrev_b32_e32 v4, 2, v101
	v_and_b32_e32 v2, 0x1f8, v38
	v_lshrrev_b32_e32 v5, 2, v100
	v_and_b32_e32 v3, 0x1f8, v39
	v_add_nc_u32_e32 v0, v36, v109
	v_add_nc_u32_e32 v1, v37, v109
	v_and_b32_e32 v4, 0x3f8, v4
	v_add_nc_u32_e32 v2, v2, v109
	v_and_b32_e32 v5, 0x3f8, v5
	v_add_nc_u32_e32 v3, v3, v109
	v_lshrrev_b32_e32 v8, 2, v99
	ds_store_b64 v0, v[6:7] offset:8192
	ds_store_b64 v1, v[10:11] offset:10240
	;; [unrolled: 1-line block ×4, first 2 shown]
	v_lshrrev_b32_e32 v3, 2, v98
	v_add_nc_u32_e32 v0, v4, v109
	v_lshrrev_b32_e32 v4, 2, v97
	v_add_nc_u32_e32 v1, v5, v109
	v_lshrrev_b32_e32 v5, 2, v96
	v_lshrrev_b32_e32 v6, 2, v95
	;; [unrolled: 1-line block ×3, first 2 shown]
	v_and_b32_e32 v8, 0x3f8, v8
	v_and_b32_e32 v3, 0x3f8, v3
	v_and_b32_e32 v4, 0x3f8, v4
	v_and_b32_e32 v5, 0x3f8, v5
	v_and_b32_e32 v6, 0x3f8, v6
	v_and_b32_e32 v7, 0x3f8, v7
	v_add_nc_u32_e32 v2, v8, v109
	v_add_nc_u32_e32 v3, v3, v109
	;; [unrolled: 1-line block ×6, first 2 shown]
	ds_store_b64 v0, v[12:13] offset:16384
	ds_store_b64 v1, v[16:17] offset:18432
	;; [unrolled: 1-line block ×8, first 2 shown]
	s_waitcnt lgkmcnt(0)
	s_barrier
.LBB275_36:
	v_lshlrev_b32_e32 v0, 4, v59
	v_lshrrev_b32_e32 v110, 1, v59
	s_waitcnt lgkmcnt(0)
	buffer_gl0_inv
	s_cmp_lg_u32 s15, 0
	v_add_lshl_u32 v0, v110, v0, 3
	ds_load_2addr_b64 v[22:25], v0 offset1:1
	ds_load_2addr_b64 v[50:53], v0 offset0:2 offset1:3
	ds_load_2addr_b64 v[46:49], v0 offset0:4 offset1:5
	;; [unrolled: 1-line block ×7, first 2 shown]
	s_waitcnt lgkmcnt(0)
	s_barrier
	buffer_gl0_inv
	s_cbranch_scc0 .LBB275_88
; %bb.37:
	v_dual_mov_b32 v0, v22 :: v_dual_mov_b32 v1, v23
	v_dual_mov_b32 v2, v24 :: v_dual_mov_b32 v3, v25
	s_getpc_b64 s[10:11]
	s_add_u32 s10, s10, _ZZZZN2at6native31launch_logcumsumexp_cuda_kernelERKNS_10TensorBaseES3_lENKUlvE_clEvENKUlvE2_clEvENKUlN3c107complexIfEES8_E_clES8_S8_@rel32@lo+4
	s_addc_u32 s11, s11, _ZZZZN2at6native31launch_logcumsumexp_cuda_kernelERKNS_10TensorBaseES3_lENKUlvE_clEvENKUlvE2_clEvENKUlN3c107complexIfEES8_E_clES8_S8_@rel32@hi+12
	s_delay_alu instid0(SALU_CYCLE_1)
	s_swappc_b64 s[30:31], s[10:11]
	v_dual_mov_b32 v2, v50 :: v_dual_mov_b32 v3, v51
	s_swappc_b64 s[30:31], s[10:11]
	v_dual_mov_b32 v2, v52 :: v_dual_mov_b32 v3, v53
	;; [unrolled: 2-line block ×15, first 2 shown]
	v_lshrrev_b32_e32 v0, 5, v59
	v_cmp_gt_u32_e64 s12, 32, v59
	s_delay_alu instid0(VALU_DEP_2)
	v_add_lshl_u32 v0, v0, v59, 3
	ds_store_b64 v0, v[60:61]
	s_waitcnt lgkmcnt(0)
	s_waitcnt_vscnt null, 0x0
	s_barrier
	buffer_gl0_inv
	s_and_saveexec_b32 s13, s12
	s_cbranch_execz .LBB275_49
; %bb.38:
	v_lshlrev_b32_e32 v0, 1, v59
	s_delay_alu instid0(VALU_DEP_1) | instskip(NEXT) | instid1(VALU_DEP_1)
	v_and_b32_e32 v0, 0x1f8, v0
	v_lshl_or_b32 v58, v59, 6, v0
	ds_load_b64 v[54:55], v58
	ds_load_2addr_b64 v[62:65], v58 offset0:1 offset1:2
	s_waitcnt lgkmcnt(0)
	v_dual_mov_b32 v0, v54 :: v_dual_mov_b32 v3, v63
	v_dual_mov_b32 v1, v55 :: v_dual_mov_b32 v2, v62
	s_swappc_b64 s[30:31], s[10:11]
	v_dual_mov_b32 v2, v64 :: v_dual_mov_b32 v3, v65
	s_swappc_b64 s[30:31], s[10:11]
	ds_load_2addr_b64 v[62:65], v58 offset0:3 offset1:4
	s_waitcnt lgkmcnt(0)
	v_dual_mov_b32 v2, v62 :: v_dual_mov_b32 v3, v63
	s_swappc_b64 s[30:31], s[10:11]
	v_dual_mov_b32 v2, v64 :: v_dual_mov_b32 v3, v65
	s_swappc_b64 s[30:31], s[10:11]
	ds_load_2addr_b64 v[62:65], v58 offset0:5 offset1:6
	s_waitcnt lgkmcnt(0)
	v_dual_mov_b32 v2, v62 :: v_dual_mov_b32 v3, v63
	s_swappc_b64 s[30:31], s[10:11]
	v_dual_mov_b32 v2, v64 :: v_dual_mov_b32 v3, v65
	s_swappc_b64 s[30:31], s[10:11]
	ds_load_b64 v[2:3], v58 offset:56
	s_swappc_b64 s[30:31], s[10:11]
	v_dual_mov_b32 v2, v0 :: v_dual_mov_b32 v3, v1
	v_mbcnt_lo_u32_b32 v56, -1, 0
	s_mov_b32 s10, exec_lo
	s_delay_alu instid0(VALU_DEP_2) | instskip(NEXT) | instid1(VALU_DEP_3)
	v_mov_b32_dpp v0, v2 row_shr:1 row_mask:0xf bank_mask:0xf
	v_mov_b32_dpp v1, v3 row_shr:1 row_mask:0xf bank_mask:0xf
	s_delay_alu instid0(VALU_DEP_3) | instskip(NEXT) | instid1(VALU_DEP_1)
	v_and_b32_e32 v57, 15, v56
	v_cmpx_ne_u32_e32 0, v57
	s_cbranch_execz .LBB275_40
; %bb.39:
	s_getpc_b64 s[0:1]
	s_add_u32 s0, s0, _ZZZZN2at6native31launch_logcumsumexp_cuda_kernelERKNS_10TensorBaseES3_lENKUlvE_clEvENKUlvE2_clEvENKUlN3c107complexIfEES8_E_clES8_S8_@rel32@lo+4
	s_addc_u32 s1, s1, _ZZZZN2at6native31launch_logcumsumexp_cuda_kernelERKNS_10TensorBaseES3_lENKUlvE_clEvENKUlvE2_clEvENKUlN3c107complexIfEES8_E_clES8_S8_@rel32@hi+12
	s_delay_alu instid0(SALU_CYCLE_1)
	s_swappc_b64 s[30:31], s[0:1]
	v_dual_mov_b32 v2, v0 :: v_dual_mov_b32 v3, v1
.LBB275_40:
	s_or_b32 exec_lo, exec_lo, s10
	s_delay_alu instid0(VALU_DEP_1) | instskip(NEXT) | instid1(VALU_DEP_2)
	v_mov_b32_dpp v0, v2 row_shr:2 row_mask:0xf bank_mask:0xf
	v_mov_b32_dpp v1, v3 row_shr:2 row_mask:0xf bank_mask:0xf
	s_mov_b32 s10, exec_lo
	v_cmpx_lt_u32_e32 1, v57
	s_cbranch_execz .LBB275_42
; %bb.41:
	s_getpc_b64 s[0:1]
	s_add_u32 s0, s0, _ZZZZN2at6native31launch_logcumsumexp_cuda_kernelERKNS_10TensorBaseES3_lENKUlvE_clEvENKUlvE2_clEvENKUlN3c107complexIfEES8_E_clES8_S8_@rel32@lo+4
	s_addc_u32 s1, s1, _ZZZZN2at6native31launch_logcumsumexp_cuda_kernelERKNS_10TensorBaseES3_lENKUlvE_clEvENKUlvE2_clEvENKUlN3c107complexIfEES8_E_clES8_S8_@rel32@hi+12
	s_delay_alu instid0(SALU_CYCLE_1)
	s_swappc_b64 s[30:31], s[0:1]
	v_dual_mov_b32 v2, v0 :: v_dual_mov_b32 v3, v1
.LBB275_42:
	s_or_b32 exec_lo, exec_lo, s10
	s_delay_alu instid0(VALU_DEP_1) | instskip(NEXT) | instid1(VALU_DEP_2)
	v_mov_b32_dpp v0, v2 row_shr:4 row_mask:0xf bank_mask:0xf
	v_mov_b32_dpp v1, v3 row_shr:4 row_mask:0xf bank_mask:0xf
	s_mov_b32 s10, exec_lo
	v_cmpx_lt_u32_e32 3, v57
	;; [unrolled: 15-line block ×3, first 2 shown]
	s_cbranch_execz .LBB275_46
; %bb.45:
	s_getpc_b64 s[0:1]
	s_add_u32 s0, s0, _ZZZZN2at6native31launch_logcumsumexp_cuda_kernelERKNS_10TensorBaseES3_lENKUlvE_clEvENKUlvE2_clEvENKUlN3c107complexIfEES8_E_clES8_S8_@rel32@lo+4
	s_addc_u32 s1, s1, _ZZZZN2at6native31launch_logcumsumexp_cuda_kernelERKNS_10TensorBaseES3_lENKUlvE_clEvENKUlvE2_clEvENKUlN3c107complexIfEES8_E_clES8_S8_@rel32@hi+12
	s_delay_alu instid0(SALU_CYCLE_1)
	s_swappc_b64 s[30:31], s[0:1]
	v_dual_mov_b32 v2, v0 :: v_dual_mov_b32 v3, v1
.LBB275_46:
	s_or_b32 exec_lo, exec_lo, s10
	ds_swizzle_b32 v0, v2 offset:swizzle(BROADCAST,32,15)
	ds_swizzle_b32 v1, v3 offset:swizzle(BROADCAST,32,15)
	v_and_b32_e32 v4, 16, v56
	s_mov_b32 s10, exec_lo
	s_delay_alu instid0(VALU_DEP_1)
	v_cmpx_ne_u32_e32 0, v4
	s_cbranch_execz .LBB275_48
; %bb.47:
	s_getpc_b64 s[0:1]
	s_add_u32 s0, s0, _ZZZZN2at6native31launch_logcumsumexp_cuda_kernelERKNS_10TensorBaseES3_lENKUlvE_clEvENKUlvE2_clEvENKUlN3c107complexIfEES8_E_clES8_S8_@rel32@lo+4
	s_addc_u32 s1, s1, _ZZZZN2at6native31launch_logcumsumexp_cuda_kernelERKNS_10TensorBaseES3_lENKUlvE_clEvENKUlvE2_clEvENKUlN3c107complexIfEES8_E_clES8_S8_@rel32@hi+12
	s_delay_alu instid0(SALU_CYCLE_1)
	s_swappc_b64 s[30:31], s[0:1]
	v_dual_mov_b32 v2, v0 :: v_dual_mov_b32 v3, v1
.LBB275_48:
	s_or_b32 exec_lo, exec_lo, s10
	s_waitcnt lgkmcnt(1)
	v_add_nc_u32_e32 v0, -1, v56
	s_getpc_b64 s[10:11]
	s_add_u32 s10, s10, _ZZZZN2at6native31launch_logcumsumexp_cuda_kernelERKNS_10TensorBaseES3_lENKUlvE_clEvENKUlvE2_clEvENKUlN3c107complexIfEES8_E_clES8_S8_@rel32@lo+4
	s_addc_u32 s11, s11, _ZZZZN2at6native31launch_logcumsumexp_cuda_kernelERKNS_10TensorBaseES3_lENKUlvE_clEvENKUlvE2_clEvENKUlN3c107complexIfEES8_E_clES8_S8_@rel32@hi+12
	s_delay_alu instid0(VALU_DEP_1) | instskip(SKIP_2) | instid1(VALU_DEP_1)
	v_cmp_gt_i32_e32 vcc_lo, 0, v0
	v_cndmask_b32_e32 v0, v0, v56, vcc_lo
	s_waitcnt lgkmcnt(0)
	v_lshlrev_b32_e32 v1, 2, v0
	ds_bpermute_b32 v0, v1, v2
	v_mov_b32_e32 v2, v54
	ds_bpermute_b32 v1, v1, v3
	v_mov_b32_e32 v3, v55
	s_swappc_b64 s[30:31], s[10:11]
	v_cmp_eq_u32_e32 vcc_lo, 0, v59
	; wave barrier
	v_dual_cndmask_b32 v0, v0, v60 :: v_dual_cndmask_b32 v1, v1, v61
	ds_store_b64 v58, v[0:1]
	; wave barrier
	ds_load_2addr_b64 v[54:57], v58 offset0:1 offset1:2
	s_waitcnt lgkmcnt(0)
	v_dual_mov_b32 v2, v54 :: v_dual_mov_b32 v3, v55
	s_swappc_b64 s[30:31], s[10:11]
	v_dual_mov_b32 v2, v56 :: v_dual_mov_b32 v3, v57
	v_dual_mov_b32 v62, v0 :: v_dual_mov_b32 v63, v1
	s_swappc_b64 s[30:31], s[10:11]
	ds_load_2addr_b64 v[54:57], v58 offset0:3 offset1:4
	ds_store_2addr_b64 v58, v[62:63], v[0:1] offset0:1 offset1:2
	s_waitcnt lgkmcnt(1)
	v_dual_mov_b32 v2, v54 :: v_dual_mov_b32 v3, v55
	s_swappc_b64 s[30:31], s[10:11]
	v_dual_mov_b32 v2, v56 :: v_dual_mov_b32 v3, v57
	v_dual_mov_b32 v62, v0 :: v_dual_mov_b32 v63, v1
	s_swappc_b64 s[30:31], s[10:11]
	ds_load_2addr_b64 v[54:57], v58 offset0:5 offset1:6
	ds_store_2addr_b64 v58, v[62:63], v[0:1] offset0:3 offset1:4
	s_waitcnt lgkmcnt(1)
	v_dual_mov_b32 v2, v54 :: v_dual_mov_b32 v3, v55
	s_swappc_b64 s[30:31], s[10:11]
	v_dual_mov_b32 v2, v56 :: v_dual_mov_b32 v3, v57
	v_dual_mov_b32 v54, v0 :: v_dual_mov_b32 v55, v1
	s_swappc_b64 s[30:31], s[10:11]
	ds_load_b64 v[2:3], v58 offset:56
	ds_store_2addr_b64 v58, v[54:55], v[0:1] offset0:5 offset1:6
	s_swappc_b64 s[30:31], s[10:11]
	ds_store_b64 v58, v[0:1] offset:56
.LBB275_49:
	s_or_b32 exec_lo, exec_lo, s13
	v_cmp_eq_u32_e64 s11, 0, v59
	v_cmp_ne_u32_e64 s10, 0, v59
	s_waitcnt lgkmcnt(0)
	s_waitcnt_vscnt null, 0x0
	s_barrier
	buffer_gl0_inv
	s_and_saveexec_b32 s0, s10
	s_cbranch_execz .LBB275_51
; %bb.50:
	v_add_nc_u32_e32 v0, -1, v59
	s_delay_alu instid0(VALU_DEP_1) | instskip(NEXT) | instid1(VALU_DEP_1)
	v_lshrrev_b32_e32 v1, 5, v0
	v_add_lshl_u32 v0, v1, v0, 3
	ds_load_b64 v[60:61], v0
.LBB275_51:
	s_or_b32 exec_lo, exec_lo, s0
	s_and_saveexec_b32 s13, s12
	s_cbranch_execz .LBB275_93
; %bb.52:
	v_mov_b32_e32 v57, 0
	v_mbcnt_lo_u32_b32 v67, -1, 0
	s_mov_b32 s1, 0
	ds_load_b64 v[54:55], v57 offset:2096
	v_cmp_eq_u32_e64 s12, 0, v67
	s_waitcnt lgkmcnt(0)
	v_readfirstlane_b32 s14, v55
	s_delay_alu instid0(VALU_DEP_2)
	s_and_saveexec_b32 s2, s12
	s_cbranch_execz .LBB275_54
; %bb.53:
	s_add_i32 s0, s15, 32
	s_mov_b32 s6, s1
	s_lshl_b64 s[4:5], s[0:1], 4
	s_mov_b32 s16, s1
	s_add_u32 s4, s26, s4
	s_addc_u32 s5, s27, s5
	s_and_b32 s7, s14, 0xff000000
	s_and_b32 s17, s14, 0xff0000
	v_dual_mov_b32 v0, s4 :: v_dual_mov_b32 v1, s5
	s_or_b64 s[6:7], s[16:17], s[6:7]
	s_and_b32 s17, s14, 0xff00
	v_mov_b32_e32 v56, 1
	s_or_b64 s[6:7], s[6:7], s[16:17]
	s_and_b32 s17, s14, 0xff
	s_delay_alu instid0(SALU_CYCLE_1) | instskip(NEXT) | instid1(SALU_CYCLE_1)
	s_or_b64 s[0:1], s[6:7], s[16:17]
	v_mov_b32_e32 v55, s1
	;;#ASMSTART
	global_store_dwordx4 v[0:1], v[54:57] off	
s_waitcnt vmcnt(0)
	;;#ASMEND
.LBB275_54:
	s_or_b32 exec_lo, exec_lo, s2
	v_xad_u32 v65, v67, -1, s15
	s_mov_b32 s0, exec_lo
	s_delay_alu instid0(VALU_DEP_1) | instskip(NEXT) | instid1(VALU_DEP_1)
	v_add_nc_u32_e32 v56, 32, v65
	v_lshlrev_b64 v[0:1], 4, v[56:57]
	s_delay_alu instid0(VALU_DEP_1) | instskip(NEXT) | instid1(VALU_DEP_2)
	v_add_co_u32 v0, vcc_lo, s26, v0
	v_add_co_ci_u32_e32 v1, vcc_lo, s27, v1, vcc_lo
	;;#ASMSTART
	global_load_dwordx4 v[55:58], v[0:1] off glc	
s_waitcnt vmcnt(0)
	;;#ASMEND
	v_perm_b32 v2, v56, v57, 0x70605
	v_perm_b32 v3, v56, v57, 0x1000706
	;; [unrolled: 1-line block ×3, first 2 shown]
	v_and_b32_e32 v5, 0xff, v57
	s_delay_alu instid0(VALU_DEP_4) | instskip(NEXT) | instid1(VALU_DEP_4)
	v_lshlrev_b32_e32 v2, 8, v2
	v_lshlrev_b32_e32 v3, 16, v3
	s_delay_alu instid0(VALU_DEP_4) | instskip(NEXT) | instid1(VALU_DEP_3)
	v_lshlrev_b32_e32 v4, 24, v4
	v_perm_b32 v2, v2, v56, 0xc0c0500
	s_delay_alu instid0(VALU_DEP_3) | instskip(NEXT) | instid1(VALU_DEP_1)
	v_and_b32_e32 v3, 0xff0000, v3
	v_or3_b32 v58, v2, v3, v4
	v_cmpx_eq_u16_e32 0, v5
	s_cbranch_execz .LBB275_58
; %bb.55:
	s_mov_b32 s1, 0
.LBB275_56:                             ; =>This Inner Loop Header: Depth=1
	;;#ASMSTART
	global_load_dwordx4 v[55:58], v[0:1] off glc	
s_waitcnt vmcnt(0)
	;;#ASMEND
	v_and_b32_e32 v2, 0xff, v57
	s_delay_alu instid0(VALU_DEP_1) | instskip(SKIP_1) | instid1(SALU_CYCLE_1)
	v_cmp_ne_u16_e32 vcc_lo, 0, v2
	s_or_b32 s1, vcc_lo, s1
	s_and_not1_b32 exec_lo, exec_lo, s1
	s_cbranch_execnz .LBB275_56
; %bb.57:
	s_or_b32 exec_lo, exec_lo, s1
	v_perm_b32 v0, v56, v57, 0x70605
	v_perm_b32 v1, v56, v57, 0x1000706
	;; [unrolled: 1-line block ×3, first 2 shown]
	s_delay_alu instid0(VALU_DEP_3) | instskip(NEXT) | instid1(VALU_DEP_3)
	v_lshlrev_b32_e32 v0, 8, v0
	v_lshlrev_b32_e32 v1, 16, v1
	s_delay_alu instid0(VALU_DEP_3) | instskip(NEXT) | instid1(VALU_DEP_3)
	v_lshlrev_b32_e32 v2, 24, v2
	v_perm_b32 v0, v0, v56, 0xc0c0500
	s_delay_alu instid0(VALU_DEP_3) | instskip(NEXT) | instid1(VALU_DEP_1)
	v_and_b32_e32 v1, 0xff0000, v1
	v_or3_b32 v58, v0, v1, v2
.LBB275_58:
	s_or_b32 exec_lo, exec_lo, s0
	v_cmp_ne_u32_e32 vcc_lo, 31, v67
	v_and_b32_e32 v1, 0xff, v57
	v_lshlrev_b32_e64 v69, v67, -1
	s_mov_b32 s16, exec_lo
	v_add_co_ci_u32_e32 v0, vcc_lo, 0, v67, vcc_lo
	s_delay_alu instid0(VALU_DEP_3) | instskip(NEXT) | instid1(VALU_DEP_2)
	v_cmp_eq_u16_e32 vcc_lo, 2, v1
	v_lshlrev_b32_e32 v68, 2, v0
	v_and_or_b32 v2, vcc_lo, v69, 0x80000000
	ds_bpermute_b32 v0, v68, v55
	ds_bpermute_b32 v1, v68, v58
	v_ctz_i32_b32_e32 v62, v2
	s_delay_alu instid0(VALU_DEP_1)
	v_cmpx_lt_u32_e64 v67, v62
	s_cbranch_execz .LBB275_60
; %bb.59:
	v_dual_mov_b32 v2, v55 :: v_dual_mov_b32 v3, v58
	s_getpc_b64 s[0:1]
	s_add_u32 s0, s0, _ZZZZN2at6native31launch_logcumsumexp_cuda_kernelERKNS_10TensorBaseES3_lENKUlvE_clEvENKUlvE2_clEvENKUlN3c107complexIfEES8_E_clES8_S8_@rel32@lo+4
	s_addc_u32 s1, s1, _ZZZZN2at6native31launch_logcumsumexp_cuda_kernelERKNS_10TensorBaseES3_lENKUlvE_clEvENKUlvE2_clEvENKUlN3c107complexIfEES8_E_clES8_S8_@rel32@hi+12
	s_delay_alu instid0(SALU_CYCLE_1)
	s_swappc_b64 s[30:31], s[0:1]
	v_dual_mov_b32 v55, v0 :: v_dual_mov_b32 v58, v1
.LBB275_60:
	s_or_b32 exec_lo, exec_lo, s16
	v_cmp_gt_u32_e32 vcc_lo, 30, v67
	v_add_nc_u32_e32 v71, 2, v67
	s_mov_b32 s16, exec_lo
	s_waitcnt lgkmcnt(1)
	v_cndmask_b32_e64 v0, 0, 1, vcc_lo
	s_delay_alu instid0(VALU_DEP_1) | instskip(NEXT) | instid1(VALU_DEP_1)
	v_lshlrev_b32_e32 v0, 1, v0
	v_add_lshl_u32 v70, v0, v67, 2
	ds_bpermute_b32 v0, v70, v55
	s_waitcnt lgkmcnt(1)
	ds_bpermute_b32 v1, v70, v58
	v_cmpx_le_u32_e64 v71, v62
	s_cbranch_execz .LBB275_62
; %bb.61:
	v_dual_mov_b32 v2, v55 :: v_dual_mov_b32 v3, v58
	s_getpc_b64 s[0:1]
	s_add_u32 s0, s0, _ZZZZN2at6native31launch_logcumsumexp_cuda_kernelERKNS_10TensorBaseES3_lENKUlvE_clEvENKUlvE2_clEvENKUlN3c107complexIfEES8_E_clES8_S8_@rel32@lo+4
	s_addc_u32 s1, s1, _ZZZZN2at6native31launch_logcumsumexp_cuda_kernelERKNS_10TensorBaseES3_lENKUlvE_clEvENKUlvE2_clEvENKUlN3c107complexIfEES8_E_clES8_S8_@rel32@hi+12
	s_delay_alu instid0(SALU_CYCLE_1)
	s_swappc_b64 s[30:31], s[0:1]
	v_dual_mov_b32 v55, v0 :: v_dual_mov_b32 v58, v1
.LBB275_62:
	s_or_b32 exec_lo, exec_lo, s16
	v_cmp_gt_u32_e32 vcc_lo, 28, v67
	v_add_nc_u32_e32 v73, 4, v67
	s_mov_b32 s16, exec_lo
	s_waitcnt lgkmcnt(1)
	v_cndmask_b32_e64 v0, 0, 1, vcc_lo
	s_delay_alu instid0(VALU_DEP_1) | instskip(NEXT) | instid1(VALU_DEP_1)
	v_lshlrev_b32_e32 v0, 2, v0
	v_add_lshl_u32 v72, v0, v67, 2
	ds_bpermute_b32 v0, v72, v55
	s_waitcnt lgkmcnt(1)
	ds_bpermute_b32 v1, v72, v58
	v_cmpx_le_u32_e64 v73, v62
	;; [unrolled: 23-line block ×3, first 2 shown]
	s_cbranch_execz .LBB275_66
; %bb.65:
	v_dual_mov_b32 v2, v55 :: v_dual_mov_b32 v3, v58
	s_getpc_b64 s[0:1]
	s_add_u32 s0, s0, _ZZZZN2at6native31launch_logcumsumexp_cuda_kernelERKNS_10TensorBaseES3_lENKUlvE_clEvENKUlvE2_clEvENKUlN3c107complexIfEES8_E_clES8_S8_@rel32@lo+4
	s_addc_u32 s1, s1, _ZZZZN2at6native31launch_logcumsumexp_cuda_kernelERKNS_10TensorBaseES3_lENKUlvE_clEvENKUlvE2_clEvENKUlN3c107complexIfEES8_E_clES8_S8_@rel32@hi+12
	s_delay_alu instid0(SALU_CYCLE_1)
	s_swappc_b64 s[30:31], s[0:1]
	v_dual_mov_b32 v55, v0 :: v_dual_mov_b32 v58, v1
.LBB275_66:
	s_or_b32 exec_lo, exec_lo, s16
	v_cmp_gt_u32_e32 vcc_lo, 16, v67
	s_delay_alu instid0(VALU_DEP_2)
	v_dual_mov_b32 v64, v55 :: v_dual_add_nc_u32 v77, 16, v67
	v_mov_b32_e32 v66, 0
	s_mov_b32 s17, 0
	s_waitcnt lgkmcnt(1)
	v_cndmask_b32_e64 v0, 0, 1, vcc_lo
                                        ; implicit-def: $sgpr16
	s_waitcnt lgkmcnt(0)
	v_mov_b32_e32 v1, v58
	v_cmp_gt_u32_e64 s0, v77, v62
	s_delay_alu instid0(VALU_DEP_3) | instskip(NEXT) | instid1(VALU_DEP_1)
	v_lshlrev_b32_e32 v0, 4, v0
	v_add_lshl_u32 v76, v0, v67, 2
	v_mov_b32_e32 v0, v64
	ds_bpermute_b32 v55, v76, v55
	ds_bpermute_b32 v56, v76, v58
	s_branch .LBB275_69
.LBB275_67:                             ;   in Loop: Header=BB275_69 Depth=1
	s_or_b32 exec_lo, exec_lo, s16
	v_subrev_nc_u32_e32 v65, 32, v65
	s_mov_b32 s0, 0
.LBB275_68:                             ;   in Loop: Header=BB275_69 Depth=1
	v_mov_b32_e32 v58, v63
	v_mov_b32_e32 v64, v62
	s_and_b32 vcc_lo, exec_lo, s0
	s_mov_b32 s17, 0
                                        ; implicit-def: $sgpr16
                                        ; implicit-def: $vgpr1
                                        ; implicit-def: $vgpr0
	s_cbranch_vccnz .LBB275_89
.LBB275_69:                             ; =>This Loop Header: Depth=1
                                        ;     Child Loop BB275_75 Depth 2
	s_waitcnt lgkmcnt(0)
	v_dual_mov_b32 v62, v0 :: v_dual_mov_b32 v63, v1
	s_xor_b32 s2, s0, -1
	s_or_b32 s16, s16, exec_lo
                                        ; implicit-def: $sgpr1
                                        ; implicit-def: $vgpr0
                                        ; implicit-def: $vgpr1
	s_and_saveexec_b32 s3, s2
	s_delay_alu instid0(SALU_CYCLE_1)
	s_xor_b32 s18, exec_lo, s3
	s_cbranch_execz .LBB275_71
; %bb.70:                               ;   in Loop: Header=BB275_69 Depth=1
	s_waitcnt lgkmcnt(0)
	v_dual_mov_b32 v0, v55 :: v_dual_mov_b32 v1, v56
	v_dual_mov_b32 v2, v64 :: v_dual_mov_b32 v3, v58
	s_getpc_b64 s[0:1]
	s_add_u32 s0, s0, _ZZZZN2at6native31launch_logcumsumexp_cuda_kernelERKNS_10TensorBaseES3_lENKUlvE_clEvENKUlvE2_clEvENKUlN3c107complexIfEES8_E_clES8_S8_@rel32@lo+4
	s_addc_u32 s1, s1, _ZZZZN2at6native31launch_logcumsumexp_cuda_kernelERKNS_10TensorBaseES3_lENKUlvE_clEvENKUlvE2_clEvENKUlN3c107complexIfEES8_E_clES8_S8_@rel32@hi+12
	s_delay_alu instid0(SALU_CYCLE_1)
	s_swappc_b64 s[30:31], s[0:1]
	s_mov_b32 s1, -1
	s_and_not1_b32 s16, s16, exec_lo
                                        ; implicit-def: $sgpr0
.LBB275_71:                             ;   in Loop: Header=BB275_69 Depth=1
	s_or_b32 exec_lo, exec_lo, s18
	s_delay_alu instid0(SALU_CYCLE_1) | instskip(NEXT) | instid1(SALU_CYCLE_1)
	s_and_b32 s2, exec_lo, s16
	s_or_b32 s17, s2, s17
	s_and_not1_b32 s0, s0, exec_lo
	s_and_b32 s1, s1, exec_lo
	s_delay_alu instid0(SALU_CYCLE_1)
	s_or_b32 s0, s0, s1
	s_and_not1_b32 exec_lo, exec_lo, s17
	s_cbranch_execnz .LBB275_69
; %bb.72:                               ;   in Loop: Header=BB275_69 Depth=1
	s_or_b32 exec_lo, exec_lo, s17
	v_and_b32_e32 v0, 0xff, v57
	s_delay_alu instid0(VALU_DEP_1) | instskip(SKIP_2) | instid1(VALU_DEP_1)
	v_cmp_ne_u16_e32 vcc_lo, 2, v0
	v_cndmask_b32_e64 v0, 0, 1, vcc_lo
	;;#ASMSTART
	;;#ASMEND
	v_cmp_ne_u32_e32 vcc_lo, 0, v0
	s_cmp_lg_u32 vcc_lo, exec_lo
	s_cbranch_scc1 .LBB275_87
; %bb.73:                               ;   in Loop: Header=BB275_69 Depth=1
	v_lshlrev_b64 v[0:1], 4, v[65:66]
	s_mov_b32 s0, exec_lo
	s_delay_alu instid0(VALU_DEP_1) | instskip(NEXT) | instid1(VALU_DEP_2)
	v_add_co_u32 v0, vcc_lo, s26, v0
	v_add_co_ci_u32_e32 v1, vcc_lo, s27, v1, vcc_lo
	s_waitcnt lgkmcnt(0)
	;;#ASMSTART
	global_load_dwordx4 v[55:58], v[0:1] off glc	
s_waitcnt vmcnt(0)
	;;#ASMEND
	v_perm_b32 v2, v56, v57, 0x70605
	v_perm_b32 v3, v56, v57, 0x1000706
	;; [unrolled: 1-line block ×3, first 2 shown]
	v_and_b32_e32 v5, 0xff, v57
	s_delay_alu instid0(VALU_DEP_4) | instskip(NEXT) | instid1(VALU_DEP_4)
	v_lshlrev_b32_e32 v2, 8, v2
	v_lshlrev_b32_e32 v3, 16, v3
	s_delay_alu instid0(VALU_DEP_4) | instskip(NEXT) | instid1(VALU_DEP_3)
	v_lshlrev_b32_e32 v4, 24, v4
	v_perm_b32 v2, v2, v56, 0xc0c0500
	s_delay_alu instid0(VALU_DEP_3) | instskip(NEXT) | instid1(VALU_DEP_1)
	v_and_b32_e32 v3, 0xff0000, v3
	v_or3_b32 v56, v2, v3, v4
	v_cmpx_eq_u16_e32 0, v5
	s_cbranch_execz .LBB275_77
; %bb.74:                               ;   in Loop: Header=BB275_69 Depth=1
	s_mov_b32 s1, 0
.LBB275_75:                             ;   Parent Loop BB275_69 Depth=1
                                        ; =>  This Inner Loop Header: Depth=2
	;;#ASMSTART
	global_load_dwordx4 v[55:58], v[0:1] off glc	
s_waitcnt vmcnt(0)
	;;#ASMEND
	v_and_b32_e32 v2, 0xff, v57
	s_delay_alu instid0(VALU_DEP_1) | instskip(SKIP_1) | instid1(SALU_CYCLE_1)
	v_cmp_ne_u16_e32 vcc_lo, 0, v2
	s_or_b32 s1, vcc_lo, s1
	s_and_not1_b32 exec_lo, exec_lo, s1
	s_cbranch_execnz .LBB275_75
; %bb.76:                               ;   in Loop: Header=BB275_69 Depth=1
	s_or_b32 exec_lo, exec_lo, s1
	v_perm_b32 v0, v56, v57, 0x70605
	v_perm_b32 v1, v56, v57, 0x1000706
	;; [unrolled: 1-line block ×3, first 2 shown]
	s_delay_alu instid0(VALU_DEP_3) | instskip(NEXT) | instid1(VALU_DEP_3)
	v_lshlrev_b32_e32 v0, 8, v0
	v_lshlrev_b32_e32 v1, 16, v1
	s_delay_alu instid0(VALU_DEP_3) | instskip(NEXT) | instid1(VALU_DEP_3)
	v_lshlrev_b32_e32 v2, 24, v2
	v_perm_b32 v0, v0, v56, 0xc0c0500
	s_delay_alu instid0(VALU_DEP_3) | instskip(NEXT) | instid1(VALU_DEP_1)
	v_and_b32_e32 v1, 0xff0000, v1
	v_or3_b32 v56, v0, v1, v2
.LBB275_77:                             ;   in Loop: Header=BB275_69 Depth=1
	s_or_b32 exec_lo, exec_lo, s0
	v_and_b32_e32 v1, 0xff, v57
	ds_bpermute_b32 v0, v68, v55
	s_mov_b32 s16, exec_lo
	v_cmp_eq_u16_e32 vcc_lo, 2, v1
	ds_bpermute_b32 v1, v68, v56
	v_and_or_b32 v2, vcc_lo, v69, 0x80000000
	s_delay_alu instid0(VALU_DEP_1) | instskip(NEXT) | instid1(VALU_DEP_1)
	v_ctz_i32_b32_e32 v58, v2
	v_cmpx_lt_u32_e64 v67, v58
	s_cbranch_execz .LBB275_79
; %bb.78:                               ;   in Loop: Header=BB275_69 Depth=1
	v_dual_mov_b32 v2, v55 :: v_dual_mov_b32 v3, v56
	s_getpc_b64 s[0:1]
	s_add_u32 s0, s0, _ZZZZN2at6native31launch_logcumsumexp_cuda_kernelERKNS_10TensorBaseES3_lENKUlvE_clEvENKUlvE2_clEvENKUlN3c107complexIfEES8_E_clES8_S8_@rel32@lo+4
	s_addc_u32 s1, s1, _ZZZZN2at6native31launch_logcumsumexp_cuda_kernelERKNS_10TensorBaseES3_lENKUlvE_clEvENKUlvE2_clEvENKUlN3c107complexIfEES8_E_clES8_S8_@rel32@hi+12
	s_delay_alu instid0(SALU_CYCLE_1)
	s_swappc_b64 s[30:31], s[0:1]
	v_dual_mov_b32 v55, v0 :: v_dual_mov_b32 v56, v1
.LBB275_79:                             ;   in Loop: Header=BB275_69 Depth=1
	s_or_b32 exec_lo, exec_lo, s16
	s_waitcnt lgkmcnt(1)
	ds_bpermute_b32 v0, v70, v55
	s_waitcnt lgkmcnt(1)
	ds_bpermute_b32 v1, v70, v56
	s_mov_b32 s16, exec_lo
	v_cmpx_le_u32_e64 v71, v58
	s_cbranch_execz .LBB275_81
; %bb.80:                               ;   in Loop: Header=BB275_69 Depth=1
	v_dual_mov_b32 v2, v55 :: v_dual_mov_b32 v3, v56
	s_getpc_b64 s[0:1]
	s_add_u32 s0, s0, _ZZZZN2at6native31launch_logcumsumexp_cuda_kernelERKNS_10TensorBaseES3_lENKUlvE_clEvENKUlvE2_clEvENKUlN3c107complexIfEES8_E_clES8_S8_@rel32@lo+4
	s_addc_u32 s1, s1, _ZZZZN2at6native31launch_logcumsumexp_cuda_kernelERKNS_10TensorBaseES3_lENKUlvE_clEvENKUlvE2_clEvENKUlN3c107complexIfEES8_E_clES8_S8_@rel32@hi+12
	s_delay_alu instid0(SALU_CYCLE_1)
	s_swappc_b64 s[30:31], s[0:1]
	v_dual_mov_b32 v55, v0 :: v_dual_mov_b32 v56, v1
.LBB275_81:                             ;   in Loop: Header=BB275_69 Depth=1
	s_or_b32 exec_lo, exec_lo, s16
	s_waitcnt lgkmcnt(1)
	ds_bpermute_b32 v0, v72, v55
	s_waitcnt lgkmcnt(1)
	ds_bpermute_b32 v1, v72, v56
	s_mov_b32 s16, exec_lo
	v_cmpx_le_u32_e64 v73, v58
	;; [unrolled: 17-line block ×4, first 2 shown]
	s_cbranch_execz .LBB275_67
; %bb.86:                               ;   in Loop: Header=BB275_69 Depth=1
	v_dual_mov_b32 v2, v55 :: v_dual_mov_b32 v3, v56
	s_getpc_b64 s[0:1]
	s_add_u32 s0, s0, _ZZZZN2at6native31launch_logcumsumexp_cuda_kernelERKNS_10TensorBaseES3_lENKUlvE_clEvENKUlvE2_clEvENKUlN3c107complexIfEES8_E_clES8_S8_@rel32@lo+4
	s_addc_u32 s1, s1, _ZZZZN2at6native31launch_logcumsumexp_cuda_kernelERKNS_10TensorBaseES3_lENKUlvE_clEvENKUlvE2_clEvENKUlN3c107complexIfEES8_E_clES8_S8_@rel32@hi+12
	s_delay_alu instid0(SALU_CYCLE_1)
	s_swappc_b64 s[30:31], s[0:1]
	v_dual_mov_b32 v55, v0 :: v_dual_mov_b32 v56, v1
	s_branch .LBB275_67
.LBB275_87:                             ;   in Loop: Header=BB275_69 Depth=1
	s_mov_b32 s0, -1
                                        ; implicit-def: $vgpr55
                                        ; implicit-def: $vgpr56
	s_branch .LBB275_68
.LBB275_88:
                                        ; implicit-def: $vgpr90_vgpr91_vgpr92_vgpr93
                                        ; implicit-def: $vgpr88_vgpr89_vgpr90_vgpr91
                                        ; implicit-def: $vgpr60
                                        ; implicit-def: $vgpr62
                                        ; implicit-def: $vgpr64
                                        ; implicit-def: $vgpr66
                                        ; implicit-def: $vgpr68
                                        ; implicit-def: $vgpr70
                                        ; implicit-def: $vgpr72
                                        ; implicit-def: $vgpr74
                                        ; implicit-def: $vgpr54_vgpr55_vgpr56_vgpr57
                                        ; implicit-def: $vgpr86_vgpr87_vgpr88_vgpr89
                                        ; implicit-def: $vgpr84_vgpr85_vgpr86_vgpr87
                                        ; implicit-def: $vgpr82_vgpr83_vgpr84_vgpr85
                                        ; implicit-def: $vgpr80_vgpr81_vgpr82_vgpr83
                                        ; implicit-def: $vgpr78_vgpr79_vgpr80_vgpr81
	s_load_b256 s[12:19], s[8:9], 0x40
	s_cbranch_execnz .LBB275_96
	s_branch .LBB275_117
.LBB275_89:
	s_and_saveexec_b32 s16, s12
	s_cbranch_execz .LBB275_91
; %bb.90:
	s_waitcnt lgkmcnt(0)
	v_dual_mov_b32 v0, v62 :: v_dual_mov_b32 v1, v63
	v_dual_mov_b32 v2, v54 :: v_dual_mov_b32 v3, s14
	s_getpc_b64 s[0:1]
	s_add_u32 s0, s0, _ZZZZN2at6native31launch_logcumsumexp_cuda_kernelERKNS_10TensorBaseES3_lENKUlvE_clEvENKUlvE2_clEvENKUlN3c107complexIfEES8_E_clES8_S8_@rel32@lo+4
	s_addc_u32 s1, s1, _ZZZZN2at6native31launch_logcumsumexp_cuda_kernelERKNS_10TensorBaseES3_lENKUlvE_clEvENKUlvE2_clEvENKUlN3c107complexIfEES8_E_clES8_S8_@rel32@hi+12
	s_delay_alu instid0(SALU_CYCLE_1)
	s_swappc_b64 s[30:31], s[0:1]
	s_add_i32 s0, s15, 32
	v_dual_mov_b32 v3, 0 :: v_dual_and_b32 v2, 0xff000000, v1
	v_and_b32_e32 v4, 0xff0000, v1
	s_mov_b32 s1, 0
	v_and_b32_e32 v5, 0xff00, v1
	s_lshl_b64 s[0:1], s[0:1], 4
	s_delay_alu instid0(SALU_CYCLE_1) | instskip(SKIP_4) | instid1(VALU_DEP_1)
	s_add_u32 s0, s26, s0
	v_or_b32_e32 v4, v4, v2
	v_mov_b32_e32 v2, 2
	s_addc_u32 s1, s27, s1
	v_and_b32_e32 v1, 0xff, v1
	v_or3_b32 v1, v4, v5, v1
	v_dual_mov_b32 v5, s1 :: v_dual_mov_b32 v4, s0
	;;#ASMSTART
	global_store_dwordx4 v[4:5], v[0:3] off	
s_waitcnt vmcnt(0)
	;;#ASMEND
.LBB275_91:
	s_or_b32 exec_lo, exec_lo, s16
	s_delay_alu instid0(SALU_CYCLE_1)
	s_and_b32 exec_lo, exec_lo, s11
	s_cbranch_execz .LBB275_93
; %bb.92:
	s_waitcnt lgkmcnt(1)
	v_mov_b32_e32 v0, 0
	ds_store_b64 v0, v[62:63]
.LBB275_93:
	s_or_b32 exec_lo, exec_lo, s13
	s_waitcnt lgkmcnt(1)
	v_dual_mov_b32 v0, 0 :: v_dual_mov_b32 v3, v23
	s_waitcnt lgkmcnt(0)
	s_waitcnt_vscnt null, 0x0
	s_barrier
	buffer_gl0_inv
	ds_load_b64 v[54:55], v0
	v_mov_b32_e32 v2, v22
	s_and_saveexec_b32 s11, s10
	s_cbranch_execz .LBB275_95
; %bb.94:
	v_dual_mov_b32 v0, v60 :: v_dual_mov_b32 v1, v61
	v_dual_mov_b32 v2, v22 :: v_dual_mov_b32 v3, v23
	s_getpc_b64 s[0:1]
	s_add_u32 s0, s0, _ZZZZN2at6native31launch_logcumsumexp_cuda_kernelERKNS_10TensorBaseES3_lENKUlvE_clEvENKUlvE2_clEvENKUlN3c107complexIfEES8_E_clES8_S8_@rel32@lo+4
	s_addc_u32 s1, s1, _ZZZZN2at6native31launch_logcumsumexp_cuda_kernelERKNS_10TensorBaseES3_lENKUlvE_clEvENKUlvE2_clEvENKUlN3c107complexIfEES8_E_clES8_S8_@rel32@hi+12
	s_delay_alu instid0(SALU_CYCLE_1)
	s_swappc_b64 s[30:31], s[0:1]
	v_dual_mov_b32 v2, v0 :: v_dual_mov_b32 v3, v1
.LBB275_95:
	s_or_b32 exec_lo, exec_lo, s11
	s_waitcnt lgkmcnt(0)
	v_dual_mov_b32 v0, v54 :: v_dual_mov_b32 v1, v55
	s_getpc_b64 s[10:11]
	s_add_u32 s10, s10, _ZZZZN2at6native31launch_logcumsumexp_cuda_kernelERKNS_10TensorBaseES3_lENKUlvE_clEvENKUlvE2_clEvENKUlN3c107complexIfEES8_E_clES8_S8_@rel32@lo+4
	s_addc_u32 s11, s11, _ZZZZN2at6native31launch_logcumsumexp_cuda_kernelERKNS_10TensorBaseES3_lENKUlvE_clEvENKUlvE2_clEvENKUlN3c107complexIfEES8_E_clES8_S8_@rel32@hi+12
	s_delay_alu instid0(SALU_CYCLE_1)
	s_swappc_b64 s[30:31], s[10:11]
	v_dual_mov_b32 v2, v24 :: v_dual_mov_b32 v3, v25
	v_dual_mov_b32 v54, v0 :: v_dual_mov_b32 v55, v1
	s_swappc_b64 s[30:31], s[10:11]
	v_dual_mov_b32 v2, v50 :: v_dual_mov_b32 v3, v51
	v_dual_mov_b32 v60, v0 :: v_dual_mov_b32 v61, v1
	;; [unrolled: 3-line block ×15, first 2 shown]
	s_swappc_b64 s[30:31], s[10:11]
	v_dual_mov_b32 v92, v0 :: v_dual_mov_b32 v93, v1
	s_load_b256 s[12:19], s[8:9], 0x40
	s_branch .LBB275_117
.LBB275_96:
	v_cmp_eq_u32_e64 s9, 0, v59
	s_waitcnt lgkmcnt(0)
	s_cmp_lg_u64 s[16:17], 0
	v_cmp_ne_u32_e64 s8, 0, v59
	s_cselect_b32 s0, -1, 0
	s_delay_alu instid0(SALU_CYCLE_1) | instskip(NEXT) | instid1(SALU_CYCLE_1)
	s_and_b32 s0, s9, s0
	s_and_saveexec_b32 s10, s0
	s_cbranch_execz .LBB275_98
; %bb.97:
	v_dual_mov_b32 v0, 0 :: v_dual_mov_b32 v3, v23
	v_mov_b32_e32 v2, v22
	s_getpc_b64 s[0:1]
	s_add_u32 s0, s0, _ZZZZN2at6native31launch_logcumsumexp_cuda_kernelERKNS_10TensorBaseES3_lENKUlvE_clEvENKUlvE2_clEvENKUlN3c107complexIfEES8_E_clES8_S8_@rel32@lo+4
	s_addc_u32 s1, s1, _ZZZZN2at6native31launch_logcumsumexp_cuda_kernelERKNS_10TensorBaseES3_lENKUlvE_clEvENKUlvE2_clEvENKUlN3c107complexIfEES8_E_clES8_S8_@rel32@hi+12
	global_load_b64 v[0:1], v0, s[12:13]
	s_swappc_b64 s[30:31], s[0:1]
	v_dual_mov_b32 v22, v0 :: v_dual_mov_b32 v23, v1
.LBB275_98:
	s_or_b32 exec_lo, exec_lo, s10
	s_delay_alu instid0(VALU_DEP_1) | instskip(SKIP_4) | instid1(SALU_CYCLE_1)
	v_dual_mov_b32 v0, v22 :: v_dual_mov_b32 v1, v23
	v_dual_mov_b32 v2, v24 :: v_dual_mov_b32 v3, v25
	s_getpc_b64 s[10:11]
	s_add_u32 s10, s10, _ZZZZN2at6native31launch_logcumsumexp_cuda_kernelERKNS_10TensorBaseES3_lENKUlvE_clEvENKUlvE2_clEvENKUlN3c107complexIfEES8_E_clES8_S8_@rel32@lo+4
	s_addc_u32 s11, s11, _ZZZZN2at6native31launch_logcumsumexp_cuda_kernelERKNS_10TensorBaseES3_lENKUlvE_clEvENKUlvE2_clEvENKUlN3c107complexIfEES8_E_clES8_S8_@rel32@hi+12
	s_swappc_b64 s[30:31], s[10:11]
	v_dual_mov_b32 v2, v50 :: v_dual_mov_b32 v3, v51
	v_dual_mov_b32 v60, v0 :: v_dual_mov_b32 v61, v1
	s_swappc_b64 s[30:31], s[10:11]
	v_dual_mov_b32 v2, v52 :: v_dual_mov_b32 v3, v53
	v_dual_mov_b32 v62, v0 :: v_dual_mov_b32 v63, v1
	;; [unrolled: 3-line block ×14, first 2 shown]
	s_swappc_b64 s[30:31], s[10:11]
	v_dual_mov_b32 v92, v0 :: v_dual_mov_b32 v93, v1
	v_lshrrev_b32_e32 v0, 5, v59
	s_mov_b32 s12, exec_lo
	s_delay_alu instid0(VALU_DEP_1)
	v_add_lshl_u32 v0, v0, v59, 3
	ds_store_b64 v0, v[92:93]
	s_waitcnt lgkmcnt(0)
	s_waitcnt_vscnt null, 0x0
	s_barrier
	buffer_gl0_inv
	v_cmpx_gt_u32_e32 32, v59
	s_cbranch_execz .LBB275_110
; %bb.99:
	v_lshlrev_b32_e32 v0, 1, v59
	s_delay_alu instid0(VALU_DEP_1) | instskip(NEXT) | instid1(VALU_DEP_1)
	v_and_b32_e32 v0, 0x1f8, v0
	v_lshl_or_b32 v58, v59, 6, v0
	ds_load_b64 v[54:55], v58
	ds_load_2addr_b64 v[76:79], v58 offset0:1 offset1:2
	s_waitcnt lgkmcnt(0)
	v_dual_mov_b32 v0, v54 :: v_dual_mov_b32 v3, v77
	v_dual_mov_b32 v1, v55 :: v_dual_mov_b32 v2, v76
	s_swappc_b64 s[30:31], s[10:11]
	v_dual_mov_b32 v2, v78 :: v_dual_mov_b32 v3, v79
	s_swappc_b64 s[30:31], s[10:11]
	ds_load_2addr_b64 v[76:79], v58 offset0:3 offset1:4
	s_waitcnt lgkmcnt(0)
	v_dual_mov_b32 v2, v76 :: v_dual_mov_b32 v3, v77
	s_swappc_b64 s[30:31], s[10:11]
	v_dual_mov_b32 v2, v78 :: v_dual_mov_b32 v3, v79
	s_swappc_b64 s[30:31], s[10:11]
	ds_load_2addr_b64 v[76:79], v58 offset0:5 offset1:6
	s_waitcnt lgkmcnt(0)
	v_dual_mov_b32 v2, v76 :: v_dual_mov_b32 v3, v77
	s_swappc_b64 s[30:31], s[10:11]
	v_dual_mov_b32 v2, v78 :: v_dual_mov_b32 v3, v79
	s_swappc_b64 s[30:31], s[10:11]
	ds_load_b64 v[2:3], v58 offset:56
	s_swappc_b64 s[30:31], s[10:11]
	v_dual_mov_b32 v2, v0 :: v_dual_mov_b32 v3, v1
	v_mbcnt_lo_u32_b32 v56, -1, 0
	s_mov_b32 s10, exec_lo
	s_delay_alu instid0(VALU_DEP_2) | instskip(NEXT) | instid1(VALU_DEP_3)
	v_mov_b32_dpp v0, v2 row_shr:1 row_mask:0xf bank_mask:0xf
	v_mov_b32_dpp v1, v3 row_shr:1 row_mask:0xf bank_mask:0xf
	s_delay_alu instid0(VALU_DEP_3) | instskip(NEXT) | instid1(VALU_DEP_1)
	v_and_b32_e32 v57, 15, v56
	v_cmpx_ne_u32_e32 0, v57
	s_cbranch_execz .LBB275_101
; %bb.100:
	s_getpc_b64 s[0:1]
	s_add_u32 s0, s0, _ZZZZN2at6native31launch_logcumsumexp_cuda_kernelERKNS_10TensorBaseES3_lENKUlvE_clEvENKUlvE2_clEvENKUlN3c107complexIfEES8_E_clES8_S8_@rel32@lo+4
	s_addc_u32 s1, s1, _ZZZZN2at6native31launch_logcumsumexp_cuda_kernelERKNS_10TensorBaseES3_lENKUlvE_clEvENKUlvE2_clEvENKUlN3c107complexIfEES8_E_clES8_S8_@rel32@hi+12
	s_delay_alu instid0(SALU_CYCLE_1)
	s_swappc_b64 s[30:31], s[0:1]
	v_dual_mov_b32 v2, v0 :: v_dual_mov_b32 v3, v1
.LBB275_101:
	s_or_b32 exec_lo, exec_lo, s10
	s_delay_alu instid0(VALU_DEP_1) | instskip(NEXT) | instid1(VALU_DEP_2)
	v_mov_b32_dpp v0, v2 row_shr:2 row_mask:0xf bank_mask:0xf
	v_mov_b32_dpp v1, v3 row_shr:2 row_mask:0xf bank_mask:0xf
	s_mov_b32 s10, exec_lo
	v_cmpx_lt_u32_e32 1, v57
	s_cbranch_execz .LBB275_103
; %bb.102:
	s_getpc_b64 s[0:1]
	s_add_u32 s0, s0, _ZZZZN2at6native31launch_logcumsumexp_cuda_kernelERKNS_10TensorBaseES3_lENKUlvE_clEvENKUlvE2_clEvENKUlN3c107complexIfEES8_E_clES8_S8_@rel32@lo+4
	s_addc_u32 s1, s1, _ZZZZN2at6native31launch_logcumsumexp_cuda_kernelERKNS_10TensorBaseES3_lENKUlvE_clEvENKUlvE2_clEvENKUlN3c107complexIfEES8_E_clES8_S8_@rel32@hi+12
	s_delay_alu instid0(SALU_CYCLE_1)
	s_swappc_b64 s[30:31], s[0:1]
	v_dual_mov_b32 v2, v0 :: v_dual_mov_b32 v3, v1
.LBB275_103:
	s_or_b32 exec_lo, exec_lo, s10
	s_delay_alu instid0(VALU_DEP_1) | instskip(NEXT) | instid1(VALU_DEP_2)
	v_mov_b32_dpp v0, v2 row_shr:4 row_mask:0xf bank_mask:0xf
	v_mov_b32_dpp v1, v3 row_shr:4 row_mask:0xf bank_mask:0xf
	s_mov_b32 s10, exec_lo
	v_cmpx_lt_u32_e32 3, v57
	;; [unrolled: 15-line block ×3, first 2 shown]
	s_cbranch_execz .LBB275_107
; %bb.106:
	s_getpc_b64 s[0:1]
	s_add_u32 s0, s0, _ZZZZN2at6native31launch_logcumsumexp_cuda_kernelERKNS_10TensorBaseES3_lENKUlvE_clEvENKUlvE2_clEvENKUlN3c107complexIfEES8_E_clES8_S8_@rel32@lo+4
	s_addc_u32 s1, s1, _ZZZZN2at6native31launch_logcumsumexp_cuda_kernelERKNS_10TensorBaseES3_lENKUlvE_clEvENKUlvE2_clEvENKUlN3c107complexIfEES8_E_clES8_S8_@rel32@hi+12
	s_delay_alu instid0(SALU_CYCLE_1)
	s_swappc_b64 s[30:31], s[0:1]
	v_dual_mov_b32 v2, v0 :: v_dual_mov_b32 v3, v1
.LBB275_107:
	s_or_b32 exec_lo, exec_lo, s10
	ds_swizzle_b32 v0, v2 offset:swizzle(BROADCAST,32,15)
	ds_swizzle_b32 v1, v3 offset:swizzle(BROADCAST,32,15)
	v_and_b32_e32 v4, 16, v56
	s_mov_b32 s10, exec_lo
	s_delay_alu instid0(VALU_DEP_1)
	v_cmpx_ne_u32_e32 0, v4
	s_cbranch_execz .LBB275_109
; %bb.108:
	s_getpc_b64 s[0:1]
	s_add_u32 s0, s0, _ZZZZN2at6native31launch_logcumsumexp_cuda_kernelERKNS_10TensorBaseES3_lENKUlvE_clEvENKUlvE2_clEvENKUlN3c107complexIfEES8_E_clES8_S8_@rel32@lo+4
	s_addc_u32 s1, s1, _ZZZZN2at6native31launch_logcumsumexp_cuda_kernelERKNS_10TensorBaseES3_lENKUlvE_clEvENKUlvE2_clEvENKUlN3c107complexIfEES8_E_clES8_S8_@rel32@hi+12
	s_delay_alu instid0(SALU_CYCLE_1)
	s_swappc_b64 s[30:31], s[0:1]
	v_dual_mov_b32 v2, v0 :: v_dual_mov_b32 v3, v1
.LBB275_109:
	s_or_b32 exec_lo, exec_lo, s10
	s_waitcnt lgkmcnt(1)
	v_add_nc_u32_e32 v0, -1, v56
	s_getpc_b64 s[10:11]
	s_add_u32 s10, s10, _ZZZZN2at6native31launch_logcumsumexp_cuda_kernelERKNS_10TensorBaseES3_lENKUlvE_clEvENKUlvE2_clEvENKUlN3c107complexIfEES8_E_clES8_S8_@rel32@lo+4
	s_addc_u32 s11, s11, _ZZZZN2at6native31launch_logcumsumexp_cuda_kernelERKNS_10TensorBaseES3_lENKUlvE_clEvENKUlvE2_clEvENKUlN3c107complexIfEES8_E_clES8_S8_@rel32@hi+12
	s_delay_alu instid0(VALU_DEP_1) | instskip(SKIP_2) | instid1(VALU_DEP_1)
	v_cmp_gt_i32_e32 vcc_lo, 0, v0
	v_cndmask_b32_e32 v0, v0, v56, vcc_lo
	s_waitcnt lgkmcnt(0)
	v_lshlrev_b32_e32 v1, 2, v0
	ds_bpermute_b32 v0, v1, v2
	v_mov_b32_e32 v2, v54
	ds_bpermute_b32 v1, v1, v3
	v_mov_b32_e32 v3, v55
	s_swappc_b64 s[30:31], s[10:11]
	v_cndmask_b32_e64 v0, v0, v92, s9
	v_cndmask_b32_e64 v1, v1, v93, s9
	; wave barrier
	ds_store_b64 v58, v[0:1]
	; wave barrier
	ds_load_2addr_b64 v[54:57], v58 offset0:1 offset1:2
	s_waitcnt lgkmcnt(0)
	v_dual_mov_b32 v2, v54 :: v_dual_mov_b32 v3, v55
	s_swappc_b64 s[30:31], s[10:11]
	v_dual_mov_b32 v2, v56 :: v_dual_mov_b32 v3, v57
	v_dual_mov_b32 v76, v0 :: v_dual_mov_b32 v77, v1
	s_swappc_b64 s[30:31], s[10:11]
	ds_load_2addr_b64 v[54:57], v58 offset0:3 offset1:4
	ds_store_2addr_b64 v58, v[76:77], v[0:1] offset0:1 offset1:2
	s_waitcnt lgkmcnt(1)
	v_dual_mov_b32 v2, v54 :: v_dual_mov_b32 v3, v55
	s_swappc_b64 s[30:31], s[10:11]
	v_dual_mov_b32 v2, v56 :: v_dual_mov_b32 v3, v57
	v_dual_mov_b32 v76, v0 :: v_dual_mov_b32 v77, v1
	s_swappc_b64 s[30:31], s[10:11]
	ds_load_2addr_b64 v[54:57], v58 offset0:5 offset1:6
	ds_store_2addr_b64 v58, v[76:77], v[0:1] offset0:3 offset1:4
	s_waitcnt lgkmcnt(1)
	v_dual_mov_b32 v2, v54 :: v_dual_mov_b32 v3, v55
	s_swappc_b64 s[30:31], s[10:11]
	v_dual_mov_b32 v2, v56 :: v_dual_mov_b32 v3, v57
	v_dual_mov_b32 v54, v0 :: v_dual_mov_b32 v55, v1
	s_swappc_b64 s[30:31], s[10:11]
	ds_load_b64 v[2:3], v58 offset:56
	ds_store_2addr_b64 v58, v[54:55], v[0:1] offset0:5 offset1:6
	s_swappc_b64 s[30:31], s[10:11]
	ds_store_b64 v58, v[0:1] offset:56
.LBB275_110:
	s_or_b32 exec_lo, exec_lo, s12
	v_dual_mov_b32 v1, v93 :: v_dual_mov_b32 v0, v92
	s_waitcnt lgkmcnt(0)
	s_waitcnt_vscnt null, 0x0
	s_barrier
	buffer_gl0_inv
	s_and_saveexec_b32 s0, s8
	s_cbranch_execz .LBB275_112
; %bb.111:
	v_add_nc_u32_e32 v0, -1, v59
	s_delay_alu instid0(VALU_DEP_1) | instskip(NEXT) | instid1(VALU_DEP_1)
	v_lshrrev_b32_e32 v1, 5, v0
	v_add_lshl_u32 v0, v1, v0, 3
	ds_load_b64 v[0:1], v0
.LBB275_112:
	s_or_b32 exec_lo, exec_lo, s0
	s_and_saveexec_b32 s10, s8
	s_cbranch_execz .LBB275_114
; %bb.113:
	v_dual_mov_b32 v2, v22 :: v_dual_mov_b32 v3, v23
	s_getpc_b64 s[8:9]
	s_add_u32 s8, s8, _ZZZZN2at6native31launch_logcumsumexp_cuda_kernelERKNS_10TensorBaseES3_lENKUlvE_clEvENKUlvE2_clEvENKUlN3c107complexIfEES8_E_clES8_S8_@rel32@lo+4
	s_addc_u32 s9, s9, _ZZZZN2at6native31launch_logcumsumexp_cuda_kernelERKNS_10TensorBaseES3_lENKUlvE_clEvENKUlvE2_clEvENKUlN3c107complexIfEES8_E_clES8_S8_@rel32@hi+12
	s_delay_alu instid0(SALU_CYCLE_1)
	s_swappc_b64 s[30:31], s[8:9]
	v_dual_mov_b32 v2, v24 :: v_dual_mov_b32 v3, v25
	v_dual_mov_b32 v22, v0 :: v_dual_mov_b32 v23, v1
	;;#ASMSTART
	;;#ASMEND
	s_swappc_b64 s[30:31], s[8:9]
	v_dual_mov_b32 v2, v50 :: v_dual_mov_b32 v3, v51
	v_dual_mov_b32 v60, v0 :: v_dual_mov_b32 v61, v1
	s_swappc_b64 s[30:31], s[8:9]
	v_dual_mov_b32 v2, v52 :: v_dual_mov_b32 v3, v53
	v_dual_mov_b32 v62, v0 :: v_dual_mov_b32 v63, v1
	s_swappc_b64 s[30:31], s[8:9]
	v_dual_mov_b32 v2, v46 :: v_dual_mov_b32 v3, v47
	v_dual_mov_b32 v80, v0 :: v_dual_mov_b32 v81, v1
	s_swappc_b64 s[30:31], s[8:9]
	v_dual_mov_b32 v2, v48 :: v_dual_mov_b32 v3, v49
	v_dual_mov_b32 v64, v0 :: v_dual_mov_b32 v65, v1
	s_swappc_b64 s[30:31], s[8:9]
	v_dual_mov_b32 v2, v42 :: v_dual_mov_b32 v3, v43
	v_dual_mov_b32 v82, v0 :: v_dual_mov_b32 v83, v1
	s_swappc_b64 s[30:31], s[8:9]
	v_dual_mov_b32 v2, v44 :: v_dual_mov_b32 v3, v45
	v_dual_mov_b32 v66, v0 :: v_dual_mov_b32 v67, v1
	s_swappc_b64 s[30:31], s[8:9]
	v_dual_mov_b32 v2, v38 :: v_dual_mov_b32 v3, v39
	v_dual_mov_b32 v84, v0 :: v_dual_mov_b32 v85, v1
	s_swappc_b64 s[30:31], s[8:9]
	v_dual_mov_b32 v2, v40 :: v_dual_mov_b32 v3, v41
	v_dual_mov_b32 v68, v0 :: v_dual_mov_b32 v69, v1
	s_swappc_b64 s[30:31], s[8:9]
	v_dual_mov_b32 v2, v34 :: v_dual_mov_b32 v3, v35
	v_dual_mov_b32 v86, v0 :: v_dual_mov_b32 v87, v1
	s_swappc_b64 s[30:31], s[8:9]
	v_dual_mov_b32 v2, v36 :: v_dual_mov_b32 v3, v37
	v_dual_mov_b32 v70, v0 :: v_dual_mov_b32 v71, v1
	s_swappc_b64 s[30:31], s[8:9]
	v_dual_mov_b32 v2, v30 :: v_dual_mov_b32 v3, v31
	v_dual_mov_b32 v88, v0 :: v_dual_mov_b32 v89, v1
	s_swappc_b64 s[30:31], s[8:9]
	v_dual_mov_b32 v2, v32 :: v_dual_mov_b32 v3, v33
	v_dual_mov_b32 v72, v0 :: v_dual_mov_b32 v73, v1
	s_swappc_b64 s[30:31], s[8:9]
	v_dual_mov_b32 v2, v26 :: v_dual_mov_b32 v3, v27
	v_dual_mov_b32 v90, v0 :: v_dual_mov_b32 v91, v1
	s_swappc_b64 s[30:31], s[8:9]
	v_dual_mov_b32 v2, v28 :: v_dual_mov_b32 v3, v29
	v_dual_mov_b32 v74, v0 :: v_dual_mov_b32 v75, v1
	s_swappc_b64 s[30:31], s[8:9]
	v_dual_mov_b32 v92, v0 :: v_dual_mov_b32 v93, v1
.LBB275_114:
	s_or_b32 exec_lo, exec_lo, s10
	s_delay_alu instid0(SALU_CYCLE_1)
	s_mov_b32 s0, exec_lo
	v_cmpx_eq_u32_e32 0xff, v59
	s_cbranch_execz .LBB275_116
; %bb.115:
	s_waitcnt lgkmcnt(0)
	v_dual_mov_b32 v3, 0 :: v_dual_and_b32 v0, 0xff000000, v93
	v_dual_mov_b32 v2, 2 :: v_dual_and_b32 v1, 0xff0000, v93
	v_and_b32_e32 v4, 0xff00, v93
	v_and_b32_e32 v5, 0xff, v93
	s_add_u32 s2, s26, 0x200
	s_delay_alu instid0(VALU_DEP_3) | instskip(SKIP_2) | instid1(VALU_DEP_2)
	v_or_b32_e32 v1, v1, v0
	v_mov_b32_e32 v0, v92
	s_addc_u32 s3, s27, 0
	v_or3_b32 v1, v1, v4, v5
	v_dual_mov_b32 v5, s3 :: v_dual_mov_b32 v4, s2
	;;#ASMSTART
	global_store_dwordx4 v[4:5], v[0:3] off	
s_waitcnt vmcnt(0)
	;;#ASMEND
.LBB275_116:
	s_or_b32 exec_lo, exec_lo, s0
	v_dual_mov_b32 v54, v22 :: v_dual_mov_b32 v55, v23
.LBB275_117:
	s_add_u32 s0, s20, s24
	s_waitcnt lgkmcnt(0)
	v_lshlrev_b32_e32 v1, 7, v59
	v_lshrrev_b32_e32 v0, 5, v59
	s_addc_u32 s1, s21, s25
	s_add_u32 s0, s0, s22
	s_addc_u32 s1, s1, s23
	s_and_b32 vcc_lo, exec_lo, s33
	s_mov_b32 s2, -1
	s_waitcnt_vscnt null, 0x0
	s_barrier
	buffer_gl0_inv
	s_cbranch_vccz .LBB275_119
; %bb.118:
	v_lshl_add_u32 v2, v110, 3, v1
	v_lshrrev_b32_e32 v3, 5, v107
	v_lshrrev_b32_e32 v4, 5, v106
	v_add_lshl_u32 v5, v0, v59, 3
	v_lshrrev_b32_e32 v10, 5, v105
	ds_store_2addr_b64 v2, v[54:55], v[60:61] offset1:1
	ds_store_2addr_b64 v2, v[62:63], v[80:81] offset0:2 offset1:3
	ds_store_2addr_b64 v2, v[64:65], v[82:83] offset0:4 offset1:5
	;; [unrolled: 1-line block ×7, first 2 shown]
	v_lshrrev_b32_e32 v2, 5, v108
	v_add_lshl_u32 v7, v3, v59, 3
	v_add_lshl_u32 v8, v4, v59, 3
	s_waitcnt lgkmcnt(0)
	s_barrier
	v_add_lshl_u32 v6, v2, v59, 3
	buffer_gl0_inv
	v_lshrrev_b32_e32 v19, 5, v100
	ds_load_b64 v[2:3], v5
	ds_load_b64 v[4:5], v6 offset:2048
	ds_load_b64 v[6:7], v7 offset:4096
	;; [unrolled: 1-line block ×3, first 2 shown]
	v_lshrrev_b32_e32 v11, 5, v104
	v_lshrrev_b32_e32 v20, 5, v99
	;; [unrolled: 1-line block ×5, first 2 shown]
	v_add_lshl_u32 v10, v10, v59, 3
	v_add_lshl_u32 v21, v19, v59, 3
	v_lshrrev_b32_e32 v19, 5, v98
	v_add_lshl_u32 v14, v11, v59, 3
	v_add_lshl_u32 v22, v20, v59, 3
	v_lshrrev_b32_e32 v20, 5, v97
	v_lshrrev_b32_e32 v23, 5, v96
	;; [unrolled: 1-line block ×4, first 2 shown]
	v_add_lshl_u32 v15, v12, v59, 3
	v_add_lshl_u32 v18, v18, v59, 3
	v_add_co_u32 v44, s3, s0, v109
	v_add_lshl_u32 v16, v13, v59, 3
	v_add_co_ci_u32_e64 v45, null, s1, 0, s3
	ds_load_b64 v[10:11], v10 offset:8192
	ds_load_b64 v[12:13], v14 offset:10240
	;; [unrolled: 1-line block ×4, first 2 shown]
	v_add_lshl_u32 v26, v19, v59, 3
	v_add_lshl_u32 v27, v20, v59, 3
	;; [unrolled: 1-line block ×5, first 2 shown]
	ds_load_b64 v[18:19], v18 offset:16384
	ds_load_b64 v[20:21], v21 offset:18432
	;; [unrolled: 1-line block ×8, first 2 shown]
	s_waitcnt lgkmcnt(14)
	global_store_b64 v109, v[4:5], s[0:1] offset:2048
	v_add_co_u32 v4, vcc_lo, 0x1000, v44
	v_add_co_ci_u32_e32 v5, vcc_lo, 0, v45, vcc_lo
	v_add_co_u32 v34, vcc_lo, v44, 0x2000
	v_add_co_ci_u32_e32 v35, vcc_lo, 0, v45, vcc_lo
	;; [unrolled: 2-line block ×6, first 2 shown]
	s_waitcnt lgkmcnt(13)
	global_store_b64 v[34:35], v[6:7], off offset:-4096
	s_waitcnt lgkmcnt(11)
	global_store_b64 v[34:35], v[10:11], off
	s_waitcnt lgkmcnt(9)
	global_store_b64 v[40:41], v[14:15], off offset:-4096
	s_waitcnt lgkmcnt(7)
	s_clause 0x3
	global_store_b64 v[40:41], v[18:19], off
	global_store_b64 v[4:5], v[8:9], off offset:2048
	global_store_b64 v[36:37], v[12:13], off offset:2048
	;; [unrolled: 1-line block ×3, first 2 shown]
	s_waitcnt lgkmcnt(6)
	global_store_b64 v[42:43], v[20:21], off offset:2048
	v_add_co_u32 v4, vcc_lo, v44, 0x6000
	v_add_co_ci_u32_e32 v5, vcc_lo, 0, v45, vcc_lo
	v_add_co_u32 v6, vcc_lo, 0x5000, v44
	v_add_co_ci_u32_e32 v7, vcc_lo, 0, v45, vcc_lo
	;; [unrolled: 2-line block ×4, first 2 shown]
	s_mov_b32 s2, 0
	s_waitcnt lgkmcnt(5)
	s_clause 0x1
	global_store_b64 v[4:5], v[22:23], off offset:-4096
	global_store_b64 v109, v[2:3], s[0:1]
	s_waitcnt lgkmcnt(3)
	s_clause 0x1
	global_store_b64 v[4:5], v[26:27], off
	global_store_b64 v[6:7], v[24:25], off offset:2048
	s_waitcnt lgkmcnt(2)
	global_store_b64 v[8:9], v[28:29], off offset:2048
	s_waitcnt lgkmcnt(1)
	global_store_b64 v[10:11], v[30:31], off
	s_waitcnt lgkmcnt(0)
	global_store_b64 v[10:11], v[32:33], off offset:2048
.LBB275_119:
	s_and_not1_b32 vcc_lo, exec_lo, s2
	s_cbranch_vccnz .LBB275_137
; %bb.120:
	v_lshl_add_u32 v1, v110, 3, v1
	v_lshrrev_b32_e32 v17, 5, v100
	v_lshrrev_b32_e32 v18, 5, v99
	;; [unrolled: 1-line block ×4, first 2 shown]
	ds_store_2addr_b64 v1, v[54:55], v[60:61] offset1:1
	ds_store_2addr_b64 v1, v[62:63], v[80:81] offset0:2 offset1:3
	ds_store_2addr_b64 v1, v[64:65], v[82:83] offset0:4 offset1:5
	;; [unrolled: 1-line block ×7, first 2 shown]
	v_lshrrev_b32_e32 v1, 5, v108
	v_lshrrev_b32_e32 v9, 5, v104
	;; [unrolled: 1-line block ×6, first 2 shown]
	v_add_lshl_u32 v19, v17, v59, 3
	v_lshrrev_b32_e32 v17, 5, v98
	v_add_lshl_u32 v20, v18, v59, 3
	v_lshrrev_b32_e32 v18, 5, v97
	v_lshrrev_b32_e32 v21, 5, v96
	v_lshrrev_b32_e32 v22, 5, v95
	v_lshrrev_b32_e32 v23, 5, v94
	v_add_lshl_u32 v34, v0, v59, 3
	v_add_lshl_u32 v8, v8, v59, 3
	;; [unrolled: 1-line block ×14, first 2 shown]
	s_waitcnt lgkmcnt(0)
	s_waitcnt_vscnt null, 0x0
	s_barrier
	buffer_gl0_inv
	ds_load_b64 v[2:3], v34
	ds_load_b64 v[0:1], v0 offset:2048
	ds_load_b64 v[4:5], v4 offset:4096
	;; [unrolled: 1-line block ×15, first 2 shown]
	v_add_co_u32 v32, s0, s0, v109
	v_mov_b32_e32 v60, 0
	v_add_co_ci_u32_e64 v33, null, s1, 0, s0
	s_mov_b32 s0, exec_lo
	v_cmpx_gt_u32_e64 s28, v59
	s_cbranch_execnz .LBB275_138
; %bb.121:
	s_or_b32 exec_lo, exec_lo, s0
	s_delay_alu instid0(SALU_CYCLE_1)
	s_mov_b32 s0, exec_lo
	v_cmpx_gt_u32_e64 s28, v108
	s_cbranch_execnz .LBB275_139
.LBB275_122:
	s_or_b32 exec_lo, exec_lo, s0
	s_delay_alu instid0(SALU_CYCLE_1)
	s_mov_b32 s0, exec_lo
	v_cmpx_gt_u32_e64 s28, v107
	s_cbranch_execnz .LBB275_140
.LBB275_123:
	s_or_b32 exec_lo, exec_lo, s0
	s_delay_alu instid0(SALU_CYCLE_1)
	s_mov_b32 s0, exec_lo
	v_cmpx_gt_u32_e64 s28, v106
	s_cbranch_execnz .LBB275_141
.LBB275_124:
	s_or_b32 exec_lo, exec_lo, s0
	s_delay_alu instid0(SALU_CYCLE_1)
	s_mov_b32 s0, exec_lo
	v_cmpx_gt_u32_e64 s28, v105
	s_cbranch_execnz .LBB275_142
.LBB275_125:
	s_or_b32 exec_lo, exec_lo, s0
	s_delay_alu instid0(SALU_CYCLE_1)
	s_mov_b32 s0, exec_lo
	v_cmpx_gt_u32_e64 s28, v104
	s_cbranch_execnz .LBB275_143
.LBB275_126:
	s_or_b32 exec_lo, exec_lo, s0
	s_delay_alu instid0(SALU_CYCLE_1)
	s_mov_b32 s0, exec_lo
	v_cmpx_gt_u32_e64 s28, v103
	s_cbranch_execnz .LBB275_144
.LBB275_127:
	s_or_b32 exec_lo, exec_lo, s0
	s_delay_alu instid0(SALU_CYCLE_1)
	s_mov_b32 s0, exec_lo
	v_cmpx_gt_u32_e64 s28, v102
	s_cbranch_execnz .LBB275_145
.LBB275_128:
	s_or_b32 exec_lo, exec_lo, s0
	s_delay_alu instid0(SALU_CYCLE_1)
	s_mov_b32 s0, exec_lo
	v_cmpx_gt_u32_e64 s28, v101
	s_cbranch_execnz .LBB275_146
.LBB275_129:
	s_or_b32 exec_lo, exec_lo, s0
	s_delay_alu instid0(SALU_CYCLE_1)
	s_mov_b32 s0, exec_lo
	v_cmpx_gt_u32_e64 s28, v100
	s_cbranch_execnz .LBB275_147
.LBB275_130:
	s_or_b32 exec_lo, exec_lo, s0
	s_delay_alu instid0(SALU_CYCLE_1)
	s_mov_b32 s0, exec_lo
	v_cmpx_gt_u32_e64 s28, v99
	s_cbranch_execnz .LBB275_148
.LBB275_131:
	s_or_b32 exec_lo, exec_lo, s0
	s_delay_alu instid0(SALU_CYCLE_1)
	s_mov_b32 s0, exec_lo
	v_cmpx_gt_u32_e64 s28, v98
	s_cbranch_execnz .LBB275_149
.LBB275_132:
	s_or_b32 exec_lo, exec_lo, s0
	s_delay_alu instid0(SALU_CYCLE_1)
	s_mov_b32 s0, exec_lo
	v_cmpx_gt_u32_e64 s28, v97
	s_cbranch_execnz .LBB275_150
.LBB275_133:
	s_or_b32 exec_lo, exec_lo, s0
	s_delay_alu instid0(SALU_CYCLE_1)
	s_mov_b32 s0, exec_lo
	v_cmpx_gt_u32_e64 s28, v96
	s_cbranch_execnz .LBB275_151
.LBB275_134:
	s_or_b32 exec_lo, exec_lo, s0
	s_delay_alu instid0(SALU_CYCLE_1)
	s_mov_b32 s0, exec_lo
	v_cmpx_gt_u32_e64 s28, v95
	s_cbranch_execnz .LBB275_152
.LBB275_135:
	s_or_b32 exec_lo, exec_lo, s0
	s_delay_alu instid0(SALU_CYCLE_1)
	s_mov_b32 s0, exec_lo
	v_cmpx_gt_u32_e64 s28, v94
	s_cbranch_execnz .LBB275_153
.LBB275_136:
	s_or_b32 exec_lo, exec_lo, s0
	v_cmp_lt_u64_e64 s0, s[18:19], 2
	s_delay_alu instid0(VALU_DEP_1)
	s_and_b32 vcc_lo, exec_lo, s0
	s_cbranch_vccz .LBB275_154
.LBB275_137:
	s_nop 0
	s_sendmsg sendmsg(MSG_DEALLOC_VGPRS)
	s_endpgm
.LBB275_138:
	ds_load_b64 v[34:35], v34
	s_waitcnt lgkmcnt(0)
	global_store_b64 v[32:33], v[34:35], off
	s_or_b32 exec_lo, exec_lo, s0
	s_delay_alu instid0(SALU_CYCLE_1)
	s_mov_b32 s0, exec_lo
	v_cmpx_gt_u32_e64 s28, v108
	s_cbranch_execz .LBB275_122
.LBB275_139:
	s_waitcnt lgkmcnt(14)
	global_store_b64 v[32:33], v[0:1], off offset:2048
	s_or_b32 exec_lo, exec_lo, s0
	s_delay_alu instid0(SALU_CYCLE_1)
	s_mov_b32 s0, exec_lo
	v_cmpx_gt_u32_e64 s28, v107
	s_cbranch_execz .LBB275_123
.LBB275_140:
	v_add_co_u32 v34, vcc_lo, 0x1000, v32
	v_add_co_ci_u32_e32 v35, vcc_lo, 0, v33, vcc_lo
	s_waitcnt lgkmcnt(13)
	global_store_b64 v[34:35], v[4:5], off
	s_or_b32 exec_lo, exec_lo, s0
	s_delay_alu instid0(SALU_CYCLE_1)
	s_mov_b32 s0, exec_lo
	v_cmpx_gt_u32_e64 s28, v106
	s_cbranch_execz .LBB275_124
.LBB275_141:
	v_add_co_u32 v34, vcc_lo, 0x1000, v32
	v_add_co_ci_u32_e32 v35, vcc_lo, 0, v33, vcc_lo
	s_waitcnt lgkmcnt(12)
	global_store_b64 v[34:35], v[6:7], off offset:2048
	s_or_b32 exec_lo, exec_lo, s0
	s_delay_alu instid0(SALU_CYCLE_1)
	s_mov_b32 s0, exec_lo
	v_cmpx_gt_u32_e64 s28, v105
	s_cbranch_execz .LBB275_125
.LBB275_142:
	v_add_co_u32 v34, vcc_lo, 0x2000, v32
	v_add_co_ci_u32_e32 v35, vcc_lo, 0, v33, vcc_lo
	s_waitcnt lgkmcnt(11)
	global_store_b64 v[34:35], v[8:9], off
	s_or_b32 exec_lo, exec_lo, s0
	s_delay_alu instid0(SALU_CYCLE_1)
	s_mov_b32 s0, exec_lo
	v_cmpx_gt_u32_e64 s28, v104
	s_cbranch_execz .LBB275_126
.LBB275_143:
	v_add_co_u32 v34, vcc_lo, 0x2000, v32
	v_add_co_ci_u32_e32 v35, vcc_lo, 0, v33, vcc_lo
	s_waitcnt lgkmcnt(10)
	global_store_b64 v[34:35], v[10:11], off offset:2048
	s_or_b32 exec_lo, exec_lo, s0
	s_delay_alu instid0(SALU_CYCLE_1)
	s_mov_b32 s0, exec_lo
	v_cmpx_gt_u32_e64 s28, v103
	s_cbranch_execz .LBB275_127
.LBB275_144:
	v_add_co_u32 v34, vcc_lo, 0x3000, v32
	v_add_co_ci_u32_e32 v35, vcc_lo, 0, v33, vcc_lo
	s_waitcnt lgkmcnt(9)
	global_store_b64 v[34:35], v[12:13], off
	s_or_b32 exec_lo, exec_lo, s0
	s_delay_alu instid0(SALU_CYCLE_1)
	s_mov_b32 s0, exec_lo
	v_cmpx_gt_u32_e64 s28, v102
	s_cbranch_execz .LBB275_128
.LBB275_145:
	v_add_co_u32 v34, vcc_lo, 0x3000, v32
	v_add_co_ci_u32_e32 v35, vcc_lo, 0, v33, vcc_lo
	s_waitcnt lgkmcnt(8)
	global_store_b64 v[34:35], v[14:15], off offset:2048
	s_or_b32 exec_lo, exec_lo, s0
	s_delay_alu instid0(SALU_CYCLE_1)
	s_mov_b32 s0, exec_lo
	v_cmpx_gt_u32_e64 s28, v101
	s_cbranch_execz .LBB275_129
.LBB275_146:
	v_add_co_u32 v34, vcc_lo, 0x4000, v32
	v_add_co_ci_u32_e32 v35, vcc_lo, 0, v33, vcc_lo
	s_waitcnt lgkmcnt(7)
	global_store_b64 v[34:35], v[16:17], off
	s_or_b32 exec_lo, exec_lo, s0
	s_delay_alu instid0(SALU_CYCLE_1)
	s_mov_b32 s0, exec_lo
	v_cmpx_gt_u32_e64 s28, v100
	s_cbranch_execz .LBB275_130
.LBB275_147:
	v_add_co_u32 v34, vcc_lo, 0x4000, v32
	v_add_co_ci_u32_e32 v35, vcc_lo, 0, v33, vcc_lo
	s_waitcnt lgkmcnt(6)
	global_store_b64 v[34:35], v[18:19], off offset:2048
	s_or_b32 exec_lo, exec_lo, s0
	s_delay_alu instid0(SALU_CYCLE_1)
	s_mov_b32 s0, exec_lo
	v_cmpx_gt_u32_e64 s28, v99
	s_cbranch_execz .LBB275_131
.LBB275_148:
	v_add_co_u32 v34, vcc_lo, 0x5000, v32
	v_add_co_ci_u32_e32 v35, vcc_lo, 0, v33, vcc_lo
	s_waitcnt lgkmcnt(5)
	global_store_b64 v[34:35], v[20:21], off
	s_or_b32 exec_lo, exec_lo, s0
	s_delay_alu instid0(SALU_CYCLE_1)
	s_mov_b32 s0, exec_lo
	v_cmpx_gt_u32_e64 s28, v98
	s_cbranch_execz .LBB275_132
.LBB275_149:
	v_add_co_u32 v34, vcc_lo, 0x5000, v32
	v_add_co_ci_u32_e32 v35, vcc_lo, 0, v33, vcc_lo
	s_waitcnt lgkmcnt(4)
	global_store_b64 v[34:35], v[22:23], off offset:2048
	s_or_b32 exec_lo, exec_lo, s0
	s_delay_alu instid0(SALU_CYCLE_1)
	s_mov_b32 s0, exec_lo
	v_cmpx_gt_u32_e64 s28, v97
	s_cbranch_execz .LBB275_133
.LBB275_150:
	v_add_co_u32 v34, vcc_lo, 0x6000, v32
	v_add_co_ci_u32_e32 v35, vcc_lo, 0, v33, vcc_lo
	s_waitcnt lgkmcnt(3)
	global_store_b64 v[34:35], v[24:25], off
	s_or_b32 exec_lo, exec_lo, s0
	s_delay_alu instid0(SALU_CYCLE_1)
	s_mov_b32 s0, exec_lo
	v_cmpx_gt_u32_e64 s28, v96
	s_cbranch_execz .LBB275_134
.LBB275_151:
	v_add_co_u32 v34, vcc_lo, 0x6000, v32
	v_add_co_ci_u32_e32 v35, vcc_lo, 0, v33, vcc_lo
	s_waitcnt lgkmcnt(2)
	global_store_b64 v[34:35], v[26:27], off offset:2048
	s_or_b32 exec_lo, exec_lo, s0
	s_delay_alu instid0(SALU_CYCLE_1)
	s_mov_b32 s0, exec_lo
	v_cmpx_gt_u32_e64 s28, v95
	s_cbranch_execz .LBB275_135
.LBB275_152:
	v_add_co_u32 v34, vcc_lo, 0x7000, v32
	v_add_co_ci_u32_e32 v35, vcc_lo, 0, v33, vcc_lo
	s_waitcnt lgkmcnt(1)
	global_store_b64 v[34:35], v[28:29], off
	s_or_b32 exec_lo, exec_lo, s0
	s_delay_alu instid0(SALU_CYCLE_1)
	s_mov_b32 s0, exec_lo
	v_cmpx_gt_u32_e64 s28, v94
	s_cbranch_execz .LBB275_136
.LBB275_153:
	v_add_co_u32 v32, vcc_lo, 0x7000, v32
	v_add_co_ci_u32_e32 v33, vcc_lo, 0, v33, vcc_lo
	s_waitcnt lgkmcnt(0)
	global_store_b64 v[32:33], v[30:31], off offset:2048
	s_or_b32 exec_lo, exec_lo, s0
	v_cmp_lt_u64_e64 s0, s[18:19], 2
	s_delay_alu instid0(VALU_DEP_1)
	s_and_b32 vcc_lo, exec_lo, s0
	s_cbranch_vccnz .LBB275_137
.LBB275_154:
	s_add_u32 s0, s28, -1
	s_addc_u32 s1, s29, -1
	s_delay_alu instid0(SALU_CYCLE_1)
	s_lshr_b64 s[2:3], s[0:1], 4
	s_mov_b32 s1, exec_lo
	v_cmpx_eq_u64_e64 s[2:3], v[59:60]
	s_cbranch_execz .LBB275_137
; %bb.155:
	s_and_b32 s0, s0, 15
	s_mov_b32 s1, 0
	s_delay_alu instid0(SALU_CYCLE_1) | instskip(NEXT) | instid1(VALU_DEP_1)
	v_cmp_lt_i64_e64 s2, s[0:1], 8
	s_and_b32 vcc_lo, exec_lo, s2
	s_mov_b32 s2, -1
	s_cbranch_vccnz .LBB275_182
; %bb.156:
	v_cmp_lt_i64_e64 s2, s[0:1], 12
	s_delay_alu instid0(VALU_DEP_1)
	s_and_b32 vcc_lo, exec_lo, s2
	s_mov_b32 s2, -1
	s_cbranch_vccnz .LBB275_169
; %bb.157:
	v_cmp_lt_i64_e64 s2, s[0:1], 14
	s_delay_alu instid0(VALU_DEP_1)
	s_and_b32 vcc_lo, exec_lo, s2
	s_mov_b32 s2, -1
	s_cbranch_vccnz .LBB275_163
; %bb.158:
	v_cmp_gt_i64_e64 s2, s[0:1], 14
	s_delay_alu instid0(VALU_DEP_1)
	s_and_b32 vcc_lo, exec_lo, s2
	s_mov_b32 s2, -1
	s_cbranch_vccz .LBB275_160
; %bb.159:
	v_mov_b32_e32 v32, 0
	s_mov_b32 s2, 0
	s_waitcnt lgkmcnt(0)
	global_store_b64 v32, v[30:31], s[14:15]
.LBB275_160:
	s_and_not1_b32 vcc_lo, exec_lo, s2
	s_cbranch_vccnz .LBB275_162
; %bb.161:
	s_waitcnt lgkmcnt(0)
	v_mov_b32_e32 v30, 0
	global_store_b64 v30, v[28:29], s[14:15]
.LBB275_162:
	s_mov_b32 s2, 0
.LBB275_163:
	s_delay_alu instid0(SALU_CYCLE_1)
	s_and_not1_b32 vcc_lo, exec_lo, s2
	s_cbranch_vccnz .LBB275_168
; %bb.164:
	v_cmp_gt_i64_e64 s2, s[0:1], 12
	s_delay_alu instid0(VALU_DEP_1)
	s_and_b32 vcc_lo, exec_lo, s2
	s_mov_b32 s2, -1
	s_cbranch_vccz .LBB275_166
; %bb.165:
	s_waitcnt lgkmcnt(1)
	v_mov_b32_e32 v28, 0
	s_mov_b32 s2, 0
	global_store_b64 v28, v[26:27], s[14:15]
.LBB275_166:
	s_and_not1_b32 vcc_lo, exec_lo, s2
	s_cbranch_vccnz .LBB275_168
; %bb.167:
	s_waitcnt lgkmcnt(2)
	v_mov_b32_e32 v26, 0
	global_store_b64 v26, v[24:25], s[14:15]
.LBB275_168:
	s_mov_b32 s2, 0
.LBB275_169:
	s_delay_alu instid0(SALU_CYCLE_1)
	s_and_not1_b32 vcc_lo, exec_lo, s2
	s_cbranch_vccnz .LBB275_181
; %bb.170:
	v_cmp_lt_i64_e64 s2, s[0:1], 10
	s_delay_alu instid0(VALU_DEP_1)
	s_and_b32 vcc_lo, exec_lo, s2
	s_mov_b32 s2, -1
	s_cbranch_vccnz .LBB275_176
; %bb.171:
	v_cmp_gt_i64_e64 s2, s[0:1], 10
	s_delay_alu instid0(VALU_DEP_1)
	s_and_b32 vcc_lo, exec_lo, s2
	s_mov_b32 s2, -1
	s_cbranch_vccz .LBB275_173
; %bb.172:
	s_waitcnt lgkmcnt(3)
	v_mov_b32_e32 v24, 0
	s_mov_b32 s2, 0
	global_store_b64 v24, v[22:23], s[14:15]
.LBB275_173:
	s_and_not1_b32 vcc_lo, exec_lo, s2
	s_cbranch_vccnz .LBB275_175
; %bb.174:
	s_waitcnt lgkmcnt(4)
	v_mov_b32_e32 v22, 0
	global_store_b64 v22, v[20:21], s[14:15]
.LBB275_175:
	s_mov_b32 s2, 0
.LBB275_176:
	s_delay_alu instid0(SALU_CYCLE_1)
	s_and_not1_b32 vcc_lo, exec_lo, s2
	s_cbranch_vccnz .LBB275_181
; %bb.177:
	v_cmp_gt_i64_e64 s2, s[0:1], 8
	s_delay_alu instid0(VALU_DEP_1)
	s_and_b32 vcc_lo, exec_lo, s2
	s_mov_b32 s2, -1
	s_cbranch_vccz .LBB275_179
; %bb.178:
	s_waitcnt lgkmcnt(5)
	v_mov_b32_e32 v20, 0
	s_mov_b32 s2, 0
	global_store_b64 v20, v[18:19], s[14:15]
.LBB275_179:
	s_and_not1_b32 vcc_lo, exec_lo, s2
	s_cbranch_vccnz .LBB275_181
; %bb.180:
	s_waitcnt lgkmcnt(6)
	v_mov_b32_e32 v18, 0
	global_store_b64 v18, v[16:17], s[14:15]
.LBB275_181:
	s_mov_b32 s2, 0
.LBB275_182:
	s_delay_alu instid0(SALU_CYCLE_1)
	s_and_not1_b32 vcc_lo, exec_lo, s2
	s_cbranch_vccnz .LBB275_137
; %bb.183:
	v_cmp_lt_i64_e64 s2, s[0:1], 4
	s_delay_alu instid0(VALU_DEP_1)
	s_and_b32 vcc_lo, exec_lo, s2
	s_mov_b32 s2, -1
	s_cbranch_vccnz .LBB275_196
; %bb.184:
	v_cmp_lt_i64_e64 s2, s[0:1], 6
	s_delay_alu instid0(VALU_DEP_1)
	s_and_b32 vcc_lo, exec_lo, s2
	s_mov_b32 s2, -1
	s_cbranch_vccnz .LBB275_190
; %bb.185:
	v_cmp_gt_i64_e64 s2, s[0:1], 6
	s_delay_alu instid0(VALU_DEP_1)
	s_and_b32 vcc_lo, exec_lo, s2
	s_mov_b32 s2, -1
	s_cbranch_vccz .LBB275_187
; %bb.186:
	s_waitcnt lgkmcnt(7)
	v_mov_b32_e32 v16, 0
	s_mov_b32 s2, 0
	global_store_b64 v16, v[14:15], s[14:15]
.LBB275_187:
	s_and_not1_b32 vcc_lo, exec_lo, s2
	s_cbranch_vccnz .LBB275_189
; %bb.188:
	s_waitcnt lgkmcnt(8)
	v_mov_b32_e32 v14, 0
	global_store_b64 v14, v[12:13], s[14:15]
.LBB275_189:
	s_mov_b32 s2, 0
.LBB275_190:
	s_delay_alu instid0(SALU_CYCLE_1)
	s_and_not1_b32 vcc_lo, exec_lo, s2
	s_cbranch_vccnz .LBB275_195
; %bb.191:
	v_cmp_gt_i64_e64 s2, s[0:1], 4
	s_delay_alu instid0(VALU_DEP_1)
	s_and_b32 vcc_lo, exec_lo, s2
	s_mov_b32 s2, -1
	s_cbranch_vccz .LBB275_193
; %bb.192:
	s_waitcnt lgkmcnt(9)
	v_mov_b32_e32 v12, 0
	s_mov_b32 s2, 0
	global_store_b64 v12, v[10:11], s[14:15]
.LBB275_193:
	s_and_not1_b32 vcc_lo, exec_lo, s2
	s_cbranch_vccnz .LBB275_195
; %bb.194:
	s_waitcnt lgkmcnt(10)
	v_mov_b32_e32 v10, 0
	global_store_b64 v10, v[8:9], s[14:15]
.LBB275_195:
	s_mov_b32 s2, 0
.LBB275_196:
	s_delay_alu instid0(SALU_CYCLE_1)
	s_and_not1_b32 vcc_lo, exec_lo, s2
	s_cbranch_vccnz .LBB275_137
; %bb.197:
	v_cmp_lt_i64_e64 s2, s[0:1], 2
	s_delay_alu instid0(VALU_DEP_1)
	s_and_b32 vcc_lo, exec_lo, s2
	s_mov_b32 s2, -1
	s_cbranch_vccnz .LBB275_203
; %bb.198:
	v_cmp_gt_i64_e64 s2, s[0:1], 2
	s_delay_alu instid0(VALU_DEP_1)
	s_and_b32 vcc_lo, exec_lo, s2
	s_mov_b32 s2, -1
	s_cbranch_vccz .LBB275_200
; %bb.199:
	s_waitcnt lgkmcnt(11)
	v_mov_b32_e32 v8, 0
	s_mov_b32 s2, 0
	global_store_b64 v8, v[6:7], s[14:15]
.LBB275_200:
	s_and_not1_b32 vcc_lo, exec_lo, s2
	s_cbranch_vccnz .LBB275_202
; %bb.201:
	s_waitcnt lgkmcnt(12)
	v_mov_b32_e32 v6, 0
	global_store_b64 v6, v[4:5], s[14:15]
.LBB275_202:
	s_mov_b32 s2, 0
.LBB275_203:
	s_delay_alu instid0(SALU_CYCLE_1)
	s_and_not1_b32 vcc_lo, exec_lo, s2
	s_cbranch_vccnz .LBB275_137
; %bb.204:
	s_cmp_eq_u64 s[0:1], 1
	s_mov_b32 s0, -1
	s_cbranch_scc1 .LBB275_206
; %bb.205:
	s_waitcnt lgkmcnt(13)
	v_mov_b32_e32 v4, 0
	s_mov_b32 s0, 0
	global_store_b64 v4, v[2:3], s[14:15]
.LBB275_206:
	s_and_not1_b32 vcc_lo, exec_lo, s0
	s_cbranch_vccnz .LBB275_137
; %bb.207:
	s_waitcnt lgkmcnt(15)
	v_mov_b32_e32 v2, 0
	s_waitcnt lgkmcnt(14)
	global_store_b64 v2, v[0:1], s[14:15]
	s_nop 0
	s_sendmsg sendmsg(MSG_DEALLOC_VGPRS)
	s_endpgm
	.section	.rodata,"a",@progbits
	.p2align	6, 0x0
	.amdhsa_kernel _ZN7rocprim17ROCPRIM_400000_NS6detail17trampoline_kernelINS0_14default_configENS1_20scan_config_selectorIN3c107complexIfEEEEZZNS1_9scan_implILNS1_25lookback_scan_determinismE0ELb0ELb0ES3_PKS7_PS7_S7_ZZZN2at6native31launch_logcumsumexp_cuda_kernelERKNSE_10TensorBaseESI_lENKUlvE_clEvENKUlvE2_clEvEUlS7_S7_E_S7_EEDaPvRmT3_T4_T5_mT6_P12ihipStream_tbENKUlT_T0_E_clISt17integral_constantIbLb0EESZ_EEDaSU_SV_EUlSU_E_NS1_11comp_targetILNS1_3genE9ELNS1_11target_archE1100ELNS1_3gpuE3ELNS1_3repE0EEENS1_30default_config_static_selectorELNS0_4arch9wavefront6targetE0EEEvT1_
		.amdhsa_group_segment_fixed_size 33792
		.amdhsa_private_segment_fixed_size 0
		.amdhsa_kernarg_size 104
		.amdhsa_user_sgpr_count 15
		.amdhsa_user_sgpr_dispatch_ptr 0
		.amdhsa_user_sgpr_queue_ptr 0
		.amdhsa_user_sgpr_kernarg_segment_ptr 1
		.amdhsa_user_sgpr_dispatch_id 0
		.amdhsa_user_sgpr_private_segment_size 0
		.amdhsa_wavefront_size32 1
		.amdhsa_uses_dynamic_stack 0
		.amdhsa_enable_private_segment 0
		.amdhsa_system_sgpr_workgroup_id_x 1
		.amdhsa_system_sgpr_workgroup_id_y 0
		.amdhsa_system_sgpr_workgroup_id_z 0
		.amdhsa_system_sgpr_workgroup_info 0
		.amdhsa_system_vgpr_workitem_id 0
		.amdhsa_next_free_vgpr 111
		.amdhsa_next_free_sgpr 34
		.amdhsa_reserve_vcc 1
		.amdhsa_float_round_mode_32 0
		.amdhsa_float_round_mode_16_64 0
		.amdhsa_float_denorm_mode_32 3
		.amdhsa_float_denorm_mode_16_64 3
		.amdhsa_dx10_clamp 1
		.amdhsa_ieee_mode 1
		.amdhsa_fp16_overflow 0
		.amdhsa_workgroup_processor_mode 1
		.amdhsa_memory_ordered 1
		.amdhsa_forward_progress 0
		.amdhsa_shared_vgpr_count 0
		.amdhsa_exception_fp_ieee_invalid_op 0
		.amdhsa_exception_fp_denorm_src 0
		.amdhsa_exception_fp_ieee_div_zero 0
		.amdhsa_exception_fp_ieee_overflow 0
		.amdhsa_exception_fp_ieee_underflow 0
		.amdhsa_exception_fp_ieee_inexact 0
		.amdhsa_exception_int_div_zero 0
	.end_amdhsa_kernel
	.section	.text._ZN7rocprim17ROCPRIM_400000_NS6detail17trampoline_kernelINS0_14default_configENS1_20scan_config_selectorIN3c107complexIfEEEEZZNS1_9scan_implILNS1_25lookback_scan_determinismE0ELb0ELb0ES3_PKS7_PS7_S7_ZZZN2at6native31launch_logcumsumexp_cuda_kernelERKNSE_10TensorBaseESI_lENKUlvE_clEvENKUlvE2_clEvEUlS7_S7_E_S7_EEDaPvRmT3_T4_T5_mT6_P12ihipStream_tbENKUlT_T0_E_clISt17integral_constantIbLb0EESZ_EEDaSU_SV_EUlSU_E_NS1_11comp_targetILNS1_3genE9ELNS1_11target_archE1100ELNS1_3gpuE3ELNS1_3repE0EEENS1_30default_config_static_selectorELNS0_4arch9wavefront6targetE0EEEvT1_,"axG",@progbits,_ZN7rocprim17ROCPRIM_400000_NS6detail17trampoline_kernelINS0_14default_configENS1_20scan_config_selectorIN3c107complexIfEEEEZZNS1_9scan_implILNS1_25lookback_scan_determinismE0ELb0ELb0ES3_PKS7_PS7_S7_ZZZN2at6native31launch_logcumsumexp_cuda_kernelERKNSE_10TensorBaseESI_lENKUlvE_clEvENKUlvE2_clEvEUlS7_S7_E_S7_EEDaPvRmT3_T4_T5_mT6_P12ihipStream_tbENKUlT_T0_E_clISt17integral_constantIbLb0EESZ_EEDaSU_SV_EUlSU_E_NS1_11comp_targetILNS1_3genE9ELNS1_11target_archE1100ELNS1_3gpuE3ELNS1_3repE0EEENS1_30default_config_static_selectorELNS0_4arch9wavefront6targetE0EEEvT1_,comdat
.Lfunc_end275:
	.size	_ZN7rocprim17ROCPRIM_400000_NS6detail17trampoline_kernelINS0_14default_configENS1_20scan_config_selectorIN3c107complexIfEEEEZZNS1_9scan_implILNS1_25lookback_scan_determinismE0ELb0ELb0ES3_PKS7_PS7_S7_ZZZN2at6native31launch_logcumsumexp_cuda_kernelERKNSE_10TensorBaseESI_lENKUlvE_clEvENKUlvE2_clEvEUlS7_S7_E_S7_EEDaPvRmT3_T4_T5_mT6_P12ihipStream_tbENKUlT_T0_E_clISt17integral_constantIbLb0EESZ_EEDaSU_SV_EUlSU_E_NS1_11comp_targetILNS1_3genE9ELNS1_11target_archE1100ELNS1_3gpuE3ELNS1_3repE0EEENS1_30default_config_static_selectorELNS0_4arch9wavefront6targetE0EEEvT1_, .Lfunc_end275-_ZN7rocprim17ROCPRIM_400000_NS6detail17trampoline_kernelINS0_14default_configENS1_20scan_config_selectorIN3c107complexIfEEEEZZNS1_9scan_implILNS1_25lookback_scan_determinismE0ELb0ELb0ES3_PKS7_PS7_S7_ZZZN2at6native31launch_logcumsumexp_cuda_kernelERKNSE_10TensorBaseESI_lENKUlvE_clEvENKUlvE2_clEvEUlS7_S7_E_S7_EEDaPvRmT3_T4_T5_mT6_P12ihipStream_tbENKUlT_T0_E_clISt17integral_constantIbLb0EESZ_EEDaSU_SV_EUlSU_E_NS1_11comp_targetILNS1_3genE9ELNS1_11target_archE1100ELNS1_3gpuE3ELNS1_3repE0EEENS1_30default_config_static_selectorELNS0_4arch9wavefront6targetE0EEEvT1_
                                        ; -- End function
	.section	.AMDGPU.csdata,"",@progbits
; Kernel info:
; codeLenInByte = 11436
; NumSgprs: 36
; NumVgprs: 111
; ScratchSize: 0
; MemoryBound: 0
; FloatMode: 240
; IeeeMode: 1
; LDSByteSize: 33792 bytes/workgroup (compile time only)
; SGPRBlocks: 4
; VGPRBlocks: 13
; NumSGPRsForWavesPerEU: 36
; NumVGPRsForWavesPerEU: 111
; Occupancy: 6
; WaveLimiterHint : 0
; COMPUTE_PGM_RSRC2:SCRATCH_EN: 0
; COMPUTE_PGM_RSRC2:USER_SGPR: 15
; COMPUTE_PGM_RSRC2:TRAP_HANDLER: 0
; COMPUTE_PGM_RSRC2:TGID_X_EN: 1
; COMPUTE_PGM_RSRC2:TGID_Y_EN: 0
; COMPUTE_PGM_RSRC2:TGID_Z_EN: 0
; COMPUTE_PGM_RSRC2:TIDIG_COMP_CNT: 0
	.section	.text._ZN7rocprim17ROCPRIM_400000_NS6detail17trampoline_kernelINS0_14default_configENS1_20scan_config_selectorIN3c107complexIfEEEEZZNS1_9scan_implILNS1_25lookback_scan_determinismE0ELb0ELb0ES3_PKS7_PS7_S7_ZZZN2at6native31launch_logcumsumexp_cuda_kernelERKNSE_10TensorBaseESI_lENKUlvE_clEvENKUlvE2_clEvEUlS7_S7_E_S7_EEDaPvRmT3_T4_T5_mT6_P12ihipStream_tbENKUlT_T0_E_clISt17integral_constantIbLb0EESZ_EEDaSU_SV_EUlSU_E_NS1_11comp_targetILNS1_3genE8ELNS1_11target_archE1030ELNS1_3gpuE2ELNS1_3repE0EEENS1_30default_config_static_selectorELNS0_4arch9wavefront6targetE0EEEvT1_,"axG",@progbits,_ZN7rocprim17ROCPRIM_400000_NS6detail17trampoline_kernelINS0_14default_configENS1_20scan_config_selectorIN3c107complexIfEEEEZZNS1_9scan_implILNS1_25lookback_scan_determinismE0ELb0ELb0ES3_PKS7_PS7_S7_ZZZN2at6native31launch_logcumsumexp_cuda_kernelERKNSE_10TensorBaseESI_lENKUlvE_clEvENKUlvE2_clEvEUlS7_S7_E_S7_EEDaPvRmT3_T4_T5_mT6_P12ihipStream_tbENKUlT_T0_E_clISt17integral_constantIbLb0EESZ_EEDaSU_SV_EUlSU_E_NS1_11comp_targetILNS1_3genE8ELNS1_11target_archE1030ELNS1_3gpuE2ELNS1_3repE0EEENS1_30default_config_static_selectorELNS0_4arch9wavefront6targetE0EEEvT1_,comdat
	.globl	_ZN7rocprim17ROCPRIM_400000_NS6detail17trampoline_kernelINS0_14default_configENS1_20scan_config_selectorIN3c107complexIfEEEEZZNS1_9scan_implILNS1_25lookback_scan_determinismE0ELb0ELb0ES3_PKS7_PS7_S7_ZZZN2at6native31launch_logcumsumexp_cuda_kernelERKNSE_10TensorBaseESI_lENKUlvE_clEvENKUlvE2_clEvEUlS7_S7_E_S7_EEDaPvRmT3_T4_T5_mT6_P12ihipStream_tbENKUlT_T0_E_clISt17integral_constantIbLb0EESZ_EEDaSU_SV_EUlSU_E_NS1_11comp_targetILNS1_3genE8ELNS1_11target_archE1030ELNS1_3gpuE2ELNS1_3repE0EEENS1_30default_config_static_selectorELNS0_4arch9wavefront6targetE0EEEvT1_ ; -- Begin function _ZN7rocprim17ROCPRIM_400000_NS6detail17trampoline_kernelINS0_14default_configENS1_20scan_config_selectorIN3c107complexIfEEEEZZNS1_9scan_implILNS1_25lookback_scan_determinismE0ELb0ELb0ES3_PKS7_PS7_S7_ZZZN2at6native31launch_logcumsumexp_cuda_kernelERKNSE_10TensorBaseESI_lENKUlvE_clEvENKUlvE2_clEvEUlS7_S7_E_S7_EEDaPvRmT3_T4_T5_mT6_P12ihipStream_tbENKUlT_T0_E_clISt17integral_constantIbLb0EESZ_EEDaSU_SV_EUlSU_E_NS1_11comp_targetILNS1_3genE8ELNS1_11target_archE1030ELNS1_3gpuE2ELNS1_3repE0EEENS1_30default_config_static_selectorELNS0_4arch9wavefront6targetE0EEEvT1_
	.p2align	8
	.type	_ZN7rocprim17ROCPRIM_400000_NS6detail17trampoline_kernelINS0_14default_configENS1_20scan_config_selectorIN3c107complexIfEEEEZZNS1_9scan_implILNS1_25lookback_scan_determinismE0ELb0ELb0ES3_PKS7_PS7_S7_ZZZN2at6native31launch_logcumsumexp_cuda_kernelERKNSE_10TensorBaseESI_lENKUlvE_clEvENKUlvE2_clEvEUlS7_S7_E_S7_EEDaPvRmT3_T4_T5_mT6_P12ihipStream_tbENKUlT_T0_E_clISt17integral_constantIbLb0EESZ_EEDaSU_SV_EUlSU_E_NS1_11comp_targetILNS1_3genE8ELNS1_11target_archE1030ELNS1_3gpuE2ELNS1_3repE0EEENS1_30default_config_static_selectorELNS0_4arch9wavefront6targetE0EEEvT1_,@function
_ZN7rocprim17ROCPRIM_400000_NS6detail17trampoline_kernelINS0_14default_configENS1_20scan_config_selectorIN3c107complexIfEEEEZZNS1_9scan_implILNS1_25lookback_scan_determinismE0ELb0ELb0ES3_PKS7_PS7_S7_ZZZN2at6native31launch_logcumsumexp_cuda_kernelERKNSE_10TensorBaseESI_lENKUlvE_clEvENKUlvE2_clEvEUlS7_S7_E_S7_EEDaPvRmT3_T4_T5_mT6_P12ihipStream_tbENKUlT_T0_E_clISt17integral_constantIbLb0EESZ_EEDaSU_SV_EUlSU_E_NS1_11comp_targetILNS1_3genE8ELNS1_11target_archE1030ELNS1_3gpuE2ELNS1_3repE0EEENS1_30default_config_static_selectorELNS0_4arch9wavefront6targetE0EEEvT1_: ; @_ZN7rocprim17ROCPRIM_400000_NS6detail17trampoline_kernelINS0_14default_configENS1_20scan_config_selectorIN3c107complexIfEEEEZZNS1_9scan_implILNS1_25lookback_scan_determinismE0ELb0ELb0ES3_PKS7_PS7_S7_ZZZN2at6native31launch_logcumsumexp_cuda_kernelERKNSE_10TensorBaseESI_lENKUlvE_clEvENKUlvE2_clEvEUlS7_S7_E_S7_EEDaPvRmT3_T4_T5_mT6_P12ihipStream_tbENKUlT_T0_E_clISt17integral_constantIbLb0EESZ_EEDaSU_SV_EUlSU_E_NS1_11comp_targetILNS1_3genE8ELNS1_11target_archE1030ELNS1_3gpuE2ELNS1_3repE0EEENS1_30default_config_static_selectorELNS0_4arch9wavefront6targetE0EEEvT1_
; %bb.0:
	.section	.rodata,"a",@progbits
	.p2align	6, 0x0
	.amdhsa_kernel _ZN7rocprim17ROCPRIM_400000_NS6detail17trampoline_kernelINS0_14default_configENS1_20scan_config_selectorIN3c107complexIfEEEEZZNS1_9scan_implILNS1_25lookback_scan_determinismE0ELb0ELb0ES3_PKS7_PS7_S7_ZZZN2at6native31launch_logcumsumexp_cuda_kernelERKNSE_10TensorBaseESI_lENKUlvE_clEvENKUlvE2_clEvEUlS7_S7_E_S7_EEDaPvRmT3_T4_T5_mT6_P12ihipStream_tbENKUlT_T0_E_clISt17integral_constantIbLb0EESZ_EEDaSU_SV_EUlSU_E_NS1_11comp_targetILNS1_3genE8ELNS1_11target_archE1030ELNS1_3gpuE2ELNS1_3repE0EEENS1_30default_config_static_selectorELNS0_4arch9wavefront6targetE0EEEvT1_
		.amdhsa_group_segment_fixed_size 0
		.amdhsa_private_segment_fixed_size 0
		.amdhsa_kernarg_size 104
		.amdhsa_user_sgpr_count 15
		.amdhsa_user_sgpr_dispatch_ptr 0
		.amdhsa_user_sgpr_queue_ptr 0
		.amdhsa_user_sgpr_kernarg_segment_ptr 1
		.amdhsa_user_sgpr_dispatch_id 0
		.amdhsa_user_sgpr_private_segment_size 0
		.amdhsa_wavefront_size32 1
		.amdhsa_uses_dynamic_stack 0
		.amdhsa_enable_private_segment 0
		.amdhsa_system_sgpr_workgroup_id_x 1
		.amdhsa_system_sgpr_workgroup_id_y 0
		.amdhsa_system_sgpr_workgroup_id_z 0
		.amdhsa_system_sgpr_workgroup_info 0
		.amdhsa_system_vgpr_workitem_id 0
		.amdhsa_next_free_vgpr 1
		.amdhsa_next_free_sgpr 1
		.amdhsa_reserve_vcc 0
		.amdhsa_float_round_mode_32 0
		.amdhsa_float_round_mode_16_64 0
		.amdhsa_float_denorm_mode_32 3
		.amdhsa_float_denorm_mode_16_64 3
		.amdhsa_dx10_clamp 1
		.amdhsa_ieee_mode 1
		.amdhsa_fp16_overflow 0
		.amdhsa_workgroup_processor_mode 1
		.amdhsa_memory_ordered 1
		.amdhsa_forward_progress 0
		.amdhsa_shared_vgpr_count 0
		.amdhsa_exception_fp_ieee_invalid_op 0
		.amdhsa_exception_fp_denorm_src 0
		.amdhsa_exception_fp_ieee_div_zero 0
		.amdhsa_exception_fp_ieee_overflow 0
		.amdhsa_exception_fp_ieee_underflow 0
		.amdhsa_exception_fp_ieee_inexact 0
		.amdhsa_exception_int_div_zero 0
	.end_amdhsa_kernel
	.section	.text._ZN7rocprim17ROCPRIM_400000_NS6detail17trampoline_kernelINS0_14default_configENS1_20scan_config_selectorIN3c107complexIfEEEEZZNS1_9scan_implILNS1_25lookback_scan_determinismE0ELb0ELb0ES3_PKS7_PS7_S7_ZZZN2at6native31launch_logcumsumexp_cuda_kernelERKNSE_10TensorBaseESI_lENKUlvE_clEvENKUlvE2_clEvEUlS7_S7_E_S7_EEDaPvRmT3_T4_T5_mT6_P12ihipStream_tbENKUlT_T0_E_clISt17integral_constantIbLb0EESZ_EEDaSU_SV_EUlSU_E_NS1_11comp_targetILNS1_3genE8ELNS1_11target_archE1030ELNS1_3gpuE2ELNS1_3repE0EEENS1_30default_config_static_selectorELNS0_4arch9wavefront6targetE0EEEvT1_,"axG",@progbits,_ZN7rocprim17ROCPRIM_400000_NS6detail17trampoline_kernelINS0_14default_configENS1_20scan_config_selectorIN3c107complexIfEEEEZZNS1_9scan_implILNS1_25lookback_scan_determinismE0ELb0ELb0ES3_PKS7_PS7_S7_ZZZN2at6native31launch_logcumsumexp_cuda_kernelERKNSE_10TensorBaseESI_lENKUlvE_clEvENKUlvE2_clEvEUlS7_S7_E_S7_EEDaPvRmT3_T4_T5_mT6_P12ihipStream_tbENKUlT_T0_E_clISt17integral_constantIbLb0EESZ_EEDaSU_SV_EUlSU_E_NS1_11comp_targetILNS1_3genE8ELNS1_11target_archE1030ELNS1_3gpuE2ELNS1_3repE0EEENS1_30default_config_static_selectorELNS0_4arch9wavefront6targetE0EEEvT1_,comdat
.Lfunc_end276:
	.size	_ZN7rocprim17ROCPRIM_400000_NS6detail17trampoline_kernelINS0_14default_configENS1_20scan_config_selectorIN3c107complexIfEEEEZZNS1_9scan_implILNS1_25lookback_scan_determinismE0ELb0ELb0ES3_PKS7_PS7_S7_ZZZN2at6native31launch_logcumsumexp_cuda_kernelERKNSE_10TensorBaseESI_lENKUlvE_clEvENKUlvE2_clEvEUlS7_S7_E_S7_EEDaPvRmT3_T4_T5_mT6_P12ihipStream_tbENKUlT_T0_E_clISt17integral_constantIbLb0EESZ_EEDaSU_SV_EUlSU_E_NS1_11comp_targetILNS1_3genE8ELNS1_11target_archE1030ELNS1_3gpuE2ELNS1_3repE0EEENS1_30default_config_static_selectorELNS0_4arch9wavefront6targetE0EEEvT1_, .Lfunc_end276-_ZN7rocprim17ROCPRIM_400000_NS6detail17trampoline_kernelINS0_14default_configENS1_20scan_config_selectorIN3c107complexIfEEEEZZNS1_9scan_implILNS1_25lookback_scan_determinismE0ELb0ELb0ES3_PKS7_PS7_S7_ZZZN2at6native31launch_logcumsumexp_cuda_kernelERKNSE_10TensorBaseESI_lENKUlvE_clEvENKUlvE2_clEvEUlS7_S7_E_S7_EEDaPvRmT3_T4_T5_mT6_P12ihipStream_tbENKUlT_T0_E_clISt17integral_constantIbLb0EESZ_EEDaSU_SV_EUlSU_E_NS1_11comp_targetILNS1_3genE8ELNS1_11target_archE1030ELNS1_3gpuE2ELNS1_3repE0EEENS1_30default_config_static_selectorELNS0_4arch9wavefront6targetE0EEEvT1_
                                        ; -- End function
	.section	.AMDGPU.csdata,"",@progbits
; Kernel info:
; codeLenInByte = 0
; NumSgprs: 0
; NumVgprs: 0
; ScratchSize: 0
; MemoryBound: 0
; FloatMode: 240
; IeeeMode: 1
; LDSByteSize: 0 bytes/workgroup (compile time only)
; SGPRBlocks: 0
; VGPRBlocks: 0
; NumSGPRsForWavesPerEU: 1
; NumVGPRsForWavesPerEU: 1
; Occupancy: 16
; WaveLimiterHint : 0
; COMPUTE_PGM_RSRC2:SCRATCH_EN: 0
; COMPUTE_PGM_RSRC2:USER_SGPR: 15
; COMPUTE_PGM_RSRC2:TRAP_HANDLER: 0
; COMPUTE_PGM_RSRC2:TGID_X_EN: 1
; COMPUTE_PGM_RSRC2:TGID_Y_EN: 0
; COMPUTE_PGM_RSRC2:TGID_Z_EN: 0
; COMPUTE_PGM_RSRC2:TIDIG_COMP_CNT: 0
	.section	.text._ZN7rocprim17ROCPRIM_400000_NS6detail17trampoline_kernelINS0_14default_configENS1_25transform_config_selectorIN3c107complexIfEELb1EEEZNS1_14transform_implILb1ES3_S8_PS7_SA_NS0_8identityIS7_EEEE10hipError_tT2_T3_mT4_P12ihipStream_tbEUlT_E_NS1_11comp_targetILNS1_3genE0ELNS1_11target_archE4294967295ELNS1_3gpuE0ELNS1_3repE0EEENS1_30default_config_static_selectorELNS0_4arch9wavefront6targetE0EEEvT1_,"axG",@progbits,_ZN7rocprim17ROCPRIM_400000_NS6detail17trampoline_kernelINS0_14default_configENS1_25transform_config_selectorIN3c107complexIfEELb1EEEZNS1_14transform_implILb1ES3_S8_PS7_SA_NS0_8identityIS7_EEEE10hipError_tT2_T3_mT4_P12ihipStream_tbEUlT_E_NS1_11comp_targetILNS1_3genE0ELNS1_11target_archE4294967295ELNS1_3gpuE0ELNS1_3repE0EEENS1_30default_config_static_selectorELNS0_4arch9wavefront6targetE0EEEvT1_,comdat
	.protected	_ZN7rocprim17ROCPRIM_400000_NS6detail17trampoline_kernelINS0_14default_configENS1_25transform_config_selectorIN3c107complexIfEELb1EEEZNS1_14transform_implILb1ES3_S8_PS7_SA_NS0_8identityIS7_EEEE10hipError_tT2_T3_mT4_P12ihipStream_tbEUlT_E_NS1_11comp_targetILNS1_3genE0ELNS1_11target_archE4294967295ELNS1_3gpuE0ELNS1_3repE0EEENS1_30default_config_static_selectorELNS0_4arch9wavefront6targetE0EEEvT1_ ; -- Begin function _ZN7rocprim17ROCPRIM_400000_NS6detail17trampoline_kernelINS0_14default_configENS1_25transform_config_selectorIN3c107complexIfEELb1EEEZNS1_14transform_implILb1ES3_S8_PS7_SA_NS0_8identityIS7_EEEE10hipError_tT2_T3_mT4_P12ihipStream_tbEUlT_E_NS1_11comp_targetILNS1_3genE0ELNS1_11target_archE4294967295ELNS1_3gpuE0ELNS1_3repE0EEENS1_30default_config_static_selectorELNS0_4arch9wavefront6targetE0EEEvT1_
	.globl	_ZN7rocprim17ROCPRIM_400000_NS6detail17trampoline_kernelINS0_14default_configENS1_25transform_config_selectorIN3c107complexIfEELb1EEEZNS1_14transform_implILb1ES3_S8_PS7_SA_NS0_8identityIS7_EEEE10hipError_tT2_T3_mT4_P12ihipStream_tbEUlT_E_NS1_11comp_targetILNS1_3genE0ELNS1_11target_archE4294967295ELNS1_3gpuE0ELNS1_3repE0EEENS1_30default_config_static_selectorELNS0_4arch9wavefront6targetE0EEEvT1_
	.p2align	8
	.type	_ZN7rocprim17ROCPRIM_400000_NS6detail17trampoline_kernelINS0_14default_configENS1_25transform_config_selectorIN3c107complexIfEELb1EEEZNS1_14transform_implILb1ES3_S8_PS7_SA_NS0_8identityIS7_EEEE10hipError_tT2_T3_mT4_P12ihipStream_tbEUlT_E_NS1_11comp_targetILNS1_3genE0ELNS1_11target_archE4294967295ELNS1_3gpuE0ELNS1_3repE0EEENS1_30default_config_static_selectorELNS0_4arch9wavefront6targetE0EEEvT1_,@function
_ZN7rocprim17ROCPRIM_400000_NS6detail17trampoline_kernelINS0_14default_configENS1_25transform_config_selectorIN3c107complexIfEELb1EEEZNS1_14transform_implILb1ES3_S8_PS7_SA_NS0_8identityIS7_EEEE10hipError_tT2_T3_mT4_P12ihipStream_tbEUlT_E_NS1_11comp_targetILNS1_3genE0ELNS1_11target_archE4294967295ELNS1_3gpuE0ELNS1_3repE0EEENS1_30default_config_static_selectorELNS0_4arch9wavefront6targetE0EEEvT1_: ; @_ZN7rocprim17ROCPRIM_400000_NS6detail17trampoline_kernelINS0_14default_configENS1_25transform_config_selectorIN3c107complexIfEELb1EEEZNS1_14transform_implILb1ES3_S8_PS7_SA_NS0_8identityIS7_EEEE10hipError_tT2_T3_mT4_P12ihipStream_tbEUlT_E_NS1_11comp_targetILNS1_3genE0ELNS1_11target_archE4294967295ELNS1_3gpuE0ELNS1_3repE0EEENS1_30default_config_static_selectorELNS0_4arch9wavefront6targetE0EEEvT1_
; %bb.0:
	.section	.rodata,"a",@progbits
	.p2align	6, 0x0
	.amdhsa_kernel _ZN7rocprim17ROCPRIM_400000_NS6detail17trampoline_kernelINS0_14default_configENS1_25transform_config_selectorIN3c107complexIfEELb1EEEZNS1_14transform_implILb1ES3_S8_PS7_SA_NS0_8identityIS7_EEEE10hipError_tT2_T3_mT4_P12ihipStream_tbEUlT_E_NS1_11comp_targetILNS1_3genE0ELNS1_11target_archE4294967295ELNS1_3gpuE0ELNS1_3repE0EEENS1_30default_config_static_selectorELNS0_4arch9wavefront6targetE0EEEvT1_
		.amdhsa_group_segment_fixed_size 0
		.amdhsa_private_segment_fixed_size 0
		.amdhsa_kernarg_size 40
		.amdhsa_user_sgpr_count 15
		.amdhsa_user_sgpr_dispatch_ptr 0
		.amdhsa_user_sgpr_queue_ptr 0
		.amdhsa_user_sgpr_kernarg_segment_ptr 1
		.amdhsa_user_sgpr_dispatch_id 0
		.amdhsa_user_sgpr_private_segment_size 0
		.amdhsa_wavefront_size32 1
		.amdhsa_uses_dynamic_stack 0
		.amdhsa_enable_private_segment 0
		.amdhsa_system_sgpr_workgroup_id_x 1
		.amdhsa_system_sgpr_workgroup_id_y 0
		.amdhsa_system_sgpr_workgroup_id_z 0
		.amdhsa_system_sgpr_workgroup_info 0
		.amdhsa_system_vgpr_workitem_id 0
		.amdhsa_next_free_vgpr 1
		.amdhsa_next_free_sgpr 1
		.amdhsa_reserve_vcc 0
		.amdhsa_float_round_mode_32 0
		.amdhsa_float_round_mode_16_64 0
		.amdhsa_float_denorm_mode_32 3
		.amdhsa_float_denorm_mode_16_64 3
		.amdhsa_dx10_clamp 1
		.amdhsa_ieee_mode 1
		.amdhsa_fp16_overflow 0
		.amdhsa_workgroup_processor_mode 1
		.amdhsa_memory_ordered 1
		.amdhsa_forward_progress 0
		.amdhsa_shared_vgpr_count 0
		.amdhsa_exception_fp_ieee_invalid_op 0
		.amdhsa_exception_fp_denorm_src 0
		.amdhsa_exception_fp_ieee_div_zero 0
		.amdhsa_exception_fp_ieee_overflow 0
		.amdhsa_exception_fp_ieee_underflow 0
		.amdhsa_exception_fp_ieee_inexact 0
		.amdhsa_exception_int_div_zero 0
	.end_amdhsa_kernel
	.section	.text._ZN7rocprim17ROCPRIM_400000_NS6detail17trampoline_kernelINS0_14default_configENS1_25transform_config_selectorIN3c107complexIfEELb1EEEZNS1_14transform_implILb1ES3_S8_PS7_SA_NS0_8identityIS7_EEEE10hipError_tT2_T3_mT4_P12ihipStream_tbEUlT_E_NS1_11comp_targetILNS1_3genE0ELNS1_11target_archE4294967295ELNS1_3gpuE0ELNS1_3repE0EEENS1_30default_config_static_selectorELNS0_4arch9wavefront6targetE0EEEvT1_,"axG",@progbits,_ZN7rocprim17ROCPRIM_400000_NS6detail17trampoline_kernelINS0_14default_configENS1_25transform_config_selectorIN3c107complexIfEELb1EEEZNS1_14transform_implILb1ES3_S8_PS7_SA_NS0_8identityIS7_EEEE10hipError_tT2_T3_mT4_P12ihipStream_tbEUlT_E_NS1_11comp_targetILNS1_3genE0ELNS1_11target_archE4294967295ELNS1_3gpuE0ELNS1_3repE0EEENS1_30default_config_static_selectorELNS0_4arch9wavefront6targetE0EEEvT1_,comdat
.Lfunc_end277:
	.size	_ZN7rocprim17ROCPRIM_400000_NS6detail17trampoline_kernelINS0_14default_configENS1_25transform_config_selectorIN3c107complexIfEELb1EEEZNS1_14transform_implILb1ES3_S8_PS7_SA_NS0_8identityIS7_EEEE10hipError_tT2_T3_mT4_P12ihipStream_tbEUlT_E_NS1_11comp_targetILNS1_3genE0ELNS1_11target_archE4294967295ELNS1_3gpuE0ELNS1_3repE0EEENS1_30default_config_static_selectorELNS0_4arch9wavefront6targetE0EEEvT1_, .Lfunc_end277-_ZN7rocprim17ROCPRIM_400000_NS6detail17trampoline_kernelINS0_14default_configENS1_25transform_config_selectorIN3c107complexIfEELb1EEEZNS1_14transform_implILb1ES3_S8_PS7_SA_NS0_8identityIS7_EEEE10hipError_tT2_T3_mT4_P12ihipStream_tbEUlT_E_NS1_11comp_targetILNS1_3genE0ELNS1_11target_archE4294967295ELNS1_3gpuE0ELNS1_3repE0EEENS1_30default_config_static_selectorELNS0_4arch9wavefront6targetE0EEEvT1_
                                        ; -- End function
	.section	.AMDGPU.csdata,"",@progbits
; Kernel info:
; codeLenInByte = 0
; NumSgprs: 0
; NumVgprs: 0
; ScratchSize: 0
; MemoryBound: 0
; FloatMode: 240
; IeeeMode: 1
; LDSByteSize: 0 bytes/workgroup (compile time only)
; SGPRBlocks: 0
; VGPRBlocks: 0
; NumSGPRsForWavesPerEU: 1
; NumVGPRsForWavesPerEU: 1
; Occupancy: 16
; WaveLimiterHint : 0
; COMPUTE_PGM_RSRC2:SCRATCH_EN: 0
; COMPUTE_PGM_RSRC2:USER_SGPR: 15
; COMPUTE_PGM_RSRC2:TRAP_HANDLER: 0
; COMPUTE_PGM_RSRC2:TGID_X_EN: 1
; COMPUTE_PGM_RSRC2:TGID_Y_EN: 0
; COMPUTE_PGM_RSRC2:TGID_Z_EN: 0
; COMPUTE_PGM_RSRC2:TIDIG_COMP_CNT: 0
	.section	.text._ZN7rocprim17ROCPRIM_400000_NS6detail17trampoline_kernelINS0_14default_configENS1_25transform_config_selectorIN3c107complexIfEELb1EEEZNS1_14transform_implILb1ES3_S8_PS7_SA_NS0_8identityIS7_EEEE10hipError_tT2_T3_mT4_P12ihipStream_tbEUlT_E_NS1_11comp_targetILNS1_3genE10ELNS1_11target_archE1201ELNS1_3gpuE5ELNS1_3repE0EEENS1_30default_config_static_selectorELNS0_4arch9wavefront6targetE0EEEvT1_,"axG",@progbits,_ZN7rocprim17ROCPRIM_400000_NS6detail17trampoline_kernelINS0_14default_configENS1_25transform_config_selectorIN3c107complexIfEELb1EEEZNS1_14transform_implILb1ES3_S8_PS7_SA_NS0_8identityIS7_EEEE10hipError_tT2_T3_mT4_P12ihipStream_tbEUlT_E_NS1_11comp_targetILNS1_3genE10ELNS1_11target_archE1201ELNS1_3gpuE5ELNS1_3repE0EEENS1_30default_config_static_selectorELNS0_4arch9wavefront6targetE0EEEvT1_,comdat
	.protected	_ZN7rocprim17ROCPRIM_400000_NS6detail17trampoline_kernelINS0_14default_configENS1_25transform_config_selectorIN3c107complexIfEELb1EEEZNS1_14transform_implILb1ES3_S8_PS7_SA_NS0_8identityIS7_EEEE10hipError_tT2_T3_mT4_P12ihipStream_tbEUlT_E_NS1_11comp_targetILNS1_3genE10ELNS1_11target_archE1201ELNS1_3gpuE5ELNS1_3repE0EEENS1_30default_config_static_selectorELNS0_4arch9wavefront6targetE0EEEvT1_ ; -- Begin function _ZN7rocprim17ROCPRIM_400000_NS6detail17trampoline_kernelINS0_14default_configENS1_25transform_config_selectorIN3c107complexIfEELb1EEEZNS1_14transform_implILb1ES3_S8_PS7_SA_NS0_8identityIS7_EEEE10hipError_tT2_T3_mT4_P12ihipStream_tbEUlT_E_NS1_11comp_targetILNS1_3genE10ELNS1_11target_archE1201ELNS1_3gpuE5ELNS1_3repE0EEENS1_30default_config_static_selectorELNS0_4arch9wavefront6targetE0EEEvT1_
	.globl	_ZN7rocprim17ROCPRIM_400000_NS6detail17trampoline_kernelINS0_14default_configENS1_25transform_config_selectorIN3c107complexIfEELb1EEEZNS1_14transform_implILb1ES3_S8_PS7_SA_NS0_8identityIS7_EEEE10hipError_tT2_T3_mT4_P12ihipStream_tbEUlT_E_NS1_11comp_targetILNS1_3genE10ELNS1_11target_archE1201ELNS1_3gpuE5ELNS1_3repE0EEENS1_30default_config_static_selectorELNS0_4arch9wavefront6targetE0EEEvT1_
	.p2align	8
	.type	_ZN7rocprim17ROCPRIM_400000_NS6detail17trampoline_kernelINS0_14default_configENS1_25transform_config_selectorIN3c107complexIfEELb1EEEZNS1_14transform_implILb1ES3_S8_PS7_SA_NS0_8identityIS7_EEEE10hipError_tT2_T3_mT4_P12ihipStream_tbEUlT_E_NS1_11comp_targetILNS1_3genE10ELNS1_11target_archE1201ELNS1_3gpuE5ELNS1_3repE0EEENS1_30default_config_static_selectorELNS0_4arch9wavefront6targetE0EEEvT1_,@function
_ZN7rocprim17ROCPRIM_400000_NS6detail17trampoline_kernelINS0_14default_configENS1_25transform_config_selectorIN3c107complexIfEELb1EEEZNS1_14transform_implILb1ES3_S8_PS7_SA_NS0_8identityIS7_EEEE10hipError_tT2_T3_mT4_P12ihipStream_tbEUlT_E_NS1_11comp_targetILNS1_3genE10ELNS1_11target_archE1201ELNS1_3gpuE5ELNS1_3repE0EEENS1_30default_config_static_selectorELNS0_4arch9wavefront6targetE0EEEvT1_: ; @_ZN7rocprim17ROCPRIM_400000_NS6detail17trampoline_kernelINS0_14default_configENS1_25transform_config_selectorIN3c107complexIfEELb1EEEZNS1_14transform_implILb1ES3_S8_PS7_SA_NS0_8identityIS7_EEEE10hipError_tT2_T3_mT4_P12ihipStream_tbEUlT_E_NS1_11comp_targetILNS1_3genE10ELNS1_11target_archE1201ELNS1_3gpuE5ELNS1_3repE0EEENS1_30default_config_static_selectorELNS0_4arch9wavefront6targetE0EEEvT1_
; %bb.0:
	.section	.rodata,"a",@progbits
	.p2align	6, 0x0
	.amdhsa_kernel _ZN7rocprim17ROCPRIM_400000_NS6detail17trampoline_kernelINS0_14default_configENS1_25transform_config_selectorIN3c107complexIfEELb1EEEZNS1_14transform_implILb1ES3_S8_PS7_SA_NS0_8identityIS7_EEEE10hipError_tT2_T3_mT4_P12ihipStream_tbEUlT_E_NS1_11comp_targetILNS1_3genE10ELNS1_11target_archE1201ELNS1_3gpuE5ELNS1_3repE0EEENS1_30default_config_static_selectorELNS0_4arch9wavefront6targetE0EEEvT1_
		.amdhsa_group_segment_fixed_size 0
		.amdhsa_private_segment_fixed_size 0
		.amdhsa_kernarg_size 40
		.amdhsa_user_sgpr_count 15
		.amdhsa_user_sgpr_dispatch_ptr 0
		.amdhsa_user_sgpr_queue_ptr 0
		.amdhsa_user_sgpr_kernarg_segment_ptr 1
		.amdhsa_user_sgpr_dispatch_id 0
		.amdhsa_user_sgpr_private_segment_size 0
		.amdhsa_wavefront_size32 1
		.amdhsa_uses_dynamic_stack 0
		.amdhsa_enable_private_segment 0
		.amdhsa_system_sgpr_workgroup_id_x 1
		.amdhsa_system_sgpr_workgroup_id_y 0
		.amdhsa_system_sgpr_workgroup_id_z 0
		.amdhsa_system_sgpr_workgroup_info 0
		.amdhsa_system_vgpr_workitem_id 0
		.amdhsa_next_free_vgpr 1
		.amdhsa_next_free_sgpr 1
		.amdhsa_reserve_vcc 0
		.amdhsa_float_round_mode_32 0
		.amdhsa_float_round_mode_16_64 0
		.amdhsa_float_denorm_mode_32 3
		.amdhsa_float_denorm_mode_16_64 3
		.amdhsa_dx10_clamp 1
		.amdhsa_ieee_mode 1
		.amdhsa_fp16_overflow 0
		.amdhsa_workgroup_processor_mode 1
		.amdhsa_memory_ordered 1
		.amdhsa_forward_progress 0
		.amdhsa_shared_vgpr_count 0
		.amdhsa_exception_fp_ieee_invalid_op 0
		.amdhsa_exception_fp_denorm_src 0
		.amdhsa_exception_fp_ieee_div_zero 0
		.amdhsa_exception_fp_ieee_overflow 0
		.amdhsa_exception_fp_ieee_underflow 0
		.amdhsa_exception_fp_ieee_inexact 0
		.amdhsa_exception_int_div_zero 0
	.end_amdhsa_kernel
	.section	.text._ZN7rocprim17ROCPRIM_400000_NS6detail17trampoline_kernelINS0_14default_configENS1_25transform_config_selectorIN3c107complexIfEELb1EEEZNS1_14transform_implILb1ES3_S8_PS7_SA_NS0_8identityIS7_EEEE10hipError_tT2_T3_mT4_P12ihipStream_tbEUlT_E_NS1_11comp_targetILNS1_3genE10ELNS1_11target_archE1201ELNS1_3gpuE5ELNS1_3repE0EEENS1_30default_config_static_selectorELNS0_4arch9wavefront6targetE0EEEvT1_,"axG",@progbits,_ZN7rocprim17ROCPRIM_400000_NS6detail17trampoline_kernelINS0_14default_configENS1_25transform_config_selectorIN3c107complexIfEELb1EEEZNS1_14transform_implILb1ES3_S8_PS7_SA_NS0_8identityIS7_EEEE10hipError_tT2_T3_mT4_P12ihipStream_tbEUlT_E_NS1_11comp_targetILNS1_3genE10ELNS1_11target_archE1201ELNS1_3gpuE5ELNS1_3repE0EEENS1_30default_config_static_selectorELNS0_4arch9wavefront6targetE0EEEvT1_,comdat
.Lfunc_end278:
	.size	_ZN7rocprim17ROCPRIM_400000_NS6detail17trampoline_kernelINS0_14default_configENS1_25transform_config_selectorIN3c107complexIfEELb1EEEZNS1_14transform_implILb1ES3_S8_PS7_SA_NS0_8identityIS7_EEEE10hipError_tT2_T3_mT4_P12ihipStream_tbEUlT_E_NS1_11comp_targetILNS1_3genE10ELNS1_11target_archE1201ELNS1_3gpuE5ELNS1_3repE0EEENS1_30default_config_static_selectorELNS0_4arch9wavefront6targetE0EEEvT1_, .Lfunc_end278-_ZN7rocprim17ROCPRIM_400000_NS6detail17trampoline_kernelINS0_14default_configENS1_25transform_config_selectorIN3c107complexIfEELb1EEEZNS1_14transform_implILb1ES3_S8_PS7_SA_NS0_8identityIS7_EEEE10hipError_tT2_T3_mT4_P12ihipStream_tbEUlT_E_NS1_11comp_targetILNS1_3genE10ELNS1_11target_archE1201ELNS1_3gpuE5ELNS1_3repE0EEENS1_30default_config_static_selectorELNS0_4arch9wavefront6targetE0EEEvT1_
                                        ; -- End function
	.section	.AMDGPU.csdata,"",@progbits
; Kernel info:
; codeLenInByte = 0
; NumSgprs: 0
; NumVgprs: 0
; ScratchSize: 0
; MemoryBound: 0
; FloatMode: 240
; IeeeMode: 1
; LDSByteSize: 0 bytes/workgroup (compile time only)
; SGPRBlocks: 0
; VGPRBlocks: 0
; NumSGPRsForWavesPerEU: 1
; NumVGPRsForWavesPerEU: 1
; Occupancy: 16
; WaveLimiterHint : 0
; COMPUTE_PGM_RSRC2:SCRATCH_EN: 0
; COMPUTE_PGM_RSRC2:USER_SGPR: 15
; COMPUTE_PGM_RSRC2:TRAP_HANDLER: 0
; COMPUTE_PGM_RSRC2:TGID_X_EN: 1
; COMPUTE_PGM_RSRC2:TGID_Y_EN: 0
; COMPUTE_PGM_RSRC2:TGID_Z_EN: 0
; COMPUTE_PGM_RSRC2:TIDIG_COMP_CNT: 0
	.section	.text._ZN7rocprim17ROCPRIM_400000_NS6detail17trampoline_kernelINS0_14default_configENS1_25transform_config_selectorIN3c107complexIfEELb1EEEZNS1_14transform_implILb1ES3_S8_PS7_SA_NS0_8identityIS7_EEEE10hipError_tT2_T3_mT4_P12ihipStream_tbEUlT_E_NS1_11comp_targetILNS1_3genE5ELNS1_11target_archE942ELNS1_3gpuE9ELNS1_3repE0EEENS1_30default_config_static_selectorELNS0_4arch9wavefront6targetE0EEEvT1_,"axG",@progbits,_ZN7rocprim17ROCPRIM_400000_NS6detail17trampoline_kernelINS0_14default_configENS1_25transform_config_selectorIN3c107complexIfEELb1EEEZNS1_14transform_implILb1ES3_S8_PS7_SA_NS0_8identityIS7_EEEE10hipError_tT2_T3_mT4_P12ihipStream_tbEUlT_E_NS1_11comp_targetILNS1_3genE5ELNS1_11target_archE942ELNS1_3gpuE9ELNS1_3repE0EEENS1_30default_config_static_selectorELNS0_4arch9wavefront6targetE0EEEvT1_,comdat
	.protected	_ZN7rocprim17ROCPRIM_400000_NS6detail17trampoline_kernelINS0_14default_configENS1_25transform_config_selectorIN3c107complexIfEELb1EEEZNS1_14transform_implILb1ES3_S8_PS7_SA_NS0_8identityIS7_EEEE10hipError_tT2_T3_mT4_P12ihipStream_tbEUlT_E_NS1_11comp_targetILNS1_3genE5ELNS1_11target_archE942ELNS1_3gpuE9ELNS1_3repE0EEENS1_30default_config_static_selectorELNS0_4arch9wavefront6targetE0EEEvT1_ ; -- Begin function _ZN7rocprim17ROCPRIM_400000_NS6detail17trampoline_kernelINS0_14default_configENS1_25transform_config_selectorIN3c107complexIfEELb1EEEZNS1_14transform_implILb1ES3_S8_PS7_SA_NS0_8identityIS7_EEEE10hipError_tT2_T3_mT4_P12ihipStream_tbEUlT_E_NS1_11comp_targetILNS1_3genE5ELNS1_11target_archE942ELNS1_3gpuE9ELNS1_3repE0EEENS1_30default_config_static_selectorELNS0_4arch9wavefront6targetE0EEEvT1_
	.globl	_ZN7rocprim17ROCPRIM_400000_NS6detail17trampoline_kernelINS0_14default_configENS1_25transform_config_selectorIN3c107complexIfEELb1EEEZNS1_14transform_implILb1ES3_S8_PS7_SA_NS0_8identityIS7_EEEE10hipError_tT2_T3_mT4_P12ihipStream_tbEUlT_E_NS1_11comp_targetILNS1_3genE5ELNS1_11target_archE942ELNS1_3gpuE9ELNS1_3repE0EEENS1_30default_config_static_selectorELNS0_4arch9wavefront6targetE0EEEvT1_
	.p2align	8
	.type	_ZN7rocprim17ROCPRIM_400000_NS6detail17trampoline_kernelINS0_14default_configENS1_25transform_config_selectorIN3c107complexIfEELb1EEEZNS1_14transform_implILb1ES3_S8_PS7_SA_NS0_8identityIS7_EEEE10hipError_tT2_T3_mT4_P12ihipStream_tbEUlT_E_NS1_11comp_targetILNS1_3genE5ELNS1_11target_archE942ELNS1_3gpuE9ELNS1_3repE0EEENS1_30default_config_static_selectorELNS0_4arch9wavefront6targetE0EEEvT1_,@function
_ZN7rocprim17ROCPRIM_400000_NS6detail17trampoline_kernelINS0_14default_configENS1_25transform_config_selectorIN3c107complexIfEELb1EEEZNS1_14transform_implILb1ES3_S8_PS7_SA_NS0_8identityIS7_EEEE10hipError_tT2_T3_mT4_P12ihipStream_tbEUlT_E_NS1_11comp_targetILNS1_3genE5ELNS1_11target_archE942ELNS1_3gpuE9ELNS1_3repE0EEENS1_30default_config_static_selectorELNS0_4arch9wavefront6targetE0EEEvT1_: ; @_ZN7rocprim17ROCPRIM_400000_NS6detail17trampoline_kernelINS0_14default_configENS1_25transform_config_selectorIN3c107complexIfEELb1EEEZNS1_14transform_implILb1ES3_S8_PS7_SA_NS0_8identityIS7_EEEE10hipError_tT2_T3_mT4_P12ihipStream_tbEUlT_E_NS1_11comp_targetILNS1_3genE5ELNS1_11target_archE942ELNS1_3gpuE9ELNS1_3repE0EEENS1_30default_config_static_selectorELNS0_4arch9wavefront6targetE0EEEvT1_
; %bb.0:
	.section	.rodata,"a",@progbits
	.p2align	6, 0x0
	.amdhsa_kernel _ZN7rocprim17ROCPRIM_400000_NS6detail17trampoline_kernelINS0_14default_configENS1_25transform_config_selectorIN3c107complexIfEELb1EEEZNS1_14transform_implILb1ES3_S8_PS7_SA_NS0_8identityIS7_EEEE10hipError_tT2_T3_mT4_P12ihipStream_tbEUlT_E_NS1_11comp_targetILNS1_3genE5ELNS1_11target_archE942ELNS1_3gpuE9ELNS1_3repE0EEENS1_30default_config_static_selectorELNS0_4arch9wavefront6targetE0EEEvT1_
		.amdhsa_group_segment_fixed_size 0
		.amdhsa_private_segment_fixed_size 0
		.amdhsa_kernarg_size 40
		.amdhsa_user_sgpr_count 15
		.amdhsa_user_sgpr_dispatch_ptr 0
		.amdhsa_user_sgpr_queue_ptr 0
		.amdhsa_user_sgpr_kernarg_segment_ptr 1
		.amdhsa_user_sgpr_dispatch_id 0
		.amdhsa_user_sgpr_private_segment_size 0
		.amdhsa_wavefront_size32 1
		.amdhsa_uses_dynamic_stack 0
		.amdhsa_enable_private_segment 0
		.amdhsa_system_sgpr_workgroup_id_x 1
		.amdhsa_system_sgpr_workgroup_id_y 0
		.amdhsa_system_sgpr_workgroup_id_z 0
		.amdhsa_system_sgpr_workgroup_info 0
		.amdhsa_system_vgpr_workitem_id 0
		.amdhsa_next_free_vgpr 1
		.amdhsa_next_free_sgpr 1
		.amdhsa_reserve_vcc 0
		.amdhsa_float_round_mode_32 0
		.amdhsa_float_round_mode_16_64 0
		.amdhsa_float_denorm_mode_32 3
		.amdhsa_float_denorm_mode_16_64 3
		.amdhsa_dx10_clamp 1
		.amdhsa_ieee_mode 1
		.amdhsa_fp16_overflow 0
		.amdhsa_workgroup_processor_mode 1
		.amdhsa_memory_ordered 1
		.amdhsa_forward_progress 0
		.amdhsa_shared_vgpr_count 0
		.amdhsa_exception_fp_ieee_invalid_op 0
		.amdhsa_exception_fp_denorm_src 0
		.amdhsa_exception_fp_ieee_div_zero 0
		.amdhsa_exception_fp_ieee_overflow 0
		.amdhsa_exception_fp_ieee_underflow 0
		.amdhsa_exception_fp_ieee_inexact 0
		.amdhsa_exception_int_div_zero 0
	.end_amdhsa_kernel
	.section	.text._ZN7rocprim17ROCPRIM_400000_NS6detail17trampoline_kernelINS0_14default_configENS1_25transform_config_selectorIN3c107complexIfEELb1EEEZNS1_14transform_implILb1ES3_S8_PS7_SA_NS0_8identityIS7_EEEE10hipError_tT2_T3_mT4_P12ihipStream_tbEUlT_E_NS1_11comp_targetILNS1_3genE5ELNS1_11target_archE942ELNS1_3gpuE9ELNS1_3repE0EEENS1_30default_config_static_selectorELNS0_4arch9wavefront6targetE0EEEvT1_,"axG",@progbits,_ZN7rocprim17ROCPRIM_400000_NS6detail17trampoline_kernelINS0_14default_configENS1_25transform_config_selectorIN3c107complexIfEELb1EEEZNS1_14transform_implILb1ES3_S8_PS7_SA_NS0_8identityIS7_EEEE10hipError_tT2_T3_mT4_P12ihipStream_tbEUlT_E_NS1_11comp_targetILNS1_3genE5ELNS1_11target_archE942ELNS1_3gpuE9ELNS1_3repE0EEENS1_30default_config_static_selectorELNS0_4arch9wavefront6targetE0EEEvT1_,comdat
.Lfunc_end279:
	.size	_ZN7rocprim17ROCPRIM_400000_NS6detail17trampoline_kernelINS0_14default_configENS1_25transform_config_selectorIN3c107complexIfEELb1EEEZNS1_14transform_implILb1ES3_S8_PS7_SA_NS0_8identityIS7_EEEE10hipError_tT2_T3_mT4_P12ihipStream_tbEUlT_E_NS1_11comp_targetILNS1_3genE5ELNS1_11target_archE942ELNS1_3gpuE9ELNS1_3repE0EEENS1_30default_config_static_selectorELNS0_4arch9wavefront6targetE0EEEvT1_, .Lfunc_end279-_ZN7rocprim17ROCPRIM_400000_NS6detail17trampoline_kernelINS0_14default_configENS1_25transform_config_selectorIN3c107complexIfEELb1EEEZNS1_14transform_implILb1ES3_S8_PS7_SA_NS0_8identityIS7_EEEE10hipError_tT2_T3_mT4_P12ihipStream_tbEUlT_E_NS1_11comp_targetILNS1_3genE5ELNS1_11target_archE942ELNS1_3gpuE9ELNS1_3repE0EEENS1_30default_config_static_selectorELNS0_4arch9wavefront6targetE0EEEvT1_
                                        ; -- End function
	.section	.AMDGPU.csdata,"",@progbits
; Kernel info:
; codeLenInByte = 0
; NumSgprs: 0
; NumVgprs: 0
; ScratchSize: 0
; MemoryBound: 0
; FloatMode: 240
; IeeeMode: 1
; LDSByteSize: 0 bytes/workgroup (compile time only)
; SGPRBlocks: 0
; VGPRBlocks: 0
; NumSGPRsForWavesPerEU: 1
; NumVGPRsForWavesPerEU: 1
; Occupancy: 16
; WaveLimiterHint : 0
; COMPUTE_PGM_RSRC2:SCRATCH_EN: 0
; COMPUTE_PGM_RSRC2:USER_SGPR: 15
; COMPUTE_PGM_RSRC2:TRAP_HANDLER: 0
; COMPUTE_PGM_RSRC2:TGID_X_EN: 1
; COMPUTE_PGM_RSRC2:TGID_Y_EN: 0
; COMPUTE_PGM_RSRC2:TGID_Z_EN: 0
; COMPUTE_PGM_RSRC2:TIDIG_COMP_CNT: 0
	.section	.text._ZN7rocprim17ROCPRIM_400000_NS6detail17trampoline_kernelINS0_14default_configENS1_25transform_config_selectorIN3c107complexIfEELb1EEEZNS1_14transform_implILb1ES3_S8_PS7_SA_NS0_8identityIS7_EEEE10hipError_tT2_T3_mT4_P12ihipStream_tbEUlT_E_NS1_11comp_targetILNS1_3genE4ELNS1_11target_archE910ELNS1_3gpuE8ELNS1_3repE0EEENS1_30default_config_static_selectorELNS0_4arch9wavefront6targetE0EEEvT1_,"axG",@progbits,_ZN7rocprim17ROCPRIM_400000_NS6detail17trampoline_kernelINS0_14default_configENS1_25transform_config_selectorIN3c107complexIfEELb1EEEZNS1_14transform_implILb1ES3_S8_PS7_SA_NS0_8identityIS7_EEEE10hipError_tT2_T3_mT4_P12ihipStream_tbEUlT_E_NS1_11comp_targetILNS1_3genE4ELNS1_11target_archE910ELNS1_3gpuE8ELNS1_3repE0EEENS1_30default_config_static_selectorELNS0_4arch9wavefront6targetE0EEEvT1_,comdat
	.protected	_ZN7rocprim17ROCPRIM_400000_NS6detail17trampoline_kernelINS0_14default_configENS1_25transform_config_selectorIN3c107complexIfEELb1EEEZNS1_14transform_implILb1ES3_S8_PS7_SA_NS0_8identityIS7_EEEE10hipError_tT2_T3_mT4_P12ihipStream_tbEUlT_E_NS1_11comp_targetILNS1_3genE4ELNS1_11target_archE910ELNS1_3gpuE8ELNS1_3repE0EEENS1_30default_config_static_selectorELNS0_4arch9wavefront6targetE0EEEvT1_ ; -- Begin function _ZN7rocprim17ROCPRIM_400000_NS6detail17trampoline_kernelINS0_14default_configENS1_25transform_config_selectorIN3c107complexIfEELb1EEEZNS1_14transform_implILb1ES3_S8_PS7_SA_NS0_8identityIS7_EEEE10hipError_tT2_T3_mT4_P12ihipStream_tbEUlT_E_NS1_11comp_targetILNS1_3genE4ELNS1_11target_archE910ELNS1_3gpuE8ELNS1_3repE0EEENS1_30default_config_static_selectorELNS0_4arch9wavefront6targetE0EEEvT1_
	.globl	_ZN7rocprim17ROCPRIM_400000_NS6detail17trampoline_kernelINS0_14default_configENS1_25transform_config_selectorIN3c107complexIfEELb1EEEZNS1_14transform_implILb1ES3_S8_PS7_SA_NS0_8identityIS7_EEEE10hipError_tT2_T3_mT4_P12ihipStream_tbEUlT_E_NS1_11comp_targetILNS1_3genE4ELNS1_11target_archE910ELNS1_3gpuE8ELNS1_3repE0EEENS1_30default_config_static_selectorELNS0_4arch9wavefront6targetE0EEEvT1_
	.p2align	8
	.type	_ZN7rocprim17ROCPRIM_400000_NS6detail17trampoline_kernelINS0_14default_configENS1_25transform_config_selectorIN3c107complexIfEELb1EEEZNS1_14transform_implILb1ES3_S8_PS7_SA_NS0_8identityIS7_EEEE10hipError_tT2_T3_mT4_P12ihipStream_tbEUlT_E_NS1_11comp_targetILNS1_3genE4ELNS1_11target_archE910ELNS1_3gpuE8ELNS1_3repE0EEENS1_30default_config_static_selectorELNS0_4arch9wavefront6targetE0EEEvT1_,@function
_ZN7rocprim17ROCPRIM_400000_NS6detail17trampoline_kernelINS0_14default_configENS1_25transform_config_selectorIN3c107complexIfEELb1EEEZNS1_14transform_implILb1ES3_S8_PS7_SA_NS0_8identityIS7_EEEE10hipError_tT2_T3_mT4_P12ihipStream_tbEUlT_E_NS1_11comp_targetILNS1_3genE4ELNS1_11target_archE910ELNS1_3gpuE8ELNS1_3repE0EEENS1_30default_config_static_selectorELNS0_4arch9wavefront6targetE0EEEvT1_: ; @_ZN7rocprim17ROCPRIM_400000_NS6detail17trampoline_kernelINS0_14default_configENS1_25transform_config_selectorIN3c107complexIfEELb1EEEZNS1_14transform_implILb1ES3_S8_PS7_SA_NS0_8identityIS7_EEEE10hipError_tT2_T3_mT4_P12ihipStream_tbEUlT_E_NS1_11comp_targetILNS1_3genE4ELNS1_11target_archE910ELNS1_3gpuE8ELNS1_3repE0EEENS1_30default_config_static_selectorELNS0_4arch9wavefront6targetE0EEEvT1_
; %bb.0:
	.section	.rodata,"a",@progbits
	.p2align	6, 0x0
	.amdhsa_kernel _ZN7rocprim17ROCPRIM_400000_NS6detail17trampoline_kernelINS0_14default_configENS1_25transform_config_selectorIN3c107complexIfEELb1EEEZNS1_14transform_implILb1ES3_S8_PS7_SA_NS0_8identityIS7_EEEE10hipError_tT2_T3_mT4_P12ihipStream_tbEUlT_E_NS1_11comp_targetILNS1_3genE4ELNS1_11target_archE910ELNS1_3gpuE8ELNS1_3repE0EEENS1_30default_config_static_selectorELNS0_4arch9wavefront6targetE0EEEvT1_
		.amdhsa_group_segment_fixed_size 0
		.amdhsa_private_segment_fixed_size 0
		.amdhsa_kernarg_size 40
		.amdhsa_user_sgpr_count 15
		.amdhsa_user_sgpr_dispatch_ptr 0
		.amdhsa_user_sgpr_queue_ptr 0
		.amdhsa_user_sgpr_kernarg_segment_ptr 1
		.amdhsa_user_sgpr_dispatch_id 0
		.amdhsa_user_sgpr_private_segment_size 0
		.amdhsa_wavefront_size32 1
		.amdhsa_uses_dynamic_stack 0
		.amdhsa_enable_private_segment 0
		.amdhsa_system_sgpr_workgroup_id_x 1
		.amdhsa_system_sgpr_workgroup_id_y 0
		.amdhsa_system_sgpr_workgroup_id_z 0
		.amdhsa_system_sgpr_workgroup_info 0
		.amdhsa_system_vgpr_workitem_id 0
		.amdhsa_next_free_vgpr 1
		.amdhsa_next_free_sgpr 1
		.amdhsa_reserve_vcc 0
		.amdhsa_float_round_mode_32 0
		.amdhsa_float_round_mode_16_64 0
		.amdhsa_float_denorm_mode_32 3
		.amdhsa_float_denorm_mode_16_64 3
		.amdhsa_dx10_clamp 1
		.amdhsa_ieee_mode 1
		.amdhsa_fp16_overflow 0
		.amdhsa_workgroup_processor_mode 1
		.amdhsa_memory_ordered 1
		.amdhsa_forward_progress 0
		.amdhsa_shared_vgpr_count 0
		.amdhsa_exception_fp_ieee_invalid_op 0
		.amdhsa_exception_fp_denorm_src 0
		.amdhsa_exception_fp_ieee_div_zero 0
		.amdhsa_exception_fp_ieee_overflow 0
		.amdhsa_exception_fp_ieee_underflow 0
		.amdhsa_exception_fp_ieee_inexact 0
		.amdhsa_exception_int_div_zero 0
	.end_amdhsa_kernel
	.section	.text._ZN7rocprim17ROCPRIM_400000_NS6detail17trampoline_kernelINS0_14default_configENS1_25transform_config_selectorIN3c107complexIfEELb1EEEZNS1_14transform_implILb1ES3_S8_PS7_SA_NS0_8identityIS7_EEEE10hipError_tT2_T3_mT4_P12ihipStream_tbEUlT_E_NS1_11comp_targetILNS1_3genE4ELNS1_11target_archE910ELNS1_3gpuE8ELNS1_3repE0EEENS1_30default_config_static_selectorELNS0_4arch9wavefront6targetE0EEEvT1_,"axG",@progbits,_ZN7rocprim17ROCPRIM_400000_NS6detail17trampoline_kernelINS0_14default_configENS1_25transform_config_selectorIN3c107complexIfEELb1EEEZNS1_14transform_implILb1ES3_S8_PS7_SA_NS0_8identityIS7_EEEE10hipError_tT2_T3_mT4_P12ihipStream_tbEUlT_E_NS1_11comp_targetILNS1_3genE4ELNS1_11target_archE910ELNS1_3gpuE8ELNS1_3repE0EEENS1_30default_config_static_selectorELNS0_4arch9wavefront6targetE0EEEvT1_,comdat
.Lfunc_end280:
	.size	_ZN7rocprim17ROCPRIM_400000_NS6detail17trampoline_kernelINS0_14default_configENS1_25transform_config_selectorIN3c107complexIfEELb1EEEZNS1_14transform_implILb1ES3_S8_PS7_SA_NS0_8identityIS7_EEEE10hipError_tT2_T3_mT4_P12ihipStream_tbEUlT_E_NS1_11comp_targetILNS1_3genE4ELNS1_11target_archE910ELNS1_3gpuE8ELNS1_3repE0EEENS1_30default_config_static_selectorELNS0_4arch9wavefront6targetE0EEEvT1_, .Lfunc_end280-_ZN7rocprim17ROCPRIM_400000_NS6detail17trampoline_kernelINS0_14default_configENS1_25transform_config_selectorIN3c107complexIfEELb1EEEZNS1_14transform_implILb1ES3_S8_PS7_SA_NS0_8identityIS7_EEEE10hipError_tT2_T3_mT4_P12ihipStream_tbEUlT_E_NS1_11comp_targetILNS1_3genE4ELNS1_11target_archE910ELNS1_3gpuE8ELNS1_3repE0EEENS1_30default_config_static_selectorELNS0_4arch9wavefront6targetE0EEEvT1_
                                        ; -- End function
	.section	.AMDGPU.csdata,"",@progbits
; Kernel info:
; codeLenInByte = 0
; NumSgprs: 0
; NumVgprs: 0
; ScratchSize: 0
; MemoryBound: 0
; FloatMode: 240
; IeeeMode: 1
; LDSByteSize: 0 bytes/workgroup (compile time only)
; SGPRBlocks: 0
; VGPRBlocks: 0
; NumSGPRsForWavesPerEU: 1
; NumVGPRsForWavesPerEU: 1
; Occupancy: 16
; WaveLimiterHint : 0
; COMPUTE_PGM_RSRC2:SCRATCH_EN: 0
; COMPUTE_PGM_RSRC2:USER_SGPR: 15
; COMPUTE_PGM_RSRC2:TRAP_HANDLER: 0
; COMPUTE_PGM_RSRC2:TGID_X_EN: 1
; COMPUTE_PGM_RSRC2:TGID_Y_EN: 0
; COMPUTE_PGM_RSRC2:TGID_Z_EN: 0
; COMPUTE_PGM_RSRC2:TIDIG_COMP_CNT: 0
	.section	.text._ZN7rocprim17ROCPRIM_400000_NS6detail17trampoline_kernelINS0_14default_configENS1_25transform_config_selectorIN3c107complexIfEELb1EEEZNS1_14transform_implILb1ES3_S8_PS7_SA_NS0_8identityIS7_EEEE10hipError_tT2_T3_mT4_P12ihipStream_tbEUlT_E_NS1_11comp_targetILNS1_3genE3ELNS1_11target_archE908ELNS1_3gpuE7ELNS1_3repE0EEENS1_30default_config_static_selectorELNS0_4arch9wavefront6targetE0EEEvT1_,"axG",@progbits,_ZN7rocprim17ROCPRIM_400000_NS6detail17trampoline_kernelINS0_14default_configENS1_25transform_config_selectorIN3c107complexIfEELb1EEEZNS1_14transform_implILb1ES3_S8_PS7_SA_NS0_8identityIS7_EEEE10hipError_tT2_T3_mT4_P12ihipStream_tbEUlT_E_NS1_11comp_targetILNS1_3genE3ELNS1_11target_archE908ELNS1_3gpuE7ELNS1_3repE0EEENS1_30default_config_static_selectorELNS0_4arch9wavefront6targetE0EEEvT1_,comdat
	.protected	_ZN7rocprim17ROCPRIM_400000_NS6detail17trampoline_kernelINS0_14default_configENS1_25transform_config_selectorIN3c107complexIfEELb1EEEZNS1_14transform_implILb1ES3_S8_PS7_SA_NS0_8identityIS7_EEEE10hipError_tT2_T3_mT4_P12ihipStream_tbEUlT_E_NS1_11comp_targetILNS1_3genE3ELNS1_11target_archE908ELNS1_3gpuE7ELNS1_3repE0EEENS1_30default_config_static_selectorELNS0_4arch9wavefront6targetE0EEEvT1_ ; -- Begin function _ZN7rocprim17ROCPRIM_400000_NS6detail17trampoline_kernelINS0_14default_configENS1_25transform_config_selectorIN3c107complexIfEELb1EEEZNS1_14transform_implILb1ES3_S8_PS7_SA_NS0_8identityIS7_EEEE10hipError_tT2_T3_mT4_P12ihipStream_tbEUlT_E_NS1_11comp_targetILNS1_3genE3ELNS1_11target_archE908ELNS1_3gpuE7ELNS1_3repE0EEENS1_30default_config_static_selectorELNS0_4arch9wavefront6targetE0EEEvT1_
	.globl	_ZN7rocprim17ROCPRIM_400000_NS6detail17trampoline_kernelINS0_14default_configENS1_25transform_config_selectorIN3c107complexIfEELb1EEEZNS1_14transform_implILb1ES3_S8_PS7_SA_NS0_8identityIS7_EEEE10hipError_tT2_T3_mT4_P12ihipStream_tbEUlT_E_NS1_11comp_targetILNS1_3genE3ELNS1_11target_archE908ELNS1_3gpuE7ELNS1_3repE0EEENS1_30default_config_static_selectorELNS0_4arch9wavefront6targetE0EEEvT1_
	.p2align	8
	.type	_ZN7rocprim17ROCPRIM_400000_NS6detail17trampoline_kernelINS0_14default_configENS1_25transform_config_selectorIN3c107complexIfEELb1EEEZNS1_14transform_implILb1ES3_S8_PS7_SA_NS0_8identityIS7_EEEE10hipError_tT2_T3_mT4_P12ihipStream_tbEUlT_E_NS1_11comp_targetILNS1_3genE3ELNS1_11target_archE908ELNS1_3gpuE7ELNS1_3repE0EEENS1_30default_config_static_selectorELNS0_4arch9wavefront6targetE0EEEvT1_,@function
_ZN7rocprim17ROCPRIM_400000_NS6detail17trampoline_kernelINS0_14default_configENS1_25transform_config_selectorIN3c107complexIfEELb1EEEZNS1_14transform_implILb1ES3_S8_PS7_SA_NS0_8identityIS7_EEEE10hipError_tT2_T3_mT4_P12ihipStream_tbEUlT_E_NS1_11comp_targetILNS1_3genE3ELNS1_11target_archE908ELNS1_3gpuE7ELNS1_3repE0EEENS1_30default_config_static_selectorELNS0_4arch9wavefront6targetE0EEEvT1_: ; @_ZN7rocprim17ROCPRIM_400000_NS6detail17trampoline_kernelINS0_14default_configENS1_25transform_config_selectorIN3c107complexIfEELb1EEEZNS1_14transform_implILb1ES3_S8_PS7_SA_NS0_8identityIS7_EEEE10hipError_tT2_T3_mT4_P12ihipStream_tbEUlT_E_NS1_11comp_targetILNS1_3genE3ELNS1_11target_archE908ELNS1_3gpuE7ELNS1_3repE0EEENS1_30default_config_static_selectorELNS0_4arch9wavefront6targetE0EEEvT1_
; %bb.0:
	.section	.rodata,"a",@progbits
	.p2align	6, 0x0
	.amdhsa_kernel _ZN7rocprim17ROCPRIM_400000_NS6detail17trampoline_kernelINS0_14default_configENS1_25transform_config_selectorIN3c107complexIfEELb1EEEZNS1_14transform_implILb1ES3_S8_PS7_SA_NS0_8identityIS7_EEEE10hipError_tT2_T3_mT4_P12ihipStream_tbEUlT_E_NS1_11comp_targetILNS1_3genE3ELNS1_11target_archE908ELNS1_3gpuE7ELNS1_3repE0EEENS1_30default_config_static_selectorELNS0_4arch9wavefront6targetE0EEEvT1_
		.amdhsa_group_segment_fixed_size 0
		.amdhsa_private_segment_fixed_size 0
		.amdhsa_kernarg_size 40
		.amdhsa_user_sgpr_count 15
		.amdhsa_user_sgpr_dispatch_ptr 0
		.amdhsa_user_sgpr_queue_ptr 0
		.amdhsa_user_sgpr_kernarg_segment_ptr 1
		.amdhsa_user_sgpr_dispatch_id 0
		.amdhsa_user_sgpr_private_segment_size 0
		.amdhsa_wavefront_size32 1
		.amdhsa_uses_dynamic_stack 0
		.amdhsa_enable_private_segment 0
		.amdhsa_system_sgpr_workgroup_id_x 1
		.amdhsa_system_sgpr_workgroup_id_y 0
		.amdhsa_system_sgpr_workgroup_id_z 0
		.amdhsa_system_sgpr_workgroup_info 0
		.amdhsa_system_vgpr_workitem_id 0
		.amdhsa_next_free_vgpr 1
		.amdhsa_next_free_sgpr 1
		.amdhsa_reserve_vcc 0
		.amdhsa_float_round_mode_32 0
		.amdhsa_float_round_mode_16_64 0
		.amdhsa_float_denorm_mode_32 3
		.amdhsa_float_denorm_mode_16_64 3
		.amdhsa_dx10_clamp 1
		.amdhsa_ieee_mode 1
		.amdhsa_fp16_overflow 0
		.amdhsa_workgroup_processor_mode 1
		.amdhsa_memory_ordered 1
		.amdhsa_forward_progress 0
		.amdhsa_shared_vgpr_count 0
		.amdhsa_exception_fp_ieee_invalid_op 0
		.amdhsa_exception_fp_denorm_src 0
		.amdhsa_exception_fp_ieee_div_zero 0
		.amdhsa_exception_fp_ieee_overflow 0
		.amdhsa_exception_fp_ieee_underflow 0
		.amdhsa_exception_fp_ieee_inexact 0
		.amdhsa_exception_int_div_zero 0
	.end_amdhsa_kernel
	.section	.text._ZN7rocprim17ROCPRIM_400000_NS6detail17trampoline_kernelINS0_14default_configENS1_25transform_config_selectorIN3c107complexIfEELb1EEEZNS1_14transform_implILb1ES3_S8_PS7_SA_NS0_8identityIS7_EEEE10hipError_tT2_T3_mT4_P12ihipStream_tbEUlT_E_NS1_11comp_targetILNS1_3genE3ELNS1_11target_archE908ELNS1_3gpuE7ELNS1_3repE0EEENS1_30default_config_static_selectorELNS0_4arch9wavefront6targetE0EEEvT1_,"axG",@progbits,_ZN7rocprim17ROCPRIM_400000_NS6detail17trampoline_kernelINS0_14default_configENS1_25transform_config_selectorIN3c107complexIfEELb1EEEZNS1_14transform_implILb1ES3_S8_PS7_SA_NS0_8identityIS7_EEEE10hipError_tT2_T3_mT4_P12ihipStream_tbEUlT_E_NS1_11comp_targetILNS1_3genE3ELNS1_11target_archE908ELNS1_3gpuE7ELNS1_3repE0EEENS1_30default_config_static_selectorELNS0_4arch9wavefront6targetE0EEEvT1_,comdat
.Lfunc_end281:
	.size	_ZN7rocprim17ROCPRIM_400000_NS6detail17trampoline_kernelINS0_14default_configENS1_25transform_config_selectorIN3c107complexIfEELb1EEEZNS1_14transform_implILb1ES3_S8_PS7_SA_NS0_8identityIS7_EEEE10hipError_tT2_T3_mT4_P12ihipStream_tbEUlT_E_NS1_11comp_targetILNS1_3genE3ELNS1_11target_archE908ELNS1_3gpuE7ELNS1_3repE0EEENS1_30default_config_static_selectorELNS0_4arch9wavefront6targetE0EEEvT1_, .Lfunc_end281-_ZN7rocprim17ROCPRIM_400000_NS6detail17trampoline_kernelINS0_14default_configENS1_25transform_config_selectorIN3c107complexIfEELb1EEEZNS1_14transform_implILb1ES3_S8_PS7_SA_NS0_8identityIS7_EEEE10hipError_tT2_T3_mT4_P12ihipStream_tbEUlT_E_NS1_11comp_targetILNS1_3genE3ELNS1_11target_archE908ELNS1_3gpuE7ELNS1_3repE0EEENS1_30default_config_static_selectorELNS0_4arch9wavefront6targetE0EEEvT1_
                                        ; -- End function
	.section	.AMDGPU.csdata,"",@progbits
; Kernel info:
; codeLenInByte = 0
; NumSgprs: 0
; NumVgprs: 0
; ScratchSize: 0
; MemoryBound: 0
; FloatMode: 240
; IeeeMode: 1
; LDSByteSize: 0 bytes/workgroup (compile time only)
; SGPRBlocks: 0
; VGPRBlocks: 0
; NumSGPRsForWavesPerEU: 1
; NumVGPRsForWavesPerEU: 1
; Occupancy: 16
; WaveLimiterHint : 0
; COMPUTE_PGM_RSRC2:SCRATCH_EN: 0
; COMPUTE_PGM_RSRC2:USER_SGPR: 15
; COMPUTE_PGM_RSRC2:TRAP_HANDLER: 0
; COMPUTE_PGM_RSRC2:TGID_X_EN: 1
; COMPUTE_PGM_RSRC2:TGID_Y_EN: 0
; COMPUTE_PGM_RSRC2:TGID_Z_EN: 0
; COMPUTE_PGM_RSRC2:TIDIG_COMP_CNT: 0
	.section	.text._ZN7rocprim17ROCPRIM_400000_NS6detail17trampoline_kernelINS0_14default_configENS1_25transform_config_selectorIN3c107complexIfEELb1EEEZNS1_14transform_implILb1ES3_S8_PS7_SA_NS0_8identityIS7_EEEE10hipError_tT2_T3_mT4_P12ihipStream_tbEUlT_E_NS1_11comp_targetILNS1_3genE2ELNS1_11target_archE906ELNS1_3gpuE6ELNS1_3repE0EEENS1_30default_config_static_selectorELNS0_4arch9wavefront6targetE0EEEvT1_,"axG",@progbits,_ZN7rocprim17ROCPRIM_400000_NS6detail17trampoline_kernelINS0_14default_configENS1_25transform_config_selectorIN3c107complexIfEELb1EEEZNS1_14transform_implILb1ES3_S8_PS7_SA_NS0_8identityIS7_EEEE10hipError_tT2_T3_mT4_P12ihipStream_tbEUlT_E_NS1_11comp_targetILNS1_3genE2ELNS1_11target_archE906ELNS1_3gpuE6ELNS1_3repE0EEENS1_30default_config_static_selectorELNS0_4arch9wavefront6targetE0EEEvT1_,comdat
	.protected	_ZN7rocprim17ROCPRIM_400000_NS6detail17trampoline_kernelINS0_14default_configENS1_25transform_config_selectorIN3c107complexIfEELb1EEEZNS1_14transform_implILb1ES3_S8_PS7_SA_NS0_8identityIS7_EEEE10hipError_tT2_T3_mT4_P12ihipStream_tbEUlT_E_NS1_11comp_targetILNS1_3genE2ELNS1_11target_archE906ELNS1_3gpuE6ELNS1_3repE0EEENS1_30default_config_static_selectorELNS0_4arch9wavefront6targetE0EEEvT1_ ; -- Begin function _ZN7rocprim17ROCPRIM_400000_NS6detail17trampoline_kernelINS0_14default_configENS1_25transform_config_selectorIN3c107complexIfEELb1EEEZNS1_14transform_implILb1ES3_S8_PS7_SA_NS0_8identityIS7_EEEE10hipError_tT2_T3_mT4_P12ihipStream_tbEUlT_E_NS1_11comp_targetILNS1_3genE2ELNS1_11target_archE906ELNS1_3gpuE6ELNS1_3repE0EEENS1_30default_config_static_selectorELNS0_4arch9wavefront6targetE0EEEvT1_
	.globl	_ZN7rocprim17ROCPRIM_400000_NS6detail17trampoline_kernelINS0_14default_configENS1_25transform_config_selectorIN3c107complexIfEELb1EEEZNS1_14transform_implILb1ES3_S8_PS7_SA_NS0_8identityIS7_EEEE10hipError_tT2_T3_mT4_P12ihipStream_tbEUlT_E_NS1_11comp_targetILNS1_3genE2ELNS1_11target_archE906ELNS1_3gpuE6ELNS1_3repE0EEENS1_30default_config_static_selectorELNS0_4arch9wavefront6targetE0EEEvT1_
	.p2align	8
	.type	_ZN7rocprim17ROCPRIM_400000_NS6detail17trampoline_kernelINS0_14default_configENS1_25transform_config_selectorIN3c107complexIfEELb1EEEZNS1_14transform_implILb1ES3_S8_PS7_SA_NS0_8identityIS7_EEEE10hipError_tT2_T3_mT4_P12ihipStream_tbEUlT_E_NS1_11comp_targetILNS1_3genE2ELNS1_11target_archE906ELNS1_3gpuE6ELNS1_3repE0EEENS1_30default_config_static_selectorELNS0_4arch9wavefront6targetE0EEEvT1_,@function
_ZN7rocprim17ROCPRIM_400000_NS6detail17trampoline_kernelINS0_14default_configENS1_25transform_config_selectorIN3c107complexIfEELb1EEEZNS1_14transform_implILb1ES3_S8_PS7_SA_NS0_8identityIS7_EEEE10hipError_tT2_T3_mT4_P12ihipStream_tbEUlT_E_NS1_11comp_targetILNS1_3genE2ELNS1_11target_archE906ELNS1_3gpuE6ELNS1_3repE0EEENS1_30default_config_static_selectorELNS0_4arch9wavefront6targetE0EEEvT1_: ; @_ZN7rocprim17ROCPRIM_400000_NS6detail17trampoline_kernelINS0_14default_configENS1_25transform_config_selectorIN3c107complexIfEELb1EEEZNS1_14transform_implILb1ES3_S8_PS7_SA_NS0_8identityIS7_EEEE10hipError_tT2_T3_mT4_P12ihipStream_tbEUlT_E_NS1_11comp_targetILNS1_3genE2ELNS1_11target_archE906ELNS1_3gpuE6ELNS1_3repE0EEENS1_30default_config_static_selectorELNS0_4arch9wavefront6targetE0EEEvT1_
; %bb.0:
	.section	.rodata,"a",@progbits
	.p2align	6, 0x0
	.amdhsa_kernel _ZN7rocprim17ROCPRIM_400000_NS6detail17trampoline_kernelINS0_14default_configENS1_25transform_config_selectorIN3c107complexIfEELb1EEEZNS1_14transform_implILb1ES3_S8_PS7_SA_NS0_8identityIS7_EEEE10hipError_tT2_T3_mT4_P12ihipStream_tbEUlT_E_NS1_11comp_targetILNS1_3genE2ELNS1_11target_archE906ELNS1_3gpuE6ELNS1_3repE0EEENS1_30default_config_static_selectorELNS0_4arch9wavefront6targetE0EEEvT1_
		.amdhsa_group_segment_fixed_size 0
		.amdhsa_private_segment_fixed_size 0
		.amdhsa_kernarg_size 40
		.amdhsa_user_sgpr_count 15
		.amdhsa_user_sgpr_dispatch_ptr 0
		.amdhsa_user_sgpr_queue_ptr 0
		.amdhsa_user_sgpr_kernarg_segment_ptr 1
		.amdhsa_user_sgpr_dispatch_id 0
		.amdhsa_user_sgpr_private_segment_size 0
		.amdhsa_wavefront_size32 1
		.amdhsa_uses_dynamic_stack 0
		.amdhsa_enable_private_segment 0
		.amdhsa_system_sgpr_workgroup_id_x 1
		.amdhsa_system_sgpr_workgroup_id_y 0
		.amdhsa_system_sgpr_workgroup_id_z 0
		.amdhsa_system_sgpr_workgroup_info 0
		.amdhsa_system_vgpr_workitem_id 0
		.amdhsa_next_free_vgpr 1
		.amdhsa_next_free_sgpr 1
		.amdhsa_reserve_vcc 0
		.amdhsa_float_round_mode_32 0
		.amdhsa_float_round_mode_16_64 0
		.amdhsa_float_denorm_mode_32 3
		.amdhsa_float_denorm_mode_16_64 3
		.amdhsa_dx10_clamp 1
		.amdhsa_ieee_mode 1
		.amdhsa_fp16_overflow 0
		.amdhsa_workgroup_processor_mode 1
		.amdhsa_memory_ordered 1
		.amdhsa_forward_progress 0
		.amdhsa_shared_vgpr_count 0
		.amdhsa_exception_fp_ieee_invalid_op 0
		.amdhsa_exception_fp_denorm_src 0
		.amdhsa_exception_fp_ieee_div_zero 0
		.amdhsa_exception_fp_ieee_overflow 0
		.amdhsa_exception_fp_ieee_underflow 0
		.amdhsa_exception_fp_ieee_inexact 0
		.amdhsa_exception_int_div_zero 0
	.end_amdhsa_kernel
	.section	.text._ZN7rocprim17ROCPRIM_400000_NS6detail17trampoline_kernelINS0_14default_configENS1_25transform_config_selectorIN3c107complexIfEELb1EEEZNS1_14transform_implILb1ES3_S8_PS7_SA_NS0_8identityIS7_EEEE10hipError_tT2_T3_mT4_P12ihipStream_tbEUlT_E_NS1_11comp_targetILNS1_3genE2ELNS1_11target_archE906ELNS1_3gpuE6ELNS1_3repE0EEENS1_30default_config_static_selectorELNS0_4arch9wavefront6targetE0EEEvT1_,"axG",@progbits,_ZN7rocprim17ROCPRIM_400000_NS6detail17trampoline_kernelINS0_14default_configENS1_25transform_config_selectorIN3c107complexIfEELb1EEEZNS1_14transform_implILb1ES3_S8_PS7_SA_NS0_8identityIS7_EEEE10hipError_tT2_T3_mT4_P12ihipStream_tbEUlT_E_NS1_11comp_targetILNS1_3genE2ELNS1_11target_archE906ELNS1_3gpuE6ELNS1_3repE0EEENS1_30default_config_static_selectorELNS0_4arch9wavefront6targetE0EEEvT1_,comdat
.Lfunc_end282:
	.size	_ZN7rocprim17ROCPRIM_400000_NS6detail17trampoline_kernelINS0_14default_configENS1_25transform_config_selectorIN3c107complexIfEELb1EEEZNS1_14transform_implILb1ES3_S8_PS7_SA_NS0_8identityIS7_EEEE10hipError_tT2_T3_mT4_P12ihipStream_tbEUlT_E_NS1_11comp_targetILNS1_3genE2ELNS1_11target_archE906ELNS1_3gpuE6ELNS1_3repE0EEENS1_30default_config_static_selectorELNS0_4arch9wavefront6targetE0EEEvT1_, .Lfunc_end282-_ZN7rocprim17ROCPRIM_400000_NS6detail17trampoline_kernelINS0_14default_configENS1_25transform_config_selectorIN3c107complexIfEELb1EEEZNS1_14transform_implILb1ES3_S8_PS7_SA_NS0_8identityIS7_EEEE10hipError_tT2_T3_mT4_P12ihipStream_tbEUlT_E_NS1_11comp_targetILNS1_3genE2ELNS1_11target_archE906ELNS1_3gpuE6ELNS1_3repE0EEENS1_30default_config_static_selectorELNS0_4arch9wavefront6targetE0EEEvT1_
                                        ; -- End function
	.section	.AMDGPU.csdata,"",@progbits
; Kernel info:
; codeLenInByte = 0
; NumSgprs: 0
; NumVgprs: 0
; ScratchSize: 0
; MemoryBound: 0
; FloatMode: 240
; IeeeMode: 1
; LDSByteSize: 0 bytes/workgroup (compile time only)
; SGPRBlocks: 0
; VGPRBlocks: 0
; NumSGPRsForWavesPerEU: 1
; NumVGPRsForWavesPerEU: 1
; Occupancy: 16
; WaveLimiterHint : 0
; COMPUTE_PGM_RSRC2:SCRATCH_EN: 0
; COMPUTE_PGM_RSRC2:USER_SGPR: 15
; COMPUTE_PGM_RSRC2:TRAP_HANDLER: 0
; COMPUTE_PGM_RSRC2:TGID_X_EN: 1
; COMPUTE_PGM_RSRC2:TGID_Y_EN: 0
; COMPUTE_PGM_RSRC2:TGID_Z_EN: 0
; COMPUTE_PGM_RSRC2:TIDIG_COMP_CNT: 0
	.section	.text._ZN7rocprim17ROCPRIM_400000_NS6detail17trampoline_kernelINS0_14default_configENS1_25transform_config_selectorIN3c107complexIfEELb1EEEZNS1_14transform_implILb1ES3_S8_PS7_SA_NS0_8identityIS7_EEEE10hipError_tT2_T3_mT4_P12ihipStream_tbEUlT_E_NS1_11comp_targetILNS1_3genE9ELNS1_11target_archE1100ELNS1_3gpuE3ELNS1_3repE0EEENS1_30default_config_static_selectorELNS0_4arch9wavefront6targetE0EEEvT1_,"axG",@progbits,_ZN7rocprim17ROCPRIM_400000_NS6detail17trampoline_kernelINS0_14default_configENS1_25transform_config_selectorIN3c107complexIfEELb1EEEZNS1_14transform_implILb1ES3_S8_PS7_SA_NS0_8identityIS7_EEEE10hipError_tT2_T3_mT4_P12ihipStream_tbEUlT_E_NS1_11comp_targetILNS1_3genE9ELNS1_11target_archE1100ELNS1_3gpuE3ELNS1_3repE0EEENS1_30default_config_static_selectorELNS0_4arch9wavefront6targetE0EEEvT1_,comdat
	.protected	_ZN7rocprim17ROCPRIM_400000_NS6detail17trampoline_kernelINS0_14default_configENS1_25transform_config_selectorIN3c107complexIfEELb1EEEZNS1_14transform_implILb1ES3_S8_PS7_SA_NS0_8identityIS7_EEEE10hipError_tT2_T3_mT4_P12ihipStream_tbEUlT_E_NS1_11comp_targetILNS1_3genE9ELNS1_11target_archE1100ELNS1_3gpuE3ELNS1_3repE0EEENS1_30default_config_static_selectorELNS0_4arch9wavefront6targetE0EEEvT1_ ; -- Begin function _ZN7rocprim17ROCPRIM_400000_NS6detail17trampoline_kernelINS0_14default_configENS1_25transform_config_selectorIN3c107complexIfEELb1EEEZNS1_14transform_implILb1ES3_S8_PS7_SA_NS0_8identityIS7_EEEE10hipError_tT2_T3_mT4_P12ihipStream_tbEUlT_E_NS1_11comp_targetILNS1_3genE9ELNS1_11target_archE1100ELNS1_3gpuE3ELNS1_3repE0EEENS1_30default_config_static_selectorELNS0_4arch9wavefront6targetE0EEEvT1_
	.globl	_ZN7rocprim17ROCPRIM_400000_NS6detail17trampoline_kernelINS0_14default_configENS1_25transform_config_selectorIN3c107complexIfEELb1EEEZNS1_14transform_implILb1ES3_S8_PS7_SA_NS0_8identityIS7_EEEE10hipError_tT2_T3_mT4_P12ihipStream_tbEUlT_E_NS1_11comp_targetILNS1_3genE9ELNS1_11target_archE1100ELNS1_3gpuE3ELNS1_3repE0EEENS1_30default_config_static_selectorELNS0_4arch9wavefront6targetE0EEEvT1_
	.p2align	8
	.type	_ZN7rocprim17ROCPRIM_400000_NS6detail17trampoline_kernelINS0_14default_configENS1_25transform_config_selectorIN3c107complexIfEELb1EEEZNS1_14transform_implILb1ES3_S8_PS7_SA_NS0_8identityIS7_EEEE10hipError_tT2_T3_mT4_P12ihipStream_tbEUlT_E_NS1_11comp_targetILNS1_3genE9ELNS1_11target_archE1100ELNS1_3gpuE3ELNS1_3repE0EEENS1_30default_config_static_selectorELNS0_4arch9wavefront6targetE0EEEvT1_,@function
_ZN7rocprim17ROCPRIM_400000_NS6detail17trampoline_kernelINS0_14default_configENS1_25transform_config_selectorIN3c107complexIfEELb1EEEZNS1_14transform_implILb1ES3_S8_PS7_SA_NS0_8identityIS7_EEEE10hipError_tT2_T3_mT4_P12ihipStream_tbEUlT_E_NS1_11comp_targetILNS1_3genE9ELNS1_11target_archE1100ELNS1_3gpuE3ELNS1_3repE0EEENS1_30default_config_static_selectorELNS0_4arch9wavefront6targetE0EEEvT1_: ; @_ZN7rocprim17ROCPRIM_400000_NS6detail17trampoline_kernelINS0_14default_configENS1_25transform_config_selectorIN3c107complexIfEELb1EEEZNS1_14transform_implILb1ES3_S8_PS7_SA_NS0_8identityIS7_EEEE10hipError_tT2_T3_mT4_P12ihipStream_tbEUlT_E_NS1_11comp_targetILNS1_3genE9ELNS1_11target_archE1100ELNS1_3gpuE3ELNS1_3repE0EEENS1_30default_config_static_selectorELNS0_4arch9wavefront6targetE0EEEvT1_
; %bb.0:
	s_load_b256 s[4:11], s[0:1], 0x0
	s_waitcnt lgkmcnt(0)
	s_load_b32 s9, s[0:1], 0x28
	s_lshl_b64 s[0:1], s[6:7], 3
	s_delay_alu instid0(SALU_CYCLE_1)
	s_add_u32 s4, s4, s0
	s_addc_u32 s5, s5, s1
	s_add_u32 s6, s10, s0
	s_addc_u32 s7, s11, s1
	s_lshl_b32 s0, s15, 11
	s_mov_b32 s1, 0
	s_waitcnt lgkmcnt(0)
	s_add_i32 s9, s9, -1
	s_lshl_b64 s[2:3], s[0:1], 3
	s_mov_b32 s1, -1
	s_add_u32 s4, s4, s2
	s_addc_u32 s5, s5, s3
	s_cmp_lg_u32 s15, s9
	s_cbranch_scc0 .LBB283_2
; %bb.1:
	v_lshlrev_b32_e32 v5, 4, v0
	s_add_u32 s10, s6, s2
	s_addc_u32 s11, s7, s3
	s_mov_b32 s1, 0
	global_load_b128 v[1:4], v5, s[4:5]
	s_waitcnt vmcnt(0)
	global_store_b128 v5, v[1:4], s[10:11]
.LBB283_2:
	s_and_not1_b32 vcc_lo, exec_lo, s1
	s_cbranch_vccnz .LBB283_11
; %bb.3:
	s_sub_i32 s0, s8, s0
	v_dual_mov_b32 v1, 0 :: v_dual_mov_b32 v4, 0
	v_cmp_gt_u32_e32 vcc_lo, s0, v0
	v_lshlrev_b32_e32 v5, 3, v0
	v_mov_b32_e32 v3, 0
	s_and_saveexec_b32 s1, vcc_lo
	s_cbranch_execz .LBB283_5
; %bb.4:
	global_load_b64 v[3:4], v5, s[4:5]
.LBB283_5:
	s_or_b32 exec_lo, exec_lo, s1
	v_or_b32_e32 v0, 0x400, v0
	v_mov_b32_e32 v2, 0
	s_delay_alu instid0(VALU_DEP_2) | instskip(NEXT) | instid1(VALU_DEP_1)
	v_cmp_gt_u32_e64 s0, s0, v0
	s_and_saveexec_b32 s1, s0
	s_cbranch_execz .LBB283_7
; %bb.6:
	v_lshlrev_b32_e32 v0, 3, v0
	global_load_b64 v[1:2], v0, s[4:5]
.LBB283_7:
	s_or_b32 exec_lo, exec_lo, s1
	s_add_u32 s1, s6, s2
	s_addc_u32 s2, s7, s3
	v_add_co_u32 v5, s1, s1, v5
	s_delay_alu instid0(VALU_DEP_1)
	v_add_co_ci_u32_e64 v6, null, s2, 0, s1
	s_and_saveexec_b32 s1, vcc_lo
	s_cbranch_execz .LBB283_9
; %bb.8:
	s_waitcnt vmcnt(0)
	global_store_b64 v[5:6], v[3:4], off
.LBB283_9:
	s_or_b32 exec_lo, exec_lo, s1
	s_and_saveexec_b32 s1, s0
	s_cbranch_execz .LBB283_11
; %bb.10:
	s_waitcnt vmcnt(0)
	v_add_co_u32 v3, vcc_lo, 0x2000, v5
	v_add_co_ci_u32_e32 v4, vcc_lo, 0, v6, vcc_lo
	global_store_b64 v[3:4], v[1:2], off
.LBB283_11:
	s_nop 0
	s_sendmsg sendmsg(MSG_DEALLOC_VGPRS)
	s_endpgm
	.section	.rodata,"a",@progbits
	.p2align	6, 0x0
	.amdhsa_kernel _ZN7rocprim17ROCPRIM_400000_NS6detail17trampoline_kernelINS0_14default_configENS1_25transform_config_selectorIN3c107complexIfEELb1EEEZNS1_14transform_implILb1ES3_S8_PS7_SA_NS0_8identityIS7_EEEE10hipError_tT2_T3_mT4_P12ihipStream_tbEUlT_E_NS1_11comp_targetILNS1_3genE9ELNS1_11target_archE1100ELNS1_3gpuE3ELNS1_3repE0EEENS1_30default_config_static_selectorELNS0_4arch9wavefront6targetE0EEEvT1_
		.amdhsa_group_segment_fixed_size 0
		.amdhsa_private_segment_fixed_size 0
		.amdhsa_kernarg_size 296
		.amdhsa_user_sgpr_count 15
		.amdhsa_user_sgpr_dispatch_ptr 0
		.amdhsa_user_sgpr_queue_ptr 0
		.amdhsa_user_sgpr_kernarg_segment_ptr 1
		.amdhsa_user_sgpr_dispatch_id 0
		.amdhsa_user_sgpr_private_segment_size 0
		.amdhsa_wavefront_size32 1
		.amdhsa_uses_dynamic_stack 0
		.amdhsa_enable_private_segment 0
		.amdhsa_system_sgpr_workgroup_id_x 1
		.amdhsa_system_sgpr_workgroup_id_y 0
		.amdhsa_system_sgpr_workgroup_id_z 0
		.amdhsa_system_sgpr_workgroup_info 0
		.amdhsa_system_vgpr_workitem_id 0
		.amdhsa_next_free_vgpr 7
		.amdhsa_next_free_sgpr 16
		.amdhsa_reserve_vcc 1
		.amdhsa_float_round_mode_32 0
		.amdhsa_float_round_mode_16_64 0
		.amdhsa_float_denorm_mode_32 3
		.amdhsa_float_denorm_mode_16_64 3
		.amdhsa_dx10_clamp 1
		.amdhsa_ieee_mode 1
		.amdhsa_fp16_overflow 0
		.amdhsa_workgroup_processor_mode 1
		.amdhsa_memory_ordered 1
		.amdhsa_forward_progress 0
		.amdhsa_shared_vgpr_count 0
		.amdhsa_exception_fp_ieee_invalid_op 0
		.amdhsa_exception_fp_denorm_src 0
		.amdhsa_exception_fp_ieee_div_zero 0
		.amdhsa_exception_fp_ieee_overflow 0
		.amdhsa_exception_fp_ieee_underflow 0
		.amdhsa_exception_fp_ieee_inexact 0
		.amdhsa_exception_int_div_zero 0
	.end_amdhsa_kernel
	.section	.text._ZN7rocprim17ROCPRIM_400000_NS6detail17trampoline_kernelINS0_14default_configENS1_25transform_config_selectorIN3c107complexIfEELb1EEEZNS1_14transform_implILb1ES3_S8_PS7_SA_NS0_8identityIS7_EEEE10hipError_tT2_T3_mT4_P12ihipStream_tbEUlT_E_NS1_11comp_targetILNS1_3genE9ELNS1_11target_archE1100ELNS1_3gpuE3ELNS1_3repE0EEENS1_30default_config_static_selectorELNS0_4arch9wavefront6targetE0EEEvT1_,"axG",@progbits,_ZN7rocprim17ROCPRIM_400000_NS6detail17trampoline_kernelINS0_14default_configENS1_25transform_config_selectorIN3c107complexIfEELb1EEEZNS1_14transform_implILb1ES3_S8_PS7_SA_NS0_8identityIS7_EEEE10hipError_tT2_T3_mT4_P12ihipStream_tbEUlT_E_NS1_11comp_targetILNS1_3genE9ELNS1_11target_archE1100ELNS1_3gpuE3ELNS1_3repE0EEENS1_30default_config_static_selectorELNS0_4arch9wavefront6targetE0EEEvT1_,comdat
.Lfunc_end283:
	.size	_ZN7rocprim17ROCPRIM_400000_NS6detail17trampoline_kernelINS0_14default_configENS1_25transform_config_selectorIN3c107complexIfEELb1EEEZNS1_14transform_implILb1ES3_S8_PS7_SA_NS0_8identityIS7_EEEE10hipError_tT2_T3_mT4_P12ihipStream_tbEUlT_E_NS1_11comp_targetILNS1_3genE9ELNS1_11target_archE1100ELNS1_3gpuE3ELNS1_3repE0EEENS1_30default_config_static_selectorELNS0_4arch9wavefront6targetE0EEEvT1_, .Lfunc_end283-_ZN7rocprim17ROCPRIM_400000_NS6detail17trampoline_kernelINS0_14default_configENS1_25transform_config_selectorIN3c107complexIfEELb1EEEZNS1_14transform_implILb1ES3_S8_PS7_SA_NS0_8identityIS7_EEEE10hipError_tT2_T3_mT4_P12ihipStream_tbEUlT_E_NS1_11comp_targetILNS1_3genE9ELNS1_11target_archE1100ELNS1_3gpuE3ELNS1_3repE0EEENS1_30default_config_static_selectorELNS0_4arch9wavefront6targetE0EEEvT1_
                                        ; -- End function
	.section	.AMDGPU.csdata,"",@progbits
; Kernel info:
; codeLenInByte = 320
; NumSgprs: 18
; NumVgprs: 7
; ScratchSize: 0
; MemoryBound: 0
; FloatMode: 240
; IeeeMode: 1
; LDSByteSize: 0 bytes/workgroup (compile time only)
; SGPRBlocks: 2
; VGPRBlocks: 0
; NumSGPRsForWavesPerEU: 18
; NumVGPRsForWavesPerEU: 7
; Occupancy: 16
; WaveLimiterHint : 0
; COMPUTE_PGM_RSRC2:SCRATCH_EN: 0
; COMPUTE_PGM_RSRC2:USER_SGPR: 15
; COMPUTE_PGM_RSRC2:TRAP_HANDLER: 0
; COMPUTE_PGM_RSRC2:TGID_X_EN: 1
; COMPUTE_PGM_RSRC2:TGID_Y_EN: 0
; COMPUTE_PGM_RSRC2:TGID_Z_EN: 0
; COMPUTE_PGM_RSRC2:TIDIG_COMP_CNT: 0
	.section	.text._ZN7rocprim17ROCPRIM_400000_NS6detail17trampoline_kernelINS0_14default_configENS1_25transform_config_selectorIN3c107complexIfEELb1EEEZNS1_14transform_implILb1ES3_S8_PS7_SA_NS0_8identityIS7_EEEE10hipError_tT2_T3_mT4_P12ihipStream_tbEUlT_E_NS1_11comp_targetILNS1_3genE8ELNS1_11target_archE1030ELNS1_3gpuE2ELNS1_3repE0EEENS1_30default_config_static_selectorELNS0_4arch9wavefront6targetE0EEEvT1_,"axG",@progbits,_ZN7rocprim17ROCPRIM_400000_NS6detail17trampoline_kernelINS0_14default_configENS1_25transform_config_selectorIN3c107complexIfEELb1EEEZNS1_14transform_implILb1ES3_S8_PS7_SA_NS0_8identityIS7_EEEE10hipError_tT2_T3_mT4_P12ihipStream_tbEUlT_E_NS1_11comp_targetILNS1_3genE8ELNS1_11target_archE1030ELNS1_3gpuE2ELNS1_3repE0EEENS1_30default_config_static_selectorELNS0_4arch9wavefront6targetE0EEEvT1_,comdat
	.protected	_ZN7rocprim17ROCPRIM_400000_NS6detail17trampoline_kernelINS0_14default_configENS1_25transform_config_selectorIN3c107complexIfEELb1EEEZNS1_14transform_implILb1ES3_S8_PS7_SA_NS0_8identityIS7_EEEE10hipError_tT2_T3_mT4_P12ihipStream_tbEUlT_E_NS1_11comp_targetILNS1_3genE8ELNS1_11target_archE1030ELNS1_3gpuE2ELNS1_3repE0EEENS1_30default_config_static_selectorELNS0_4arch9wavefront6targetE0EEEvT1_ ; -- Begin function _ZN7rocprim17ROCPRIM_400000_NS6detail17trampoline_kernelINS0_14default_configENS1_25transform_config_selectorIN3c107complexIfEELb1EEEZNS1_14transform_implILb1ES3_S8_PS7_SA_NS0_8identityIS7_EEEE10hipError_tT2_T3_mT4_P12ihipStream_tbEUlT_E_NS1_11comp_targetILNS1_3genE8ELNS1_11target_archE1030ELNS1_3gpuE2ELNS1_3repE0EEENS1_30default_config_static_selectorELNS0_4arch9wavefront6targetE0EEEvT1_
	.globl	_ZN7rocprim17ROCPRIM_400000_NS6detail17trampoline_kernelINS0_14default_configENS1_25transform_config_selectorIN3c107complexIfEELb1EEEZNS1_14transform_implILb1ES3_S8_PS7_SA_NS0_8identityIS7_EEEE10hipError_tT2_T3_mT4_P12ihipStream_tbEUlT_E_NS1_11comp_targetILNS1_3genE8ELNS1_11target_archE1030ELNS1_3gpuE2ELNS1_3repE0EEENS1_30default_config_static_selectorELNS0_4arch9wavefront6targetE0EEEvT1_
	.p2align	8
	.type	_ZN7rocprim17ROCPRIM_400000_NS6detail17trampoline_kernelINS0_14default_configENS1_25transform_config_selectorIN3c107complexIfEELb1EEEZNS1_14transform_implILb1ES3_S8_PS7_SA_NS0_8identityIS7_EEEE10hipError_tT2_T3_mT4_P12ihipStream_tbEUlT_E_NS1_11comp_targetILNS1_3genE8ELNS1_11target_archE1030ELNS1_3gpuE2ELNS1_3repE0EEENS1_30default_config_static_selectorELNS0_4arch9wavefront6targetE0EEEvT1_,@function
_ZN7rocprim17ROCPRIM_400000_NS6detail17trampoline_kernelINS0_14default_configENS1_25transform_config_selectorIN3c107complexIfEELb1EEEZNS1_14transform_implILb1ES3_S8_PS7_SA_NS0_8identityIS7_EEEE10hipError_tT2_T3_mT4_P12ihipStream_tbEUlT_E_NS1_11comp_targetILNS1_3genE8ELNS1_11target_archE1030ELNS1_3gpuE2ELNS1_3repE0EEENS1_30default_config_static_selectorELNS0_4arch9wavefront6targetE0EEEvT1_: ; @_ZN7rocprim17ROCPRIM_400000_NS6detail17trampoline_kernelINS0_14default_configENS1_25transform_config_selectorIN3c107complexIfEELb1EEEZNS1_14transform_implILb1ES3_S8_PS7_SA_NS0_8identityIS7_EEEE10hipError_tT2_T3_mT4_P12ihipStream_tbEUlT_E_NS1_11comp_targetILNS1_3genE8ELNS1_11target_archE1030ELNS1_3gpuE2ELNS1_3repE0EEENS1_30default_config_static_selectorELNS0_4arch9wavefront6targetE0EEEvT1_
; %bb.0:
	.section	.rodata,"a",@progbits
	.p2align	6, 0x0
	.amdhsa_kernel _ZN7rocprim17ROCPRIM_400000_NS6detail17trampoline_kernelINS0_14default_configENS1_25transform_config_selectorIN3c107complexIfEELb1EEEZNS1_14transform_implILb1ES3_S8_PS7_SA_NS0_8identityIS7_EEEE10hipError_tT2_T3_mT4_P12ihipStream_tbEUlT_E_NS1_11comp_targetILNS1_3genE8ELNS1_11target_archE1030ELNS1_3gpuE2ELNS1_3repE0EEENS1_30default_config_static_selectorELNS0_4arch9wavefront6targetE0EEEvT1_
		.amdhsa_group_segment_fixed_size 0
		.amdhsa_private_segment_fixed_size 0
		.amdhsa_kernarg_size 40
		.amdhsa_user_sgpr_count 15
		.amdhsa_user_sgpr_dispatch_ptr 0
		.amdhsa_user_sgpr_queue_ptr 0
		.amdhsa_user_sgpr_kernarg_segment_ptr 1
		.amdhsa_user_sgpr_dispatch_id 0
		.amdhsa_user_sgpr_private_segment_size 0
		.amdhsa_wavefront_size32 1
		.amdhsa_uses_dynamic_stack 0
		.amdhsa_enable_private_segment 0
		.amdhsa_system_sgpr_workgroup_id_x 1
		.amdhsa_system_sgpr_workgroup_id_y 0
		.amdhsa_system_sgpr_workgroup_id_z 0
		.amdhsa_system_sgpr_workgroup_info 0
		.amdhsa_system_vgpr_workitem_id 0
		.amdhsa_next_free_vgpr 1
		.amdhsa_next_free_sgpr 1
		.amdhsa_reserve_vcc 0
		.amdhsa_float_round_mode_32 0
		.amdhsa_float_round_mode_16_64 0
		.amdhsa_float_denorm_mode_32 3
		.amdhsa_float_denorm_mode_16_64 3
		.amdhsa_dx10_clamp 1
		.amdhsa_ieee_mode 1
		.amdhsa_fp16_overflow 0
		.amdhsa_workgroup_processor_mode 1
		.amdhsa_memory_ordered 1
		.amdhsa_forward_progress 0
		.amdhsa_shared_vgpr_count 0
		.amdhsa_exception_fp_ieee_invalid_op 0
		.amdhsa_exception_fp_denorm_src 0
		.amdhsa_exception_fp_ieee_div_zero 0
		.amdhsa_exception_fp_ieee_overflow 0
		.amdhsa_exception_fp_ieee_underflow 0
		.amdhsa_exception_fp_ieee_inexact 0
		.amdhsa_exception_int_div_zero 0
	.end_amdhsa_kernel
	.section	.text._ZN7rocprim17ROCPRIM_400000_NS6detail17trampoline_kernelINS0_14default_configENS1_25transform_config_selectorIN3c107complexIfEELb1EEEZNS1_14transform_implILb1ES3_S8_PS7_SA_NS0_8identityIS7_EEEE10hipError_tT2_T3_mT4_P12ihipStream_tbEUlT_E_NS1_11comp_targetILNS1_3genE8ELNS1_11target_archE1030ELNS1_3gpuE2ELNS1_3repE0EEENS1_30default_config_static_selectorELNS0_4arch9wavefront6targetE0EEEvT1_,"axG",@progbits,_ZN7rocprim17ROCPRIM_400000_NS6detail17trampoline_kernelINS0_14default_configENS1_25transform_config_selectorIN3c107complexIfEELb1EEEZNS1_14transform_implILb1ES3_S8_PS7_SA_NS0_8identityIS7_EEEE10hipError_tT2_T3_mT4_P12ihipStream_tbEUlT_E_NS1_11comp_targetILNS1_3genE8ELNS1_11target_archE1030ELNS1_3gpuE2ELNS1_3repE0EEENS1_30default_config_static_selectorELNS0_4arch9wavefront6targetE0EEEvT1_,comdat
.Lfunc_end284:
	.size	_ZN7rocprim17ROCPRIM_400000_NS6detail17trampoline_kernelINS0_14default_configENS1_25transform_config_selectorIN3c107complexIfEELb1EEEZNS1_14transform_implILb1ES3_S8_PS7_SA_NS0_8identityIS7_EEEE10hipError_tT2_T3_mT4_P12ihipStream_tbEUlT_E_NS1_11comp_targetILNS1_3genE8ELNS1_11target_archE1030ELNS1_3gpuE2ELNS1_3repE0EEENS1_30default_config_static_selectorELNS0_4arch9wavefront6targetE0EEEvT1_, .Lfunc_end284-_ZN7rocprim17ROCPRIM_400000_NS6detail17trampoline_kernelINS0_14default_configENS1_25transform_config_selectorIN3c107complexIfEELb1EEEZNS1_14transform_implILb1ES3_S8_PS7_SA_NS0_8identityIS7_EEEE10hipError_tT2_T3_mT4_P12ihipStream_tbEUlT_E_NS1_11comp_targetILNS1_3genE8ELNS1_11target_archE1030ELNS1_3gpuE2ELNS1_3repE0EEENS1_30default_config_static_selectorELNS0_4arch9wavefront6targetE0EEEvT1_
                                        ; -- End function
	.section	.AMDGPU.csdata,"",@progbits
; Kernel info:
; codeLenInByte = 0
; NumSgprs: 0
; NumVgprs: 0
; ScratchSize: 0
; MemoryBound: 0
; FloatMode: 240
; IeeeMode: 1
; LDSByteSize: 0 bytes/workgroup (compile time only)
; SGPRBlocks: 0
; VGPRBlocks: 0
; NumSGPRsForWavesPerEU: 1
; NumVGPRsForWavesPerEU: 1
; Occupancy: 16
; WaveLimiterHint : 0
; COMPUTE_PGM_RSRC2:SCRATCH_EN: 0
; COMPUTE_PGM_RSRC2:USER_SGPR: 15
; COMPUTE_PGM_RSRC2:TRAP_HANDLER: 0
; COMPUTE_PGM_RSRC2:TGID_X_EN: 1
; COMPUTE_PGM_RSRC2:TGID_Y_EN: 0
; COMPUTE_PGM_RSRC2:TGID_Z_EN: 0
; COMPUTE_PGM_RSRC2:TIDIG_COMP_CNT: 0
	.section	.text._ZN7rocprim17ROCPRIM_400000_NS6detail17trampoline_kernelINS0_14default_configENS1_20scan_config_selectorIN3c107complexIfEEEEZZNS1_9scan_implILNS1_25lookback_scan_determinismE0ELb0ELb0ES3_PKS7_PS7_S7_ZZZN2at6native31launch_logcumsumexp_cuda_kernelERKNSE_10TensorBaseESI_lENKUlvE_clEvENKUlvE2_clEvEUlS7_S7_E_S7_EEDaPvRmT3_T4_T5_mT6_P12ihipStream_tbENKUlT_T0_E_clISt17integral_constantIbLb0EESZ_EEDaSU_SV_EUlSU_E0_NS1_11comp_targetILNS1_3genE0ELNS1_11target_archE4294967295ELNS1_3gpuE0ELNS1_3repE0EEENS1_30default_config_static_selectorELNS0_4arch9wavefront6targetE0EEEvT1_,"axG",@progbits,_ZN7rocprim17ROCPRIM_400000_NS6detail17trampoline_kernelINS0_14default_configENS1_20scan_config_selectorIN3c107complexIfEEEEZZNS1_9scan_implILNS1_25lookback_scan_determinismE0ELb0ELb0ES3_PKS7_PS7_S7_ZZZN2at6native31launch_logcumsumexp_cuda_kernelERKNSE_10TensorBaseESI_lENKUlvE_clEvENKUlvE2_clEvEUlS7_S7_E_S7_EEDaPvRmT3_T4_T5_mT6_P12ihipStream_tbENKUlT_T0_E_clISt17integral_constantIbLb0EESZ_EEDaSU_SV_EUlSU_E0_NS1_11comp_targetILNS1_3genE0ELNS1_11target_archE4294967295ELNS1_3gpuE0ELNS1_3repE0EEENS1_30default_config_static_selectorELNS0_4arch9wavefront6targetE0EEEvT1_,comdat
	.globl	_ZN7rocprim17ROCPRIM_400000_NS6detail17trampoline_kernelINS0_14default_configENS1_20scan_config_selectorIN3c107complexIfEEEEZZNS1_9scan_implILNS1_25lookback_scan_determinismE0ELb0ELb0ES3_PKS7_PS7_S7_ZZZN2at6native31launch_logcumsumexp_cuda_kernelERKNSE_10TensorBaseESI_lENKUlvE_clEvENKUlvE2_clEvEUlS7_S7_E_S7_EEDaPvRmT3_T4_T5_mT6_P12ihipStream_tbENKUlT_T0_E_clISt17integral_constantIbLb0EESZ_EEDaSU_SV_EUlSU_E0_NS1_11comp_targetILNS1_3genE0ELNS1_11target_archE4294967295ELNS1_3gpuE0ELNS1_3repE0EEENS1_30default_config_static_selectorELNS0_4arch9wavefront6targetE0EEEvT1_ ; -- Begin function _ZN7rocprim17ROCPRIM_400000_NS6detail17trampoline_kernelINS0_14default_configENS1_20scan_config_selectorIN3c107complexIfEEEEZZNS1_9scan_implILNS1_25lookback_scan_determinismE0ELb0ELb0ES3_PKS7_PS7_S7_ZZZN2at6native31launch_logcumsumexp_cuda_kernelERKNSE_10TensorBaseESI_lENKUlvE_clEvENKUlvE2_clEvEUlS7_S7_E_S7_EEDaPvRmT3_T4_T5_mT6_P12ihipStream_tbENKUlT_T0_E_clISt17integral_constantIbLb0EESZ_EEDaSU_SV_EUlSU_E0_NS1_11comp_targetILNS1_3genE0ELNS1_11target_archE4294967295ELNS1_3gpuE0ELNS1_3repE0EEENS1_30default_config_static_selectorELNS0_4arch9wavefront6targetE0EEEvT1_
	.p2align	8
	.type	_ZN7rocprim17ROCPRIM_400000_NS6detail17trampoline_kernelINS0_14default_configENS1_20scan_config_selectorIN3c107complexIfEEEEZZNS1_9scan_implILNS1_25lookback_scan_determinismE0ELb0ELb0ES3_PKS7_PS7_S7_ZZZN2at6native31launch_logcumsumexp_cuda_kernelERKNSE_10TensorBaseESI_lENKUlvE_clEvENKUlvE2_clEvEUlS7_S7_E_S7_EEDaPvRmT3_T4_T5_mT6_P12ihipStream_tbENKUlT_T0_E_clISt17integral_constantIbLb0EESZ_EEDaSU_SV_EUlSU_E0_NS1_11comp_targetILNS1_3genE0ELNS1_11target_archE4294967295ELNS1_3gpuE0ELNS1_3repE0EEENS1_30default_config_static_selectorELNS0_4arch9wavefront6targetE0EEEvT1_,@function
_ZN7rocprim17ROCPRIM_400000_NS6detail17trampoline_kernelINS0_14default_configENS1_20scan_config_selectorIN3c107complexIfEEEEZZNS1_9scan_implILNS1_25lookback_scan_determinismE0ELb0ELb0ES3_PKS7_PS7_S7_ZZZN2at6native31launch_logcumsumexp_cuda_kernelERKNSE_10TensorBaseESI_lENKUlvE_clEvENKUlvE2_clEvEUlS7_S7_E_S7_EEDaPvRmT3_T4_T5_mT6_P12ihipStream_tbENKUlT_T0_E_clISt17integral_constantIbLb0EESZ_EEDaSU_SV_EUlSU_E0_NS1_11comp_targetILNS1_3genE0ELNS1_11target_archE4294967295ELNS1_3gpuE0ELNS1_3repE0EEENS1_30default_config_static_selectorELNS0_4arch9wavefront6targetE0EEEvT1_: ; @_ZN7rocprim17ROCPRIM_400000_NS6detail17trampoline_kernelINS0_14default_configENS1_20scan_config_selectorIN3c107complexIfEEEEZZNS1_9scan_implILNS1_25lookback_scan_determinismE0ELb0ELb0ES3_PKS7_PS7_S7_ZZZN2at6native31launch_logcumsumexp_cuda_kernelERKNSE_10TensorBaseESI_lENKUlvE_clEvENKUlvE2_clEvEUlS7_S7_E_S7_EEDaPvRmT3_T4_T5_mT6_P12ihipStream_tbENKUlT_T0_E_clISt17integral_constantIbLb0EESZ_EEDaSU_SV_EUlSU_E0_NS1_11comp_targetILNS1_3genE0ELNS1_11target_archE4294967295ELNS1_3gpuE0ELNS1_3repE0EEENS1_30default_config_static_selectorELNS0_4arch9wavefront6targetE0EEEvT1_
; %bb.0:
	.section	.rodata,"a",@progbits
	.p2align	6, 0x0
	.amdhsa_kernel _ZN7rocprim17ROCPRIM_400000_NS6detail17trampoline_kernelINS0_14default_configENS1_20scan_config_selectorIN3c107complexIfEEEEZZNS1_9scan_implILNS1_25lookback_scan_determinismE0ELb0ELb0ES3_PKS7_PS7_S7_ZZZN2at6native31launch_logcumsumexp_cuda_kernelERKNSE_10TensorBaseESI_lENKUlvE_clEvENKUlvE2_clEvEUlS7_S7_E_S7_EEDaPvRmT3_T4_T5_mT6_P12ihipStream_tbENKUlT_T0_E_clISt17integral_constantIbLb0EESZ_EEDaSU_SV_EUlSU_E0_NS1_11comp_targetILNS1_3genE0ELNS1_11target_archE4294967295ELNS1_3gpuE0ELNS1_3repE0EEENS1_30default_config_static_selectorELNS0_4arch9wavefront6targetE0EEEvT1_
		.amdhsa_group_segment_fixed_size 0
		.amdhsa_private_segment_fixed_size 0
		.amdhsa_kernarg_size 40
		.amdhsa_user_sgpr_count 15
		.amdhsa_user_sgpr_dispatch_ptr 0
		.amdhsa_user_sgpr_queue_ptr 0
		.amdhsa_user_sgpr_kernarg_segment_ptr 1
		.amdhsa_user_sgpr_dispatch_id 0
		.amdhsa_user_sgpr_private_segment_size 0
		.amdhsa_wavefront_size32 1
		.amdhsa_uses_dynamic_stack 0
		.amdhsa_enable_private_segment 0
		.amdhsa_system_sgpr_workgroup_id_x 1
		.amdhsa_system_sgpr_workgroup_id_y 0
		.amdhsa_system_sgpr_workgroup_id_z 0
		.amdhsa_system_sgpr_workgroup_info 0
		.amdhsa_system_vgpr_workitem_id 0
		.amdhsa_next_free_vgpr 1
		.amdhsa_next_free_sgpr 1
		.amdhsa_reserve_vcc 0
		.amdhsa_float_round_mode_32 0
		.amdhsa_float_round_mode_16_64 0
		.amdhsa_float_denorm_mode_32 3
		.amdhsa_float_denorm_mode_16_64 3
		.amdhsa_dx10_clamp 1
		.amdhsa_ieee_mode 1
		.amdhsa_fp16_overflow 0
		.amdhsa_workgroup_processor_mode 1
		.amdhsa_memory_ordered 1
		.amdhsa_forward_progress 0
		.amdhsa_shared_vgpr_count 0
		.amdhsa_exception_fp_ieee_invalid_op 0
		.amdhsa_exception_fp_denorm_src 0
		.amdhsa_exception_fp_ieee_div_zero 0
		.amdhsa_exception_fp_ieee_overflow 0
		.amdhsa_exception_fp_ieee_underflow 0
		.amdhsa_exception_fp_ieee_inexact 0
		.amdhsa_exception_int_div_zero 0
	.end_amdhsa_kernel
	.section	.text._ZN7rocprim17ROCPRIM_400000_NS6detail17trampoline_kernelINS0_14default_configENS1_20scan_config_selectorIN3c107complexIfEEEEZZNS1_9scan_implILNS1_25lookback_scan_determinismE0ELb0ELb0ES3_PKS7_PS7_S7_ZZZN2at6native31launch_logcumsumexp_cuda_kernelERKNSE_10TensorBaseESI_lENKUlvE_clEvENKUlvE2_clEvEUlS7_S7_E_S7_EEDaPvRmT3_T4_T5_mT6_P12ihipStream_tbENKUlT_T0_E_clISt17integral_constantIbLb0EESZ_EEDaSU_SV_EUlSU_E0_NS1_11comp_targetILNS1_3genE0ELNS1_11target_archE4294967295ELNS1_3gpuE0ELNS1_3repE0EEENS1_30default_config_static_selectorELNS0_4arch9wavefront6targetE0EEEvT1_,"axG",@progbits,_ZN7rocprim17ROCPRIM_400000_NS6detail17trampoline_kernelINS0_14default_configENS1_20scan_config_selectorIN3c107complexIfEEEEZZNS1_9scan_implILNS1_25lookback_scan_determinismE0ELb0ELb0ES3_PKS7_PS7_S7_ZZZN2at6native31launch_logcumsumexp_cuda_kernelERKNSE_10TensorBaseESI_lENKUlvE_clEvENKUlvE2_clEvEUlS7_S7_E_S7_EEDaPvRmT3_T4_T5_mT6_P12ihipStream_tbENKUlT_T0_E_clISt17integral_constantIbLb0EESZ_EEDaSU_SV_EUlSU_E0_NS1_11comp_targetILNS1_3genE0ELNS1_11target_archE4294967295ELNS1_3gpuE0ELNS1_3repE0EEENS1_30default_config_static_selectorELNS0_4arch9wavefront6targetE0EEEvT1_,comdat
.Lfunc_end285:
	.size	_ZN7rocprim17ROCPRIM_400000_NS6detail17trampoline_kernelINS0_14default_configENS1_20scan_config_selectorIN3c107complexIfEEEEZZNS1_9scan_implILNS1_25lookback_scan_determinismE0ELb0ELb0ES3_PKS7_PS7_S7_ZZZN2at6native31launch_logcumsumexp_cuda_kernelERKNSE_10TensorBaseESI_lENKUlvE_clEvENKUlvE2_clEvEUlS7_S7_E_S7_EEDaPvRmT3_T4_T5_mT6_P12ihipStream_tbENKUlT_T0_E_clISt17integral_constantIbLb0EESZ_EEDaSU_SV_EUlSU_E0_NS1_11comp_targetILNS1_3genE0ELNS1_11target_archE4294967295ELNS1_3gpuE0ELNS1_3repE0EEENS1_30default_config_static_selectorELNS0_4arch9wavefront6targetE0EEEvT1_, .Lfunc_end285-_ZN7rocprim17ROCPRIM_400000_NS6detail17trampoline_kernelINS0_14default_configENS1_20scan_config_selectorIN3c107complexIfEEEEZZNS1_9scan_implILNS1_25lookback_scan_determinismE0ELb0ELb0ES3_PKS7_PS7_S7_ZZZN2at6native31launch_logcumsumexp_cuda_kernelERKNSE_10TensorBaseESI_lENKUlvE_clEvENKUlvE2_clEvEUlS7_S7_E_S7_EEDaPvRmT3_T4_T5_mT6_P12ihipStream_tbENKUlT_T0_E_clISt17integral_constantIbLb0EESZ_EEDaSU_SV_EUlSU_E0_NS1_11comp_targetILNS1_3genE0ELNS1_11target_archE4294967295ELNS1_3gpuE0ELNS1_3repE0EEENS1_30default_config_static_selectorELNS0_4arch9wavefront6targetE0EEEvT1_
                                        ; -- End function
	.section	.AMDGPU.csdata,"",@progbits
; Kernel info:
; codeLenInByte = 0
; NumSgprs: 0
; NumVgprs: 0
; ScratchSize: 0
; MemoryBound: 0
; FloatMode: 240
; IeeeMode: 1
; LDSByteSize: 0 bytes/workgroup (compile time only)
; SGPRBlocks: 0
; VGPRBlocks: 0
; NumSGPRsForWavesPerEU: 1
; NumVGPRsForWavesPerEU: 1
; Occupancy: 16
; WaveLimiterHint : 0
; COMPUTE_PGM_RSRC2:SCRATCH_EN: 0
; COMPUTE_PGM_RSRC2:USER_SGPR: 15
; COMPUTE_PGM_RSRC2:TRAP_HANDLER: 0
; COMPUTE_PGM_RSRC2:TGID_X_EN: 1
; COMPUTE_PGM_RSRC2:TGID_Y_EN: 0
; COMPUTE_PGM_RSRC2:TGID_Z_EN: 0
; COMPUTE_PGM_RSRC2:TIDIG_COMP_CNT: 0
	.section	.text._ZN7rocprim17ROCPRIM_400000_NS6detail17trampoline_kernelINS0_14default_configENS1_20scan_config_selectorIN3c107complexIfEEEEZZNS1_9scan_implILNS1_25lookback_scan_determinismE0ELb0ELb0ES3_PKS7_PS7_S7_ZZZN2at6native31launch_logcumsumexp_cuda_kernelERKNSE_10TensorBaseESI_lENKUlvE_clEvENKUlvE2_clEvEUlS7_S7_E_S7_EEDaPvRmT3_T4_T5_mT6_P12ihipStream_tbENKUlT_T0_E_clISt17integral_constantIbLb0EESZ_EEDaSU_SV_EUlSU_E0_NS1_11comp_targetILNS1_3genE5ELNS1_11target_archE942ELNS1_3gpuE9ELNS1_3repE0EEENS1_30default_config_static_selectorELNS0_4arch9wavefront6targetE0EEEvT1_,"axG",@progbits,_ZN7rocprim17ROCPRIM_400000_NS6detail17trampoline_kernelINS0_14default_configENS1_20scan_config_selectorIN3c107complexIfEEEEZZNS1_9scan_implILNS1_25lookback_scan_determinismE0ELb0ELb0ES3_PKS7_PS7_S7_ZZZN2at6native31launch_logcumsumexp_cuda_kernelERKNSE_10TensorBaseESI_lENKUlvE_clEvENKUlvE2_clEvEUlS7_S7_E_S7_EEDaPvRmT3_T4_T5_mT6_P12ihipStream_tbENKUlT_T0_E_clISt17integral_constantIbLb0EESZ_EEDaSU_SV_EUlSU_E0_NS1_11comp_targetILNS1_3genE5ELNS1_11target_archE942ELNS1_3gpuE9ELNS1_3repE0EEENS1_30default_config_static_selectorELNS0_4arch9wavefront6targetE0EEEvT1_,comdat
	.globl	_ZN7rocprim17ROCPRIM_400000_NS6detail17trampoline_kernelINS0_14default_configENS1_20scan_config_selectorIN3c107complexIfEEEEZZNS1_9scan_implILNS1_25lookback_scan_determinismE0ELb0ELb0ES3_PKS7_PS7_S7_ZZZN2at6native31launch_logcumsumexp_cuda_kernelERKNSE_10TensorBaseESI_lENKUlvE_clEvENKUlvE2_clEvEUlS7_S7_E_S7_EEDaPvRmT3_T4_T5_mT6_P12ihipStream_tbENKUlT_T0_E_clISt17integral_constantIbLb0EESZ_EEDaSU_SV_EUlSU_E0_NS1_11comp_targetILNS1_3genE5ELNS1_11target_archE942ELNS1_3gpuE9ELNS1_3repE0EEENS1_30default_config_static_selectorELNS0_4arch9wavefront6targetE0EEEvT1_ ; -- Begin function _ZN7rocprim17ROCPRIM_400000_NS6detail17trampoline_kernelINS0_14default_configENS1_20scan_config_selectorIN3c107complexIfEEEEZZNS1_9scan_implILNS1_25lookback_scan_determinismE0ELb0ELb0ES3_PKS7_PS7_S7_ZZZN2at6native31launch_logcumsumexp_cuda_kernelERKNSE_10TensorBaseESI_lENKUlvE_clEvENKUlvE2_clEvEUlS7_S7_E_S7_EEDaPvRmT3_T4_T5_mT6_P12ihipStream_tbENKUlT_T0_E_clISt17integral_constantIbLb0EESZ_EEDaSU_SV_EUlSU_E0_NS1_11comp_targetILNS1_3genE5ELNS1_11target_archE942ELNS1_3gpuE9ELNS1_3repE0EEENS1_30default_config_static_selectorELNS0_4arch9wavefront6targetE0EEEvT1_
	.p2align	8
	.type	_ZN7rocprim17ROCPRIM_400000_NS6detail17trampoline_kernelINS0_14default_configENS1_20scan_config_selectorIN3c107complexIfEEEEZZNS1_9scan_implILNS1_25lookback_scan_determinismE0ELb0ELb0ES3_PKS7_PS7_S7_ZZZN2at6native31launch_logcumsumexp_cuda_kernelERKNSE_10TensorBaseESI_lENKUlvE_clEvENKUlvE2_clEvEUlS7_S7_E_S7_EEDaPvRmT3_T4_T5_mT6_P12ihipStream_tbENKUlT_T0_E_clISt17integral_constantIbLb0EESZ_EEDaSU_SV_EUlSU_E0_NS1_11comp_targetILNS1_3genE5ELNS1_11target_archE942ELNS1_3gpuE9ELNS1_3repE0EEENS1_30default_config_static_selectorELNS0_4arch9wavefront6targetE0EEEvT1_,@function
_ZN7rocprim17ROCPRIM_400000_NS6detail17trampoline_kernelINS0_14default_configENS1_20scan_config_selectorIN3c107complexIfEEEEZZNS1_9scan_implILNS1_25lookback_scan_determinismE0ELb0ELb0ES3_PKS7_PS7_S7_ZZZN2at6native31launch_logcumsumexp_cuda_kernelERKNSE_10TensorBaseESI_lENKUlvE_clEvENKUlvE2_clEvEUlS7_S7_E_S7_EEDaPvRmT3_T4_T5_mT6_P12ihipStream_tbENKUlT_T0_E_clISt17integral_constantIbLb0EESZ_EEDaSU_SV_EUlSU_E0_NS1_11comp_targetILNS1_3genE5ELNS1_11target_archE942ELNS1_3gpuE9ELNS1_3repE0EEENS1_30default_config_static_selectorELNS0_4arch9wavefront6targetE0EEEvT1_: ; @_ZN7rocprim17ROCPRIM_400000_NS6detail17trampoline_kernelINS0_14default_configENS1_20scan_config_selectorIN3c107complexIfEEEEZZNS1_9scan_implILNS1_25lookback_scan_determinismE0ELb0ELb0ES3_PKS7_PS7_S7_ZZZN2at6native31launch_logcumsumexp_cuda_kernelERKNSE_10TensorBaseESI_lENKUlvE_clEvENKUlvE2_clEvEUlS7_S7_E_S7_EEDaPvRmT3_T4_T5_mT6_P12ihipStream_tbENKUlT_T0_E_clISt17integral_constantIbLb0EESZ_EEDaSU_SV_EUlSU_E0_NS1_11comp_targetILNS1_3genE5ELNS1_11target_archE942ELNS1_3gpuE9ELNS1_3repE0EEENS1_30default_config_static_selectorELNS0_4arch9wavefront6targetE0EEEvT1_
; %bb.0:
	.section	.rodata,"a",@progbits
	.p2align	6, 0x0
	.amdhsa_kernel _ZN7rocprim17ROCPRIM_400000_NS6detail17trampoline_kernelINS0_14default_configENS1_20scan_config_selectorIN3c107complexIfEEEEZZNS1_9scan_implILNS1_25lookback_scan_determinismE0ELb0ELb0ES3_PKS7_PS7_S7_ZZZN2at6native31launch_logcumsumexp_cuda_kernelERKNSE_10TensorBaseESI_lENKUlvE_clEvENKUlvE2_clEvEUlS7_S7_E_S7_EEDaPvRmT3_T4_T5_mT6_P12ihipStream_tbENKUlT_T0_E_clISt17integral_constantIbLb0EESZ_EEDaSU_SV_EUlSU_E0_NS1_11comp_targetILNS1_3genE5ELNS1_11target_archE942ELNS1_3gpuE9ELNS1_3repE0EEENS1_30default_config_static_selectorELNS0_4arch9wavefront6targetE0EEEvT1_
		.amdhsa_group_segment_fixed_size 0
		.amdhsa_private_segment_fixed_size 0
		.amdhsa_kernarg_size 40
		.amdhsa_user_sgpr_count 15
		.amdhsa_user_sgpr_dispatch_ptr 0
		.amdhsa_user_sgpr_queue_ptr 0
		.amdhsa_user_sgpr_kernarg_segment_ptr 1
		.amdhsa_user_sgpr_dispatch_id 0
		.amdhsa_user_sgpr_private_segment_size 0
		.amdhsa_wavefront_size32 1
		.amdhsa_uses_dynamic_stack 0
		.amdhsa_enable_private_segment 0
		.amdhsa_system_sgpr_workgroup_id_x 1
		.amdhsa_system_sgpr_workgroup_id_y 0
		.amdhsa_system_sgpr_workgroup_id_z 0
		.amdhsa_system_sgpr_workgroup_info 0
		.amdhsa_system_vgpr_workitem_id 0
		.amdhsa_next_free_vgpr 1
		.amdhsa_next_free_sgpr 1
		.amdhsa_reserve_vcc 0
		.amdhsa_float_round_mode_32 0
		.amdhsa_float_round_mode_16_64 0
		.amdhsa_float_denorm_mode_32 3
		.amdhsa_float_denorm_mode_16_64 3
		.amdhsa_dx10_clamp 1
		.amdhsa_ieee_mode 1
		.amdhsa_fp16_overflow 0
		.amdhsa_workgroup_processor_mode 1
		.amdhsa_memory_ordered 1
		.amdhsa_forward_progress 0
		.amdhsa_shared_vgpr_count 0
		.amdhsa_exception_fp_ieee_invalid_op 0
		.amdhsa_exception_fp_denorm_src 0
		.amdhsa_exception_fp_ieee_div_zero 0
		.amdhsa_exception_fp_ieee_overflow 0
		.amdhsa_exception_fp_ieee_underflow 0
		.amdhsa_exception_fp_ieee_inexact 0
		.amdhsa_exception_int_div_zero 0
	.end_amdhsa_kernel
	.section	.text._ZN7rocprim17ROCPRIM_400000_NS6detail17trampoline_kernelINS0_14default_configENS1_20scan_config_selectorIN3c107complexIfEEEEZZNS1_9scan_implILNS1_25lookback_scan_determinismE0ELb0ELb0ES3_PKS7_PS7_S7_ZZZN2at6native31launch_logcumsumexp_cuda_kernelERKNSE_10TensorBaseESI_lENKUlvE_clEvENKUlvE2_clEvEUlS7_S7_E_S7_EEDaPvRmT3_T4_T5_mT6_P12ihipStream_tbENKUlT_T0_E_clISt17integral_constantIbLb0EESZ_EEDaSU_SV_EUlSU_E0_NS1_11comp_targetILNS1_3genE5ELNS1_11target_archE942ELNS1_3gpuE9ELNS1_3repE0EEENS1_30default_config_static_selectorELNS0_4arch9wavefront6targetE0EEEvT1_,"axG",@progbits,_ZN7rocprim17ROCPRIM_400000_NS6detail17trampoline_kernelINS0_14default_configENS1_20scan_config_selectorIN3c107complexIfEEEEZZNS1_9scan_implILNS1_25lookback_scan_determinismE0ELb0ELb0ES3_PKS7_PS7_S7_ZZZN2at6native31launch_logcumsumexp_cuda_kernelERKNSE_10TensorBaseESI_lENKUlvE_clEvENKUlvE2_clEvEUlS7_S7_E_S7_EEDaPvRmT3_T4_T5_mT6_P12ihipStream_tbENKUlT_T0_E_clISt17integral_constantIbLb0EESZ_EEDaSU_SV_EUlSU_E0_NS1_11comp_targetILNS1_3genE5ELNS1_11target_archE942ELNS1_3gpuE9ELNS1_3repE0EEENS1_30default_config_static_selectorELNS0_4arch9wavefront6targetE0EEEvT1_,comdat
.Lfunc_end286:
	.size	_ZN7rocprim17ROCPRIM_400000_NS6detail17trampoline_kernelINS0_14default_configENS1_20scan_config_selectorIN3c107complexIfEEEEZZNS1_9scan_implILNS1_25lookback_scan_determinismE0ELb0ELb0ES3_PKS7_PS7_S7_ZZZN2at6native31launch_logcumsumexp_cuda_kernelERKNSE_10TensorBaseESI_lENKUlvE_clEvENKUlvE2_clEvEUlS7_S7_E_S7_EEDaPvRmT3_T4_T5_mT6_P12ihipStream_tbENKUlT_T0_E_clISt17integral_constantIbLb0EESZ_EEDaSU_SV_EUlSU_E0_NS1_11comp_targetILNS1_3genE5ELNS1_11target_archE942ELNS1_3gpuE9ELNS1_3repE0EEENS1_30default_config_static_selectorELNS0_4arch9wavefront6targetE0EEEvT1_, .Lfunc_end286-_ZN7rocprim17ROCPRIM_400000_NS6detail17trampoline_kernelINS0_14default_configENS1_20scan_config_selectorIN3c107complexIfEEEEZZNS1_9scan_implILNS1_25lookback_scan_determinismE0ELb0ELb0ES3_PKS7_PS7_S7_ZZZN2at6native31launch_logcumsumexp_cuda_kernelERKNSE_10TensorBaseESI_lENKUlvE_clEvENKUlvE2_clEvEUlS7_S7_E_S7_EEDaPvRmT3_T4_T5_mT6_P12ihipStream_tbENKUlT_T0_E_clISt17integral_constantIbLb0EESZ_EEDaSU_SV_EUlSU_E0_NS1_11comp_targetILNS1_3genE5ELNS1_11target_archE942ELNS1_3gpuE9ELNS1_3repE0EEENS1_30default_config_static_selectorELNS0_4arch9wavefront6targetE0EEEvT1_
                                        ; -- End function
	.section	.AMDGPU.csdata,"",@progbits
; Kernel info:
; codeLenInByte = 0
; NumSgprs: 0
; NumVgprs: 0
; ScratchSize: 0
; MemoryBound: 0
; FloatMode: 240
; IeeeMode: 1
; LDSByteSize: 0 bytes/workgroup (compile time only)
; SGPRBlocks: 0
; VGPRBlocks: 0
; NumSGPRsForWavesPerEU: 1
; NumVGPRsForWavesPerEU: 1
; Occupancy: 16
; WaveLimiterHint : 0
; COMPUTE_PGM_RSRC2:SCRATCH_EN: 0
; COMPUTE_PGM_RSRC2:USER_SGPR: 15
; COMPUTE_PGM_RSRC2:TRAP_HANDLER: 0
; COMPUTE_PGM_RSRC2:TGID_X_EN: 1
; COMPUTE_PGM_RSRC2:TGID_Y_EN: 0
; COMPUTE_PGM_RSRC2:TGID_Z_EN: 0
; COMPUTE_PGM_RSRC2:TIDIG_COMP_CNT: 0
	.section	.text._ZN7rocprim17ROCPRIM_400000_NS6detail17trampoline_kernelINS0_14default_configENS1_20scan_config_selectorIN3c107complexIfEEEEZZNS1_9scan_implILNS1_25lookback_scan_determinismE0ELb0ELb0ES3_PKS7_PS7_S7_ZZZN2at6native31launch_logcumsumexp_cuda_kernelERKNSE_10TensorBaseESI_lENKUlvE_clEvENKUlvE2_clEvEUlS7_S7_E_S7_EEDaPvRmT3_T4_T5_mT6_P12ihipStream_tbENKUlT_T0_E_clISt17integral_constantIbLb0EESZ_EEDaSU_SV_EUlSU_E0_NS1_11comp_targetILNS1_3genE4ELNS1_11target_archE910ELNS1_3gpuE8ELNS1_3repE0EEENS1_30default_config_static_selectorELNS0_4arch9wavefront6targetE0EEEvT1_,"axG",@progbits,_ZN7rocprim17ROCPRIM_400000_NS6detail17trampoline_kernelINS0_14default_configENS1_20scan_config_selectorIN3c107complexIfEEEEZZNS1_9scan_implILNS1_25lookback_scan_determinismE0ELb0ELb0ES3_PKS7_PS7_S7_ZZZN2at6native31launch_logcumsumexp_cuda_kernelERKNSE_10TensorBaseESI_lENKUlvE_clEvENKUlvE2_clEvEUlS7_S7_E_S7_EEDaPvRmT3_T4_T5_mT6_P12ihipStream_tbENKUlT_T0_E_clISt17integral_constantIbLb0EESZ_EEDaSU_SV_EUlSU_E0_NS1_11comp_targetILNS1_3genE4ELNS1_11target_archE910ELNS1_3gpuE8ELNS1_3repE0EEENS1_30default_config_static_selectorELNS0_4arch9wavefront6targetE0EEEvT1_,comdat
	.globl	_ZN7rocprim17ROCPRIM_400000_NS6detail17trampoline_kernelINS0_14default_configENS1_20scan_config_selectorIN3c107complexIfEEEEZZNS1_9scan_implILNS1_25lookback_scan_determinismE0ELb0ELb0ES3_PKS7_PS7_S7_ZZZN2at6native31launch_logcumsumexp_cuda_kernelERKNSE_10TensorBaseESI_lENKUlvE_clEvENKUlvE2_clEvEUlS7_S7_E_S7_EEDaPvRmT3_T4_T5_mT6_P12ihipStream_tbENKUlT_T0_E_clISt17integral_constantIbLb0EESZ_EEDaSU_SV_EUlSU_E0_NS1_11comp_targetILNS1_3genE4ELNS1_11target_archE910ELNS1_3gpuE8ELNS1_3repE0EEENS1_30default_config_static_selectorELNS0_4arch9wavefront6targetE0EEEvT1_ ; -- Begin function _ZN7rocprim17ROCPRIM_400000_NS6detail17trampoline_kernelINS0_14default_configENS1_20scan_config_selectorIN3c107complexIfEEEEZZNS1_9scan_implILNS1_25lookback_scan_determinismE0ELb0ELb0ES3_PKS7_PS7_S7_ZZZN2at6native31launch_logcumsumexp_cuda_kernelERKNSE_10TensorBaseESI_lENKUlvE_clEvENKUlvE2_clEvEUlS7_S7_E_S7_EEDaPvRmT3_T4_T5_mT6_P12ihipStream_tbENKUlT_T0_E_clISt17integral_constantIbLb0EESZ_EEDaSU_SV_EUlSU_E0_NS1_11comp_targetILNS1_3genE4ELNS1_11target_archE910ELNS1_3gpuE8ELNS1_3repE0EEENS1_30default_config_static_selectorELNS0_4arch9wavefront6targetE0EEEvT1_
	.p2align	8
	.type	_ZN7rocprim17ROCPRIM_400000_NS6detail17trampoline_kernelINS0_14default_configENS1_20scan_config_selectorIN3c107complexIfEEEEZZNS1_9scan_implILNS1_25lookback_scan_determinismE0ELb0ELb0ES3_PKS7_PS7_S7_ZZZN2at6native31launch_logcumsumexp_cuda_kernelERKNSE_10TensorBaseESI_lENKUlvE_clEvENKUlvE2_clEvEUlS7_S7_E_S7_EEDaPvRmT3_T4_T5_mT6_P12ihipStream_tbENKUlT_T0_E_clISt17integral_constantIbLb0EESZ_EEDaSU_SV_EUlSU_E0_NS1_11comp_targetILNS1_3genE4ELNS1_11target_archE910ELNS1_3gpuE8ELNS1_3repE0EEENS1_30default_config_static_selectorELNS0_4arch9wavefront6targetE0EEEvT1_,@function
_ZN7rocprim17ROCPRIM_400000_NS6detail17trampoline_kernelINS0_14default_configENS1_20scan_config_selectorIN3c107complexIfEEEEZZNS1_9scan_implILNS1_25lookback_scan_determinismE0ELb0ELb0ES3_PKS7_PS7_S7_ZZZN2at6native31launch_logcumsumexp_cuda_kernelERKNSE_10TensorBaseESI_lENKUlvE_clEvENKUlvE2_clEvEUlS7_S7_E_S7_EEDaPvRmT3_T4_T5_mT6_P12ihipStream_tbENKUlT_T0_E_clISt17integral_constantIbLb0EESZ_EEDaSU_SV_EUlSU_E0_NS1_11comp_targetILNS1_3genE4ELNS1_11target_archE910ELNS1_3gpuE8ELNS1_3repE0EEENS1_30default_config_static_selectorELNS0_4arch9wavefront6targetE0EEEvT1_: ; @_ZN7rocprim17ROCPRIM_400000_NS6detail17trampoline_kernelINS0_14default_configENS1_20scan_config_selectorIN3c107complexIfEEEEZZNS1_9scan_implILNS1_25lookback_scan_determinismE0ELb0ELb0ES3_PKS7_PS7_S7_ZZZN2at6native31launch_logcumsumexp_cuda_kernelERKNSE_10TensorBaseESI_lENKUlvE_clEvENKUlvE2_clEvEUlS7_S7_E_S7_EEDaPvRmT3_T4_T5_mT6_P12ihipStream_tbENKUlT_T0_E_clISt17integral_constantIbLb0EESZ_EEDaSU_SV_EUlSU_E0_NS1_11comp_targetILNS1_3genE4ELNS1_11target_archE910ELNS1_3gpuE8ELNS1_3repE0EEENS1_30default_config_static_selectorELNS0_4arch9wavefront6targetE0EEEvT1_
; %bb.0:
	.section	.rodata,"a",@progbits
	.p2align	6, 0x0
	.amdhsa_kernel _ZN7rocprim17ROCPRIM_400000_NS6detail17trampoline_kernelINS0_14default_configENS1_20scan_config_selectorIN3c107complexIfEEEEZZNS1_9scan_implILNS1_25lookback_scan_determinismE0ELb0ELb0ES3_PKS7_PS7_S7_ZZZN2at6native31launch_logcumsumexp_cuda_kernelERKNSE_10TensorBaseESI_lENKUlvE_clEvENKUlvE2_clEvEUlS7_S7_E_S7_EEDaPvRmT3_T4_T5_mT6_P12ihipStream_tbENKUlT_T0_E_clISt17integral_constantIbLb0EESZ_EEDaSU_SV_EUlSU_E0_NS1_11comp_targetILNS1_3genE4ELNS1_11target_archE910ELNS1_3gpuE8ELNS1_3repE0EEENS1_30default_config_static_selectorELNS0_4arch9wavefront6targetE0EEEvT1_
		.amdhsa_group_segment_fixed_size 0
		.amdhsa_private_segment_fixed_size 0
		.amdhsa_kernarg_size 40
		.amdhsa_user_sgpr_count 15
		.amdhsa_user_sgpr_dispatch_ptr 0
		.amdhsa_user_sgpr_queue_ptr 0
		.amdhsa_user_sgpr_kernarg_segment_ptr 1
		.amdhsa_user_sgpr_dispatch_id 0
		.amdhsa_user_sgpr_private_segment_size 0
		.amdhsa_wavefront_size32 1
		.amdhsa_uses_dynamic_stack 0
		.amdhsa_enable_private_segment 0
		.amdhsa_system_sgpr_workgroup_id_x 1
		.amdhsa_system_sgpr_workgroup_id_y 0
		.amdhsa_system_sgpr_workgroup_id_z 0
		.amdhsa_system_sgpr_workgroup_info 0
		.amdhsa_system_vgpr_workitem_id 0
		.amdhsa_next_free_vgpr 1
		.amdhsa_next_free_sgpr 1
		.amdhsa_reserve_vcc 0
		.amdhsa_float_round_mode_32 0
		.amdhsa_float_round_mode_16_64 0
		.amdhsa_float_denorm_mode_32 3
		.amdhsa_float_denorm_mode_16_64 3
		.amdhsa_dx10_clamp 1
		.amdhsa_ieee_mode 1
		.amdhsa_fp16_overflow 0
		.amdhsa_workgroup_processor_mode 1
		.amdhsa_memory_ordered 1
		.amdhsa_forward_progress 0
		.amdhsa_shared_vgpr_count 0
		.amdhsa_exception_fp_ieee_invalid_op 0
		.amdhsa_exception_fp_denorm_src 0
		.amdhsa_exception_fp_ieee_div_zero 0
		.amdhsa_exception_fp_ieee_overflow 0
		.amdhsa_exception_fp_ieee_underflow 0
		.amdhsa_exception_fp_ieee_inexact 0
		.amdhsa_exception_int_div_zero 0
	.end_amdhsa_kernel
	.section	.text._ZN7rocprim17ROCPRIM_400000_NS6detail17trampoline_kernelINS0_14default_configENS1_20scan_config_selectorIN3c107complexIfEEEEZZNS1_9scan_implILNS1_25lookback_scan_determinismE0ELb0ELb0ES3_PKS7_PS7_S7_ZZZN2at6native31launch_logcumsumexp_cuda_kernelERKNSE_10TensorBaseESI_lENKUlvE_clEvENKUlvE2_clEvEUlS7_S7_E_S7_EEDaPvRmT3_T4_T5_mT6_P12ihipStream_tbENKUlT_T0_E_clISt17integral_constantIbLb0EESZ_EEDaSU_SV_EUlSU_E0_NS1_11comp_targetILNS1_3genE4ELNS1_11target_archE910ELNS1_3gpuE8ELNS1_3repE0EEENS1_30default_config_static_selectorELNS0_4arch9wavefront6targetE0EEEvT1_,"axG",@progbits,_ZN7rocprim17ROCPRIM_400000_NS6detail17trampoline_kernelINS0_14default_configENS1_20scan_config_selectorIN3c107complexIfEEEEZZNS1_9scan_implILNS1_25lookback_scan_determinismE0ELb0ELb0ES3_PKS7_PS7_S7_ZZZN2at6native31launch_logcumsumexp_cuda_kernelERKNSE_10TensorBaseESI_lENKUlvE_clEvENKUlvE2_clEvEUlS7_S7_E_S7_EEDaPvRmT3_T4_T5_mT6_P12ihipStream_tbENKUlT_T0_E_clISt17integral_constantIbLb0EESZ_EEDaSU_SV_EUlSU_E0_NS1_11comp_targetILNS1_3genE4ELNS1_11target_archE910ELNS1_3gpuE8ELNS1_3repE0EEENS1_30default_config_static_selectorELNS0_4arch9wavefront6targetE0EEEvT1_,comdat
.Lfunc_end287:
	.size	_ZN7rocprim17ROCPRIM_400000_NS6detail17trampoline_kernelINS0_14default_configENS1_20scan_config_selectorIN3c107complexIfEEEEZZNS1_9scan_implILNS1_25lookback_scan_determinismE0ELb0ELb0ES3_PKS7_PS7_S7_ZZZN2at6native31launch_logcumsumexp_cuda_kernelERKNSE_10TensorBaseESI_lENKUlvE_clEvENKUlvE2_clEvEUlS7_S7_E_S7_EEDaPvRmT3_T4_T5_mT6_P12ihipStream_tbENKUlT_T0_E_clISt17integral_constantIbLb0EESZ_EEDaSU_SV_EUlSU_E0_NS1_11comp_targetILNS1_3genE4ELNS1_11target_archE910ELNS1_3gpuE8ELNS1_3repE0EEENS1_30default_config_static_selectorELNS0_4arch9wavefront6targetE0EEEvT1_, .Lfunc_end287-_ZN7rocprim17ROCPRIM_400000_NS6detail17trampoline_kernelINS0_14default_configENS1_20scan_config_selectorIN3c107complexIfEEEEZZNS1_9scan_implILNS1_25lookback_scan_determinismE0ELb0ELb0ES3_PKS7_PS7_S7_ZZZN2at6native31launch_logcumsumexp_cuda_kernelERKNSE_10TensorBaseESI_lENKUlvE_clEvENKUlvE2_clEvEUlS7_S7_E_S7_EEDaPvRmT3_T4_T5_mT6_P12ihipStream_tbENKUlT_T0_E_clISt17integral_constantIbLb0EESZ_EEDaSU_SV_EUlSU_E0_NS1_11comp_targetILNS1_3genE4ELNS1_11target_archE910ELNS1_3gpuE8ELNS1_3repE0EEENS1_30default_config_static_selectorELNS0_4arch9wavefront6targetE0EEEvT1_
                                        ; -- End function
	.section	.AMDGPU.csdata,"",@progbits
; Kernel info:
; codeLenInByte = 0
; NumSgprs: 0
; NumVgprs: 0
; ScratchSize: 0
; MemoryBound: 0
; FloatMode: 240
; IeeeMode: 1
; LDSByteSize: 0 bytes/workgroup (compile time only)
; SGPRBlocks: 0
; VGPRBlocks: 0
; NumSGPRsForWavesPerEU: 1
; NumVGPRsForWavesPerEU: 1
; Occupancy: 16
; WaveLimiterHint : 0
; COMPUTE_PGM_RSRC2:SCRATCH_EN: 0
; COMPUTE_PGM_RSRC2:USER_SGPR: 15
; COMPUTE_PGM_RSRC2:TRAP_HANDLER: 0
; COMPUTE_PGM_RSRC2:TGID_X_EN: 1
; COMPUTE_PGM_RSRC2:TGID_Y_EN: 0
; COMPUTE_PGM_RSRC2:TGID_Z_EN: 0
; COMPUTE_PGM_RSRC2:TIDIG_COMP_CNT: 0
	.section	.text._ZN7rocprim17ROCPRIM_400000_NS6detail17trampoline_kernelINS0_14default_configENS1_20scan_config_selectorIN3c107complexIfEEEEZZNS1_9scan_implILNS1_25lookback_scan_determinismE0ELb0ELb0ES3_PKS7_PS7_S7_ZZZN2at6native31launch_logcumsumexp_cuda_kernelERKNSE_10TensorBaseESI_lENKUlvE_clEvENKUlvE2_clEvEUlS7_S7_E_S7_EEDaPvRmT3_T4_T5_mT6_P12ihipStream_tbENKUlT_T0_E_clISt17integral_constantIbLb0EESZ_EEDaSU_SV_EUlSU_E0_NS1_11comp_targetILNS1_3genE3ELNS1_11target_archE908ELNS1_3gpuE7ELNS1_3repE0EEENS1_30default_config_static_selectorELNS0_4arch9wavefront6targetE0EEEvT1_,"axG",@progbits,_ZN7rocprim17ROCPRIM_400000_NS6detail17trampoline_kernelINS0_14default_configENS1_20scan_config_selectorIN3c107complexIfEEEEZZNS1_9scan_implILNS1_25lookback_scan_determinismE0ELb0ELb0ES3_PKS7_PS7_S7_ZZZN2at6native31launch_logcumsumexp_cuda_kernelERKNSE_10TensorBaseESI_lENKUlvE_clEvENKUlvE2_clEvEUlS7_S7_E_S7_EEDaPvRmT3_T4_T5_mT6_P12ihipStream_tbENKUlT_T0_E_clISt17integral_constantIbLb0EESZ_EEDaSU_SV_EUlSU_E0_NS1_11comp_targetILNS1_3genE3ELNS1_11target_archE908ELNS1_3gpuE7ELNS1_3repE0EEENS1_30default_config_static_selectorELNS0_4arch9wavefront6targetE0EEEvT1_,comdat
	.globl	_ZN7rocprim17ROCPRIM_400000_NS6detail17trampoline_kernelINS0_14default_configENS1_20scan_config_selectorIN3c107complexIfEEEEZZNS1_9scan_implILNS1_25lookback_scan_determinismE0ELb0ELb0ES3_PKS7_PS7_S7_ZZZN2at6native31launch_logcumsumexp_cuda_kernelERKNSE_10TensorBaseESI_lENKUlvE_clEvENKUlvE2_clEvEUlS7_S7_E_S7_EEDaPvRmT3_T4_T5_mT6_P12ihipStream_tbENKUlT_T0_E_clISt17integral_constantIbLb0EESZ_EEDaSU_SV_EUlSU_E0_NS1_11comp_targetILNS1_3genE3ELNS1_11target_archE908ELNS1_3gpuE7ELNS1_3repE0EEENS1_30default_config_static_selectorELNS0_4arch9wavefront6targetE0EEEvT1_ ; -- Begin function _ZN7rocprim17ROCPRIM_400000_NS6detail17trampoline_kernelINS0_14default_configENS1_20scan_config_selectorIN3c107complexIfEEEEZZNS1_9scan_implILNS1_25lookback_scan_determinismE0ELb0ELb0ES3_PKS7_PS7_S7_ZZZN2at6native31launch_logcumsumexp_cuda_kernelERKNSE_10TensorBaseESI_lENKUlvE_clEvENKUlvE2_clEvEUlS7_S7_E_S7_EEDaPvRmT3_T4_T5_mT6_P12ihipStream_tbENKUlT_T0_E_clISt17integral_constantIbLb0EESZ_EEDaSU_SV_EUlSU_E0_NS1_11comp_targetILNS1_3genE3ELNS1_11target_archE908ELNS1_3gpuE7ELNS1_3repE0EEENS1_30default_config_static_selectorELNS0_4arch9wavefront6targetE0EEEvT1_
	.p2align	8
	.type	_ZN7rocprim17ROCPRIM_400000_NS6detail17trampoline_kernelINS0_14default_configENS1_20scan_config_selectorIN3c107complexIfEEEEZZNS1_9scan_implILNS1_25lookback_scan_determinismE0ELb0ELb0ES3_PKS7_PS7_S7_ZZZN2at6native31launch_logcumsumexp_cuda_kernelERKNSE_10TensorBaseESI_lENKUlvE_clEvENKUlvE2_clEvEUlS7_S7_E_S7_EEDaPvRmT3_T4_T5_mT6_P12ihipStream_tbENKUlT_T0_E_clISt17integral_constantIbLb0EESZ_EEDaSU_SV_EUlSU_E0_NS1_11comp_targetILNS1_3genE3ELNS1_11target_archE908ELNS1_3gpuE7ELNS1_3repE0EEENS1_30default_config_static_selectorELNS0_4arch9wavefront6targetE0EEEvT1_,@function
_ZN7rocprim17ROCPRIM_400000_NS6detail17trampoline_kernelINS0_14default_configENS1_20scan_config_selectorIN3c107complexIfEEEEZZNS1_9scan_implILNS1_25lookback_scan_determinismE0ELb0ELb0ES3_PKS7_PS7_S7_ZZZN2at6native31launch_logcumsumexp_cuda_kernelERKNSE_10TensorBaseESI_lENKUlvE_clEvENKUlvE2_clEvEUlS7_S7_E_S7_EEDaPvRmT3_T4_T5_mT6_P12ihipStream_tbENKUlT_T0_E_clISt17integral_constantIbLb0EESZ_EEDaSU_SV_EUlSU_E0_NS1_11comp_targetILNS1_3genE3ELNS1_11target_archE908ELNS1_3gpuE7ELNS1_3repE0EEENS1_30default_config_static_selectorELNS0_4arch9wavefront6targetE0EEEvT1_: ; @_ZN7rocprim17ROCPRIM_400000_NS6detail17trampoline_kernelINS0_14default_configENS1_20scan_config_selectorIN3c107complexIfEEEEZZNS1_9scan_implILNS1_25lookback_scan_determinismE0ELb0ELb0ES3_PKS7_PS7_S7_ZZZN2at6native31launch_logcumsumexp_cuda_kernelERKNSE_10TensorBaseESI_lENKUlvE_clEvENKUlvE2_clEvEUlS7_S7_E_S7_EEDaPvRmT3_T4_T5_mT6_P12ihipStream_tbENKUlT_T0_E_clISt17integral_constantIbLb0EESZ_EEDaSU_SV_EUlSU_E0_NS1_11comp_targetILNS1_3genE3ELNS1_11target_archE908ELNS1_3gpuE7ELNS1_3repE0EEENS1_30default_config_static_selectorELNS0_4arch9wavefront6targetE0EEEvT1_
; %bb.0:
	.section	.rodata,"a",@progbits
	.p2align	6, 0x0
	.amdhsa_kernel _ZN7rocprim17ROCPRIM_400000_NS6detail17trampoline_kernelINS0_14default_configENS1_20scan_config_selectorIN3c107complexIfEEEEZZNS1_9scan_implILNS1_25lookback_scan_determinismE0ELb0ELb0ES3_PKS7_PS7_S7_ZZZN2at6native31launch_logcumsumexp_cuda_kernelERKNSE_10TensorBaseESI_lENKUlvE_clEvENKUlvE2_clEvEUlS7_S7_E_S7_EEDaPvRmT3_T4_T5_mT6_P12ihipStream_tbENKUlT_T0_E_clISt17integral_constantIbLb0EESZ_EEDaSU_SV_EUlSU_E0_NS1_11comp_targetILNS1_3genE3ELNS1_11target_archE908ELNS1_3gpuE7ELNS1_3repE0EEENS1_30default_config_static_selectorELNS0_4arch9wavefront6targetE0EEEvT1_
		.amdhsa_group_segment_fixed_size 0
		.amdhsa_private_segment_fixed_size 0
		.amdhsa_kernarg_size 40
		.amdhsa_user_sgpr_count 15
		.amdhsa_user_sgpr_dispatch_ptr 0
		.amdhsa_user_sgpr_queue_ptr 0
		.amdhsa_user_sgpr_kernarg_segment_ptr 1
		.amdhsa_user_sgpr_dispatch_id 0
		.amdhsa_user_sgpr_private_segment_size 0
		.amdhsa_wavefront_size32 1
		.amdhsa_uses_dynamic_stack 0
		.amdhsa_enable_private_segment 0
		.amdhsa_system_sgpr_workgroup_id_x 1
		.amdhsa_system_sgpr_workgroup_id_y 0
		.amdhsa_system_sgpr_workgroup_id_z 0
		.amdhsa_system_sgpr_workgroup_info 0
		.amdhsa_system_vgpr_workitem_id 0
		.amdhsa_next_free_vgpr 1
		.amdhsa_next_free_sgpr 1
		.amdhsa_reserve_vcc 0
		.amdhsa_float_round_mode_32 0
		.amdhsa_float_round_mode_16_64 0
		.amdhsa_float_denorm_mode_32 3
		.amdhsa_float_denorm_mode_16_64 3
		.amdhsa_dx10_clamp 1
		.amdhsa_ieee_mode 1
		.amdhsa_fp16_overflow 0
		.amdhsa_workgroup_processor_mode 1
		.amdhsa_memory_ordered 1
		.amdhsa_forward_progress 0
		.amdhsa_shared_vgpr_count 0
		.amdhsa_exception_fp_ieee_invalid_op 0
		.amdhsa_exception_fp_denorm_src 0
		.amdhsa_exception_fp_ieee_div_zero 0
		.amdhsa_exception_fp_ieee_overflow 0
		.amdhsa_exception_fp_ieee_underflow 0
		.amdhsa_exception_fp_ieee_inexact 0
		.amdhsa_exception_int_div_zero 0
	.end_amdhsa_kernel
	.section	.text._ZN7rocprim17ROCPRIM_400000_NS6detail17trampoline_kernelINS0_14default_configENS1_20scan_config_selectorIN3c107complexIfEEEEZZNS1_9scan_implILNS1_25lookback_scan_determinismE0ELb0ELb0ES3_PKS7_PS7_S7_ZZZN2at6native31launch_logcumsumexp_cuda_kernelERKNSE_10TensorBaseESI_lENKUlvE_clEvENKUlvE2_clEvEUlS7_S7_E_S7_EEDaPvRmT3_T4_T5_mT6_P12ihipStream_tbENKUlT_T0_E_clISt17integral_constantIbLb0EESZ_EEDaSU_SV_EUlSU_E0_NS1_11comp_targetILNS1_3genE3ELNS1_11target_archE908ELNS1_3gpuE7ELNS1_3repE0EEENS1_30default_config_static_selectorELNS0_4arch9wavefront6targetE0EEEvT1_,"axG",@progbits,_ZN7rocprim17ROCPRIM_400000_NS6detail17trampoline_kernelINS0_14default_configENS1_20scan_config_selectorIN3c107complexIfEEEEZZNS1_9scan_implILNS1_25lookback_scan_determinismE0ELb0ELb0ES3_PKS7_PS7_S7_ZZZN2at6native31launch_logcumsumexp_cuda_kernelERKNSE_10TensorBaseESI_lENKUlvE_clEvENKUlvE2_clEvEUlS7_S7_E_S7_EEDaPvRmT3_T4_T5_mT6_P12ihipStream_tbENKUlT_T0_E_clISt17integral_constantIbLb0EESZ_EEDaSU_SV_EUlSU_E0_NS1_11comp_targetILNS1_3genE3ELNS1_11target_archE908ELNS1_3gpuE7ELNS1_3repE0EEENS1_30default_config_static_selectorELNS0_4arch9wavefront6targetE0EEEvT1_,comdat
.Lfunc_end288:
	.size	_ZN7rocprim17ROCPRIM_400000_NS6detail17trampoline_kernelINS0_14default_configENS1_20scan_config_selectorIN3c107complexIfEEEEZZNS1_9scan_implILNS1_25lookback_scan_determinismE0ELb0ELb0ES3_PKS7_PS7_S7_ZZZN2at6native31launch_logcumsumexp_cuda_kernelERKNSE_10TensorBaseESI_lENKUlvE_clEvENKUlvE2_clEvEUlS7_S7_E_S7_EEDaPvRmT3_T4_T5_mT6_P12ihipStream_tbENKUlT_T0_E_clISt17integral_constantIbLb0EESZ_EEDaSU_SV_EUlSU_E0_NS1_11comp_targetILNS1_3genE3ELNS1_11target_archE908ELNS1_3gpuE7ELNS1_3repE0EEENS1_30default_config_static_selectorELNS0_4arch9wavefront6targetE0EEEvT1_, .Lfunc_end288-_ZN7rocprim17ROCPRIM_400000_NS6detail17trampoline_kernelINS0_14default_configENS1_20scan_config_selectorIN3c107complexIfEEEEZZNS1_9scan_implILNS1_25lookback_scan_determinismE0ELb0ELb0ES3_PKS7_PS7_S7_ZZZN2at6native31launch_logcumsumexp_cuda_kernelERKNSE_10TensorBaseESI_lENKUlvE_clEvENKUlvE2_clEvEUlS7_S7_E_S7_EEDaPvRmT3_T4_T5_mT6_P12ihipStream_tbENKUlT_T0_E_clISt17integral_constantIbLb0EESZ_EEDaSU_SV_EUlSU_E0_NS1_11comp_targetILNS1_3genE3ELNS1_11target_archE908ELNS1_3gpuE7ELNS1_3repE0EEENS1_30default_config_static_selectorELNS0_4arch9wavefront6targetE0EEEvT1_
                                        ; -- End function
	.section	.AMDGPU.csdata,"",@progbits
; Kernel info:
; codeLenInByte = 0
; NumSgprs: 0
; NumVgprs: 0
; ScratchSize: 0
; MemoryBound: 0
; FloatMode: 240
; IeeeMode: 1
; LDSByteSize: 0 bytes/workgroup (compile time only)
; SGPRBlocks: 0
; VGPRBlocks: 0
; NumSGPRsForWavesPerEU: 1
; NumVGPRsForWavesPerEU: 1
; Occupancy: 16
; WaveLimiterHint : 0
; COMPUTE_PGM_RSRC2:SCRATCH_EN: 0
; COMPUTE_PGM_RSRC2:USER_SGPR: 15
; COMPUTE_PGM_RSRC2:TRAP_HANDLER: 0
; COMPUTE_PGM_RSRC2:TGID_X_EN: 1
; COMPUTE_PGM_RSRC2:TGID_Y_EN: 0
; COMPUTE_PGM_RSRC2:TGID_Z_EN: 0
; COMPUTE_PGM_RSRC2:TIDIG_COMP_CNT: 0
	.section	.text._ZN7rocprim17ROCPRIM_400000_NS6detail17trampoline_kernelINS0_14default_configENS1_20scan_config_selectorIN3c107complexIfEEEEZZNS1_9scan_implILNS1_25lookback_scan_determinismE0ELb0ELb0ES3_PKS7_PS7_S7_ZZZN2at6native31launch_logcumsumexp_cuda_kernelERKNSE_10TensorBaseESI_lENKUlvE_clEvENKUlvE2_clEvEUlS7_S7_E_S7_EEDaPvRmT3_T4_T5_mT6_P12ihipStream_tbENKUlT_T0_E_clISt17integral_constantIbLb0EESZ_EEDaSU_SV_EUlSU_E0_NS1_11comp_targetILNS1_3genE2ELNS1_11target_archE906ELNS1_3gpuE6ELNS1_3repE0EEENS1_30default_config_static_selectorELNS0_4arch9wavefront6targetE0EEEvT1_,"axG",@progbits,_ZN7rocprim17ROCPRIM_400000_NS6detail17trampoline_kernelINS0_14default_configENS1_20scan_config_selectorIN3c107complexIfEEEEZZNS1_9scan_implILNS1_25lookback_scan_determinismE0ELb0ELb0ES3_PKS7_PS7_S7_ZZZN2at6native31launch_logcumsumexp_cuda_kernelERKNSE_10TensorBaseESI_lENKUlvE_clEvENKUlvE2_clEvEUlS7_S7_E_S7_EEDaPvRmT3_T4_T5_mT6_P12ihipStream_tbENKUlT_T0_E_clISt17integral_constantIbLb0EESZ_EEDaSU_SV_EUlSU_E0_NS1_11comp_targetILNS1_3genE2ELNS1_11target_archE906ELNS1_3gpuE6ELNS1_3repE0EEENS1_30default_config_static_selectorELNS0_4arch9wavefront6targetE0EEEvT1_,comdat
	.globl	_ZN7rocprim17ROCPRIM_400000_NS6detail17trampoline_kernelINS0_14default_configENS1_20scan_config_selectorIN3c107complexIfEEEEZZNS1_9scan_implILNS1_25lookback_scan_determinismE0ELb0ELb0ES3_PKS7_PS7_S7_ZZZN2at6native31launch_logcumsumexp_cuda_kernelERKNSE_10TensorBaseESI_lENKUlvE_clEvENKUlvE2_clEvEUlS7_S7_E_S7_EEDaPvRmT3_T4_T5_mT6_P12ihipStream_tbENKUlT_T0_E_clISt17integral_constantIbLb0EESZ_EEDaSU_SV_EUlSU_E0_NS1_11comp_targetILNS1_3genE2ELNS1_11target_archE906ELNS1_3gpuE6ELNS1_3repE0EEENS1_30default_config_static_selectorELNS0_4arch9wavefront6targetE0EEEvT1_ ; -- Begin function _ZN7rocprim17ROCPRIM_400000_NS6detail17trampoline_kernelINS0_14default_configENS1_20scan_config_selectorIN3c107complexIfEEEEZZNS1_9scan_implILNS1_25lookback_scan_determinismE0ELb0ELb0ES3_PKS7_PS7_S7_ZZZN2at6native31launch_logcumsumexp_cuda_kernelERKNSE_10TensorBaseESI_lENKUlvE_clEvENKUlvE2_clEvEUlS7_S7_E_S7_EEDaPvRmT3_T4_T5_mT6_P12ihipStream_tbENKUlT_T0_E_clISt17integral_constantIbLb0EESZ_EEDaSU_SV_EUlSU_E0_NS1_11comp_targetILNS1_3genE2ELNS1_11target_archE906ELNS1_3gpuE6ELNS1_3repE0EEENS1_30default_config_static_selectorELNS0_4arch9wavefront6targetE0EEEvT1_
	.p2align	8
	.type	_ZN7rocprim17ROCPRIM_400000_NS6detail17trampoline_kernelINS0_14default_configENS1_20scan_config_selectorIN3c107complexIfEEEEZZNS1_9scan_implILNS1_25lookback_scan_determinismE0ELb0ELb0ES3_PKS7_PS7_S7_ZZZN2at6native31launch_logcumsumexp_cuda_kernelERKNSE_10TensorBaseESI_lENKUlvE_clEvENKUlvE2_clEvEUlS7_S7_E_S7_EEDaPvRmT3_T4_T5_mT6_P12ihipStream_tbENKUlT_T0_E_clISt17integral_constantIbLb0EESZ_EEDaSU_SV_EUlSU_E0_NS1_11comp_targetILNS1_3genE2ELNS1_11target_archE906ELNS1_3gpuE6ELNS1_3repE0EEENS1_30default_config_static_selectorELNS0_4arch9wavefront6targetE0EEEvT1_,@function
_ZN7rocprim17ROCPRIM_400000_NS6detail17trampoline_kernelINS0_14default_configENS1_20scan_config_selectorIN3c107complexIfEEEEZZNS1_9scan_implILNS1_25lookback_scan_determinismE0ELb0ELb0ES3_PKS7_PS7_S7_ZZZN2at6native31launch_logcumsumexp_cuda_kernelERKNSE_10TensorBaseESI_lENKUlvE_clEvENKUlvE2_clEvEUlS7_S7_E_S7_EEDaPvRmT3_T4_T5_mT6_P12ihipStream_tbENKUlT_T0_E_clISt17integral_constantIbLb0EESZ_EEDaSU_SV_EUlSU_E0_NS1_11comp_targetILNS1_3genE2ELNS1_11target_archE906ELNS1_3gpuE6ELNS1_3repE0EEENS1_30default_config_static_selectorELNS0_4arch9wavefront6targetE0EEEvT1_: ; @_ZN7rocprim17ROCPRIM_400000_NS6detail17trampoline_kernelINS0_14default_configENS1_20scan_config_selectorIN3c107complexIfEEEEZZNS1_9scan_implILNS1_25lookback_scan_determinismE0ELb0ELb0ES3_PKS7_PS7_S7_ZZZN2at6native31launch_logcumsumexp_cuda_kernelERKNSE_10TensorBaseESI_lENKUlvE_clEvENKUlvE2_clEvEUlS7_S7_E_S7_EEDaPvRmT3_T4_T5_mT6_P12ihipStream_tbENKUlT_T0_E_clISt17integral_constantIbLb0EESZ_EEDaSU_SV_EUlSU_E0_NS1_11comp_targetILNS1_3genE2ELNS1_11target_archE906ELNS1_3gpuE6ELNS1_3repE0EEENS1_30default_config_static_selectorELNS0_4arch9wavefront6targetE0EEEvT1_
; %bb.0:
	.section	.rodata,"a",@progbits
	.p2align	6, 0x0
	.amdhsa_kernel _ZN7rocprim17ROCPRIM_400000_NS6detail17trampoline_kernelINS0_14default_configENS1_20scan_config_selectorIN3c107complexIfEEEEZZNS1_9scan_implILNS1_25lookback_scan_determinismE0ELb0ELb0ES3_PKS7_PS7_S7_ZZZN2at6native31launch_logcumsumexp_cuda_kernelERKNSE_10TensorBaseESI_lENKUlvE_clEvENKUlvE2_clEvEUlS7_S7_E_S7_EEDaPvRmT3_T4_T5_mT6_P12ihipStream_tbENKUlT_T0_E_clISt17integral_constantIbLb0EESZ_EEDaSU_SV_EUlSU_E0_NS1_11comp_targetILNS1_3genE2ELNS1_11target_archE906ELNS1_3gpuE6ELNS1_3repE0EEENS1_30default_config_static_selectorELNS0_4arch9wavefront6targetE0EEEvT1_
		.amdhsa_group_segment_fixed_size 0
		.amdhsa_private_segment_fixed_size 0
		.amdhsa_kernarg_size 40
		.amdhsa_user_sgpr_count 15
		.amdhsa_user_sgpr_dispatch_ptr 0
		.amdhsa_user_sgpr_queue_ptr 0
		.amdhsa_user_sgpr_kernarg_segment_ptr 1
		.amdhsa_user_sgpr_dispatch_id 0
		.amdhsa_user_sgpr_private_segment_size 0
		.amdhsa_wavefront_size32 1
		.amdhsa_uses_dynamic_stack 0
		.amdhsa_enable_private_segment 0
		.amdhsa_system_sgpr_workgroup_id_x 1
		.amdhsa_system_sgpr_workgroup_id_y 0
		.amdhsa_system_sgpr_workgroup_id_z 0
		.amdhsa_system_sgpr_workgroup_info 0
		.amdhsa_system_vgpr_workitem_id 0
		.amdhsa_next_free_vgpr 1
		.amdhsa_next_free_sgpr 1
		.amdhsa_reserve_vcc 0
		.amdhsa_float_round_mode_32 0
		.amdhsa_float_round_mode_16_64 0
		.amdhsa_float_denorm_mode_32 3
		.amdhsa_float_denorm_mode_16_64 3
		.amdhsa_dx10_clamp 1
		.amdhsa_ieee_mode 1
		.amdhsa_fp16_overflow 0
		.amdhsa_workgroup_processor_mode 1
		.amdhsa_memory_ordered 1
		.amdhsa_forward_progress 0
		.amdhsa_shared_vgpr_count 0
		.amdhsa_exception_fp_ieee_invalid_op 0
		.amdhsa_exception_fp_denorm_src 0
		.amdhsa_exception_fp_ieee_div_zero 0
		.amdhsa_exception_fp_ieee_overflow 0
		.amdhsa_exception_fp_ieee_underflow 0
		.amdhsa_exception_fp_ieee_inexact 0
		.amdhsa_exception_int_div_zero 0
	.end_amdhsa_kernel
	.section	.text._ZN7rocprim17ROCPRIM_400000_NS6detail17trampoline_kernelINS0_14default_configENS1_20scan_config_selectorIN3c107complexIfEEEEZZNS1_9scan_implILNS1_25lookback_scan_determinismE0ELb0ELb0ES3_PKS7_PS7_S7_ZZZN2at6native31launch_logcumsumexp_cuda_kernelERKNSE_10TensorBaseESI_lENKUlvE_clEvENKUlvE2_clEvEUlS7_S7_E_S7_EEDaPvRmT3_T4_T5_mT6_P12ihipStream_tbENKUlT_T0_E_clISt17integral_constantIbLb0EESZ_EEDaSU_SV_EUlSU_E0_NS1_11comp_targetILNS1_3genE2ELNS1_11target_archE906ELNS1_3gpuE6ELNS1_3repE0EEENS1_30default_config_static_selectorELNS0_4arch9wavefront6targetE0EEEvT1_,"axG",@progbits,_ZN7rocprim17ROCPRIM_400000_NS6detail17trampoline_kernelINS0_14default_configENS1_20scan_config_selectorIN3c107complexIfEEEEZZNS1_9scan_implILNS1_25lookback_scan_determinismE0ELb0ELb0ES3_PKS7_PS7_S7_ZZZN2at6native31launch_logcumsumexp_cuda_kernelERKNSE_10TensorBaseESI_lENKUlvE_clEvENKUlvE2_clEvEUlS7_S7_E_S7_EEDaPvRmT3_T4_T5_mT6_P12ihipStream_tbENKUlT_T0_E_clISt17integral_constantIbLb0EESZ_EEDaSU_SV_EUlSU_E0_NS1_11comp_targetILNS1_3genE2ELNS1_11target_archE906ELNS1_3gpuE6ELNS1_3repE0EEENS1_30default_config_static_selectorELNS0_4arch9wavefront6targetE0EEEvT1_,comdat
.Lfunc_end289:
	.size	_ZN7rocprim17ROCPRIM_400000_NS6detail17trampoline_kernelINS0_14default_configENS1_20scan_config_selectorIN3c107complexIfEEEEZZNS1_9scan_implILNS1_25lookback_scan_determinismE0ELb0ELb0ES3_PKS7_PS7_S7_ZZZN2at6native31launch_logcumsumexp_cuda_kernelERKNSE_10TensorBaseESI_lENKUlvE_clEvENKUlvE2_clEvEUlS7_S7_E_S7_EEDaPvRmT3_T4_T5_mT6_P12ihipStream_tbENKUlT_T0_E_clISt17integral_constantIbLb0EESZ_EEDaSU_SV_EUlSU_E0_NS1_11comp_targetILNS1_3genE2ELNS1_11target_archE906ELNS1_3gpuE6ELNS1_3repE0EEENS1_30default_config_static_selectorELNS0_4arch9wavefront6targetE0EEEvT1_, .Lfunc_end289-_ZN7rocprim17ROCPRIM_400000_NS6detail17trampoline_kernelINS0_14default_configENS1_20scan_config_selectorIN3c107complexIfEEEEZZNS1_9scan_implILNS1_25lookback_scan_determinismE0ELb0ELb0ES3_PKS7_PS7_S7_ZZZN2at6native31launch_logcumsumexp_cuda_kernelERKNSE_10TensorBaseESI_lENKUlvE_clEvENKUlvE2_clEvEUlS7_S7_E_S7_EEDaPvRmT3_T4_T5_mT6_P12ihipStream_tbENKUlT_T0_E_clISt17integral_constantIbLb0EESZ_EEDaSU_SV_EUlSU_E0_NS1_11comp_targetILNS1_3genE2ELNS1_11target_archE906ELNS1_3gpuE6ELNS1_3repE0EEENS1_30default_config_static_selectorELNS0_4arch9wavefront6targetE0EEEvT1_
                                        ; -- End function
	.section	.AMDGPU.csdata,"",@progbits
; Kernel info:
; codeLenInByte = 0
; NumSgprs: 0
; NumVgprs: 0
; ScratchSize: 0
; MemoryBound: 0
; FloatMode: 240
; IeeeMode: 1
; LDSByteSize: 0 bytes/workgroup (compile time only)
; SGPRBlocks: 0
; VGPRBlocks: 0
; NumSGPRsForWavesPerEU: 1
; NumVGPRsForWavesPerEU: 1
; Occupancy: 16
; WaveLimiterHint : 0
; COMPUTE_PGM_RSRC2:SCRATCH_EN: 0
; COMPUTE_PGM_RSRC2:USER_SGPR: 15
; COMPUTE_PGM_RSRC2:TRAP_HANDLER: 0
; COMPUTE_PGM_RSRC2:TGID_X_EN: 1
; COMPUTE_PGM_RSRC2:TGID_Y_EN: 0
; COMPUTE_PGM_RSRC2:TGID_Z_EN: 0
; COMPUTE_PGM_RSRC2:TIDIG_COMP_CNT: 0
	.section	.text._ZN7rocprim17ROCPRIM_400000_NS6detail17trampoline_kernelINS0_14default_configENS1_20scan_config_selectorIN3c107complexIfEEEEZZNS1_9scan_implILNS1_25lookback_scan_determinismE0ELb0ELb0ES3_PKS7_PS7_S7_ZZZN2at6native31launch_logcumsumexp_cuda_kernelERKNSE_10TensorBaseESI_lENKUlvE_clEvENKUlvE2_clEvEUlS7_S7_E_S7_EEDaPvRmT3_T4_T5_mT6_P12ihipStream_tbENKUlT_T0_E_clISt17integral_constantIbLb0EESZ_EEDaSU_SV_EUlSU_E0_NS1_11comp_targetILNS1_3genE10ELNS1_11target_archE1201ELNS1_3gpuE5ELNS1_3repE0EEENS1_30default_config_static_selectorELNS0_4arch9wavefront6targetE0EEEvT1_,"axG",@progbits,_ZN7rocprim17ROCPRIM_400000_NS6detail17trampoline_kernelINS0_14default_configENS1_20scan_config_selectorIN3c107complexIfEEEEZZNS1_9scan_implILNS1_25lookback_scan_determinismE0ELb0ELb0ES3_PKS7_PS7_S7_ZZZN2at6native31launch_logcumsumexp_cuda_kernelERKNSE_10TensorBaseESI_lENKUlvE_clEvENKUlvE2_clEvEUlS7_S7_E_S7_EEDaPvRmT3_T4_T5_mT6_P12ihipStream_tbENKUlT_T0_E_clISt17integral_constantIbLb0EESZ_EEDaSU_SV_EUlSU_E0_NS1_11comp_targetILNS1_3genE10ELNS1_11target_archE1201ELNS1_3gpuE5ELNS1_3repE0EEENS1_30default_config_static_selectorELNS0_4arch9wavefront6targetE0EEEvT1_,comdat
	.globl	_ZN7rocprim17ROCPRIM_400000_NS6detail17trampoline_kernelINS0_14default_configENS1_20scan_config_selectorIN3c107complexIfEEEEZZNS1_9scan_implILNS1_25lookback_scan_determinismE0ELb0ELb0ES3_PKS7_PS7_S7_ZZZN2at6native31launch_logcumsumexp_cuda_kernelERKNSE_10TensorBaseESI_lENKUlvE_clEvENKUlvE2_clEvEUlS7_S7_E_S7_EEDaPvRmT3_T4_T5_mT6_P12ihipStream_tbENKUlT_T0_E_clISt17integral_constantIbLb0EESZ_EEDaSU_SV_EUlSU_E0_NS1_11comp_targetILNS1_3genE10ELNS1_11target_archE1201ELNS1_3gpuE5ELNS1_3repE0EEENS1_30default_config_static_selectorELNS0_4arch9wavefront6targetE0EEEvT1_ ; -- Begin function _ZN7rocprim17ROCPRIM_400000_NS6detail17trampoline_kernelINS0_14default_configENS1_20scan_config_selectorIN3c107complexIfEEEEZZNS1_9scan_implILNS1_25lookback_scan_determinismE0ELb0ELb0ES3_PKS7_PS7_S7_ZZZN2at6native31launch_logcumsumexp_cuda_kernelERKNSE_10TensorBaseESI_lENKUlvE_clEvENKUlvE2_clEvEUlS7_S7_E_S7_EEDaPvRmT3_T4_T5_mT6_P12ihipStream_tbENKUlT_T0_E_clISt17integral_constantIbLb0EESZ_EEDaSU_SV_EUlSU_E0_NS1_11comp_targetILNS1_3genE10ELNS1_11target_archE1201ELNS1_3gpuE5ELNS1_3repE0EEENS1_30default_config_static_selectorELNS0_4arch9wavefront6targetE0EEEvT1_
	.p2align	8
	.type	_ZN7rocprim17ROCPRIM_400000_NS6detail17trampoline_kernelINS0_14default_configENS1_20scan_config_selectorIN3c107complexIfEEEEZZNS1_9scan_implILNS1_25lookback_scan_determinismE0ELb0ELb0ES3_PKS7_PS7_S7_ZZZN2at6native31launch_logcumsumexp_cuda_kernelERKNSE_10TensorBaseESI_lENKUlvE_clEvENKUlvE2_clEvEUlS7_S7_E_S7_EEDaPvRmT3_T4_T5_mT6_P12ihipStream_tbENKUlT_T0_E_clISt17integral_constantIbLb0EESZ_EEDaSU_SV_EUlSU_E0_NS1_11comp_targetILNS1_3genE10ELNS1_11target_archE1201ELNS1_3gpuE5ELNS1_3repE0EEENS1_30default_config_static_selectorELNS0_4arch9wavefront6targetE0EEEvT1_,@function
_ZN7rocprim17ROCPRIM_400000_NS6detail17trampoline_kernelINS0_14default_configENS1_20scan_config_selectorIN3c107complexIfEEEEZZNS1_9scan_implILNS1_25lookback_scan_determinismE0ELb0ELb0ES3_PKS7_PS7_S7_ZZZN2at6native31launch_logcumsumexp_cuda_kernelERKNSE_10TensorBaseESI_lENKUlvE_clEvENKUlvE2_clEvEUlS7_S7_E_S7_EEDaPvRmT3_T4_T5_mT6_P12ihipStream_tbENKUlT_T0_E_clISt17integral_constantIbLb0EESZ_EEDaSU_SV_EUlSU_E0_NS1_11comp_targetILNS1_3genE10ELNS1_11target_archE1201ELNS1_3gpuE5ELNS1_3repE0EEENS1_30default_config_static_selectorELNS0_4arch9wavefront6targetE0EEEvT1_: ; @_ZN7rocprim17ROCPRIM_400000_NS6detail17trampoline_kernelINS0_14default_configENS1_20scan_config_selectorIN3c107complexIfEEEEZZNS1_9scan_implILNS1_25lookback_scan_determinismE0ELb0ELb0ES3_PKS7_PS7_S7_ZZZN2at6native31launch_logcumsumexp_cuda_kernelERKNSE_10TensorBaseESI_lENKUlvE_clEvENKUlvE2_clEvEUlS7_S7_E_S7_EEDaPvRmT3_T4_T5_mT6_P12ihipStream_tbENKUlT_T0_E_clISt17integral_constantIbLb0EESZ_EEDaSU_SV_EUlSU_E0_NS1_11comp_targetILNS1_3genE10ELNS1_11target_archE1201ELNS1_3gpuE5ELNS1_3repE0EEENS1_30default_config_static_selectorELNS0_4arch9wavefront6targetE0EEEvT1_
; %bb.0:
	.section	.rodata,"a",@progbits
	.p2align	6, 0x0
	.amdhsa_kernel _ZN7rocprim17ROCPRIM_400000_NS6detail17trampoline_kernelINS0_14default_configENS1_20scan_config_selectorIN3c107complexIfEEEEZZNS1_9scan_implILNS1_25lookback_scan_determinismE0ELb0ELb0ES3_PKS7_PS7_S7_ZZZN2at6native31launch_logcumsumexp_cuda_kernelERKNSE_10TensorBaseESI_lENKUlvE_clEvENKUlvE2_clEvEUlS7_S7_E_S7_EEDaPvRmT3_T4_T5_mT6_P12ihipStream_tbENKUlT_T0_E_clISt17integral_constantIbLb0EESZ_EEDaSU_SV_EUlSU_E0_NS1_11comp_targetILNS1_3genE10ELNS1_11target_archE1201ELNS1_3gpuE5ELNS1_3repE0EEENS1_30default_config_static_selectorELNS0_4arch9wavefront6targetE0EEEvT1_
		.amdhsa_group_segment_fixed_size 0
		.amdhsa_private_segment_fixed_size 0
		.amdhsa_kernarg_size 40
		.amdhsa_user_sgpr_count 15
		.amdhsa_user_sgpr_dispatch_ptr 0
		.amdhsa_user_sgpr_queue_ptr 0
		.amdhsa_user_sgpr_kernarg_segment_ptr 1
		.amdhsa_user_sgpr_dispatch_id 0
		.amdhsa_user_sgpr_private_segment_size 0
		.amdhsa_wavefront_size32 1
		.amdhsa_uses_dynamic_stack 0
		.amdhsa_enable_private_segment 0
		.amdhsa_system_sgpr_workgroup_id_x 1
		.amdhsa_system_sgpr_workgroup_id_y 0
		.amdhsa_system_sgpr_workgroup_id_z 0
		.amdhsa_system_sgpr_workgroup_info 0
		.amdhsa_system_vgpr_workitem_id 0
		.amdhsa_next_free_vgpr 1
		.amdhsa_next_free_sgpr 1
		.amdhsa_reserve_vcc 0
		.amdhsa_float_round_mode_32 0
		.amdhsa_float_round_mode_16_64 0
		.amdhsa_float_denorm_mode_32 3
		.amdhsa_float_denorm_mode_16_64 3
		.amdhsa_dx10_clamp 1
		.amdhsa_ieee_mode 1
		.amdhsa_fp16_overflow 0
		.amdhsa_workgroup_processor_mode 1
		.amdhsa_memory_ordered 1
		.amdhsa_forward_progress 0
		.amdhsa_shared_vgpr_count 0
		.amdhsa_exception_fp_ieee_invalid_op 0
		.amdhsa_exception_fp_denorm_src 0
		.amdhsa_exception_fp_ieee_div_zero 0
		.amdhsa_exception_fp_ieee_overflow 0
		.amdhsa_exception_fp_ieee_underflow 0
		.amdhsa_exception_fp_ieee_inexact 0
		.amdhsa_exception_int_div_zero 0
	.end_amdhsa_kernel
	.section	.text._ZN7rocprim17ROCPRIM_400000_NS6detail17trampoline_kernelINS0_14default_configENS1_20scan_config_selectorIN3c107complexIfEEEEZZNS1_9scan_implILNS1_25lookback_scan_determinismE0ELb0ELb0ES3_PKS7_PS7_S7_ZZZN2at6native31launch_logcumsumexp_cuda_kernelERKNSE_10TensorBaseESI_lENKUlvE_clEvENKUlvE2_clEvEUlS7_S7_E_S7_EEDaPvRmT3_T4_T5_mT6_P12ihipStream_tbENKUlT_T0_E_clISt17integral_constantIbLb0EESZ_EEDaSU_SV_EUlSU_E0_NS1_11comp_targetILNS1_3genE10ELNS1_11target_archE1201ELNS1_3gpuE5ELNS1_3repE0EEENS1_30default_config_static_selectorELNS0_4arch9wavefront6targetE0EEEvT1_,"axG",@progbits,_ZN7rocprim17ROCPRIM_400000_NS6detail17trampoline_kernelINS0_14default_configENS1_20scan_config_selectorIN3c107complexIfEEEEZZNS1_9scan_implILNS1_25lookback_scan_determinismE0ELb0ELb0ES3_PKS7_PS7_S7_ZZZN2at6native31launch_logcumsumexp_cuda_kernelERKNSE_10TensorBaseESI_lENKUlvE_clEvENKUlvE2_clEvEUlS7_S7_E_S7_EEDaPvRmT3_T4_T5_mT6_P12ihipStream_tbENKUlT_T0_E_clISt17integral_constantIbLb0EESZ_EEDaSU_SV_EUlSU_E0_NS1_11comp_targetILNS1_3genE10ELNS1_11target_archE1201ELNS1_3gpuE5ELNS1_3repE0EEENS1_30default_config_static_selectorELNS0_4arch9wavefront6targetE0EEEvT1_,comdat
.Lfunc_end290:
	.size	_ZN7rocprim17ROCPRIM_400000_NS6detail17trampoline_kernelINS0_14default_configENS1_20scan_config_selectorIN3c107complexIfEEEEZZNS1_9scan_implILNS1_25lookback_scan_determinismE0ELb0ELb0ES3_PKS7_PS7_S7_ZZZN2at6native31launch_logcumsumexp_cuda_kernelERKNSE_10TensorBaseESI_lENKUlvE_clEvENKUlvE2_clEvEUlS7_S7_E_S7_EEDaPvRmT3_T4_T5_mT6_P12ihipStream_tbENKUlT_T0_E_clISt17integral_constantIbLb0EESZ_EEDaSU_SV_EUlSU_E0_NS1_11comp_targetILNS1_3genE10ELNS1_11target_archE1201ELNS1_3gpuE5ELNS1_3repE0EEENS1_30default_config_static_selectorELNS0_4arch9wavefront6targetE0EEEvT1_, .Lfunc_end290-_ZN7rocprim17ROCPRIM_400000_NS6detail17trampoline_kernelINS0_14default_configENS1_20scan_config_selectorIN3c107complexIfEEEEZZNS1_9scan_implILNS1_25lookback_scan_determinismE0ELb0ELb0ES3_PKS7_PS7_S7_ZZZN2at6native31launch_logcumsumexp_cuda_kernelERKNSE_10TensorBaseESI_lENKUlvE_clEvENKUlvE2_clEvEUlS7_S7_E_S7_EEDaPvRmT3_T4_T5_mT6_P12ihipStream_tbENKUlT_T0_E_clISt17integral_constantIbLb0EESZ_EEDaSU_SV_EUlSU_E0_NS1_11comp_targetILNS1_3genE10ELNS1_11target_archE1201ELNS1_3gpuE5ELNS1_3repE0EEENS1_30default_config_static_selectorELNS0_4arch9wavefront6targetE0EEEvT1_
                                        ; -- End function
	.section	.AMDGPU.csdata,"",@progbits
; Kernel info:
; codeLenInByte = 0
; NumSgprs: 0
; NumVgprs: 0
; ScratchSize: 0
; MemoryBound: 0
; FloatMode: 240
; IeeeMode: 1
; LDSByteSize: 0 bytes/workgroup (compile time only)
; SGPRBlocks: 0
; VGPRBlocks: 0
; NumSGPRsForWavesPerEU: 1
; NumVGPRsForWavesPerEU: 1
; Occupancy: 16
; WaveLimiterHint : 0
; COMPUTE_PGM_RSRC2:SCRATCH_EN: 0
; COMPUTE_PGM_RSRC2:USER_SGPR: 15
; COMPUTE_PGM_RSRC2:TRAP_HANDLER: 0
; COMPUTE_PGM_RSRC2:TGID_X_EN: 1
; COMPUTE_PGM_RSRC2:TGID_Y_EN: 0
; COMPUTE_PGM_RSRC2:TGID_Z_EN: 0
; COMPUTE_PGM_RSRC2:TIDIG_COMP_CNT: 0
	.section	.text._ZN7rocprim17ROCPRIM_400000_NS6detail17trampoline_kernelINS0_14default_configENS1_20scan_config_selectorIN3c107complexIfEEEEZZNS1_9scan_implILNS1_25lookback_scan_determinismE0ELb0ELb0ES3_PKS7_PS7_S7_ZZZN2at6native31launch_logcumsumexp_cuda_kernelERKNSE_10TensorBaseESI_lENKUlvE_clEvENKUlvE2_clEvEUlS7_S7_E_S7_EEDaPvRmT3_T4_T5_mT6_P12ihipStream_tbENKUlT_T0_E_clISt17integral_constantIbLb0EESZ_EEDaSU_SV_EUlSU_E0_NS1_11comp_targetILNS1_3genE10ELNS1_11target_archE1200ELNS1_3gpuE4ELNS1_3repE0EEENS1_30default_config_static_selectorELNS0_4arch9wavefront6targetE0EEEvT1_,"axG",@progbits,_ZN7rocprim17ROCPRIM_400000_NS6detail17trampoline_kernelINS0_14default_configENS1_20scan_config_selectorIN3c107complexIfEEEEZZNS1_9scan_implILNS1_25lookback_scan_determinismE0ELb0ELb0ES3_PKS7_PS7_S7_ZZZN2at6native31launch_logcumsumexp_cuda_kernelERKNSE_10TensorBaseESI_lENKUlvE_clEvENKUlvE2_clEvEUlS7_S7_E_S7_EEDaPvRmT3_T4_T5_mT6_P12ihipStream_tbENKUlT_T0_E_clISt17integral_constantIbLb0EESZ_EEDaSU_SV_EUlSU_E0_NS1_11comp_targetILNS1_3genE10ELNS1_11target_archE1200ELNS1_3gpuE4ELNS1_3repE0EEENS1_30default_config_static_selectorELNS0_4arch9wavefront6targetE0EEEvT1_,comdat
	.globl	_ZN7rocprim17ROCPRIM_400000_NS6detail17trampoline_kernelINS0_14default_configENS1_20scan_config_selectorIN3c107complexIfEEEEZZNS1_9scan_implILNS1_25lookback_scan_determinismE0ELb0ELb0ES3_PKS7_PS7_S7_ZZZN2at6native31launch_logcumsumexp_cuda_kernelERKNSE_10TensorBaseESI_lENKUlvE_clEvENKUlvE2_clEvEUlS7_S7_E_S7_EEDaPvRmT3_T4_T5_mT6_P12ihipStream_tbENKUlT_T0_E_clISt17integral_constantIbLb0EESZ_EEDaSU_SV_EUlSU_E0_NS1_11comp_targetILNS1_3genE10ELNS1_11target_archE1200ELNS1_3gpuE4ELNS1_3repE0EEENS1_30default_config_static_selectorELNS0_4arch9wavefront6targetE0EEEvT1_ ; -- Begin function _ZN7rocprim17ROCPRIM_400000_NS6detail17trampoline_kernelINS0_14default_configENS1_20scan_config_selectorIN3c107complexIfEEEEZZNS1_9scan_implILNS1_25lookback_scan_determinismE0ELb0ELb0ES3_PKS7_PS7_S7_ZZZN2at6native31launch_logcumsumexp_cuda_kernelERKNSE_10TensorBaseESI_lENKUlvE_clEvENKUlvE2_clEvEUlS7_S7_E_S7_EEDaPvRmT3_T4_T5_mT6_P12ihipStream_tbENKUlT_T0_E_clISt17integral_constantIbLb0EESZ_EEDaSU_SV_EUlSU_E0_NS1_11comp_targetILNS1_3genE10ELNS1_11target_archE1200ELNS1_3gpuE4ELNS1_3repE0EEENS1_30default_config_static_selectorELNS0_4arch9wavefront6targetE0EEEvT1_
	.p2align	8
	.type	_ZN7rocprim17ROCPRIM_400000_NS6detail17trampoline_kernelINS0_14default_configENS1_20scan_config_selectorIN3c107complexIfEEEEZZNS1_9scan_implILNS1_25lookback_scan_determinismE0ELb0ELb0ES3_PKS7_PS7_S7_ZZZN2at6native31launch_logcumsumexp_cuda_kernelERKNSE_10TensorBaseESI_lENKUlvE_clEvENKUlvE2_clEvEUlS7_S7_E_S7_EEDaPvRmT3_T4_T5_mT6_P12ihipStream_tbENKUlT_T0_E_clISt17integral_constantIbLb0EESZ_EEDaSU_SV_EUlSU_E0_NS1_11comp_targetILNS1_3genE10ELNS1_11target_archE1200ELNS1_3gpuE4ELNS1_3repE0EEENS1_30default_config_static_selectorELNS0_4arch9wavefront6targetE0EEEvT1_,@function
_ZN7rocprim17ROCPRIM_400000_NS6detail17trampoline_kernelINS0_14default_configENS1_20scan_config_selectorIN3c107complexIfEEEEZZNS1_9scan_implILNS1_25lookback_scan_determinismE0ELb0ELb0ES3_PKS7_PS7_S7_ZZZN2at6native31launch_logcumsumexp_cuda_kernelERKNSE_10TensorBaseESI_lENKUlvE_clEvENKUlvE2_clEvEUlS7_S7_E_S7_EEDaPvRmT3_T4_T5_mT6_P12ihipStream_tbENKUlT_T0_E_clISt17integral_constantIbLb0EESZ_EEDaSU_SV_EUlSU_E0_NS1_11comp_targetILNS1_3genE10ELNS1_11target_archE1200ELNS1_3gpuE4ELNS1_3repE0EEENS1_30default_config_static_selectorELNS0_4arch9wavefront6targetE0EEEvT1_: ; @_ZN7rocprim17ROCPRIM_400000_NS6detail17trampoline_kernelINS0_14default_configENS1_20scan_config_selectorIN3c107complexIfEEEEZZNS1_9scan_implILNS1_25lookback_scan_determinismE0ELb0ELb0ES3_PKS7_PS7_S7_ZZZN2at6native31launch_logcumsumexp_cuda_kernelERKNSE_10TensorBaseESI_lENKUlvE_clEvENKUlvE2_clEvEUlS7_S7_E_S7_EEDaPvRmT3_T4_T5_mT6_P12ihipStream_tbENKUlT_T0_E_clISt17integral_constantIbLb0EESZ_EEDaSU_SV_EUlSU_E0_NS1_11comp_targetILNS1_3genE10ELNS1_11target_archE1200ELNS1_3gpuE4ELNS1_3repE0EEENS1_30default_config_static_selectorELNS0_4arch9wavefront6targetE0EEEvT1_
; %bb.0:
	.section	.rodata,"a",@progbits
	.p2align	6, 0x0
	.amdhsa_kernel _ZN7rocprim17ROCPRIM_400000_NS6detail17trampoline_kernelINS0_14default_configENS1_20scan_config_selectorIN3c107complexIfEEEEZZNS1_9scan_implILNS1_25lookback_scan_determinismE0ELb0ELb0ES3_PKS7_PS7_S7_ZZZN2at6native31launch_logcumsumexp_cuda_kernelERKNSE_10TensorBaseESI_lENKUlvE_clEvENKUlvE2_clEvEUlS7_S7_E_S7_EEDaPvRmT3_T4_T5_mT6_P12ihipStream_tbENKUlT_T0_E_clISt17integral_constantIbLb0EESZ_EEDaSU_SV_EUlSU_E0_NS1_11comp_targetILNS1_3genE10ELNS1_11target_archE1200ELNS1_3gpuE4ELNS1_3repE0EEENS1_30default_config_static_selectorELNS0_4arch9wavefront6targetE0EEEvT1_
		.amdhsa_group_segment_fixed_size 0
		.amdhsa_private_segment_fixed_size 0
		.amdhsa_kernarg_size 40
		.amdhsa_user_sgpr_count 15
		.amdhsa_user_sgpr_dispatch_ptr 0
		.amdhsa_user_sgpr_queue_ptr 0
		.amdhsa_user_sgpr_kernarg_segment_ptr 1
		.amdhsa_user_sgpr_dispatch_id 0
		.amdhsa_user_sgpr_private_segment_size 0
		.amdhsa_wavefront_size32 1
		.amdhsa_uses_dynamic_stack 0
		.amdhsa_enable_private_segment 0
		.amdhsa_system_sgpr_workgroup_id_x 1
		.amdhsa_system_sgpr_workgroup_id_y 0
		.amdhsa_system_sgpr_workgroup_id_z 0
		.amdhsa_system_sgpr_workgroup_info 0
		.amdhsa_system_vgpr_workitem_id 0
		.amdhsa_next_free_vgpr 1
		.amdhsa_next_free_sgpr 1
		.amdhsa_reserve_vcc 0
		.amdhsa_float_round_mode_32 0
		.amdhsa_float_round_mode_16_64 0
		.amdhsa_float_denorm_mode_32 3
		.amdhsa_float_denorm_mode_16_64 3
		.amdhsa_dx10_clamp 1
		.amdhsa_ieee_mode 1
		.amdhsa_fp16_overflow 0
		.amdhsa_workgroup_processor_mode 1
		.amdhsa_memory_ordered 1
		.amdhsa_forward_progress 0
		.amdhsa_shared_vgpr_count 0
		.amdhsa_exception_fp_ieee_invalid_op 0
		.amdhsa_exception_fp_denorm_src 0
		.amdhsa_exception_fp_ieee_div_zero 0
		.amdhsa_exception_fp_ieee_overflow 0
		.amdhsa_exception_fp_ieee_underflow 0
		.amdhsa_exception_fp_ieee_inexact 0
		.amdhsa_exception_int_div_zero 0
	.end_amdhsa_kernel
	.section	.text._ZN7rocprim17ROCPRIM_400000_NS6detail17trampoline_kernelINS0_14default_configENS1_20scan_config_selectorIN3c107complexIfEEEEZZNS1_9scan_implILNS1_25lookback_scan_determinismE0ELb0ELb0ES3_PKS7_PS7_S7_ZZZN2at6native31launch_logcumsumexp_cuda_kernelERKNSE_10TensorBaseESI_lENKUlvE_clEvENKUlvE2_clEvEUlS7_S7_E_S7_EEDaPvRmT3_T4_T5_mT6_P12ihipStream_tbENKUlT_T0_E_clISt17integral_constantIbLb0EESZ_EEDaSU_SV_EUlSU_E0_NS1_11comp_targetILNS1_3genE10ELNS1_11target_archE1200ELNS1_3gpuE4ELNS1_3repE0EEENS1_30default_config_static_selectorELNS0_4arch9wavefront6targetE0EEEvT1_,"axG",@progbits,_ZN7rocprim17ROCPRIM_400000_NS6detail17trampoline_kernelINS0_14default_configENS1_20scan_config_selectorIN3c107complexIfEEEEZZNS1_9scan_implILNS1_25lookback_scan_determinismE0ELb0ELb0ES3_PKS7_PS7_S7_ZZZN2at6native31launch_logcumsumexp_cuda_kernelERKNSE_10TensorBaseESI_lENKUlvE_clEvENKUlvE2_clEvEUlS7_S7_E_S7_EEDaPvRmT3_T4_T5_mT6_P12ihipStream_tbENKUlT_T0_E_clISt17integral_constantIbLb0EESZ_EEDaSU_SV_EUlSU_E0_NS1_11comp_targetILNS1_3genE10ELNS1_11target_archE1200ELNS1_3gpuE4ELNS1_3repE0EEENS1_30default_config_static_selectorELNS0_4arch9wavefront6targetE0EEEvT1_,comdat
.Lfunc_end291:
	.size	_ZN7rocprim17ROCPRIM_400000_NS6detail17trampoline_kernelINS0_14default_configENS1_20scan_config_selectorIN3c107complexIfEEEEZZNS1_9scan_implILNS1_25lookback_scan_determinismE0ELb0ELb0ES3_PKS7_PS7_S7_ZZZN2at6native31launch_logcumsumexp_cuda_kernelERKNSE_10TensorBaseESI_lENKUlvE_clEvENKUlvE2_clEvEUlS7_S7_E_S7_EEDaPvRmT3_T4_T5_mT6_P12ihipStream_tbENKUlT_T0_E_clISt17integral_constantIbLb0EESZ_EEDaSU_SV_EUlSU_E0_NS1_11comp_targetILNS1_3genE10ELNS1_11target_archE1200ELNS1_3gpuE4ELNS1_3repE0EEENS1_30default_config_static_selectorELNS0_4arch9wavefront6targetE0EEEvT1_, .Lfunc_end291-_ZN7rocprim17ROCPRIM_400000_NS6detail17trampoline_kernelINS0_14default_configENS1_20scan_config_selectorIN3c107complexIfEEEEZZNS1_9scan_implILNS1_25lookback_scan_determinismE0ELb0ELb0ES3_PKS7_PS7_S7_ZZZN2at6native31launch_logcumsumexp_cuda_kernelERKNSE_10TensorBaseESI_lENKUlvE_clEvENKUlvE2_clEvEUlS7_S7_E_S7_EEDaPvRmT3_T4_T5_mT6_P12ihipStream_tbENKUlT_T0_E_clISt17integral_constantIbLb0EESZ_EEDaSU_SV_EUlSU_E0_NS1_11comp_targetILNS1_3genE10ELNS1_11target_archE1200ELNS1_3gpuE4ELNS1_3repE0EEENS1_30default_config_static_selectorELNS0_4arch9wavefront6targetE0EEEvT1_
                                        ; -- End function
	.section	.AMDGPU.csdata,"",@progbits
; Kernel info:
; codeLenInByte = 0
; NumSgprs: 0
; NumVgprs: 0
; ScratchSize: 0
; MemoryBound: 0
; FloatMode: 240
; IeeeMode: 1
; LDSByteSize: 0 bytes/workgroup (compile time only)
; SGPRBlocks: 0
; VGPRBlocks: 0
; NumSGPRsForWavesPerEU: 1
; NumVGPRsForWavesPerEU: 1
; Occupancy: 16
; WaveLimiterHint : 0
; COMPUTE_PGM_RSRC2:SCRATCH_EN: 0
; COMPUTE_PGM_RSRC2:USER_SGPR: 15
; COMPUTE_PGM_RSRC2:TRAP_HANDLER: 0
; COMPUTE_PGM_RSRC2:TGID_X_EN: 1
; COMPUTE_PGM_RSRC2:TGID_Y_EN: 0
; COMPUTE_PGM_RSRC2:TGID_Z_EN: 0
; COMPUTE_PGM_RSRC2:TIDIG_COMP_CNT: 0
	.section	.text._ZN7rocprim17ROCPRIM_400000_NS6detail17trampoline_kernelINS0_14default_configENS1_20scan_config_selectorIN3c107complexIfEEEEZZNS1_9scan_implILNS1_25lookback_scan_determinismE0ELb0ELb0ES3_PKS7_PS7_S7_ZZZN2at6native31launch_logcumsumexp_cuda_kernelERKNSE_10TensorBaseESI_lENKUlvE_clEvENKUlvE2_clEvEUlS7_S7_E_S7_EEDaPvRmT3_T4_T5_mT6_P12ihipStream_tbENKUlT_T0_E_clISt17integral_constantIbLb0EESZ_EEDaSU_SV_EUlSU_E0_NS1_11comp_targetILNS1_3genE9ELNS1_11target_archE1100ELNS1_3gpuE3ELNS1_3repE0EEENS1_30default_config_static_selectorELNS0_4arch9wavefront6targetE0EEEvT1_,"axG",@progbits,_ZN7rocprim17ROCPRIM_400000_NS6detail17trampoline_kernelINS0_14default_configENS1_20scan_config_selectorIN3c107complexIfEEEEZZNS1_9scan_implILNS1_25lookback_scan_determinismE0ELb0ELb0ES3_PKS7_PS7_S7_ZZZN2at6native31launch_logcumsumexp_cuda_kernelERKNSE_10TensorBaseESI_lENKUlvE_clEvENKUlvE2_clEvEUlS7_S7_E_S7_EEDaPvRmT3_T4_T5_mT6_P12ihipStream_tbENKUlT_T0_E_clISt17integral_constantIbLb0EESZ_EEDaSU_SV_EUlSU_E0_NS1_11comp_targetILNS1_3genE9ELNS1_11target_archE1100ELNS1_3gpuE3ELNS1_3repE0EEENS1_30default_config_static_selectorELNS0_4arch9wavefront6targetE0EEEvT1_,comdat
	.globl	_ZN7rocprim17ROCPRIM_400000_NS6detail17trampoline_kernelINS0_14default_configENS1_20scan_config_selectorIN3c107complexIfEEEEZZNS1_9scan_implILNS1_25lookback_scan_determinismE0ELb0ELb0ES3_PKS7_PS7_S7_ZZZN2at6native31launch_logcumsumexp_cuda_kernelERKNSE_10TensorBaseESI_lENKUlvE_clEvENKUlvE2_clEvEUlS7_S7_E_S7_EEDaPvRmT3_T4_T5_mT6_P12ihipStream_tbENKUlT_T0_E_clISt17integral_constantIbLb0EESZ_EEDaSU_SV_EUlSU_E0_NS1_11comp_targetILNS1_3genE9ELNS1_11target_archE1100ELNS1_3gpuE3ELNS1_3repE0EEENS1_30default_config_static_selectorELNS0_4arch9wavefront6targetE0EEEvT1_ ; -- Begin function _ZN7rocprim17ROCPRIM_400000_NS6detail17trampoline_kernelINS0_14default_configENS1_20scan_config_selectorIN3c107complexIfEEEEZZNS1_9scan_implILNS1_25lookback_scan_determinismE0ELb0ELb0ES3_PKS7_PS7_S7_ZZZN2at6native31launch_logcumsumexp_cuda_kernelERKNSE_10TensorBaseESI_lENKUlvE_clEvENKUlvE2_clEvEUlS7_S7_E_S7_EEDaPvRmT3_T4_T5_mT6_P12ihipStream_tbENKUlT_T0_E_clISt17integral_constantIbLb0EESZ_EEDaSU_SV_EUlSU_E0_NS1_11comp_targetILNS1_3genE9ELNS1_11target_archE1100ELNS1_3gpuE3ELNS1_3repE0EEENS1_30default_config_static_selectorELNS0_4arch9wavefront6targetE0EEEvT1_
	.p2align	8
	.type	_ZN7rocprim17ROCPRIM_400000_NS6detail17trampoline_kernelINS0_14default_configENS1_20scan_config_selectorIN3c107complexIfEEEEZZNS1_9scan_implILNS1_25lookback_scan_determinismE0ELb0ELb0ES3_PKS7_PS7_S7_ZZZN2at6native31launch_logcumsumexp_cuda_kernelERKNSE_10TensorBaseESI_lENKUlvE_clEvENKUlvE2_clEvEUlS7_S7_E_S7_EEDaPvRmT3_T4_T5_mT6_P12ihipStream_tbENKUlT_T0_E_clISt17integral_constantIbLb0EESZ_EEDaSU_SV_EUlSU_E0_NS1_11comp_targetILNS1_3genE9ELNS1_11target_archE1100ELNS1_3gpuE3ELNS1_3repE0EEENS1_30default_config_static_selectorELNS0_4arch9wavefront6targetE0EEEvT1_,@function
_ZN7rocprim17ROCPRIM_400000_NS6detail17trampoline_kernelINS0_14default_configENS1_20scan_config_selectorIN3c107complexIfEEEEZZNS1_9scan_implILNS1_25lookback_scan_determinismE0ELb0ELb0ES3_PKS7_PS7_S7_ZZZN2at6native31launch_logcumsumexp_cuda_kernelERKNSE_10TensorBaseESI_lENKUlvE_clEvENKUlvE2_clEvEUlS7_S7_E_S7_EEDaPvRmT3_T4_T5_mT6_P12ihipStream_tbENKUlT_T0_E_clISt17integral_constantIbLb0EESZ_EEDaSU_SV_EUlSU_E0_NS1_11comp_targetILNS1_3genE9ELNS1_11target_archE1100ELNS1_3gpuE3ELNS1_3repE0EEENS1_30default_config_static_selectorELNS0_4arch9wavefront6targetE0EEEvT1_: ; @_ZN7rocprim17ROCPRIM_400000_NS6detail17trampoline_kernelINS0_14default_configENS1_20scan_config_selectorIN3c107complexIfEEEEZZNS1_9scan_implILNS1_25lookback_scan_determinismE0ELb0ELb0ES3_PKS7_PS7_S7_ZZZN2at6native31launch_logcumsumexp_cuda_kernelERKNSE_10TensorBaseESI_lENKUlvE_clEvENKUlvE2_clEvEUlS7_S7_E_S7_EEDaPvRmT3_T4_T5_mT6_P12ihipStream_tbENKUlT_T0_E_clISt17integral_constantIbLb0EESZ_EEDaSU_SV_EUlSU_E0_NS1_11comp_targetILNS1_3genE9ELNS1_11target_archE1100ELNS1_3gpuE3ELNS1_3repE0EEENS1_30default_config_static_selectorELNS0_4arch9wavefront6targetE0EEEvT1_
; %bb.0:
	s_load_b128 s[4:7], s[0:1], 0x0
	s_mov_b32 s32, 0
	s_waitcnt lgkmcnt(0)
	s_load_b64 s[2:3], s[4:5], 0x0
	s_waitcnt lgkmcnt(0)
	v_dual_mov_b32 v84, v0 :: v_dual_mov_b32 v1, s3
	s_delay_alu instid0(VALU_DEP_1) | instskip(SKIP_1) | instid1(VALU_DEP_2)
	v_cmp_gt_u32_e64 s8, s6, v84
	v_dual_mov_b32 v0, s2 :: v_dual_lshlrev_b32 v91, 3, v84
	s_and_saveexec_b32 s7, s8
	s_cbranch_execz .LBB292_2
; %bb.1:
	global_load_b64 v[0:1], v91, s[4:5]
.LBB292_2:
	s_or_b32 exec_lo, exec_lo, s7
	v_or_b32_e32 v32, 0x100, v84
	v_dual_mov_b32 v3, s3 :: v_dual_mov_b32 v2, s2
	s_delay_alu instid0(VALU_DEP_2) | instskip(NEXT) | instid1(VALU_DEP_1)
	v_cmp_gt_u32_e64 s9, s6, v32
	s_and_saveexec_b32 s7, s9
	s_cbranch_execz .LBB292_4
; %bb.3:
	global_load_b64 v[2:3], v91, s[4:5] offset:2048
.LBB292_4:
	s_or_b32 exec_lo, exec_lo, s7
	v_or_b32_e32 v33, 0x200, v84
	v_dual_mov_b32 v5, s3 :: v_dual_mov_b32 v4, s2
	s_delay_alu instid0(VALU_DEP_2) | instskip(NEXT) | instid1(VALU_DEP_1)
	v_cmp_gt_u32_e64 s10, s6, v33
	s_and_saveexec_b32 s7, s10
	s_cbranch_execz .LBB292_6
; %bb.5:
	v_lshlrev_b32_e32 v4, 3, v33
	global_load_b64 v[4:5], v4, s[4:5]
.LBB292_6:
	s_or_b32 exec_lo, exec_lo, s7
	v_or_b32_e32 v34, 0x300, v84
	v_dual_mov_b32 v9, s3 :: v_dual_mov_b32 v8, s2
	s_delay_alu instid0(VALU_DEP_2) | instskip(NEXT) | instid1(VALU_DEP_1)
	v_cmp_gt_u32_e64 s11, s6, v34
	s_and_saveexec_b32 s7, s11
	s_cbranch_execz .LBB292_8
; %bb.7:
	v_lshlrev_b32_e32 v6, 3, v34
	global_load_b64 v[8:9], v6, s[4:5]
.LBB292_8:
	;; [unrolled: 11-line block ×14, first 2 shown]
	s_or_b32 exec_lo, exec_lo, s2
	v_lshrrev_b32_e32 v47, 2, v84
	v_lshrrev_b32_e32 v33, 2, v33
	;; [unrolled: 1-line block ×5, first 2 shown]
	v_and_b32_e32 v47, 56, v47
	v_and_b32_e32 v33, 0xf8, v33
	;; [unrolled: 1-line block ×4, first 2 shown]
	s_load_b64 s[24:25], s[0:1], 0x20
	v_add_nc_u32_e32 v92, v47, v91
	v_add_nc_u32_e32 v94, v33, v91
	v_and_b32_e32 v33, 0x1f8, v35
	v_lshrrev_b32_e32 v35, 2, v38
	v_add_nc_u32_e32 v93, v32, v91
	v_add_nc_u32_e32 v95, v34, v91
	s_waitcnt vmcnt(0)
	ds_store_b64 v92, v[0:1]
	ds_store_b64 v93, v[2:3] offset:2048
	ds_store_b64 v94, v[4:5] offset:4096
	;; [unrolled: 1-line block ×3, first 2 shown]
	v_and_b32_e32 v0, 0x1f8, v35
	v_lshrrev_b32_e32 v1, 2, v39
	v_lshrrev_b32_e32 v2, 2, v40
	;; [unrolled: 1-line block ×4, first 2 shown]
	v_add_nc_u32_e32 v99, v0, v91
	v_and_b32_e32 v0, 0x3f8, v1
	v_and_b32_e32 v1, 0x3f8, v2
	v_and_b32_e32 v2, 0x3f8, v3
	v_and_b32_e32 v3, 0x3f8, v4
	v_lshrrev_b32_e32 v32, 2, v36
	v_add_nc_u32_e32 v100, v0, v91
	v_lshrrev_b32_e32 v0, 2, v43
	v_add_nc_u32_e32 v101, v1, v91
	v_lshrrev_b32_e32 v1, 2, v44
	v_lshrrev_b32_e32 v36, 2, v37
	v_add_nc_u32_e32 v102, v2, v91
	v_lshrrev_b32_e32 v2, 2, v45
	v_add_nc_u32_e32 v103, v3, v91
	v_lshrrev_b32_e32 v3, 2, v46
	v_and_b32_e32 v0, 0x3f8, v0
	v_lshlrev_b32_e32 v4, 4, v84
	v_lshrrev_b32_e32 v5, 1, v84
	v_and_b32_e32 v32, 0x1f8, v32
	v_and_b32_e32 v1, 0x3f8, v1
	;; [unrolled: 1-line block ×5, first 2 shown]
	v_add_nc_u32_e32 v96, v33, v91
	v_add_nc_u32_e32 v104, v0, v91
	v_add_lshl_u32 v108, v5, v4, 3
	v_add_nc_u32_e32 v97, v32, v91
	v_add_nc_u32_e32 v105, v1, v91
	;; [unrolled: 1-line block ×5, first 2 shown]
	ds_store_b64 v96, v[6:7] offset:8192
	ds_store_b64 v97, v[10:11] offset:10240
	;; [unrolled: 1-line block ×12, first 2 shown]
	s_waitcnt lgkmcnt(0)
	s_barrier
	buffer_gl0_inv
	ds_load_2addr_b64 v[22:25], v108 offset1:1
	ds_load_2addr_b64 v[50:53], v108 offset0:2 offset1:3
	ds_load_2addr_b64 v[46:49], v108 offset0:4 offset1:5
	ds_load_2addr_b64 v[42:45], v108 offset0:6 offset1:7
	ds_load_2addr_b64 v[38:41], v108 offset0:8 offset1:9
	ds_load_2addr_b64 v[34:37], v108 offset0:10 offset1:11
	ds_load_2addr_b64 v[30:33], v108 offset0:12 offset1:13
	ds_load_2addr_b64 v[26:29], v108 offset0:14 offset1:15
	s_waitcnt lgkmcnt(0)
	s_barrier
	buffer_gl0_inv
	s_getpc_b64 s[26:27]
	s_add_u32 s26, s26, _ZZZZN2at6native31launch_logcumsumexp_cuda_kernelERKNS_10TensorBaseES3_lENKUlvE_clEvENKUlvE2_clEvENKUlN3c107complexIfEES8_E_clES8_S8_@rel32@lo+4
	s_addc_u32 s27, s27, _ZZZZN2at6native31launch_logcumsumexp_cuda_kernelERKNS_10TensorBaseES3_lENKUlvE_clEvENKUlvE2_clEvENKUlN3c107complexIfEES8_E_clES8_S8_@rel32@hi+12
	v_dual_mov_b32 v3, v25 :: v_dual_mov_b32 v0, v22
	v_dual_mov_b32 v1, v23 :: v_dual_mov_b32 v2, v24
	s_swappc_b64 s[30:31], s[26:27]
	v_dual_mov_b32 v2, v50 :: v_dual_mov_b32 v3, v51
	s_delay_alu instid0(VALU_DEP_2)
	v_dual_mov_b32 v85, v0 :: v_dual_mov_b32 v86, v1
	s_swappc_b64 s[30:31], s[26:27]
	v_dual_mov_b32 v2, v52 :: v_dual_mov_b32 v3, v53
	v_dual_mov_b32 v54, v0 :: v_dual_mov_b32 v55, v1
	s_swappc_b64 s[30:31], s[26:27]
	v_dual_mov_b32 v2, v46 :: v_dual_mov_b32 v3, v47
	;; [unrolled: 3-line block ×14, first 2 shown]
	s_mov_b32 s28, exec_lo
	ds_store_b64 v92, v[80:81]
	s_waitcnt lgkmcnt(0)
	s_waitcnt_vscnt null, 0x0
	s_barrier
	buffer_gl0_inv
	v_cmpx_gt_u32_e32 32, v84
	s_cbranch_execz .LBB292_44
; %bb.33:
	v_lshlrev_b32_e32 v0, 1, v84
	s_delay_alu instid0(VALU_DEP_1) | instskip(NEXT) | instid1(VALU_DEP_1)
	v_and_b32_e32 v0, 0x1f8, v0
	v_lshl_or_b32 v109, v84, 6, v0
	ds_load_b64 v[82:83], v109
	ds_load_2addr_b64 v[87:90], v109 offset0:1 offset1:2
	s_waitcnt lgkmcnt(0)
	v_dual_mov_b32 v0, v82 :: v_dual_mov_b32 v3, v88
	v_mov_b32_e32 v1, v83
	v_mov_b32_e32 v2, v87
	s_swappc_b64 s[30:31], s[26:27]
	v_dual_mov_b32 v2, v89 :: v_dual_mov_b32 v3, v90
	s_swappc_b64 s[30:31], s[26:27]
	ds_load_2addr_b64 v[87:90], v109 offset0:3 offset1:4
	s_waitcnt lgkmcnt(0)
	v_dual_mov_b32 v2, v87 :: v_dual_mov_b32 v3, v88
	s_swappc_b64 s[30:31], s[26:27]
	v_dual_mov_b32 v2, v89 :: v_dual_mov_b32 v3, v90
	s_swappc_b64 s[30:31], s[26:27]
	ds_load_2addr_b64 v[87:90], v109 offset0:5 offset1:6
	s_waitcnt lgkmcnt(0)
	v_dual_mov_b32 v2, v87 :: v_dual_mov_b32 v3, v88
	s_swappc_b64 s[30:31], s[26:27]
	v_dual_mov_b32 v2, v89 :: v_dual_mov_b32 v3, v90
	s_swappc_b64 s[30:31], s[26:27]
	ds_load_b64 v[2:3], v109 offset:56
	s_swappc_b64 s[30:31], s[26:27]
	v_dual_mov_b32 v2, v0 :: v_dual_mov_b32 v3, v1
	v_mbcnt_lo_u32_b32 v87, -1, 0
	s_mov_b32 s26, exec_lo
	s_delay_alu instid0(VALU_DEP_2) | instskip(NEXT) | instid1(VALU_DEP_3)
	v_mov_b32_dpp v0, v2 row_shr:1 row_mask:0xf bank_mask:0xf
	v_mov_b32_dpp v1, v3 row_shr:1 row_mask:0xf bank_mask:0xf
	s_delay_alu instid0(VALU_DEP_3) | instskip(NEXT) | instid1(VALU_DEP_1)
	v_and_b32_e32 v88, 15, v87
	v_cmpx_ne_u32_e32 0, v88
	s_cbranch_execz .LBB292_35
; %bb.34:
	s_getpc_b64 s[0:1]
	s_add_u32 s0, s0, _ZZZZN2at6native31launch_logcumsumexp_cuda_kernelERKNS_10TensorBaseES3_lENKUlvE_clEvENKUlvE2_clEvENKUlN3c107complexIfEES8_E_clES8_S8_@rel32@lo+4
	s_addc_u32 s1, s1, _ZZZZN2at6native31launch_logcumsumexp_cuda_kernelERKNS_10TensorBaseES3_lENKUlvE_clEvENKUlvE2_clEvENKUlN3c107complexIfEES8_E_clES8_S8_@rel32@hi+12
	s_delay_alu instid0(SALU_CYCLE_1)
	s_swappc_b64 s[30:31], s[0:1]
	v_dual_mov_b32 v2, v0 :: v_dual_mov_b32 v3, v1
.LBB292_35:
	s_or_b32 exec_lo, exec_lo, s26
	s_delay_alu instid0(VALU_DEP_1) | instskip(NEXT) | instid1(VALU_DEP_2)
	v_mov_b32_dpp v0, v2 row_shr:2 row_mask:0xf bank_mask:0xf
	v_mov_b32_dpp v1, v3 row_shr:2 row_mask:0xf bank_mask:0xf
	s_mov_b32 s26, exec_lo
	v_cmpx_lt_u32_e32 1, v88
	s_cbranch_execz .LBB292_37
; %bb.36:
	s_getpc_b64 s[0:1]
	s_add_u32 s0, s0, _ZZZZN2at6native31launch_logcumsumexp_cuda_kernelERKNS_10TensorBaseES3_lENKUlvE_clEvENKUlvE2_clEvENKUlN3c107complexIfEES8_E_clES8_S8_@rel32@lo+4
	s_addc_u32 s1, s1, _ZZZZN2at6native31launch_logcumsumexp_cuda_kernelERKNS_10TensorBaseES3_lENKUlvE_clEvENKUlvE2_clEvENKUlN3c107complexIfEES8_E_clES8_S8_@rel32@hi+12
	s_delay_alu instid0(SALU_CYCLE_1)
	s_swappc_b64 s[30:31], s[0:1]
	v_dual_mov_b32 v2, v0 :: v_dual_mov_b32 v3, v1
.LBB292_37:
	s_or_b32 exec_lo, exec_lo, s26
	s_delay_alu instid0(VALU_DEP_1) | instskip(NEXT) | instid1(VALU_DEP_2)
	v_mov_b32_dpp v0, v2 row_shr:4 row_mask:0xf bank_mask:0xf
	v_mov_b32_dpp v1, v3 row_shr:4 row_mask:0xf bank_mask:0xf
	s_mov_b32 s26, exec_lo
	v_cmpx_lt_u32_e32 3, v88
	;; [unrolled: 15-line block ×3, first 2 shown]
	s_cbranch_execz .LBB292_41
; %bb.40:
	s_getpc_b64 s[0:1]
	s_add_u32 s0, s0, _ZZZZN2at6native31launch_logcumsumexp_cuda_kernelERKNS_10TensorBaseES3_lENKUlvE_clEvENKUlvE2_clEvENKUlN3c107complexIfEES8_E_clES8_S8_@rel32@lo+4
	s_addc_u32 s1, s1, _ZZZZN2at6native31launch_logcumsumexp_cuda_kernelERKNS_10TensorBaseES3_lENKUlvE_clEvENKUlvE2_clEvENKUlN3c107complexIfEES8_E_clES8_S8_@rel32@hi+12
	s_delay_alu instid0(SALU_CYCLE_1)
	s_swappc_b64 s[30:31], s[0:1]
	v_dual_mov_b32 v2, v0 :: v_dual_mov_b32 v3, v1
.LBB292_41:
	s_or_b32 exec_lo, exec_lo, s26
	ds_swizzle_b32 v0, v2 offset:swizzle(BROADCAST,32,15)
	ds_swizzle_b32 v1, v3 offset:swizzle(BROADCAST,32,15)
	v_and_b32_e32 v4, 16, v87
	s_mov_b32 s26, exec_lo
	s_delay_alu instid0(VALU_DEP_1)
	v_cmpx_ne_u32_e32 0, v4
	s_cbranch_execz .LBB292_43
; %bb.42:
	s_getpc_b64 s[0:1]
	s_add_u32 s0, s0, _ZZZZN2at6native31launch_logcumsumexp_cuda_kernelERKNS_10TensorBaseES3_lENKUlvE_clEvENKUlvE2_clEvENKUlN3c107complexIfEES8_E_clES8_S8_@rel32@lo+4
	s_addc_u32 s1, s1, _ZZZZN2at6native31launch_logcumsumexp_cuda_kernelERKNS_10TensorBaseES3_lENKUlvE_clEvENKUlvE2_clEvENKUlN3c107complexIfEES8_E_clES8_S8_@rel32@hi+12
	s_delay_alu instid0(SALU_CYCLE_1)
	s_swappc_b64 s[30:31], s[0:1]
	v_dual_mov_b32 v2, v0 :: v_dual_mov_b32 v3, v1
.LBB292_43:
	s_or_b32 exec_lo, exec_lo, s26
	s_waitcnt lgkmcnt(1)
	v_add_nc_u32_e32 v0, -1, v87
	s_getpc_b64 s[26:27]
	s_add_u32 s26, s26, _ZZZZN2at6native31launch_logcumsumexp_cuda_kernelERKNS_10TensorBaseES3_lENKUlvE_clEvENKUlvE2_clEvENKUlN3c107complexIfEES8_E_clES8_S8_@rel32@lo+4
	s_addc_u32 s27, s27, _ZZZZN2at6native31launch_logcumsumexp_cuda_kernelERKNS_10TensorBaseES3_lENKUlvE_clEvENKUlvE2_clEvENKUlN3c107complexIfEES8_E_clES8_S8_@rel32@hi+12
	s_delay_alu instid0(VALU_DEP_1) | instskip(SKIP_2) | instid1(VALU_DEP_1)
	v_cmp_gt_i32_e32 vcc_lo, 0, v0
	v_cndmask_b32_e32 v0, v0, v87, vcc_lo
	s_waitcnt lgkmcnt(0)
	v_lshlrev_b32_e32 v1, 2, v0
	ds_bpermute_b32 v0, v1, v2
	v_mov_b32_e32 v2, v82
	ds_bpermute_b32 v1, v1, v3
	v_mov_b32_e32 v3, v83
	s_swappc_b64 s[30:31], s[26:27]
	v_cmp_eq_u32_e32 vcc_lo, 0, v84
	; wave barrier
	v_dual_cndmask_b32 v0, v0, v80 :: v_dual_cndmask_b32 v1, v1, v81
	ds_store_b64 v109, v[0:1]
	; wave barrier
	ds_load_2addr_b64 v[87:90], v109 offset0:1 offset1:2
	s_waitcnt lgkmcnt(0)
	v_dual_mov_b32 v2, v87 :: v_dual_mov_b32 v3, v88
	s_swappc_b64 s[30:31], s[26:27]
	v_dual_mov_b32 v2, v89 :: v_dual_mov_b32 v3, v90
	v_dual_mov_b32 v82, v0 :: v_dual_mov_b32 v83, v1
	s_swappc_b64 s[30:31], s[26:27]
	ds_load_2addr_b64 v[87:90], v109 offset0:3 offset1:4
	ds_store_2addr_b64 v109, v[82:83], v[0:1] offset0:1 offset1:2
	s_waitcnt lgkmcnt(1)
	v_dual_mov_b32 v2, v87 :: v_dual_mov_b32 v3, v88
	s_swappc_b64 s[30:31], s[26:27]
	v_dual_mov_b32 v2, v89 :: v_dual_mov_b32 v3, v90
	v_dual_mov_b32 v82, v0 :: v_dual_mov_b32 v83, v1
	s_swappc_b64 s[30:31], s[26:27]
	ds_load_2addr_b64 v[87:90], v109 offset0:5 offset1:6
	ds_store_2addr_b64 v109, v[82:83], v[0:1] offset0:3 offset1:4
	s_waitcnt lgkmcnt(1)
	v_dual_mov_b32 v2, v87 :: v_dual_mov_b32 v3, v88
	s_swappc_b64 s[30:31], s[26:27]
	v_dual_mov_b32 v2, v89 :: v_dual_mov_b32 v3, v90
	v_dual_mov_b32 v82, v0 :: v_dual_mov_b32 v83, v1
	s_swappc_b64 s[30:31], s[26:27]
	ds_load_b64 v[2:3], v109 offset:56
	ds_store_2addr_b64 v109, v[82:83], v[0:1] offset0:5 offset1:6
	s_swappc_b64 s[30:31], s[26:27]
	ds_store_b64 v109, v[0:1] offset:56
.LBB292_44:
	s_or_b32 exec_lo, exec_lo, s28
	v_cmp_ne_u32_e32 vcc_lo, 0, v84
	v_dual_mov_b32 v1, v81 :: v_dual_mov_b32 v0, v80
	s_waitcnt lgkmcnt(0)
	s_waitcnt_vscnt null, 0x0
	s_barrier
	buffer_gl0_inv
	s_and_saveexec_b32 s0, vcc_lo
	s_cbranch_execz .LBB292_46
; %bb.45:
	v_add_nc_u32_e32 v0, -1, v84
	s_delay_alu instid0(VALU_DEP_1) | instskip(NEXT) | instid1(VALU_DEP_1)
	v_lshrrev_b32_e32 v1, 5, v0
	v_add_lshl_u32 v0, v1, v0, 3
	ds_load_b64 v[0:1], v0
.LBB292_46:
	s_or_b32 exec_lo, exec_lo, s0
	s_and_saveexec_b32 s28, vcc_lo
	s_cbranch_execz .LBB292_48
; %bb.47:
	v_dual_mov_b32 v2, v22 :: v_dual_mov_b32 v3, v23
	s_getpc_b64 s[26:27]
	s_add_u32 s26, s26, _ZZZZN2at6native31launch_logcumsumexp_cuda_kernelERKNS_10TensorBaseES3_lENKUlvE_clEvENKUlvE2_clEvENKUlN3c107complexIfEES8_E_clES8_S8_@rel32@lo+4
	s_addc_u32 s27, s27, _ZZZZN2at6native31launch_logcumsumexp_cuda_kernelERKNS_10TensorBaseES3_lENKUlvE_clEvENKUlvE2_clEvENKUlN3c107complexIfEES8_E_clES8_S8_@rel32@hi+12
	s_delay_alu instid0(SALU_CYCLE_1)
	s_swappc_b64 s[30:31], s[26:27]
	v_dual_mov_b32 v2, v24 :: v_dual_mov_b32 v3, v25
	v_dual_mov_b32 v22, v0 :: v_dual_mov_b32 v23, v1
	;;#ASMSTART
	;;#ASMEND
	s_swappc_b64 s[30:31], s[26:27]
	v_dual_mov_b32 v2, v50 :: v_dual_mov_b32 v3, v51
	v_dual_mov_b32 v85, v0 :: v_dual_mov_b32 v86, v1
	s_swappc_b64 s[30:31], s[26:27]
	v_dual_mov_b32 v2, v52 :: v_dual_mov_b32 v3, v53
	v_dual_mov_b32 v54, v0 :: v_dual_mov_b32 v55, v1
	;; [unrolled: 3-line block ×14, first 2 shown]
	s_swappc_b64 s[30:31], s[26:27]
	v_dual_mov_b32 v80, v0 :: v_dual_mov_b32 v81, v1
.LBB292_48:
	s_or_b32 exec_lo, exec_lo, s28
	s_waitcnt lgkmcnt(0)
	v_dual_mov_b32 v0, v85 :: v_dual_mov_b32 v1, v86
	s_waitcnt_vscnt null, 0x0
	s_barrier
	buffer_gl0_inv
	ds_store_2addr_b64 v108, v[22:23], v[0:1] offset1:1
	ds_store_2addr_b64 v108, v[54:55], v[56:57] offset0:2 offset1:3
	ds_store_2addr_b64 v108, v[58:59], v[60:61] offset0:4 offset1:5
	;; [unrolled: 1-line block ×7, first 2 shown]
	s_waitcnt lgkmcnt(0)
	s_barrier
	buffer_gl0_inv
	ds_load_b64 v[30:31], v93 offset:2048
	ds_load_b64 v[28:29], v94 offset:4096
	;; [unrolled: 1-line block ×15, first 2 shown]
	v_add_co_u32 v2, s0, s24, v91
	s_delay_alu instid0(VALU_DEP_1)
	v_add_co_ci_u32_e64 v3, null, s25, 0, s0
	s_and_saveexec_b32 s0, s8
	s_cbranch_execnz .LBB292_65
; %bb.49:
	s_or_b32 exec_lo, exec_lo, s0
	s_and_saveexec_b32 s0, s9
	s_cbranch_execnz .LBB292_66
.LBB292_50:
	s_or_b32 exec_lo, exec_lo, s0
	s_and_saveexec_b32 s0, s10
	s_cbranch_execnz .LBB292_67
.LBB292_51:
	s_or_b32 exec_lo, exec_lo, s0
	s_and_saveexec_b32 s0, s11
	s_cbranch_execnz .LBB292_68
.LBB292_52:
	s_or_b32 exec_lo, exec_lo, s0
	s_and_saveexec_b32 s0, s12
	s_cbranch_execnz .LBB292_69
.LBB292_53:
	s_or_b32 exec_lo, exec_lo, s0
	s_and_saveexec_b32 s0, s13
	s_cbranch_execnz .LBB292_70
.LBB292_54:
	s_or_b32 exec_lo, exec_lo, s0
	s_and_saveexec_b32 s0, s14
	s_cbranch_execnz .LBB292_71
.LBB292_55:
	s_or_b32 exec_lo, exec_lo, s0
	s_and_saveexec_b32 s0, s15
	s_cbranch_execnz .LBB292_72
.LBB292_56:
	s_or_b32 exec_lo, exec_lo, s0
	s_and_saveexec_b32 s0, s16
	s_cbranch_execnz .LBB292_73
.LBB292_57:
	s_or_b32 exec_lo, exec_lo, s0
	s_and_saveexec_b32 s0, s17
	s_cbranch_execnz .LBB292_74
.LBB292_58:
	s_or_b32 exec_lo, exec_lo, s0
	s_and_saveexec_b32 s0, s18
	s_cbranch_execnz .LBB292_75
.LBB292_59:
	s_or_b32 exec_lo, exec_lo, s0
	s_and_saveexec_b32 s0, s19
	s_cbranch_execnz .LBB292_76
.LBB292_60:
	s_or_b32 exec_lo, exec_lo, s0
	s_and_saveexec_b32 s0, s20
	s_cbranch_execnz .LBB292_77
.LBB292_61:
	s_or_b32 exec_lo, exec_lo, s0
	s_and_saveexec_b32 s0, s21
	s_cbranch_execnz .LBB292_78
.LBB292_62:
	s_or_b32 exec_lo, exec_lo, s0
	s_and_saveexec_b32 s0, s22
	s_cbranch_execnz .LBB292_79
.LBB292_63:
	s_or_b32 exec_lo, exec_lo, s0
	s_and_saveexec_b32 s0, s23
	s_cbranch_execnz .LBB292_80
.LBB292_64:
	s_nop 0
	s_sendmsg sendmsg(MSG_DEALLOC_VGPRS)
	s_endpgm
.LBB292_65:
	ds_load_b64 v[32:33], v92
	s_waitcnt lgkmcnt(0)
	global_store_b64 v[2:3], v[32:33], off
	s_or_b32 exec_lo, exec_lo, s0
	s_and_saveexec_b32 s0, s9
	s_cbranch_execz .LBB292_50
.LBB292_66:
	s_waitcnt lgkmcnt(14)
	global_store_b64 v[2:3], v[30:31], off offset:2048
	s_or_b32 exec_lo, exec_lo, s0
	s_and_saveexec_b32 s0, s10
	s_cbranch_execz .LBB292_51
.LBB292_67:
	s_waitcnt lgkmcnt(14)
	v_add_co_u32 v30, vcc_lo, 0x1000, v2
	v_add_co_ci_u32_e32 v31, vcc_lo, 0, v3, vcc_lo
	s_waitcnt lgkmcnt(13)
	global_store_b64 v[30:31], v[28:29], off
	s_or_b32 exec_lo, exec_lo, s0
	s_and_saveexec_b32 s0, s11
	s_cbranch_execz .LBB292_52
.LBB292_68:
	s_waitcnt lgkmcnt(13)
	v_add_co_u32 v28, vcc_lo, 0x1000, v2
	v_add_co_ci_u32_e32 v29, vcc_lo, 0, v3, vcc_lo
	s_waitcnt lgkmcnt(12)
	global_store_b64 v[28:29], v[26:27], off offset:2048
	s_or_b32 exec_lo, exec_lo, s0
	s_and_saveexec_b32 s0, s12
	s_cbranch_execz .LBB292_53
.LBB292_69:
	s_waitcnt lgkmcnt(12)
	v_add_co_u32 v26, vcc_lo, 0x2000, v2
	v_add_co_ci_u32_e32 v27, vcc_lo, 0, v3, vcc_lo
	s_waitcnt lgkmcnt(11)
	global_store_b64 v[26:27], v[24:25], off
	s_or_b32 exec_lo, exec_lo, s0
	s_and_saveexec_b32 s0, s13
	s_cbranch_execz .LBB292_54
.LBB292_70:
	s_waitcnt lgkmcnt(11)
	v_add_co_u32 v24, vcc_lo, 0x2000, v2
	v_add_co_ci_u32_e32 v25, vcc_lo, 0, v3, vcc_lo
	s_waitcnt lgkmcnt(10)
	global_store_b64 v[24:25], v[22:23], off offset:2048
	s_or_b32 exec_lo, exec_lo, s0
	s_and_saveexec_b32 s0, s14
	s_cbranch_execz .LBB292_55
.LBB292_71:
	s_waitcnt lgkmcnt(10)
	v_add_co_u32 v22, vcc_lo, 0x3000, v2
	v_add_co_ci_u32_e32 v23, vcc_lo, 0, v3, vcc_lo
	s_waitcnt lgkmcnt(9)
	global_store_b64 v[22:23], v[20:21], off
	s_or_b32 exec_lo, exec_lo, s0
	s_and_saveexec_b32 s0, s15
	s_cbranch_execz .LBB292_56
.LBB292_72:
	s_waitcnt lgkmcnt(9)
	v_add_co_u32 v20, vcc_lo, 0x3000, v2
	v_add_co_ci_u32_e32 v21, vcc_lo, 0, v3, vcc_lo
	s_waitcnt lgkmcnt(8)
	global_store_b64 v[20:21], v[18:19], off offset:2048
	s_or_b32 exec_lo, exec_lo, s0
	s_and_saveexec_b32 s0, s16
	s_cbranch_execz .LBB292_57
.LBB292_73:
	s_waitcnt lgkmcnt(8)
	v_add_co_u32 v18, vcc_lo, 0x4000, v2
	v_add_co_ci_u32_e32 v19, vcc_lo, 0, v3, vcc_lo
	s_waitcnt lgkmcnt(7)
	global_store_b64 v[18:19], v[16:17], off
	s_or_b32 exec_lo, exec_lo, s0
	s_and_saveexec_b32 s0, s17
	s_cbranch_execz .LBB292_58
.LBB292_74:
	s_waitcnt lgkmcnt(7)
	v_add_co_u32 v16, vcc_lo, 0x4000, v2
	v_add_co_ci_u32_e32 v17, vcc_lo, 0, v3, vcc_lo
	s_waitcnt lgkmcnt(6)
	global_store_b64 v[16:17], v[14:15], off offset:2048
	s_or_b32 exec_lo, exec_lo, s0
	s_and_saveexec_b32 s0, s18
	s_cbranch_execz .LBB292_59
.LBB292_75:
	s_waitcnt lgkmcnt(6)
	v_add_co_u32 v14, vcc_lo, 0x5000, v2
	v_add_co_ci_u32_e32 v15, vcc_lo, 0, v3, vcc_lo
	s_waitcnt lgkmcnt(5)
	global_store_b64 v[14:15], v[12:13], off
	s_or_b32 exec_lo, exec_lo, s0
	s_and_saveexec_b32 s0, s19
	s_cbranch_execz .LBB292_60
.LBB292_76:
	s_waitcnt lgkmcnt(5)
	v_add_co_u32 v12, vcc_lo, 0x5000, v2
	v_add_co_ci_u32_e32 v13, vcc_lo, 0, v3, vcc_lo
	s_waitcnt lgkmcnt(4)
	global_store_b64 v[12:13], v[10:11], off offset:2048
	s_or_b32 exec_lo, exec_lo, s0
	s_and_saveexec_b32 s0, s20
	s_cbranch_execz .LBB292_61
.LBB292_77:
	s_waitcnt lgkmcnt(4)
	v_add_co_u32 v10, vcc_lo, 0x6000, v2
	v_add_co_ci_u32_e32 v11, vcc_lo, 0, v3, vcc_lo
	s_waitcnt lgkmcnt(3)
	global_store_b64 v[10:11], v[8:9], off
	s_or_b32 exec_lo, exec_lo, s0
	s_and_saveexec_b32 s0, s21
	s_cbranch_execz .LBB292_62
.LBB292_78:
	s_waitcnt lgkmcnt(3)
	v_add_co_u32 v8, vcc_lo, 0x6000, v2
	v_add_co_ci_u32_e32 v9, vcc_lo, 0, v3, vcc_lo
	s_waitcnt lgkmcnt(2)
	global_store_b64 v[8:9], v[6:7], off offset:2048
	s_or_b32 exec_lo, exec_lo, s0
	s_and_saveexec_b32 s0, s22
	s_cbranch_execz .LBB292_63
.LBB292_79:
	s_waitcnt lgkmcnt(2)
	v_add_co_u32 v6, vcc_lo, 0x7000, v2
	v_add_co_ci_u32_e32 v7, vcc_lo, 0, v3, vcc_lo
	s_waitcnt lgkmcnt(1)
	global_store_b64 v[6:7], v[4:5], off
	s_or_b32 exec_lo, exec_lo, s0
	s_and_saveexec_b32 s0, s23
	s_cbranch_execz .LBB292_64
.LBB292_80:
	v_add_co_u32 v2, vcc_lo, 0x7000, v2
	v_add_co_ci_u32_e32 v3, vcc_lo, 0, v3, vcc_lo
	s_waitcnt lgkmcnt(0)
	global_store_b64 v[2:3], v[0:1], off offset:2048
	s_nop 0
	s_sendmsg sendmsg(MSG_DEALLOC_VGPRS)
	s_endpgm
	.section	.rodata,"a",@progbits
	.p2align	6, 0x0
	.amdhsa_kernel _ZN7rocprim17ROCPRIM_400000_NS6detail17trampoline_kernelINS0_14default_configENS1_20scan_config_selectorIN3c107complexIfEEEEZZNS1_9scan_implILNS1_25lookback_scan_determinismE0ELb0ELb0ES3_PKS7_PS7_S7_ZZZN2at6native31launch_logcumsumexp_cuda_kernelERKNSE_10TensorBaseESI_lENKUlvE_clEvENKUlvE2_clEvEUlS7_S7_E_S7_EEDaPvRmT3_T4_T5_mT6_P12ihipStream_tbENKUlT_T0_E_clISt17integral_constantIbLb0EESZ_EEDaSU_SV_EUlSU_E0_NS1_11comp_targetILNS1_3genE9ELNS1_11target_archE1100ELNS1_3gpuE3ELNS1_3repE0EEENS1_30default_config_static_selectorELNS0_4arch9wavefront6targetE0EEEvT1_
		.amdhsa_group_segment_fixed_size 33792
		.amdhsa_private_segment_fixed_size 0
		.amdhsa_kernarg_size 40
		.amdhsa_user_sgpr_count 15
		.amdhsa_user_sgpr_dispatch_ptr 0
		.amdhsa_user_sgpr_queue_ptr 0
		.amdhsa_user_sgpr_kernarg_segment_ptr 1
		.amdhsa_user_sgpr_dispatch_id 0
		.amdhsa_user_sgpr_private_segment_size 0
		.amdhsa_wavefront_size32 1
		.amdhsa_uses_dynamic_stack 0
		.amdhsa_enable_private_segment 0
		.amdhsa_system_sgpr_workgroup_id_x 1
		.amdhsa_system_sgpr_workgroup_id_y 0
		.amdhsa_system_sgpr_workgroup_id_z 0
		.amdhsa_system_sgpr_workgroup_info 0
		.amdhsa_system_vgpr_workitem_id 0
		.amdhsa_next_free_vgpr 110
		.amdhsa_next_free_sgpr 33
		.amdhsa_reserve_vcc 1
		.amdhsa_float_round_mode_32 0
		.amdhsa_float_round_mode_16_64 0
		.amdhsa_float_denorm_mode_32 3
		.amdhsa_float_denorm_mode_16_64 3
		.amdhsa_dx10_clamp 1
		.amdhsa_ieee_mode 1
		.amdhsa_fp16_overflow 0
		.amdhsa_workgroup_processor_mode 1
		.amdhsa_memory_ordered 1
		.amdhsa_forward_progress 0
		.amdhsa_shared_vgpr_count 0
		.amdhsa_exception_fp_ieee_invalid_op 0
		.amdhsa_exception_fp_denorm_src 0
		.amdhsa_exception_fp_ieee_div_zero 0
		.amdhsa_exception_fp_ieee_overflow 0
		.amdhsa_exception_fp_ieee_underflow 0
		.amdhsa_exception_fp_ieee_inexact 0
		.amdhsa_exception_int_div_zero 0
	.end_amdhsa_kernel
	.section	.text._ZN7rocprim17ROCPRIM_400000_NS6detail17trampoline_kernelINS0_14default_configENS1_20scan_config_selectorIN3c107complexIfEEEEZZNS1_9scan_implILNS1_25lookback_scan_determinismE0ELb0ELb0ES3_PKS7_PS7_S7_ZZZN2at6native31launch_logcumsumexp_cuda_kernelERKNSE_10TensorBaseESI_lENKUlvE_clEvENKUlvE2_clEvEUlS7_S7_E_S7_EEDaPvRmT3_T4_T5_mT6_P12ihipStream_tbENKUlT_T0_E_clISt17integral_constantIbLb0EESZ_EEDaSU_SV_EUlSU_E0_NS1_11comp_targetILNS1_3genE9ELNS1_11target_archE1100ELNS1_3gpuE3ELNS1_3repE0EEENS1_30default_config_static_selectorELNS0_4arch9wavefront6targetE0EEEvT1_,"axG",@progbits,_ZN7rocprim17ROCPRIM_400000_NS6detail17trampoline_kernelINS0_14default_configENS1_20scan_config_selectorIN3c107complexIfEEEEZZNS1_9scan_implILNS1_25lookback_scan_determinismE0ELb0ELb0ES3_PKS7_PS7_S7_ZZZN2at6native31launch_logcumsumexp_cuda_kernelERKNSE_10TensorBaseESI_lENKUlvE_clEvENKUlvE2_clEvEUlS7_S7_E_S7_EEDaPvRmT3_T4_T5_mT6_P12ihipStream_tbENKUlT_T0_E_clISt17integral_constantIbLb0EESZ_EEDaSU_SV_EUlSU_E0_NS1_11comp_targetILNS1_3genE9ELNS1_11target_archE1100ELNS1_3gpuE3ELNS1_3repE0EEENS1_30default_config_static_selectorELNS0_4arch9wavefront6targetE0EEEvT1_,comdat
.Lfunc_end292:
	.size	_ZN7rocprim17ROCPRIM_400000_NS6detail17trampoline_kernelINS0_14default_configENS1_20scan_config_selectorIN3c107complexIfEEEEZZNS1_9scan_implILNS1_25lookback_scan_determinismE0ELb0ELb0ES3_PKS7_PS7_S7_ZZZN2at6native31launch_logcumsumexp_cuda_kernelERKNSE_10TensorBaseESI_lENKUlvE_clEvENKUlvE2_clEvEUlS7_S7_E_S7_EEDaPvRmT3_T4_T5_mT6_P12ihipStream_tbENKUlT_T0_E_clISt17integral_constantIbLb0EESZ_EEDaSU_SV_EUlSU_E0_NS1_11comp_targetILNS1_3genE9ELNS1_11target_archE1100ELNS1_3gpuE3ELNS1_3repE0EEENS1_30default_config_static_selectorELNS0_4arch9wavefront6targetE0EEEvT1_, .Lfunc_end292-_ZN7rocprim17ROCPRIM_400000_NS6detail17trampoline_kernelINS0_14default_configENS1_20scan_config_selectorIN3c107complexIfEEEEZZNS1_9scan_implILNS1_25lookback_scan_determinismE0ELb0ELb0ES3_PKS7_PS7_S7_ZZZN2at6native31launch_logcumsumexp_cuda_kernelERKNSE_10TensorBaseESI_lENKUlvE_clEvENKUlvE2_clEvEUlS7_S7_E_S7_EEDaPvRmT3_T4_T5_mT6_P12ihipStream_tbENKUlT_T0_E_clISt17integral_constantIbLb0EESZ_EEDaSU_SV_EUlSU_E0_NS1_11comp_targetILNS1_3genE9ELNS1_11target_archE1100ELNS1_3gpuE3ELNS1_3repE0EEENS1_30default_config_static_selectorELNS0_4arch9wavefront6targetE0EEEvT1_
                                        ; -- End function
	.section	.AMDGPU.csdata,"",@progbits
; Kernel info:
; codeLenInByte = 4096
; NumSgprs: 35
; NumVgprs: 110
; ScratchSize: 0
; MemoryBound: 0
; FloatMode: 240
; IeeeMode: 1
; LDSByteSize: 33792 bytes/workgroup (compile time only)
; SGPRBlocks: 4
; VGPRBlocks: 13
; NumSGPRsForWavesPerEU: 35
; NumVGPRsForWavesPerEU: 110
; Occupancy: 6
; WaveLimiterHint : 0
; COMPUTE_PGM_RSRC2:SCRATCH_EN: 0
; COMPUTE_PGM_RSRC2:USER_SGPR: 15
; COMPUTE_PGM_RSRC2:TRAP_HANDLER: 0
; COMPUTE_PGM_RSRC2:TGID_X_EN: 1
; COMPUTE_PGM_RSRC2:TGID_Y_EN: 0
; COMPUTE_PGM_RSRC2:TGID_Z_EN: 0
; COMPUTE_PGM_RSRC2:TIDIG_COMP_CNT: 0
	.section	.text._ZN7rocprim17ROCPRIM_400000_NS6detail17trampoline_kernelINS0_14default_configENS1_20scan_config_selectorIN3c107complexIfEEEEZZNS1_9scan_implILNS1_25lookback_scan_determinismE0ELb0ELb0ES3_PKS7_PS7_S7_ZZZN2at6native31launch_logcumsumexp_cuda_kernelERKNSE_10TensorBaseESI_lENKUlvE_clEvENKUlvE2_clEvEUlS7_S7_E_S7_EEDaPvRmT3_T4_T5_mT6_P12ihipStream_tbENKUlT_T0_E_clISt17integral_constantIbLb0EESZ_EEDaSU_SV_EUlSU_E0_NS1_11comp_targetILNS1_3genE8ELNS1_11target_archE1030ELNS1_3gpuE2ELNS1_3repE0EEENS1_30default_config_static_selectorELNS0_4arch9wavefront6targetE0EEEvT1_,"axG",@progbits,_ZN7rocprim17ROCPRIM_400000_NS6detail17trampoline_kernelINS0_14default_configENS1_20scan_config_selectorIN3c107complexIfEEEEZZNS1_9scan_implILNS1_25lookback_scan_determinismE0ELb0ELb0ES3_PKS7_PS7_S7_ZZZN2at6native31launch_logcumsumexp_cuda_kernelERKNSE_10TensorBaseESI_lENKUlvE_clEvENKUlvE2_clEvEUlS7_S7_E_S7_EEDaPvRmT3_T4_T5_mT6_P12ihipStream_tbENKUlT_T0_E_clISt17integral_constantIbLb0EESZ_EEDaSU_SV_EUlSU_E0_NS1_11comp_targetILNS1_3genE8ELNS1_11target_archE1030ELNS1_3gpuE2ELNS1_3repE0EEENS1_30default_config_static_selectorELNS0_4arch9wavefront6targetE0EEEvT1_,comdat
	.globl	_ZN7rocprim17ROCPRIM_400000_NS6detail17trampoline_kernelINS0_14default_configENS1_20scan_config_selectorIN3c107complexIfEEEEZZNS1_9scan_implILNS1_25lookback_scan_determinismE0ELb0ELb0ES3_PKS7_PS7_S7_ZZZN2at6native31launch_logcumsumexp_cuda_kernelERKNSE_10TensorBaseESI_lENKUlvE_clEvENKUlvE2_clEvEUlS7_S7_E_S7_EEDaPvRmT3_T4_T5_mT6_P12ihipStream_tbENKUlT_T0_E_clISt17integral_constantIbLb0EESZ_EEDaSU_SV_EUlSU_E0_NS1_11comp_targetILNS1_3genE8ELNS1_11target_archE1030ELNS1_3gpuE2ELNS1_3repE0EEENS1_30default_config_static_selectorELNS0_4arch9wavefront6targetE0EEEvT1_ ; -- Begin function _ZN7rocprim17ROCPRIM_400000_NS6detail17trampoline_kernelINS0_14default_configENS1_20scan_config_selectorIN3c107complexIfEEEEZZNS1_9scan_implILNS1_25lookback_scan_determinismE0ELb0ELb0ES3_PKS7_PS7_S7_ZZZN2at6native31launch_logcumsumexp_cuda_kernelERKNSE_10TensorBaseESI_lENKUlvE_clEvENKUlvE2_clEvEUlS7_S7_E_S7_EEDaPvRmT3_T4_T5_mT6_P12ihipStream_tbENKUlT_T0_E_clISt17integral_constantIbLb0EESZ_EEDaSU_SV_EUlSU_E0_NS1_11comp_targetILNS1_3genE8ELNS1_11target_archE1030ELNS1_3gpuE2ELNS1_3repE0EEENS1_30default_config_static_selectorELNS0_4arch9wavefront6targetE0EEEvT1_
	.p2align	8
	.type	_ZN7rocprim17ROCPRIM_400000_NS6detail17trampoline_kernelINS0_14default_configENS1_20scan_config_selectorIN3c107complexIfEEEEZZNS1_9scan_implILNS1_25lookback_scan_determinismE0ELb0ELb0ES3_PKS7_PS7_S7_ZZZN2at6native31launch_logcumsumexp_cuda_kernelERKNSE_10TensorBaseESI_lENKUlvE_clEvENKUlvE2_clEvEUlS7_S7_E_S7_EEDaPvRmT3_T4_T5_mT6_P12ihipStream_tbENKUlT_T0_E_clISt17integral_constantIbLb0EESZ_EEDaSU_SV_EUlSU_E0_NS1_11comp_targetILNS1_3genE8ELNS1_11target_archE1030ELNS1_3gpuE2ELNS1_3repE0EEENS1_30default_config_static_selectorELNS0_4arch9wavefront6targetE0EEEvT1_,@function
_ZN7rocprim17ROCPRIM_400000_NS6detail17trampoline_kernelINS0_14default_configENS1_20scan_config_selectorIN3c107complexIfEEEEZZNS1_9scan_implILNS1_25lookback_scan_determinismE0ELb0ELb0ES3_PKS7_PS7_S7_ZZZN2at6native31launch_logcumsumexp_cuda_kernelERKNSE_10TensorBaseESI_lENKUlvE_clEvENKUlvE2_clEvEUlS7_S7_E_S7_EEDaPvRmT3_T4_T5_mT6_P12ihipStream_tbENKUlT_T0_E_clISt17integral_constantIbLb0EESZ_EEDaSU_SV_EUlSU_E0_NS1_11comp_targetILNS1_3genE8ELNS1_11target_archE1030ELNS1_3gpuE2ELNS1_3repE0EEENS1_30default_config_static_selectorELNS0_4arch9wavefront6targetE0EEEvT1_: ; @_ZN7rocprim17ROCPRIM_400000_NS6detail17trampoline_kernelINS0_14default_configENS1_20scan_config_selectorIN3c107complexIfEEEEZZNS1_9scan_implILNS1_25lookback_scan_determinismE0ELb0ELb0ES3_PKS7_PS7_S7_ZZZN2at6native31launch_logcumsumexp_cuda_kernelERKNSE_10TensorBaseESI_lENKUlvE_clEvENKUlvE2_clEvEUlS7_S7_E_S7_EEDaPvRmT3_T4_T5_mT6_P12ihipStream_tbENKUlT_T0_E_clISt17integral_constantIbLb0EESZ_EEDaSU_SV_EUlSU_E0_NS1_11comp_targetILNS1_3genE8ELNS1_11target_archE1030ELNS1_3gpuE2ELNS1_3repE0EEENS1_30default_config_static_selectorELNS0_4arch9wavefront6targetE0EEEvT1_
; %bb.0:
	.section	.rodata,"a",@progbits
	.p2align	6, 0x0
	.amdhsa_kernel _ZN7rocprim17ROCPRIM_400000_NS6detail17trampoline_kernelINS0_14default_configENS1_20scan_config_selectorIN3c107complexIfEEEEZZNS1_9scan_implILNS1_25lookback_scan_determinismE0ELb0ELb0ES3_PKS7_PS7_S7_ZZZN2at6native31launch_logcumsumexp_cuda_kernelERKNSE_10TensorBaseESI_lENKUlvE_clEvENKUlvE2_clEvEUlS7_S7_E_S7_EEDaPvRmT3_T4_T5_mT6_P12ihipStream_tbENKUlT_T0_E_clISt17integral_constantIbLb0EESZ_EEDaSU_SV_EUlSU_E0_NS1_11comp_targetILNS1_3genE8ELNS1_11target_archE1030ELNS1_3gpuE2ELNS1_3repE0EEENS1_30default_config_static_selectorELNS0_4arch9wavefront6targetE0EEEvT1_
		.amdhsa_group_segment_fixed_size 0
		.amdhsa_private_segment_fixed_size 0
		.amdhsa_kernarg_size 40
		.amdhsa_user_sgpr_count 15
		.amdhsa_user_sgpr_dispatch_ptr 0
		.amdhsa_user_sgpr_queue_ptr 0
		.amdhsa_user_sgpr_kernarg_segment_ptr 1
		.amdhsa_user_sgpr_dispatch_id 0
		.amdhsa_user_sgpr_private_segment_size 0
		.amdhsa_wavefront_size32 1
		.amdhsa_uses_dynamic_stack 0
		.amdhsa_enable_private_segment 0
		.amdhsa_system_sgpr_workgroup_id_x 1
		.amdhsa_system_sgpr_workgroup_id_y 0
		.amdhsa_system_sgpr_workgroup_id_z 0
		.amdhsa_system_sgpr_workgroup_info 0
		.amdhsa_system_vgpr_workitem_id 0
		.amdhsa_next_free_vgpr 1
		.amdhsa_next_free_sgpr 1
		.amdhsa_reserve_vcc 0
		.amdhsa_float_round_mode_32 0
		.amdhsa_float_round_mode_16_64 0
		.amdhsa_float_denorm_mode_32 3
		.amdhsa_float_denorm_mode_16_64 3
		.amdhsa_dx10_clamp 1
		.amdhsa_ieee_mode 1
		.amdhsa_fp16_overflow 0
		.amdhsa_workgroup_processor_mode 1
		.amdhsa_memory_ordered 1
		.amdhsa_forward_progress 0
		.amdhsa_shared_vgpr_count 0
		.amdhsa_exception_fp_ieee_invalid_op 0
		.amdhsa_exception_fp_denorm_src 0
		.amdhsa_exception_fp_ieee_div_zero 0
		.amdhsa_exception_fp_ieee_overflow 0
		.amdhsa_exception_fp_ieee_underflow 0
		.amdhsa_exception_fp_ieee_inexact 0
		.amdhsa_exception_int_div_zero 0
	.end_amdhsa_kernel
	.section	.text._ZN7rocprim17ROCPRIM_400000_NS6detail17trampoline_kernelINS0_14default_configENS1_20scan_config_selectorIN3c107complexIfEEEEZZNS1_9scan_implILNS1_25lookback_scan_determinismE0ELb0ELb0ES3_PKS7_PS7_S7_ZZZN2at6native31launch_logcumsumexp_cuda_kernelERKNSE_10TensorBaseESI_lENKUlvE_clEvENKUlvE2_clEvEUlS7_S7_E_S7_EEDaPvRmT3_T4_T5_mT6_P12ihipStream_tbENKUlT_T0_E_clISt17integral_constantIbLb0EESZ_EEDaSU_SV_EUlSU_E0_NS1_11comp_targetILNS1_3genE8ELNS1_11target_archE1030ELNS1_3gpuE2ELNS1_3repE0EEENS1_30default_config_static_selectorELNS0_4arch9wavefront6targetE0EEEvT1_,"axG",@progbits,_ZN7rocprim17ROCPRIM_400000_NS6detail17trampoline_kernelINS0_14default_configENS1_20scan_config_selectorIN3c107complexIfEEEEZZNS1_9scan_implILNS1_25lookback_scan_determinismE0ELb0ELb0ES3_PKS7_PS7_S7_ZZZN2at6native31launch_logcumsumexp_cuda_kernelERKNSE_10TensorBaseESI_lENKUlvE_clEvENKUlvE2_clEvEUlS7_S7_E_S7_EEDaPvRmT3_T4_T5_mT6_P12ihipStream_tbENKUlT_T0_E_clISt17integral_constantIbLb0EESZ_EEDaSU_SV_EUlSU_E0_NS1_11comp_targetILNS1_3genE8ELNS1_11target_archE1030ELNS1_3gpuE2ELNS1_3repE0EEENS1_30default_config_static_selectorELNS0_4arch9wavefront6targetE0EEEvT1_,comdat
.Lfunc_end293:
	.size	_ZN7rocprim17ROCPRIM_400000_NS6detail17trampoline_kernelINS0_14default_configENS1_20scan_config_selectorIN3c107complexIfEEEEZZNS1_9scan_implILNS1_25lookback_scan_determinismE0ELb0ELb0ES3_PKS7_PS7_S7_ZZZN2at6native31launch_logcumsumexp_cuda_kernelERKNSE_10TensorBaseESI_lENKUlvE_clEvENKUlvE2_clEvEUlS7_S7_E_S7_EEDaPvRmT3_T4_T5_mT6_P12ihipStream_tbENKUlT_T0_E_clISt17integral_constantIbLb0EESZ_EEDaSU_SV_EUlSU_E0_NS1_11comp_targetILNS1_3genE8ELNS1_11target_archE1030ELNS1_3gpuE2ELNS1_3repE0EEENS1_30default_config_static_selectorELNS0_4arch9wavefront6targetE0EEEvT1_, .Lfunc_end293-_ZN7rocprim17ROCPRIM_400000_NS6detail17trampoline_kernelINS0_14default_configENS1_20scan_config_selectorIN3c107complexIfEEEEZZNS1_9scan_implILNS1_25lookback_scan_determinismE0ELb0ELb0ES3_PKS7_PS7_S7_ZZZN2at6native31launch_logcumsumexp_cuda_kernelERKNSE_10TensorBaseESI_lENKUlvE_clEvENKUlvE2_clEvEUlS7_S7_E_S7_EEDaPvRmT3_T4_T5_mT6_P12ihipStream_tbENKUlT_T0_E_clISt17integral_constantIbLb0EESZ_EEDaSU_SV_EUlSU_E0_NS1_11comp_targetILNS1_3genE8ELNS1_11target_archE1030ELNS1_3gpuE2ELNS1_3repE0EEENS1_30default_config_static_selectorELNS0_4arch9wavefront6targetE0EEEvT1_
                                        ; -- End function
	.section	.AMDGPU.csdata,"",@progbits
; Kernel info:
; codeLenInByte = 0
; NumSgprs: 0
; NumVgprs: 0
; ScratchSize: 0
; MemoryBound: 0
; FloatMode: 240
; IeeeMode: 1
; LDSByteSize: 0 bytes/workgroup (compile time only)
; SGPRBlocks: 0
; VGPRBlocks: 0
; NumSGPRsForWavesPerEU: 1
; NumVGPRsForWavesPerEU: 1
; Occupancy: 16
; WaveLimiterHint : 0
; COMPUTE_PGM_RSRC2:SCRATCH_EN: 0
; COMPUTE_PGM_RSRC2:USER_SGPR: 15
; COMPUTE_PGM_RSRC2:TRAP_HANDLER: 0
; COMPUTE_PGM_RSRC2:TGID_X_EN: 1
; COMPUTE_PGM_RSRC2:TGID_Y_EN: 0
; COMPUTE_PGM_RSRC2:TGID_Z_EN: 0
; COMPUTE_PGM_RSRC2:TIDIG_COMP_CNT: 0
	.section	.text._ZN7rocprim17ROCPRIM_400000_NS6detail31init_lookback_scan_state_kernelINS1_19lookback_scan_stateIN3c107complexIfEELb1ELb1EEENS1_16block_id_wrapperIjLb1EEEEEvT_jT0_jPNSA_10value_typeE,"axG",@progbits,_ZN7rocprim17ROCPRIM_400000_NS6detail31init_lookback_scan_state_kernelINS1_19lookback_scan_stateIN3c107complexIfEELb1ELb1EEENS1_16block_id_wrapperIjLb1EEEEEvT_jT0_jPNSA_10value_typeE,comdat
	.protected	_ZN7rocprim17ROCPRIM_400000_NS6detail31init_lookback_scan_state_kernelINS1_19lookback_scan_stateIN3c107complexIfEELb1ELb1EEENS1_16block_id_wrapperIjLb1EEEEEvT_jT0_jPNSA_10value_typeE ; -- Begin function _ZN7rocprim17ROCPRIM_400000_NS6detail31init_lookback_scan_state_kernelINS1_19lookback_scan_stateIN3c107complexIfEELb1ELb1EEENS1_16block_id_wrapperIjLb1EEEEEvT_jT0_jPNSA_10value_typeE
	.globl	_ZN7rocprim17ROCPRIM_400000_NS6detail31init_lookback_scan_state_kernelINS1_19lookback_scan_stateIN3c107complexIfEELb1ELb1EEENS1_16block_id_wrapperIjLb1EEEEEvT_jT0_jPNSA_10value_typeE
	.p2align	8
	.type	_ZN7rocprim17ROCPRIM_400000_NS6detail31init_lookback_scan_state_kernelINS1_19lookback_scan_stateIN3c107complexIfEELb1ELb1EEENS1_16block_id_wrapperIjLb1EEEEEvT_jT0_jPNSA_10value_typeE,@function
_ZN7rocprim17ROCPRIM_400000_NS6detail31init_lookback_scan_state_kernelINS1_19lookback_scan_stateIN3c107complexIfEELb1ELb1EEENS1_16block_id_wrapperIjLb1EEEEEvT_jT0_jPNSA_10value_typeE: ; @_ZN7rocprim17ROCPRIM_400000_NS6detail31init_lookback_scan_state_kernelINS1_19lookback_scan_stateIN3c107complexIfEELb1ELb1EEENS1_16block_id_wrapperIjLb1EEEEEvT_jT0_jPNSA_10value_typeE
; %bb.0:
	s_clause 0x3
	s_load_b32 s6, s[0:1], 0x34
	s_load_b64 s[4:5], s[0:1], 0x20
	s_load_b64 s[2:3], s[0:1], 0x0
	s_load_b32 s8, s[0:1], 0x8
	s_waitcnt lgkmcnt(0)
	s_and_b32 s6, s6, 0xffff
	s_cmp_eq_u64 s[4:5], 0
	v_mad_u64_u32 v[1:2], null, s15, s6, v[0:1]
	s_cbranch_scc1 .LBB294_10
; %bb.1:
	s_load_b32 s6, s[0:1], 0x18
	s_waitcnt lgkmcnt(0)
	s_cmp_lt_u32 s6, s8
	s_cselect_b32 s7, s6, 0
	s_delay_alu instid0(VALU_DEP_1) | instid1(SALU_CYCLE_1)
	v_cmp_eq_u32_e32 vcc_lo, s7, v1
	s_mov_b32 s7, 0
	s_and_saveexec_b32 s9, vcc_lo
	s_cbranch_execz .LBB294_9
; %bb.2:
	s_add_i32 s6, s6, 32
	s_mov_b32 s10, exec_lo
	s_lshl_b64 s[6:7], s[6:7], 4
	v_mov_b32_e32 v6, 0
	s_add_u32 s6, s2, s6
	s_addc_u32 s7, s3, s7
	s_delay_alu instid0(SALU_CYCLE_1) | instskip(SKIP_2) | instid1(VALU_DEP_1)
	v_dual_mov_b32 v2, s6 :: v_dual_mov_b32 v3, s7
	;;#ASMSTART
	global_load_dwordx4 v[2:5], v[2:3] off glc	
s_waitcnt vmcnt(0)
	;;#ASMEND
	v_and_b32_e32 v5, 0xff, v4
	v_cmpx_eq_u64_e32 0, v[5:6]
	s_cbranch_execz .LBB294_8
; %bb.3:
	v_dual_mov_b32 v8, s7 :: v_dual_mov_b32 v7, s6
	s_mov_b32 s7, 1
	s_mov_b32 s6, 0
	.p2align	6
.LBB294_4:                              ; =>This Loop Header: Depth=1
                                        ;     Child Loop BB294_5 Depth 2
	s_max_u32 s11, s7, 1
.LBB294_5:                              ;   Parent Loop BB294_4 Depth=1
                                        ; =>  This Inner Loop Header: Depth=2
	s_delay_alu instid0(SALU_CYCLE_1)
	s_add_i32 s11, s11, -1
	s_sleep 1
	s_cmp_eq_u32 s11, 0
	s_cbranch_scc0 .LBB294_5
; %bb.6:                                ;   in Loop: Header=BB294_4 Depth=1
	;;#ASMSTART
	global_load_dwordx4 v[2:5], v[7:8] off glc	
s_waitcnt vmcnt(0)
	;;#ASMEND
	v_and_b32_e32 v5, 0xff, v4
	s_cmp_lt_u32 s7, 32
	s_cselect_b32 s11, -1, 0
	s_delay_alu instid0(SALU_CYCLE_1) | instskip(NEXT) | instid1(VALU_DEP_1)
	s_cmp_lg_u32 s11, 0
	v_cmp_ne_u64_e32 vcc_lo, 0, v[5:6]
	s_addc_u32 s7, s7, 0
	s_or_b32 s6, vcc_lo, s6
	s_delay_alu instid0(SALU_CYCLE_1)
	s_and_not1_b32 exec_lo, exec_lo, s6
	s_cbranch_execnz .LBB294_4
; %bb.7:
	s_or_b32 exec_lo, exec_lo, s6
.LBB294_8:
	s_delay_alu instid0(SALU_CYCLE_1)
	s_or_b32 exec_lo, exec_lo, s10
	v_mov_b32_e32 v0, 0
	global_store_b64 v0, v[2:3], s[4:5]
.LBB294_9:
	s_or_b32 exec_lo, exec_lo, s9
.LBB294_10:
	s_delay_alu instid0(SALU_CYCLE_1) | instskip(NEXT) | instid1(VALU_DEP_1)
	s_mov_b32 s4, exec_lo
	v_cmpx_eq_u32_e32 0, v1
	s_cbranch_execz .LBB294_12
; %bb.11:
	s_load_b64 s[0:1], s[0:1], 0x10
	v_mov_b32_e32 v0, 0
	s_waitcnt lgkmcnt(0)
	global_store_b32 v0, v0, s[0:1]
.LBB294_12:
	s_or_b32 exec_lo, exec_lo, s4
	s_delay_alu instid0(SALU_CYCLE_1)
	s_mov_b32 s0, exec_lo
	v_cmpx_gt_u32_e64 s8, v1
	s_cbranch_execz .LBB294_14
; %bb.13:
	v_dual_mov_b32 v3, 0 :: v_dual_add_nc_u32 v2, 32, v1
	s_delay_alu instid0(VALU_DEP_1) | instskip(SKIP_2) | instid1(VALU_DEP_3)
	v_lshlrev_b64 v[5:6], 4, v[2:3]
	v_mov_b32_e32 v2, v3
	v_mov_b32_e32 v4, v3
	v_add_co_u32 v7, vcc_lo, s2, v5
	s_delay_alu instid0(VALU_DEP_4)
	v_add_co_ci_u32_e32 v8, vcc_lo, s3, v6, vcc_lo
	v_mov_b32_e32 v5, v3
	global_store_b128 v[7:8], v[2:5], off
.LBB294_14:
	s_or_b32 exec_lo, exec_lo, s0
	s_delay_alu instid0(SALU_CYCLE_1)
	s_mov_b32 s0, exec_lo
	v_cmpx_gt_u32_e32 32, v1
	s_cbranch_execz .LBB294_16
; %bb.15:
	v_dual_mov_b32 v2, 0 :: v_dual_mov_b32 v3, 0xff
	s_delay_alu instid0(VALU_DEP_1) | instskip(SKIP_1) | instid1(VALU_DEP_2)
	v_lshlrev_b64 v[4:5], 4, v[1:2]
	v_mov_b32_e32 v1, v2
	v_add_co_u32 v6, vcc_lo, s2, v4
	s_delay_alu instid0(VALU_DEP_3)
	v_add_co_ci_u32_e32 v7, vcc_lo, s3, v5, vcc_lo
	v_mov_b32_e32 v4, v2
	global_store_b128 v[6:7], v[1:4], off
.LBB294_16:
	s_nop 0
	s_sendmsg sendmsg(MSG_DEALLOC_VGPRS)
	s_endpgm
	.section	.rodata,"a",@progbits
	.p2align	6, 0x0
	.amdhsa_kernel _ZN7rocprim17ROCPRIM_400000_NS6detail31init_lookback_scan_state_kernelINS1_19lookback_scan_stateIN3c107complexIfEELb1ELb1EEENS1_16block_id_wrapperIjLb1EEEEEvT_jT0_jPNSA_10value_typeE
		.amdhsa_group_segment_fixed_size 0
		.amdhsa_private_segment_fixed_size 0
		.amdhsa_kernarg_size 296
		.amdhsa_user_sgpr_count 15
		.amdhsa_user_sgpr_dispatch_ptr 0
		.amdhsa_user_sgpr_queue_ptr 0
		.amdhsa_user_sgpr_kernarg_segment_ptr 1
		.amdhsa_user_sgpr_dispatch_id 0
		.amdhsa_user_sgpr_private_segment_size 0
		.amdhsa_wavefront_size32 1
		.amdhsa_uses_dynamic_stack 0
		.amdhsa_enable_private_segment 0
		.amdhsa_system_sgpr_workgroup_id_x 1
		.amdhsa_system_sgpr_workgroup_id_y 0
		.amdhsa_system_sgpr_workgroup_id_z 0
		.amdhsa_system_sgpr_workgroup_info 0
		.amdhsa_system_vgpr_workitem_id 0
		.amdhsa_next_free_vgpr 9
		.amdhsa_next_free_sgpr 16
		.amdhsa_reserve_vcc 1
		.amdhsa_float_round_mode_32 0
		.amdhsa_float_round_mode_16_64 0
		.amdhsa_float_denorm_mode_32 3
		.amdhsa_float_denorm_mode_16_64 3
		.amdhsa_dx10_clamp 1
		.amdhsa_ieee_mode 1
		.amdhsa_fp16_overflow 0
		.amdhsa_workgroup_processor_mode 1
		.amdhsa_memory_ordered 1
		.amdhsa_forward_progress 0
		.amdhsa_shared_vgpr_count 0
		.amdhsa_exception_fp_ieee_invalid_op 0
		.amdhsa_exception_fp_denorm_src 0
		.amdhsa_exception_fp_ieee_div_zero 0
		.amdhsa_exception_fp_ieee_overflow 0
		.amdhsa_exception_fp_ieee_underflow 0
		.amdhsa_exception_fp_ieee_inexact 0
		.amdhsa_exception_int_div_zero 0
	.end_amdhsa_kernel
	.section	.text._ZN7rocprim17ROCPRIM_400000_NS6detail31init_lookback_scan_state_kernelINS1_19lookback_scan_stateIN3c107complexIfEELb1ELb1EEENS1_16block_id_wrapperIjLb1EEEEEvT_jT0_jPNSA_10value_typeE,"axG",@progbits,_ZN7rocprim17ROCPRIM_400000_NS6detail31init_lookback_scan_state_kernelINS1_19lookback_scan_stateIN3c107complexIfEELb1ELb1EEENS1_16block_id_wrapperIjLb1EEEEEvT_jT0_jPNSA_10value_typeE,comdat
.Lfunc_end294:
	.size	_ZN7rocprim17ROCPRIM_400000_NS6detail31init_lookback_scan_state_kernelINS1_19lookback_scan_stateIN3c107complexIfEELb1ELb1EEENS1_16block_id_wrapperIjLb1EEEEEvT_jT0_jPNSA_10value_typeE, .Lfunc_end294-_ZN7rocprim17ROCPRIM_400000_NS6detail31init_lookback_scan_state_kernelINS1_19lookback_scan_stateIN3c107complexIfEELb1ELb1EEENS1_16block_id_wrapperIjLb1EEEEEvT_jT0_jPNSA_10value_typeE
                                        ; -- End function
	.section	.AMDGPU.csdata,"",@progbits
; Kernel info:
; codeLenInByte = 560
; NumSgprs: 18
; NumVgprs: 9
; ScratchSize: 0
; MemoryBound: 0
; FloatMode: 240
; IeeeMode: 1
; LDSByteSize: 0 bytes/workgroup (compile time only)
; SGPRBlocks: 2
; VGPRBlocks: 1
; NumSGPRsForWavesPerEU: 18
; NumVGPRsForWavesPerEU: 9
; Occupancy: 16
; WaveLimiterHint : 0
; COMPUTE_PGM_RSRC2:SCRATCH_EN: 0
; COMPUTE_PGM_RSRC2:USER_SGPR: 15
; COMPUTE_PGM_RSRC2:TRAP_HANDLER: 0
; COMPUTE_PGM_RSRC2:TGID_X_EN: 1
; COMPUTE_PGM_RSRC2:TGID_Y_EN: 0
; COMPUTE_PGM_RSRC2:TGID_Z_EN: 0
; COMPUTE_PGM_RSRC2:TIDIG_COMP_CNT: 0
	.section	.text._ZN7rocprim17ROCPRIM_400000_NS6detail17trampoline_kernelINS0_14default_configENS1_20scan_config_selectorIN3c107complexIfEEEEZZNS1_9scan_implILNS1_25lookback_scan_determinismE0ELb0ELb0ES3_PKS7_PS7_S7_ZZZN2at6native31launch_logcumsumexp_cuda_kernelERKNSE_10TensorBaseESI_lENKUlvE_clEvENKUlvE2_clEvEUlS7_S7_E_S7_EEDaPvRmT3_T4_T5_mT6_P12ihipStream_tbENKUlT_T0_E_clISt17integral_constantIbLb1EESZ_EEDaSU_SV_EUlSU_E_NS1_11comp_targetILNS1_3genE0ELNS1_11target_archE4294967295ELNS1_3gpuE0ELNS1_3repE0EEENS1_30default_config_static_selectorELNS0_4arch9wavefront6targetE0EEEvT1_,"axG",@progbits,_ZN7rocprim17ROCPRIM_400000_NS6detail17trampoline_kernelINS0_14default_configENS1_20scan_config_selectorIN3c107complexIfEEEEZZNS1_9scan_implILNS1_25lookback_scan_determinismE0ELb0ELb0ES3_PKS7_PS7_S7_ZZZN2at6native31launch_logcumsumexp_cuda_kernelERKNSE_10TensorBaseESI_lENKUlvE_clEvENKUlvE2_clEvEUlS7_S7_E_S7_EEDaPvRmT3_T4_T5_mT6_P12ihipStream_tbENKUlT_T0_E_clISt17integral_constantIbLb1EESZ_EEDaSU_SV_EUlSU_E_NS1_11comp_targetILNS1_3genE0ELNS1_11target_archE4294967295ELNS1_3gpuE0ELNS1_3repE0EEENS1_30default_config_static_selectorELNS0_4arch9wavefront6targetE0EEEvT1_,comdat
	.globl	_ZN7rocprim17ROCPRIM_400000_NS6detail17trampoline_kernelINS0_14default_configENS1_20scan_config_selectorIN3c107complexIfEEEEZZNS1_9scan_implILNS1_25lookback_scan_determinismE0ELb0ELb0ES3_PKS7_PS7_S7_ZZZN2at6native31launch_logcumsumexp_cuda_kernelERKNSE_10TensorBaseESI_lENKUlvE_clEvENKUlvE2_clEvEUlS7_S7_E_S7_EEDaPvRmT3_T4_T5_mT6_P12ihipStream_tbENKUlT_T0_E_clISt17integral_constantIbLb1EESZ_EEDaSU_SV_EUlSU_E_NS1_11comp_targetILNS1_3genE0ELNS1_11target_archE4294967295ELNS1_3gpuE0ELNS1_3repE0EEENS1_30default_config_static_selectorELNS0_4arch9wavefront6targetE0EEEvT1_ ; -- Begin function _ZN7rocprim17ROCPRIM_400000_NS6detail17trampoline_kernelINS0_14default_configENS1_20scan_config_selectorIN3c107complexIfEEEEZZNS1_9scan_implILNS1_25lookback_scan_determinismE0ELb0ELb0ES3_PKS7_PS7_S7_ZZZN2at6native31launch_logcumsumexp_cuda_kernelERKNSE_10TensorBaseESI_lENKUlvE_clEvENKUlvE2_clEvEUlS7_S7_E_S7_EEDaPvRmT3_T4_T5_mT6_P12ihipStream_tbENKUlT_T0_E_clISt17integral_constantIbLb1EESZ_EEDaSU_SV_EUlSU_E_NS1_11comp_targetILNS1_3genE0ELNS1_11target_archE4294967295ELNS1_3gpuE0ELNS1_3repE0EEENS1_30default_config_static_selectorELNS0_4arch9wavefront6targetE0EEEvT1_
	.p2align	8
	.type	_ZN7rocprim17ROCPRIM_400000_NS6detail17trampoline_kernelINS0_14default_configENS1_20scan_config_selectorIN3c107complexIfEEEEZZNS1_9scan_implILNS1_25lookback_scan_determinismE0ELb0ELb0ES3_PKS7_PS7_S7_ZZZN2at6native31launch_logcumsumexp_cuda_kernelERKNSE_10TensorBaseESI_lENKUlvE_clEvENKUlvE2_clEvEUlS7_S7_E_S7_EEDaPvRmT3_T4_T5_mT6_P12ihipStream_tbENKUlT_T0_E_clISt17integral_constantIbLb1EESZ_EEDaSU_SV_EUlSU_E_NS1_11comp_targetILNS1_3genE0ELNS1_11target_archE4294967295ELNS1_3gpuE0ELNS1_3repE0EEENS1_30default_config_static_selectorELNS0_4arch9wavefront6targetE0EEEvT1_,@function
_ZN7rocprim17ROCPRIM_400000_NS6detail17trampoline_kernelINS0_14default_configENS1_20scan_config_selectorIN3c107complexIfEEEEZZNS1_9scan_implILNS1_25lookback_scan_determinismE0ELb0ELb0ES3_PKS7_PS7_S7_ZZZN2at6native31launch_logcumsumexp_cuda_kernelERKNSE_10TensorBaseESI_lENKUlvE_clEvENKUlvE2_clEvEUlS7_S7_E_S7_EEDaPvRmT3_T4_T5_mT6_P12ihipStream_tbENKUlT_T0_E_clISt17integral_constantIbLb1EESZ_EEDaSU_SV_EUlSU_E_NS1_11comp_targetILNS1_3genE0ELNS1_11target_archE4294967295ELNS1_3gpuE0ELNS1_3repE0EEENS1_30default_config_static_selectorELNS0_4arch9wavefront6targetE0EEEvT1_: ; @_ZN7rocprim17ROCPRIM_400000_NS6detail17trampoline_kernelINS0_14default_configENS1_20scan_config_selectorIN3c107complexIfEEEEZZNS1_9scan_implILNS1_25lookback_scan_determinismE0ELb0ELb0ES3_PKS7_PS7_S7_ZZZN2at6native31launch_logcumsumexp_cuda_kernelERKNSE_10TensorBaseESI_lENKUlvE_clEvENKUlvE2_clEvEUlS7_S7_E_S7_EEDaPvRmT3_T4_T5_mT6_P12ihipStream_tbENKUlT_T0_E_clISt17integral_constantIbLb1EESZ_EEDaSU_SV_EUlSU_E_NS1_11comp_targetILNS1_3genE0ELNS1_11target_archE4294967295ELNS1_3gpuE0ELNS1_3repE0EEENS1_30default_config_static_selectorELNS0_4arch9wavefront6targetE0EEEvT1_
; %bb.0:
	.section	.rodata,"a",@progbits
	.p2align	6, 0x0
	.amdhsa_kernel _ZN7rocprim17ROCPRIM_400000_NS6detail17trampoline_kernelINS0_14default_configENS1_20scan_config_selectorIN3c107complexIfEEEEZZNS1_9scan_implILNS1_25lookback_scan_determinismE0ELb0ELb0ES3_PKS7_PS7_S7_ZZZN2at6native31launch_logcumsumexp_cuda_kernelERKNSE_10TensorBaseESI_lENKUlvE_clEvENKUlvE2_clEvEUlS7_S7_E_S7_EEDaPvRmT3_T4_T5_mT6_P12ihipStream_tbENKUlT_T0_E_clISt17integral_constantIbLb1EESZ_EEDaSU_SV_EUlSU_E_NS1_11comp_targetILNS1_3genE0ELNS1_11target_archE4294967295ELNS1_3gpuE0ELNS1_3repE0EEENS1_30default_config_static_selectorELNS0_4arch9wavefront6targetE0EEEvT1_
		.amdhsa_group_segment_fixed_size 0
		.amdhsa_private_segment_fixed_size 0
		.amdhsa_kernarg_size 104
		.amdhsa_user_sgpr_count 15
		.amdhsa_user_sgpr_dispatch_ptr 0
		.amdhsa_user_sgpr_queue_ptr 0
		.amdhsa_user_sgpr_kernarg_segment_ptr 1
		.amdhsa_user_sgpr_dispatch_id 0
		.amdhsa_user_sgpr_private_segment_size 0
		.amdhsa_wavefront_size32 1
		.amdhsa_uses_dynamic_stack 0
		.amdhsa_enable_private_segment 0
		.amdhsa_system_sgpr_workgroup_id_x 1
		.amdhsa_system_sgpr_workgroup_id_y 0
		.amdhsa_system_sgpr_workgroup_id_z 0
		.amdhsa_system_sgpr_workgroup_info 0
		.amdhsa_system_vgpr_workitem_id 0
		.amdhsa_next_free_vgpr 1
		.amdhsa_next_free_sgpr 1
		.amdhsa_reserve_vcc 0
		.amdhsa_float_round_mode_32 0
		.amdhsa_float_round_mode_16_64 0
		.amdhsa_float_denorm_mode_32 3
		.amdhsa_float_denorm_mode_16_64 3
		.amdhsa_dx10_clamp 1
		.amdhsa_ieee_mode 1
		.amdhsa_fp16_overflow 0
		.amdhsa_workgroup_processor_mode 1
		.amdhsa_memory_ordered 1
		.amdhsa_forward_progress 0
		.amdhsa_shared_vgpr_count 0
		.amdhsa_exception_fp_ieee_invalid_op 0
		.amdhsa_exception_fp_denorm_src 0
		.amdhsa_exception_fp_ieee_div_zero 0
		.amdhsa_exception_fp_ieee_overflow 0
		.amdhsa_exception_fp_ieee_underflow 0
		.amdhsa_exception_fp_ieee_inexact 0
		.amdhsa_exception_int_div_zero 0
	.end_amdhsa_kernel
	.section	.text._ZN7rocprim17ROCPRIM_400000_NS6detail17trampoline_kernelINS0_14default_configENS1_20scan_config_selectorIN3c107complexIfEEEEZZNS1_9scan_implILNS1_25lookback_scan_determinismE0ELb0ELb0ES3_PKS7_PS7_S7_ZZZN2at6native31launch_logcumsumexp_cuda_kernelERKNSE_10TensorBaseESI_lENKUlvE_clEvENKUlvE2_clEvEUlS7_S7_E_S7_EEDaPvRmT3_T4_T5_mT6_P12ihipStream_tbENKUlT_T0_E_clISt17integral_constantIbLb1EESZ_EEDaSU_SV_EUlSU_E_NS1_11comp_targetILNS1_3genE0ELNS1_11target_archE4294967295ELNS1_3gpuE0ELNS1_3repE0EEENS1_30default_config_static_selectorELNS0_4arch9wavefront6targetE0EEEvT1_,"axG",@progbits,_ZN7rocprim17ROCPRIM_400000_NS6detail17trampoline_kernelINS0_14default_configENS1_20scan_config_selectorIN3c107complexIfEEEEZZNS1_9scan_implILNS1_25lookback_scan_determinismE0ELb0ELb0ES3_PKS7_PS7_S7_ZZZN2at6native31launch_logcumsumexp_cuda_kernelERKNSE_10TensorBaseESI_lENKUlvE_clEvENKUlvE2_clEvEUlS7_S7_E_S7_EEDaPvRmT3_T4_T5_mT6_P12ihipStream_tbENKUlT_T0_E_clISt17integral_constantIbLb1EESZ_EEDaSU_SV_EUlSU_E_NS1_11comp_targetILNS1_3genE0ELNS1_11target_archE4294967295ELNS1_3gpuE0ELNS1_3repE0EEENS1_30default_config_static_selectorELNS0_4arch9wavefront6targetE0EEEvT1_,comdat
.Lfunc_end295:
	.size	_ZN7rocprim17ROCPRIM_400000_NS6detail17trampoline_kernelINS0_14default_configENS1_20scan_config_selectorIN3c107complexIfEEEEZZNS1_9scan_implILNS1_25lookback_scan_determinismE0ELb0ELb0ES3_PKS7_PS7_S7_ZZZN2at6native31launch_logcumsumexp_cuda_kernelERKNSE_10TensorBaseESI_lENKUlvE_clEvENKUlvE2_clEvEUlS7_S7_E_S7_EEDaPvRmT3_T4_T5_mT6_P12ihipStream_tbENKUlT_T0_E_clISt17integral_constantIbLb1EESZ_EEDaSU_SV_EUlSU_E_NS1_11comp_targetILNS1_3genE0ELNS1_11target_archE4294967295ELNS1_3gpuE0ELNS1_3repE0EEENS1_30default_config_static_selectorELNS0_4arch9wavefront6targetE0EEEvT1_, .Lfunc_end295-_ZN7rocprim17ROCPRIM_400000_NS6detail17trampoline_kernelINS0_14default_configENS1_20scan_config_selectorIN3c107complexIfEEEEZZNS1_9scan_implILNS1_25lookback_scan_determinismE0ELb0ELb0ES3_PKS7_PS7_S7_ZZZN2at6native31launch_logcumsumexp_cuda_kernelERKNSE_10TensorBaseESI_lENKUlvE_clEvENKUlvE2_clEvEUlS7_S7_E_S7_EEDaPvRmT3_T4_T5_mT6_P12ihipStream_tbENKUlT_T0_E_clISt17integral_constantIbLb1EESZ_EEDaSU_SV_EUlSU_E_NS1_11comp_targetILNS1_3genE0ELNS1_11target_archE4294967295ELNS1_3gpuE0ELNS1_3repE0EEENS1_30default_config_static_selectorELNS0_4arch9wavefront6targetE0EEEvT1_
                                        ; -- End function
	.section	.AMDGPU.csdata,"",@progbits
; Kernel info:
; codeLenInByte = 0
; NumSgprs: 0
; NumVgprs: 0
; ScratchSize: 0
; MemoryBound: 0
; FloatMode: 240
; IeeeMode: 1
; LDSByteSize: 0 bytes/workgroup (compile time only)
; SGPRBlocks: 0
; VGPRBlocks: 0
; NumSGPRsForWavesPerEU: 1
; NumVGPRsForWavesPerEU: 1
; Occupancy: 16
; WaveLimiterHint : 0
; COMPUTE_PGM_RSRC2:SCRATCH_EN: 0
; COMPUTE_PGM_RSRC2:USER_SGPR: 15
; COMPUTE_PGM_RSRC2:TRAP_HANDLER: 0
; COMPUTE_PGM_RSRC2:TGID_X_EN: 1
; COMPUTE_PGM_RSRC2:TGID_Y_EN: 0
; COMPUTE_PGM_RSRC2:TGID_Z_EN: 0
; COMPUTE_PGM_RSRC2:TIDIG_COMP_CNT: 0
	.section	.text._ZN7rocprim17ROCPRIM_400000_NS6detail17trampoline_kernelINS0_14default_configENS1_20scan_config_selectorIN3c107complexIfEEEEZZNS1_9scan_implILNS1_25lookback_scan_determinismE0ELb0ELb0ES3_PKS7_PS7_S7_ZZZN2at6native31launch_logcumsumexp_cuda_kernelERKNSE_10TensorBaseESI_lENKUlvE_clEvENKUlvE2_clEvEUlS7_S7_E_S7_EEDaPvRmT3_T4_T5_mT6_P12ihipStream_tbENKUlT_T0_E_clISt17integral_constantIbLb1EESZ_EEDaSU_SV_EUlSU_E_NS1_11comp_targetILNS1_3genE5ELNS1_11target_archE942ELNS1_3gpuE9ELNS1_3repE0EEENS1_30default_config_static_selectorELNS0_4arch9wavefront6targetE0EEEvT1_,"axG",@progbits,_ZN7rocprim17ROCPRIM_400000_NS6detail17trampoline_kernelINS0_14default_configENS1_20scan_config_selectorIN3c107complexIfEEEEZZNS1_9scan_implILNS1_25lookback_scan_determinismE0ELb0ELb0ES3_PKS7_PS7_S7_ZZZN2at6native31launch_logcumsumexp_cuda_kernelERKNSE_10TensorBaseESI_lENKUlvE_clEvENKUlvE2_clEvEUlS7_S7_E_S7_EEDaPvRmT3_T4_T5_mT6_P12ihipStream_tbENKUlT_T0_E_clISt17integral_constantIbLb1EESZ_EEDaSU_SV_EUlSU_E_NS1_11comp_targetILNS1_3genE5ELNS1_11target_archE942ELNS1_3gpuE9ELNS1_3repE0EEENS1_30default_config_static_selectorELNS0_4arch9wavefront6targetE0EEEvT1_,comdat
	.globl	_ZN7rocprim17ROCPRIM_400000_NS6detail17trampoline_kernelINS0_14default_configENS1_20scan_config_selectorIN3c107complexIfEEEEZZNS1_9scan_implILNS1_25lookback_scan_determinismE0ELb0ELb0ES3_PKS7_PS7_S7_ZZZN2at6native31launch_logcumsumexp_cuda_kernelERKNSE_10TensorBaseESI_lENKUlvE_clEvENKUlvE2_clEvEUlS7_S7_E_S7_EEDaPvRmT3_T4_T5_mT6_P12ihipStream_tbENKUlT_T0_E_clISt17integral_constantIbLb1EESZ_EEDaSU_SV_EUlSU_E_NS1_11comp_targetILNS1_3genE5ELNS1_11target_archE942ELNS1_3gpuE9ELNS1_3repE0EEENS1_30default_config_static_selectorELNS0_4arch9wavefront6targetE0EEEvT1_ ; -- Begin function _ZN7rocprim17ROCPRIM_400000_NS6detail17trampoline_kernelINS0_14default_configENS1_20scan_config_selectorIN3c107complexIfEEEEZZNS1_9scan_implILNS1_25lookback_scan_determinismE0ELb0ELb0ES3_PKS7_PS7_S7_ZZZN2at6native31launch_logcumsumexp_cuda_kernelERKNSE_10TensorBaseESI_lENKUlvE_clEvENKUlvE2_clEvEUlS7_S7_E_S7_EEDaPvRmT3_T4_T5_mT6_P12ihipStream_tbENKUlT_T0_E_clISt17integral_constantIbLb1EESZ_EEDaSU_SV_EUlSU_E_NS1_11comp_targetILNS1_3genE5ELNS1_11target_archE942ELNS1_3gpuE9ELNS1_3repE0EEENS1_30default_config_static_selectorELNS0_4arch9wavefront6targetE0EEEvT1_
	.p2align	8
	.type	_ZN7rocprim17ROCPRIM_400000_NS6detail17trampoline_kernelINS0_14default_configENS1_20scan_config_selectorIN3c107complexIfEEEEZZNS1_9scan_implILNS1_25lookback_scan_determinismE0ELb0ELb0ES3_PKS7_PS7_S7_ZZZN2at6native31launch_logcumsumexp_cuda_kernelERKNSE_10TensorBaseESI_lENKUlvE_clEvENKUlvE2_clEvEUlS7_S7_E_S7_EEDaPvRmT3_T4_T5_mT6_P12ihipStream_tbENKUlT_T0_E_clISt17integral_constantIbLb1EESZ_EEDaSU_SV_EUlSU_E_NS1_11comp_targetILNS1_3genE5ELNS1_11target_archE942ELNS1_3gpuE9ELNS1_3repE0EEENS1_30default_config_static_selectorELNS0_4arch9wavefront6targetE0EEEvT1_,@function
_ZN7rocprim17ROCPRIM_400000_NS6detail17trampoline_kernelINS0_14default_configENS1_20scan_config_selectorIN3c107complexIfEEEEZZNS1_9scan_implILNS1_25lookback_scan_determinismE0ELb0ELb0ES3_PKS7_PS7_S7_ZZZN2at6native31launch_logcumsumexp_cuda_kernelERKNSE_10TensorBaseESI_lENKUlvE_clEvENKUlvE2_clEvEUlS7_S7_E_S7_EEDaPvRmT3_T4_T5_mT6_P12ihipStream_tbENKUlT_T0_E_clISt17integral_constantIbLb1EESZ_EEDaSU_SV_EUlSU_E_NS1_11comp_targetILNS1_3genE5ELNS1_11target_archE942ELNS1_3gpuE9ELNS1_3repE0EEENS1_30default_config_static_selectorELNS0_4arch9wavefront6targetE0EEEvT1_: ; @_ZN7rocprim17ROCPRIM_400000_NS6detail17trampoline_kernelINS0_14default_configENS1_20scan_config_selectorIN3c107complexIfEEEEZZNS1_9scan_implILNS1_25lookback_scan_determinismE0ELb0ELb0ES3_PKS7_PS7_S7_ZZZN2at6native31launch_logcumsumexp_cuda_kernelERKNSE_10TensorBaseESI_lENKUlvE_clEvENKUlvE2_clEvEUlS7_S7_E_S7_EEDaPvRmT3_T4_T5_mT6_P12ihipStream_tbENKUlT_T0_E_clISt17integral_constantIbLb1EESZ_EEDaSU_SV_EUlSU_E_NS1_11comp_targetILNS1_3genE5ELNS1_11target_archE942ELNS1_3gpuE9ELNS1_3repE0EEENS1_30default_config_static_selectorELNS0_4arch9wavefront6targetE0EEEvT1_
; %bb.0:
	.section	.rodata,"a",@progbits
	.p2align	6, 0x0
	.amdhsa_kernel _ZN7rocprim17ROCPRIM_400000_NS6detail17trampoline_kernelINS0_14default_configENS1_20scan_config_selectorIN3c107complexIfEEEEZZNS1_9scan_implILNS1_25lookback_scan_determinismE0ELb0ELb0ES3_PKS7_PS7_S7_ZZZN2at6native31launch_logcumsumexp_cuda_kernelERKNSE_10TensorBaseESI_lENKUlvE_clEvENKUlvE2_clEvEUlS7_S7_E_S7_EEDaPvRmT3_T4_T5_mT6_P12ihipStream_tbENKUlT_T0_E_clISt17integral_constantIbLb1EESZ_EEDaSU_SV_EUlSU_E_NS1_11comp_targetILNS1_3genE5ELNS1_11target_archE942ELNS1_3gpuE9ELNS1_3repE0EEENS1_30default_config_static_selectorELNS0_4arch9wavefront6targetE0EEEvT1_
		.amdhsa_group_segment_fixed_size 0
		.amdhsa_private_segment_fixed_size 0
		.amdhsa_kernarg_size 104
		.amdhsa_user_sgpr_count 15
		.amdhsa_user_sgpr_dispatch_ptr 0
		.amdhsa_user_sgpr_queue_ptr 0
		.amdhsa_user_sgpr_kernarg_segment_ptr 1
		.amdhsa_user_sgpr_dispatch_id 0
		.amdhsa_user_sgpr_private_segment_size 0
		.amdhsa_wavefront_size32 1
		.amdhsa_uses_dynamic_stack 0
		.amdhsa_enable_private_segment 0
		.amdhsa_system_sgpr_workgroup_id_x 1
		.amdhsa_system_sgpr_workgroup_id_y 0
		.amdhsa_system_sgpr_workgroup_id_z 0
		.amdhsa_system_sgpr_workgroup_info 0
		.amdhsa_system_vgpr_workitem_id 0
		.amdhsa_next_free_vgpr 1
		.amdhsa_next_free_sgpr 1
		.amdhsa_reserve_vcc 0
		.amdhsa_float_round_mode_32 0
		.amdhsa_float_round_mode_16_64 0
		.amdhsa_float_denorm_mode_32 3
		.amdhsa_float_denorm_mode_16_64 3
		.amdhsa_dx10_clamp 1
		.amdhsa_ieee_mode 1
		.amdhsa_fp16_overflow 0
		.amdhsa_workgroup_processor_mode 1
		.amdhsa_memory_ordered 1
		.amdhsa_forward_progress 0
		.amdhsa_shared_vgpr_count 0
		.amdhsa_exception_fp_ieee_invalid_op 0
		.amdhsa_exception_fp_denorm_src 0
		.amdhsa_exception_fp_ieee_div_zero 0
		.amdhsa_exception_fp_ieee_overflow 0
		.amdhsa_exception_fp_ieee_underflow 0
		.amdhsa_exception_fp_ieee_inexact 0
		.amdhsa_exception_int_div_zero 0
	.end_amdhsa_kernel
	.section	.text._ZN7rocprim17ROCPRIM_400000_NS6detail17trampoline_kernelINS0_14default_configENS1_20scan_config_selectorIN3c107complexIfEEEEZZNS1_9scan_implILNS1_25lookback_scan_determinismE0ELb0ELb0ES3_PKS7_PS7_S7_ZZZN2at6native31launch_logcumsumexp_cuda_kernelERKNSE_10TensorBaseESI_lENKUlvE_clEvENKUlvE2_clEvEUlS7_S7_E_S7_EEDaPvRmT3_T4_T5_mT6_P12ihipStream_tbENKUlT_T0_E_clISt17integral_constantIbLb1EESZ_EEDaSU_SV_EUlSU_E_NS1_11comp_targetILNS1_3genE5ELNS1_11target_archE942ELNS1_3gpuE9ELNS1_3repE0EEENS1_30default_config_static_selectorELNS0_4arch9wavefront6targetE0EEEvT1_,"axG",@progbits,_ZN7rocprim17ROCPRIM_400000_NS6detail17trampoline_kernelINS0_14default_configENS1_20scan_config_selectorIN3c107complexIfEEEEZZNS1_9scan_implILNS1_25lookback_scan_determinismE0ELb0ELb0ES3_PKS7_PS7_S7_ZZZN2at6native31launch_logcumsumexp_cuda_kernelERKNSE_10TensorBaseESI_lENKUlvE_clEvENKUlvE2_clEvEUlS7_S7_E_S7_EEDaPvRmT3_T4_T5_mT6_P12ihipStream_tbENKUlT_T0_E_clISt17integral_constantIbLb1EESZ_EEDaSU_SV_EUlSU_E_NS1_11comp_targetILNS1_3genE5ELNS1_11target_archE942ELNS1_3gpuE9ELNS1_3repE0EEENS1_30default_config_static_selectorELNS0_4arch9wavefront6targetE0EEEvT1_,comdat
.Lfunc_end296:
	.size	_ZN7rocprim17ROCPRIM_400000_NS6detail17trampoline_kernelINS0_14default_configENS1_20scan_config_selectorIN3c107complexIfEEEEZZNS1_9scan_implILNS1_25lookback_scan_determinismE0ELb0ELb0ES3_PKS7_PS7_S7_ZZZN2at6native31launch_logcumsumexp_cuda_kernelERKNSE_10TensorBaseESI_lENKUlvE_clEvENKUlvE2_clEvEUlS7_S7_E_S7_EEDaPvRmT3_T4_T5_mT6_P12ihipStream_tbENKUlT_T0_E_clISt17integral_constantIbLb1EESZ_EEDaSU_SV_EUlSU_E_NS1_11comp_targetILNS1_3genE5ELNS1_11target_archE942ELNS1_3gpuE9ELNS1_3repE0EEENS1_30default_config_static_selectorELNS0_4arch9wavefront6targetE0EEEvT1_, .Lfunc_end296-_ZN7rocprim17ROCPRIM_400000_NS6detail17trampoline_kernelINS0_14default_configENS1_20scan_config_selectorIN3c107complexIfEEEEZZNS1_9scan_implILNS1_25lookback_scan_determinismE0ELb0ELb0ES3_PKS7_PS7_S7_ZZZN2at6native31launch_logcumsumexp_cuda_kernelERKNSE_10TensorBaseESI_lENKUlvE_clEvENKUlvE2_clEvEUlS7_S7_E_S7_EEDaPvRmT3_T4_T5_mT6_P12ihipStream_tbENKUlT_T0_E_clISt17integral_constantIbLb1EESZ_EEDaSU_SV_EUlSU_E_NS1_11comp_targetILNS1_3genE5ELNS1_11target_archE942ELNS1_3gpuE9ELNS1_3repE0EEENS1_30default_config_static_selectorELNS0_4arch9wavefront6targetE0EEEvT1_
                                        ; -- End function
	.section	.AMDGPU.csdata,"",@progbits
; Kernel info:
; codeLenInByte = 0
; NumSgprs: 0
; NumVgprs: 0
; ScratchSize: 0
; MemoryBound: 0
; FloatMode: 240
; IeeeMode: 1
; LDSByteSize: 0 bytes/workgroup (compile time only)
; SGPRBlocks: 0
; VGPRBlocks: 0
; NumSGPRsForWavesPerEU: 1
; NumVGPRsForWavesPerEU: 1
; Occupancy: 16
; WaveLimiterHint : 0
; COMPUTE_PGM_RSRC2:SCRATCH_EN: 0
; COMPUTE_PGM_RSRC2:USER_SGPR: 15
; COMPUTE_PGM_RSRC2:TRAP_HANDLER: 0
; COMPUTE_PGM_RSRC2:TGID_X_EN: 1
; COMPUTE_PGM_RSRC2:TGID_Y_EN: 0
; COMPUTE_PGM_RSRC2:TGID_Z_EN: 0
; COMPUTE_PGM_RSRC2:TIDIG_COMP_CNT: 0
	.section	.text._ZN7rocprim17ROCPRIM_400000_NS6detail17trampoline_kernelINS0_14default_configENS1_20scan_config_selectorIN3c107complexIfEEEEZZNS1_9scan_implILNS1_25lookback_scan_determinismE0ELb0ELb0ES3_PKS7_PS7_S7_ZZZN2at6native31launch_logcumsumexp_cuda_kernelERKNSE_10TensorBaseESI_lENKUlvE_clEvENKUlvE2_clEvEUlS7_S7_E_S7_EEDaPvRmT3_T4_T5_mT6_P12ihipStream_tbENKUlT_T0_E_clISt17integral_constantIbLb1EESZ_EEDaSU_SV_EUlSU_E_NS1_11comp_targetILNS1_3genE4ELNS1_11target_archE910ELNS1_3gpuE8ELNS1_3repE0EEENS1_30default_config_static_selectorELNS0_4arch9wavefront6targetE0EEEvT1_,"axG",@progbits,_ZN7rocprim17ROCPRIM_400000_NS6detail17trampoline_kernelINS0_14default_configENS1_20scan_config_selectorIN3c107complexIfEEEEZZNS1_9scan_implILNS1_25lookback_scan_determinismE0ELb0ELb0ES3_PKS7_PS7_S7_ZZZN2at6native31launch_logcumsumexp_cuda_kernelERKNSE_10TensorBaseESI_lENKUlvE_clEvENKUlvE2_clEvEUlS7_S7_E_S7_EEDaPvRmT3_T4_T5_mT6_P12ihipStream_tbENKUlT_T0_E_clISt17integral_constantIbLb1EESZ_EEDaSU_SV_EUlSU_E_NS1_11comp_targetILNS1_3genE4ELNS1_11target_archE910ELNS1_3gpuE8ELNS1_3repE0EEENS1_30default_config_static_selectorELNS0_4arch9wavefront6targetE0EEEvT1_,comdat
	.globl	_ZN7rocprim17ROCPRIM_400000_NS6detail17trampoline_kernelINS0_14default_configENS1_20scan_config_selectorIN3c107complexIfEEEEZZNS1_9scan_implILNS1_25lookback_scan_determinismE0ELb0ELb0ES3_PKS7_PS7_S7_ZZZN2at6native31launch_logcumsumexp_cuda_kernelERKNSE_10TensorBaseESI_lENKUlvE_clEvENKUlvE2_clEvEUlS7_S7_E_S7_EEDaPvRmT3_T4_T5_mT6_P12ihipStream_tbENKUlT_T0_E_clISt17integral_constantIbLb1EESZ_EEDaSU_SV_EUlSU_E_NS1_11comp_targetILNS1_3genE4ELNS1_11target_archE910ELNS1_3gpuE8ELNS1_3repE0EEENS1_30default_config_static_selectorELNS0_4arch9wavefront6targetE0EEEvT1_ ; -- Begin function _ZN7rocprim17ROCPRIM_400000_NS6detail17trampoline_kernelINS0_14default_configENS1_20scan_config_selectorIN3c107complexIfEEEEZZNS1_9scan_implILNS1_25lookback_scan_determinismE0ELb0ELb0ES3_PKS7_PS7_S7_ZZZN2at6native31launch_logcumsumexp_cuda_kernelERKNSE_10TensorBaseESI_lENKUlvE_clEvENKUlvE2_clEvEUlS7_S7_E_S7_EEDaPvRmT3_T4_T5_mT6_P12ihipStream_tbENKUlT_T0_E_clISt17integral_constantIbLb1EESZ_EEDaSU_SV_EUlSU_E_NS1_11comp_targetILNS1_3genE4ELNS1_11target_archE910ELNS1_3gpuE8ELNS1_3repE0EEENS1_30default_config_static_selectorELNS0_4arch9wavefront6targetE0EEEvT1_
	.p2align	8
	.type	_ZN7rocprim17ROCPRIM_400000_NS6detail17trampoline_kernelINS0_14default_configENS1_20scan_config_selectorIN3c107complexIfEEEEZZNS1_9scan_implILNS1_25lookback_scan_determinismE0ELb0ELb0ES3_PKS7_PS7_S7_ZZZN2at6native31launch_logcumsumexp_cuda_kernelERKNSE_10TensorBaseESI_lENKUlvE_clEvENKUlvE2_clEvEUlS7_S7_E_S7_EEDaPvRmT3_T4_T5_mT6_P12ihipStream_tbENKUlT_T0_E_clISt17integral_constantIbLb1EESZ_EEDaSU_SV_EUlSU_E_NS1_11comp_targetILNS1_3genE4ELNS1_11target_archE910ELNS1_3gpuE8ELNS1_3repE0EEENS1_30default_config_static_selectorELNS0_4arch9wavefront6targetE0EEEvT1_,@function
_ZN7rocprim17ROCPRIM_400000_NS6detail17trampoline_kernelINS0_14default_configENS1_20scan_config_selectorIN3c107complexIfEEEEZZNS1_9scan_implILNS1_25lookback_scan_determinismE0ELb0ELb0ES3_PKS7_PS7_S7_ZZZN2at6native31launch_logcumsumexp_cuda_kernelERKNSE_10TensorBaseESI_lENKUlvE_clEvENKUlvE2_clEvEUlS7_S7_E_S7_EEDaPvRmT3_T4_T5_mT6_P12ihipStream_tbENKUlT_T0_E_clISt17integral_constantIbLb1EESZ_EEDaSU_SV_EUlSU_E_NS1_11comp_targetILNS1_3genE4ELNS1_11target_archE910ELNS1_3gpuE8ELNS1_3repE0EEENS1_30default_config_static_selectorELNS0_4arch9wavefront6targetE0EEEvT1_: ; @_ZN7rocprim17ROCPRIM_400000_NS6detail17trampoline_kernelINS0_14default_configENS1_20scan_config_selectorIN3c107complexIfEEEEZZNS1_9scan_implILNS1_25lookback_scan_determinismE0ELb0ELb0ES3_PKS7_PS7_S7_ZZZN2at6native31launch_logcumsumexp_cuda_kernelERKNSE_10TensorBaseESI_lENKUlvE_clEvENKUlvE2_clEvEUlS7_S7_E_S7_EEDaPvRmT3_T4_T5_mT6_P12ihipStream_tbENKUlT_T0_E_clISt17integral_constantIbLb1EESZ_EEDaSU_SV_EUlSU_E_NS1_11comp_targetILNS1_3genE4ELNS1_11target_archE910ELNS1_3gpuE8ELNS1_3repE0EEENS1_30default_config_static_selectorELNS0_4arch9wavefront6targetE0EEEvT1_
; %bb.0:
	.section	.rodata,"a",@progbits
	.p2align	6, 0x0
	.amdhsa_kernel _ZN7rocprim17ROCPRIM_400000_NS6detail17trampoline_kernelINS0_14default_configENS1_20scan_config_selectorIN3c107complexIfEEEEZZNS1_9scan_implILNS1_25lookback_scan_determinismE0ELb0ELb0ES3_PKS7_PS7_S7_ZZZN2at6native31launch_logcumsumexp_cuda_kernelERKNSE_10TensorBaseESI_lENKUlvE_clEvENKUlvE2_clEvEUlS7_S7_E_S7_EEDaPvRmT3_T4_T5_mT6_P12ihipStream_tbENKUlT_T0_E_clISt17integral_constantIbLb1EESZ_EEDaSU_SV_EUlSU_E_NS1_11comp_targetILNS1_3genE4ELNS1_11target_archE910ELNS1_3gpuE8ELNS1_3repE0EEENS1_30default_config_static_selectorELNS0_4arch9wavefront6targetE0EEEvT1_
		.amdhsa_group_segment_fixed_size 0
		.amdhsa_private_segment_fixed_size 0
		.amdhsa_kernarg_size 104
		.amdhsa_user_sgpr_count 15
		.amdhsa_user_sgpr_dispatch_ptr 0
		.amdhsa_user_sgpr_queue_ptr 0
		.amdhsa_user_sgpr_kernarg_segment_ptr 1
		.amdhsa_user_sgpr_dispatch_id 0
		.amdhsa_user_sgpr_private_segment_size 0
		.amdhsa_wavefront_size32 1
		.amdhsa_uses_dynamic_stack 0
		.amdhsa_enable_private_segment 0
		.amdhsa_system_sgpr_workgroup_id_x 1
		.amdhsa_system_sgpr_workgroup_id_y 0
		.amdhsa_system_sgpr_workgroup_id_z 0
		.amdhsa_system_sgpr_workgroup_info 0
		.amdhsa_system_vgpr_workitem_id 0
		.amdhsa_next_free_vgpr 1
		.amdhsa_next_free_sgpr 1
		.amdhsa_reserve_vcc 0
		.amdhsa_float_round_mode_32 0
		.amdhsa_float_round_mode_16_64 0
		.amdhsa_float_denorm_mode_32 3
		.amdhsa_float_denorm_mode_16_64 3
		.amdhsa_dx10_clamp 1
		.amdhsa_ieee_mode 1
		.amdhsa_fp16_overflow 0
		.amdhsa_workgroup_processor_mode 1
		.amdhsa_memory_ordered 1
		.amdhsa_forward_progress 0
		.amdhsa_shared_vgpr_count 0
		.amdhsa_exception_fp_ieee_invalid_op 0
		.amdhsa_exception_fp_denorm_src 0
		.amdhsa_exception_fp_ieee_div_zero 0
		.amdhsa_exception_fp_ieee_overflow 0
		.amdhsa_exception_fp_ieee_underflow 0
		.amdhsa_exception_fp_ieee_inexact 0
		.amdhsa_exception_int_div_zero 0
	.end_amdhsa_kernel
	.section	.text._ZN7rocprim17ROCPRIM_400000_NS6detail17trampoline_kernelINS0_14default_configENS1_20scan_config_selectorIN3c107complexIfEEEEZZNS1_9scan_implILNS1_25lookback_scan_determinismE0ELb0ELb0ES3_PKS7_PS7_S7_ZZZN2at6native31launch_logcumsumexp_cuda_kernelERKNSE_10TensorBaseESI_lENKUlvE_clEvENKUlvE2_clEvEUlS7_S7_E_S7_EEDaPvRmT3_T4_T5_mT6_P12ihipStream_tbENKUlT_T0_E_clISt17integral_constantIbLb1EESZ_EEDaSU_SV_EUlSU_E_NS1_11comp_targetILNS1_3genE4ELNS1_11target_archE910ELNS1_3gpuE8ELNS1_3repE0EEENS1_30default_config_static_selectorELNS0_4arch9wavefront6targetE0EEEvT1_,"axG",@progbits,_ZN7rocprim17ROCPRIM_400000_NS6detail17trampoline_kernelINS0_14default_configENS1_20scan_config_selectorIN3c107complexIfEEEEZZNS1_9scan_implILNS1_25lookback_scan_determinismE0ELb0ELb0ES3_PKS7_PS7_S7_ZZZN2at6native31launch_logcumsumexp_cuda_kernelERKNSE_10TensorBaseESI_lENKUlvE_clEvENKUlvE2_clEvEUlS7_S7_E_S7_EEDaPvRmT3_T4_T5_mT6_P12ihipStream_tbENKUlT_T0_E_clISt17integral_constantIbLb1EESZ_EEDaSU_SV_EUlSU_E_NS1_11comp_targetILNS1_3genE4ELNS1_11target_archE910ELNS1_3gpuE8ELNS1_3repE0EEENS1_30default_config_static_selectorELNS0_4arch9wavefront6targetE0EEEvT1_,comdat
.Lfunc_end297:
	.size	_ZN7rocprim17ROCPRIM_400000_NS6detail17trampoline_kernelINS0_14default_configENS1_20scan_config_selectorIN3c107complexIfEEEEZZNS1_9scan_implILNS1_25lookback_scan_determinismE0ELb0ELb0ES3_PKS7_PS7_S7_ZZZN2at6native31launch_logcumsumexp_cuda_kernelERKNSE_10TensorBaseESI_lENKUlvE_clEvENKUlvE2_clEvEUlS7_S7_E_S7_EEDaPvRmT3_T4_T5_mT6_P12ihipStream_tbENKUlT_T0_E_clISt17integral_constantIbLb1EESZ_EEDaSU_SV_EUlSU_E_NS1_11comp_targetILNS1_3genE4ELNS1_11target_archE910ELNS1_3gpuE8ELNS1_3repE0EEENS1_30default_config_static_selectorELNS0_4arch9wavefront6targetE0EEEvT1_, .Lfunc_end297-_ZN7rocprim17ROCPRIM_400000_NS6detail17trampoline_kernelINS0_14default_configENS1_20scan_config_selectorIN3c107complexIfEEEEZZNS1_9scan_implILNS1_25lookback_scan_determinismE0ELb0ELb0ES3_PKS7_PS7_S7_ZZZN2at6native31launch_logcumsumexp_cuda_kernelERKNSE_10TensorBaseESI_lENKUlvE_clEvENKUlvE2_clEvEUlS7_S7_E_S7_EEDaPvRmT3_T4_T5_mT6_P12ihipStream_tbENKUlT_T0_E_clISt17integral_constantIbLb1EESZ_EEDaSU_SV_EUlSU_E_NS1_11comp_targetILNS1_3genE4ELNS1_11target_archE910ELNS1_3gpuE8ELNS1_3repE0EEENS1_30default_config_static_selectorELNS0_4arch9wavefront6targetE0EEEvT1_
                                        ; -- End function
	.section	.AMDGPU.csdata,"",@progbits
; Kernel info:
; codeLenInByte = 0
; NumSgprs: 0
; NumVgprs: 0
; ScratchSize: 0
; MemoryBound: 0
; FloatMode: 240
; IeeeMode: 1
; LDSByteSize: 0 bytes/workgroup (compile time only)
; SGPRBlocks: 0
; VGPRBlocks: 0
; NumSGPRsForWavesPerEU: 1
; NumVGPRsForWavesPerEU: 1
; Occupancy: 16
; WaveLimiterHint : 0
; COMPUTE_PGM_RSRC2:SCRATCH_EN: 0
; COMPUTE_PGM_RSRC2:USER_SGPR: 15
; COMPUTE_PGM_RSRC2:TRAP_HANDLER: 0
; COMPUTE_PGM_RSRC2:TGID_X_EN: 1
; COMPUTE_PGM_RSRC2:TGID_Y_EN: 0
; COMPUTE_PGM_RSRC2:TGID_Z_EN: 0
; COMPUTE_PGM_RSRC2:TIDIG_COMP_CNT: 0
	.section	.text._ZN7rocprim17ROCPRIM_400000_NS6detail17trampoline_kernelINS0_14default_configENS1_20scan_config_selectorIN3c107complexIfEEEEZZNS1_9scan_implILNS1_25lookback_scan_determinismE0ELb0ELb0ES3_PKS7_PS7_S7_ZZZN2at6native31launch_logcumsumexp_cuda_kernelERKNSE_10TensorBaseESI_lENKUlvE_clEvENKUlvE2_clEvEUlS7_S7_E_S7_EEDaPvRmT3_T4_T5_mT6_P12ihipStream_tbENKUlT_T0_E_clISt17integral_constantIbLb1EESZ_EEDaSU_SV_EUlSU_E_NS1_11comp_targetILNS1_3genE3ELNS1_11target_archE908ELNS1_3gpuE7ELNS1_3repE0EEENS1_30default_config_static_selectorELNS0_4arch9wavefront6targetE0EEEvT1_,"axG",@progbits,_ZN7rocprim17ROCPRIM_400000_NS6detail17trampoline_kernelINS0_14default_configENS1_20scan_config_selectorIN3c107complexIfEEEEZZNS1_9scan_implILNS1_25lookback_scan_determinismE0ELb0ELb0ES3_PKS7_PS7_S7_ZZZN2at6native31launch_logcumsumexp_cuda_kernelERKNSE_10TensorBaseESI_lENKUlvE_clEvENKUlvE2_clEvEUlS7_S7_E_S7_EEDaPvRmT3_T4_T5_mT6_P12ihipStream_tbENKUlT_T0_E_clISt17integral_constantIbLb1EESZ_EEDaSU_SV_EUlSU_E_NS1_11comp_targetILNS1_3genE3ELNS1_11target_archE908ELNS1_3gpuE7ELNS1_3repE0EEENS1_30default_config_static_selectorELNS0_4arch9wavefront6targetE0EEEvT1_,comdat
	.globl	_ZN7rocprim17ROCPRIM_400000_NS6detail17trampoline_kernelINS0_14default_configENS1_20scan_config_selectorIN3c107complexIfEEEEZZNS1_9scan_implILNS1_25lookback_scan_determinismE0ELb0ELb0ES3_PKS7_PS7_S7_ZZZN2at6native31launch_logcumsumexp_cuda_kernelERKNSE_10TensorBaseESI_lENKUlvE_clEvENKUlvE2_clEvEUlS7_S7_E_S7_EEDaPvRmT3_T4_T5_mT6_P12ihipStream_tbENKUlT_T0_E_clISt17integral_constantIbLb1EESZ_EEDaSU_SV_EUlSU_E_NS1_11comp_targetILNS1_3genE3ELNS1_11target_archE908ELNS1_3gpuE7ELNS1_3repE0EEENS1_30default_config_static_selectorELNS0_4arch9wavefront6targetE0EEEvT1_ ; -- Begin function _ZN7rocprim17ROCPRIM_400000_NS6detail17trampoline_kernelINS0_14default_configENS1_20scan_config_selectorIN3c107complexIfEEEEZZNS1_9scan_implILNS1_25lookback_scan_determinismE0ELb0ELb0ES3_PKS7_PS7_S7_ZZZN2at6native31launch_logcumsumexp_cuda_kernelERKNSE_10TensorBaseESI_lENKUlvE_clEvENKUlvE2_clEvEUlS7_S7_E_S7_EEDaPvRmT3_T4_T5_mT6_P12ihipStream_tbENKUlT_T0_E_clISt17integral_constantIbLb1EESZ_EEDaSU_SV_EUlSU_E_NS1_11comp_targetILNS1_3genE3ELNS1_11target_archE908ELNS1_3gpuE7ELNS1_3repE0EEENS1_30default_config_static_selectorELNS0_4arch9wavefront6targetE0EEEvT1_
	.p2align	8
	.type	_ZN7rocprim17ROCPRIM_400000_NS6detail17trampoline_kernelINS0_14default_configENS1_20scan_config_selectorIN3c107complexIfEEEEZZNS1_9scan_implILNS1_25lookback_scan_determinismE0ELb0ELb0ES3_PKS7_PS7_S7_ZZZN2at6native31launch_logcumsumexp_cuda_kernelERKNSE_10TensorBaseESI_lENKUlvE_clEvENKUlvE2_clEvEUlS7_S7_E_S7_EEDaPvRmT3_T4_T5_mT6_P12ihipStream_tbENKUlT_T0_E_clISt17integral_constantIbLb1EESZ_EEDaSU_SV_EUlSU_E_NS1_11comp_targetILNS1_3genE3ELNS1_11target_archE908ELNS1_3gpuE7ELNS1_3repE0EEENS1_30default_config_static_selectorELNS0_4arch9wavefront6targetE0EEEvT1_,@function
_ZN7rocprim17ROCPRIM_400000_NS6detail17trampoline_kernelINS0_14default_configENS1_20scan_config_selectorIN3c107complexIfEEEEZZNS1_9scan_implILNS1_25lookback_scan_determinismE0ELb0ELb0ES3_PKS7_PS7_S7_ZZZN2at6native31launch_logcumsumexp_cuda_kernelERKNSE_10TensorBaseESI_lENKUlvE_clEvENKUlvE2_clEvEUlS7_S7_E_S7_EEDaPvRmT3_T4_T5_mT6_P12ihipStream_tbENKUlT_T0_E_clISt17integral_constantIbLb1EESZ_EEDaSU_SV_EUlSU_E_NS1_11comp_targetILNS1_3genE3ELNS1_11target_archE908ELNS1_3gpuE7ELNS1_3repE0EEENS1_30default_config_static_selectorELNS0_4arch9wavefront6targetE0EEEvT1_: ; @_ZN7rocprim17ROCPRIM_400000_NS6detail17trampoline_kernelINS0_14default_configENS1_20scan_config_selectorIN3c107complexIfEEEEZZNS1_9scan_implILNS1_25lookback_scan_determinismE0ELb0ELb0ES3_PKS7_PS7_S7_ZZZN2at6native31launch_logcumsumexp_cuda_kernelERKNSE_10TensorBaseESI_lENKUlvE_clEvENKUlvE2_clEvEUlS7_S7_E_S7_EEDaPvRmT3_T4_T5_mT6_P12ihipStream_tbENKUlT_T0_E_clISt17integral_constantIbLb1EESZ_EEDaSU_SV_EUlSU_E_NS1_11comp_targetILNS1_3genE3ELNS1_11target_archE908ELNS1_3gpuE7ELNS1_3repE0EEENS1_30default_config_static_selectorELNS0_4arch9wavefront6targetE0EEEvT1_
; %bb.0:
	.section	.rodata,"a",@progbits
	.p2align	6, 0x0
	.amdhsa_kernel _ZN7rocprim17ROCPRIM_400000_NS6detail17trampoline_kernelINS0_14default_configENS1_20scan_config_selectorIN3c107complexIfEEEEZZNS1_9scan_implILNS1_25lookback_scan_determinismE0ELb0ELb0ES3_PKS7_PS7_S7_ZZZN2at6native31launch_logcumsumexp_cuda_kernelERKNSE_10TensorBaseESI_lENKUlvE_clEvENKUlvE2_clEvEUlS7_S7_E_S7_EEDaPvRmT3_T4_T5_mT6_P12ihipStream_tbENKUlT_T0_E_clISt17integral_constantIbLb1EESZ_EEDaSU_SV_EUlSU_E_NS1_11comp_targetILNS1_3genE3ELNS1_11target_archE908ELNS1_3gpuE7ELNS1_3repE0EEENS1_30default_config_static_selectorELNS0_4arch9wavefront6targetE0EEEvT1_
		.amdhsa_group_segment_fixed_size 0
		.amdhsa_private_segment_fixed_size 0
		.amdhsa_kernarg_size 104
		.amdhsa_user_sgpr_count 15
		.amdhsa_user_sgpr_dispatch_ptr 0
		.amdhsa_user_sgpr_queue_ptr 0
		.amdhsa_user_sgpr_kernarg_segment_ptr 1
		.amdhsa_user_sgpr_dispatch_id 0
		.amdhsa_user_sgpr_private_segment_size 0
		.amdhsa_wavefront_size32 1
		.amdhsa_uses_dynamic_stack 0
		.amdhsa_enable_private_segment 0
		.amdhsa_system_sgpr_workgroup_id_x 1
		.amdhsa_system_sgpr_workgroup_id_y 0
		.amdhsa_system_sgpr_workgroup_id_z 0
		.amdhsa_system_sgpr_workgroup_info 0
		.amdhsa_system_vgpr_workitem_id 0
		.amdhsa_next_free_vgpr 1
		.amdhsa_next_free_sgpr 1
		.amdhsa_reserve_vcc 0
		.amdhsa_float_round_mode_32 0
		.amdhsa_float_round_mode_16_64 0
		.amdhsa_float_denorm_mode_32 3
		.amdhsa_float_denorm_mode_16_64 3
		.amdhsa_dx10_clamp 1
		.amdhsa_ieee_mode 1
		.amdhsa_fp16_overflow 0
		.amdhsa_workgroup_processor_mode 1
		.amdhsa_memory_ordered 1
		.amdhsa_forward_progress 0
		.amdhsa_shared_vgpr_count 0
		.amdhsa_exception_fp_ieee_invalid_op 0
		.amdhsa_exception_fp_denorm_src 0
		.amdhsa_exception_fp_ieee_div_zero 0
		.amdhsa_exception_fp_ieee_overflow 0
		.amdhsa_exception_fp_ieee_underflow 0
		.amdhsa_exception_fp_ieee_inexact 0
		.amdhsa_exception_int_div_zero 0
	.end_amdhsa_kernel
	.section	.text._ZN7rocprim17ROCPRIM_400000_NS6detail17trampoline_kernelINS0_14default_configENS1_20scan_config_selectorIN3c107complexIfEEEEZZNS1_9scan_implILNS1_25lookback_scan_determinismE0ELb0ELb0ES3_PKS7_PS7_S7_ZZZN2at6native31launch_logcumsumexp_cuda_kernelERKNSE_10TensorBaseESI_lENKUlvE_clEvENKUlvE2_clEvEUlS7_S7_E_S7_EEDaPvRmT3_T4_T5_mT6_P12ihipStream_tbENKUlT_T0_E_clISt17integral_constantIbLb1EESZ_EEDaSU_SV_EUlSU_E_NS1_11comp_targetILNS1_3genE3ELNS1_11target_archE908ELNS1_3gpuE7ELNS1_3repE0EEENS1_30default_config_static_selectorELNS0_4arch9wavefront6targetE0EEEvT1_,"axG",@progbits,_ZN7rocprim17ROCPRIM_400000_NS6detail17trampoline_kernelINS0_14default_configENS1_20scan_config_selectorIN3c107complexIfEEEEZZNS1_9scan_implILNS1_25lookback_scan_determinismE0ELb0ELb0ES3_PKS7_PS7_S7_ZZZN2at6native31launch_logcumsumexp_cuda_kernelERKNSE_10TensorBaseESI_lENKUlvE_clEvENKUlvE2_clEvEUlS7_S7_E_S7_EEDaPvRmT3_T4_T5_mT6_P12ihipStream_tbENKUlT_T0_E_clISt17integral_constantIbLb1EESZ_EEDaSU_SV_EUlSU_E_NS1_11comp_targetILNS1_3genE3ELNS1_11target_archE908ELNS1_3gpuE7ELNS1_3repE0EEENS1_30default_config_static_selectorELNS0_4arch9wavefront6targetE0EEEvT1_,comdat
.Lfunc_end298:
	.size	_ZN7rocprim17ROCPRIM_400000_NS6detail17trampoline_kernelINS0_14default_configENS1_20scan_config_selectorIN3c107complexIfEEEEZZNS1_9scan_implILNS1_25lookback_scan_determinismE0ELb0ELb0ES3_PKS7_PS7_S7_ZZZN2at6native31launch_logcumsumexp_cuda_kernelERKNSE_10TensorBaseESI_lENKUlvE_clEvENKUlvE2_clEvEUlS7_S7_E_S7_EEDaPvRmT3_T4_T5_mT6_P12ihipStream_tbENKUlT_T0_E_clISt17integral_constantIbLb1EESZ_EEDaSU_SV_EUlSU_E_NS1_11comp_targetILNS1_3genE3ELNS1_11target_archE908ELNS1_3gpuE7ELNS1_3repE0EEENS1_30default_config_static_selectorELNS0_4arch9wavefront6targetE0EEEvT1_, .Lfunc_end298-_ZN7rocprim17ROCPRIM_400000_NS6detail17trampoline_kernelINS0_14default_configENS1_20scan_config_selectorIN3c107complexIfEEEEZZNS1_9scan_implILNS1_25lookback_scan_determinismE0ELb0ELb0ES3_PKS7_PS7_S7_ZZZN2at6native31launch_logcumsumexp_cuda_kernelERKNSE_10TensorBaseESI_lENKUlvE_clEvENKUlvE2_clEvEUlS7_S7_E_S7_EEDaPvRmT3_T4_T5_mT6_P12ihipStream_tbENKUlT_T0_E_clISt17integral_constantIbLb1EESZ_EEDaSU_SV_EUlSU_E_NS1_11comp_targetILNS1_3genE3ELNS1_11target_archE908ELNS1_3gpuE7ELNS1_3repE0EEENS1_30default_config_static_selectorELNS0_4arch9wavefront6targetE0EEEvT1_
                                        ; -- End function
	.section	.AMDGPU.csdata,"",@progbits
; Kernel info:
; codeLenInByte = 0
; NumSgprs: 0
; NumVgprs: 0
; ScratchSize: 0
; MemoryBound: 0
; FloatMode: 240
; IeeeMode: 1
; LDSByteSize: 0 bytes/workgroup (compile time only)
; SGPRBlocks: 0
; VGPRBlocks: 0
; NumSGPRsForWavesPerEU: 1
; NumVGPRsForWavesPerEU: 1
; Occupancy: 16
; WaveLimiterHint : 0
; COMPUTE_PGM_RSRC2:SCRATCH_EN: 0
; COMPUTE_PGM_RSRC2:USER_SGPR: 15
; COMPUTE_PGM_RSRC2:TRAP_HANDLER: 0
; COMPUTE_PGM_RSRC2:TGID_X_EN: 1
; COMPUTE_PGM_RSRC2:TGID_Y_EN: 0
; COMPUTE_PGM_RSRC2:TGID_Z_EN: 0
; COMPUTE_PGM_RSRC2:TIDIG_COMP_CNT: 0
	.section	.text._ZN7rocprim17ROCPRIM_400000_NS6detail17trampoline_kernelINS0_14default_configENS1_20scan_config_selectorIN3c107complexIfEEEEZZNS1_9scan_implILNS1_25lookback_scan_determinismE0ELb0ELb0ES3_PKS7_PS7_S7_ZZZN2at6native31launch_logcumsumexp_cuda_kernelERKNSE_10TensorBaseESI_lENKUlvE_clEvENKUlvE2_clEvEUlS7_S7_E_S7_EEDaPvRmT3_T4_T5_mT6_P12ihipStream_tbENKUlT_T0_E_clISt17integral_constantIbLb1EESZ_EEDaSU_SV_EUlSU_E_NS1_11comp_targetILNS1_3genE2ELNS1_11target_archE906ELNS1_3gpuE6ELNS1_3repE0EEENS1_30default_config_static_selectorELNS0_4arch9wavefront6targetE0EEEvT1_,"axG",@progbits,_ZN7rocprim17ROCPRIM_400000_NS6detail17trampoline_kernelINS0_14default_configENS1_20scan_config_selectorIN3c107complexIfEEEEZZNS1_9scan_implILNS1_25lookback_scan_determinismE0ELb0ELb0ES3_PKS7_PS7_S7_ZZZN2at6native31launch_logcumsumexp_cuda_kernelERKNSE_10TensorBaseESI_lENKUlvE_clEvENKUlvE2_clEvEUlS7_S7_E_S7_EEDaPvRmT3_T4_T5_mT6_P12ihipStream_tbENKUlT_T0_E_clISt17integral_constantIbLb1EESZ_EEDaSU_SV_EUlSU_E_NS1_11comp_targetILNS1_3genE2ELNS1_11target_archE906ELNS1_3gpuE6ELNS1_3repE0EEENS1_30default_config_static_selectorELNS0_4arch9wavefront6targetE0EEEvT1_,comdat
	.globl	_ZN7rocprim17ROCPRIM_400000_NS6detail17trampoline_kernelINS0_14default_configENS1_20scan_config_selectorIN3c107complexIfEEEEZZNS1_9scan_implILNS1_25lookback_scan_determinismE0ELb0ELb0ES3_PKS7_PS7_S7_ZZZN2at6native31launch_logcumsumexp_cuda_kernelERKNSE_10TensorBaseESI_lENKUlvE_clEvENKUlvE2_clEvEUlS7_S7_E_S7_EEDaPvRmT3_T4_T5_mT6_P12ihipStream_tbENKUlT_T0_E_clISt17integral_constantIbLb1EESZ_EEDaSU_SV_EUlSU_E_NS1_11comp_targetILNS1_3genE2ELNS1_11target_archE906ELNS1_3gpuE6ELNS1_3repE0EEENS1_30default_config_static_selectorELNS0_4arch9wavefront6targetE0EEEvT1_ ; -- Begin function _ZN7rocprim17ROCPRIM_400000_NS6detail17trampoline_kernelINS0_14default_configENS1_20scan_config_selectorIN3c107complexIfEEEEZZNS1_9scan_implILNS1_25lookback_scan_determinismE0ELb0ELb0ES3_PKS7_PS7_S7_ZZZN2at6native31launch_logcumsumexp_cuda_kernelERKNSE_10TensorBaseESI_lENKUlvE_clEvENKUlvE2_clEvEUlS7_S7_E_S7_EEDaPvRmT3_T4_T5_mT6_P12ihipStream_tbENKUlT_T0_E_clISt17integral_constantIbLb1EESZ_EEDaSU_SV_EUlSU_E_NS1_11comp_targetILNS1_3genE2ELNS1_11target_archE906ELNS1_3gpuE6ELNS1_3repE0EEENS1_30default_config_static_selectorELNS0_4arch9wavefront6targetE0EEEvT1_
	.p2align	8
	.type	_ZN7rocprim17ROCPRIM_400000_NS6detail17trampoline_kernelINS0_14default_configENS1_20scan_config_selectorIN3c107complexIfEEEEZZNS1_9scan_implILNS1_25lookback_scan_determinismE0ELb0ELb0ES3_PKS7_PS7_S7_ZZZN2at6native31launch_logcumsumexp_cuda_kernelERKNSE_10TensorBaseESI_lENKUlvE_clEvENKUlvE2_clEvEUlS7_S7_E_S7_EEDaPvRmT3_T4_T5_mT6_P12ihipStream_tbENKUlT_T0_E_clISt17integral_constantIbLb1EESZ_EEDaSU_SV_EUlSU_E_NS1_11comp_targetILNS1_3genE2ELNS1_11target_archE906ELNS1_3gpuE6ELNS1_3repE0EEENS1_30default_config_static_selectorELNS0_4arch9wavefront6targetE0EEEvT1_,@function
_ZN7rocprim17ROCPRIM_400000_NS6detail17trampoline_kernelINS0_14default_configENS1_20scan_config_selectorIN3c107complexIfEEEEZZNS1_9scan_implILNS1_25lookback_scan_determinismE0ELb0ELb0ES3_PKS7_PS7_S7_ZZZN2at6native31launch_logcumsumexp_cuda_kernelERKNSE_10TensorBaseESI_lENKUlvE_clEvENKUlvE2_clEvEUlS7_S7_E_S7_EEDaPvRmT3_T4_T5_mT6_P12ihipStream_tbENKUlT_T0_E_clISt17integral_constantIbLb1EESZ_EEDaSU_SV_EUlSU_E_NS1_11comp_targetILNS1_3genE2ELNS1_11target_archE906ELNS1_3gpuE6ELNS1_3repE0EEENS1_30default_config_static_selectorELNS0_4arch9wavefront6targetE0EEEvT1_: ; @_ZN7rocprim17ROCPRIM_400000_NS6detail17trampoline_kernelINS0_14default_configENS1_20scan_config_selectorIN3c107complexIfEEEEZZNS1_9scan_implILNS1_25lookback_scan_determinismE0ELb0ELb0ES3_PKS7_PS7_S7_ZZZN2at6native31launch_logcumsumexp_cuda_kernelERKNSE_10TensorBaseESI_lENKUlvE_clEvENKUlvE2_clEvEUlS7_S7_E_S7_EEDaPvRmT3_T4_T5_mT6_P12ihipStream_tbENKUlT_T0_E_clISt17integral_constantIbLb1EESZ_EEDaSU_SV_EUlSU_E_NS1_11comp_targetILNS1_3genE2ELNS1_11target_archE906ELNS1_3gpuE6ELNS1_3repE0EEENS1_30default_config_static_selectorELNS0_4arch9wavefront6targetE0EEEvT1_
; %bb.0:
	.section	.rodata,"a",@progbits
	.p2align	6, 0x0
	.amdhsa_kernel _ZN7rocprim17ROCPRIM_400000_NS6detail17trampoline_kernelINS0_14default_configENS1_20scan_config_selectorIN3c107complexIfEEEEZZNS1_9scan_implILNS1_25lookback_scan_determinismE0ELb0ELb0ES3_PKS7_PS7_S7_ZZZN2at6native31launch_logcumsumexp_cuda_kernelERKNSE_10TensorBaseESI_lENKUlvE_clEvENKUlvE2_clEvEUlS7_S7_E_S7_EEDaPvRmT3_T4_T5_mT6_P12ihipStream_tbENKUlT_T0_E_clISt17integral_constantIbLb1EESZ_EEDaSU_SV_EUlSU_E_NS1_11comp_targetILNS1_3genE2ELNS1_11target_archE906ELNS1_3gpuE6ELNS1_3repE0EEENS1_30default_config_static_selectorELNS0_4arch9wavefront6targetE0EEEvT1_
		.amdhsa_group_segment_fixed_size 0
		.amdhsa_private_segment_fixed_size 0
		.amdhsa_kernarg_size 104
		.amdhsa_user_sgpr_count 15
		.amdhsa_user_sgpr_dispatch_ptr 0
		.amdhsa_user_sgpr_queue_ptr 0
		.amdhsa_user_sgpr_kernarg_segment_ptr 1
		.amdhsa_user_sgpr_dispatch_id 0
		.amdhsa_user_sgpr_private_segment_size 0
		.amdhsa_wavefront_size32 1
		.amdhsa_uses_dynamic_stack 0
		.amdhsa_enable_private_segment 0
		.amdhsa_system_sgpr_workgroup_id_x 1
		.amdhsa_system_sgpr_workgroup_id_y 0
		.amdhsa_system_sgpr_workgroup_id_z 0
		.amdhsa_system_sgpr_workgroup_info 0
		.amdhsa_system_vgpr_workitem_id 0
		.amdhsa_next_free_vgpr 1
		.amdhsa_next_free_sgpr 1
		.amdhsa_reserve_vcc 0
		.amdhsa_float_round_mode_32 0
		.amdhsa_float_round_mode_16_64 0
		.amdhsa_float_denorm_mode_32 3
		.amdhsa_float_denorm_mode_16_64 3
		.amdhsa_dx10_clamp 1
		.amdhsa_ieee_mode 1
		.amdhsa_fp16_overflow 0
		.amdhsa_workgroup_processor_mode 1
		.amdhsa_memory_ordered 1
		.amdhsa_forward_progress 0
		.amdhsa_shared_vgpr_count 0
		.amdhsa_exception_fp_ieee_invalid_op 0
		.amdhsa_exception_fp_denorm_src 0
		.amdhsa_exception_fp_ieee_div_zero 0
		.amdhsa_exception_fp_ieee_overflow 0
		.amdhsa_exception_fp_ieee_underflow 0
		.amdhsa_exception_fp_ieee_inexact 0
		.amdhsa_exception_int_div_zero 0
	.end_amdhsa_kernel
	.section	.text._ZN7rocprim17ROCPRIM_400000_NS6detail17trampoline_kernelINS0_14default_configENS1_20scan_config_selectorIN3c107complexIfEEEEZZNS1_9scan_implILNS1_25lookback_scan_determinismE0ELb0ELb0ES3_PKS7_PS7_S7_ZZZN2at6native31launch_logcumsumexp_cuda_kernelERKNSE_10TensorBaseESI_lENKUlvE_clEvENKUlvE2_clEvEUlS7_S7_E_S7_EEDaPvRmT3_T4_T5_mT6_P12ihipStream_tbENKUlT_T0_E_clISt17integral_constantIbLb1EESZ_EEDaSU_SV_EUlSU_E_NS1_11comp_targetILNS1_3genE2ELNS1_11target_archE906ELNS1_3gpuE6ELNS1_3repE0EEENS1_30default_config_static_selectorELNS0_4arch9wavefront6targetE0EEEvT1_,"axG",@progbits,_ZN7rocprim17ROCPRIM_400000_NS6detail17trampoline_kernelINS0_14default_configENS1_20scan_config_selectorIN3c107complexIfEEEEZZNS1_9scan_implILNS1_25lookback_scan_determinismE0ELb0ELb0ES3_PKS7_PS7_S7_ZZZN2at6native31launch_logcumsumexp_cuda_kernelERKNSE_10TensorBaseESI_lENKUlvE_clEvENKUlvE2_clEvEUlS7_S7_E_S7_EEDaPvRmT3_T4_T5_mT6_P12ihipStream_tbENKUlT_T0_E_clISt17integral_constantIbLb1EESZ_EEDaSU_SV_EUlSU_E_NS1_11comp_targetILNS1_3genE2ELNS1_11target_archE906ELNS1_3gpuE6ELNS1_3repE0EEENS1_30default_config_static_selectorELNS0_4arch9wavefront6targetE0EEEvT1_,comdat
.Lfunc_end299:
	.size	_ZN7rocprim17ROCPRIM_400000_NS6detail17trampoline_kernelINS0_14default_configENS1_20scan_config_selectorIN3c107complexIfEEEEZZNS1_9scan_implILNS1_25lookback_scan_determinismE0ELb0ELb0ES3_PKS7_PS7_S7_ZZZN2at6native31launch_logcumsumexp_cuda_kernelERKNSE_10TensorBaseESI_lENKUlvE_clEvENKUlvE2_clEvEUlS7_S7_E_S7_EEDaPvRmT3_T4_T5_mT6_P12ihipStream_tbENKUlT_T0_E_clISt17integral_constantIbLb1EESZ_EEDaSU_SV_EUlSU_E_NS1_11comp_targetILNS1_3genE2ELNS1_11target_archE906ELNS1_3gpuE6ELNS1_3repE0EEENS1_30default_config_static_selectorELNS0_4arch9wavefront6targetE0EEEvT1_, .Lfunc_end299-_ZN7rocprim17ROCPRIM_400000_NS6detail17trampoline_kernelINS0_14default_configENS1_20scan_config_selectorIN3c107complexIfEEEEZZNS1_9scan_implILNS1_25lookback_scan_determinismE0ELb0ELb0ES3_PKS7_PS7_S7_ZZZN2at6native31launch_logcumsumexp_cuda_kernelERKNSE_10TensorBaseESI_lENKUlvE_clEvENKUlvE2_clEvEUlS7_S7_E_S7_EEDaPvRmT3_T4_T5_mT6_P12ihipStream_tbENKUlT_T0_E_clISt17integral_constantIbLb1EESZ_EEDaSU_SV_EUlSU_E_NS1_11comp_targetILNS1_3genE2ELNS1_11target_archE906ELNS1_3gpuE6ELNS1_3repE0EEENS1_30default_config_static_selectorELNS0_4arch9wavefront6targetE0EEEvT1_
                                        ; -- End function
	.section	.AMDGPU.csdata,"",@progbits
; Kernel info:
; codeLenInByte = 0
; NumSgprs: 0
; NumVgprs: 0
; ScratchSize: 0
; MemoryBound: 0
; FloatMode: 240
; IeeeMode: 1
; LDSByteSize: 0 bytes/workgroup (compile time only)
; SGPRBlocks: 0
; VGPRBlocks: 0
; NumSGPRsForWavesPerEU: 1
; NumVGPRsForWavesPerEU: 1
; Occupancy: 16
; WaveLimiterHint : 0
; COMPUTE_PGM_RSRC2:SCRATCH_EN: 0
; COMPUTE_PGM_RSRC2:USER_SGPR: 15
; COMPUTE_PGM_RSRC2:TRAP_HANDLER: 0
; COMPUTE_PGM_RSRC2:TGID_X_EN: 1
; COMPUTE_PGM_RSRC2:TGID_Y_EN: 0
; COMPUTE_PGM_RSRC2:TGID_Z_EN: 0
; COMPUTE_PGM_RSRC2:TIDIG_COMP_CNT: 0
	.section	.text._ZN7rocprim17ROCPRIM_400000_NS6detail17trampoline_kernelINS0_14default_configENS1_20scan_config_selectorIN3c107complexIfEEEEZZNS1_9scan_implILNS1_25lookback_scan_determinismE0ELb0ELb0ES3_PKS7_PS7_S7_ZZZN2at6native31launch_logcumsumexp_cuda_kernelERKNSE_10TensorBaseESI_lENKUlvE_clEvENKUlvE2_clEvEUlS7_S7_E_S7_EEDaPvRmT3_T4_T5_mT6_P12ihipStream_tbENKUlT_T0_E_clISt17integral_constantIbLb1EESZ_EEDaSU_SV_EUlSU_E_NS1_11comp_targetILNS1_3genE10ELNS1_11target_archE1201ELNS1_3gpuE5ELNS1_3repE0EEENS1_30default_config_static_selectorELNS0_4arch9wavefront6targetE0EEEvT1_,"axG",@progbits,_ZN7rocprim17ROCPRIM_400000_NS6detail17trampoline_kernelINS0_14default_configENS1_20scan_config_selectorIN3c107complexIfEEEEZZNS1_9scan_implILNS1_25lookback_scan_determinismE0ELb0ELb0ES3_PKS7_PS7_S7_ZZZN2at6native31launch_logcumsumexp_cuda_kernelERKNSE_10TensorBaseESI_lENKUlvE_clEvENKUlvE2_clEvEUlS7_S7_E_S7_EEDaPvRmT3_T4_T5_mT6_P12ihipStream_tbENKUlT_T0_E_clISt17integral_constantIbLb1EESZ_EEDaSU_SV_EUlSU_E_NS1_11comp_targetILNS1_3genE10ELNS1_11target_archE1201ELNS1_3gpuE5ELNS1_3repE0EEENS1_30default_config_static_selectorELNS0_4arch9wavefront6targetE0EEEvT1_,comdat
	.globl	_ZN7rocprim17ROCPRIM_400000_NS6detail17trampoline_kernelINS0_14default_configENS1_20scan_config_selectorIN3c107complexIfEEEEZZNS1_9scan_implILNS1_25lookback_scan_determinismE0ELb0ELb0ES3_PKS7_PS7_S7_ZZZN2at6native31launch_logcumsumexp_cuda_kernelERKNSE_10TensorBaseESI_lENKUlvE_clEvENKUlvE2_clEvEUlS7_S7_E_S7_EEDaPvRmT3_T4_T5_mT6_P12ihipStream_tbENKUlT_T0_E_clISt17integral_constantIbLb1EESZ_EEDaSU_SV_EUlSU_E_NS1_11comp_targetILNS1_3genE10ELNS1_11target_archE1201ELNS1_3gpuE5ELNS1_3repE0EEENS1_30default_config_static_selectorELNS0_4arch9wavefront6targetE0EEEvT1_ ; -- Begin function _ZN7rocprim17ROCPRIM_400000_NS6detail17trampoline_kernelINS0_14default_configENS1_20scan_config_selectorIN3c107complexIfEEEEZZNS1_9scan_implILNS1_25lookback_scan_determinismE0ELb0ELb0ES3_PKS7_PS7_S7_ZZZN2at6native31launch_logcumsumexp_cuda_kernelERKNSE_10TensorBaseESI_lENKUlvE_clEvENKUlvE2_clEvEUlS7_S7_E_S7_EEDaPvRmT3_T4_T5_mT6_P12ihipStream_tbENKUlT_T0_E_clISt17integral_constantIbLb1EESZ_EEDaSU_SV_EUlSU_E_NS1_11comp_targetILNS1_3genE10ELNS1_11target_archE1201ELNS1_3gpuE5ELNS1_3repE0EEENS1_30default_config_static_selectorELNS0_4arch9wavefront6targetE0EEEvT1_
	.p2align	8
	.type	_ZN7rocprim17ROCPRIM_400000_NS6detail17trampoline_kernelINS0_14default_configENS1_20scan_config_selectorIN3c107complexIfEEEEZZNS1_9scan_implILNS1_25lookback_scan_determinismE0ELb0ELb0ES3_PKS7_PS7_S7_ZZZN2at6native31launch_logcumsumexp_cuda_kernelERKNSE_10TensorBaseESI_lENKUlvE_clEvENKUlvE2_clEvEUlS7_S7_E_S7_EEDaPvRmT3_T4_T5_mT6_P12ihipStream_tbENKUlT_T0_E_clISt17integral_constantIbLb1EESZ_EEDaSU_SV_EUlSU_E_NS1_11comp_targetILNS1_3genE10ELNS1_11target_archE1201ELNS1_3gpuE5ELNS1_3repE0EEENS1_30default_config_static_selectorELNS0_4arch9wavefront6targetE0EEEvT1_,@function
_ZN7rocprim17ROCPRIM_400000_NS6detail17trampoline_kernelINS0_14default_configENS1_20scan_config_selectorIN3c107complexIfEEEEZZNS1_9scan_implILNS1_25lookback_scan_determinismE0ELb0ELb0ES3_PKS7_PS7_S7_ZZZN2at6native31launch_logcumsumexp_cuda_kernelERKNSE_10TensorBaseESI_lENKUlvE_clEvENKUlvE2_clEvEUlS7_S7_E_S7_EEDaPvRmT3_T4_T5_mT6_P12ihipStream_tbENKUlT_T0_E_clISt17integral_constantIbLb1EESZ_EEDaSU_SV_EUlSU_E_NS1_11comp_targetILNS1_3genE10ELNS1_11target_archE1201ELNS1_3gpuE5ELNS1_3repE0EEENS1_30default_config_static_selectorELNS0_4arch9wavefront6targetE0EEEvT1_: ; @_ZN7rocprim17ROCPRIM_400000_NS6detail17trampoline_kernelINS0_14default_configENS1_20scan_config_selectorIN3c107complexIfEEEEZZNS1_9scan_implILNS1_25lookback_scan_determinismE0ELb0ELb0ES3_PKS7_PS7_S7_ZZZN2at6native31launch_logcumsumexp_cuda_kernelERKNSE_10TensorBaseESI_lENKUlvE_clEvENKUlvE2_clEvEUlS7_S7_E_S7_EEDaPvRmT3_T4_T5_mT6_P12ihipStream_tbENKUlT_T0_E_clISt17integral_constantIbLb1EESZ_EEDaSU_SV_EUlSU_E_NS1_11comp_targetILNS1_3genE10ELNS1_11target_archE1201ELNS1_3gpuE5ELNS1_3repE0EEENS1_30default_config_static_selectorELNS0_4arch9wavefront6targetE0EEEvT1_
; %bb.0:
	.section	.rodata,"a",@progbits
	.p2align	6, 0x0
	.amdhsa_kernel _ZN7rocprim17ROCPRIM_400000_NS6detail17trampoline_kernelINS0_14default_configENS1_20scan_config_selectorIN3c107complexIfEEEEZZNS1_9scan_implILNS1_25lookback_scan_determinismE0ELb0ELb0ES3_PKS7_PS7_S7_ZZZN2at6native31launch_logcumsumexp_cuda_kernelERKNSE_10TensorBaseESI_lENKUlvE_clEvENKUlvE2_clEvEUlS7_S7_E_S7_EEDaPvRmT3_T4_T5_mT6_P12ihipStream_tbENKUlT_T0_E_clISt17integral_constantIbLb1EESZ_EEDaSU_SV_EUlSU_E_NS1_11comp_targetILNS1_3genE10ELNS1_11target_archE1201ELNS1_3gpuE5ELNS1_3repE0EEENS1_30default_config_static_selectorELNS0_4arch9wavefront6targetE0EEEvT1_
		.amdhsa_group_segment_fixed_size 0
		.amdhsa_private_segment_fixed_size 0
		.amdhsa_kernarg_size 104
		.amdhsa_user_sgpr_count 15
		.amdhsa_user_sgpr_dispatch_ptr 0
		.amdhsa_user_sgpr_queue_ptr 0
		.amdhsa_user_sgpr_kernarg_segment_ptr 1
		.amdhsa_user_sgpr_dispatch_id 0
		.amdhsa_user_sgpr_private_segment_size 0
		.amdhsa_wavefront_size32 1
		.amdhsa_uses_dynamic_stack 0
		.amdhsa_enable_private_segment 0
		.amdhsa_system_sgpr_workgroup_id_x 1
		.amdhsa_system_sgpr_workgroup_id_y 0
		.amdhsa_system_sgpr_workgroup_id_z 0
		.amdhsa_system_sgpr_workgroup_info 0
		.amdhsa_system_vgpr_workitem_id 0
		.amdhsa_next_free_vgpr 1
		.amdhsa_next_free_sgpr 1
		.amdhsa_reserve_vcc 0
		.amdhsa_float_round_mode_32 0
		.amdhsa_float_round_mode_16_64 0
		.amdhsa_float_denorm_mode_32 3
		.amdhsa_float_denorm_mode_16_64 3
		.amdhsa_dx10_clamp 1
		.amdhsa_ieee_mode 1
		.amdhsa_fp16_overflow 0
		.amdhsa_workgroup_processor_mode 1
		.amdhsa_memory_ordered 1
		.amdhsa_forward_progress 0
		.amdhsa_shared_vgpr_count 0
		.amdhsa_exception_fp_ieee_invalid_op 0
		.amdhsa_exception_fp_denorm_src 0
		.amdhsa_exception_fp_ieee_div_zero 0
		.amdhsa_exception_fp_ieee_overflow 0
		.amdhsa_exception_fp_ieee_underflow 0
		.amdhsa_exception_fp_ieee_inexact 0
		.amdhsa_exception_int_div_zero 0
	.end_amdhsa_kernel
	.section	.text._ZN7rocprim17ROCPRIM_400000_NS6detail17trampoline_kernelINS0_14default_configENS1_20scan_config_selectorIN3c107complexIfEEEEZZNS1_9scan_implILNS1_25lookback_scan_determinismE0ELb0ELb0ES3_PKS7_PS7_S7_ZZZN2at6native31launch_logcumsumexp_cuda_kernelERKNSE_10TensorBaseESI_lENKUlvE_clEvENKUlvE2_clEvEUlS7_S7_E_S7_EEDaPvRmT3_T4_T5_mT6_P12ihipStream_tbENKUlT_T0_E_clISt17integral_constantIbLb1EESZ_EEDaSU_SV_EUlSU_E_NS1_11comp_targetILNS1_3genE10ELNS1_11target_archE1201ELNS1_3gpuE5ELNS1_3repE0EEENS1_30default_config_static_selectorELNS0_4arch9wavefront6targetE0EEEvT1_,"axG",@progbits,_ZN7rocprim17ROCPRIM_400000_NS6detail17trampoline_kernelINS0_14default_configENS1_20scan_config_selectorIN3c107complexIfEEEEZZNS1_9scan_implILNS1_25lookback_scan_determinismE0ELb0ELb0ES3_PKS7_PS7_S7_ZZZN2at6native31launch_logcumsumexp_cuda_kernelERKNSE_10TensorBaseESI_lENKUlvE_clEvENKUlvE2_clEvEUlS7_S7_E_S7_EEDaPvRmT3_T4_T5_mT6_P12ihipStream_tbENKUlT_T0_E_clISt17integral_constantIbLb1EESZ_EEDaSU_SV_EUlSU_E_NS1_11comp_targetILNS1_3genE10ELNS1_11target_archE1201ELNS1_3gpuE5ELNS1_3repE0EEENS1_30default_config_static_selectorELNS0_4arch9wavefront6targetE0EEEvT1_,comdat
.Lfunc_end300:
	.size	_ZN7rocprim17ROCPRIM_400000_NS6detail17trampoline_kernelINS0_14default_configENS1_20scan_config_selectorIN3c107complexIfEEEEZZNS1_9scan_implILNS1_25lookback_scan_determinismE0ELb0ELb0ES3_PKS7_PS7_S7_ZZZN2at6native31launch_logcumsumexp_cuda_kernelERKNSE_10TensorBaseESI_lENKUlvE_clEvENKUlvE2_clEvEUlS7_S7_E_S7_EEDaPvRmT3_T4_T5_mT6_P12ihipStream_tbENKUlT_T0_E_clISt17integral_constantIbLb1EESZ_EEDaSU_SV_EUlSU_E_NS1_11comp_targetILNS1_3genE10ELNS1_11target_archE1201ELNS1_3gpuE5ELNS1_3repE0EEENS1_30default_config_static_selectorELNS0_4arch9wavefront6targetE0EEEvT1_, .Lfunc_end300-_ZN7rocprim17ROCPRIM_400000_NS6detail17trampoline_kernelINS0_14default_configENS1_20scan_config_selectorIN3c107complexIfEEEEZZNS1_9scan_implILNS1_25lookback_scan_determinismE0ELb0ELb0ES3_PKS7_PS7_S7_ZZZN2at6native31launch_logcumsumexp_cuda_kernelERKNSE_10TensorBaseESI_lENKUlvE_clEvENKUlvE2_clEvEUlS7_S7_E_S7_EEDaPvRmT3_T4_T5_mT6_P12ihipStream_tbENKUlT_T0_E_clISt17integral_constantIbLb1EESZ_EEDaSU_SV_EUlSU_E_NS1_11comp_targetILNS1_3genE10ELNS1_11target_archE1201ELNS1_3gpuE5ELNS1_3repE0EEENS1_30default_config_static_selectorELNS0_4arch9wavefront6targetE0EEEvT1_
                                        ; -- End function
	.section	.AMDGPU.csdata,"",@progbits
; Kernel info:
; codeLenInByte = 0
; NumSgprs: 0
; NumVgprs: 0
; ScratchSize: 0
; MemoryBound: 0
; FloatMode: 240
; IeeeMode: 1
; LDSByteSize: 0 bytes/workgroup (compile time only)
; SGPRBlocks: 0
; VGPRBlocks: 0
; NumSGPRsForWavesPerEU: 1
; NumVGPRsForWavesPerEU: 1
; Occupancy: 16
; WaveLimiterHint : 0
; COMPUTE_PGM_RSRC2:SCRATCH_EN: 0
; COMPUTE_PGM_RSRC2:USER_SGPR: 15
; COMPUTE_PGM_RSRC2:TRAP_HANDLER: 0
; COMPUTE_PGM_RSRC2:TGID_X_EN: 1
; COMPUTE_PGM_RSRC2:TGID_Y_EN: 0
; COMPUTE_PGM_RSRC2:TGID_Z_EN: 0
; COMPUTE_PGM_RSRC2:TIDIG_COMP_CNT: 0
	.section	.text._ZN7rocprim17ROCPRIM_400000_NS6detail17trampoline_kernelINS0_14default_configENS1_20scan_config_selectorIN3c107complexIfEEEEZZNS1_9scan_implILNS1_25lookback_scan_determinismE0ELb0ELb0ES3_PKS7_PS7_S7_ZZZN2at6native31launch_logcumsumexp_cuda_kernelERKNSE_10TensorBaseESI_lENKUlvE_clEvENKUlvE2_clEvEUlS7_S7_E_S7_EEDaPvRmT3_T4_T5_mT6_P12ihipStream_tbENKUlT_T0_E_clISt17integral_constantIbLb1EESZ_EEDaSU_SV_EUlSU_E_NS1_11comp_targetILNS1_3genE10ELNS1_11target_archE1200ELNS1_3gpuE4ELNS1_3repE0EEENS1_30default_config_static_selectorELNS0_4arch9wavefront6targetE0EEEvT1_,"axG",@progbits,_ZN7rocprim17ROCPRIM_400000_NS6detail17trampoline_kernelINS0_14default_configENS1_20scan_config_selectorIN3c107complexIfEEEEZZNS1_9scan_implILNS1_25lookback_scan_determinismE0ELb0ELb0ES3_PKS7_PS7_S7_ZZZN2at6native31launch_logcumsumexp_cuda_kernelERKNSE_10TensorBaseESI_lENKUlvE_clEvENKUlvE2_clEvEUlS7_S7_E_S7_EEDaPvRmT3_T4_T5_mT6_P12ihipStream_tbENKUlT_T0_E_clISt17integral_constantIbLb1EESZ_EEDaSU_SV_EUlSU_E_NS1_11comp_targetILNS1_3genE10ELNS1_11target_archE1200ELNS1_3gpuE4ELNS1_3repE0EEENS1_30default_config_static_selectorELNS0_4arch9wavefront6targetE0EEEvT1_,comdat
	.globl	_ZN7rocprim17ROCPRIM_400000_NS6detail17trampoline_kernelINS0_14default_configENS1_20scan_config_selectorIN3c107complexIfEEEEZZNS1_9scan_implILNS1_25lookback_scan_determinismE0ELb0ELb0ES3_PKS7_PS7_S7_ZZZN2at6native31launch_logcumsumexp_cuda_kernelERKNSE_10TensorBaseESI_lENKUlvE_clEvENKUlvE2_clEvEUlS7_S7_E_S7_EEDaPvRmT3_T4_T5_mT6_P12ihipStream_tbENKUlT_T0_E_clISt17integral_constantIbLb1EESZ_EEDaSU_SV_EUlSU_E_NS1_11comp_targetILNS1_3genE10ELNS1_11target_archE1200ELNS1_3gpuE4ELNS1_3repE0EEENS1_30default_config_static_selectorELNS0_4arch9wavefront6targetE0EEEvT1_ ; -- Begin function _ZN7rocprim17ROCPRIM_400000_NS6detail17trampoline_kernelINS0_14default_configENS1_20scan_config_selectorIN3c107complexIfEEEEZZNS1_9scan_implILNS1_25lookback_scan_determinismE0ELb0ELb0ES3_PKS7_PS7_S7_ZZZN2at6native31launch_logcumsumexp_cuda_kernelERKNSE_10TensorBaseESI_lENKUlvE_clEvENKUlvE2_clEvEUlS7_S7_E_S7_EEDaPvRmT3_T4_T5_mT6_P12ihipStream_tbENKUlT_T0_E_clISt17integral_constantIbLb1EESZ_EEDaSU_SV_EUlSU_E_NS1_11comp_targetILNS1_3genE10ELNS1_11target_archE1200ELNS1_3gpuE4ELNS1_3repE0EEENS1_30default_config_static_selectorELNS0_4arch9wavefront6targetE0EEEvT1_
	.p2align	8
	.type	_ZN7rocprim17ROCPRIM_400000_NS6detail17trampoline_kernelINS0_14default_configENS1_20scan_config_selectorIN3c107complexIfEEEEZZNS1_9scan_implILNS1_25lookback_scan_determinismE0ELb0ELb0ES3_PKS7_PS7_S7_ZZZN2at6native31launch_logcumsumexp_cuda_kernelERKNSE_10TensorBaseESI_lENKUlvE_clEvENKUlvE2_clEvEUlS7_S7_E_S7_EEDaPvRmT3_T4_T5_mT6_P12ihipStream_tbENKUlT_T0_E_clISt17integral_constantIbLb1EESZ_EEDaSU_SV_EUlSU_E_NS1_11comp_targetILNS1_3genE10ELNS1_11target_archE1200ELNS1_3gpuE4ELNS1_3repE0EEENS1_30default_config_static_selectorELNS0_4arch9wavefront6targetE0EEEvT1_,@function
_ZN7rocprim17ROCPRIM_400000_NS6detail17trampoline_kernelINS0_14default_configENS1_20scan_config_selectorIN3c107complexIfEEEEZZNS1_9scan_implILNS1_25lookback_scan_determinismE0ELb0ELb0ES3_PKS7_PS7_S7_ZZZN2at6native31launch_logcumsumexp_cuda_kernelERKNSE_10TensorBaseESI_lENKUlvE_clEvENKUlvE2_clEvEUlS7_S7_E_S7_EEDaPvRmT3_T4_T5_mT6_P12ihipStream_tbENKUlT_T0_E_clISt17integral_constantIbLb1EESZ_EEDaSU_SV_EUlSU_E_NS1_11comp_targetILNS1_3genE10ELNS1_11target_archE1200ELNS1_3gpuE4ELNS1_3repE0EEENS1_30default_config_static_selectorELNS0_4arch9wavefront6targetE0EEEvT1_: ; @_ZN7rocprim17ROCPRIM_400000_NS6detail17trampoline_kernelINS0_14default_configENS1_20scan_config_selectorIN3c107complexIfEEEEZZNS1_9scan_implILNS1_25lookback_scan_determinismE0ELb0ELb0ES3_PKS7_PS7_S7_ZZZN2at6native31launch_logcumsumexp_cuda_kernelERKNSE_10TensorBaseESI_lENKUlvE_clEvENKUlvE2_clEvEUlS7_S7_E_S7_EEDaPvRmT3_T4_T5_mT6_P12ihipStream_tbENKUlT_T0_E_clISt17integral_constantIbLb1EESZ_EEDaSU_SV_EUlSU_E_NS1_11comp_targetILNS1_3genE10ELNS1_11target_archE1200ELNS1_3gpuE4ELNS1_3repE0EEENS1_30default_config_static_selectorELNS0_4arch9wavefront6targetE0EEEvT1_
; %bb.0:
	.section	.rodata,"a",@progbits
	.p2align	6, 0x0
	.amdhsa_kernel _ZN7rocprim17ROCPRIM_400000_NS6detail17trampoline_kernelINS0_14default_configENS1_20scan_config_selectorIN3c107complexIfEEEEZZNS1_9scan_implILNS1_25lookback_scan_determinismE0ELb0ELb0ES3_PKS7_PS7_S7_ZZZN2at6native31launch_logcumsumexp_cuda_kernelERKNSE_10TensorBaseESI_lENKUlvE_clEvENKUlvE2_clEvEUlS7_S7_E_S7_EEDaPvRmT3_T4_T5_mT6_P12ihipStream_tbENKUlT_T0_E_clISt17integral_constantIbLb1EESZ_EEDaSU_SV_EUlSU_E_NS1_11comp_targetILNS1_3genE10ELNS1_11target_archE1200ELNS1_3gpuE4ELNS1_3repE0EEENS1_30default_config_static_selectorELNS0_4arch9wavefront6targetE0EEEvT1_
		.amdhsa_group_segment_fixed_size 0
		.amdhsa_private_segment_fixed_size 0
		.amdhsa_kernarg_size 104
		.amdhsa_user_sgpr_count 15
		.amdhsa_user_sgpr_dispatch_ptr 0
		.amdhsa_user_sgpr_queue_ptr 0
		.amdhsa_user_sgpr_kernarg_segment_ptr 1
		.amdhsa_user_sgpr_dispatch_id 0
		.amdhsa_user_sgpr_private_segment_size 0
		.amdhsa_wavefront_size32 1
		.amdhsa_uses_dynamic_stack 0
		.amdhsa_enable_private_segment 0
		.amdhsa_system_sgpr_workgroup_id_x 1
		.amdhsa_system_sgpr_workgroup_id_y 0
		.amdhsa_system_sgpr_workgroup_id_z 0
		.amdhsa_system_sgpr_workgroup_info 0
		.amdhsa_system_vgpr_workitem_id 0
		.amdhsa_next_free_vgpr 1
		.amdhsa_next_free_sgpr 1
		.amdhsa_reserve_vcc 0
		.amdhsa_float_round_mode_32 0
		.amdhsa_float_round_mode_16_64 0
		.amdhsa_float_denorm_mode_32 3
		.amdhsa_float_denorm_mode_16_64 3
		.amdhsa_dx10_clamp 1
		.amdhsa_ieee_mode 1
		.amdhsa_fp16_overflow 0
		.amdhsa_workgroup_processor_mode 1
		.amdhsa_memory_ordered 1
		.amdhsa_forward_progress 0
		.amdhsa_shared_vgpr_count 0
		.amdhsa_exception_fp_ieee_invalid_op 0
		.amdhsa_exception_fp_denorm_src 0
		.amdhsa_exception_fp_ieee_div_zero 0
		.amdhsa_exception_fp_ieee_overflow 0
		.amdhsa_exception_fp_ieee_underflow 0
		.amdhsa_exception_fp_ieee_inexact 0
		.amdhsa_exception_int_div_zero 0
	.end_amdhsa_kernel
	.section	.text._ZN7rocprim17ROCPRIM_400000_NS6detail17trampoline_kernelINS0_14default_configENS1_20scan_config_selectorIN3c107complexIfEEEEZZNS1_9scan_implILNS1_25lookback_scan_determinismE0ELb0ELb0ES3_PKS7_PS7_S7_ZZZN2at6native31launch_logcumsumexp_cuda_kernelERKNSE_10TensorBaseESI_lENKUlvE_clEvENKUlvE2_clEvEUlS7_S7_E_S7_EEDaPvRmT3_T4_T5_mT6_P12ihipStream_tbENKUlT_T0_E_clISt17integral_constantIbLb1EESZ_EEDaSU_SV_EUlSU_E_NS1_11comp_targetILNS1_3genE10ELNS1_11target_archE1200ELNS1_3gpuE4ELNS1_3repE0EEENS1_30default_config_static_selectorELNS0_4arch9wavefront6targetE0EEEvT1_,"axG",@progbits,_ZN7rocprim17ROCPRIM_400000_NS6detail17trampoline_kernelINS0_14default_configENS1_20scan_config_selectorIN3c107complexIfEEEEZZNS1_9scan_implILNS1_25lookback_scan_determinismE0ELb0ELb0ES3_PKS7_PS7_S7_ZZZN2at6native31launch_logcumsumexp_cuda_kernelERKNSE_10TensorBaseESI_lENKUlvE_clEvENKUlvE2_clEvEUlS7_S7_E_S7_EEDaPvRmT3_T4_T5_mT6_P12ihipStream_tbENKUlT_T0_E_clISt17integral_constantIbLb1EESZ_EEDaSU_SV_EUlSU_E_NS1_11comp_targetILNS1_3genE10ELNS1_11target_archE1200ELNS1_3gpuE4ELNS1_3repE0EEENS1_30default_config_static_selectorELNS0_4arch9wavefront6targetE0EEEvT1_,comdat
.Lfunc_end301:
	.size	_ZN7rocprim17ROCPRIM_400000_NS6detail17trampoline_kernelINS0_14default_configENS1_20scan_config_selectorIN3c107complexIfEEEEZZNS1_9scan_implILNS1_25lookback_scan_determinismE0ELb0ELb0ES3_PKS7_PS7_S7_ZZZN2at6native31launch_logcumsumexp_cuda_kernelERKNSE_10TensorBaseESI_lENKUlvE_clEvENKUlvE2_clEvEUlS7_S7_E_S7_EEDaPvRmT3_T4_T5_mT6_P12ihipStream_tbENKUlT_T0_E_clISt17integral_constantIbLb1EESZ_EEDaSU_SV_EUlSU_E_NS1_11comp_targetILNS1_3genE10ELNS1_11target_archE1200ELNS1_3gpuE4ELNS1_3repE0EEENS1_30default_config_static_selectorELNS0_4arch9wavefront6targetE0EEEvT1_, .Lfunc_end301-_ZN7rocprim17ROCPRIM_400000_NS6detail17trampoline_kernelINS0_14default_configENS1_20scan_config_selectorIN3c107complexIfEEEEZZNS1_9scan_implILNS1_25lookback_scan_determinismE0ELb0ELb0ES3_PKS7_PS7_S7_ZZZN2at6native31launch_logcumsumexp_cuda_kernelERKNSE_10TensorBaseESI_lENKUlvE_clEvENKUlvE2_clEvEUlS7_S7_E_S7_EEDaPvRmT3_T4_T5_mT6_P12ihipStream_tbENKUlT_T0_E_clISt17integral_constantIbLb1EESZ_EEDaSU_SV_EUlSU_E_NS1_11comp_targetILNS1_3genE10ELNS1_11target_archE1200ELNS1_3gpuE4ELNS1_3repE0EEENS1_30default_config_static_selectorELNS0_4arch9wavefront6targetE0EEEvT1_
                                        ; -- End function
	.section	.AMDGPU.csdata,"",@progbits
; Kernel info:
; codeLenInByte = 0
; NumSgprs: 0
; NumVgprs: 0
; ScratchSize: 0
; MemoryBound: 0
; FloatMode: 240
; IeeeMode: 1
; LDSByteSize: 0 bytes/workgroup (compile time only)
; SGPRBlocks: 0
; VGPRBlocks: 0
; NumSGPRsForWavesPerEU: 1
; NumVGPRsForWavesPerEU: 1
; Occupancy: 16
; WaveLimiterHint : 0
; COMPUTE_PGM_RSRC2:SCRATCH_EN: 0
; COMPUTE_PGM_RSRC2:USER_SGPR: 15
; COMPUTE_PGM_RSRC2:TRAP_HANDLER: 0
; COMPUTE_PGM_RSRC2:TGID_X_EN: 1
; COMPUTE_PGM_RSRC2:TGID_Y_EN: 0
; COMPUTE_PGM_RSRC2:TGID_Z_EN: 0
; COMPUTE_PGM_RSRC2:TIDIG_COMP_CNT: 0
	.section	.text._ZN7rocprim17ROCPRIM_400000_NS6detail17trampoline_kernelINS0_14default_configENS1_20scan_config_selectorIN3c107complexIfEEEEZZNS1_9scan_implILNS1_25lookback_scan_determinismE0ELb0ELb0ES3_PKS7_PS7_S7_ZZZN2at6native31launch_logcumsumexp_cuda_kernelERKNSE_10TensorBaseESI_lENKUlvE_clEvENKUlvE2_clEvEUlS7_S7_E_S7_EEDaPvRmT3_T4_T5_mT6_P12ihipStream_tbENKUlT_T0_E_clISt17integral_constantIbLb1EESZ_EEDaSU_SV_EUlSU_E_NS1_11comp_targetILNS1_3genE9ELNS1_11target_archE1100ELNS1_3gpuE3ELNS1_3repE0EEENS1_30default_config_static_selectorELNS0_4arch9wavefront6targetE0EEEvT1_,"axG",@progbits,_ZN7rocprim17ROCPRIM_400000_NS6detail17trampoline_kernelINS0_14default_configENS1_20scan_config_selectorIN3c107complexIfEEEEZZNS1_9scan_implILNS1_25lookback_scan_determinismE0ELb0ELb0ES3_PKS7_PS7_S7_ZZZN2at6native31launch_logcumsumexp_cuda_kernelERKNSE_10TensorBaseESI_lENKUlvE_clEvENKUlvE2_clEvEUlS7_S7_E_S7_EEDaPvRmT3_T4_T5_mT6_P12ihipStream_tbENKUlT_T0_E_clISt17integral_constantIbLb1EESZ_EEDaSU_SV_EUlSU_E_NS1_11comp_targetILNS1_3genE9ELNS1_11target_archE1100ELNS1_3gpuE3ELNS1_3repE0EEENS1_30default_config_static_selectorELNS0_4arch9wavefront6targetE0EEEvT1_,comdat
	.globl	_ZN7rocprim17ROCPRIM_400000_NS6detail17trampoline_kernelINS0_14default_configENS1_20scan_config_selectorIN3c107complexIfEEEEZZNS1_9scan_implILNS1_25lookback_scan_determinismE0ELb0ELb0ES3_PKS7_PS7_S7_ZZZN2at6native31launch_logcumsumexp_cuda_kernelERKNSE_10TensorBaseESI_lENKUlvE_clEvENKUlvE2_clEvEUlS7_S7_E_S7_EEDaPvRmT3_T4_T5_mT6_P12ihipStream_tbENKUlT_T0_E_clISt17integral_constantIbLb1EESZ_EEDaSU_SV_EUlSU_E_NS1_11comp_targetILNS1_3genE9ELNS1_11target_archE1100ELNS1_3gpuE3ELNS1_3repE0EEENS1_30default_config_static_selectorELNS0_4arch9wavefront6targetE0EEEvT1_ ; -- Begin function _ZN7rocprim17ROCPRIM_400000_NS6detail17trampoline_kernelINS0_14default_configENS1_20scan_config_selectorIN3c107complexIfEEEEZZNS1_9scan_implILNS1_25lookback_scan_determinismE0ELb0ELb0ES3_PKS7_PS7_S7_ZZZN2at6native31launch_logcumsumexp_cuda_kernelERKNSE_10TensorBaseESI_lENKUlvE_clEvENKUlvE2_clEvEUlS7_S7_E_S7_EEDaPvRmT3_T4_T5_mT6_P12ihipStream_tbENKUlT_T0_E_clISt17integral_constantIbLb1EESZ_EEDaSU_SV_EUlSU_E_NS1_11comp_targetILNS1_3genE9ELNS1_11target_archE1100ELNS1_3gpuE3ELNS1_3repE0EEENS1_30default_config_static_selectorELNS0_4arch9wavefront6targetE0EEEvT1_
	.p2align	8
	.type	_ZN7rocprim17ROCPRIM_400000_NS6detail17trampoline_kernelINS0_14default_configENS1_20scan_config_selectorIN3c107complexIfEEEEZZNS1_9scan_implILNS1_25lookback_scan_determinismE0ELb0ELb0ES3_PKS7_PS7_S7_ZZZN2at6native31launch_logcumsumexp_cuda_kernelERKNSE_10TensorBaseESI_lENKUlvE_clEvENKUlvE2_clEvEUlS7_S7_E_S7_EEDaPvRmT3_T4_T5_mT6_P12ihipStream_tbENKUlT_T0_E_clISt17integral_constantIbLb1EESZ_EEDaSU_SV_EUlSU_E_NS1_11comp_targetILNS1_3genE9ELNS1_11target_archE1100ELNS1_3gpuE3ELNS1_3repE0EEENS1_30default_config_static_selectorELNS0_4arch9wavefront6targetE0EEEvT1_,@function
_ZN7rocprim17ROCPRIM_400000_NS6detail17trampoline_kernelINS0_14default_configENS1_20scan_config_selectorIN3c107complexIfEEEEZZNS1_9scan_implILNS1_25lookback_scan_determinismE0ELb0ELb0ES3_PKS7_PS7_S7_ZZZN2at6native31launch_logcumsumexp_cuda_kernelERKNSE_10TensorBaseESI_lENKUlvE_clEvENKUlvE2_clEvEUlS7_S7_E_S7_EEDaPvRmT3_T4_T5_mT6_P12ihipStream_tbENKUlT_T0_E_clISt17integral_constantIbLb1EESZ_EEDaSU_SV_EUlSU_E_NS1_11comp_targetILNS1_3genE9ELNS1_11target_archE1100ELNS1_3gpuE3ELNS1_3repE0EEENS1_30default_config_static_selectorELNS0_4arch9wavefront6targetE0EEEvT1_: ; @_ZN7rocprim17ROCPRIM_400000_NS6detail17trampoline_kernelINS0_14default_configENS1_20scan_config_selectorIN3c107complexIfEEEEZZNS1_9scan_implILNS1_25lookback_scan_determinismE0ELb0ELb0ES3_PKS7_PS7_S7_ZZZN2at6native31launch_logcumsumexp_cuda_kernelERKNSE_10TensorBaseESI_lENKUlvE_clEvENKUlvE2_clEvEUlS7_S7_E_S7_EEDaPvRmT3_T4_T5_mT6_P12ihipStream_tbENKUlT_T0_E_clISt17integral_constantIbLb1EESZ_EEDaSU_SV_EUlSU_E_NS1_11comp_targetILNS1_3genE9ELNS1_11target_archE1100ELNS1_3gpuE3ELNS1_3repE0EEENS1_30default_config_static_selectorELNS0_4arch9wavefront6targetE0EEEvT1_
; %bb.0:
	s_load_b64 s[28:29], s[0:1], 0x30
	v_mov_b32_e32 v59, v0
	s_mov_b32 s32, 0
	s_delay_alu instid0(VALU_DEP_1) | instskip(SKIP_1) | instid1(VALU_DEP_1)
	v_cmp_ne_u32_e64 s9, 0, v59
	v_cmp_eq_u32_e64 s10, 0, v59
	s_and_saveexec_b32 s2, s10
	s_cbranch_execz .LBB302_4
; %bb.1:
	s_mov_b32 s4, exec_lo
	s_mov_b32 s3, exec_lo
	v_mbcnt_lo_u32_b32 v0, s4, 0
                                        ; implicit-def: $vgpr1
	s_delay_alu instid0(VALU_DEP_1)
	v_cmpx_eq_u32_e32 0, v0
	s_cbranch_execz .LBB302_3
; %bb.2:
	s_load_b64 s[6:7], s[0:1], 0x60
	s_bcnt1_i32_b32 s4, s4
	s_delay_alu instid0(SALU_CYCLE_1)
	v_dual_mov_b32 v1, 0 :: v_dual_mov_b32 v2, s4
	s_waitcnt lgkmcnt(0)
	global_atomic_add_u32 v1, v1, v2, s[6:7] glc
.LBB302_3:
	s_or_b32 exec_lo, exec_lo, s3
	s_waitcnt vmcnt(0)
	v_readfirstlane_b32 s3, v1
	s_delay_alu instid0(VALU_DEP_1)
	v_dual_mov_b32 v1, 0 :: v_dual_add_nc_u32 v0, s3, v0
	ds_store_b32 v1, v0
.LBB302_4:
	s_or_b32 exec_lo, exec_lo, s2
	v_dual_mov_b32 v0, 0 :: v_dual_lshlrev_b32 v109, 3, v59
	s_clause 0x2
	s_load_b256 s[20:27], s[0:1], 0x0
	s_load_b32 s2, s[0:1], 0x38
	s_load_b256 s[12:19], s[0:1], 0x40
	s_waitcnt lgkmcnt(0)
	s_barrier
	buffer_gl0_inv
	ds_load_b32 v0, v0
	s_mov_b32 s1, 0
	v_lshrrev_b32_e32 v32, 2, v59
	v_or_b32_e32 v108, 0x100, v59
	v_or_b32_e32 v107, 0x200, v59
	;; [unrolled: 1-line block ×11, first 2 shown]
	s_lshl_b64 s[22:23], s[22:23], 3
	v_or_b32_e32 v98, 0xc00, v59
	s_add_u32 s3, s20, s22
	s_addc_u32 s4, s21, s23
	s_add_i32 s2, s2, -1
	v_or_b32_e32 v96, 0xd00, v59
	s_waitcnt lgkmcnt(0)
	v_readfirstlane_b32 s35, v0
	s_lshl_b32 s5, s2, 12
	v_cmp_ne_u32_e64 s8, s2, v0
	v_or_b32_e32 v95, 0xe00, v59
	v_or_b32_e32 v94, 0xf00, v59
	s_lshl_b32 s0, s35, 12
	s_sub_u32 s33, s26, s5
	s_subb_u32 s34, s27, 0
	s_lshl_b64 s[20:21], s[0:1], 3
	s_mov_b32 s1, -1
	s_add_u32 s2, s3, s20
	s_addc_u32 s3, s4, s21
	s_and_b32 vcc_lo, exec_lo, s8
	s_barrier
	buffer_gl0_inv
	s_cbranch_vccz .LBB302_6
; %bb.5:
	v_add_co_u32 v26, s0, s2, v109
	s_delay_alu instid0(VALU_DEP_1)
	v_add_co_ci_u32_e64 v27, null, s3, 0, s0
	s_clause 0x1
	global_load_b64 v[0:1], v109, s[2:3]
	global_load_b64 v[2:3], v109, s[2:3] offset:2048
	v_add_co_u32 v4, vcc_lo, 0x1000, v26
	v_add_co_ci_u32_e32 v5, vcc_lo, 0, v27, vcc_lo
	v_add_co_u32 v6, vcc_lo, v26, 0x2000
	v_add_co_ci_u32_e32 v7, vcc_lo, 0, v27, vcc_lo
	;; [unrolled: 2-line block ×10, first 2 shown]
	s_clause 0xd
	global_load_b64 v[16:17], v[6:7], off offset:-4096
	global_load_b64 v[6:7], v[6:7], off
	global_load_b64 v[18:19], v[12:13], off offset:-4096
	global_load_b64 v[12:13], v[12:13], off
	global_load_b64 v[4:5], v[4:5], off offset:2048
	global_load_b64 v[8:9], v[8:9], off offset:2048
	;; [unrolled: 1-line block ×4, first 2 shown]
	global_load_b64 v[28:29], v[22:23], off offset:-4096
	global_load_b64 v[20:21], v[20:21], off offset:2048
	global_load_b64 v[22:23], v[22:23], off
	global_load_b64 v[24:25], v[24:25], off offset:2048
	global_load_b64 v[30:31], v[26:27], off
	global_load_b64 v[26:27], v[26:27], off offset:2048
	v_lshrrev_b32_e32 v34, 2, v108
	v_lshrrev_b32_e32 v35, 2, v107
	;; [unrolled: 1-line block ×4, first 2 shown]
	v_and_b32_e32 v33, 56, v32
	v_lshrrev_b32_e32 v38, 2, v104
	v_lshrrev_b32_e32 v39, 2, v103
	;; [unrolled: 1-line block ×11, first 2 shown]
	v_and_b32_e32 v34, 0x78, v34
	v_and_b32_e32 v35, 0xb8, v35
	;; [unrolled: 1-line block ×4, first 2 shown]
	v_add_nc_u32_e32 v33, v33, v109
	v_and_b32_e32 v38, 0x178, v38
	v_and_b32_e32 v39, 0x1b8, v39
	;; [unrolled: 1-line block ×11, first 2 shown]
	v_add_nc_u32_e32 v34, v34, v109
	v_add_nc_u32_e32 v35, v35, v109
	;; [unrolled: 1-line block ×4, first 2 shown]
	s_mov_b32 s1, 0
	v_add_nc_u32_e32 v38, v38, v109
	v_add_nc_u32_e32 v39, v39, v109
	;; [unrolled: 1-line block ×11, first 2 shown]
	s_waitcnt vmcnt(15)
	ds_store_b64 v33, v[0:1]
	s_waitcnt vmcnt(14)
	ds_store_b64 v34, v[2:3] offset:2048
	s_waitcnt vmcnt(13)
	ds_store_b64 v35, v[16:17] offset:4096
	;; [unrolled: 2-line block ×3, first 2 shown]
	ds_store_b64 v37, v[6:7] offset:8192
	s_waitcnt vmcnt(8)
	ds_store_b64 v38, v[8:9] offset:10240
	ds_store_b64 v39, v[18:19] offset:12288
	s_waitcnt vmcnt(7)
	ds_store_b64 v40, v[10:11] offset:14336
	;; [unrolled: 3-line block ×3, first 2 shown]
	s_waitcnt vmcnt(5)
	ds_store_b64 v43, v[28:29] offset:20480
	s_waitcnt vmcnt(4)
	ds_store_b64 v44, v[20:21] offset:22528
	;; [unrolled: 2-line block ×6, first 2 shown]
	s_waitcnt lgkmcnt(0)
	s_barrier
.LBB302_6:
	v_cmp_gt_u32_e64 s0, s33, v59
	s_and_not1_b32 vcc_lo, exec_lo, s1
	s_cbranch_vccnz .LBB302_40
; %bb.7:
	v_mov_b32_e32 v0, 0
	global_load_b64 v[0:1], v0, s[2:3]
	s_waitcnt vmcnt(0)
	v_dual_mov_b32 v3, v1 :: v_dual_mov_b32 v2, v0
	s_and_saveexec_b32 s1, s0
	s_cbranch_execz .LBB302_9
; %bb.8:
	global_load_b64 v[2:3], v109, s[2:3]
.LBB302_9:
	s_or_b32 exec_lo, exec_lo, s1
	v_dual_mov_b32 v5, v1 :: v_dual_mov_b32 v4, v0
	s_mov_b32 s0, exec_lo
	v_cmpx_gt_u32_e64 s33, v108
	s_cbranch_execz .LBB302_11
; %bb.10:
	global_load_b64 v[4:5], v109, s[2:3] offset:2048
.LBB302_11:
	s_or_b32 exec_lo, exec_lo, s0
	v_dual_mov_b32 v7, v1 :: v_dual_mov_b32 v6, v0
	s_mov_b32 s0, exec_lo
	v_cmpx_gt_u32_e64 s33, v107
	s_cbranch_execz .LBB302_13
; %bb.12:
	v_lshlrev_b32_e32 v6, 3, v107
	global_load_b64 v[6:7], v6, s[2:3]
.LBB302_13:
	s_or_b32 exec_lo, exec_lo, s0
	v_dual_mov_b32 v11, v1 :: v_dual_mov_b32 v10, v0
	s_mov_b32 s0, exec_lo
	v_cmpx_gt_u32_e64 s33, v106
	s_cbranch_execz .LBB302_15
; %bb.14:
	v_lshlrev_b32_e32 v8, 3, v106
	global_load_b64 v[10:11], v8, s[2:3]
.LBB302_15:
	;; [unrolled: 9-line block ×13, first 2 shown]
	s_or_b32 exec_lo, exec_lo, s0
	s_delay_alu instid0(SALU_CYCLE_1)
	s_mov_b32 s0, exec_lo
	v_cmpx_gt_u32_e64 s33, v94
	s_cbranch_execz .LBB302_39
; %bb.38:
	v_lshlrev_b32_e32 v0, 3, v94
	global_load_b64 v[0:1], v0, s[2:3]
.LBB302_39:
	s_or_b32 exec_lo, exec_lo, s0
	v_lshrrev_b32_e32 v33, 2, v108
	v_lshrrev_b32_e32 v34, 2, v107
	v_lshrrev_b32_e32 v35, 2, v106
	v_and_b32_e32 v32, 56, v32
	v_lshrrev_b32_e32 v36, 2, v105
	v_and_b32_e32 v33, 0x78, v33
	v_and_b32_e32 v34, 0xf8, v34
	;; [unrolled: 1-line block ×3, first 2 shown]
	v_lshrrev_b32_e32 v37, 2, v104
	v_add_nc_u32_e32 v32, v32, v109
	v_add_nc_u32_e32 v33, v33, v109
	v_lshrrev_b32_e32 v38, 2, v103
	v_add_nc_u32_e32 v34, v34, v109
	v_lshrrev_b32_e32 v39, 2, v102
	v_add_nc_u32_e32 v35, v35, v109
	v_and_b32_e32 v36, 0x1f8, v36
	v_and_b32_e32 v37, 0x1f8, v37
	s_waitcnt vmcnt(0)
	ds_store_b64 v32, v[2:3]
	ds_store_b64 v33, v[4:5] offset:2048
	ds_store_b64 v34, v[6:7] offset:4096
	;; [unrolled: 1-line block ×3, first 2 shown]
	v_lshrrev_b32_e32 v6, 2, v101
	v_and_b32_e32 v4, 0x1f8, v38
	v_lshrrev_b32_e32 v7, 2, v100
	v_and_b32_e32 v5, 0x1f8, v39
	v_add_nc_u32_e32 v2, v36, v109
	v_add_nc_u32_e32 v3, v37, v109
	v_and_b32_e32 v6, 0x3f8, v6
	v_add_nc_u32_e32 v4, v4, v109
	v_and_b32_e32 v7, 0x3f8, v7
	v_add_nc_u32_e32 v5, v5, v109
	v_lshrrev_b32_e32 v10, 2, v99
	ds_store_b64 v2, v[8:9] offset:8192
	ds_store_b64 v3, v[12:13] offset:10240
	;; [unrolled: 1-line block ×4, first 2 shown]
	v_lshrrev_b32_e32 v5, 2, v97
	v_add_nc_u32_e32 v2, v6, v109
	v_lshrrev_b32_e32 v6, 2, v98
	v_add_nc_u32_e32 v3, v7, v109
	v_lshrrev_b32_e32 v7, 2, v96
	v_lshrrev_b32_e32 v8, 2, v95
	;; [unrolled: 1-line block ×3, first 2 shown]
	v_and_b32_e32 v10, 0x3f8, v10
	v_and_b32_e32 v5, 0x3f8, v5
	;; [unrolled: 1-line block ×6, first 2 shown]
	v_add_nc_u32_e32 v4, v10, v109
	v_add_nc_u32_e32 v5, v5, v109
	;; [unrolled: 1-line block ×6, first 2 shown]
	ds_store_b64 v2, v[14:15] offset:16384
	ds_store_b64 v3, v[18:19] offset:18432
	;; [unrolled: 1-line block ×8, first 2 shown]
	s_waitcnt lgkmcnt(0)
	s_barrier
.LBB302_40:
	v_lshlrev_b32_e32 v0, 4, v59
	v_lshrrev_b32_e32 v110, 1, v59
	buffer_gl0_inv
	s_cmp_lg_u32 s35, 0
	v_add_lshl_u32 v0, v110, v0, 3
	ds_load_2addr_b64 v[22:25], v0 offset1:1
	ds_load_2addr_b64 v[50:53], v0 offset0:2 offset1:3
	ds_load_2addr_b64 v[46:49], v0 offset0:4 offset1:5
	;; [unrolled: 1-line block ×7, first 2 shown]
	s_waitcnt lgkmcnt(0)
	s_barrier
	buffer_gl0_inv
	s_cbranch_scc0 .LBB302_96
; %bb.41:
	v_dual_mov_b32 v0, v22 :: v_dual_mov_b32 v1, v23
	v_dual_mov_b32 v2, v24 :: v_dual_mov_b32 v3, v25
	s_getpc_b64 s[26:27]
	s_add_u32 s26, s26, _ZZZZN2at6native31launch_logcumsumexp_cuda_kernelERKNS_10TensorBaseES3_lENKUlvE_clEvENKUlvE2_clEvENKUlN3c107complexIfEES8_E_clES8_S8_@rel32@lo+4
	s_addc_u32 s27, s27, _ZZZZN2at6native31launch_logcumsumexp_cuda_kernelERKNS_10TensorBaseES3_lENKUlvE_clEvENKUlvE2_clEvENKUlN3c107complexIfEES8_E_clES8_S8_@rel32@hi+12
	s_delay_alu instid0(SALU_CYCLE_1)
	s_swappc_b64 s[30:31], s[26:27]
	v_dual_mov_b32 v2, v50 :: v_dual_mov_b32 v3, v51
	s_swappc_b64 s[30:31], s[26:27]
	v_dual_mov_b32 v2, v52 :: v_dual_mov_b32 v3, v53
	;; [unrolled: 2-line block ×15, first 2 shown]
	v_lshrrev_b32_e32 v0, 5, v59
	v_cmp_gt_u32_e64 s11, 32, v59
	s_delay_alu instid0(VALU_DEP_2)
	v_add_lshl_u32 v0, v0, v59, 3
	ds_store_b64 v0, v[60:61]
	s_waitcnt lgkmcnt(0)
	s_waitcnt_vscnt null, 0x0
	s_barrier
	buffer_gl0_inv
	s_and_saveexec_b32 s36, s11
	s_cbranch_execz .LBB302_53
; %bb.42:
	v_lshlrev_b32_e32 v0, 1, v59
	s_delay_alu instid0(VALU_DEP_1) | instskip(NEXT) | instid1(VALU_DEP_1)
	v_and_b32_e32 v0, 0x1f8, v0
	v_lshl_or_b32 v58, v59, 6, v0
	ds_load_b64 v[54:55], v58
	ds_load_2addr_b64 v[62:65], v58 offset0:1 offset1:2
	s_waitcnt lgkmcnt(0)
	v_dual_mov_b32 v0, v54 :: v_dual_mov_b32 v3, v63
	v_dual_mov_b32 v1, v55 :: v_dual_mov_b32 v2, v62
	s_swappc_b64 s[30:31], s[26:27]
	v_dual_mov_b32 v2, v64 :: v_dual_mov_b32 v3, v65
	s_swappc_b64 s[30:31], s[26:27]
	ds_load_2addr_b64 v[62:65], v58 offset0:3 offset1:4
	s_waitcnt lgkmcnt(0)
	v_dual_mov_b32 v2, v62 :: v_dual_mov_b32 v3, v63
	s_swappc_b64 s[30:31], s[26:27]
	v_dual_mov_b32 v2, v64 :: v_dual_mov_b32 v3, v65
	s_swappc_b64 s[30:31], s[26:27]
	ds_load_2addr_b64 v[62:65], v58 offset0:5 offset1:6
	s_waitcnt lgkmcnt(0)
	v_dual_mov_b32 v2, v62 :: v_dual_mov_b32 v3, v63
	s_swappc_b64 s[30:31], s[26:27]
	v_dual_mov_b32 v2, v64 :: v_dual_mov_b32 v3, v65
	s_swappc_b64 s[30:31], s[26:27]
	ds_load_b64 v[2:3], v58 offset:56
	s_swappc_b64 s[30:31], s[26:27]
	v_dual_mov_b32 v2, v0 :: v_dual_mov_b32 v3, v1
	v_mbcnt_lo_u32_b32 v56, -1, 0
	s_mov_b32 s26, exec_lo
	s_delay_alu instid0(VALU_DEP_2) | instskip(NEXT) | instid1(VALU_DEP_3)
	v_mov_b32_dpp v0, v2 row_shr:1 row_mask:0xf bank_mask:0xf
	v_mov_b32_dpp v1, v3 row_shr:1 row_mask:0xf bank_mask:0xf
	s_delay_alu instid0(VALU_DEP_3) | instskip(NEXT) | instid1(VALU_DEP_1)
	v_and_b32_e32 v57, 15, v56
	v_cmpx_ne_u32_e32 0, v57
	s_cbranch_execz .LBB302_44
; %bb.43:
	s_getpc_b64 s[0:1]
	s_add_u32 s0, s0, _ZZZZN2at6native31launch_logcumsumexp_cuda_kernelERKNS_10TensorBaseES3_lENKUlvE_clEvENKUlvE2_clEvENKUlN3c107complexIfEES8_E_clES8_S8_@rel32@lo+4
	s_addc_u32 s1, s1, _ZZZZN2at6native31launch_logcumsumexp_cuda_kernelERKNS_10TensorBaseES3_lENKUlvE_clEvENKUlvE2_clEvENKUlN3c107complexIfEES8_E_clES8_S8_@rel32@hi+12
	s_delay_alu instid0(SALU_CYCLE_1)
	s_swappc_b64 s[30:31], s[0:1]
	v_dual_mov_b32 v2, v0 :: v_dual_mov_b32 v3, v1
.LBB302_44:
	s_or_b32 exec_lo, exec_lo, s26
	s_delay_alu instid0(VALU_DEP_1) | instskip(NEXT) | instid1(VALU_DEP_2)
	v_mov_b32_dpp v0, v2 row_shr:2 row_mask:0xf bank_mask:0xf
	v_mov_b32_dpp v1, v3 row_shr:2 row_mask:0xf bank_mask:0xf
	s_mov_b32 s26, exec_lo
	v_cmpx_lt_u32_e32 1, v57
	s_cbranch_execz .LBB302_46
; %bb.45:
	s_getpc_b64 s[0:1]
	s_add_u32 s0, s0, _ZZZZN2at6native31launch_logcumsumexp_cuda_kernelERKNS_10TensorBaseES3_lENKUlvE_clEvENKUlvE2_clEvENKUlN3c107complexIfEES8_E_clES8_S8_@rel32@lo+4
	s_addc_u32 s1, s1, _ZZZZN2at6native31launch_logcumsumexp_cuda_kernelERKNS_10TensorBaseES3_lENKUlvE_clEvENKUlvE2_clEvENKUlN3c107complexIfEES8_E_clES8_S8_@rel32@hi+12
	s_delay_alu instid0(SALU_CYCLE_1)
	s_swappc_b64 s[30:31], s[0:1]
	v_dual_mov_b32 v2, v0 :: v_dual_mov_b32 v3, v1
.LBB302_46:
	s_or_b32 exec_lo, exec_lo, s26
	s_delay_alu instid0(VALU_DEP_1) | instskip(NEXT) | instid1(VALU_DEP_2)
	v_mov_b32_dpp v0, v2 row_shr:4 row_mask:0xf bank_mask:0xf
	v_mov_b32_dpp v1, v3 row_shr:4 row_mask:0xf bank_mask:0xf
	s_mov_b32 s26, exec_lo
	v_cmpx_lt_u32_e32 3, v57
	;; [unrolled: 15-line block ×3, first 2 shown]
	s_cbranch_execz .LBB302_50
; %bb.49:
	s_getpc_b64 s[0:1]
	s_add_u32 s0, s0, _ZZZZN2at6native31launch_logcumsumexp_cuda_kernelERKNS_10TensorBaseES3_lENKUlvE_clEvENKUlvE2_clEvENKUlN3c107complexIfEES8_E_clES8_S8_@rel32@lo+4
	s_addc_u32 s1, s1, _ZZZZN2at6native31launch_logcumsumexp_cuda_kernelERKNS_10TensorBaseES3_lENKUlvE_clEvENKUlvE2_clEvENKUlN3c107complexIfEES8_E_clES8_S8_@rel32@hi+12
	s_delay_alu instid0(SALU_CYCLE_1)
	s_swappc_b64 s[30:31], s[0:1]
	v_dual_mov_b32 v2, v0 :: v_dual_mov_b32 v3, v1
.LBB302_50:
	s_or_b32 exec_lo, exec_lo, s26
	ds_swizzle_b32 v0, v2 offset:swizzle(BROADCAST,32,15)
	ds_swizzle_b32 v1, v3 offset:swizzle(BROADCAST,32,15)
	v_and_b32_e32 v4, 16, v56
	s_mov_b32 s26, exec_lo
	s_delay_alu instid0(VALU_DEP_1)
	v_cmpx_ne_u32_e32 0, v4
	s_cbranch_execz .LBB302_52
; %bb.51:
	s_getpc_b64 s[0:1]
	s_add_u32 s0, s0, _ZZZZN2at6native31launch_logcumsumexp_cuda_kernelERKNS_10TensorBaseES3_lENKUlvE_clEvENKUlvE2_clEvENKUlN3c107complexIfEES8_E_clES8_S8_@rel32@lo+4
	s_addc_u32 s1, s1, _ZZZZN2at6native31launch_logcumsumexp_cuda_kernelERKNS_10TensorBaseES3_lENKUlvE_clEvENKUlvE2_clEvENKUlN3c107complexIfEES8_E_clES8_S8_@rel32@hi+12
	s_delay_alu instid0(SALU_CYCLE_1)
	s_swappc_b64 s[30:31], s[0:1]
	v_dual_mov_b32 v2, v0 :: v_dual_mov_b32 v3, v1
.LBB302_52:
	s_or_b32 exec_lo, exec_lo, s26
	s_waitcnt lgkmcnt(1)
	v_add_nc_u32_e32 v0, -1, v56
	s_getpc_b64 s[26:27]
	s_add_u32 s26, s26, _ZZZZN2at6native31launch_logcumsumexp_cuda_kernelERKNS_10TensorBaseES3_lENKUlvE_clEvENKUlvE2_clEvENKUlN3c107complexIfEES8_E_clES8_S8_@rel32@lo+4
	s_addc_u32 s27, s27, _ZZZZN2at6native31launch_logcumsumexp_cuda_kernelERKNS_10TensorBaseES3_lENKUlvE_clEvENKUlvE2_clEvENKUlN3c107complexIfEES8_E_clES8_S8_@rel32@hi+12
	s_delay_alu instid0(VALU_DEP_1) | instskip(SKIP_2) | instid1(VALU_DEP_1)
	v_cmp_gt_i32_e32 vcc_lo, 0, v0
	v_cndmask_b32_e32 v0, v0, v56, vcc_lo
	s_waitcnt lgkmcnt(0)
	v_lshlrev_b32_e32 v1, 2, v0
	ds_bpermute_b32 v0, v1, v2
	v_mov_b32_e32 v2, v54
	ds_bpermute_b32 v1, v1, v3
	v_mov_b32_e32 v3, v55
	s_swappc_b64 s[30:31], s[26:27]
	v_cndmask_b32_e64 v0, v0, v60, s10
	v_cndmask_b32_e64 v1, v1, v61, s10
	; wave barrier
	ds_store_b64 v58, v[0:1]
	; wave barrier
	ds_load_2addr_b64 v[54:57], v58 offset0:1 offset1:2
	s_waitcnt lgkmcnt(0)
	v_dual_mov_b32 v2, v54 :: v_dual_mov_b32 v3, v55
	s_swappc_b64 s[30:31], s[26:27]
	v_dual_mov_b32 v2, v56 :: v_dual_mov_b32 v3, v57
	v_dual_mov_b32 v62, v0 :: v_dual_mov_b32 v63, v1
	s_swappc_b64 s[30:31], s[26:27]
	ds_load_2addr_b64 v[54:57], v58 offset0:3 offset1:4
	ds_store_2addr_b64 v58, v[62:63], v[0:1] offset0:1 offset1:2
	s_waitcnt lgkmcnt(1)
	v_dual_mov_b32 v2, v54 :: v_dual_mov_b32 v3, v55
	s_swappc_b64 s[30:31], s[26:27]
	v_dual_mov_b32 v2, v56 :: v_dual_mov_b32 v3, v57
	v_dual_mov_b32 v62, v0 :: v_dual_mov_b32 v63, v1
	s_swappc_b64 s[30:31], s[26:27]
	ds_load_2addr_b64 v[54:57], v58 offset0:5 offset1:6
	ds_store_2addr_b64 v58, v[62:63], v[0:1] offset0:3 offset1:4
	s_waitcnt lgkmcnt(1)
	v_dual_mov_b32 v2, v54 :: v_dual_mov_b32 v3, v55
	s_swappc_b64 s[30:31], s[26:27]
	v_dual_mov_b32 v2, v56 :: v_dual_mov_b32 v3, v57
	v_dual_mov_b32 v54, v0 :: v_dual_mov_b32 v55, v1
	s_swappc_b64 s[30:31], s[26:27]
	ds_load_b64 v[2:3], v58 offset:56
	ds_store_2addr_b64 v58, v[54:55], v[0:1] offset0:5 offset1:6
	s_swappc_b64 s[30:31], s[26:27]
	ds_store_b64 v58, v[0:1] offset:56
.LBB302_53:
	s_or_b32 exec_lo, exec_lo, s36
	s_waitcnt lgkmcnt(0)
	s_waitcnt_vscnt null, 0x0
	s_barrier
	buffer_gl0_inv
	s_and_saveexec_b32 s0, s9
	s_cbranch_execz .LBB302_55
; %bb.54:
	v_add_nc_u32_e32 v0, -1, v59
	s_delay_alu instid0(VALU_DEP_1) | instskip(NEXT) | instid1(VALU_DEP_1)
	v_lshrrev_b32_e32 v1, 5, v0
	v_add_lshl_u32 v0, v1, v0, 3
	ds_load_b64 v[60:61], v0
.LBB302_55:
	s_or_b32 exec_lo, exec_lo, s0
	s_and_saveexec_b32 s26, s11
	s_cbranch_execz .LBB302_101
; %bb.56:
	v_mov_b32_e32 v57, 0
	v_mbcnt_lo_u32_b32 v67, -1, 0
	s_mov_b32 s1, 0
	ds_load_b64 v[54:55], v57 offset:2096
	v_cmp_eq_u32_e64 s11, 0, v67
	s_waitcnt lgkmcnt(0)
	v_readfirstlane_b32 s27, v55
	s_delay_alu instid0(VALU_DEP_2)
	s_and_saveexec_b32 s2, s11
	s_cbranch_execz .LBB302_58
; %bb.57:
	s_add_i32 s0, s35, 32
	s_mov_b32 s6, s1
	s_lshl_b64 s[4:5], s[0:1], 4
	s_mov_b32 s30, s1
	s_add_u32 s4, s28, s4
	s_addc_u32 s5, s29, s5
	s_and_b32 s7, s27, 0xff000000
	s_and_b32 s31, s27, 0xff0000
	v_dual_mov_b32 v0, s4 :: v_dual_mov_b32 v1, s5
	s_or_b64 s[6:7], s[30:31], s[6:7]
	s_and_b32 s31, s27, 0xff00
	v_mov_b32_e32 v56, 1
	s_or_b64 s[6:7], s[6:7], s[30:31]
	s_and_b32 s31, s27, 0xff
	s_delay_alu instid0(SALU_CYCLE_1) | instskip(NEXT) | instid1(SALU_CYCLE_1)
	s_or_b64 s[0:1], s[6:7], s[30:31]
	v_mov_b32_e32 v55, s1
	;;#ASMSTART
	global_store_dwordx4 v[0:1], v[54:57] off	
s_waitcnt vmcnt(0)
	;;#ASMEND
.LBB302_58:
	s_or_b32 exec_lo, exec_lo, s2
	v_xad_u32 v65, v67, -1, s35
	s_mov_b32 s0, exec_lo
	s_delay_alu instid0(VALU_DEP_1) | instskip(NEXT) | instid1(VALU_DEP_1)
	v_add_nc_u32_e32 v56, 32, v65
	v_lshlrev_b64 v[0:1], 4, v[56:57]
	s_delay_alu instid0(VALU_DEP_1) | instskip(NEXT) | instid1(VALU_DEP_2)
	v_add_co_u32 v0, vcc_lo, s28, v0
	v_add_co_ci_u32_e32 v1, vcc_lo, s29, v1, vcc_lo
	;;#ASMSTART
	global_load_dwordx4 v[55:58], v[0:1] off glc	
s_waitcnt vmcnt(0)
	;;#ASMEND
	v_perm_b32 v2, v56, v57, 0x70605
	v_perm_b32 v3, v56, v57, 0x1000706
	;; [unrolled: 1-line block ×3, first 2 shown]
	v_and_b32_e32 v5, 0xff, v57
	s_delay_alu instid0(VALU_DEP_4) | instskip(NEXT) | instid1(VALU_DEP_4)
	v_lshlrev_b32_e32 v2, 8, v2
	v_lshlrev_b32_e32 v3, 16, v3
	s_delay_alu instid0(VALU_DEP_4) | instskip(NEXT) | instid1(VALU_DEP_3)
	v_lshlrev_b32_e32 v4, 24, v4
	v_perm_b32 v2, v2, v56, 0xc0c0500
	s_delay_alu instid0(VALU_DEP_3) | instskip(NEXT) | instid1(VALU_DEP_1)
	v_and_b32_e32 v3, 0xff0000, v3
	v_or3_b32 v58, v2, v3, v4
	v_cmpx_eq_u16_e32 0, v5
	s_cbranch_execz .LBB302_64
; %bb.59:
	s_mov_b32 s2, 1
	s_mov_b32 s1, 0
	.p2align	6
.LBB302_60:                             ; =>This Loop Header: Depth=1
                                        ;     Child Loop BB302_61 Depth 2
	s_max_u32 s3, s2, 1
.LBB302_61:                             ;   Parent Loop BB302_60 Depth=1
                                        ; =>  This Inner Loop Header: Depth=2
	s_delay_alu instid0(SALU_CYCLE_1)
	s_add_i32 s3, s3, -1
	s_sleep 1
	s_cmp_eq_u32 s3, 0
	s_cbranch_scc0 .LBB302_61
; %bb.62:                               ;   in Loop: Header=BB302_60 Depth=1
	;;#ASMSTART
	global_load_dwordx4 v[55:58], v[0:1] off glc	
s_waitcnt vmcnt(0)
	;;#ASMEND
	v_and_b32_e32 v2, 0xff, v57
	s_cmp_lt_u32 s2, 32
	s_cselect_b32 s3, -1, 0
	s_delay_alu instid0(VALU_DEP_1) | instskip(SKIP_3) | instid1(SALU_CYCLE_1)
	v_cmp_ne_u16_e32 vcc_lo, 0, v2
	s_cmp_lg_u32 s3, 0
	s_addc_u32 s2, s2, 0
	s_or_b32 s1, vcc_lo, s1
	s_and_not1_b32 exec_lo, exec_lo, s1
	s_cbranch_execnz .LBB302_60
; %bb.63:
	s_or_b32 exec_lo, exec_lo, s1
	v_perm_b32 v0, v56, v57, 0x70605
	v_perm_b32 v1, v56, v57, 0x1000706
	;; [unrolled: 1-line block ×3, first 2 shown]
	s_delay_alu instid0(VALU_DEP_3) | instskip(NEXT) | instid1(VALU_DEP_3)
	v_lshlrev_b32_e32 v0, 8, v0
	v_lshlrev_b32_e32 v1, 16, v1
	s_delay_alu instid0(VALU_DEP_3) | instskip(NEXT) | instid1(VALU_DEP_3)
	v_lshlrev_b32_e32 v2, 24, v2
	v_perm_b32 v0, v0, v56, 0xc0c0500
	s_delay_alu instid0(VALU_DEP_3) | instskip(NEXT) | instid1(VALU_DEP_1)
	v_and_b32_e32 v1, 0xff0000, v1
	v_or3_b32 v58, v0, v1, v2
.LBB302_64:
	s_or_b32 exec_lo, exec_lo, s0
	v_cmp_ne_u32_e32 vcc_lo, 31, v67
	v_and_b32_e32 v1, 0xff, v57
	v_lshlrev_b32_e64 v69, v67, -1
	s_mov_b32 s36, exec_lo
	v_add_co_ci_u32_e32 v0, vcc_lo, 0, v67, vcc_lo
	s_delay_alu instid0(VALU_DEP_3) | instskip(NEXT) | instid1(VALU_DEP_2)
	v_cmp_eq_u16_e32 vcc_lo, 2, v1
	v_lshlrev_b32_e32 v68, 2, v0
	v_and_or_b32 v2, vcc_lo, v69, 0x80000000
	ds_bpermute_b32 v0, v68, v55
	ds_bpermute_b32 v1, v68, v58
	v_ctz_i32_b32_e32 v62, v2
	s_delay_alu instid0(VALU_DEP_1)
	v_cmpx_lt_u32_e64 v67, v62
	s_cbranch_execz .LBB302_66
; %bb.65:
	v_dual_mov_b32 v2, v55 :: v_dual_mov_b32 v3, v58
	s_getpc_b64 s[0:1]
	s_add_u32 s0, s0, _ZZZZN2at6native31launch_logcumsumexp_cuda_kernelERKNS_10TensorBaseES3_lENKUlvE_clEvENKUlvE2_clEvENKUlN3c107complexIfEES8_E_clES8_S8_@rel32@lo+4
	s_addc_u32 s1, s1, _ZZZZN2at6native31launch_logcumsumexp_cuda_kernelERKNS_10TensorBaseES3_lENKUlvE_clEvENKUlvE2_clEvENKUlN3c107complexIfEES8_E_clES8_S8_@rel32@hi+12
	s_delay_alu instid0(SALU_CYCLE_1)
	s_swappc_b64 s[30:31], s[0:1]
	v_dual_mov_b32 v55, v0 :: v_dual_mov_b32 v58, v1
.LBB302_66:
	s_or_b32 exec_lo, exec_lo, s36
	v_cmp_gt_u32_e32 vcc_lo, 30, v67
	v_add_nc_u32_e32 v71, 2, v67
	s_mov_b32 s36, exec_lo
	s_waitcnt lgkmcnt(1)
	v_cndmask_b32_e64 v0, 0, 1, vcc_lo
	s_delay_alu instid0(VALU_DEP_1) | instskip(NEXT) | instid1(VALU_DEP_1)
	v_lshlrev_b32_e32 v0, 1, v0
	v_add_lshl_u32 v70, v0, v67, 2
	ds_bpermute_b32 v0, v70, v55
	s_waitcnt lgkmcnt(1)
	ds_bpermute_b32 v1, v70, v58
	v_cmpx_le_u32_e64 v71, v62
	s_cbranch_execz .LBB302_68
; %bb.67:
	v_dual_mov_b32 v2, v55 :: v_dual_mov_b32 v3, v58
	s_getpc_b64 s[0:1]
	s_add_u32 s0, s0, _ZZZZN2at6native31launch_logcumsumexp_cuda_kernelERKNS_10TensorBaseES3_lENKUlvE_clEvENKUlvE2_clEvENKUlN3c107complexIfEES8_E_clES8_S8_@rel32@lo+4
	s_addc_u32 s1, s1, _ZZZZN2at6native31launch_logcumsumexp_cuda_kernelERKNS_10TensorBaseES3_lENKUlvE_clEvENKUlvE2_clEvENKUlN3c107complexIfEES8_E_clES8_S8_@rel32@hi+12
	s_delay_alu instid0(SALU_CYCLE_1)
	s_swappc_b64 s[30:31], s[0:1]
	v_dual_mov_b32 v55, v0 :: v_dual_mov_b32 v58, v1
.LBB302_68:
	s_or_b32 exec_lo, exec_lo, s36
	v_cmp_gt_u32_e32 vcc_lo, 28, v67
	v_add_nc_u32_e32 v73, 4, v67
	s_mov_b32 s36, exec_lo
	s_waitcnt lgkmcnt(1)
	v_cndmask_b32_e64 v0, 0, 1, vcc_lo
	s_delay_alu instid0(VALU_DEP_1) | instskip(NEXT) | instid1(VALU_DEP_1)
	v_lshlrev_b32_e32 v0, 2, v0
	v_add_lshl_u32 v72, v0, v67, 2
	ds_bpermute_b32 v0, v72, v55
	s_waitcnt lgkmcnt(1)
	ds_bpermute_b32 v1, v72, v58
	v_cmpx_le_u32_e64 v73, v62
	;; [unrolled: 23-line block ×3, first 2 shown]
	s_cbranch_execz .LBB302_72
; %bb.71:
	v_dual_mov_b32 v2, v55 :: v_dual_mov_b32 v3, v58
	s_getpc_b64 s[0:1]
	s_add_u32 s0, s0, _ZZZZN2at6native31launch_logcumsumexp_cuda_kernelERKNS_10TensorBaseES3_lENKUlvE_clEvENKUlvE2_clEvENKUlN3c107complexIfEES8_E_clES8_S8_@rel32@lo+4
	s_addc_u32 s1, s1, _ZZZZN2at6native31launch_logcumsumexp_cuda_kernelERKNS_10TensorBaseES3_lENKUlvE_clEvENKUlvE2_clEvENKUlN3c107complexIfEES8_E_clES8_S8_@rel32@hi+12
	s_delay_alu instid0(SALU_CYCLE_1)
	s_swappc_b64 s[30:31], s[0:1]
	v_dual_mov_b32 v55, v0 :: v_dual_mov_b32 v58, v1
.LBB302_72:
	s_or_b32 exec_lo, exec_lo, s36
	v_cmp_gt_u32_e32 vcc_lo, 16, v67
	s_delay_alu instid0(VALU_DEP_2)
	v_dual_mov_b32 v64, v55 :: v_dual_add_nc_u32 v77, 16, v67
	v_mov_b32_e32 v66, 0
	s_mov_b32 s37, 0
	s_waitcnt lgkmcnt(1)
	v_cndmask_b32_e64 v0, 0, 1, vcc_lo
                                        ; implicit-def: $sgpr36
	s_waitcnt lgkmcnt(0)
	v_mov_b32_e32 v1, v58
	v_cmp_gt_u32_e64 s0, v77, v62
	s_delay_alu instid0(VALU_DEP_3) | instskip(NEXT) | instid1(VALU_DEP_1)
	v_lshlrev_b32_e32 v0, 4, v0
	v_add_lshl_u32 v76, v0, v67, 2
	v_mov_b32_e32 v0, v64
	ds_bpermute_b32 v55, v76, v55
	ds_bpermute_b32 v56, v76, v58
	s_branch .LBB302_75
.LBB302_73:                             ;   in Loop: Header=BB302_75 Depth=1
	s_or_b32 exec_lo, exec_lo, s36
	v_subrev_nc_u32_e32 v65, 32, v65
	s_mov_b32 s0, 0
.LBB302_74:                             ;   in Loop: Header=BB302_75 Depth=1
	v_mov_b32_e32 v58, v63
	v_mov_b32_e32 v64, v62
	s_and_b32 vcc_lo, exec_lo, s0
	s_mov_b32 s37, 0
                                        ; implicit-def: $sgpr36
                                        ; implicit-def: $vgpr1
                                        ; implicit-def: $vgpr0
	s_cbranch_vccnz .LBB302_97
.LBB302_75:                             ; =>This Loop Header: Depth=1
                                        ;     Child Loop BB302_81 Depth 2
                                        ;       Child Loop BB302_82 Depth 3
	s_waitcnt lgkmcnt(0)
	v_dual_mov_b32 v62, v0 :: v_dual_mov_b32 v63, v1
	s_xor_b32 s2, s0, -1
	s_or_b32 s36, s36, exec_lo
                                        ; implicit-def: $sgpr1
                                        ; implicit-def: $vgpr0
                                        ; implicit-def: $vgpr1
	s_and_saveexec_b32 s3, s2
	s_delay_alu instid0(SALU_CYCLE_1)
	s_xor_b32 s38, exec_lo, s3
	s_cbranch_execz .LBB302_77
; %bb.76:                               ;   in Loop: Header=BB302_75 Depth=1
	s_waitcnt lgkmcnt(0)
	v_dual_mov_b32 v0, v55 :: v_dual_mov_b32 v1, v56
	v_dual_mov_b32 v2, v64 :: v_dual_mov_b32 v3, v58
	s_getpc_b64 s[0:1]
	s_add_u32 s0, s0, _ZZZZN2at6native31launch_logcumsumexp_cuda_kernelERKNS_10TensorBaseES3_lENKUlvE_clEvENKUlvE2_clEvENKUlN3c107complexIfEES8_E_clES8_S8_@rel32@lo+4
	s_addc_u32 s1, s1, _ZZZZN2at6native31launch_logcumsumexp_cuda_kernelERKNS_10TensorBaseES3_lENKUlvE_clEvENKUlvE2_clEvENKUlN3c107complexIfEES8_E_clES8_S8_@rel32@hi+12
	s_delay_alu instid0(SALU_CYCLE_1)
	s_swappc_b64 s[30:31], s[0:1]
	s_mov_b32 s1, -1
	s_and_not1_b32 s36, s36, exec_lo
                                        ; implicit-def: $sgpr0
.LBB302_77:                             ;   in Loop: Header=BB302_75 Depth=1
	s_or_b32 exec_lo, exec_lo, s38
	s_delay_alu instid0(SALU_CYCLE_1) | instskip(NEXT) | instid1(SALU_CYCLE_1)
	s_and_b32 s2, exec_lo, s36
	s_or_b32 s37, s2, s37
	s_and_not1_b32 s0, s0, exec_lo
	s_and_b32 s1, s1, exec_lo
	s_delay_alu instid0(SALU_CYCLE_1)
	s_or_b32 s0, s0, s1
	s_and_not1_b32 exec_lo, exec_lo, s37
	s_cbranch_execnz .LBB302_75
; %bb.78:                               ;   in Loop: Header=BB302_75 Depth=1
	s_or_b32 exec_lo, exec_lo, s37
	v_and_b32_e32 v0, 0xff, v57
	s_delay_alu instid0(VALU_DEP_1) | instskip(SKIP_2) | instid1(VALU_DEP_1)
	v_cmp_ne_u16_e32 vcc_lo, 2, v0
	v_cndmask_b32_e64 v0, 0, 1, vcc_lo
	;;#ASMSTART
	;;#ASMEND
	v_cmp_ne_u32_e32 vcc_lo, 0, v0
	s_cmp_lg_u32 vcc_lo, exec_lo
	s_cbranch_scc1 .LBB302_95
; %bb.79:                               ;   in Loop: Header=BB302_75 Depth=1
	v_lshlrev_b64 v[0:1], 4, v[65:66]
	s_mov_b32 s0, exec_lo
	s_delay_alu instid0(VALU_DEP_1) | instskip(NEXT) | instid1(VALU_DEP_2)
	v_add_co_u32 v0, vcc_lo, s28, v0
	v_add_co_ci_u32_e32 v1, vcc_lo, s29, v1, vcc_lo
	s_waitcnt lgkmcnt(0)
	;;#ASMSTART
	global_load_dwordx4 v[55:58], v[0:1] off glc	
s_waitcnt vmcnt(0)
	;;#ASMEND
	v_perm_b32 v2, v56, v57, 0x70605
	v_perm_b32 v3, v56, v57, 0x1000706
	;; [unrolled: 1-line block ×3, first 2 shown]
	v_and_b32_e32 v5, 0xff, v57
	s_delay_alu instid0(VALU_DEP_4) | instskip(NEXT) | instid1(VALU_DEP_4)
	v_lshlrev_b32_e32 v2, 8, v2
	v_lshlrev_b32_e32 v3, 16, v3
	s_delay_alu instid0(VALU_DEP_4) | instskip(NEXT) | instid1(VALU_DEP_3)
	v_lshlrev_b32_e32 v4, 24, v4
	v_perm_b32 v2, v2, v56, 0xc0c0500
	s_delay_alu instid0(VALU_DEP_3) | instskip(NEXT) | instid1(VALU_DEP_1)
	v_and_b32_e32 v3, 0xff0000, v3
	v_or3_b32 v56, v2, v3, v4
	v_cmpx_eq_u16_e32 0, v5
	s_cbranch_execz .LBB302_85
; %bb.80:                               ;   in Loop: Header=BB302_75 Depth=1
	s_mov_b32 s2, 1
	s_mov_b32 s1, 0
	.p2align	6
.LBB302_81:                             ;   Parent Loop BB302_75 Depth=1
                                        ; =>  This Loop Header: Depth=2
                                        ;       Child Loop BB302_82 Depth 3
	s_max_u32 s3, s2, 1
.LBB302_82:                             ;   Parent Loop BB302_75 Depth=1
                                        ;     Parent Loop BB302_81 Depth=2
                                        ; =>    This Inner Loop Header: Depth=3
	s_delay_alu instid0(SALU_CYCLE_1)
	s_add_i32 s3, s3, -1
	s_sleep 1
	s_cmp_eq_u32 s3, 0
	s_cbranch_scc0 .LBB302_82
; %bb.83:                               ;   in Loop: Header=BB302_81 Depth=2
	;;#ASMSTART
	global_load_dwordx4 v[55:58], v[0:1] off glc	
s_waitcnt vmcnt(0)
	;;#ASMEND
	v_and_b32_e32 v2, 0xff, v57
	s_cmp_lt_u32 s2, 32
	s_cselect_b32 s3, -1, 0
	s_delay_alu instid0(VALU_DEP_1) | instskip(SKIP_3) | instid1(SALU_CYCLE_1)
	v_cmp_ne_u16_e32 vcc_lo, 0, v2
	s_cmp_lg_u32 s3, 0
	s_addc_u32 s2, s2, 0
	s_or_b32 s1, vcc_lo, s1
	s_and_not1_b32 exec_lo, exec_lo, s1
	s_cbranch_execnz .LBB302_81
; %bb.84:                               ;   in Loop: Header=BB302_75 Depth=1
	s_or_b32 exec_lo, exec_lo, s1
	v_perm_b32 v0, v56, v57, 0x70605
	v_perm_b32 v1, v56, v57, 0x1000706
	;; [unrolled: 1-line block ×3, first 2 shown]
	s_delay_alu instid0(VALU_DEP_3) | instskip(NEXT) | instid1(VALU_DEP_3)
	v_lshlrev_b32_e32 v0, 8, v0
	v_lshlrev_b32_e32 v1, 16, v1
	s_delay_alu instid0(VALU_DEP_3) | instskip(NEXT) | instid1(VALU_DEP_3)
	v_lshlrev_b32_e32 v2, 24, v2
	v_perm_b32 v0, v0, v56, 0xc0c0500
	s_delay_alu instid0(VALU_DEP_3) | instskip(NEXT) | instid1(VALU_DEP_1)
	v_and_b32_e32 v1, 0xff0000, v1
	v_or3_b32 v56, v0, v1, v2
.LBB302_85:                             ;   in Loop: Header=BB302_75 Depth=1
	s_or_b32 exec_lo, exec_lo, s0
	v_and_b32_e32 v1, 0xff, v57
	ds_bpermute_b32 v0, v68, v55
	s_mov_b32 s36, exec_lo
	v_cmp_eq_u16_e32 vcc_lo, 2, v1
	ds_bpermute_b32 v1, v68, v56
	v_and_or_b32 v2, vcc_lo, v69, 0x80000000
	s_delay_alu instid0(VALU_DEP_1) | instskip(NEXT) | instid1(VALU_DEP_1)
	v_ctz_i32_b32_e32 v58, v2
	v_cmpx_lt_u32_e64 v67, v58
	s_cbranch_execz .LBB302_87
; %bb.86:                               ;   in Loop: Header=BB302_75 Depth=1
	v_dual_mov_b32 v2, v55 :: v_dual_mov_b32 v3, v56
	s_getpc_b64 s[0:1]
	s_add_u32 s0, s0, _ZZZZN2at6native31launch_logcumsumexp_cuda_kernelERKNS_10TensorBaseES3_lENKUlvE_clEvENKUlvE2_clEvENKUlN3c107complexIfEES8_E_clES8_S8_@rel32@lo+4
	s_addc_u32 s1, s1, _ZZZZN2at6native31launch_logcumsumexp_cuda_kernelERKNS_10TensorBaseES3_lENKUlvE_clEvENKUlvE2_clEvENKUlN3c107complexIfEES8_E_clES8_S8_@rel32@hi+12
	s_delay_alu instid0(SALU_CYCLE_1)
	s_swappc_b64 s[30:31], s[0:1]
	v_dual_mov_b32 v55, v0 :: v_dual_mov_b32 v56, v1
.LBB302_87:                             ;   in Loop: Header=BB302_75 Depth=1
	s_or_b32 exec_lo, exec_lo, s36
	s_waitcnt lgkmcnt(1)
	ds_bpermute_b32 v0, v70, v55
	s_waitcnt lgkmcnt(1)
	ds_bpermute_b32 v1, v70, v56
	s_mov_b32 s36, exec_lo
	v_cmpx_le_u32_e64 v71, v58
	s_cbranch_execz .LBB302_89
; %bb.88:                               ;   in Loop: Header=BB302_75 Depth=1
	v_dual_mov_b32 v2, v55 :: v_dual_mov_b32 v3, v56
	s_getpc_b64 s[0:1]
	s_add_u32 s0, s0, _ZZZZN2at6native31launch_logcumsumexp_cuda_kernelERKNS_10TensorBaseES3_lENKUlvE_clEvENKUlvE2_clEvENKUlN3c107complexIfEES8_E_clES8_S8_@rel32@lo+4
	s_addc_u32 s1, s1, _ZZZZN2at6native31launch_logcumsumexp_cuda_kernelERKNS_10TensorBaseES3_lENKUlvE_clEvENKUlvE2_clEvENKUlN3c107complexIfEES8_E_clES8_S8_@rel32@hi+12
	s_delay_alu instid0(SALU_CYCLE_1)
	s_swappc_b64 s[30:31], s[0:1]
	v_dual_mov_b32 v55, v0 :: v_dual_mov_b32 v56, v1
.LBB302_89:                             ;   in Loop: Header=BB302_75 Depth=1
	s_or_b32 exec_lo, exec_lo, s36
	s_waitcnt lgkmcnt(1)
	ds_bpermute_b32 v0, v72, v55
	s_waitcnt lgkmcnt(1)
	ds_bpermute_b32 v1, v72, v56
	s_mov_b32 s36, exec_lo
	v_cmpx_le_u32_e64 v73, v58
	;; [unrolled: 17-line block ×4, first 2 shown]
	s_cbranch_execz .LBB302_73
; %bb.94:                               ;   in Loop: Header=BB302_75 Depth=1
	v_dual_mov_b32 v2, v55 :: v_dual_mov_b32 v3, v56
	s_getpc_b64 s[0:1]
	s_add_u32 s0, s0, _ZZZZN2at6native31launch_logcumsumexp_cuda_kernelERKNS_10TensorBaseES3_lENKUlvE_clEvENKUlvE2_clEvENKUlN3c107complexIfEES8_E_clES8_S8_@rel32@lo+4
	s_addc_u32 s1, s1, _ZZZZN2at6native31launch_logcumsumexp_cuda_kernelERKNS_10TensorBaseES3_lENKUlvE_clEvENKUlvE2_clEvENKUlN3c107complexIfEES8_E_clES8_S8_@rel32@hi+12
	s_delay_alu instid0(SALU_CYCLE_1)
	s_swappc_b64 s[30:31], s[0:1]
	v_dual_mov_b32 v55, v0 :: v_dual_mov_b32 v56, v1
	s_branch .LBB302_73
.LBB302_95:                             ;   in Loop: Header=BB302_75 Depth=1
	s_mov_b32 s0, -1
                                        ; implicit-def: $vgpr55
                                        ; implicit-def: $vgpr56
	s_branch .LBB302_74
.LBB302_96:
                                        ; implicit-def: $vgpr90_vgpr91_vgpr92_vgpr93
                                        ; implicit-def: $vgpr88_vgpr89_vgpr90_vgpr91
                                        ; implicit-def: $vgpr60
                                        ; implicit-def: $vgpr62
                                        ; implicit-def: $vgpr64
                                        ; implicit-def: $vgpr66
                                        ; implicit-def: $vgpr68
                                        ; implicit-def: $vgpr70
                                        ; implicit-def: $vgpr72
                                        ; implicit-def: $vgpr74
                                        ; implicit-def: $vgpr54_vgpr55_vgpr56_vgpr57
                                        ; implicit-def: $vgpr86_vgpr87_vgpr88_vgpr89
                                        ; implicit-def: $vgpr84_vgpr85_vgpr86_vgpr87
                                        ; implicit-def: $vgpr82_vgpr83_vgpr84_vgpr85
                                        ; implicit-def: $vgpr80_vgpr81_vgpr82_vgpr83
                                        ; implicit-def: $vgpr78_vgpr79_vgpr80_vgpr81
	s_cbranch_execnz .LBB302_104
	s_branch .LBB302_125
.LBB302_97:
	s_and_saveexec_b32 s36, s11
	s_cbranch_execz .LBB302_99
; %bb.98:
	s_waitcnt lgkmcnt(0)
	v_dual_mov_b32 v0, v62 :: v_dual_mov_b32 v1, v63
	v_dual_mov_b32 v2, v54 :: v_dual_mov_b32 v3, s27
	s_getpc_b64 s[0:1]
	s_add_u32 s0, s0, _ZZZZN2at6native31launch_logcumsumexp_cuda_kernelERKNS_10TensorBaseES3_lENKUlvE_clEvENKUlvE2_clEvENKUlN3c107complexIfEES8_E_clES8_S8_@rel32@lo+4
	s_addc_u32 s1, s1, _ZZZZN2at6native31launch_logcumsumexp_cuda_kernelERKNS_10TensorBaseES3_lENKUlvE_clEvENKUlvE2_clEvENKUlN3c107complexIfEES8_E_clES8_S8_@rel32@hi+12
	s_delay_alu instid0(SALU_CYCLE_1)
	s_swappc_b64 s[30:31], s[0:1]
	s_add_i32 s0, s35, 32
	v_dual_mov_b32 v3, 0 :: v_dual_and_b32 v2, 0xff000000, v1
	v_and_b32_e32 v4, 0xff0000, v1
	s_mov_b32 s1, 0
	v_and_b32_e32 v5, 0xff00, v1
	s_lshl_b64 s[0:1], s[0:1], 4
	s_delay_alu instid0(SALU_CYCLE_1) | instskip(SKIP_4) | instid1(VALU_DEP_1)
	s_add_u32 s0, s28, s0
	v_or_b32_e32 v4, v4, v2
	v_mov_b32_e32 v2, 2
	s_addc_u32 s1, s29, s1
	v_and_b32_e32 v1, 0xff, v1
	v_or3_b32 v1, v4, v5, v1
	v_dual_mov_b32 v5, s1 :: v_dual_mov_b32 v4, s0
	;;#ASMSTART
	global_store_dwordx4 v[4:5], v[0:3] off	
s_waitcnt vmcnt(0)
	;;#ASMEND
.LBB302_99:
	s_or_b32 exec_lo, exec_lo, s36
	s_delay_alu instid0(SALU_CYCLE_1)
	s_and_b32 exec_lo, exec_lo, s10
	s_cbranch_execz .LBB302_101
; %bb.100:
	s_waitcnt lgkmcnt(1)
	v_mov_b32_e32 v0, 0
	ds_store_b64 v0, v[62:63]
.LBB302_101:
	s_or_b32 exec_lo, exec_lo, s26
	s_waitcnt lgkmcnt(1)
	v_dual_mov_b32 v0, 0 :: v_dual_mov_b32 v3, v23
	s_waitcnt lgkmcnt(0)
	s_waitcnt_vscnt null, 0x0
	s_barrier
	buffer_gl0_inv
	ds_load_b64 v[54:55], v0
	v_mov_b32_e32 v2, v22
	s_and_saveexec_b32 s11, s9
	s_cbranch_execz .LBB302_103
; %bb.102:
	v_dual_mov_b32 v0, v60 :: v_dual_mov_b32 v1, v61
	v_dual_mov_b32 v2, v22 :: v_dual_mov_b32 v3, v23
	s_getpc_b64 s[0:1]
	s_add_u32 s0, s0, _ZZZZN2at6native31launch_logcumsumexp_cuda_kernelERKNS_10TensorBaseES3_lENKUlvE_clEvENKUlvE2_clEvENKUlN3c107complexIfEES8_E_clES8_S8_@rel32@lo+4
	s_addc_u32 s1, s1, _ZZZZN2at6native31launch_logcumsumexp_cuda_kernelERKNS_10TensorBaseES3_lENKUlvE_clEvENKUlvE2_clEvENKUlN3c107complexIfEES8_E_clES8_S8_@rel32@hi+12
	s_delay_alu instid0(SALU_CYCLE_1)
	s_swappc_b64 s[30:31], s[0:1]
	v_dual_mov_b32 v2, v0 :: v_dual_mov_b32 v3, v1
.LBB302_103:
	s_or_b32 exec_lo, exec_lo, s11
	s_waitcnt lgkmcnt(0)
	v_dual_mov_b32 v0, v54 :: v_dual_mov_b32 v1, v55
	s_getpc_b64 s[26:27]
	s_add_u32 s26, s26, _ZZZZN2at6native31launch_logcumsumexp_cuda_kernelERKNS_10TensorBaseES3_lENKUlvE_clEvENKUlvE2_clEvENKUlN3c107complexIfEES8_E_clES8_S8_@rel32@lo+4
	s_addc_u32 s27, s27, _ZZZZN2at6native31launch_logcumsumexp_cuda_kernelERKNS_10TensorBaseES3_lENKUlvE_clEvENKUlvE2_clEvENKUlN3c107complexIfEES8_E_clES8_S8_@rel32@hi+12
	s_delay_alu instid0(SALU_CYCLE_1)
	s_swappc_b64 s[30:31], s[26:27]
	v_dual_mov_b32 v2, v24 :: v_dual_mov_b32 v3, v25
	v_dual_mov_b32 v54, v0 :: v_dual_mov_b32 v55, v1
	s_swappc_b64 s[30:31], s[26:27]
	v_dual_mov_b32 v2, v50 :: v_dual_mov_b32 v3, v51
	v_dual_mov_b32 v60, v0 :: v_dual_mov_b32 v61, v1
	;; [unrolled: 3-line block ×15, first 2 shown]
	s_swappc_b64 s[30:31], s[26:27]
	v_dual_mov_b32 v92, v0 :: v_dual_mov_b32 v93, v1
	s_branch .LBB302_125
.LBB302_104:
	s_cmp_lg_u64 s[16:17], 0
	s_cselect_b32 s0, -1, 0
	s_delay_alu instid0(SALU_CYCLE_1) | instskip(NEXT) | instid1(SALU_CYCLE_1)
	s_and_b32 s0, s10, s0
	s_and_saveexec_b32 s11, s0
	s_cbranch_execz .LBB302_106
; %bb.105:
	v_dual_mov_b32 v0, 0 :: v_dual_mov_b32 v3, v23
	v_mov_b32_e32 v2, v22
	s_getpc_b64 s[0:1]
	s_add_u32 s0, s0, _ZZZZN2at6native31launch_logcumsumexp_cuda_kernelERKNS_10TensorBaseES3_lENKUlvE_clEvENKUlvE2_clEvENKUlN3c107complexIfEES8_E_clES8_S8_@rel32@lo+4
	s_addc_u32 s1, s1, _ZZZZN2at6native31launch_logcumsumexp_cuda_kernelERKNS_10TensorBaseES3_lENKUlvE_clEvENKUlvE2_clEvENKUlN3c107complexIfEES8_E_clES8_S8_@rel32@hi+12
	global_load_b64 v[0:1], v0, s[12:13]
	s_swappc_b64 s[30:31], s[0:1]
	v_dual_mov_b32 v22, v0 :: v_dual_mov_b32 v23, v1
.LBB302_106:
	s_or_b32 exec_lo, exec_lo, s11
	s_delay_alu instid0(VALU_DEP_1) | instskip(SKIP_4) | instid1(SALU_CYCLE_1)
	v_dual_mov_b32 v0, v22 :: v_dual_mov_b32 v1, v23
	v_dual_mov_b32 v2, v24 :: v_dual_mov_b32 v3, v25
	s_getpc_b64 s[12:13]
	s_add_u32 s12, s12, _ZZZZN2at6native31launch_logcumsumexp_cuda_kernelERKNS_10TensorBaseES3_lENKUlvE_clEvENKUlvE2_clEvENKUlN3c107complexIfEES8_E_clES8_S8_@rel32@lo+4
	s_addc_u32 s13, s13, _ZZZZN2at6native31launch_logcumsumexp_cuda_kernelERKNS_10TensorBaseES3_lENKUlvE_clEvENKUlvE2_clEvENKUlN3c107complexIfEES8_E_clES8_S8_@rel32@hi+12
	s_swappc_b64 s[30:31], s[12:13]
	v_dual_mov_b32 v2, v50 :: v_dual_mov_b32 v3, v51
	v_dual_mov_b32 v60, v0 :: v_dual_mov_b32 v61, v1
	s_swappc_b64 s[30:31], s[12:13]
	v_dual_mov_b32 v2, v52 :: v_dual_mov_b32 v3, v53
	v_dual_mov_b32 v62, v0 :: v_dual_mov_b32 v63, v1
	;; [unrolled: 3-line block ×14, first 2 shown]
	s_swappc_b64 s[30:31], s[12:13]
	v_dual_mov_b32 v92, v0 :: v_dual_mov_b32 v93, v1
	v_lshrrev_b32_e32 v0, 5, v59
	s_mov_b32 s11, exec_lo
	s_delay_alu instid0(VALU_DEP_1)
	v_add_lshl_u32 v0, v0, v59, 3
	ds_store_b64 v0, v[92:93]
	s_waitcnt lgkmcnt(0)
	s_waitcnt_vscnt null, 0x0
	s_barrier
	buffer_gl0_inv
	v_cmpx_gt_u32_e32 32, v59
	s_cbranch_execz .LBB302_118
; %bb.107:
	v_lshlrev_b32_e32 v0, 1, v59
	s_delay_alu instid0(VALU_DEP_1) | instskip(NEXT) | instid1(VALU_DEP_1)
	v_and_b32_e32 v0, 0x1f8, v0
	v_lshl_or_b32 v58, v59, 6, v0
	ds_load_b64 v[54:55], v58
	ds_load_2addr_b64 v[76:79], v58 offset0:1 offset1:2
	s_waitcnt lgkmcnt(0)
	v_dual_mov_b32 v0, v54 :: v_dual_mov_b32 v3, v77
	v_dual_mov_b32 v1, v55 :: v_dual_mov_b32 v2, v76
	s_swappc_b64 s[30:31], s[12:13]
	v_dual_mov_b32 v2, v78 :: v_dual_mov_b32 v3, v79
	s_swappc_b64 s[30:31], s[12:13]
	ds_load_2addr_b64 v[76:79], v58 offset0:3 offset1:4
	s_waitcnt lgkmcnt(0)
	v_dual_mov_b32 v2, v76 :: v_dual_mov_b32 v3, v77
	s_swappc_b64 s[30:31], s[12:13]
	v_dual_mov_b32 v2, v78 :: v_dual_mov_b32 v3, v79
	s_swappc_b64 s[30:31], s[12:13]
	ds_load_2addr_b64 v[76:79], v58 offset0:5 offset1:6
	s_waitcnt lgkmcnt(0)
	v_dual_mov_b32 v2, v76 :: v_dual_mov_b32 v3, v77
	s_swappc_b64 s[30:31], s[12:13]
	v_dual_mov_b32 v2, v78 :: v_dual_mov_b32 v3, v79
	s_swappc_b64 s[30:31], s[12:13]
	ds_load_b64 v[2:3], v58 offset:56
	s_swappc_b64 s[30:31], s[12:13]
	v_dual_mov_b32 v2, v0 :: v_dual_mov_b32 v3, v1
	v_mbcnt_lo_u32_b32 v56, -1, 0
	s_mov_b32 s12, exec_lo
	s_delay_alu instid0(VALU_DEP_2) | instskip(NEXT) | instid1(VALU_DEP_3)
	v_mov_b32_dpp v0, v2 row_shr:1 row_mask:0xf bank_mask:0xf
	v_mov_b32_dpp v1, v3 row_shr:1 row_mask:0xf bank_mask:0xf
	s_delay_alu instid0(VALU_DEP_3) | instskip(NEXT) | instid1(VALU_DEP_1)
	v_and_b32_e32 v57, 15, v56
	v_cmpx_ne_u32_e32 0, v57
	s_cbranch_execz .LBB302_109
; %bb.108:
	s_getpc_b64 s[0:1]
	s_add_u32 s0, s0, _ZZZZN2at6native31launch_logcumsumexp_cuda_kernelERKNS_10TensorBaseES3_lENKUlvE_clEvENKUlvE2_clEvENKUlN3c107complexIfEES8_E_clES8_S8_@rel32@lo+4
	s_addc_u32 s1, s1, _ZZZZN2at6native31launch_logcumsumexp_cuda_kernelERKNS_10TensorBaseES3_lENKUlvE_clEvENKUlvE2_clEvENKUlN3c107complexIfEES8_E_clES8_S8_@rel32@hi+12
	s_delay_alu instid0(SALU_CYCLE_1)
	s_swappc_b64 s[30:31], s[0:1]
	v_dual_mov_b32 v2, v0 :: v_dual_mov_b32 v3, v1
.LBB302_109:
	s_or_b32 exec_lo, exec_lo, s12
	s_delay_alu instid0(VALU_DEP_1) | instskip(NEXT) | instid1(VALU_DEP_2)
	v_mov_b32_dpp v0, v2 row_shr:2 row_mask:0xf bank_mask:0xf
	v_mov_b32_dpp v1, v3 row_shr:2 row_mask:0xf bank_mask:0xf
	s_mov_b32 s12, exec_lo
	v_cmpx_lt_u32_e32 1, v57
	s_cbranch_execz .LBB302_111
; %bb.110:
	s_getpc_b64 s[0:1]
	s_add_u32 s0, s0, _ZZZZN2at6native31launch_logcumsumexp_cuda_kernelERKNS_10TensorBaseES3_lENKUlvE_clEvENKUlvE2_clEvENKUlN3c107complexIfEES8_E_clES8_S8_@rel32@lo+4
	s_addc_u32 s1, s1, _ZZZZN2at6native31launch_logcumsumexp_cuda_kernelERKNS_10TensorBaseES3_lENKUlvE_clEvENKUlvE2_clEvENKUlN3c107complexIfEES8_E_clES8_S8_@rel32@hi+12
	s_delay_alu instid0(SALU_CYCLE_1)
	s_swappc_b64 s[30:31], s[0:1]
	v_dual_mov_b32 v2, v0 :: v_dual_mov_b32 v3, v1
.LBB302_111:
	s_or_b32 exec_lo, exec_lo, s12
	s_delay_alu instid0(VALU_DEP_1) | instskip(NEXT) | instid1(VALU_DEP_2)
	v_mov_b32_dpp v0, v2 row_shr:4 row_mask:0xf bank_mask:0xf
	v_mov_b32_dpp v1, v3 row_shr:4 row_mask:0xf bank_mask:0xf
	s_mov_b32 s12, exec_lo
	v_cmpx_lt_u32_e32 3, v57
	s_cbranch_execz .LBB302_113
; %bb.112:
	s_getpc_b64 s[0:1]
	s_add_u32 s0, s0, _ZZZZN2at6native31launch_logcumsumexp_cuda_kernelERKNS_10TensorBaseES3_lENKUlvE_clEvENKUlvE2_clEvENKUlN3c107complexIfEES8_E_clES8_S8_@rel32@lo+4
	s_addc_u32 s1, s1, _ZZZZN2at6native31launch_logcumsumexp_cuda_kernelERKNS_10TensorBaseES3_lENKUlvE_clEvENKUlvE2_clEvENKUlN3c107complexIfEES8_E_clES8_S8_@rel32@hi+12
	s_delay_alu instid0(SALU_CYCLE_1)
	s_swappc_b64 s[30:31], s[0:1]
	v_dual_mov_b32 v2, v0 :: v_dual_mov_b32 v3, v1
.LBB302_113:
	s_or_b32 exec_lo, exec_lo, s12
	s_delay_alu instid0(VALU_DEP_1) | instskip(NEXT) | instid1(VALU_DEP_2)
	v_mov_b32_dpp v0, v2 row_shr:8 row_mask:0xf bank_mask:0xf
	v_mov_b32_dpp v1, v3 row_shr:8 row_mask:0xf bank_mask:0xf
	s_mov_b32 s12, exec_lo
	v_cmpx_lt_u32_e32 7, v57
	s_cbranch_execz .LBB302_115
; %bb.114:
	s_getpc_b64 s[0:1]
	s_add_u32 s0, s0, _ZZZZN2at6native31launch_logcumsumexp_cuda_kernelERKNS_10TensorBaseES3_lENKUlvE_clEvENKUlvE2_clEvENKUlN3c107complexIfEES8_E_clES8_S8_@rel32@lo+4
	s_addc_u32 s1, s1, _ZZZZN2at6native31launch_logcumsumexp_cuda_kernelERKNS_10TensorBaseES3_lENKUlvE_clEvENKUlvE2_clEvENKUlN3c107complexIfEES8_E_clES8_S8_@rel32@hi+12
	s_delay_alu instid0(SALU_CYCLE_1)
	s_swappc_b64 s[30:31], s[0:1]
	v_dual_mov_b32 v2, v0 :: v_dual_mov_b32 v3, v1
.LBB302_115:
	s_or_b32 exec_lo, exec_lo, s12
	ds_swizzle_b32 v0, v2 offset:swizzle(BROADCAST,32,15)
	ds_swizzle_b32 v1, v3 offset:swizzle(BROADCAST,32,15)
	v_and_b32_e32 v4, 16, v56
	s_mov_b32 s12, exec_lo
	s_delay_alu instid0(VALU_DEP_1)
	v_cmpx_ne_u32_e32 0, v4
	s_cbranch_execz .LBB302_117
; %bb.116:
	s_getpc_b64 s[0:1]
	s_add_u32 s0, s0, _ZZZZN2at6native31launch_logcumsumexp_cuda_kernelERKNS_10TensorBaseES3_lENKUlvE_clEvENKUlvE2_clEvENKUlN3c107complexIfEES8_E_clES8_S8_@rel32@lo+4
	s_addc_u32 s1, s1, _ZZZZN2at6native31launch_logcumsumexp_cuda_kernelERKNS_10TensorBaseES3_lENKUlvE_clEvENKUlvE2_clEvENKUlN3c107complexIfEES8_E_clES8_S8_@rel32@hi+12
	s_delay_alu instid0(SALU_CYCLE_1)
	s_swappc_b64 s[30:31], s[0:1]
	v_dual_mov_b32 v2, v0 :: v_dual_mov_b32 v3, v1
.LBB302_117:
	s_or_b32 exec_lo, exec_lo, s12
	s_waitcnt lgkmcnt(1)
	v_add_nc_u32_e32 v0, -1, v56
	s_getpc_b64 s[12:13]
	s_add_u32 s12, s12, _ZZZZN2at6native31launch_logcumsumexp_cuda_kernelERKNS_10TensorBaseES3_lENKUlvE_clEvENKUlvE2_clEvENKUlN3c107complexIfEES8_E_clES8_S8_@rel32@lo+4
	s_addc_u32 s13, s13, _ZZZZN2at6native31launch_logcumsumexp_cuda_kernelERKNS_10TensorBaseES3_lENKUlvE_clEvENKUlvE2_clEvENKUlN3c107complexIfEES8_E_clES8_S8_@rel32@hi+12
	s_delay_alu instid0(VALU_DEP_1) | instskip(SKIP_2) | instid1(VALU_DEP_1)
	v_cmp_gt_i32_e32 vcc_lo, 0, v0
	v_cndmask_b32_e32 v0, v0, v56, vcc_lo
	s_waitcnt lgkmcnt(0)
	v_lshlrev_b32_e32 v1, 2, v0
	ds_bpermute_b32 v0, v1, v2
	v_mov_b32_e32 v2, v54
	ds_bpermute_b32 v1, v1, v3
	v_mov_b32_e32 v3, v55
	s_swappc_b64 s[30:31], s[12:13]
	v_cndmask_b32_e64 v0, v0, v92, s10
	v_cndmask_b32_e64 v1, v1, v93, s10
	; wave barrier
	ds_store_b64 v58, v[0:1]
	; wave barrier
	ds_load_2addr_b64 v[54:57], v58 offset0:1 offset1:2
	s_waitcnt lgkmcnt(0)
	v_dual_mov_b32 v2, v54 :: v_dual_mov_b32 v3, v55
	s_swappc_b64 s[30:31], s[12:13]
	v_dual_mov_b32 v2, v56 :: v_dual_mov_b32 v3, v57
	v_dual_mov_b32 v76, v0 :: v_dual_mov_b32 v77, v1
	s_swappc_b64 s[30:31], s[12:13]
	ds_load_2addr_b64 v[54:57], v58 offset0:3 offset1:4
	ds_store_2addr_b64 v58, v[76:77], v[0:1] offset0:1 offset1:2
	s_waitcnt lgkmcnt(1)
	v_dual_mov_b32 v2, v54 :: v_dual_mov_b32 v3, v55
	s_swappc_b64 s[30:31], s[12:13]
	v_dual_mov_b32 v2, v56 :: v_dual_mov_b32 v3, v57
	v_dual_mov_b32 v76, v0 :: v_dual_mov_b32 v77, v1
	s_swappc_b64 s[30:31], s[12:13]
	ds_load_2addr_b64 v[54:57], v58 offset0:5 offset1:6
	ds_store_2addr_b64 v58, v[76:77], v[0:1] offset0:3 offset1:4
	s_waitcnt lgkmcnt(1)
	v_dual_mov_b32 v2, v54 :: v_dual_mov_b32 v3, v55
	s_swappc_b64 s[30:31], s[12:13]
	v_dual_mov_b32 v2, v56 :: v_dual_mov_b32 v3, v57
	v_dual_mov_b32 v54, v0 :: v_dual_mov_b32 v55, v1
	s_swappc_b64 s[30:31], s[12:13]
	ds_load_b64 v[2:3], v58 offset:56
	ds_store_2addr_b64 v58, v[54:55], v[0:1] offset0:5 offset1:6
	s_swappc_b64 s[30:31], s[12:13]
	ds_store_b64 v58, v[0:1] offset:56
.LBB302_118:
	s_or_b32 exec_lo, exec_lo, s11
	v_dual_mov_b32 v1, v93 :: v_dual_mov_b32 v0, v92
	s_waitcnt lgkmcnt(0)
	s_waitcnt_vscnt null, 0x0
	s_barrier
	buffer_gl0_inv
	s_and_saveexec_b32 s0, s9
	s_cbranch_execz .LBB302_120
; %bb.119:
	v_add_nc_u32_e32 v0, -1, v59
	s_delay_alu instid0(VALU_DEP_1) | instskip(NEXT) | instid1(VALU_DEP_1)
	v_lshrrev_b32_e32 v1, 5, v0
	v_add_lshl_u32 v0, v1, v0, 3
	ds_load_b64 v[0:1], v0
.LBB302_120:
	s_or_b32 exec_lo, exec_lo, s0
	s_and_saveexec_b32 s12, s9
	s_cbranch_execz .LBB302_122
; %bb.121:
	v_dual_mov_b32 v2, v22 :: v_dual_mov_b32 v3, v23
	s_getpc_b64 s[10:11]
	s_add_u32 s10, s10, _ZZZZN2at6native31launch_logcumsumexp_cuda_kernelERKNS_10TensorBaseES3_lENKUlvE_clEvENKUlvE2_clEvENKUlN3c107complexIfEES8_E_clES8_S8_@rel32@lo+4
	s_addc_u32 s11, s11, _ZZZZN2at6native31launch_logcumsumexp_cuda_kernelERKNS_10TensorBaseES3_lENKUlvE_clEvENKUlvE2_clEvENKUlN3c107complexIfEES8_E_clES8_S8_@rel32@hi+12
	s_delay_alu instid0(SALU_CYCLE_1)
	s_swappc_b64 s[30:31], s[10:11]
	v_dual_mov_b32 v2, v24 :: v_dual_mov_b32 v3, v25
	v_dual_mov_b32 v22, v0 :: v_dual_mov_b32 v23, v1
	;;#ASMSTART
	;;#ASMEND
	s_swappc_b64 s[30:31], s[10:11]
	v_dual_mov_b32 v2, v50 :: v_dual_mov_b32 v3, v51
	v_dual_mov_b32 v60, v0 :: v_dual_mov_b32 v61, v1
	s_swappc_b64 s[30:31], s[10:11]
	v_dual_mov_b32 v2, v52 :: v_dual_mov_b32 v3, v53
	v_dual_mov_b32 v62, v0 :: v_dual_mov_b32 v63, v1
	;; [unrolled: 3-line block ×14, first 2 shown]
	s_swappc_b64 s[30:31], s[10:11]
	v_dual_mov_b32 v92, v0 :: v_dual_mov_b32 v93, v1
.LBB302_122:
	s_or_b32 exec_lo, exec_lo, s12
	s_delay_alu instid0(SALU_CYCLE_1)
	s_mov_b32 s0, exec_lo
	v_cmpx_eq_u32_e32 0xff, v59
	s_cbranch_execz .LBB302_124
; %bb.123:
	s_waitcnt lgkmcnt(0)
	v_dual_mov_b32 v3, 0 :: v_dual_and_b32 v0, 0xff000000, v93
	v_dual_mov_b32 v2, 2 :: v_dual_and_b32 v1, 0xff0000, v93
	v_and_b32_e32 v4, 0xff00, v93
	v_and_b32_e32 v5, 0xff, v93
	s_add_u32 s2, s28, 0x200
	s_delay_alu instid0(VALU_DEP_3) | instskip(SKIP_2) | instid1(VALU_DEP_2)
	v_or_b32_e32 v1, v1, v0
	v_mov_b32_e32 v0, v92
	s_addc_u32 s3, s29, 0
	v_or3_b32 v1, v1, v4, v5
	v_dual_mov_b32 v5, s3 :: v_dual_mov_b32 v4, s2
	;;#ASMSTART
	global_store_dwordx4 v[4:5], v[0:3] off	
s_waitcnt vmcnt(0)
	;;#ASMEND
.LBB302_124:
	s_or_b32 exec_lo, exec_lo, s0
	v_dual_mov_b32 v54, v22 :: v_dual_mov_b32 v55, v23
.LBB302_125:
	s_add_u32 s0, s24, s22
	s_waitcnt lgkmcnt(0)
	v_lshlrev_b32_e32 v1, 7, v59
	v_lshrrev_b32_e32 v0, 5, v59
	s_addc_u32 s1, s25, s23
	s_add_u32 s0, s0, s20
	s_addc_u32 s1, s1, s21
	s_and_b32 vcc_lo, exec_lo, s8
	s_mov_b32 s2, -1
	s_waitcnt_vscnt null, 0x0
	s_barrier
	buffer_gl0_inv
	s_cbranch_vccz .LBB302_127
; %bb.126:
	v_lshl_add_u32 v2, v110, 3, v1
	v_lshrrev_b32_e32 v3, 5, v107
	v_lshrrev_b32_e32 v4, 5, v106
	v_add_lshl_u32 v5, v0, v59, 3
	v_lshrrev_b32_e32 v10, 5, v105
	ds_store_2addr_b64 v2, v[54:55], v[60:61] offset1:1
	ds_store_2addr_b64 v2, v[62:63], v[80:81] offset0:2 offset1:3
	ds_store_2addr_b64 v2, v[64:65], v[82:83] offset0:4 offset1:5
	;; [unrolled: 1-line block ×7, first 2 shown]
	v_lshrrev_b32_e32 v2, 5, v108
	v_add_lshl_u32 v7, v3, v59, 3
	v_add_lshl_u32 v8, v4, v59, 3
	s_waitcnt lgkmcnt(0)
	s_barrier
	v_add_lshl_u32 v6, v2, v59, 3
	buffer_gl0_inv
	v_lshrrev_b32_e32 v19, 5, v100
	ds_load_b64 v[2:3], v5
	ds_load_b64 v[4:5], v6 offset:2048
	ds_load_b64 v[6:7], v7 offset:4096
	;; [unrolled: 1-line block ×3, first 2 shown]
	v_lshrrev_b32_e32 v11, 5, v104
	v_lshrrev_b32_e32 v20, 5, v99
	;; [unrolled: 1-line block ×5, first 2 shown]
	v_add_lshl_u32 v10, v10, v59, 3
	v_add_lshl_u32 v21, v19, v59, 3
	v_lshrrev_b32_e32 v19, 5, v97
	v_add_lshl_u32 v14, v11, v59, 3
	v_add_lshl_u32 v22, v20, v59, 3
	v_lshrrev_b32_e32 v20, 5, v98
	v_lshrrev_b32_e32 v23, 5, v96
	;; [unrolled: 1-line block ×4, first 2 shown]
	v_add_lshl_u32 v15, v12, v59, 3
	v_add_lshl_u32 v18, v18, v59, 3
	v_add_co_u32 v44, s3, s0, v109
	v_add_lshl_u32 v16, v13, v59, 3
	v_add_co_ci_u32_e64 v45, null, s1, 0, s3
	ds_load_b64 v[10:11], v10 offset:8192
	ds_load_b64 v[12:13], v14 offset:10240
	;; [unrolled: 1-line block ×4, first 2 shown]
	v_add_lshl_u32 v26, v19, v59, 3
	v_add_lshl_u32 v27, v20, v59, 3
	;; [unrolled: 1-line block ×5, first 2 shown]
	ds_load_b64 v[18:19], v18 offset:16384
	ds_load_b64 v[20:21], v21 offset:18432
	;; [unrolled: 1-line block ×8, first 2 shown]
	s_waitcnt lgkmcnt(14)
	global_store_b64 v109, v[4:5], s[0:1] offset:2048
	v_add_co_u32 v4, vcc_lo, 0x1000, v44
	v_add_co_ci_u32_e32 v5, vcc_lo, 0, v45, vcc_lo
	v_add_co_u32 v34, vcc_lo, v44, 0x2000
	v_add_co_ci_u32_e32 v35, vcc_lo, 0, v45, vcc_lo
	;; [unrolled: 2-line block ×6, first 2 shown]
	s_waitcnt lgkmcnt(13)
	global_store_b64 v[34:35], v[6:7], off offset:-4096
	s_waitcnt lgkmcnt(11)
	global_store_b64 v[34:35], v[10:11], off
	s_waitcnt lgkmcnt(9)
	global_store_b64 v[40:41], v[14:15], off offset:-4096
	s_waitcnt lgkmcnt(7)
	s_clause 0x3
	global_store_b64 v[40:41], v[18:19], off
	global_store_b64 v[4:5], v[8:9], off offset:2048
	global_store_b64 v[36:37], v[12:13], off offset:2048
	;; [unrolled: 1-line block ×3, first 2 shown]
	s_waitcnt lgkmcnt(6)
	global_store_b64 v[42:43], v[20:21], off offset:2048
	v_add_co_u32 v4, vcc_lo, v44, 0x6000
	v_add_co_ci_u32_e32 v5, vcc_lo, 0, v45, vcc_lo
	v_add_co_u32 v6, vcc_lo, 0x5000, v44
	v_add_co_ci_u32_e32 v7, vcc_lo, 0, v45, vcc_lo
	;; [unrolled: 2-line block ×4, first 2 shown]
	s_mov_b32 s2, 0
	s_waitcnt lgkmcnt(5)
	s_clause 0x1
	global_store_b64 v[4:5], v[22:23], off offset:-4096
	global_store_b64 v109, v[2:3], s[0:1]
	s_waitcnt lgkmcnt(3)
	s_clause 0x1
	global_store_b64 v[4:5], v[26:27], off
	global_store_b64 v[6:7], v[24:25], off offset:2048
	s_waitcnt lgkmcnt(2)
	global_store_b64 v[8:9], v[28:29], off offset:2048
	s_waitcnt lgkmcnt(1)
	global_store_b64 v[10:11], v[30:31], off
	s_waitcnt lgkmcnt(0)
	global_store_b64 v[10:11], v[32:33], off offset:2048
.LBB302_127:
	s_and_not1_b32 vcc_lo, exec_lo, s2
	s_cbranch_vccnz .LBB302_145
; %bb.128:
	v_lshl_add_u32 v1, v110, 3, v1
	v_lshrrev_b32_e32 v17, 5, v100
	v_lshrrev_b32_e32 v18, 5, v99
	v_lshrrev_b32_e32 v8, 5, v105
	v_lshrrev_b32_e32 v16, 5, v101
	ds_store_2addr_b64 v1, v[54:55], v[60:61] offset1:1
	ds_store_2addr_b64 v1, v[62:63], v[80:81] offset0:2 offset1:3
	ds_store_2addr_b64 v1, v[64:65], v[82:83] offset0:4 offset1:5
	;; [unrolled: 1-line block ×7, first 2 shown]
	v_lshrrev_b32_e32 v1, 5, v108
	v_lshrrev_b32_e32 v9, 5, v104
	;; [unrolled: 1-line block ×6, first 2 shown]
	v_add_lshl_u32 v19, v17, v59, 3
	v_lshrrev_b32_e32 v17, 5, v97
	v_add_lshl_u32 v20, v18, v59, 3
	v_lshrrev_b32_e32 v18, 5, v98
	v_lshrrev_b32_e32 v21, 5, v96
	;; [unrolled: 1-line block ×4, first 2 shown]
	v_add_lshl_u32 v34, v0, v59, 3
	v_add_lshl_u32 v8, v8, v59, 3
	;; [unrolled: 1-line block ×14, first 2 shown]
	s_waitcnt lgkmcnt(0)
	s_waitcnt_vscnt null, 0x0
	s_barrier
	buffer_gl0_inv
	ds_load_b64 v[2:3], v34
	ds_load_b64 v[0:1], v0 offset:2048
	ds_load_b64 v[4:5], v4 offset:4096
	;; [unrolled: 1-line block ×15, first 2 shown]
	v_add_co_u32 v32, s0, s0, v109
	v_mov_b32_e32 v60, 0
	v_add_co_ci_u32_e64 v33, null, s1, 0, s0
	s_mov_b32 s0, exec_lo
	v_cmpx_gt_u32_e64 s33, v59
	s_cbranch_execnz .LBB302_146
; %bb.129:
	s_or_b32 exec_lo, exec_lo, s0
	s_delay_alu instid0(SALU_CYCLE_1)
	s_mov_b32 s0, exec_lo
	v_cmpx_gt_u32_e64 s33, v108
	s_cbranch_execnz .LBB302_147
.LBB302_130:
	s_or_b32 exec_lo, exec_lo, s0
	s_delay_alu instid0(SALU_CYCLE_1)
	s_mov_b32 s0, exec_lo
	v_cmpx_gt_u32_e64 s33, v107
	s_cbranch_execnz .LBB302_148
.LBB302_131:
	s_or_b32 exec_lo, exec_lo, s0
	s_delay_alu instid0(SALU_CYCLE_1)
	s_mov_b32 s0, exec_lo
	v_cmpx_gt_u32_e64 s33, v106
	s_cbranch_execnz .LBB302_149
.LBB302_132:
	s_or_b32 exec_lo, exec_lo, s0
	s_delay_alu instid0(SALU_CYCLE_1)
	s_mov_b32 s0, exec_lo
	v_cmpx_gt_u32_e64 s33, v105
	s_cbranch_execnz .LBB302_150
.LBB302_133:
	s_or_b32 exec_lo, exec_lo, s0
	s_delay_alu instid0(SALU_CYCLE_1)
	s_mov_b32 s0, exec_lo
	v_cmpx_gt_u32_e64 s33, v104
	s_cbranch_execnz .LBB302_151
.LBB302_134:
	s_or_b32 exec_lo, exec_lo, s0
	s_delay_alu instid0(SALU_CYCLE_1)
	s_mov_b32 s0, exec_lo
	v_cmpx_gt_u32_e64 s33, v103
	s_cbranch_execnz .LBB302_152
.LBB302_135:
	s_or_b32 exec_lo, exec_lo, s0
	s_delay_alu instid0(SALU_CYCLE_1)
	s_mov_b32 s0, exec_lo
	v_cmpx_gt_u32_e64 s33, v102
	s_cbranch_execnz .LBB302_153
.LBB302_136:
	s_or_b32 exec_lo, exec_lo, s0
	s_delay_alu instid0(SALU_CYCLE_1)
	s_mov_b32 s0, exec_lo
	v_cmpx_gt_u32_e64 s33, v101
	s_cbranch_execnz .LBB302_154
.LBB302_137:
	s_or_b32 exec_lo, exec_lo, s0
	s_delay_alu instid0(SALU_CYCLE_1)
	s_mov_b32 s0, exec_lo
	v_cmpx_gt_u32_e64 s33, v100
	s_cbranch_execnz .LBB302_155
.LBB302_138:
	s_or_b32 exec_lo, exec_lo, s0
	s_delay_alu instid0(SALU_CYCLE_1)
	s_mov_b32 s0, exec_lo
	v_cmpx_gt_u32_e64 s33, v99
	s_cbranch_execnz .LBB302_156
.LBB302_139:
	s_or_b32 exec_lo, exec_lo, s0
	s_delay_alu instid0(SALU_CYCLE_1)
	s_mov_b32 s0, exec_lo
	v_cmpx_gt_u32_e64 s33, v97
	s_cbranch_execnz .LBB302_157
.LBB302_140:
	s_or_b32 exec_lo, exec_lo, s0
	s_delay_alu instid0(SALU_CYCLE_1)
	s_mov_b32 s0, exec_lo
	v_cmpx_gt_u32_e64 s33, v98
	s_cbranch_execnz .LBB302_158
.LBB302_141:
	s_or_b32 exec_lo, exec_lo, s0
	s_delay_alu instid0(SALU_CYCLE_1)
	s_mov_b32 s0, exec_lo
	v_cmpx_gt_u32_e64 s33, v96
	s_cbranch_execnz .LBB302_159
.LBB302_142:
	s_or_b32 exec_lo, exec_lo, s0
	s_delay_alu instid0(SALU_CYCLE_1)
	s_mov_b32 s0, exec_lo
	v_cmpx_gt_u32_e64 s33, v95
	s_cbranch_execnz .LBB302_160
.LBB302_143:
	s_or_b32 exec_lo, exec_lo, s0
	s_delay_alu instid0(SALU_CYCLE_1)
	s_mov_b32 s0, exec_lo
	v_cmpx_gt_u32_e64 s33, v94
	s_cbranch_execnz .LBB302_161
.LBB302_144:
	s_or_b32 exec_lo, exec_lo, s0
	v_cmp_lt_u64_e64 s0, s[18:19], 2
	s_delay_alu instid0(VALU_DEP_1)
	s_and_b32 vcc_lo, exec_lo, s0
	s_cbranch_vccz .LBB302_162
.LBB302_145:
	s_nop 0
	s_sendmsg sendmsg(MSG_DEALLOC_VGPRS)
	s_endpgm
.LBB302_146:
	ds_load_b64 v[34:35], v34
	s_waitcnt lgkmcnt(0)
	global_store_b64 v[32:33], v[34:35], off
	s_or_b32 exec_lo, exec_lo, s0
	s_delay_alu instid0(SALU_CYCLE_1)
	s_mov_b32 s0, exec_lo
	v_cmpx_gt_u32_e64 s33, v108
	s_cbranch_execz .LBB302_130
.LBB302_147:
	s_waitcnt lgkmcnt(14)
	global_store_b64 v[32:33], v[0:1], off offset:2048
	s_or_b32 exec_lo, exec_lo, s0
	s_delay_alu instid0(SALU_CYCLE_1)
	s_mov_b32 s0, exec_lo
	v_cmpx_gt_u32_e64 s33, v107
	s_cbranch_execz .LBB302_131
.LBB302_148:
	v_add_co_u32 v34, vcc_lo, 0x1000, v32
	v_add_co_ci_u32_e32 v35, vcc_lo, 0, v33, vcc_lo
	s_waitcnt lgkmcnt(13)
	global_store_b64 v[34:35], v[4:5], off
	s_or_b32 exec_lo, exec_lo, s0
	s_delay_alu instid0(SALU_CYCLE_1)
	s_mov_b32 s0, exec_lo
	v_cmpx_gt_u32_e64 s33, v106
	s_cbranch_execz .LBB302_132
.LBB302_149:
	v_add_co_u32 v34, vcc_lo, 0x1000, v32
	v_add_co_ci_u32_e32 v35, vcc_lo, 0, v33, vcc_lo
	s_waitcnt lgkmcnt(12)
	global_store_b64 v[34:35], v[6:7], off offset:2048
	s_or_b32 exec_lo, exec_lo, s0
	s_delay_alu instid0(SALU_CYCLE_1)
	s_mov_b32 s0, exec_lo
	v_cmpx_gt_u32_e64 s33, v105
	s_cbranch_execz .LBB302_133
.LBB302_150:
	v_add_co_u32 v34, vcc_lo, 0x2000, v32
	v_add_co_ci_u32_e32 v35, vcc_lo, 0, v33, vcc_lo
	s_waitcnt lgkmcnt(11)
	global_store_b64 v[34:35], v[8:9], off
	s_or_b32 exec_lo, exec_lo, s0
	s_delay_alu instid0(SALU_CYCLE_1)
	s_mov_b32 s0, exec_lo
	v_cmpx_gt_u32_e64 s33, v104
	s_cbranch_execz .LBB302_134
.LBB302_151:
	v_add_co_u32 v34, vcc_lo, 0x2000, v32
	v_add_co_ci_u32_e32 v35, vcc_lo, 0, v33, vcc_lo
	s_waitcnt lgkmcnt(10)
	global_store_b64 v[34:35], v[10:11], off offset:2048
	s_or_b32 exec_lo, exec_lo, s0
	s_delay_alu instid0(SALU_CYCLE_1)
	s_mov_b32 s0, exec_lo
	v_cmpx_gt_u32_e64 s33, v103
	s_cbranch_execz .LBB302_135
.LBB302_152:
	v_add_co_u32 v34, vcc_lo, 0x3000, v32
	v_add_co_ci_u32_e32 v35, vcc_lo, 0, v33, vcc_lo
	s_waitcnt lgkmcnt(9)
	global_store_b64 v[34:35], v[12:13], off
	s_or_b32 exec_lo, exec_lo, s0
	s_delay_alu instid0(SALU_CYCLE_1)
	s_mov_b32 s0, exec_lo
	v_cmpx_gt_u32_e64 s33, v102
	s_cbranch_execz .LBB302_136
.LBB302_153:
	v_add_co_u32 v34, vcc_lo, 0x3000, v32
	v_add_co_ci_u32_e32 v35, vcc_lo, 0, v33, vcc_lo
	s_waitcnt lgkmcnt(8)
	global_store_b64 v[34:35], v[14:15], off offset:2048
	s_or_b32 exec_lo, exec_lo, s0
	s_delay_alu instid0(SALU_CYCLE_1)
	s_mov_b32 s0, exec_lo
	v_cmpx_gt_u32_e64 s33, v101
	s_cbranch_execz .LBB302_137
.LBB302_154:
	v_add_co_u32 v34, vcc_lo, 0x4000, v32
	v_add_co_ci_u32_e32 v35, vcc_lo, 0, v33, vcc_lo
	s_waitcnt lgkmcnt(7)
	global_store_b64 v[34:35], v[16:17], off
	s_or_b32 exec_lo, exec_lo, s0
	s_delay_alu instid0(SALU_CYCLE_1)
	s_mov_b32 s0, exec_lo
	v_cmpx_gt_u32_e64 s33, v100
	s_cbranch_execz .LBB302_138
.LBB302_155:
	v_add_co_u32 v34, vcc_lo, 0x4000, v32
	v_add_co_ci_u32_e32 v35, vcc_lo, 0, v33, vcc_lo
	s_waitcnt lgkmcnt(6)
	global_store_b64 v[34:35], v[18:19], off offset:2048
	s_or_b32 exec_lo, exec_lo, s0
	s_delay_alu instid0(SALU_CYCLE_1)
	s_mov_b32 s0, exec_lo
	v_cmpx_gt_u32_e64 s33, v99
	s_cbranch_execz .LBB302_139
.LBB302_156:
	v_add_co_u32 v34, vcc_lo, 0x5000, v32
	v_add_co_ci_u32_e32 v35, vcc_lo, 0, v33, vcc_lo
	s_waitcnt lgkmcnt(5)
	global_store_b64 v[34:35], v[20:21], off
	s_or_b32 exec_lo, exec_lo, s0
	s_delay_alu instid0(SALU_CYCLE_1)
	s_mov_b32 s0, exec_lo
	v_cmpx_gt_u32_e64 s33, v97
	s_cbranch_execz .LBB302_140
.LBB302_157:
	v_add_co_u32 v34, vcc_lo, 0x5000, v32
	v_add_co_ci_u32_e32 v35, vcc_lo, 0, v33, vcc_lo
	s_waitcnt lgkmcnt(4)
	global_store_b64 v[34:35], v[22:23], off offset:2048
	s_or_b32 exec_lo, exec_lo, s0
	s_delay_alu instid0(SALU_CYCLE_1)
	s_mov_b32 s0, exec_lo
	v_cmpx_gt_u32_e64 s33, v98
	s_cbranch_execz .LBB302_141
.LBB302_158:
	v_add_co_u32 v34, vcc_lo, 0x6000, v32
	v_add_co_ci_u32_e32 v35, vcc_lo, 0, v33, vcc_lo
	s_waitcnt lgkmcnt(3)
	global_store_b64 v[34:35], v[24:25], off
	s_or_b32 exec_lo, exec_lo, s0
	s_delay_alu instid0(SALU_CYCLE_1)
	s_mov_b32 s0, exec_lo
	v_cmpx_gt_u32_e64 s33, v96
	s_cbranch_execz .LBB302_142
.LBB302_159:
	v_add_co_u32 v34, vcc_lo, 0x6000, v32
	v_add_co_ci_u32_e32 v35, vcc_lo, 0, v33, vcc_lo
	s_waitcnt lgkmcnt(2)
	global_store_b64 v[34:35], v[26:27], off offset:2048
	s_or_b32 exec_lo, exec_lo, s0
	s_delay_alu instid0(SALU_CYCLE_1)
	s_mov_b32 s0, exec_lo
	v_cmpx_gt_u32_e64 s33, v95
	s_cbranch_execz .LBB302_143
.LBB302_160:
	v_add_co_u32 v34, vcc_lo, 0x7000, v32
	v_add_co_ci_u32_e32 v35, vcc_lo, 0, v33, vcc_lo
	s_waitcnt lgkmcnt(1)
	global_store_b64 v[34:35], v[28:29], off
	s_or_b32 exec_lo, exec_lo, s0
	s_delay_alu instid0(SALU_CYCLE_1)
	s_mov_b32 s0, exec_lo
	v_cmpx_gt_u32_e64 s33, v94
	s_cbranch_execz .LBB302_144
.LBB302_161:
	v_add_co_u32 v32, vcc_lo, 0x7000, v32
	v_add_co_ci_u32_e32 v33, vcc_lo, 0, v33, vcc_lo
	s_waitcnt lgkmcnt(0)
	global_store_b64 v[32:33], v[30:31], off offset:2048
	s_or_b32 exec_lo, exec_lo, s0
	v_cmp_lt_u64_e64 s0, s[18:19], 2
	s_delay_alu instid0(VALU_DEP_1)
	s_and_b32 vcc_lo, exec_lo, s0
	s_cbranch_vccnz .LBB302_145
.LBB302_162:
	s_add_u32 s0, s33, -1
	s_addc_u32 s1, s34, -1
	s_delay_alu instid0(SALU_CYCLE_1)
	s_lshr_b64 s[2:3], s[0:1], 4
	s_mov_b32 s1, exec_lo
	v_cmpx_eq_u64_e64 s[2:3], v[59:60]
	s_cbranch_execz .LBB302_145
; %bb.163:
	s_and_b32 s0, s0, 15
	s_mov_b32 s1, 0
	s_delay_alu instid0(SALU_CYCLE_1) | instskip(NEXT) | instid1(VALU_DEP_1)
	v_cmp_lt_i64_e64 s2, s[0:1], 8
	s_and_b32 vcc_lo, exec_lo, s2
	s_mov_b32 s2, -1
	s_cbranch_vccnz .LBB302_190
; %bb.164:
	v_cmp_lt_i64_e64 s2, s[0:1], 12
	s_delay_alu instid0(VALU_DEP_1)
	s_and_b32 vcc_lo, exec_lo, s2
	s_mov_b32 s2, -1
	s_cbranch_vccnz .LBB302_177
; %bb.165:
	v_cmp_lt_i64_e64 s2, s[0:1], 14
	s_delay_alu instid0(VALU_DEP_1)
	s_and_b32 vcc_lo, exec_lo, s2
	s_mov_b32 s2, -1
	s_cbranch_vccnz .LBB302_171
; %bb.166:
	v_cmp_gt_i64_e64 s2, s[0:1], 14
	s_delay_alu instid0(VALU_DEP_1)
	s_and_b32 vcc_lo, exec_lo, s2
	s_mov_b32 s2, -1
	s_cbranch_vccz .LBB302_168
; %bb.167:
	v_mov_b32_e32 v32, 0
	s_mov_b32 s2, 0
	s_waitcnt lgkmcnt(0)
	global_store_b64 v32, v[30:31], s[14:15]
.LBB302_168:
	s_and_not1_b32 vcc_lo, exec_lo, s2
	s_cbranch_vccnz .LBB302_170
; %bb.169:
	s_waitcnt lgkmcnt(0)
	v_mov_b32_e32 v30, 0
	global_store_b64 v30, v[28:29], s[14:15]
.LBB302_170:
	s_mov_b32 s2, 0
.LBB302_171:
	s_delay_alu instid0(SALU_CYCLE_1)
	s_and_not1_b32 vcc_lo, exec_lo, s2
	s_cbranch_vccnz .LBB302_176
; %bb.172:
	v_cmp_gt_i64_e64 s2, s[0:1], 12
	s_delay_alu instid0(VALU_DEP_1)
	s_and_b32 vcc_lo, exec_lo, s2
	s_mov_b32 s2, -1
	s_cbranch_vccz .LBB302_174
; %bb.173:
	s_waitcnt lgkmcnt(1)
	v_mov_b32_e32 v28, 0
	s_mov_b32 s2, 0
	global_store_b64 v28, v[26:27], s[14:15]
.LBB302_174:
	s_and_not1_b32 vcc_lo, exec_lo, s2
	s_cbranch_vccnz .LBB302_176
; %bb.175:
	s_waitcnt lgkmcnt(2)
	v_mov_b32_e32 v26, 0
	global_store_b64 v26, v[24:25], s[14:15]
.LBB302_176:
	s_mov_b32 s2, 0
.LBB302_177:
	s_delay_alu instid0(SALU_CYCLE_1)
	s_and_not1_b32 vcc_lo, exec_lo, s2
	s_cbranch_vccnz .LBB302_189
; %bb.178:
	v_cmp_lt_i64_e64 s2, s[0:1], 10
	s_delay_alu instid0(VALU_DEP_1)
	s_and_b32 vcc_lo, exec_lo, s2
	s_mov_b32 s2, -1
	s_cbranch_vccnz .LBB302_184
; %bb.179:
	v_cmp_gt_i64_e64 s2, s[0:1], 10
	s_delay_alu instid0(VALU_DEP_1)
	s_and_b32 vcc_lo, exec_lo, s2
	s_mov_b32 s2, -1
	s_cbranch_vccz .LBB302_181
; %bb.180:
	s_waitcnt lgkmcnt(3)
	v_mov_b32_e32 v24, 0
	s_mov_b32 s2, 0
	global_store_b64 v24, v[22:23], s[14:15]
.LBB302_181:
	s_and_not1_b32 vcc_lo, exec_lo, s2
	s_cbranch_vccnz .LBB302_183
; %bb.182:
	s_waitcnt lgkmcnt(4)
	v_mov_b32_e32 v22, 0
	global_store_b64 v22, v[20:21], s[14:15]
.LBB302_183:
	s_mov_b32 s2, 0
.LBB302_184:
	s_delay_alu instid0(SALU_CYCLE_1)
	s_and_not1_b32 vcc_lo, exec_lo, s2
	s_cbranch_vccnz .LBB302_189
; %bb.185:
	v_cmp_gt_i64_e64 s2, s[0:1], 8
	s_delay_alu instid0(VALU_DEP_1)
	s_and_b32 vcc_lo, exec_lo, s2
	s_mov_b32 s2, -1
	s_cbranch_vccz .LBB302_187
; %bb.186:
	s_waitcnt lgkmcnt(5)
	v_mov_b32_e32 v20, 0
	s_mov_b32 s2, 0
	global_store_b64 v20, v[18:19], s[14:15]
.LBB302_187:
	s_and_not1_b32 vcc_lo, exec_lo, s2
	s_cbranch_vccnz .LBB302_189
; %bb.188:
	s_waitcnt lgkmcnt(6)
	v_mov_b32_e32 v18, 0
	global_store_b64 v18, v[16:17], s[14:15]
.LBB302_189:
	s_mov_b32 s2, 0
.LBB302_190:
	s_delay_alu instid0(SALU_CYCLE_1)
	s_and_not1_b32 vcc_lo, exec_lo, s2
	s_cbranch_vccnz .LBB302_145
; %bb.191:
	v_cmp_lt_i64_e64 s2, s[0:1], 4
	s_delay_alu instid0(VALU_DEP_1)
	s_and_b32 vcc_lo, exec_lo, s2
	s_mov_b32 s2, -1
	s_cbranch_vccnz .LBB302_204
; %bb.192:
	v_cmp_lt_i64_e64 s2, s[0:1], 6
	s_delay_alu instid0(VALU_DEP_1)
	s_and_b32 vcc_lo, exec_lo, s2
	s_mov_b32 s2, -1
	s_cbranch_vccnz .LBB302_198
; %bb.193:
	v_cmp_gt_i64_e64 s2, s[0:1], 6
	s_delay_alu instid0(VALU_DEP_1)
	s_and_b32 vcc_lo, exec_lo, s2
	s_mov_b32 s2, -1
	s_cbranch_vccz .LBB302_195
; %bb.194:
	s_waitcnt lgkmcnt(7)
	v_mov_b32_e32 v16, 0
	s_mov_b32 s2, 0
	global_store_b64 v16, v[14:15], s[14:15]
.LBB302_195:
	s_and_not1_b32 vcc_lo, exec_lo, s2
	s_cbranch_vccnz .LBB302_197
; %bb.196:
	s_waitcnt lgkmcnt(8)
	v_mov_b32_e32 v14, 0
	global_store_b64 v14, v[12:13], s[14:15]
.LBB302_197:
	s_mov_b32 s2, 0
.LBB302_198:
	s_delay_alu instid0(SALU_CYCLE_1)
	s_and_not1_b32 vcc_lo, exec_lo, s2
	s_cbranch_vccnz .LBB302_203
; %bb.199:
	v_cmp_gt_i64_e64 s2, s[0:1], 4
	s_delay_alu instid0(VALU_DEP_1)
	s_and_b32 vcc_lo, exec_lo, s2
	s_mov_b32 s2, -1
	s_cbranch_vccz .LBB302_201
; %bb.200:
	s_waitcnt lgkmcnt(9)
	v_mov_b32_e32 v12, 0
	s_mov_b32 s2, 0
	global_store_b64 v12, v[10:11], s[14:15]
.LBB302_201:
	s_and_not1_b32 vcc_lo, exec_lo, s2
	s_cbranch_vccnz .LBB302_203
; %bb.202:
	s_waitcnt lgkmcnt(10)
	v_mov_b32_e32 v10, 0
	global_store_b64 v10, v[8:9], s[14:15]
.LBB302_203:
	s_mov_b32 s2, 0
.LBB302_204:
	s_delay_alu instid0(SALU_CYCLE_1)
	s_and_not1_b32 vcc_lo, exec_lo, s2
	s_cbranch_vccnz .LBB302_145
; %bb.205:
	v_cmp_lt_i64_e64 s2, s[0:1], 2
	s_delay_alu instid0(VALU_DEP_1)
	s_and_b32 vcc_lo, exec_lo, s2
	s_mov_b32 s2, -1
	s_cbranch_vccnz .LBB302_211
; %bb.206:
	v_cmp_gt_i64_e64 s2, s[0:1], 2
	s_delay_alu instid0(VALU_DEP_1)
	s_and_b32 vcc_lo, exec_lo, s2
	s_mov_b32 s2, -1
	s_cbranch_vccz .LBB302_208
; %bb.207:
	s_waitcnt lgkmcnt(11)
	v_mov_b32_e32 v8, 0
	s_mov_b32 s2, 0
	global_store_b64 v8, v[6:7], s[14:15]
.LBB302_208:
	s_and_not1_b32 vcc_lo, exec_lo, s2
	s_cbranch_vccnz .LBB302_210
; %bb.209:
	s_waitcnt lgkmcnt(12)
	v_mov_b32_e32 v6, 0
	global_store_b64 v6, v[4:5], s[14:15]
.LBB302_210:
	s_mov_b32 s2, 0
.LBB302_211:
	s_delay_alu instid0(SALU_CYCLE_1)
	s_and_not1_b32 vcc_lo, exec_lo, s2
	s_cbranch_vccnz .LBB302_145
; %bb.212:
	s_cmp_eq_u64 s[0:1], 1
	s_mov_b32 s0, -1
	s_cbranch_scc1 .LBB302_214
; %bb.213:
	s_waitcnt lgkmcnt(13)
	v_mov_b32_e32 v4, 0
	s_mov_b32 s0, 0
	global_store_b64 v4, v[2:3], s[14:15]
.LBB302_214:
	s_and_not1_b32 vcc_lo, exec_lo, s0
	s_cbranch_vccnz .LBB302_145
; %bb.215:
	s_waitcnt lgkmcnt(15)
	v_mov_b32_e32 v2, 0
	s_waitcnt lgkmcnt(14)
	global_store_b64 v2, v[0:1], s[14:15]
	s_nop 0
	s_sendmsg sendmsg(MSG_DEALLOC_VGPRS)
	s_endpgm
	.section	.rodata,"a",@progbits
	.p2align	6, 0x0
	.amdhsa_kernel _ZN7rocprim17ROCPRIM_400000_NS6detail17trampoline_kernelINS0_14default_configENS1_20scan_config_selectorIN3c107complexIfEEEEZZNS1_9scan_implILNS1_25lookback_scan_determinismE0ELb0ELb0ES3_PKS7_PS7_S7_ZZZN2at6native31launch_logcumsumexp_cuda_kernelERKNSE_10TensorBaseESI_lENKUlvE_clEvENKUlvE2_clEvEUlS7_S7_E_S7_EEDaPvRmT3_T4_T5_mT6_P12ihipStream_tbENKUlT_T0_E_clISt17integral_constantIbLb1EESZ_EEDaSU_SV_EUlSU_E_NS1_11comp_targetILNS1_3genE9ELNS1_11target_archE1100ELNS1_3gpuE3ELNS1_3repE0EEENS1_30default_config_static_selectorELNS0_4arch9wavefront6targetE0EEEvT1_
		.amdhsa_group_segment_fixed_size 33792
		.amdhsa_private_segment_fixed_size 0
		.amdhsa_kernarg_size 104
		.amdhsa_user_sgpr_count 15
		.amdhsa_user_sgpr_dispatch_ptr 0
		.amdhsa_user_sgpr_queue_ptr 0
		.amdhsa_user_sgpr_kernarg_segment_ptr 1
		.amdhsa_user_sgpr_dispatch_id 0
		.amdhsa_user_sgpr_private_segment_size 0
		.amdhsa_wavefront_size32 1
		.amdhsa_uses_dynamic_stack 0
		.amdhsa_enable_private_segment 0
		.amdhsa_system_sgpr_workgroup_id_x 1
		.amdhsa_system_sgpr_workgroup_id_y 0
		.amdhsa_system_sgpr_workgroup_id_z 0
		.amdhsa_system_sgpr_workgroup_info 0
		.amdhsa_system_vgpr_workitem_id 0
		.amdhsa_next_free_vgpr 111
		.amdhsa_next_free_sgpr 39
		.amdhsa_reserve_vcc 1
		.amdhsa_float_round_mode_32 0
		.amdhsa_float_round_mode_16_64 0
		.amdhsa_float_denorm_mode_32 3
		.amdhsa_float_denorm_mode_16_64 3
		.amdhsa_dx10_clamp 1
		.amdhsa_ieee_mode 1
		.amdhsa_fp16_overflow 0
		.amdhsa_workgroup_processor_mode 1
		.amdhsa_memory_ordered 1
		.amdhsa_forward_progress 0
		.amdhsa_shared_vgpr_count 0
		.amdhsa_exception_fp_ieee_invalid_op 0
		.amdhsa_exception_fp_denorm_src 0
		.amdhsa_exception_fp_ieee_div_zero 0
		.amdhsa_exception_fp_ieee_overflow 0
		.amdhsa_exception_fp_ieee_underflow 0
		.amdhsa_exception_fp_ieee_inexact 0
		.amdhsa_exception_int_div_zero 0
	.end_amdhsa_kernel
	.section	.text._ZN7rocprim17ROCPRIM_400000_NS6detail17trampoline_kernelINS0_14default_configENS1_20scan_config_selectorIN3c107complexIfEEEEZZNS1_9scan_implILNS1_25lookback_scan_determinismE0ELb0ELb0ES3_PKS7_PS7_S7_ZZZN2at6native31launch_logcumsumexp_cuda_kernelERKNSE_10TensorBaseESI_lENKUlvE_clEvENKUlvE2_clEvEUlS7_S7_E_S7_EEDaPvRmT3_T4_T5_mT6_P12ihipStream_tbENKUlT_T0_E_clISt17integral_constantIbLb1EESZ_EEDaSU_SV_EUlSU_E_NS1_11comp_targetILNS1_3genE9ELNS1_11target_archE1100ELNS1_3gpuE3ELNS1_3repE0EEENS1_30default_config_static_selectorELNS0_4arch9wavefront6targetE0EEEvT1_,"axG",@progbits,_ZN7rocprim17ROCPRIM_400000_NS6detail17trampoline_kernelINS0_14default_configENS1_20scan_config_selectorIN3c107complexIfEEEEZZNS1_9scan_implILNS1_25lookback_scan_determinismE0ELb0ELb0ES3_PKS7_PS7_S7_ZZZN2at6native31launch_logcumsumexp_cuda_kernelERKNSE_10TensorBaseESI_lENKUlvE_clEvENKUlvE2_clEvEUlS7_S7_E_S7_EEDaPvRmT3_T4_T5_mT6_P12ihipStream_tbENKUlT_T0_E_clISt17integral_constantIbLb1EESZ_EEDaSU_SV_EUlSU_E_NS1_11comp_targetILNS1_3genE9ELNS1_11target_archE1100ELNS1_3gpuE3ELNS1_3repE0EEENS1_30default_config_static_selectorELNS0_4arch9wavefront6targetE0EEEvT1_,comdat
.Lfunc_end302:
	.size	_ZN7rocprim17ROCPRIM_400000_NS6detail17trampoline_kernelINS0_14default_configENS1_20scan_config_selectorIN3c107complexIfEEEEZZNS1_9scan_implILNS1_25lookback_scan_determinismE0ELb0ELb0ES3_PKS7_PS7_S7_ZZZN2at6native31launch_logcumsumexp_cuda_kernelERKNSE_10TensorBaseESI_lENKUlvE_clEvENKUlvE2_clEvEUlS7_S7_E_S7_EEDaPvRmT3_T4_T5_mT6_P12ihipStream_tbENKUlT_T0_E_clISt17integral_constantIbLb1EESZ_EEDaSU_SV_EUlSU_E_NS1_11comp_targetILNS1_3genE9ELNS1_11target_archE1100ELNS1_3gpuE3ELNS1_3repE0EEENS1_30default_config_static_selectorELNS0_4arch9wavefront6targetE0EEEvT1_, .Lfunc_end302-_ZN7rocprim17ROCPRIM_400000_NS6detail17trampoline_kernelINS0_14default_configENS1_20scan_config_selectorIN3c107complexIfEEEEZZNS1_9scan_implILNS1_25lookback_scan_determinismE0ELb0ELb0ES3_PKS7_PS7_S7_ZZZN2at6native31launch_logcumsumexp_cuda_kernelERKNSE_10TensorBaseESI_lENKUlvE_clEvENKUlvE2_clEvEUlS7_S7_E_S7_EEDaPvRmT3_T4_T5_mT6_P12ihipStream_tbENKUlT_T0_E_clISt17integral_constantIbLb1EESZ_EEDaSU_SV_EUlSU_E_NS1_11comp_targetILNS1_3genE9ELNS1_11target_archE1100ELNS1_3gpuE3ELNS1_3repE0EEENS1_30default_config_static_selectorELNS0_4arch9wavefront6targetE0EEEvT1_
                                        ; -- End function
	.section	.AMDGPU.csdata,"",@progbits
; Kernel info:
; codeLenInByte = 11644
; NumSgprs: 41
; NumVgprs: 111
; ScratchSize: 0
; MemoryBound: 0
; FloatMode: 240
; IeeeMode: 1
; LDSByteSize: 33792 bytes/workgroup (compile time only)
; SGPRBlocks: 5
; VGPRBlocks: 13
; NumSGPRsForWavesPerEU: 41
; NumVGPRsForWavesPerEU: 111
; Occupancy: 6
; WaveLimiterHint : 0
; COMPUTE_PGM_RSRC2:SCRATCH_EN: 0
; COMPUTE_PGM_RSRC2:USER_SGPR: 15
; COMPUTE_PGM_RSRC2:TRAP_HANDLER: 0
; COMPUTE_PGM_RSRC2:TGID_X_EN: 1
; COMPUTE_PGM_RSRC2:TGID_Y_EN: 0
; COMPUTE_PGM_RSRC2:TGID_Z_EN: 0
; COMPUTE_PGM_RSRC2:TIDIG_COMP_CNT: 0
	.section	.text._ZN7rocprim17ROCPRIM_400000_NS6detail17trampoline_kernelINS0_14default_configENS1_20scan_config_selectorIN3c107complexIfEEEEZZNS1_9scan_implILNS1_25lookback_scan_determinismE0ELb0ELb0ES3_PKS7_PS7_S7_ZZZN2at6native31launch_logcumsumexp_cuda_kernelERKNSE_10TensorBaseESI_lENKUlvE_clEvENKUlvE2_clEvEUlS7_S7_E_S7_EEDaPvRmT3_T4_T5_mT6_P12ihipStream_tbENKUlT_T0_E_clISt17integral_constantIbLb1EESZ_EEDaSU_SV_EUlSU_E_NS1_11comp_targetILNS1_3genE8ELNS1_11target_archE1030ELNS1_3gpuE2ELNS1_3repE0EEENS1_30default_config_static_selectorELNS0_4arch9wavefront6targetE0EEEvT1_,"axG",@progbits,_ZN7rocprim17ROCPRIM_400000_NS6detail17trampoline_kernelINS0_14default_configENS1_20scan_config_selectorIN3c107complexIfEEEEZZNS1_9scan_implILNS1_25lookback_scan_determinismE0ELb0ELb0ES3_PKS7_PS7_S7_ZZZN2at6native31launch_logcumsumexp_cuda_kernelERKNSE_10TensorBaseESI_lENKUlvE_clEvENKUlvE2_clEvEUlS7_S7_E_S7_EEDaPvRmT3_T4_T5_mT6_P12ihipStream_tbENKUlT_T0_E_clISt17integral_constantIbLb1EESZ_EEDaSU_SV_EUlSU_E_NS1_11comp_targetILNS1_3genE8ELNS1_11target_archE1030ELNS1_3gpuE2ELNS1_3repE0EEENS1_30default_config_static_selectorELNS0_4arch9wavefront6targetE0EEEvT1_,comdat
	.globl	_ZN7rocprim17ROCPRIM_400000_NS6detail17trampoline_kernelINS0_14default_configENS1_20scan_config_selectorIN3c107complexIfEEEEZZNS1_9scan_implILNS1_25lookback_scan_determinismE0ELb0ELb0ES3_PKS7_PS7_S7_ZZZN2at6native31launch_logcumsumexp_cuda_kernelERKNSE_10TensorBaseESI_lENKUlvE_clEvENKUlvE2_clEvEUlS7_S7_E_S7_EEDaPvRmT3_T4_T5_mT6_P12ihipStream_tbENKUlT_T0_E_clISt17integral_constantIbLb1EESZ_EEDaSU_SV_EUlSU_E_NS1_11comp_targetILNS1_3genE8ELNS1_11target_archE1030ELNS1_3gpuE2ELNS1_3repE0EEENS1_30default_config_static_selectorELNS0_4arch9wavefront6targetE0EEEvT1_ ; -- Begin function _ZN7rocprim17ROCPRIM_400000_NS6detail17trampoline_kernelINS0_14default_configENS1_20scan_config_selectorIN3c107complexIfEEEEZZNS1_9scan_implILNS1_25lookback_scan_determinismE0ELb0ELb0ES3_PKS7_PS7_S7_ZZZN2at6native31launch_logcumsumexp_cuda_kernelERKNSE_10TensorBaseESI_lENKUlvE_clEvENKUlvE2_clEvEUlS7_S7_E_S7_EEDaPvRmT3_T4_T5_mT6_P12ihipStream_tbENKUlT_T0_E_clISt17integral_constantIbLb1EESZ_EEDaSU_SV_EUlSU_E_NS1_11comp_targetILNS1_3genE8ELNS1_11target_archE1030ELNS1_3gpuE2ELNS1_3repE0EEENS1_30default_config_static_selectorELNS0_4arch9wavefront6targetE0EEEvT1_
	.p2align	8
	.type	_ZN7rocprim17ROCPRIM_400000_NS6detail17trampoline_kernelINS0_14default_configENS1_20scan_config_selectorIN3c107complexIfEEEEZZNS1_9scan_implILNS1_25lookback_scan_determinismE0ELb0ELb0ES3_PKS7_PS7_S7_ZZZN2at6native31launch_logcumsumexp_cuda_kernelERKNSE_10TensorBaseESI_lENKUlvE_clEvENKUlvE2_clEvEUlS7_S7_E_S7_EEDaPvRmT3_T4_T5_mT6_P12ihipStream_tbENKUlT_T0_E_clISt17integral_constantIbLb1EESZ_EEDaSU_SV_EUlSU_E_NS1_11comp_targetILNS1_3genE8ELNS1_11target_archE1030ELNS1_3gpuE2ELNS1_3repE0EEENS1_30default_config_static_selectorELNS0_4arch9wavefront6targetE0EEEvT1_,@function
_ZN7rocprim17ROCPRIM_400000_NS6detail17trampoline_kernelINS0_14default_configENS1_20scan_config_selectorIN3c107complexIfEEEEZZNS1_9scan_implILNS1_25lookback_scan_determinismE0ELb0ELb0ES3_PKS7_PS7_S7_ZZZN2at6native31launch_logcumsumexp_cuda_kernelERKNSE_10TensorBaseESI_lENKUlvE_clEvENKUlvE2_clEvEUlS7_S7_E_S7_EEDaPvRmT3_T4_T5_mT6_P12ihipStream_tbENKUlT_T0_E_clISt17integral_constantIbLb1EESZ_EEDaSU_SV_EUlSU_E_NS1_11comp_targetILNS1_3genE8ELNS1_11target_archE1030ELNS1_3gpuE2ELNS1_3repE0EEENS1_30default_config_static_selectorELNS0_4arch9wavefront6targetE0EEEvT1_: ; @_ZN7rocprim17ROCPRIM_400000_NS6detail17trampoline_kernelINS0_14default_configENS1_20scan_config_selectorIN3c107complexIfEEEEZZNS1_9scan_implILNS1_25lookback_scan_determinismE0ELb0ELb0ES3_PKS7_PS7_S7_ZZZN2at6native31launch_logcumsumexp_cuda_kernelERKNSE_10TensorBaseESI_lENKUlvE_clEvENKUlvE2_clEvEUlS7_S7_E_S7_EEDaPvRmT3_T4_T5_mT6_P12ihipStream_tbENKUlT_T0_E_clISt17integral_constantIbLb1EESZ_EEDaSU_SV_EUlSU_E_NS1_11comp_targetILNS1_3genE8ELNS1_11target_archE1030ELNS1_3gpuE2ELNS1_3repE0EEENS1_30default_config_static_selectorELNS0_4arch9wavefront6targetE0EEEvT1_
; %bb.0:
	.section	.rodata,"a",@progbits
	.p2align	6, 0x0
	.amdhsa_kernel _ZN7rocprim17ROCPRIM_400000_NS6detail17trampoline_kernelINS0_14default_configENS1_20scan_config_selectorIN3c107complexIfEEEEZZNS1_9scan_implILNS1_25lookback_scan_determinismE0ELb0ELb0ES3_PKS7_PS7_S7_ZZZN2at6native31launch_logcumsumexp_cuda_kernelERKNSE_10TensorBaseESI_lENKUlvE_clEvENKUlvE2_clEvEUlS7_S7_E_S7_EEDaPvRmT3_T4_T5_mT6_P12ihipStream_tbENKUlT_T0_E_clISt17integral_constantIbLb1EESZ_EEDaSU_SV_EUlSU_E_NS1_11comp_targetILNS1_3genE8ELNS1_11target_archE1030ELNS1_3gpuE2ELNS1_3repE0EEENS1_30default_config_static_selectorELNS0_4arch9wavefront6targetE0EEEvT1_
		.amdhsa_group_segment_fixed_size 0
		.amdhsa_private_segment_fixed_size 0
		.amdhsa_kernarg_size 104
		.amdhsa_user_sgpr_count 15
		.amdhsa_user_sgpr_dispatch_ptr 0
		.amdhsa_user_sgpr_queue_ptr 0
		.amdhsa_user_sgpr_kernarg_segment_ptr 1
		.amdhsa_user_sgpr_dispatch_id 0
		.amdhsa_user_sgpr_private_segment_size 0
		.amdhsa_wavefront_size32 1
		.amdhsa_uses_dynamic_stack 0
		.amdhsa_enable_private_segment 0
		.amdhsa_system_sgpr_workgroup_id_x 1
		.amdhsa_system_sgpr_workgroup_id_y 0
		.amdhsa_system_sgpr_workgroup_id_z 0
		.amdhsa_system_sgpr_workgroup_info 0
		.amdhsa_system_vgpr_workitem_id 0
		.amdhsa_next_free_vgpr 1
		.amdhsa_next_free_sgpr 1
		.amdhsa_reserve_vcc 0
		.amdhsa_float_round_mode_32 0
		.amdhsa_float_round_mode_16_64 0
		.amdhsa_float_denorm_mode_32 3
		.amdhsa_float_denorm_mode_16_64 3
		.amdhsa_dx10_clamp 1
		.amdhsa_ieee_mode 1
		.amdhsa_fp16_overflow 0
		.amdhsa_workgroup_processor_mode 1
		.amdhsa_memory_ordered 1
		.amdhsa_forward_progress 0
		.amdhsa_shared_vgpr_count 0
		.amdhsa_exception_fp_ieee_invalid_op 0
		.amdhsa_exception_fp_denorm_src 0
		.amdhsa_exception_fp_ieee_div_zero 0
		.amdhsa_exception_fp_ieee_overflow 0
		.amdhsa_exception_fp_ieee_underflow 0
		.amdhsa_exception_fp_ieee_inexact 0
		.amdhsa_exception_int_div_zero 0
	.end_amdhsa_kernel
	.section	.text._ZN7rocprim17ROCPRIM_400000_NS6detail17trampoline_kernelINS0_14default_configENS1_20scan_config_selectorIN3c107complexIfEEEEZZNS1_9scan_implILNS1_25lookback_scan_determinismE0ELb0ELb0ES3_PKS7_PS7_S7_ZZZN2at6native31launch_logcumsumexp_cuda_kernelERKNSE_10TensorBaseESI_lENKUlvE_clEvENKUlvE2_clEvEUlS7_S7_E_S7_EEDaPvRmT3_T4_T5_mT6_P12ihipStream_tbENKUlT_T0_E_clISt17integral_constantIbLb1EESZ_EEDaSU_SV_EUlSU_E_NS1_11comp_targetILNS1_3genE8ELNS1_11target_archE1030ELNS1_3gpuE2ELNS1_3repE0EEENS1_30default_config_static_selectorELNS0_4arch9wavefront6targetE0EEEvT1_,"axG",@progbits,_ZN7rocprim17ROCPRIM_400000_NS6detail17trampoline_kernelINS0_14default_configENS1_20scan_config_selectorIN3c107complexIfEEEEZZNS1_9scan_implILNS1_25lookback_scan_determinismE0ELb0ELb0ES3_PKS7_PS7_S7_ZZZN2at6native31launch_logcumsumexp_cuda_kernelERKNSE_10TensorBaseESI_lENKUlvE_clEvENKUlvE2_clEvEUlS7_S7_E_S7_EEDaPvRmT3_T4_T5_mT6_P12ihipStream_tbENKUlT_T0_E_clISt17integral_constantIbLb1EESZ_EEDaSU_SV_EUlSU_E_NS1_11comp_targetILNS1_3genE8ELNS1_11target_archE1030ELNS1_3gpuE2ELNS1_3repE0EEENS1_30default_config_static_selectorELNS0_4arch9wavefront6targetE0EEEvT1_,comdat
.Lfunc_end303:
	.size	_ZN7rocprim17ROCPRIM_400000_NS6detail17trampoline_kernelINS0_14default_configENS1_20scan_config_selectorIN3c107complexIfEEEEZZNS1_9scan_implILNS1_25lookback_scan_determinismE0ELb0ELb0ES3_PKS7_PS7_S7_ZZZN2at6native31launch_logcumsumexp_cuda_kernelERKNSE_10TensorBaseESI_lENKUlvE_clEvENKUlvE2_clEvEUlS7_S7_E_S7_EEDaPvRmT3_T4_T5_mT6_P12ihipStream_tbENKUlT_T0_E_clISt17integral_constantIbLb1EESZ_EEDaSU_SV_EUlSU_E_NS1_11comp_targetILNS1_3genE8ELNS1_11target_archE1030ELNS1_3gpuE2ELNS1_3repE0EEENS1_30default_config_static_selectorELNS0_4arch9wavefront6targetE0EEEvT1_, .Lfunc_end303-_ZN7rocprim17ROCPRIM_400000_NS6detail17trampoline_kernelINS0_14default_configENS1_20scan_config_selectorIN3c107complexIfEEEEZZNS1_9scan_implILNS1_25lookback_scan_determinismE0ELb0ELb0ES3_PKS7_PS7_S7_ZZZN2at6native31launch_logcumsumexp_cuda_kernelERKNSE_10TensorBaseESI_lENKUlvE_clEvENKUlvE2_clEvEUlS7_S7_E_S7_EEDaPvRmT3_T4_T5_mT6_P12ihipStream_tbENKUlT_T0_E_clISt17integral_constantIbLb1EESZ_EEDaSU_SV_EUlSU_E_NS1_11comp_targetILNS1_3genE8ELNS1_11target_archE1030ELNS1_3gpuE2ELNS1_3repE0EEENS1_30default_config_static_selectorELNS0_4arch9wavefront6targetE0EEEvT1_
                                        ; -- End function
	.section	.AMDGPU.csdata,"",@progbits
; Kernel info:
; codeLenInByte = 0
; NumSgprs: 0
; NumVgprs: 0
; ScratchSize: 0
; MemoryBound: 0
; FloatMode: 240
; IeeeMode: 1
; LDSByteSize: 0 bytes/workgroup (compile time only)
; SGPRBlocks: 0
; VGPRBlocks: 0
; NumSGPRsForWavesPerEU: 1
; NumVGPRsForWavesPerEU: 1
; Occupancy: 16
; WaveLimiterHint : 0
; COMPUTE_PGM_RSRC2:SCRATCH_EN: 0
; COMPUTE_PGM_RSRC2:USER_SGPR: 15
; COMPUTE_PGM_RSRC2:TRAP_HANDLER: 0
; COMPUTE_PGM_RSRC2:TGID_X_EN: 1
; COMPUTE_PGM_RSRC2:TGID_Y_EN: 0
; COMPUTE_PGM_RSRC2:TGID_Z_EN: 0
; COMPUTE_PGM_RSRC2:TIDIG_COMP_CNT: 0
	.section	.text._ZN7rocprim17ROCPRIM_400000_NS6detail17trampoline_kernelINS0_14default_configENS1_20scan_config_selectorIN3c107complexIfEEEEZZNS1_9scan_implILNS1_25lookback_scan_determinismE0ELb0ELb0ES3_PKS7_PS7_S7_ZZZN2at6native31launch_logcumsumexp_cuda_kernelERKNSE_10TensorBaseESI_lENKUlvE_clEvENKUlvE2_clEvEUlS7_S7_E_S7_EEDaPvRmT3_T4_T5_mT6_P12ihipStream_tbENKUlT_T0_E_clISt17integral_constantIbLb1EESZ_EEDaSU_SV_EUlSU_E0_NS1_11comp_targetILNS1_3genE0ELNS1_11target_archE4294967295ELNS1_3gpuE0ELNS1_3repE0EEENS1_30default_config_static_selectorELNS0_4arch9wavefront6targetE0EEEvT1_,"axG",@progbits,_ZN7rocprim17ROCPRIM_400000_NS6detail17trampoline_kernelINS0_14default_configENS1_20scan_config_selectorIN3c107complexIfEEEEZZNS1_9scan_implILNS1_25lookback_scan_determinismE0ELb0ELb0ES3_PKS7_PS7_S7_ZZZN2at6native31launch_logcumsumexp_cuda_kernelERKNSE_10TensorBaseESI_lENKUlvE_clEvENKUlvE2_clEvEUlS7_S7_E_S7_EEDaPvRmT3_T4_T5_mT6_P12ihipStream_tbENKUlT_T0_E_clISt17integral_constantIbLb1EESZ_EEDaSU_SV_EUlSU_E0_NS1_11comp_targetILNS1_3genE0ELNS1_11target_archE4294967295ELNS1_3gpuE0ELNS1_3repE0EEENS1_30default_config_static_selectorELNS0_4arch9wavefront6targetE0EEEvT1_,comdat
	.globl	_ZN7rocprim17ROCPRIM_400000_NS6detail17trampoline_kernelINS0_14default_configENS1_20scan_config_selectorIN3c107complexIfEEEEZZNS1_9scan_implILNS1_25lookback_scan_determinismE0ELb0ELb0ES3_PKS7_PS7_S7_ZZZN2at6native31launch_logcumsumexp_cuda_kernelERKNSE_10TensorBaseESI_lENKUlvE_clEvENKUlvE2_clEvEUlS7_S7_E_S7_EEDaPvRmT3_T4_T5_mT6_P12ihipStream_tbENKUlT_T0_E_clISt17integral_constantIbLb1EESZ_EEDaSU_SV_EUlSU_E0_NS1_11comp_targetILNS1_3genE0ELNS1_11target_archE4294967295ELNS1_3gpuE0ELNS1_3repE0EEENS1_30default_config_static_selectorELNS0_4arch9wavefront6targetE0EEEvT1_ ; -- Begin function _ZN7rocprim17ROCPRIM_400000_NS6detail17trampoline_kernelINS0_14default_configENS1_20scan_config_selectorIN3c107complexIfEEEEZZNS1_9scan_implILNS1_25lookback_scan_determinismE0ELb0ELb0ES3_PKS7_PS7_S7_ZZZN2at6native31launch_logcumsumexp_cuda_kernelERKNSE_10TensorBaseESI_lENKUlvE_clEvENKUlvE2_clEvEUlS7_S7_E_S7_EEDaPvRmT3_T4_T5_mT6_P12ihipStream_tbENKUlT_T0_E_clISt17integral_constantIbLb1EESZ_EEDaSU_SV_EUlSU_E0_NS1_11comp_targetILNS1_3genE0ELNS1_11target_archE4294967295ELNS1_3gpuE0ELNS1_3repE0EEENS1_30default_config_static_selectorELNS0_4arch9wavefront6targetE0EEEvT1_
	.p2align	8
	.type	_ZN7rocprim17ROCPRIM_400000_NS6detail17trampoline_kernelINS0_14default_configENS1_20scan_config_selectorIN3c107complexIfEEEEZZNS1_9scan_implILNS1_25lookback_scan_determinismE0ELb0ELb0ES3_PKS7_PS7_S7_ZZZN2at6native31launch_logcumsumexp_cuda_kernelERKNSE_10TensorBaseESI_lENKUlvE_clEvENKUlvE2_clEvEUlS7_S7_E_S7_EEDaPvRmT3_T4_T5_mT6_P12ihipStream_tbENKUlT_T0_E_clISt17integral_constantIbLb1EESZ_EEDaSU_SV_EUlSU_E0_NS1_11comp_targetILNS1_3genE0ELNS1_11target_archE4294967295ELNS1_3gpuE0ELNS1_3repE0EEENS1_30default_config_static_selectorELNS0_4arch9wavefront6targetE0EEEvT1_,@function
_ZN7rocprim17ROCPRIM_400000_NS6detail17trampoline_kernelINS0_14default_configENS1_20scan_config_selectorIN3c107complexIfEEEEZZNS1_9scan_implILNS1_25lookback_scan_determinismE0ELb0ELb0ES3_PKS7_PS7_S7_ZZZN2at6native31launch_logcumsumexp_cuda_kernelERKNSE_10TensorBaseESI_lENKUlvE_clEvENKUlvE2_clEvEUlS7_S7_E_S7_EEDaPvRmT3_T4_T5_mT6_P12ihipStream_tbENKUlT_T0_E_clISt17integral_constantIbLb1EESZ_EEDaSU_SV_EUlSU_E0_NS1_11comp_targetILNS1_3genE0ELNS1_11target_archE4294967295ELNS1_3gpuE0ELNS1_3repE0EEENS1_30default_config_static_selectorELNS0_4arch9wavefront6targetE0EEEvT1_: ; @_ZN7rocprim17ROCPRIM_400000_NS6detail17trampoline_kernelINS0_14default_configENS1_20scan_config_selectorIN3c107complexIfEEEEZZNS1_9scan_implILNS1_25lookback_scan_determinismE0ELb0ELb0ES3_PKS7_PS7_S7_ZZZN2at6native31launch_logcumsumexp_cuda_kernelERKNSE_10TensorBaseESI_lENKUlvE_clEvENKUlvE2_clEvEUlS7_S7_E_S7_EEDaPvRmT3_T4_T5_mT6_P12ihipStream_tbENKUlT_T0_E_clISt17integral_constantIbLb1EESZ_EEDaSU_SV_EUlSU_E0_NS1_11comp_targetILNS1_3genE0ELNS1_11target_archE4294967295ELNS1_3gpuE0ELNS1_3repE0EEENS1_30default_config_static_selectorELNS0_4arch9wavefront6targetE0EEEvT1_
; %bb.0:
	.section	.rodata,"a",@progbits
	.p2align	6, 0x0
	.amdhsa_kernel _ZN7rocprim17ROCPRIM_400000_NS6detail17trampoline_kernelINS0_14default_configENS1_20scan_config_selectorIN3c107complexIfEEEEZZNS1_9scan_implILNS1_25lookback_scan_determinismE0ELb0ELb0ES3_PKS7_PS7_S7_ZZZN2at6native31launch_logcumsumexp_cuda_kernelERKNSE_10TensorBaseESI_lENKUlvE_clEvENKUlvE2_clEvEUlS7_S7_E_S7_EEDaPvRmT3_T4_T5_mT6_P12ihipStream_tbENKUlT_T0_E_clISt17integral_constantIbLb1EESZ_EEDaSU_SV_EUlSU_E0_NS1_11comp_targetILNS1_3genE0ELNS1_11target_archE4294967295ELNS1_3gpuE0ELNS1_3repE0EEENS1_30default_config_static_selectorELNS0_4arch9wavefront6targetE0EEEvT1_
		.amdhsa_group_segment_fixed_size 0
		.amdhsa_private_segment_fixed_size 0
		.amdhsa_kernarg_size 40
		.amdhsa_user_sgpr_count 15
		.amdhsa_user_sgpr_dispatch_ptr 0
		.amdhsa_user_sgpr_queue_ptr 0
		.amdhsa_user_sgpr_kernarg_segment_ptr 1
		.amdhsa_user_sgpr_dispatch_id 0
		.amdhsa_user_sgpr_private_segment_size 0
		.amdhsa_wavefront_size32 1
		.amdhsa_uses_dynamic_stack 0
		.amdhsa_enable_private_segment 0
		.amdhsa_system_sgpr_workgroup_id_x 1
		.amdhsa_system_sgpr_workgroup_id_y 0
		.amdhsa_system_sgpr_workgroup_id_z 0
		.amdhsa_system_sgpr_workgroup_info 0
		.amdhsa_system_vgpr_workitem_id 0
		.amdhsa_next_free_vgpr 1
		.amdhsa_next_free_sgpr 1
		.amdhsa_reserve_vcc 0
		.amdhsa_float_round_mode_32 0
		.amdhsa_float_round_mode_16_64 0
		.amdhsa_float_denorm_mode_32 3
		.amdhsa_float_denorm_mode_16_64 3
		.amdhsa_dx10_clamp 1
		.amdhsa_ieee_mode 1
		.amdhsa_fp16_overflow 0
		.amdhsa_workgroup_processor_mode 1
		.amdhsa_memory_ordered 1
		.amdhsa_forward_progress 0
		.amdhsa_shared_vgpr_count 0
		.amdhsa_exception_fp_ieee_invalid_op 0
		.amdhsa_exception_fp_denorm_src 0
		.amdhsa_exception_fp_ieee_div_zero 0
		.amdhsa_exception_fp_ieee_overflow 0
		.amdhsa_exception_fp_ieee_underflow 0
		.amdhsa_exception_fp_ieee_inexact 0
		.amdhsa_exception_int_div_zero 0
	.end_amdhsa_kernel
	.section	.text._ZN7rocprim17ROCPRIM_400000_NS6detail17trampoline_kernelINS0_14default_configENS1_20scan_config_selectorIN3c107complexIfEEEEZZNS1_9scan_implILNS1_25lookback_scan_determinismE0ELb0ELb0ES3_PKS7_PS7_S7_ZZZN2at6native31launch_logcumsumexp_cuda_kernelERKNSE_10TensorBaseESI_lENKUlvE_clEvENKUlvE2_clEvEUlS7_S7_E_S7_EEDaPvRmT3_T4_T5_mT6_P12ihipStream_tbENKUlT_T0_E_clISt17integral_constantIbLb1EESZ_EEDaSU_SV_EUlSU_E0_NS1_11comp_targetILNS1_3genE0ELNS1_11target_archE4294967295ELNS1_3gpuE0ELNS1_3repE0EEENS1_30default_config_static_selectorELNS0_4arch9wavefront6targetE0EEEvT1_,"axG",@progbits,_ZN7rocprim17ROCPRIM_400000_NS6detail17trampoline_kernelINS0_14default_configENS1_20scan_config_selectorIN3c107complexIfEEEEZZNS1_9scan_implILNS1_25lookback_scan_determinismE0ELb0ELb0ES3_PKS7_PS7_S7_ZZZN2at6native31launch_logcumsumexp_cuda_kernelERKNSE_10TensorBaseESI_lENKUlvE_clEvENKUlvE2_clEvEUlS7_S7_E_S7_EEDaPvRmT3_T4_T5_mT6_P12ihipStream_tbENKUlT_T0_E_clISt17integral_constantIbLb1EESZ_EEDaSU_SV_EUlSU_E0_NS1_11comp_targetILNS1_3genE0ELNS1_11target_archE4294967295ELNS1_3gpuE0ELNS1_3repE0EEENS1_30default_config_static_selectorELNS0_4arch9wavefront6targetE0EEEvT1_,comdat
.Lfunc_end304:
	.size	_ZN7rocprim17ROCPRIM_400000_NS6detail17trampoline_kernelINS0_14default_configENS1_20scan_config_selectorIN3c107complexIfEEEEZZNS1_9scan_implILNS1_25lookback_scan_determinismE0ELb0ELb0ES3_PKS7_PS7_S7_ZZZN2at6native31launch_logcumsumexp_cuda_kernelERKNSE_10TensorBaseESI_lENKUlvE_clEvENKUlvE2_clEvEUlS7_S7_E_S7_EEDaPvRmT3_T4_T5_mT6_P12ihipStream_tbENKUlT_T0_E_clISt17integral_constantIbLb1EESZ_EEDaSU_SV_EUlSU_E0_NS1_11comp_targetILNS1_3genE0ELNS1_11target_archE4294967295ELNS1_3gpuE0ELNS1_3repE0EEENS1_30default_config_static_selectorELNS0_4arch9wavefront6targetE0EEEvT1_, .Lfunc_end304-_ZN7rocprim17ROCPRIM_400000_NS6detail17trampoline_kernelINS0_14default_configENS1_20scan_config_selectorIN3c107complexIfEEEEZZNS1_9scan_implILNS1_25lookback_scan_determinismE0ELb0ELb0ES3_PKS7_PS7_S7_ZZZN2at6native31launch_logcumsumexp_cuda_kernelERKNSE_10TensorBaseESI_lENKUlvE_clEvENKUlvE2_clEvEUlS7_S7_E_S7_EEDaPvRmT3_T4_T5_mT6_P12ihipStream_tbENKUlT_T0_E_clISt17integral_constantIbLb1EESZ_EEDaSU_SV_EUlSU_E0_NS1_11comp_targetILNS1_3genE0ELNS1_11target_archE4294967295ELNS1_3gpuE0ELNS1_3repE0EEENS1_30default_config_static_selectorELNS0_4arch9wavefront6targetE0EEEvT1_
                                        ; -- End function
	.section	.AMDGPU.csdata,"",@progbits
; Kernel info:
; codeLenInByte = 0
; NumSgprs: 0
; NumVgprs: 0
; ScratchSize: 0
; MemoryBound: 0
; FloatMode: 240
; IeeeMode: 1
; LDSByteSize: 0 bytes/workgroup (compile time only)
; SGPRBlocks: 0
; VGPRBlocks: 0
; NumSGPRsForWavesPerEU: 1
; NumVGPRsForWavesPerEU: 1
; Occupancy: 16
; WaveLimiterHint : 0
; COMPUTE_PGM_RSRC2:SCRATCH_EN: 0
; COMPUTE_PGM_RSRC2:USER_SGPR: 15
; COMPUTE_PGM_RSRC2:TRAP_HANDLER: 0
; COMPUTE_PGM_RSRC2:TGID_X_EN: 1
; COMPUTE_PGM_RSRC2:TGID_Y_EN: 0
; COMPUTE_PGM_RSRC2:TGID_Z_EN: 0
; COMPUTE_PGM_RSRC2:TIDIG_COMP_CNT: 0
	.section	.text._ZN7rocprim17ROCPRIM_400000_NS6detail17trampoline_kernelINS0_14default_configENS1_20scan_config_selectorIN3c107complexIfEEEEZZNS1_9scan_implILNS1_25lookback_scan_determinismE0ELb0ELb0ES3_PKS7_PS7_S7_ZZZN2at6native31launch_logcumsumexp_cuda_kernelERKNSE_10TensorBaseESI_lENKUlvE_clEvENKUlvE2_clEvEUlS7_S7_E_S7_EEDaPvRmT3_T4_T5_mT6_P12ihipStream_tbENKUlT_T0_E_clISt17integral_constantIbLb1EESZ_EEDaSU_SV_EUlSU_E0_NS1_11comp_targetILNS1_3genE5ELNS1_11target_archE942ELNS1_3gpuE9ELNS1_3repE0EEENS1_30default_config_static_selectorELNS0_4arch9wavefront6targetE0EEEvT1_,"axG",@progbits,_ZN7rocprim17ROCPRIM_400000_NS6detail17trampoline_kernelINS0_14default_configENS1_20scan_config_selectorIN3c107complexIfEEEEZZNS1_9scan_implILNS1_25lookback_scan_determinismE0ELb0ELb0ES3_PKS7_PS7_S7_ZZZN2at6native31launch_logcumsumexp_cuda_kernelERKNSE_10TensorBaseESI_lENKUlvE_clEvENKUlvE2_clEvEUlS7_S7_E_S7_EEDaPvRmT3_T4_T5_mT6_P12ihipStream_tbENKUlT_T0_E_clISt17integral_constantIbLb1EESZ_EEDaSU_SV_EUlSU_E0_NS1_11comp_targetILNS1_3genE5ELNS1_11target_archE942ELNS1_3gpuE9ELNS1_3repE0EEENS1_30default_config_static_selectorELNS0_4arch9wavefront6targetE0EEEvT1_,comdat
	.globl	_ZN7rocprim17ROCPRIM_400000_NS6detail17trampoline_kernelINS0_14default_configENS1_20scan_config_selectorIN3c107complexIfEEEEZZNS1_9scan_implILNS1_25lookback_scan_determinismE0ELb0ELb0ES3_PKS7_PS7_S7_ZZZN2at6native31launch_logcumsumexp_cuda_kernelERKNSE_10TensorBaseESI_lENKUlvE_clEvENKUlvE2_clEvEUlS7_S7_E_S7_EEDaPvRmT3_T4_T5_mT6_P12ihipStream_tbENKUlT_T0_E_clISt17integral_constantIbLb1EESZ_EEDaSU_SV_EUlSU_E0_NS1_11comp_targetILNS1_3genE5ELNS1_11target_archE942ELNS1_3gpuE9ELNS1_3repE0EEENS1_30default_config_static_selectorELNS0_4arch9wavefront6targetE0EEEvT1_ ; -- Begin function _ZN7rocprim17ROCPRIM_400000_NS6detail17trampoline_kernelINS0_14default_configENS1_20scan_config_selectorIN3c107complexIfEEEEZZNS1_9scan_implILNS1_25lookback_scan_determinismE0ELb0ELb0ES3_PKS7_PS7_S7_ZZZN2at6native31launch_logcumsumexp_cuda_kernelERKNSE_10TensorBaseESI_lENKUlvE_clEvENKUlvE2_clEvEUlS7_S7_E_S7_EEDaPvRmT3_T4_T5_mT6_P12ihipStream_tbENKUlT_T0_E_clISt17integral_constantIbLb1EESZ_EEDaSU_SV_EUlSU_E0_NS1_11comp_targetILNS1_3genE5ELNS1_11target_archE942ELNS1_3gpuE9ELNS1_3repE0EEENS1_30default_config_static_selectorELNS0_4arch9wavefront6targetE0EEEvT1_
	.p2align	8
	.type	_ZN7rocprim17ROCPRIM_400000_NS6detail17trampoline_kernelINS0_14default_configENS1_20scan_config_selectorIN3c107complexIfEEEEZZNS1_9scan_implILNS1_25lookback_scan_determinismE0ELb0ELb0ES3_PKS7_PS7_S7_ZZZN2at6native31launch_logcumsumexp_cuda_kernelERKNSE_10TensorBaseESI_lENKUlvE_clEvENKUlvE2_clEvEUlS7_S7_E_S7_EEDaPvRmT3_T4_T5_mT6_P12ihipStream_tbENKUlT_T0_E_clISt17integral_constantIbLb1EESZ_EEDaSU_SV_EUlSU_E0_NS1_11comp_targetILNS1_3genE5ELNS1_11target_archE942ELNS1_3gpuE9ELNS1_3repE0EEENS1_30default_config_static_selectorELNS0_4arch9wavefront6targetE0EEEvT1_,@function
_ZN7rocprim17ROCPRIM_400000_NS6detail17trampoline_kernelINS0_14default_configENS1_20scan_config_selectorIN3c107complexIfEEEEZZNS1_9scan_implILNS1_25lookback_scan_determinismE0ELb0ELb0ES3_PKS7_PS7_S7_ZZZN2at6native31launch_logcumsumexp_cuda_kernelERKNSE_10TensorBaseESI_lENKUlvE_clEvENKUlvE2_clEvEUlS7_S7_E_S7_EEDaPvRmT3_T4_T5_mT6_P12ihipStream_tbENKUlT_T0_E_clISt17integral_constantIbLb1EESZ_EEDaSU_SV_EUlSU_E0_NS1_11comp_targetILNS1_3genE5ELNS1_11target_archE942ELNS1_3gpuE9ELNS1_3repE0EEENS1_30default_config_static_selectorELNS0_4arch9wavefront6targetE0EEEvT1_: ; @_ZN7rocprim17ROCPRIM_400000_NS6detail17trampoline_kernelINS0_14default_configENS1_20scan_config_selectorIN3c107complexIfEEEEZZNS1_9scan_implILNS1_25lookback_scan_determinismE0ELb0ELb0ES3_PKS7_PS7_S7_ZZZN2at6native31launch_logcumsumexp_cuda_kernelERKNSE_10TensorBaseESI_lENKUlvE_clEvENKUlvE2_clEvEUlS7_S7_E_S7_EEDaPvRmT3_T4_T5_mT6_P12ihipStream_tbENKUlT_T0_E_clISt17integral_constantIbLb1EESZ_EEDaSU_SV_EUlSU_E0_NS1_11comp_targetILNS1_3genE5ELNS1_11target_archE942ELNS1_3gpuE9ELNS1_3repE0EEENS1_30default_config_static_selectorELNS0_4arch9wavefront6targetE0EEEvT1_
; %bb.0:
	.section	.rodata,"a",@progbits
	.p2align	6, 0x0
	.amdhsa_kernel _ZN7rocprim17ROCPRIM_400000_NS6detail17trampoline_kernelINS0_14default_configENS1_20scan_config_selectorIN3c107complexIfEEEEZZNS1_9scan_implILNS1_25lookback_scan_determinismE0ELb0ELb0ES3_PKS7_PS7_S7_ZZZN2at6native31launch_logcumsumexp_cuda_kernelERKNSE_10TensorBaseESI_lENKUlvE_clEvENKUlvE2_clEvEUlS7_S7_E_S7_EEDaPvRmT3_T4_T5_mT6_P12ihipStream_tbENKUlT_T0_E_clISt17integral_constantIbLb1EESZ_EEDaSU_SV_EUlSU_E0_NS1_11comp_targetILNS1_3genE5ELNS1_11target_archE942ELNS1_3gpuE9ELNS1_3repE0EEENS1_30default_config_static_selectorELNS0_4arch9wavefront6targetE0EEEvT1_
		.amdhsa_group_segment_fixed_size 0
		.amdhsa_private_segment_fixed_size 0
		.amdhsa_kernarg_size 40
		.amdhsa_user_sgpr_count 15
		.amdhsa_user_sgpr_dispatch_ptr 0
		.amdhsa_user_sgpr_queue_ptr 0
		.amdhsa_user_sgpr_kernarg_segment_ptr 1
		.amdhsa_user_sgpr_dispatch_id 0
		.amdhsa_user_sgpr_private_segment_size 0
		.amdhsa_wavefront_size32 1
		.amdhsa_uses_dynamic_stack 0
		.amdhsa_enable_private_segment 0
		.amdhsa_system_sgpr_workgroup_id_x 1
		.amdhsa_system_sgpr_workgroup_id_y 0
		.amdhsa_system_sgpr_workgroup_id_z 0
		.amdhsa_system_sgpr_workgroup_info 0
		.amdhsa_system_vgpr_workitem_id 0
		.amdhsa_next_free_vgpr 1
		.amdhsa_next_free_sgpr 1
		.amdhsa_reserve_vcc 0
		.amdhsa_float_round_mode_32 0
		.amdhsa_float_round_mode_16_64 0
		.amdhsa_float_denorm_mode_32 3
		.amdhsa_float_denorm_mode_16_64 3
		.amdhsa_dx10_clamp 1
		.amdhsa_ieee_mode 1
		.amdhsa_fp16_overflow 0
		.amdhsa_workgroup_processor_mode 1
		.amdhsa_memory_ordered 1
		.amdhsa_forward_progress 0
		.amdhsa_shared_vgpr_count 0
		.amdhsa_exception_fp_ieee_invalid_op 0
		.amdhsa_exception_fp_denorm_src 0
		.amdhsa_exception_fp_ieee_div_zero 0
		.amdhsa_exception_fp_ieee_overflow 0
		.amdhsa_exception_fp_ieee_underflow 0
		.amdhsa_exception_fp_ieee_inexact 0
		.amdhsa_exception_int_div_zero 0
	.end_amdhsa_kernel
	.section	.text._ZN7rocprim17ROCPRIM_400000_NS6detail17trampoline_kernelINS0_14default_configENS1_20scan_config_selectorIN3c107complexIfEEEEZZNS1_9scan_implILNS1_25lookback_scan_determinismE0ELb0ELb0ES3_PKS7_PS7_S7_ZZZN2at6native31launch_logcumsumexp_cuda_kernelERKNSE_10TensorBaseESI_lENKUlvE_clEvENKUlvE2_clEvEUlS7_S7_E_S7_EEDaPvRmT3_T4_T5_mT6_P12ihipStream_tbENKUlT_T0_E_clISt17integral_constantIbLb1EESZ_EEDaSU_SV_EUlSU_E0_NS1_11comp_targetILNS1_3genE5ELNS1_11target_archE942ELNS1_3gpuE9ELNS1_3repE0EEENS1_30default_config_static_selectorELNS0_4arch9wavefront6targetE0EEEvT1_,"axG",@progbits,_ZN7rocprim17ROCPRIM_400000_NS6detail17trampoline_kernelINS0_14default_configENS1_20scan_config_selectorIN3c107complexIfEEEEZZNS1_9scan_implILNS1_25lookback_scan_determinismE0ELb0ELb0ES3_PKS7_PS7_S7_ZZZN2at6native31launch_logcumsumexp_cuda_kernelERKNSE_10TensorBaseESI_lENKUlvE_clEvENKUlvE2_clEvEUlS7_S7_E_S7_EEDaPvRmT3_T4_T5_mT6_P12ihipStream_tbENKUlT_T0_E_clISt17integral_constantIbLb1EESZ_EEDaSU_SV_EUlSU_E0_NS1_11comp_targetILNS1_3genE5ELNS1_11target_archE942ELNS1_3gpuE9ELNS1_3repE0EEENS1_30default_config_static_selectorELNS0_4arch9wavefront6targetE0EEEvT1_,comdat
.Lfunc_end305:
	.size	_ZN7rocprim17ROCPRIM_400000_NS6detail17trampoline_kernelINS0_14default_configENS1_20scan_config_selectorIN3c107complexIfEEEEZZNS1_9scan_implILNS1_25lookback_scan_determinismE0ELb0ELb0ES3_PKS7_PS7_S7_ZZZN2at6native31launch_logcumsumexp_cuda_kernelERKNSE_10TensorBaseESI_lENKUlvE_clEvENKUlvE2_clEvEUlS7_S7_E_S7_EEDaPvRmT3_T4_T5_mT6_P12ihipStream_tbENKUlT_T0_E_clISt17integral_constantIbLb1EESZ_EEDaSU_SV_EUlSU_E0_NS1_11comp_targetILNS1_3genE5ELNS1_11target_archE942ELNS1_3gpuE9ELNS1_3repE0EEENS1_30default_config_static_selectorELNS0_4arch9wavefront6targetE0EEEvT1_, .Lfunc_end305-_ZN7rocprim17ROCPRIM_400000_NS6detail17trampoline_kernelINS0_14default_configENS1_20scan_config_selectorIN3c107complexIfEEEEZZNS1_9scan_implILNS1_25lookback_scan_determinismE0ELb0ELb0ES3_PKS7_PS7_S7_ZZZN2at6native31launch_logcumsumexp_cuda_kernelERKNSE_10TensorBaseESI_lENKUlvE_clEvENKUlvE2_clEvEUlS7_S7_E_S7_EEDaPvRmT3_T4_T5_mT6_P12ihipStream_tbENKUlT_T0_E_clISt17integral_constantIbLb1EESZ_EEDaSU_SV_EUlSU_E0_NS1_11comp_targetILNS1_3genE5ELNS1_11target_archE942ELNS1_3gpuE9ELNS1_3repE0EEENS1_30default_config_static_selectorELNS0_4arch9wavefront6targetE0EEEvT1_
                                        ; -- End function
	.section	.AMDGPU.csdata,"",@progbits
; Kernel info:
; codeLenInByte = 0
; NumSgprs: 0
; NumVgprs: 0
; ScratchSize: 0
; MemoryBound: 0
; FloatMode: 240
; IeeeMode: 1
; LDSByteSize: 0 bytes/workgroup (compile time only)
; SGPRBlocks: 0
; VGPRBlocks: 0
; NumSGPRsForWavesPerEU: 1
; NumVGPRsForWavesPerEU: 1
; Occupancy: 16
; WaveLimiterHint : 0
; COMPUTE_PGM_RSRC2:SCRATCH_EN: 0
; COMPUTE_PGM_RSRC2:USER_SGPR: 15
; COMPUTE_PGM_RSRC2:TRAP_HANDLER: 0
; COMPUTE_PGM_RSRC2:TGID_X_EN: 1
; COMPUTE_PGM_RSRC2:TGID_Y_EN: 0
; COMPUTE_PGM_RSRC2:TGID_Z_EN: 0
; COMPUTE_PGM_RSRC2:TIDIG_COMP_CNT: 0
	.section	.text._ZN7rocprim17ROCPRIM_400000_NS6detail17trampoline_kernelINS0_14default_configENS1_20scan_config_selectorIN3c107complexIfEEEEZZNS1_9scan_implILNS1_25lookback_scan_determinismE0ELb0ELb0ES3_PKS7_PS7_S7_ZZZN2at6native31launch_logcumsumexp_cuda_kernelERKNSE_10TensorBaseESI_lENKUlvE_clEvENKUlvE2_clEvEUlS7_S7_E_S7_EEDaPvRmT3_T4_T5_mT6_P12ihipStream_tbENKUlT_T0_E_clISt17integral_constantIbLb1EESZ_EEDaSU_SV_EUlSU_E0_NS1_11comp_targetILNS1_3genE4ELNS1_11target_archE910ELNS1_3gpuE8ELNS1_3repE0EEENS1_30default_config_static_selectorELNS0_4arch9wavefront6targetE0EEEvT1_,"axG",@progbits,_ZN7rocprim17ROCPRIM_400000_NS6detail17trampoline_kernelINS0_14default_configENS1_20scan_config_selectorIN3c107complexIfEEEEZZNS1_9scan_implILNS1_25lookback_scan_determinismE0ELb0ELb0ES3_PKS7_PS7_S7_ZZZN2at6native31launch_logcumsumexp_cuda_kernelERKNSE_10TensorBaseESI_lENKUlvE_clEvENKUlvE2_clEvEUlS7_S7_E_S7_EEDaPvRmT3_T4_T5_mT6_P12ihipStream_tbENKUlT_T0_E_clISt17integral_constantIbLb1EESZ_EEDaSU_SV_EUlSU_E0_NS1_11comp_targetILNS1_3genE4ELNS1_11target_archE910ELNS1_3gpuE8ELNS1_3repE0EEENS1_30default_config_static_selectorELNS0_4arch9wavefront6targetE0EEEvT1_,comdat
	.globl	_ZN7rocprim17ROCPRIM_400000_NS6detail17trampoline_kernelINS0_14default_configENS1_20scan_config_selectorIN3c107complexIfEEEEZZNS1_9scan_implILNS1_25lookback_scan_determinismE0ELb0ELb0ES3_PKS7_PS7_S7_ZZZN2at6native31launch_logcumsumexp_cuda_kernelERKNSE_10TensorBaseESI_lENKUlvE_clEvENKUlvE2_clEvEUlS7_S7_E_S7_EEDaPvRmT3_T4_T5_mT6_P12ihipStream_tbENKUlT_T0_E_clISt17integral_constantIbLb1EESZ_EEDaSU_SV_EUlSU_E0_NS1_11comp_targetILNS1_3genE4ELNS1_11target_archE910ELNS1_3gpuE8ELNS1_3repE0EEENS1_30default_config_static_selectorELNS0_4arch9wavefront6targetE0EEEvT1_ ; -- Begin function _ZN7rocprim17ROCPRIM_400000_NS6detail17trampoline_kernelINS0_14default_configENS1_20scan_config_selectorIN3c107complexIfEEEEZZNS1_9scan_implILNS1_25lookback_scan_determinismE0ELb0ELb0ES3_PKS7_PS7_S7_ZZZN2at6native31launch_logcumsumexp_cuda_kernelERKNSE_10TensorBaseESI_lENKUlvE_clEvENKUlvE2_clEvEUlS7_S7_E_S7_EEDaPvRmT3_T4_T5_mT6_P12ihipStream_tbENKUlT_T0_E_clISt17integral_constantIbLb1EESZ_EEDaSU_SV_EUlSU_E0_NS1_11comp_targetILNS1_3genE4ELNS1_11target_archE910ELNS1_3gpuE8ELNS1_3repE0EEENS1_30default_config_static_selectorELNS0_4arch9wavefront6targetE0EEEvT1_
	.p2align	8
	.type	_ZN7rocprim17ROCPRIM_400000_NS6detail17trampoline_kernelINS0_14default_configENS1_20scan_config_selectorIN3c107complexIfEEEEZZNS1_9scan_implILNS1_25lookback_scan_determinismE0ELb0ELb0ES3_PKS7_PS7_S7_ZZZN2at6native31launch_logcumsumexp_cuda_kernelERKNSE_10TensorBaseESI_lENKUlvE_clEvENKUlvE2_clEvEUlS7_S7_E_S7_EEDaPvRmT3_T4_T5_mT6_P12ihipStream_tbENKUlT_T0_E_clISt17integral_constantIbLb1EESZ_EEDaSU_SV_EUlSU_E0_NS1_11comp_targetILNS1_3genE4ELNS1_11target_archE910ELNS1_3gpuE8ELNS1_3repE0EEENS1_30default_config_static_selectorELNS0_4arch9wavefront6targetE0EEEvT1_,@function
_ZN7rocprim17ROCPRIM_400000_NS6detail17trampoline_kernelINS0_14default_configENS1_20scan_config_selectorIN3c107complexIfEEEEZZNS1_9scan_implILNS1_25lookback_scan_determinismE0ELb0ELb0ES3_PKS7_PS7_S7_ZZZN2at6native31launch_logcumsumexp_cuda_kernelERKNSE_10TensorBaseESI_lENKUlvE_clEvENKUlvE2_clEvEUlS7_S7_E_S7_EEDaPvRmT3_T4_T5_mT6_P12ihipStream_tbENKUlT_T0_E_clISt17integral_constantIbLb1EESZ_EEDaSU_SV_EUlSU_E0_NS1_11comp_targetILNS1_3genE4ELNS1_11target_archE910ELNS1_3gpuE8ELNS1_3repE0EEENS1_30default_config_static_selectorELNS0_4arch9wavefront6targetE0EEEvT1_: ; @_ZN7rocprim17ROCPRIM_400000_NS6detail17trampoline_kernelINS0_14default_configENS1_20scan_config_selectorIN3c107complexIfEEEEZZNS1_9scan_implILNS1_25lookback_scan_determinismE0ELb0ELb0ES3_PKS7_PS7_S7_ZZZN2at6native31launch_logcumsumexp_cuda_kernelERKNSE_10TensorBaseESI_lENKUlvE_clEvENKUlvE2_clEvEUlS7_S7_E_S7_EEDaPvRmT3_T4_T5_mT6_P12ihipStream_tbENKUlT_T0_E_clISt17integral_constantIbLb1EESZ_EEDaSU_SV_EUlSU_E0_NS1_11comp_targetILNS1_3genE4ELNS1_11target_archE910ELNS1_3gpuE8ELNS1_3repE0EEENS1_30default_config_static_selectorELNS0_4arch9wavefront6targetE0EEEvT1_
; %bb.0:
	.section	.rodata,"a",@progbits
	.p2align	6, 0x0
	.amdhsa_kernel _ZN7rocprim17ROCPRIM_400000_NS6detail17trampoline_kernelINS0_14default_configENS1_20scan_config_selectorIN3c107complexIfEEEEZZNS1_9scan_implILNS1_25lookback_scan_determinismE0ELb0ELb0ES3_PKS7_PS7_S7_ZZZN2at6native31launch_logcumsumexp_cuda_kernelERKNSE_10TensorBaseESI_lENKUlvE_clEvENKUlvE2_clEvEUlS7_S7_E_S7_EEDaPvRmT3_T4_T5_mT6_P12ihipStream_tbENKUlT_T0_E_clISt17integral_constantIbLb1EESZ_EEDaSU_SV_EUlSU_E0_NS1_11comp_targetILNS1_3genE4ELNS1_11target_archE910ELNS1_3gpuE8ELNS1_3repE0EEENS1_30default_config_static_selectorELNS0_4arch9wavefront6targetE0EEEvT1_
		.amdhsa_group_segment_fixed_size 0
		.amdhsa_private_segment_fixed_size 0
		.amdhsa_kernarg_size 40
		.amdhsa_user_sgpr_count 15
		.amdhsa_user_sgpr_dispatch_ptr 0
		.amdhsa_user_sgpr_queue_ptr 0
		.amdhsa_user_sgpr_kernarg_segment_ptr 1
		.amdhsa_user_sgpr_dispatch_id 0
		.amdhsa_user_sgpr_private_segment_size 0
		.amdhsa_wavefront_size32 1
		.amdhsa_uses_dynamic_stack 0
		.amdhsa_enable_private_segment 0
		.amdhsa_system_sgpr_workgroup_id_x 1
		.amdhsa_system_sgpr_workgroup_id_y 0
		.amdhsa_system_sgpr_workgroup_id_z 0
		.amdhsa_system_sgpr_workgroup_info 0
		.amdhsa_system_vgpr_workitem_id 0
		.amdhsa_next_free_vgpr 1
		.amdhsa_next_free_sgpr 1
		.amdhsa_reserve_vcc 0
		.amdhsa_float_round_mode_32 0
		.amdhsa_float_round_mode_16_64 0
		.amdhsa_float_denorm_mode_32 3
		.amdhsa_float_denorm_mode_16_64 3
		.amdhsa_dx10_clamp 1
		.amdhsa_ieee_mode 1
		.amdhsa_fp16_overflow 0
		.amdhsa_workgroup_processor_mode 1
		.amdhsa_memory_ordered 1
		.amdhsa_forward_progress 0
		.amdhsa_shared_vgpr_count 0
		.amdhsa_exception_fp_ieee_invalid_op 0
		.amdhsa_exception_fp_denorm_src 0
		.amdhsa_exception_fp_ieee_div_zero 0
		.amdhsa_exception_fp_ieee_overflow 0
		.amdhsa_exception_fp_ieee_underflow 0
		.amdhsa_exception_fp_ieee_inexact 0
		.amdhsa_exception_int_div_zero 0
	.end_amdhsa_kernel
	.section	.text._ZN7rocprim17ROCPRIM_400000_NS6detail17trampoline_kernelINS0_14default_configENS1_20scan_config_selectorIN3c107complexIfEEEEZZNS1_9scan_implILNS1_25lookback_scan_determinismE0ELb0ELb0ES3_PKS7_PS7_S7_ZZZN2at6native31launch_logcumsumexp_cuda_kernelERKNSE_10TensorBaseESI_lENKUlvE_clEvENKUlvE2_clEvEUlS7_S7_E_S7_EEDaPvRmT3_T4_T5_mT6_P12ihipStream_tbENKUlT_T0_E_clISt17integral_constantIbLb1EESZ_EEDaSU_SV_EUlSU_E0_NS1_11comp_targetILNS1_3genE4ELNS1_11target_archE910ELNS1_3gpuE8ELNS1_3repE0EEENS1_30default_config_static_selectorELNS0_4arch9wavefront6targetE0EEEvT1_,"axG",@progbits,_ZN7rocprim17ROCPRIM_400000_NS6detail17trampoline_kernelINS0_14default_configENS1_20scan_config_selectorIN3c107complexIfEEEEZZNS1_9scan_implILNS1_25lookback_scan_determinismE0ELb0ELb0ES3_PKS7_PS7_S7_ZZZN2at6native31launch_logcumsumexp_cuda_kernelERKNSE_10TensorBaseESI_lENKUlvE_clEvENKUlvE2_clEvEUlS7_S7_E_S7_EEDaPvRmT3_T4_T5_mT6_P12ihipStream_tbENKUlT_T0_E_clISt17integral_constantIbLb1EESZ_EEDaSU_SV_EUlSU_E0_NS1_11comp_targetILNS1_3genE4ELNS1_11target_archE910ELNS1_3gpuE8ELNS1_3repE0EEENS1_30default_config_static_selectorELNS0_4arch9wavefront6targetE0EEEvT1_,comdat
.Lfunc_end306:
	.size	_ZN7rocprim17ROCPRIM_400000_NS6detail17trampoline_kernelINS0_14default_configENS1_20scan_config_selectorIN3c107complexIfEEEEZZNS1_9scan_implILNS1_25lookback_scan_determinismE0ELb0ELb0ES3_PKS7_PS7_S7_ZZZN2at6native31launch_logcumsumexp_cuda_kernelERKNSE_10TensorBaseESI_lENKUlvE_clEvENKUlvE2_clEvEUlS7_S7_E_S7_EEDaPvRmT3_T4_T5_mT6_P12ihipStream_tbENKUlT_T0_E_clISt17integral_constantIbLb1EESZ_EEDaSU_SV_EUlSU_E0_NS1_11comp_targetILNS1_3genE4ELNS1_11target_archE910ELNS1_3gpuE8ELNS1_3repE0EEENS1_30default_config_static_selectorELNS0_4arch9wavefront6targetE0EEEvT1_, .Lfunc_end306-_ZN7rocprim17ROCPRIM_400000_NS6detail17trampoline_kernelINS0_14default_configENS1_20scan_config_selectorIN3c107complexIfEEEEZZNS1_9scan_implILNS1_25lookback_scan_determinismE0ELb0ELb0ES3_PKS7_PS7_S7_ZZZN2at6native31launch_logcumsumexp_cuda_kernelERKNSE_10TensorBaseESI_lENKUlvE_clEvENKUlvE2_clEvEUlS7_S7_E_S7_EEDaPvRmT3_T4_T5_mT6_P12ihipStream_tbENKUlT_T0_E_clISt17integral_constantIbLb1EESZ_EEDaSU_SV_EUlSU_E0_NS1_11comp_targetILNS1_3genE4ELNS1_11target_archE910ELNS1_3gpuE8ELNS1_3repE0EEENS1_30default_config_static_selectorELNS0_4arch9wavefront6targetE0EEEvT1_
                                        ; -- End function
	.section	.AMDGPU.csdata,"",@progbits
; Kernel info:
; codeLenInByte = 0
; NumSgprs: 0
; NumVgprs: 0
; ScratchSize: 0
; MemoryBound: 0
; FloatMode: 240
; IeeeMode: 1
; LDSByteSize: 0 bytes/workgroup (compile time only)
; SGPRBlocks: 0
; VGPRBlocks: 0
; NumSGPRsForWavesPerEU: 1
; NumVGPRsForWavesPerEU: 1
; Occupancy: 16
; WaveLimiterHint : 0
; COMPUTE_PGM_RSRC2:SCRATCH_EN: 0
; COMPUTE_PGM_RSRC2:USER_SGPR: 15
; COMPUTE_PGM_RSRC2:TRAP_HANDLER: 0
; COMPUTE_PGM_RSRC2:TGID_X_EN: 1
; COMPUTE_PGM_RSRC2:TGID_Y_EN: 0
; COMPUTE_PGM_RSRC2:TGID_Z_EN: 0
; COMPUTE_PGM_RSRC2:TIDIG_COMP_CNT: 0
	.section	.text._ZN7rocprim17ROCPRIM_400000_NS6detail17trampoline_kernelINS0_14default_configENS1_20scan_config_selectorIN3c107complexIfEEEEZZNS1_9scan_implILNS1_25lookback_scan_determinismE0ELb0ELb0ES3_PKS7_PS7_S7_ZZZN2at6native31launch_logcumsumexp_cuda_kernelERKNSE_10TensorBaseESI_lENKUlvE_clEvENKUlvE2_clEvEUlS7_S7_E_S7_EEDaPvRmT3_T4_T5_mT6_P12ihipStream_tbENKUlT_T0_E_clISt17integral_constantIbLb1EESZ_EEDaSU_SV_EUlSU_E0_NS1_11comp_targetILNS1_3genE3ELNS1_11target_archE908ELNS1_3gpuE7ELNS1_3repE0EEENS1_30default_config_static_selectorELNS0_4arch9wavefront6targetE0EEEvT1_,"axG",@progbits,_ZN7rocprim17ROCPRIM_400000_NS6detail17trampoline_kernelINS0_14default_configENS1_20scan_config_selectorIN3c107complexIfEEEEZZNS1_9scan_implILNS1_25lookback_scan_determinismE0ELb0ELb0ES3_PKS7_PS7_S7_ZZZN2at6native31launch_logcumsumexp_cuda_kernelERKNSE_10TensorBaseESI_lENKUlvE_clEvENKUlvE2_clEvEUlS7_S7_E_S7_EEDaPvRmT3_T4_T5_mT6_P12ihipStream_tbENKUlT_T0_E_clISt17integral_constantIbLb1EESZ_EEDaSU_SV_EUlSU_E0_NS1_11comp_targetILNS1_3genE3ELNS1_11target_archE908ELNS1_3gpuE7ELNS1_3repE0EEENS1_30default_config_static_selectorELNS0_4arch9wavefront6targetE0EEEvT1_,comdat
	.globl	_ZN7rocprim17ROCPRIM_400000_NS6detail17trampoline_kernelINS0_14default_configENS1_20scan_config_selectorIN3c107complexIfEEEEZZNS1_9scan_implILNS1_25lookback_scan_determinismE0ELb0ELb0ES3_PKS7_PS7_S7_ZZZN2at6native31launch_logcumsumexp_cuda_kernelERKNSE_10TensorBaseESI_lENKUlvE_clEvENKUlvE2_clEvEUlS7_S7_E_S7_EEDaPvRmT3_T4_T5_mT6_P12ihipStream_tbENKUlT_T0_E_clISt17integral_constantIbLb1EESZ_EEDaSU_SV_EUlSU_E0_NS1_11comp_targetILNS1_3genE3ELNS1_11target_archE908ELNS1_3gpuE7ELNS1_3repE0EEENS1_30default_config_static_selectorELNS0_4arch9wavefront6targetE0EEEvT1_ ; -- Begin function _ZN7rocprim17ROCPRIM_400000_NS6detail17trampoline_kernelINS0_14default_configENS1_20scan_config_selectorIN3c107complexIfEEEEZZNS1_9scan_implILNS1_25lookback_scan_determinismE0ELb0ELb0ES3_PKS7_PS7_S7_ZZZN2at6native31launch_logcumsumexp_cuda_kernelERKNSE_10TensorBaseESI_lENKUlvE_clEvENKUlvE2_clEvEUlS7_S7_E_S7_EEDaPvRmT3_T4_T5_mT6_P12ihipStream_tbENKUlT_T0_E_clISt17integral_constantIbLb1EESZ_EEDaSU_SV_EUlSU_E0_NS1_11comp_targetILNS1_3genE3ELNS1_11target_archE908ELNS1_3gpuE7ELNS1_3repE0EEENS1_30default_config_static_selectorELNS0_4arch9wavefront6targetE0EEEvT1_
	.p2align	8
	.type	_ZN7rocprim17ROCPRIM_400000_NS6detail17trampoline_kernelINS0_14default_configENS1_20scan_config_selectorIN3c107complexIfEEEEZZNS1_9scan_implILNS1_25lookback_scan_determinismE0ELb0ELb0ES3_PKS7_PS7_S7_ZZZN2at6native31launch_logcumsumexp_cuda_kernelERKNSE_10TensorBaseESI_lENKUlvE_clEvENKUlvE2_clEvEUlS7_S7_E_S7_EEDaPvRmT3_T4_T5_mT6_P12ihipStream_tbENKUlT_T0_E_clISt17integral_constantIbLb1EESZ_EEDaSU_SV_EUlSU_E0_NS1_11comp_targetILNS1_3genE3ELNS1_11target_archE908ELNS1_3gpuE7ELNS1_3repE0EEENS1_30default_config_static_selectorELNS0_4arch9wavefront6targetE0EEEvT1_,@function
_ZN7rocprim17ROCPRIM_400000_NS6detail17trampoline_kernelINS0_14default_configENS1_20scan_config_selectorIN3c107complexIfEEEEZZNS1_9scan_implILNS1_25lookback_scan_determinismE0ELb0ELb0ES3_PKS7_PS7_S7_ZZZN2at6native31launch_logcumsumexp_cuda_kernelERKNSE_10TensorBaseESI_lENKUlvE_clEvENKUlvE2_clEvEUlS7_S7_E_S7_EEDaPvRmT3_T4_T5_mT6_P12ihipStream_tbENKUlT_T0_E_clISt17integral_constantIbLb1EESZ_EEDaSU_SV_EUlSU_E0_NS1_11comp_targetILNS1_3genE3ELNS1_11target_archE908ELNS1_3gpuE7ELNS1_3repE0EEENS1_30default_config_static_selectorELNS0_4arch9wavefront6targetE0EEEvT1_: ; @_ZN7rocprim17ROCPRIM_400000_NS6detail17trampoline_kernelINS0_14default_configENS1_20scan_config_selectorIN3c107complexIfEEEEZZNS1_9scan_implILNS1_25lookback_scan_determinismE0ELb0ELb0ES3_PKS7_PS7_S7_ZZZN2at6native31launch_logcumsumexp_cuda_kernelERKNSE_10TensorBaseESI_lENKUlvE_clEvENKUlvE2_clEvEUlS7_S7_E_S7_EEDaPvRmT3_T4_T5_mT6_P12ihipStream_tbENKUlT_T0_E_clISt17integral_constantIbLb1EESZ_EEDaSU_SV_EUlSU_E0_NS1_11comp_targetILNS1_3genE3ELNS1_11target_archE908ELNS1_3gpuE7ELNS1_3repE0EEENS1_30default_config_static_selectorELNS0_4arch9wavefront6targetE0EEEvT1_
; %bb.0:
	.section	.rodata,"a",@progbits
	.p2align	6, 0x0
	.amdhsa_kernel _ZN7rocprim17ROCPRIM_400000_NS6detail17trampoline_kernelINS0_14default_configENS1_20scan_config_selectorIN3c107complexIfEEEEZZNS1_9scan_implILNS1_25lookback_scan_determinismE0ELb0ELb0ES3_PKS7_PS7_S7_ZZZN2at6native31launch_logcumsumexp_cuda_kernelERKNSE_10TensorBaseESI_lENKUlvE_clEvENKUlvE2_clEvEUlS7_S7_E_S7_EEDaPvRmT3_T4_T5_mT6_P12ihipStream_tbENKUlT_T0_E_clISt17integral_constantIbLb1EESZ_EEDaSU_SV_EUlSU_E0_NS1_11comp_targetILNS1_3genE3ELNS1_11target_archE908ELNS1_3gpuE7ELNS1_3repE0EEENS1_30default_config_static_selectorELNS0_4arch9wavefront6targetE0EEEvT1_
		.amdhsa_group_segment_fixed_size 0
		.amdhsa_private_segment_fixed_size 0
		.amdhsa_kernarg_size 40
		.amdhsa_user_sgpr_count 15
		.amdhsa_user_sgpr_dispatch_ptr 0
		.amdhsa_user_sgpr_queue_ptr 0
		.amdhsa_user_sgpr_kernarg_segment_ptr 1
		.amdhsa_user_sgpr_dispatch_id 0
		.amdhsa_user_sgpr_private_segment_size 0
		.amdhsa_wavefront_size32 1
		.amdhsa_uses_dynamic_stack 0
		.amdhsa_enable_private_segment 0
		.amdhsa_system_sgpr_workgroup_id_x 1
		.amdhsa_system_sgpr_workgroup_id_y 0
		.amdhsa_system_sgpr_workgroup_id_z 0
		.amdhsa_system_sgpr_workgroup_info 0
		.amdhsa_system_vgpr_workitem_id 0
		.amdhsa_next_free_vgpr 1
		.amdhsa_next_free_sgpr 1
		.amdhsa_reserve_vcc 0
		.amdhsa_float_round_mode_32 0
		.amdhsa_float_round_mode_16_64 0
		.amdhsa_float_denorm_mode_32 3
		.amdhsa_float_denorm_mode_16_64 3
		.amdhsa_dx10_clamp 1
		.amdhsa_ieee_mode 1
		.amdhsa_fp16_overflow 0
		.amdhsa_workgroup_processor_mode 1
		.amdhsa_memory_ordered 1
		.amdhsa_forward_progress 0
		.amdhsa_shared_vgpr_count 0
		.amdhsa_exception_fp_ieee_invalid_op 0
		.amdhsa_exception_fp_denorm_src 0
		.amdhsa_exception_fp_ieee_div_zero 0
		.amdhsa_exception_fp_ieee_overflow 0
		.amdhsa_exception_fp_ieee_underflow 0
		.amdhsa_exception_fp_ieee_inexact 0
		.amdhsa_exception_int_div_zero 0
	.end_amdhsa_kernel
	.section	.text._ZN7rocprim17ROCPRIM_400000_NS6detail17trampoline_kernelINS0_14default_configENS1_20scan_config_selectorIN3c107complexIfEEEEZZNS1_9scan_implILNS1_25lookback_scan_determinismE0ELb0ELb0ES3_PKS7_PS7_S7_ZZZN2at6native31launch_logcumsumexp_cuda_kernelERKNSE_10TensorBaseESI_lENKUlvE_clEvENKUlvE2_clEvEUlS7_S7_E_S7_EEDaPvRmT3_T4_T5_mT6_P12ihipStream_tbENKUlT_T0_E_clISt17integral_constantIbLb1EESZ_EEDaSU_SV_EUlSU_E0_NS1_11comp_targetILNS1_3genE3ELNS1_11target_archE908ELNS1_3gpuE7ELNS1_3repE0EEENS1_30default_config_static_selectorELNS0_4arch9wavefront6targetE0EEEvT1_,"axG",@progbits,_ZN7rocprim17ROCPRIM_400000_NS6detail17trampoline_kernelINS0_14default_configENS1_20scan_config_selectorIN3c107complexIfEEEEZZNS1_9scan_implILNS1_25lookback_scan_determinismE0ELb0ELb0ES3_PKS7_PS7_S7_ZZZN2at6native31launch_logcumsumexp_cuda_kernelERKNSE_10TensorBaseESI_lENKUlvE_clEvENKUlvE2_clEvEUlS7_S7_E_S7_EEDaPvRmT3_T4_T5_mT6_P12ihipStream_tbENKUlT_T0_E_clISt17integral_constantIbLb1EESZ_EEDaSU_SV_EUlSU_E0_NS1_11comp_targetILNS1_3genE3ELNS1_11target_archE908ELNS1_3gpuE7ELNS1_3repE0EEENS1_30default_config_static_selectorELNS0_4arch9wavefront6targetE0EEEvT1_,comdat
.Lfunc_end307:
	.size	_ZN7rocprim17ROCPRIM_400000_NS6detail17trampoline_kernelINS0_14default_configENS1_20scan_config_selectorIN3c107complexIfEEEEZZNS1_9scan_implILNS1_25lookback_scan_determinismE0ELb0ELb0ES3_PKS7_PS7_S7_ZZZN2at6native31launch_logcumsumexp_cuda_kernelERKNSE_10TensorBaseESI_lENKUlvE_clEvENKUlvE2_clEvEUlS7_S7_E_S7_EEDaPvRmT3_T4_T5_mT6_P12ihipStream_tbENKUlT_T0_E_clISt17integral_constantIbLb1EESZ_EEDaSU_SV_EUlSU_E0_NS1_11comp_targetILNS1_3genE3ELNS1_11target_archE908ELNS1_3gpuE7ELNS1_3repE0EEENS1_30default_config_static_selectorELNS0_4arch9wavefront6targetE0EEEvT1_, .Lfunc_end307-_ZN7rocprim17ROCPRIM_400000_NS6detail17trampoline_kernelINS0_14default_configENS1_20scan_config_selectorIN3c107complexIfEEEEZZNS1_9scan_implILNS1_25lookback_scan_determinismE0ELb0ELb0ES3_PKS7_PS7_S7_ZZZN2at6native31launch_logcumsumexp_cuda_kernelERKNSE_10TensorBaseESI_lENKUlvE_clEvENKUlvE2_clEvEUlS7_S7_E_S7_EEDaPvRmT3_T4_T5_mT6_P12ihipStream_tbENKUlT_T0_E_clISt17integral_constantIbLb1EESZ_EEDaSU_SV_EUlSU_E0_NS1_11comp_targetILNS1_3genE3ELNS1_11target_archE908ELNS1_3gpuE7ELNS1_3repE0EEENS1_30default_config_static_selectorELNS0_4arch9wavefront6targetE0EEEvT1_
                                        ; -- End function
	.section	.AMDGPU.csdata,"",@progbits
; Kernel info:
; codeLenInByte = 0
; NumSgprs: 0
; NumVgprs: 0
; ScratchSize: 0
; MemoryBound: 0
; FloatMode: 240
; IeeeMode: 1
; LDSByteSize: 0 bytes/workgroup (compile time only)
; SGPRBlocks: 0
; VGPRBlocks: 0
; NumSGPRsForWavesPerEU: 1
; NumVGPRsForWavesPerEU: 1
; Occupancy: 16
; WaveLimiterHint : 0
; COMPUTE_PGM_RSRC2:SCRATCH_EN: 0
; COMPUTE_PGM_RSRC2:USER_SGPR: 15
; COMPUTE_PGM_RSRC2:TRAP_HANDLER: 0
; COMPUTE_PGM_RSRC2:TGID_X_EN: 1
; COMPUTE_PGM_RSRC2:TGID_Y_EN: 0
; COMPUTE_PGM_RSRC2:TGID_Z_EN: 0
; COMPUTE_PGM_RSRC2:TIDIG_COMP_CNT: 0
	.section	.text._ZN7rocprim17ROCPRIM_400000_NS6detail17trampoline_kernelINS0_14default_configENS1_20scan_config_selectorIN3c107complexIfEEEEZZNS1_9scan_implILNS1_25lookback_scan_determinismE0ELb0ELb0ES3_PKS7_PS7_S7_ZZZN2at6native31launch_logcumsumexp_cuda_kernelERKNSE_10TensorBaseESI_lENKUlvE_clEvENKUlvE2_clEvEUlS7_S7_E_S7_EEDaPvRmT3_T4_T5_mT6_P12ihipStream_tbENKUlT_T0_E_clISt17integral_constantIbLb1EESZ_EEDaSU_SV_EUlSU_E0_NS1_11comp_targetILNS1_3genE2ELNS1_11target_archE906ELNS1_3gpuE6ELNS1_3repE0EEENS1_30default_config_static_selectorELNS0_4arch9wavefront6targetE0EEEvT1_,"axG",@progbits,_ZN7rocprim17ROCPRIM_400000_NS6detail17trampoline_kernelINS0_14default_configENS1_20scan_config_selectorIN3c107complexIfEEEEZZNS1_9scan_implILNS1_25lookback_scan_determinismE0ELb0ELb0ES3_PKS7_PS7_S7_ZZZN2at6native31launch_logcumsumexp_cuda_kernelERKNSE_10TensorBaseESI_lENKUlvE_clEvENKUlvE2_clEvEUlS7_S7_E_S7_EEDaPvRmT3_T4_T5_mT6_P12ihipStream_tbENKUlT_T0_E_clISt17integral_constantIbLb1EESZ_EEDaSU_SV_EUlSU_E0_NS1_11comp_targetILNS1_3genE2ELNS1_11target_archE906ELNS1_3gpuE6ELNS1_3repE0EEENS1_30default_config_static_selectorELNS0_4arch9wavefront6targetE0EEEvT1_,comdat
	.globl	_ZN7rocprim17ROCPRIM_400000_NS6detail17trampoline_kernelINS0_14default_configENS1_20scan_config_selectorIN3c107complexIfEEEEZZNS1_9scan_implILNS1_25lookback_scan_determinismE0ELb0ELb0ES3_PKS7_PS7_S7_ZZZN2at6native31launch_logcumsumexp_cuda_kernelERKNSE_10TensorBaseESI_lENKUlvE_clEvENKUlvE2_clEvEUlS7_S7_E_S7_EEDaPvRmT3_T4_T5_mT6_P12ihipStream_tbENKUlT_T0_E_clISt17integral_constantIbLb1EESZ_EEDaSU_SV_EUlSU_E0_NS1_11comp_targetILNS1_3genE2ELNS1_11target_archE906ELNS1_3gpuE6ELNS1_3repE0EEENS1_30default_config_static_selectorELNS0_4arch9wavefront6targetE0EEEvT1_ ; -- Begin function _ZN7rocprim17ROCPRIM_400000_NS6detail17trampoline_kernelINS0_14default_configENS1_20scan_config_selectorIN3c107complexIfEEEEZZNS1_9scan_implILNS1_25lookback_scan_determinismE0ELb0ELb0ES3_PKS7_PS7_S7_ZZZN2at6native31launch_logcumsumexp_cuda_kernelERKNSE_10TensorBaseESI_lENKUlvE_clEvENKUlvE2_clEvEUlS7_S7_E_S7_EEDaPvRmT3_T4_T5_mT6_P12ihipStream_tbENKUlT_T0_E_clISt17integral_constantIbLb1EESZ_EEDaSU_SV_EUlSU_E0_NS1_11comp_targetILNS1_3genE2ELNS1_11target_archE906ELNS1_3gpuE6ELNS1_3repE0EEENS1_30default_config_static_selectorELNS0_4arch9wavefront6targetE0EEEvT1_
	.p2align	8
	.type	_ZN7rocprim17ROCPRIM_400000_NS6detail17trampoline_kernelINS0_14default_configENS1_20scan_config_selectorIN3c107complexIfEEEEZZNS1_9scan_implILNS1_25lookback_scan_determinismE0ELb0ELb0ES3_PKS7_PS7_S7_ZZZN2at6native31launch_logcumsumexp_cuda_kernelERKNSE_10TensorBaseESI_lENKUlvE_clEvENKUlvE2_clEvEUlS7_S7_E_S7_EEDaPvRmT3_T4_T5_mT6_P12ihipStream_tbENKUlT_T0_E_clISt17integral_constantIbLb1EESZ_EEDaSU_SV_EUlSU_E0_NS1_11comp_targetILNS1_3genE2ELNS1_11target_archE906ELNS1_3gpuE6ELNS1_3repE0EEENS1_30default_config_static_selectorELNS0_4arch9wavefront6targetE0EEEvT1_,@function
_ZN7rocprim17ROCPRIM_400000_NS6detail17trampoline_kernelINS0_14default_configENS1_20scan_config_selectorIN3c107complexIfEEEEZZNS1_9scan_implILNS1_25lookback_scan_determinismE0ELb0ELb0ES3_PKS7_PS7_S7_ZZZN2at6native31launch_logcumsumexp_cuda_kernelERKNSE_10TensorBaseESI_lENKUlvE_clEvENKUlvE2_clEvEUlS7_S7_E_S7_EEDaPvRmT3_T4_T5_mT6_P12ihipStream_tbENKUlT_T0_E_clISt17integral_constantIbLb1EESZ_EEDaSU_SV_EUlSU_E0_NS1_11comp_targetILNS1_3genE2ELNS1_11target_archE906ELNS1_3gpuE6ELNS1_3repE0EEENS1_30default_config_static_selectorELNS0_4arch9wavefront6targetE0EEEvT1_: ; @_ZN7rocprim17ROCPRIM_400000_NS6detail17trampoline_kernelINS0_14default_configENS1_20scan_config_selectorIN3c107complexIfEEEEZZNS1_9scan_implILNS1_25lookback_scan_determinismE0ELb0ELb0ES3_PKS7_PS7_S7_ZZZN2at6native31launch_logcumsumexp_cuda_kernelERKNSE_10TensorBaseESI_lENKUlvE_clEvENKUlvE2_clEvEUlS7_S7_E_S7_EEDaPvRmT3_T4_T5_mT6_P12ihipStream_tbENKUlT_T0_E_clISt17integral_constantIbLb1EESZ_EEDaSU_SV_EUlSU_E0_NS1_11comp_targetILNS1_3genE2ELNS1_11target_archE906ELNS1_3gpuE6ELNS1_3repE0EEENS1_30default_config_static_selectorELNS0_4arch9wavefront6targetE0EEEvT1_
; %bb.0:
	.section	.rodata,"a",@progbits
	.p2align	6, 0x0
	.amdhsa_kernel _ZN7rocprim17ROCPRIM_400000_NS6detail17trampoline_kernelINS0_14default_configENS1_20scan_config_selectorIN3c107complexIfEEEEZZNS1_9scan_implILNS1_25lookback_scan_determinismE0ELb0ELb0ES3_PKS7_PS7_S7_ZZZN2at6native31launch_logcumsumexp_cuda_kernelERKNSE_10TensorBaseESI_lENKUlvE_clEvENKUlvE2_clEvEUlS7_S7_E_S7_EEDaPvRmT3_T4_T5_mT6_P12ihipStream_tbENKUlT_T0_E_clISt17integral_constantIbLb1EESZ_EEDaSU_SV_EUlSU_E0_NS1_11comp_targetILNS1_3genE2ELNS1_11target_archE906ELNS1_3gpuE6ELNS1_3repE0EEENS1_30default_config_static_selectorELNS0_4arch9wavefront6targetE0EEEvT1_
		.amdhsa_group_segment_fixed_size 0
		.amdhsa_private_segment_fixed_size 0
		.amdhsa_kernarg_size 40
		.amdhsa_user_sgpr_count 15
		.amdhsa_user_sgpr_dispatch_ptr 0
		.amdhsa_user_sgpr_queue_ptr 0
		.amdhsa_user_sgpr_kernarg_segment_ptr 1
		.amdhsa_user_sgpr_dispatch_id 0
		.amdhsa_user_sgpr_private_segment_size 0
		.amdhsa_wavefront_size32 1
		.amdhsa_uses_dynamic_stack 0
		.amdhsa_enable_private_segment 0
		.amdhsa_system_sgpr_workgroup_id_x 1
		.amdhsa_system_sgpr_workgroup_id_y 0
		.amdhsa_system_sgpr_workgroup_id_z 0
		.amdhsa_system_sgpr_workgroup_info 0
		.amdhsa_system_vgpr_workitem_id 0
		.amdhsa_next_free_vgpr 1
		.amdhsa_next_free_sgpr 1
		.amdhsa_reserve_vcc 0
		.amdhsa_float_round_mode_32 0
		.amdhsa_float_round_mode_16_64 0
		.amdhsa_float_denorm_mode_32 3
		.amdhsa_float_denorm_mode_16_64 3
		.amdhsa_dx10_clamp 1
		.amdhsa_ieee_mode 1
		.amdhsa_fp16_overflow 0
		.amdhsa_workgroup_processor_mode 1
		.amdhsa_memory_ordered 1
		.amdhsa_forward_progress 0
		.amdhsa_shared_vgpr_count 0
		.amdhsa_exception_fp_ieee_invalid_op 0
		.amdhsa_exception_fp_denorm_src 0
		.amdhsa_exception_fp_ieee_div_zero 0
		.amdhsa_exception_fp_ieee_overflow 0
		.amdhsa_exception_fp_ieee_underflow 0
		.amdhsa_exception_fp_ieee_inexact 0
		.amdhsa_exception_int_div_zero 0
	.end_amdhsa_kernel
	.section	.text._ZN7rocprim17ROCPRIM_400000_NS6detail17trampoline_kernelINS0_14default_configENS1_20scan_config_selectorIN3c107complexIfEEEEZZNS1_9scan_implILNS1_25lookback_scan_determinismE0ELb0ELb0ES3_PKS7_PS7_S7_ZZZN2at6native31launch_logcumsumexp_cuda_kernelERKNSE_10TensorBaseESI_lENKUlvE_clEvENKUlvE2_clEvEUlS7_S7_E_S7_EEDaPvRmT3_T4_T5_mT6_P12ihipStream_tbENKUlT_T0_E_clISt17integral_constantIbLb1EESZ_EEDaSU_SV_EUlSU_E0_NS1_11comp_targetILNS1_3genE2ELNS1_11target_archE906ELNS1_3gpuE6ELNS1_3repE0EEENS1_30default_config_static_selectorELNS0_4arch9wavefront6targetE0EEEvT1_,"axG",@progbits,_ZN7rocprim17ROCPRIM_400000_NS6detail17trampoline_kernelINS0_14default_configENS1_20scan_config_selectorIN3c107complexIfEEEEZZNS1_9scan_implILNS1_25lookback_scan_determinismE0ELb0ELb0ES3_PKS7_PS7_S7_ZZZN2at6native31launch_logcumsumexp_cuda_kernelERKNSE_10TensorBaseESI_lENKUlvE_clEvENKUlvE2_clEvEUlS7_S7_E_S7_EEDaPvRmT3_T4_T5_mT6_P12ihipStream_tbENKUlT_T0_E_clISt17integral_constantIbLb1EESZ_EEDaSU_SV_EUlSU_E0_NS1_11comp_targetILNS1_3genE2ELNS1_11target_archE906ELNS1_3gpuE6ELNS1_3repE0EEENS1_30default_config_static_selectorELNS0_4arch9wavefront6targetE0EEEvT1_,comdat
.Lfunc_end308:
	.size	_ZN7rocprim17ROCPRIM_400000_NS6detail17trampoline_kernelINS0_14default_configENS1_20scan_config_selectorIN3c107complexIfEEEEZZNS1_9scan_implILNS1_25lookback_scan_determinismE0ELb0ELb0ES3_PKS7_PS7_S7_ZZZN2at6native31launch_logcumsumexp_cuda_kernelERKNSE_10TensorBaseESI_lENKUlvE_clEvENKUlvE2_clEvEUlS7_S7_E_S7_EEDaPvRmT3_T4_T5_mT6_P12ihipStream_tbENKUlT_T0_E_clISt17integral_constantIbLb1EESZ_EEDaSU_SV_EUlSU_E0_NS1_11comp_targetILNS1_3genE2ELNS1_11target_archE906ELNS1_3gpuE6ELNS1_3repE0EEENS1_30default_config_static_selectorELNS0_4arch9wavefront6targetE0EEEvT1_, .Lfunc_end308-_ZN7rocprim17ROCPRIM_400000_NS6detail17trampoline_kernelINS0_14default_configENS1_20scan_config_selectorIN3c107complexIfEEEEZZNS1_9scan_implILNS1_25lookback_scan_determinismE0ELb0ELb0ES3_PKS7_PS7_S7_ZZZN2at6native31launch_logcumsumexp_cuda_kernelERKNSE_10TensorBaseESI_lENKUlvE_clEvENKUlvE2_clEvEUlS7_S7_E_S7_EEDaPvRmT3_T4_T5_mT6_P12ihipStream_tbENKUlT_T0_E_clISt17integral_constantIbLb1EESZ_EEDaSU_SV_EUlSU_E0_NS1_11comp_targetILNS1_3genE2ELNS1_11target_archE906ELNS1_3gpuE6ELNS1_3repE0EEENS1_30default_config_static_selectorELNS0_4arch9wavefront6targetE0EEEvT1_
                                        ; -- End function
	.section	.AMDGPU.csdata,"",@progbits
; Kernel info:
; codeLenInByte = 0
; NumSgprs: 0
; NumVgprs: 0
; ScratchSize: 0
; MemoryBound: 0
; FloatMode: 240
; IeeeMode: 1
; LDSByteSize: 0 bytes/workgroup (compile time only)
; SGPRBlocks: 0
; VGPRBlocks: 0
; NumSGPRsForWavesPerEU: 1
; NumVGPRsForWavesPerEU: 1
; Occupancy: 16
; WaveLimiterHint : 0
; COMPUTE_PGM_RSRC2:SCRATCH_EN: 0
; COMPUTE_PGM_RSRC2:USER_SGPR: 15
; COMPUTE_PGM_RSRC2:TRAP_HANDLER: 0
; COMPUTE_PGM_RSRC2:TGID_X_EN: 1
; COMPUTE_PGM_RSRC2:TGID_Y_EN: 0
; COMPUTE_PGM_RSRC2:TGID_Z_EN: 0
; COMPUTE_PGM_RSRC2:TIDIG_COMP_CNT: 0
	.section	.text._ZN7rocprim17ROCPRIM_400000_NS6detail17trampoline_kernelINS0_14default_configENS1_20scan_config_selectorIN3c107complexIfEEEEZZNS1_9scan_implILNS1_25lookback_scan_determinismE0ELb0ELb0ES3_PKS7_PS7_S7_ZZZN2at6native31launch_logcumsumexp_cuda_kernelERKNSE_10TensorBaseESI_lENKUlvE_clEvENKUlvE2_clEvEUlS7_S7_E_S7_EEDaPvRmT3_T4_T5_mT6_P12ihipStream_tbENKUlT_T0_E_clISt17integral_constantIbLb1EESZ_EEDaSU_SV_EUlSU_E0_NS1_11comp_targetILNS1_3genE10ELNS1_11target_archE1201ELNS1_3gpuE5ELNS1_3repE0EEENS1_30default_config_static_selectorELNS0_4arch9wavefront6targetE0EEEvT1_,"axG",@progbits,_ZN7rocprim17ROCPRIM_400000_NS6detail17trampoline_kernelINS0_14default_configENS1_20scan_config_selectorIN3c107complexIfEEEEZZNS1_9scan_implILNS1_25lookback_scan_determinismE0ELb0ELb0ES3_PKS7_PS7_S7_ZZZN2at6native31launch_logcumsumexp_cuda_kernelERKNSE_10TensorBaseESI_lENKUlvE_clEvENKUlvE2_clEvEUlS7_S7_E_S7_EEDaPvRmT3_T4_T5_mT6_P12ihipStream_tbENKUlT_T0_E_clISt17integral_constantIbLb1EESZ_EEDaSU_SV_EUlSU_E0_NS1_11comp_targetILNS1_3genE10ELNS1_11target_archE1201ELNS1_3gpuE5ELNS1_3repE0EEENS1_30default_config_static_selectorELNS0_4arch9wavefront6targetE0EEEvT1_,comdat
	.globl	_ZN7rocprim17ROCPRIM_400000_NS6detail17trampoline_kernelINS0_14default_configENS1_20scan_config_selectorIN3c107complexIfEEEEZZNS1_9scan_implILNS1_25lookback_scan_determinismE0ELb0ELb0ES3_PKS7_PS7_S7_ZZZN2at6native31launch_logcumsumexp_cuda_kernelERKNSE_10TensorBaseESI_lENKUlvE_clEvENKUlvE2_clEvEUlS7_S7_E_S7_EEDaPvRmT3_T4_T5_mT6_P12ihipStream_tbENKUlT_T0_E_clISt17integral_constantIbLb1EESZ_EEDaSU_SV_EUlSU_E0_NS1_11comp_targetILNS1_3genE10ELNS1_11target_archE1201ELNS1_3gpuE5ELNS1_3repE0EEENS1_30default_config_static_selectorELNS0_4arch9wavefront6targetE0EEEvT1_ ; -- Begin function _ZN7rocprim17ROCPRIM_400000_NS6detail17trampoline_kernelINS0_14default_configENS1_20scan_config_selectorIN3c107complexIfEEEEZZNS1_9scan_implILNS1_25lookback_scan_determinismE0ELb0ELb0ES3_PKS7_PS7_S7_ZZZN2at6native31launch_logcumsumexp_cuda_kernelERKNSE_10TensorBaseESI_lENKUlvE_clEvENKUlvE2_clEvEUlS7_S7_E_S7_EEDaPvRmT3_T4_T5_mT6_P12ihipStream_tbENKUlT_T0_E_clISt17integral_constantIbLb1EESZ_EEDaSU_SV_EUlSU_E0_NS1_11comp_targetILNS1_3genE10ELNS1_11target_archE1201ELNS1_3gpuE5ELNS1_3repE0EEENS1_30default_config_static_selectorELNS0_4arch9wavefront6targetE0EEEvT1_
	.p2align	8
	.type	_ZN7rocprim17ROCPRIM_400000_NS6detail17trampoline_kernelINS0_14default_configENS1_20scan_config_selectorIN3c107complexIfEEEEZZNS1_9scan_implILNS1_25lookback_scan_determinismE0ELb0ELb0ES3_PKS7_PS7_S7_ZZZN2at6native31launch_logcumsumexp_cuda_kernelERKNSE_10TensorBaseESI_lENKUlvE_clEvENKUlvE2_clEvEUlS7_S7_E_S7_EEDaPvRmT3_T4_T5_mT6_P12ihipStream_tbENKUlT_T0_E_clISt17integral_constantIbLb1EESZ_EEDaSU_SV_EUlSU_E0_NS1_11comp_targetILNS1_3genE10ELNS1_11target_archE1201ELNS1_3gpuE5ELNS1_3repE0EEENS1_30default_config_static_selectorELNS0_4arch9wavefront6targetE0EEEvT1_,@function
_ZN7rocprim17ROCPRIM_400000_NS6detail17trampoline_kernelINS0_14default_configENS1_20scan_config_selectorIN3c107complexIfEEEEZZNS1_9scan_implILNS1_25lookback_scan_determinismE0ELb0ELb0ES3_PKS7_PS7_S7_ZZZN2at6native31launch_logcumsumexp_cuda_kernelERKNSE_10TensorBaseESI_lENKUlvE_clEvENKUlvE2_clEvEUlS7_S7_E_S7_EEDaPvRmT3_T4_T5_mT6_P12ihipStream_tbENKUlT_T0_E_clISt17integral_constantIbLb1EESZ_EEDaSU_SV_EUlSU_E0_NS1_11comp_targetILNS1_3genE10ELNS1_11target_archE1201ELNS1_3gpuE5ELNS1_3repE0EEENS1_30default_config_static_selectorELNS0_4arch9wavefront6targetE0EEEvT1_: ; @_ZN7rocprim17ROCPRIM_400000_NS6detail17trampoline_kernelINS0_14default_configENS1_20scan_config_selectorIN3c107complexIfEEEEZZNS1_9scan_implILNS1_25lookback_scan_determinismE0ELb0ELb0ES3_PKS7_PS7_S7_ZZZN2at6native31launch_logcumsumexp_cuda_kernelERKNSE_10TensorBaseESI_lENKUlvE_clEvENKUlvE2_clEvEUlS7_S7_E_S7_EEDaPvRmT3_T4_T5_mT6_P12ihipStream_tbENKUlT_T0_E_clISt17integral_constantIbLb1EESZ_EEDaSU_SV_EUlSU_E0_NS1_11comp_targetILNS1_3genE10ELNS1_11target_archE1201ELNS1_3gpuE5ELNS1_3repE0EEENS1_30default_config_static_selectorELNS0_4arch9wavefront6targetE0EEEvT1_
; %bb.0:
	.section	.rodata,"a",@progbits
	.p2align	6, 0x0
	.amdhsa_kernel _ZN7rocprim17ROCPRIM_400000_NS6detail17trampoline_kernelINS0_14default_configENS1_20scan_config_selectorIN3c107complexIfEEEEZZNS1_9scan_implILNS1_25lookback_scan_determinismE0ELb0ELb0ES3_PKS7_PS7_S7_ZZZN2at6native31launch_logcumsumexp_cuda_kernelERKNSE_10TensorBaseESI_lENKUlvE_clEvENKUlvE2_clEvEUlS7_S7_E_S7_EEDaPvRmT3_T4_T5_mT6_P12ihipStream_tbENKUlT_T0_E_clISt17integral_constantIbLb1EESZ_EEDaSU_SV_EUlSU_E0_NS1_11comp_targetILNS1_3genE10ELNS1_11target_archE1201ELNS1_3gpuE5ELNS1_3repE0EEENS1_30default_config_static_selectorELNS0_4arch9wavefront6targetE0EEEvT1_
		.amdhsa_group_segment_fixed_size 0
		.amdhsa_private_segment_fixed_size 0
		.amdhsa_kernarg_size 40
		.amdhsa_user_sgpr_count 15
		.amdhsa_user_sgpr_dispatch_ptr 0
		.amdhsa_user_sgpr_queue_ptr 0
		.amdhsa_user_sgpr_kernarg_segment_ptr 1
		.amdhsa_user_sgpr_dispatch_id 0
		.amdhsa_user_sgpr_private_segment_size 0
		.amdhsa_wavefront_size32 1
		.amdhsa_uses_dynamic_stack 0
		.amdhsa_enable_private_segment 0
		.amdhsa_system_sgpr_workgroup_id_x 1
		.amdhsa_system_sgpr_workgroup_id_y 0
		.amdhsa_system_sgpr_workgroup_id_z 0
		.amdhsa_system_sgpr_workgroup_info 0
		.amdhsa_system_vgpr_workitem_id 0
		.amdhsa_next_free_vgpr 1
		.amdhsa_next_free_sgpr 1
		.amdhsa_reserve_vcc 0
		.amdhsa_float_round_mode_32 0
		.amdhsa_float_round_mode_16_64 0
		.amdhsa_float_denorm_mode_32 3
		.amdhsa_float_denorm_mode_16_64 3
		.amdhsa_dx10_clamp 1
		.amdhsa_ieee_mode 1
		.amdhsa_fp16_overflow 0
		.amdhsa_workgroup_processor_mode 1
		.amdhsa_memory_ordered 1
		.amdhsa_forward_progress 0
		.amdhsa_shared_vgpr_count 0
		.amdhsa_exception_fp_ieee_invalid_op 0
		.amdhsa_exception_fp_denorm_src 0
		.amdhsa_exception_fp_ieee_div_zero 0
		.amdhsa_exception_fp_ieee_overflow 0
		.amdhsa_exception_fp_ieee_underflow 0
		.amdhsa_exception_fp_ieee_inexact 0
		.amdhsa_exception_int_div_zero 0
	.end_amdhsa_kernel
	.section	.text._ZN7rocprim17ROCPRIM_400000_NS6detail17trampoline_kernelINS0_14default_configENS1_20scan_config_selectorIN3c107complexIfEEEEZZNS1_9scan_implILNS1_25lookback_scan_determinismE0ELb0ELb0ES3_PKS7_PS7_S7_ZZZN2at6native31launch_logcumsumexp_cuda_kernelERKNSE_10TensorBaseESI_lENKUlvE_clEvENKUlvE2_clEvEUlS7_S7_E_S7_EEDaPvRmT3_T4_T5_mT6_P12ihipStream_tbENKUlT_T0_E_clISt17integral_constantIbLb1EESZ_EEDaSU_SV_EUlSU_E0_NS1_11comp_targetILNS1_3genE10ELNS1_11target_archE1201ELNS1_3gpuE5ELNS1_3repE0EEENS1_30default_config_static_selectorELNS0_4arch9wavefront6targetE0EEEvT1_,"axG",@progbits,_ZN7rocprim17ROCPRIM_400000_NS6detail17trampoline_kernelINS0_14default_configENS1_20scan_config_selectorIN3c107complexIfEEEEZZNS1_9scan_implILNS1_25lookback_scan_determinismE0ELb0ELb0ES3_PKS7_PS7_S7_ZZZN2at6native31launch_logcumsumexp_cuda_kernelERKNSE_10TensorBaseESI_lENKUlvE_clEvENKUlvE2_clEvEUlS7_S7_E_S7_EEDaPvRmT3_T4_T5_mT6_P12ihipStream_tbENKUlT_T0_E_clISt17integral_constantIbLb1EESZ_EEDaSU_SV_EUlSU_E0_NS1_11comp_targetILNS1_3genE10ELNS1_11target_archE1201ELNS1_3gpuE5ELNS1_3repE0EEENS1_30default_config_static_selectorELNS0_4arch9wavefront6targetE0EEEvT1_,comdat
.Lfunc_end309:
	.size	_ZN7rocprim17ROCPRIM_400000_NS6detail17trampoline_kernelINS0_14default_configENS1_20scan_config_selectorIN3c107complexIfEEEEZZNS1_9scan_implILNS1_25lookback_scan_determinismE0ELb0ELb0ES3_PKS7_PS7_S7_ZZZN2at6native31launch_logcumsumexp_cuda_kernelERKNSE_10TensorBaseESI_lENKUlvE_clEvENKUlvE2_clEvEUlS7_S7_E_S7_EEDaPvRmT3_T4_T5_mT6_P12ihipStream_tbENKUlT_T0_E_clISt17integral_constantIbLb1EESZ_EEDaSU_SV_EUlSU_E0_NS1_11comp_targetILNS1_3genE10ELNS1_11target_archE1201ELNS1_3gpuE5ELNS1_3repE0EEENS1_30default_config_static_selectorELNS0_4arch9wavefront6targetE0EEEvT1_, .Lfunc_end309-_ZN7rocprim17ROCPRIM_400000_NS6detail17trampoline_kernelINS0_14default_configENS1_20scan_config_selectorIN3c107complexIfEEEEZZNS1_9scan_implILNS1_25lookback_scan_determinismE0ELb0ELb0ES3_PKS7_PS7_S7_ZZZN2at6native31launch_logcumsumexp_cuda_kernelERKNSE_10TensorBaseESI_lENKUlvE_clEvENKUlvE2_clEvEUlS7_S7_E_S7_EEDaPvRmT3_T4_T5_mT6_P12ihipStream_tbENKUlT_T0_E_clISt17integral_constantIbLb1EESZ_EEDaSU_SV_EUlSU_E0_NS1_11comp_targetILNS1_3genE10ELNS1_11target_archE1201ELNS1_3gpuE5ELNS1_3repE0EEENS1_30default_config_static_selectorELNS0_4arch9wavefront6targetE0EEEvT1_
                                        ; -- End function
	.section	.AMDGPU.csdata,"",@progbits
; Kernel info:
; codeLenInByte = 0
; NumSgprs: 0
; NumVgprs: 0
; ScratchSize: 0
; MemoryBound: 0
; FloatMode: 240
; IeeeMode: 1
; LDSByteSize: 0 bytes/workgroup (compile time only)
; SGPRBlocks: 0
; VGPRBlocks: 0
; NumSGPRsForWavesPerEU: 1
; NumVGPRsForWavesPerEU: 1
; Occupancy: 16
; WaveLimiterHint : 0
; COMPUTE_PGM_RSRC2:SCRATCH_EN: 0
; COMPUTE_PGM_RSRC2:USER_SGPR: 15
; COMPUTE_PGM_RSRC2:TRAP_HANDLER: 0
; COMPUTE_PGM_RSRC2:TGID_X_EN: 1
; COMPUTE_PGM_RSRC2:TGID_Y_EN: 0
; COMPUTE_PGM_RSRC2:TGID_Z_EN: 0
; COMPUTE_PGM_RSRC2:TIDIG_COMP_CNT: 0
	.section	.text._ZN7rocprim17ROCPRIM_400000_NS6detail17trampoline_kernelINS0_14default_configENS1_20scan_config_selectorIN3c107complexIfEEEEZZNS1_9scan_implILNS1_25lookback_scan_determinismE0ELb0ELb0ES3_PKS7_PS7_S7_ZZZN2at6native31launch_logcumsumexp_cuda_kernelERKNSE_10TensorBaseESI_lENKUlvE_clEvENKUlvE2_clEvEUlS7_S7_E_S7_EEDaPvRmT3_T4_T5_mT6_P12ihipStream_tbENKUlT_T0_E_clISt17integral_constantIbLb1EESZ_EEDaSU_SV_EUlSU_E0_NS1_11comp_targetILNS1_3genE10ELNS1_11target_archE1200ELNS1_3gpuE4ELNS1_3repE0EEENS1_30default_config_static_selectorELNS0_4arch9wavefront6targetE0EEEvT1_,"axG",@progbits,_ZN7rocprim17ROCPRIM_400000_NS6detail17trampoline_kernelINS0_14default_configENS1_20scan_config_selectorIN3c107complexIfEEEEZZNS1_9scan_implILNS1_25lookback_scan_determinismE0ELb0ELb0ES3_PKS7_PS7_S7_ZZZN2at6native31launch_logcumsumexp_cuda_kernelERKNSE_10TensorBaseESI_lENKUlvE_clEvENKUlvE2_clEvEUlS7_S7_E_S7_EEDaPvRmT3_T4_T5_mT6_P12ihipStream_tbENKUlT_T0_E_clISt17integral_constantIbLb1EESZ_EEDaSU_SV_EUlSU_E0_NS1_11comp_targetILNS1_3genE10ELNS1_11target_archE1200ELNS1_3gpuE4ELNS1_3repE0EEENS1_30default_config_static_selectorELNS0_4arch9wavefront6targetE0EEEvT1_,comdat
	.globl	_ZN7rocprim17ROCPRIM_400000_NS6detail17trampoline_kernelINS0_14default_configENS1_20scan_config_selectorIN3c107complexIfEEEEZZNS1_9scan_implILNS1_25lookback_scan_determinismE0ELb0ELb0ES3_PKS7_PS7_S7_ZZZN2at6native31launch_logcumsumexp_cuda_kernelERKNSE_10TensorBaseESI_lENKUlvE_clEvENKUlvE2_clEvEUlS7_S7_E_S7_EEDaPvRmT3_T4_T5_mT6_P12ihipStream_tbENKUlT_T0_E_clISt17integral_constantIbLb1EESZ_EEDaSU_SV_EUlSU_E0_NS1_11comp_targetILNS1_3genE10ELNS1_11target_archE1200ELNS1_3gpuE4ELNS1_3repE0EEENS1_30default_config_static_selectorELNS0_4arch9wavefront6targetE0EEEvT1_ ; -- Begin function _ZN7rocprim17ROCPRIM_400000_NS6detail17trampoline_kernelINS0_14default_configENS1_20scan_config_selectorIN3c107complexIfEEEEZZNS1_9scan_implILNS1_25lookback_scan_determinismE0ELb0ELb0ES3_PKS7_PS7_S7_ZZZN2at6native31launch_logcumsumexp_cuda_kernelERKNSE_10TensorBaseESI_lENKUlvE_clEvENKUlvE2_clEvEUlS7_S7_E_S7_EEDaPvRmT3_T4_T5_mT6_P12ihipStream_tbENKUlT_T0_E_clISt17integral_constantIbLb1EESZ_EEDaSU_SV_EUlSU_E0_NS1_11comp_targetILNS1_3genE10ELNS1_11target_archE1200ELNS1_3gpuE4ELNS1_3repE0EEENS1_30default_config_static_selectorELNS0_4arch9wavefront6targetE0EEEvT1_
	.p2align	8
	.type	_ZN7rocprim17ROCPRIM_400000_NS6detail17trampoline_kernelINS0_14default_configENS1_20scan_config_selectorIN3c107complexIfEEEEZZNS1_9scan_implILNS1_25lookback_scan_determinismE0ELb0ELb0ES3_PKS7_PS7_S7_ZZZN2at6native31launch_logcumsumexp_cuda_kernelERKNSE_10TensorBaseESI_lENKUlvE_clEvENKUlvE2_clEvEUlS7_S7_E_S7_EEDaPvRmT3_T4_T5_mT6_P12ihipStream_tbENKUlT_T0_E_clISt17integral_constantIbLb1EESZ_EEDaSU_SV_EUlSU_E0_NS1_11comp_targetILNS1_3genE10ELNS1_11target_archE1200ELNS1_3gpuE4ELNS1_3repE0EEENS1_30default_config_static_selectorELNS0_4arch9wavefront6targetE0EEEvT1_,@function
_ZN7rocprim17ROCPRIM_400000_NS6detail17trampoline_kernelINS0_14default_configENS1_20scan_config_selectorIN3c107complexIfEEEEZZNS1_9scan_implILNS1_25lookback_scan_determinismE0ELb0ELb0ES3_PKS7_PS7_S7_ZZZN2at6native31launch_logcumsumexp_cuda_kernelERKNSE_10TensorBaseESI_lENKUlvE_clEvENKUlvE2_clEvEUlS7_S7_E_S7_EEDaPvRmT3_T4_T5_mT6_P12ihipStream_tbENKUlT_T0_E_clISt17integral_constantIbLb1EESZ_EEDaSU_SV_EUlSU_E0_NS1_11comp_targetILNS1_3genE10ELNS1_11target_archE1200ELNS1_3gpuE4ELNS1_3repE0EEENS1_30default_config_static_selectorELNS0_4arch9wavefront6targetE0EEEvT1_: ; @_ZN7rocprim17ROCPRIM_400000_NS6detail17trampoline_kernelINS0_14default_configENS1_20scan_config_selectorIN3c107complexIfEEEEZZNS1_9scan_implILNS1_25lookback_scan_determinismE0ELb0ELb0ES3_PKS7_PS7_S7_ZZZN2at6native31launch_logcumsumexp_cuda_kernelERKNSE_10TensorBaseESI_lENKUlvE_clEvENKUlvE2_clEvEUlS7_S7_E_S7_EEDaPvRmT3_T4_T5_mT6_P12ihipStream_tbENKUlT_T0_E_clISt17integral_constantIbLb1EESZ_EEDaSU_SV_EUlSU_E0_NS1_11comp_targetILNS1_3genE10ELNS1_11target_archE1200ELNS1_3gpuE4ELNS1_3repE0EEENS1_30default_config_static_selectorELNS0_4arch9wavefront6targetE0EEEvT1_
; %bb.0:
	.section	.rodata,"a",@progbits
	.p2align	6, 0x0
	.amdhsa_kernel _ZN7rocprim17ROCPRIM_400000_NS6detail17trampoline_kernelINS0_14default_configENS1_20scan_config_selectorIN3c107complexIfEEEEZZNS1_9scan_implILNS1_25lookback_scan_determinismE0ELb0ELb0ES3_PKS7_PS7_S7_ZZZN2at6native31launch_logcumsumexp_cuda_kernelERKNSE_10TensorBaseESI_lENKUlvE_clEvENKUlvE2_clEvEUlS7_S7_E_S7_EEDaPvRmT3_T4_T5_mT6_P12ihipStream_tbENKUlT_T0_E_clISt17integral_constantIbLb1EESZ_EEDaSU_SV_EUlSU_E0_NS1_11comp_targetILNS1_3genE10ELNS1_11target_archE1200ELNS1_3gpuE4ELNS1_3repE0EEENS1_30default_config_static_selectorELNS0_4arch9wavefront6targetE0EEEvT1_
		.amdhsa_group_segment_fixed_size 0
		.amdhsa_private_segment_fixed_size 0
		.amdhsa_kernarg_size 40
		.amdhsa_user_sgpr_count 15
		.amdhsa_user_sgpr_dispatch_ptr 0
		.amdhsa_user_sgpr_queue_ptr 0
		.amdhsa_user_sgpr_kernarg_segment_ptr 1
		.amdhsa_user_sgpr_dispatch_id 0
		.amdhsa_user_sgpr_private_segment_size 0
		.amdhsa_wavefront_size32 1
		.amdhsa_uses_dynamic_stack 0
		.amdhsa_enable_private_segment 0
		.amdhsa_system_sgpr_workgroup_id_x 1
		.amdhsa_system_sgpr_workgroup_id_y 0
		.amdhsa_system_sgpr_workgroup_id_z 0
		.amdhsa_system_sgpr_workgroup_info 0
		.amdhsa_system_vgpr_workitem_id 0
		.amdhsa_next_free_vgpr 1
		.amdhsa_next_free_sgpr 1
		.amdhsa_reserve_vcc 0
		.amdhsa_float_round_mode_32 0
		.amdhsa_float_round_mode_16_64 0
		.amdhsa_float_denorm_mode_32 3
		.amdhsa_float_denorm_mode_16_64 3
		.amdhsa_dx10_clamp 1
		.amdhsa_ieee_mode 1
		.amdhsa_fp16_overflow 0
		.amdhsa_workgroup_processor_mode 1
		.amdhsa_memory_ordered 1
		.amdhsa_forward_progress 0
		.amdhsa_shared_vgpr_count 0
		.amdhsa_exception_fp_ieee_invalid_op 0
		.amdhsa_exception_fp_denorm_src 0
		.amdhsa_exception_fp_ieee_div_zero 0
		.amdhsa_exception_fp_ieee_overflow 0
		.amdhsa_exception_fp_ieee_underflow 0
		.amdhsa_exception_fp_ieee_inexact 0
		.amdhsa_exception_int_div_zero 0
	.end_amdhsa_kernel
	.section	.text._ZN7rocprim17ROCPRIM_400000_NS6detail17trampoline_kernelINS0_14default_configENS1_20scan_config_selectorIN3c107complexIfEEEEZZNS1_9scan_implILNS1_25lookback_scan_determinismE0ELb0ELb0ES3_PKS7_PS7_S7_ZZZN2at6native31launch_logcumsumexp_cuda_kernelERKNSE_10TensorBaseESI_lENKUlvE_clEvENKUlvE2_clEvEUlS7_S7_E_S7_EEDaPvRmT3_T4_T5_mT6_P12ihipStream_tbENKUlT_T0_E_clISt17integral_constantIbLb1EESZ_EEDaSU_SV_EUlSU_E0_NS1_11comp_targetILNS1_3genE10ELNS1_11target_archE1200ELNS1_3gpuE4ELNS1_3repE0EEENS1_30default_config_static_selectorELNS0_4arch9wavefront6targetE0EEEvT1_,"axG",@progbits,_ZN7rocprim17ROCPRIM_400000_NS6detail17trampoline_kernelINS0_14default_configENS1_20scan_config_selectorIN3c107complexIfEEEEZZNS1_9scan_implILNS1_25lookback_scan_determinismE0ELb0ELb0ES3_PKS7_PS7_S7_ZZZN2at6native31launch_logcumsumexp_cuda_kernelERKNSE_10TensorBaseESI_lENKUlvE_clEvENKUlvE2_clEvEUlS7_S7_E_S7_EEDaPvRmT3_T4_T5_mT6_P12ihipStream_tbENKUlT_T0_E_clISt17integral_constantIbLb1EESZ_EEDaSU_SV_EUlSU_E0_NS1_11comp_targetILNS1_3genE10ELNS1_11target_archE1200ELNS1_3gpuE4ELNS1_3repE0EEENS1_30default_config_static_selectorELNS0_4arch9wavefront6targetE0EEEvT1_,comdat
.Lfunc_end310:
	.size	_ZN7rocprim17ROCPRIM_400000_NS6detail17trampoline_kernelINS0_14default_configENS1_20scan_config_selectorIN3c107complexIfEEEEZZNS1_9scan_implILNS1_25lookback_scan_determinismE0ELb0ELb0ES3_PKS7_PS7_S7_ZZZN2at6native31launch_logcumsumexp_cuda_kernelERKNSE_10TensorBaseESI_lENKUlvE_clEvENKUlvE2_clEvEUlS7_S7_E_S7_EEDaPvRmT3_T4_T5_mT6_P12ihipStream_tbENKUlT_T0_E_clISt17integral_constantIbLb1EESZ_EEDaSU_SV_EUlSU_E0_NS1_11comp_targetILNS1_3genE10ELNS1_11target_archE1200ELNS1_3gpuE4ELNS1_3repE0EEENS1_30default_config_static_selectorELNS0_4arch9wavefront6targetE0EEEvT1_, .Lfunc_end310-_ZN7rocprim17ROCPRIM_400000_NS6detail17trampoline_kernelINS0_14default_configENS1_20scan_config_selectorIN3c107complexIfEEEEZZNS1_9scan_implILNS1_25lookback_scan_determinismE0ELb0ELb0ES3_PKS7_PS7_S7_ZZZN2at6native31launch_logcumsumexp_cuda_kernelERKNSE_10TensorBaseESI_lENKUlvE_clEvENKUlvE2_clEvEUlS7_S7_E_S7_EEDaPvRmT3_T4_T5_mT6_P12ihipStream_tbENKUlT_T0_E_clISt17integral_constantIbLb1EESZ_EEDaSU_SV_EUlSU_E0_NS1_11comp_targetILNS1_3genE10ELNS1_11target_archE1200ELNS1_3gpuE4ELNS1_3repE0EEENS1_30default_config_static_selectorELNS0_4arch9wavefront6targetE0EEEvT1_
                                        ; -- End function
	.section	.AMDGPU.csdata,"",@progbits
; Kernel info:
; codeLenInByte = 0
; NumSgprs: 0
; NumVgprs: 0
; ScratchSize: 0
; MemoryBound: 0
; FloatMode: 240
; IeeeMode: 1
; LDSByteSize: 0 bytes/workgroup (compile time only)
; SGPRBlocks: 0
; VGPRBlocks: 0
; NumSGPRsForWavesPerEU: 1
; NumVGPRsForWavesPerEU: 1
; Occupancy: 16
; WaveLimiterHint : 0
; COMPUTE_PGM_RSRC2:SCRATCH_EN: 0
; COMPUTE_PGM_RSRC2:USER_SGPR: 15
; COMPUTE_PGM_RSRC2:TRAP_HANDLER: 0
; COMPUTE_PGM_RSRC2:TGID_X_EN: 1
; COMPUTE_PGM_RSRC2:TGID_Y_EN: 0
; COMPUTE_PGM_RSRC2:TGID_Z_EN: 0
; COMPUTE_PGM_RSRC2:TIDIG_COMP_CNT: 0
	.section	.text._ZN7rocprim17ROCPRIM_400000_NS6detail17trampoline_kernelINS0_14default_configENS1_20scan_config_selectorIN3c107complexIfEEEEZZNS1_9scan_implILNS1_25lookback_scan_determinismE0ELb0ELb0ES3_PKS7_PS7_S7_ZZZN2at6native31launch_logcumsumexp_cuda_kernelERKNSE_10TensorBaseESI_lENKUlvE_clEvENKUlvE2_clEvEUlS7_S7_E_S7_EEDaPvRmT3_T4_T5_mT6_P12ihipStream_tbENKUlT_T0_E_clISt17integral_constantIbLb1EESZ_EEDaSU_SV_EUlSU_E0_NS1_11comp_targetILNS1_3genE9ELNS1_11target_archE1100ELNS1_3gpuE3ELNS1_3repE0EEENS1_30default_config_static_selectorELNS0_4arch9wavefront6targetE0EEEvT1_,"axG",@progbits,_ZN7rocprim17ROCPRIM_400000_NS6detail17trampoline_kernelINS0_14default_configENS1_20scan_config_selectorIN3c107complexIfEEEEZZNS1_9scan_implILNS1_25lookback_scan_determinismE0ELb0ELb0ES3_PKS7_PS7_S7_ZZZN2at6native31launch_logcumsumexp_cuda_kernelERKNSE_10TensorBaseESI_lENKUlvE_clEvENKUlvE2_clEvEUlS7_S7_E_S7_EEDaPvRmT3_T4_T5_mT6_P12ihipStream_tbENKUlT_T0_E_clISt17integral_constantIbLb1EESZ_EEDaSU_SV_EUlSU_E0_NS1_11comp_targetILNS1_3genE9ELNS1_11target_archE1100ELNS1_3gpuE3ELNS1_3repE0EEENS1_30default_config_static_selectorELNS0_4arch9wavefront6targetE0EEEvT1_,comdat
	.globl	_ZN7rocprim17ROCPRIM_400000_NS6detail17trampoline_kernelINS0_14default_configENS1_20scan_config_selectorIN3c107complexIfEEEEZZNS1_9scan_implILNS1_25lookback_scan_determinismE0ELb0ELb0ES3_PKS7_PS7_S7_ZZZN2at6native31launch_logcumsumexp_cuda_kernelERKNSE_10TensorBaseESI_lENKUlvE_clEvENKUlvE2_clEvEUlS7_S7_E_S7_EEDaPvRmT3_T4_T5_mT6_P12ihipStream_tbENKUlT_T0_E_clISt17integral_constantIbLb1EESZ_EEDaSU_SV_EUlSU_E0_NS1_11comp_targetILNS1_3genE9ELNS1_11target_archE1100ELNS1_3gpuE3ELNS1_3repE0EEENS1_30default_config_static_selectorELNS0_4arch9wavefront6targetE0EEEvT1_ ; -- Begin function _ZN7rocprim17ROCPRIM_400000_NS6detail17trampoline_kernelINS0_14default_configENS1_20scan_config_selectorIN3c107complexIfEEEEZZNS1_9scan_implILNS1_25lookback_scan_determinismE0ELb0ELb0ES3_PKS7_PS7_S7_ZZZN2at6native31launch_logcumsumexp_cuda_kernelERKNSE_10TensorBaseESI_lENKUlvE_clEvENKUlvE2_clEvEUlS7_S7_E_S7_EEDaPvRmT3_T4_T5_mT6_P12ihipStream_tbENKUlT_T0_E_clISt17integral_constantIbLb1EESZ_EEDaSU_SV_EUlSU_E0_NS1_11comp_targetILNS1_3genE9ELNS1_11target_archE1100ELNS1_3gpuE3ELNS1_3repE0EEENS1_30default_config_static_selectorELNS0_4arch9wavefront6targetE0EEEvT1_
	.p2align	8
	.type	_ZN7rocprim17ROCPRIM_400000_NS6detail17trampoline_kernelINS0_14default_configENS1_20scan_config_selectorIN3c107complexIfEEEEZZNS1_9scan_implILNS1_25lookback_scan_determinismE0ELb0ELb0ES3_PKS7_PS7_S7_ZZZN2at6native31launch_logcumsumexp_cuda_kernelERKNSE_10TensorBaseESI_lENKUlvE_clEvENKUlvE2_clEvEUlS7_S7_E_S7_EEDaPvRmT3_T4_T5_mT6_P12ihipStream_tbENKUlT_T0_E_clISt17integral_constantIbLb1EESZ_EEDaSU_SV_EUlSU_E0_NS1_11comp_targetILNS1_3genE9ELNS1_11target_archE1100ELNS1_3gpuE3ELNS1_3repE0EEENS1_30default_config_static_selectorELNS0_4arch9wavefront6targetE0EEEvT1_,@function
_ZN7rocprim17ROCPRIM_400000_NS6detail17trampoline_kernelINS0_14default_configENS1_20scan_config_selectorIN3c107complexIfEEEEZZNS1_9scan_implILNS1_25lookback_scan_determinismE0ELb0ELb0ES3_PKS7_PS7_S7_ZZZN2at6native31launch_logcumsumexp_cuda_kernelERKNSE_10TensorBaseESI_lENKUlvE_clEvENKUlvE2_clEvEUlS7_S7_E_S7_EEDaPvRmT3_T4_T5_mT6_P12ihipStream_tbENKUlT_T0_E_clISt17integral_constantIbLb1EESZ_EEDaSU_SV_EUlSU_E0_NS1_11comp_targetILNS1_3genE9ELNS1_11target_archE1100ELNS1_3gpuE3ELNS1_3repE0EEENS1_30default_config_static_selectorELNS0_4arch9wavefront6targetE0EEEvT1_: ; @_ZN7rocprim17ROCPRIM_400000_NS6detail17trampoline_kernelINS0_14default_configENS1_20scan_config_selectorIN3c107complexIfEEEEZZNS1_9scan_implILNS1_25lookback_scan_determinismE0ELb0ELb0ES3_PKS7_PS7_S7_ZZZN2at6native31launch_logcumsumexp_cuda_kernelERKNSE_10TensorBaseESI_lENKUlvE_clEvENKUlvE2_clEvEUlS7_S7_E_S7_EEDaPvRmT3_T4_T5_mT6_P12ihipStream_tbENKUlT_T0_E_clISt17integral_constantIbLb1EESZ_EEDaSU_SV_EUlSU_E0_NS1_11comp_targetILNS1_3genE9ELNS1_11target_archE1100ELNS1_3gpuE3ELNS1_3repE0EEENS1_30default_config_static_selectorELNS0_4arch9wavefront6targetE0EEEvT1_
; %bb.0:
	s_load_b128 s[4:7], s[0:1], 0x0
	s_mov_b32 s32, 0
	s_waitcnt lgkmcnt(0)
	s_load_b64 s[2:3], s[4:5], 0x0
	s_waitcnt lgkmcnt(0)
	v_dual_mov_b32 v84, v0 :: v_dual_mov_b32 v1, s3
	s_delay_alu instid0(VALU_DEP_1) | instskip(SKIP_1) | instid1(VALU_DEP_2)
	v_cmp_gt_u32_e64 s8, s6, v84
	v_dual_mov_b32 v0, s2 :: v_dual_lshlrev_b32 v91, 3, v84
	s_and_saveexec_b32 s7, s8
	s_cbranch_execz .LBB311_2
; %bb.1:
	global_load_b64 v[0:1], v91, s[4:5]
.LBB311_2:
	s_or_b32 exec_lo, exec_lo, s7
	v_or_b32_e32 v32, 0x100, v84
	v_dual_mov_b32 v3, s3 :: v_dual_mov_b32 v2, s2
	s_delay_alu instid0(VALU_DEP_2) | instskip(NEXT) | instid1(VALU_DEP_1)
	v_cmp_gt_u32_e64 s9, s6, v32
	s_and_saveexec_b32 s7, s9
	s_cbranch_execz .LBB311_4
; %bb.3:
	global_load_b64 v[2:3], v91, s[4:5] offset:2048
.LBB311_4:
	s_or_b32 exec_lo, exec_lo, s7
	v_or_b32_e32 v33, 0x200, v84
	v_dual_mov_b32 v5, s3 :: v_dual_mov_b32 v4, s2
	s_delay_alu instid0(VALU_DEP_2) | instskip(NEXT) | instid1(VALU_DEP_1)
	v_cmp_gt_u32_e64 s10, s6, v33
	s_and_saveexec_b32 s7, s10
	s_cbranch_execz .LBB311_6
; %bb.5:
	v_lshlrev_b32_e32 v4, 3, v33
	global_load_b64 v[4:5], v4, s[4:5]
.LBB311_6:
	s_or_b32 exec_lo, exec_lo, s7
	v_or_b32_e32 v34, 0x300, v84
	v_dual_mov_b32 v9, s3 :: v_dual_mov_b32 v8, s2
	s_delay_alu instid0(VALU_DEP_2) | instskip(NEXT) | instid1(VALU_DEP_1)
	v_cmp_gt_u32_e64 s11, s6, v34
	s_and_saveexec_b32 s7, s11
	s_cbranch_execz .LBB311_8
; %bb.7:
	v_lshlrev_b32_e32 v6, 3, v34
	global_load_b64 v[8:9], v6, s[4:5]
.LBB311_8:
	;; [unrolled: 11-line block ×14, first 2 shown]
	s_or_b32 exec_lo, exec_lo, s2
	v_lshrrev_b32_e32 v47, 2, v84
	v_lshrrev_b32_e32 v33, 2, v33
	;; [unrolled: 1-line block ×5, first 2 shown]
	v_and_b32_e32 v47, 56, v47
	v_and_b32_e32 v33, 0xf8, v33
	;; [unrolled: 1-line block ×4, first 2 shown]
	s_load_b64 s[24:25], s[0:1], 0x20
	v_add_nc_u32_e32 v92, v47, v91
	v_add_nc_u32_e32 v94, v33, v91
	v_and_b32_e32 v33, 0x1f8, v35
	v_lshrrev_b32_e32 v35, 2, v38
	v_add_nc_u32_e32 v93, v32, v91
	v_add_nc_u32_e32 v95, v34, v91
	s_waitcnt vmcnt(0)
	ds_store_b64 v92, v[0:1]
	ds_store_b64 v93, v[2:3] offset:2048
	ds_store_b64 v94, v[4:5] offset:4096
	;; [unrolled: 1-line block ×3, first 2 shown]
	v_and_b32_e32 v0, 0x1f8, v35
	v_lshrrev_b32_e32 v1, 2, v39
	v_lshrrev_b32_e32 v2, 2, v40
	;; [unrolled: 1-line block ×4, first 2 shown]
	v_add_nc_u32_e32 v99, v0, v91
	v_and_b32_e32 v0, 0x3f8, v1
	v_and_b32_e32 v1, 0x3f8, v2
	;; [unrolled: 1-line block ×4, first 2 shown]
	v_lshrrev_b32_e32 v32, 2, v36
	v_add_nc_u32_e32 v100, v0, v91
	v_lshrrev_b32_e32 v0, 2, v43
	v_add_nc_u32_e32 v101, v1, v91
	v_lshrrev_b32_e32 v1, 2, v44
	v_lshrrev_b32_e32 v36, 2, v37
	v_add_nc_u32_e32 v102, v2, v91
	v_lshrrev_b32_e32 v2, 2, v45
	v_add_nc_u32_e32 v103, v3, v91
	v_lshrrev_b32_e32 v3, 2, v46
	v_and_b32_e32 v0, 0x3f8, v0
	v_lshlrev_b32_e32 v4, 4, v84
	v_lshrrev_b32_e32 v5, 1, v84
	v_and_b32_e32 v32, 0x1f8, v32
	v_and_b32_e32 v1, 0x3f8, v1
	;; [unrolled: 1-line block ×5, first 2 shown]
	v_add_nc_u32_e32 v96, v33, v91
	v_add_nc_u32_e32 v104, v0, v91
	v_add_lshl_u32 v108, v5, v4, 3
	v_add_nc_u32_e32 v97, v32, v91
	v_add_nc_u32_e32 v105, v1, v91
	;; [unrolled: 1-line block ×5, first 2 shown]
	ds_store_b64 v96, v[6:7] offset:8192
	ds_store_b64 v97, v[10:11] offset:10240
	;; [unrolled: 1-line block ×12, first 2 shown]
	s_waitcnt lgkmcnt(0)
	s_barrier
	buffer_gl0_inv
	ds_load_2addr_b64 v[22:25], v108 offset1:1
	ds_load_2addr_b64 v[50:53], v108 offset0:2 offset1:3
	ds_load_2addr_b64 v[46:49], v108 offset0:4 offset1:5
	;; [unrolled: 1-line block ×7, first 2 shown]
	s_waitcnt lgkmcnt(0)
	s_barrier
	buffer_gl0_inv
	s_getpc_b64 s[26:27]
	s_add_u32 s26, s26, _ZZZZN2at6native31launch_logcumsumexp_cuda_kernelERKNS_10TensorBaseES3_lENKUlvE_clEvENKUlvE2_clEvENKUlN3c107complexIfEES8_E_clES8_S8_@rel32@lo+4
	s_addc_u32 s27, s27, _ZZZZN2at6native31launch_logcumsumexp_cuda_kernelERKNS_10TensorBaseES3_lENKUlvE_clEvENKUlvE2_clEvENKUlN3c107complexIfEES8_E_clES8_S8_@rel32@hi+12
	v_dual_mov_b32 v3, v25 :: v_dual_mov_b32 v0, v22
	v_dual_mov_b32 v1, v23 :: v_dual_mov_b32 v2, v24
	s_swappc_b64 s[30:31], s[26:27]
	v_dual_mov_b32 v2, v50 :: v_dual_mov_b32 v3, v51
	s_delay_alu instid0(VALU_DEP_2)
	v_dual_mov_b32 v85, v0 :: v_dual_mov_b32 v86, v1
	s_swappc_b64 s[30:31], s[26:27]
	v_dual_mov_b32 v2, v52 :: v_dual_mov_b32 v3, v53
	v_dual_mov_b32 v54, v0 :: v_dual_mov_b32 v55, v1
	s_swappc_b64 s[30:31], s[26:27]
	v_dual_mov_b32 v2, v46 :: v_dual_mov_b32 v3, v47
	;; [unrolled: 3-line block ×14, first 2 shown]
	s_mov_b32 s28, exec_lo
	ds_store_b64 v92, v[80:81]
	s_waitcnt lgkmcnt(0)
	s_waitcnt_vscnt null, 0x0
	s_barrier
	buffer_gl0_inv
	v_cmpx_gt_u32_e32 32, v84
	s_cbranch_execz .LBB311_44
; %bb.33:
	v_lshlrev_b32_e32 v0, 1, v84
	s_delay_alu instid0(VALU_DEP_1) | instskip(NEXT) | instid1(VALU_DEP_1)
	v_and_b32_e32 v0, 0x1f8, v0
	v_lshl_or_b32 v109, v84, 6, v0
	ds_load_b64 v[82:83], v109
	ds_load_2addr_b64 v[87:90], v109 offset0:1 offset1:2
	s_waitcnt lgkmcnt(0)
	v_dual_mov_b32 v0, v82 :: v_dual_mov_b32 v3, v88
	v_mov_b32_e32 v1, v83
	v_mov_b32_e32 v2, v87
	s_swappc_b64 s[30:31], s[26:27]
	v_dual_mov_b32 v2, v89 :: v_dual_mov_b32 v3, v90
	s_swappc_b64 s[30:31], s[26:27]
	ds_load_2addr_b64 v[87:90], v109 offset0:3 offset1:4
	s_waitcnt lgkmcnt(0)
	v_dual_mov_b32 v2, v87 :: v_dual_mov_b32 v3, v88
	s_swappc_b64 s[30:31], s[26:27]
	v_dual_mov_b32 v2, v89 :: v_dual_mov_b32 v3, v90
	s_swappc_b64 s[30:31], s[26:27]
	ds_load_2addr_b64 v[87:90], v109 offset0:5 offset1:6
	s_waitcnt lgkmcnt(0)
	v_dual_mov_b32 v2, v87 :: v_dual_mov_b32 v3, v88
	s_swappc_b64 s[30:31], s[26:27]
	v_dual_mov_b32 v2, v89 :: v_dual_mov_b32 v3, v90
	s_swappc_b64 s[30:31], s[26:27]
	ds_load_b64 v[2:3], v109 offset:56
	s_swappc_b64 s[30:31], s[26:27]
	v_dual_mov_b32 v2, v0 :: v_dual_mov_b32 v3, v1
	v_mbcnt_lo_u32_b32 v87, -1, 0
	s_mov_b32 s26, exec_lo
	s_delay_alu instid0(VALU_DEP_2) | instskip(NEXT) | instid1(VALU_DEP_3)
	v_mov_b32_dpp v0, v2 row_shr:1 row_mask:0xf bank_mask:0xf
	v_mov_b32_dpp v1, v3 row_shr:1 row_mask:0xf bank_mask:0xf
	s_delay_alu instid0(VALU_DEP_3) | instskip(NEXT) | instid1(VALU_DEP_1)
	v_and_b32_e32 v88, 15, v87
	v_cmpx_ne_u32_e32 0, v88
	s_cbranch_execz .LBB311_35
; %bb.34:
	s_getpc_b64 s[0:1]
	s_add_u32 s0, s0, _ZZZZN2at6native31launch_logcumsumexp_cuda_kernelERKNS_10TensorBaseES3_lENKUlvE_clEvENKUlvE2_clEvENKUlN3c107complexIfEES8_E_clES8_S8_@rel32@lo+4
	s_addc_u32 s1, s1, _ZZZZN2at6native31launch_logcumsumexp_cuda_kernelERKNS_10TensorBaseES3_lENKUlvE_clEvENKUlvE2_clEvENKUlN3c107complexIfEES8_E_clES8_S8_@rel32@hi+12
	s_delay_alu instid0(SALU_CYCLE_1)
	s_swappc_b64 s[30:31], s[0:1]
	v_dual_mov_b32 v2, v0 :: v_dual_mov_b32 v3, v1
.LBB311_35:
	s_or_b32 exec_lo, exec_lo, s26
	s_delay_alu instid0(VALU_DEP_1) | instskip(NEXT) | instid1(VALU_DEP_2)
	v_mov_b32_dpp v0, v2 row_shr:2 row_mask:0xf bank_mask:0xf
	v_mov_b32_dpp v1, v3 row_shr:2 row_mask:0xf bank_mask:0xf
	s_mov_b32 s26, exec_lo
	v_cmpx_lt_u32_e32 1, v88
	s_cbranch_execz .LBB311_37
; %bb.36:
	s_getpc_b64 s[0:1]
	s_add_u32 s0, s0, _ZZZZN2at6native31launch_logcumsumexp_cuda_kernelERKNS_10TensorBaseES3_lENKUlvE_clEvENKUlvE2_clEvENKUlN3c107complexIfEES8_E_clES8_S8_@rel32@lo+4
	s_addc_u32 s1, s1, _ZZZZN2at6native31launch_logcumsumexp_cuda_kernelERKNS_10TensorBaseES3_lENKUlvE_clEvENKUlvE2_clEvENKUlN3c107complexIfEES8_E_clES8_S8_@rel32@hi+12
	s_delay_alu instid0(SALU_CYCLE_1)
	s_swappc_b64 s[30:31], s[0:1]
	v_dual_mov_b32 v2, v0 :: v_dual_mov_b32 v3, v1
.LBB311_37:
	s_or_b32 exec_lo, exec_lo, s26
	s_delay_alu instid0(VALU_DEP_1) | instskip(NEXT) | instid1(VALU_DEP_2)
	v_mov_b32_dpp v0, v2 row_shr:4 row_mask:0xf bank_mask:0xf
	v_mov_b32_dpp v1, v3 row_shr:4 row_mask:0xf bank_mask:0xf
	s_mov_b32 s26, exec_lo
	v_cmpx_lt_u32_e32 3, v88
	s_cbranch_execz .LBB311_39
; %bb.38:
	s_getpc_b64 s[0:1]
	s_add_u32 s0, s0, _ZZZZN2at6native31launch_logcumsumexp_cuda_kernelERKNS_10TensorBaseES3_lENKUlvE_clEvENKUlvE2_clEvENKUlN3c107complexIfEES8_E_clES8_S8_@rel32@lo+4
	s_addc_u32 s1, s1, _ZZZZN2at6native31launch_logcumsumexp_cuda_kernelERKNS_10TensorBaseES3_lENKUlvE_clEvENKUlvE2_clEvENKUlN3c107complexIfEES8_E_clES8_S8_@rel32@hi+12
	s_delay_alu instid0(SALU_CYCLE_1)
	s_swappc_b64 s[30:31], s[0:1]
	v_dual_mov_b32 v2, v0 :: v_dual_mov_b32 v3, v1
.LBB311_39:
	s_or_b32 exec_lo, exec_lo, s26
	s_delay_alu instid0(VALU_DEP_1) | instskip(NEXT) | instid1(VALU_DEP_2)
	v_mov_b32_dpp v0, v2 row_shr:8 row_mask:0xf bank_mask:0xf
	v_mov_b32_dpp v1, v3 row_shr:8 row_mask:0xf bank_mask:0xf
	s_mov_b32 s26, exec_lo
	v_cmpx_lt_u32_e32 7, v88
	s_cbranch_execz .LBB311_41
; %bb.40:
	s_getpc_b64 s[0:1]
	s_add_u32 s0, s0, _ZZZZN2at6native31launch_logcumsumexp_cuda_kernelERKNS_10TensorBaseES3_lENKUlvE_clEvENKUlvE2_clEvENKUlN3c107complexIfEES8_E_clES8_S8_@rel32@lo+4
	s_addc_u32 s1, s1, _ZZZZN2at6native31launch_logcumsumexp_cuda_kernelERKNS_10TensorBaseES3_lENKUlvE_clEvENKUlvE2_clEvENKUlN3c107complexIfEES8_E_clES8_S8_@rel32@hi+12
	s_delay_alu instid0(SALU_CYCLE_1)
	s_swappc_b64 s[30:31], s[0:1]
	v_dual_mov_b32 v2, v0 :: v_dual_mov_b32 v3, v1
.LBB311_41:
	s_or_b32 exec_lo, exec_lo, s26
	ds_swizzle_b32 v0, v2 offset:swizzle(BROADCAST,32,15)
	ds_swizzle_b32 v1, v3 offset:swizzle(BROADCAST,32,15)
	v_and_b32_e32 v4, 16, v87
	s_mov_b32 s26, exec_lo
	s_delay_alu instid0(VALU_DEP_1)
	v_cmpx_ne_u32_e32 0, v4
	s_cbranch_execz .LBB311_43
; %bb.42:
	s_getpc_b64 s[0:1]
	s_add_u32 s0, s0, _ZZZZN2at6native31launch_logcumsumexp_cuda_kernelERKNS_10TensorBaseES3_lENKUlvE_clEvENKUlvE2_clEvENKUlN3c107complexIfEES8_E_clES8_S8_@rel32@lo+4
	s_addc_u32 s1, s1, _ZZZZN2at6native31launch_logcumsumexp_cuda_kernelERKNS_10TensorBaseES3_lENKUlvE_clEvENKUlvE2_clEvENKUlN3c107complexIfEES8_E_clES8_S8_@rel32@hi+12
	s_delay_alu instid0(SALU_CYCLE_1)
	s_swappc_b64 s[30:31], s[0:1]
	v_dual_mov_b32 v2, v0 :: v_dual_mov_b32 v3, v1
.LBB311_43:
	s_or_b32 exec_lo, exec_lo, s26
	s_waitcnt lgkmcnt(1)
	v_add_nc_u32_e32 v0, -1, v87
	s_getpc_b64 s[26:27]
	s_add_u32 s26, s26, _ZZZZN2at6native31launch_logcumsumexp_cuda_kernelERKNS_10TensorBaseES3_lENKUlvE_clEvENKUlvE2_clEvENKUlN3c107complexIfEES8_E_clES8_S8_@rel32@lo+4
	s_addc_u32 s27, s27, _ZZZZN2at6native31launch_logcumsumexp_cuda_kernelERKNS_10TensorBaseES3_lENKUlvE_clEvENKUlvE2_clEvENKUlN3c107complexIfEES8_E_clES8_S8_@rel32@hi+12
	s_delay_alu instid0(VALU_DEP_1) | instskip(SKIP_2) | instid1(VALU_DEP_1)
	v_cmp_gt_i32_e32 vcc_lo, 0, v0
	v_cndmask_b32_e32 v0, v0, v87, vcc_lo
	s_waitcnt lgkmcnt(0)
	v_lshlrev_b32_e32 v1, 2, v0
	ds_bpermute_b32 v0, v1, v2
	v_mov_b32_e32 v2, v82
	ds_bpermute_b32 v1, v1, v3
	v_mov_b32_e32 v3, v83
	s_swappc_b64 s[30:31], s[26:27]
	v_cmp_eq_u32_e32 vcc_lo, 0, v84
	; wave barrier
	v_dual_cndmask_b32 v0, v0, v80 :: v_dual_cndmask_b32 v1, v1, v81
	ds_store_b64 v109, v[0:1]
	; wave barrier
	ds_load_2addr_b64 v[87:90], v109 offset0:1 offset1:2
	s_waitcnt lgkmcnt(0)
	v_dual_mov_b32 v2, v87 :: v_dual_mov_b32 v3, v88
	s_swappc_b64 s[30:31], s[26:27]
	v_dual_mov_b32 v2, v89 :: v_dual_mov_b32 v3, v90
	v_dual_mov_b32 v82, v0 :: v_dual_mov_b32 v83, v1
	s_swappc_b64 s[30:31], s[26:27]
	ds_load_2addr_b64 v[87:90], v109 offset0:3 offset1:4
	ds_store_2addr_b64 v109, v[82:83], v[0:1] offset0:1 offset1:2
	s_waitcnt lgkmcnt(1)
	v_dual_mov_b32 v2, v87 :: v_dual_mov_b32 v3, v88
	s_swappc_b64 s[30:31], s[26:27]
	v_dual_mov_b32 v2, v89 :: v_dual_mov_b32 v3, v90
	v_dual_mov_b32 v82, v0 :: v_dual_mov_b32 v83, v1
	s_swappc_b64 s[30:31], s[26:27]
	ds_load_2addr_b64 v[87:90], v109 offset0:5 offset1:6
	ds_store_2addr_b64 v109, v[82:83], v[0:1] offset0:3 offset1:4
	s_waitcnt lgkmcnt(1)
	v_dual_mov_b32 v2, v87 :: v_dual_mov_b32 v3, v88
	s_swappc_b64 s[30:31], s[26:27]
	v_dual_mov_b32 v2, v89 :: v_dual_mov_b32 v3, v90
	v_dual_mov_b32 v82, v0 :: v_dual_mov_b32 v83, v1
	s_swappc_b64 s[30:31], s[26:27]
	ds_load_b64 v[2:3], v109 offset:56
	ds_store_2addr_b64 v109, v[82:83], v[0:1] offset0:5 offset1:6
	s_swappc_b64 s[30:31], s[26:27]
	ds_store_b64 v109, v[0:1] offset:56
.LBB311_44:
	s_or_b32 exec_lo, exec_lo, s28
	v_cmp_ne_u32_e32 vcc_lo, 0, v84
	v_dual_mov_b32 v1, v81 :: v_dual_mov_b32 v0, v80
	s_waitcnt lgkmcnt(0)
	s_waitcnt_vscnt null, 0x0
	s_barrier
	buffer_gl0_inv
	s_and_saveexec_b32 s0, vcc_lo
	s_cbranch_execz .LBB311_46
; %bb.45:
	v_add_nc_u32_e32 v0, -1, v84
	s_delay_alu instid0(VALU_DEP_1) | instskip(NEXT) | instid1(VALU_DEP_1)
	v_lshrrev_b32_e32 v1, 5, v0
	v_add_lshl_u32 v0, v1, v0, 3
	ds_load_b64 v[0:1], v0
.LBB311_46:
	s_or_b32 exec_lo, exec_lo, s0
	s_and_saveexec_b32 s28, vcc_lo
	s_cbranch_execz .LBB311_48
; %bb.47:
	v_dual_mov_b32 v2, v22 :: v_dual_mov_b32 v3, v23
	s_getpc_b64 s[26:27]
	s_add_u32 s26, s26, _ZZZZN2at6native31launch_logcumsumexp_cuda_kernelERKNS_10TensorBaseES3_lENKUlvE_clEvENKUlvE2_clEvENKUlN3c107complexIfEES8_E_clES8_S8_@rel32@lo+4
	s_addc_u32 s27, s27, _ZZZZN2at6native31launch_logcumsumexp_cuda_kernelERKNS_10TensorBaseES3_lENKUlvE_clEvENKUlvE2_clEvENKUlN3c107complexIfEES8_E_clES8_S8_@rel32@hi+12
	s_delay_alu instid0(SALU_CYCLE_1)
	s_swappc_b64 s[30:31], s[26:27]
	v_dual_mov_b32 v2, v24 :: v_dual_mov_b32 v3, v25
	v_dual_mov_b32 v22, v0 :: v_dual_mov_b32 v23, v1
	;;#ASMSTART
	;;#ASMEND
	s_swappc_b64 s[30:31], s[26:27]
	v_dual_mov_b32 v2, v50 :: v_dual_mov_b32 v3, v51
	v_dual_mov_b32 v85, v0 :: v_dual_mov_b32 v86, v1
	s_swappc_b64 s[30:31], s[26:27]
	v_dual_mov_b32 v2, v52 :: v_dual_mov_b32 v3, v53
	v_dual_mov_b32 v54, v0 :: v_dual_mov_b32 v55, v1
	;; [unrolled: 3-line block ×14, first 2 shown]
	s_swappc_b64 s[30:31], s[26:27]
	v_dual_mov_b32 v80, v0 :: v_dual_mov_b32 v81, v1
.LBB311_48:
	s_or_b32 exec_lo, exec_lo, s28
	s_waitcnt lgkmcnt(0)
	v_dual_mov_b32 v0, v85 :: v_dual_mov_b32 v1, v86
	s_waitcnt_vscnt null, 0x0
	s_barrier
	buffer_gl0_inv
	ds_store_2addr_b64 v108, v[22:23], v[0:1] offset1:1
	ds_store_2addr_b64 v108, v[54:55], v[56:57] offset0:2 offset1:3
	ds_store_2addr_b64 v108, v[58:59], v[60:61] offset0:4 offset1:5
	;; [unrolled: 1-line block ×7, first 2 shown]
	s_waitcnt lgkmcnt(0)
	s_barrier
	buffer_gl0_inv
	ds_load_b64 v[30:31], v93 offset:2048
	ds_load_b64 v[28:29], v94 offset:4096
	;; [unrolled: 1-line block ×15, first 2 shown]
	v_add_co_u32 v2, s0, s24, v91
	s_delay_alu instid0(VALU_DEP_1)
	v_add_co_ci_u32_e64 v3, null, s25, 0, s0
	s_and_saveexec_b32 s0, s8
	s_cbranch_execnz .LBB311_65
; %bb.49:
	s_or_b32 exec_lo, exec_lo, s0
	s_and_saveexec_b32 s0, s9
	s_cbranch_execnz .LBB311_66
.LBB311_50:
	s_or_b32 exec_lo, exec_lo, s0
	s_and_saveexec_b32 s0, s10
	s_cbranch_execnz .LBB311_67
.LBB311_51:
	s_or_b32 exec_lo, exec_lo, s0
	s_and_saveexec_b32 s0, s11
	s_cbranch_execnz .LBB311_68
.LBB311_52:
	s_or_b32 exec_lo, exec_lo, s0
	s_and_saveexec_b32 s0, s12
	s_cbranch_execnz .LBB311_69
.LBB311_53:
	s_or_b32 exec_lo, exec_lo, s0
	s_and_saveexec_b32 s0, s13
	s_cbranch_execnz .LBB311_70
.LBB311_54:
	s_or_b32 exec_lo, exec_lo, s0
	s_and_saveexec_b32 s0, s14
	s_cbranch_execnz .LBB311_71
.LBB311_55:
	s_or_b32 exec_lo, exec_lo, s0
	s_and_saveexec_b32 s0, s15
	s_cbranch_execnz .LBB311_72
.LBB311_56:
	s_or_b32 exec_lo, exec_lo, s0
	s_and_saveexec_b32 s0, s16
	s_cbranch_execnz .LBB311_73
.LBB311_57:
	s_or_b32 exec_lo, exec_lo, s0
	s_and_saveexec_b32 s0, s17
	s_cbranch_execnz .LBB311_74
.LBB311_58:
	s_or_b32 exec_lo, exec_lo, s0
	s_and_saveexec_b32 s0, s18
	s_cbranch_execnz .LBB311_75
.LBB311_59:
	s_or_b32 exec_lo, exec_lo, s0
	s_and_saveexec_b32 s0, s19
	s_cbranch_execnz .LBB311_76
.LBB311_60:
	s_or_b32 exec_lo, exec_lo, s0
	s_and_saveexec_b32 s0, s20
	s_cbranch_execnz .LBB311_77
.LBB311_61:
	s_or_b32 exec_lo, exec_lo, s0
	s_and_saveexec_b32 s0, s21
	s_cbranch_execnz .LBB311_78
.LBB311_62:
	s_or_b32 exec_lo, exec_lo, s0
	s_and_saveexec_b32 s0, s22
	s_cbranch_execnz .LBB311_79
.LBB311_63:
	s_or_b32 exec_lo, exec_lo, s0
	s_and_saveexec_b32 s0, s23
	s_cbranch_execnz .LBB311_80
.LBB311_64:
	s_nop 0
	s_sendmsg sendmsg(MSG_DEALLOC_VGPRS)
	s_endpgm
.LBB311_65:
	ds_load_b64 v[32:33], v92
	s_waitcnt lgkmcnt(0)
	global_store_b64 v[2:3], v[32:33], off
	s_or_b32 exec_lo, exec_lo, s0
	s_and_saveexec_b32 s0, s9
	s_cbranch_execz .LBB311_50
.LBB311_66:
	s_waitcnt lgkmcnt(14)
	global_store_b64 v[2:3], v[30:31], off offset:2048
	s_or_b32 exec_lo, exec_lo, s0
	s_and_saveexec_b32 s0, s10
	s_cbranch_execz .LBB311_51
.LBB311_67:
	s_waitcnt lgkmcnt(14)
	v_add_co_u32 v30, vcc_lo, 0x1000, v2
	v_add_co_ci_u32_e32 v31, vcc_lo, 0, v3, vcc_lo
	s_waitcnt lgkmcnt(13)
	global_store_b64 v[30:31], v[28:29], off
	s_or_b32 exec_lo, exec_lo, s0
	s_and_saveexec_b32 s0, s11
	s_cbranch_execz .LBB311_52
.LBB311_68:
	s_waitcnt lgkmcnt(13)
	v_add_co_u32 v28, vcc_lo, 0x1000, v2
	v_add_co_ci_u32_e32 v29, vcc_lo, 0, v3, vcc_lo
	s_waitcnt lgkmcnt(12)
	global_store_b64 v[28:29], v[26:27], off offset:2048
	s_or_b32 exec_lo, exec_lo, s0
	s_and_saveexec_b32 s0, s12
	s_cbranch_execz .LBB311_53
.LBB311_69:
	s_waitcnt lgkmcnt(12)
	v_add_co_u32 v26, vcc_lo, 0x2000, v2
	v_add_co_ci_u32_e32 v27, vcc_lo, 0, v3, vcc_lo
	s_waitcnt lgkmcnt(11)
	global_store_b64 v[26:27], v[24:25], off
	s_or_b32 exec_lo, exec_lo, s0
	s_and_saveexec_b32 s0, s13
	s_cbranch_execz .LBB311_54
.LBB311_70:
	s_waitcnt lgkmcnt(11)
	v_add_co_u32 v24, vcc_lo, 0x2000, v2
	v_add_co_ci_u32_e32 v25, vcc_lo, 0, v3, vcc_lo
	s_waitcnt lgkmcnt(10)
	global_store_b64 v[24:25], v[22:23], off offset:2048
	s_or_b32 exec_lo, exec_lo, s0
	s_and_saveexec_b32 s0, s14
	s_cbranch_execz .LBB311_55
.LBB311_71:
	s_waitcnt lgkmcnt(10)
	v_add_co_u32 v22, vcc_lo, 0x3000, v2
	v_add_co_ci_u32_e32 v23, vcc_lo, 0, v3, vcc_lo
	s_waitcnt lgkmcnt(9)
	global_store_b64 v[22:23], v[20:21], off
	s_or_b32 exec_lo, exec_lo, s0
	s_and_saveexec_b32 s0, s15
	s_cbranch_execz .LBB311_56
.LBB311_72:
	s_waitcnt lgkmcnt(9)
	v_add_co_u32 v20, vcc_lo, 0x3000, v2
	v_add_co_ci_u32_e32 v21, vcc_lo, 0, v3, vcc_lo
	s_waitcnt lgkmcnt(8)
	global_store_b64 v[20:21], v[18:19], off offset:2048
	s_or_b32 exec_lo, exec_lo, s0
	s_and_saveexec_b32 s0, s16
	s_cbranch_execz .LBB311_57
.LBB311_73:
	s_waitcnt lgkmcnt(8)
	v_add_co_u32 v18, vcc_lo, 0x4000, v2
	v_add_co_ci_u32_e32 v19, vcc_lo, 0, v3, vcc_lo
	s_waitcnt lgkmcnt(7)
	global_store_b64 v[18:19], v[16:17], off
	s_or_b32 exec_lo, exec_lo, s0
	s_and_saveexec_b32 s0, s17
	s_cbranch_execz .LBB311_58
.LBB311_74:
	s_waitcnt lgkmcnt(7)
	v_add_co_u32 v16, vcc_lo, 0x4000, v2
	v_add_co_ci_u32_e32 v17, vcc_lo, 0, v3, vcc_lo
	s_waitcnt lgkmcnt(6)
	global_store_b64 v[16:17], v[14:15], off offset:2048
	s_or_b32 exec_lo, exec_lo, s0
	s_and_saveexec_b32 s0, s18
	s_cbranch_execz .LBB311_59
.LBB311_75:
	s_waitcnt lgkmcnt(6)
	v_add_co_u32 v14, vcc_lo, 0x5000, v2
	v_add_co_ci_u32_e32 v15, vcc_lo, 0, v3, vcc_lo
	s_waitcnt lgkmcnt(5)
	global_store_b64 v[14:15], v[12:13], off
	s_or_b32 exec_lo, exec_lo, s0
	s_and_saveexec_b32 s0, s19
	s_cbranch_execz .LBB311_60
.LBB311_76:
	s_waitcnt lgkmcnt(5)
	v_add_co_u32 v12, vcc_lo, 0x5000, v2
	v_add_co_ci_u32_e32 v13, vcc_lo, 0, v3, vcc_lo
	s_waitcnt lgkmcnt(4)
	global_store_b64 v[12:13], v[10:11], off offset:2048
	s_or_b32 exec_lo, exec_lo, s0
	s_and_saveexec_b32 s0, s20
	s_cbranch_execz .LBB311_61
.LBB311_77:
	s_waitcnt lgkmcnt(4)
	v_add_co_u32 v10, vcc_lo, 0x6000, v2
	v_add_co_ci_u32_e32 v11, vcc_lo, 0, v3, vcc_lo
	s_waitcnt lgkmcnt(3)
	global_store_b64 v[10:11], v[8:9], off
	s_or_b32 exec_lo, exec_lo, s0
	s_and_saveexec_b32 s0, s21
	s_cbranch_execz .LBB311_62
.LBB311_78:
	s_waitcnt lgkmcnt(3)
	v_add_co_u32 v8, vcc_lo, 0x6000, v2
	v_add_co_ci_u32_e32 v9, vcc_lo, 0, v3, vcc_lo
	s_waitcnt lgkmcnt(2)
	global_store_b64 v[8:9], v[6:7], off offset:2048
	s_or_b32 exec_lo, exec_lo, s0
	s_and_saveexec_b32 s0, s22
	s_cbranch_execz .LBB311_63
.LBB311_79:
	s_waitcnt lgkmcnt(2)
	v_add_co_u32 v6, vcc_lo, 0x7000, v2
	v_add_co_ci_u32_e32 v7, vcc_lo, 0, v3, vcc_lo
	s_waitcnt lgkmcnt(1)
	global_store_b64 v[6:7], v[4:5], off
	s_or_b32 exec_lo, exec_lo, s0
	s_and_saveexec_b32 s0, s23
	s_cbranch_execz .LBB311_64
.LBB311_80:
	v_add_co_u32 v2, vcc_lo, 0x7000, v2
	v_add_co_ci_u32_e32 v3, vcc_lo, 0, v3, vcc_lo
	s_waitcnt lgkmcnt(0)
	global_store_b64 v[2:3], v[0:1], off offset:2048
	s_nop 0
	s_sendmsg sendmsg(MSG_DEALLOC_VGPRS)
	s_endpgm
	.section	.rodata,"a",@progbits
	.p2align	6, 0x0
	.amdhsa_kernel _ZN7rocprim17ROCPRIM_400000_NS6detail17trampoline_kernelINS0_14default_configENS1_20scan_config_selectorIN3c107complexIfEEEEZZNS1_9scan_implILNS1_25lookback_scan_determinismE0ELb0ELb0ES3_PKS7_PS7_S7_ZZZN2at6native31launch_logcumsumexp_cuda_kernelERKNSE_10TensorBaseESI_lENKUlvE_clEvENKUlvE2_clEvEUlS7_S7_E_S7_EEDaPvRmT3_T4_T5_mT6_P12ihipStream_tbENKUlT_T0_E_clISt17integral_constantIbLb1EESZ_EEDaSU_SV_EUlSU_E0_NS1_11comp_targetILNS1_3genE9ELNS1_11target_archE1100ELNS1_3gpuE3ELNS1_3repE0EEENS1_30default_config_static_selectorELNS0_4arch9wavefront6targetE0EEEvT1_
		.amdhsa_group_segment_fixed_size 33792
		.amdhsa_private_segment_fixed_size 0
		.amdhsa_kernarg_size 40
		.amdhsa_user_sgpr_count 15
		.amdhsa_user_sgpr_dispatch_ptr 0
		.amdhsa_user_sgpr_queue_ptr 0
		.amdhsa_user_sgpr_kernarg_segment_ptr 1
		.amdhsa_user_sgpr_dispatch_id 0
		.amdhsa_user_sgpr_private_segment_size 0
		.amdhsa_wavefront_size32 1
		.amdhsa_uses_dynamic_stack 0
		.amdhsa_enable_private_segment 0
		.amdhsa_system_sgpr_workgroup_id_x 1
		.amdhsa_system_sgpr_workgroup_id_y 0
		.amdhsa_system_sgpr_workgroup_id_z 0
		.amdhsa_system_sgpr_workgroup_info 0
		.amdhsa_system_vgpr_workitem_id 0
		.amdhsa_next_free_vgpr 110
		.amdhsa_next_free_sgpr 33
		.amdhsa_reserve_vcc 1
		.amdhsa_float_round_mode_32 0
		.amdhsa_float_round_mode_16_64 0
		.amdhsa_float_denorm_mode_32 3
		.amdhsa_float_denorm_mode_16_64 3
		.amdhsa_dx10_clamp 1
		.amdhsa_ieee_mode 1
		.amdhsa_fp16_overflow 0
		.amdhsa_workgroup_processor_mode 1
		.amdhsa_memory_ordered 1
		.amdhsa_forward_progress 0
		.amdhsa_shared_vgpr_count 0
		.amdhsa_exception_fp_ieee_invalid_op 0
		.amdhsa_exception_fp_denorm_src 0
		.amdhsa_exception_fp_ieee_div_zero 0
		.amdhsa_exception_fp_ieee_overflow 0
		.amdhsa_exception_fp_ieee_underflow 0
		.amdhsa_exception_fp_ieee_inexact 0
		.amdhsa_exception_int_div_zero 0
	.end_amdhsa_kernel
	.section	.text._ZN7rocprim17ROCPRIM_400000_NS6detail17trampoline_kernelINS0_14default_configENS1_20scan_config_selectorIN3c107complexIfEEEEZZNS1_9scan_implILNS1_25lookback_scan_determinismE0ELb0ELb0ES3_PKS7_PS7_S7_ZZZN2at6native31launch_logcumsumexp_cuda_kernelERKNSE_10TensorBaseESI_lENKUlvE_clEvENKUlvE2_clEvEUlS7_S7_E_S7_EEDaPvRmT3_T4_T5_mT6_P12ihipStream_tbENKUlT_T0_E_clISt17integral_constantIbLb1EESZ_EEDaSU_SV_EUlSU_E0_NS1_11comp_targetILNS1_3genE9ELNS1_11target_archE1100ELNS1_3gpuE3ELNS1_3repE0EEENS1_30default_config_static_selectorELNS0_4arch9wavefront6targetE0EEEvT1_,"axG",@progbits,_ZN7rocprim17ROCPRIM_400000_NS6detail17trampoline_kernelINS0_14default_configENS1_20scan_config_selectorIN3c107complexIfEEEEZZNS1_9scan_implILNS1_25lookback_scan_determinismE0ELb0ELb0ES3_PKS7_PS7_S7_ZZZN2at6native31launch_logcumsumexp_cuda_kernelERKNSE_10TensorBaseESI_lENKUlvE_clEvENKUlvE2_clEvEUlS7_S7_E_S7_EEDaPvRmT3_T4_T5_mT6_P12ihipStream_tbENKUlT_T0_E_clISt17integral_constantIbLb1EESZ_EEDaSU_SV_EUlSU_E0_NS1_11comp_targetILNS1_3genE9ELNS1_11target_archE1100ELNS1_3gpuE3ELNS1_3repE0EEENS1_30default_config_static_selectorELNS0_4arch9wavefront6targetE0EEEvT1_,comdat
.Lfunc_end311:
	.size	_ZN7rocprim17ROCPRIM_400000_NS6detail17trampoline_kernelINS0_14default_configENS1_20scan_config_selectorIN3c107complexIfEEEEZZNS1_9scan_implILNS1_25lookback_scan_determinismE0ELb0ELb0ES3_PKS7_PS7_S7_ZZZN2at6native31launch_logcumsumexp_cuda_kernelERKNSE_10TensorBaseESI_lENKUlvE_clEvENKUlvE2_clEvEUlS7_S7_E_S7_EEDaPvRmT3_T4_T5_mT6_P12ihipStream_tbENKUlT_T0_E_clISt17integral_constantIbLb1EESZ_EEDaSU_SV_EUlSU_E0_NS1_11comp_targetILNS1_3genE9ELNS1_11target_archE1100ELNS1_3gpuE3ELNS1_3repE0EEENS1_30default_config_static_selectorELNS0_4arch9wavefront6targetE0EEEvT1_, .Lfunc_end311-_ZN7rocprim17ROCPRIM_400000_NS6detail17trampoline_kernelINS0_14default_configENS1_20scan_config_selectorIN3c107complexIfEEEEZZNS1_9scan_implILNS1_25lookback_scan_determinismE0ELb0ELb0ES3_PKS7_PS7_S7_ZZZN2at6native31launch_logcumsumexp_cuda_kernelERKNSE_10TensorBaseESI_lENKUlvE_clEvENKUlvE2_clEvEUlS7_S7_E_S7_EEDaPvRmT3_T4_T5_mT6_P12ihipStream_tbENKUlT_T0_E_clISt17integral_constantIbLb1EESZ_EEDaSU_SV_EUlSU_E0_NS1_11comp_targetILNS1_3genE9ELNS1_11target_archE1100ELNS1_3gpuE3ELNS1_3repE0EEENS1_30default_config_static_selectorELNS0_4arch9wavefront6targetE0EEEvT1_
                                        ; -- End function
	.section	.AMDGPU.csdata,"",@progbits
; Kernel info:
; codeLenInByte = 4096
; NumSgprs: 35
; NumVgprs: 110
; ScratchSize: 0
; MemoryBound: 0
; FloatMode: 240
; IeeeMode: 1
; LDSByteSize: 33792 bytes/workgroup (compile time only)
; SGPRBlocks: 4
; VGPRBlocks: 13
; NumSGPRsForWavesPerEU: 35
; NumVGPRsForWavesPerEU: 110
; Occupancy: 6
; WaveLimiterHint : 0
; COMPUTE_PGM_RSRC2:SCRATCH_EN: 0
; COMPUTE_PGM_RSRC2:USER_SGPR: 15
; COMPUTE_PGM_RSRC2:TRAP_HANDLER: 0
; COMPUTE_PGM_RSRC2:TGID_X_EN: 1
; COMPUTE_PGM_RSRC2:TGID_Y_EN: 0
; COMPUTE_PGM_RSRC2:TGID_Z_EN: 0
; COMPUTE_PGM_RSRC2:TIDIG_COMP_CNT: 0
	.section	.text._ZN7rocprim17ROCPRIM_400000_NS6detail17trampoline_kernelINS0_14default_configENS1_20scan_config_selectorIN3c107complexIfEEEEZZNS1_9scan_implILNS1_25lookback_scan_determinismE0ELb0ELb0ES3_PKS7_PS7_S7_ZZZN2at6native31launch_logcumsumexp_cuda_kernelERKNSE_10TensorBaseESI_lENKUlvE_clEvENKUlvE2_clEvEUlS7_S7_E_S7_EEDaPvRmT3_T4_T5_mT6_P12ihipStream_tbENKUlT_T0_E_clISt17integral_constantIbLb1EESZ_EEDaSU_SV_EUlSU_E0_NS1_11comp_targetILNS1_3genE8ELNS1_11target_archE1030ELNS1_3gpuE2ELNS1_3repE0EEENS1_30default_config_static_selectorELNS0_4arch9wavefront6targetE0EEEvT1_,"axG",@progbits,_ZN7rocprim17ROCPRIM_400000_NS6detail17trampoline_kernelINS0_14default_configENS1_20scan_config_selectorIN3c107complexIfEEEEZZNS1_9scan_implILNS1_25lookback_scan_determinismE0ELb0ELb0ES3_PKS7_PS7_S7_ZZZN2at6native31launch_logcumsumexp_cuda_kernelERKNSE_10TensorBaseESI_lENKUlvE_clEvENKUlvE2_clEvEUlS7_S7_E_S7_EEDaPvRmT3_T4_T5_mT6_P12ihipStream_tbENKUlT_T0_E_clISt17integral_constantIbLb1EESZ_EEDaSU_SV_EUlSU_E0_NS1_11comp_targetILNS1_3genE8ELNS1_11target_archE1030ELNS1_3gpuE2ELNS1_3repE0EEENS1_30default_config_static_selectorELNS0_4arch9wavefront6targetE0EEEvT1_,comdat
	.globl	_ZN7rocprim17ROCPRIM_400000_NS6detail17trampoline_kernelINS0_14default_configENS1_20scan_config_selectorIN3c107complexIfEEEEZZNS1_9scan_implILNS1_25lookback_scan_determinismE0ELb0ELb0ES3_PKS7_PS7_S7_ZZZN2at6native31launch_logcumsumexp_cuda_kernelERKNSE_10TensorBaseESI_lENKUlvE_clEvENKUlvE2_clEvEUlS7_S7_E_S7_EEDaPvRmT3_T4_T5_mT6_P12ihipStream_tbENKUlT_T0_E_clISt17integral_constantIbLb1EESZ_EEDaSU_SV_EUlSU_E0_NS1_11comp_targetILNS1_3genE8ELNS1_11target_archE1030ELNS1_3gpuE2ELNS1_3repE0EEENS1_30default_config_static_selectorELNS0_4arch9wavefront6targetE0EEEvT1_ ; -- Begin function _ZN7rocprim17ROCPRIM_400000_NS6detail17trampoline_kernelINS0_14default_configENS1_20scan_config_selectorIN3c107complexIfEEEEZZNS1_9scan_implILNS1_25lookback_scan_determinismE0ELb0ELb0ES3_PKS7_PS7_S7_ZZZN2at6native31launch_logcumsumexp_cuda_kernelERKNSE_10TensorBaseESI_lENKUlvE_clEvENKUlvE2_clEvEUlS7_S7_E_S7_EEDaPvRmT3_T4_T5_mT6_P12ihipStream_tbENKUlT_T0_E_clISt17integral_constantIbLb1EESZ_EEDaSU_SV_EUlSU_E0_NS1_11comp_targetILNS1_3genE8ELNS1_11target_archE1030ELNS1_3gpuE2ELNS1_3repE0EEENS1_30default_config_static_selectorELNS0_4arch9wavefront6targetE0EEEvT1_
	.p2align	8
	.type	_ZN7rocprim17ROCPRIM_400000_NS6detail17trampoline_kernelINS0_14default_configENS1_20scan_config_selectorIN3c107complexIfEEEEZZNS1_9scan_implILNS1_25lookback_scan_determinismE0ELb0ELb0ES3_PKS7_PS7_S7_ZZZN2at6native31launch_logcumsumexp_cuda_kernelERKNSE_10TensorBaseESI_lENKUlvE_clEvENKUlvE2_clEvEUlS7_S7_E_S7_EEDaPvRmT3_T4_T5_mT6_P12ihipStream_tbENKUlT_T0_E_clISt17integral_constantIbLb1EESZ_EEDaSU_SV_EUlSU_E0_NS1_11comp_targetILNS1_3genE8ELNS1_11target_archE1030ELNS1_3gpuE2ELNS1_3repE0EEENS1_30default_config_static_selectorELNS0_4arch9wavefront6targetE0EEEvT1_,@function
_ZN7rocprim17ROCPRIM_400000_NS6detail17trampoline_kernelINS0_14default_configENS1_20scan_config_selectorIN3c107complexIfEEEEZZNS1_9scan_implILNS1_25lookback_scan_determinismE0ELb0ELb0ES3_PKS7_PS7_S7_ZZZN2at6native31launch_logcumsumexp_cuda_kernelERKNSE_10TensorBaseESI_lENKUlvE_clEvENKUlvE2_clEvEUlS7_S7_E_S7_EEDaPvRmT3_T4_T5_mT6_P12ihipStream_tbENKUlT_T0_E_clISt17integral_constantIbLb1EESZ_EEDaSU_SV_EUlSU_E0_NS1_11comp_targetILNS1_3genE8ELNS1_11target_archE1030ELNS1_3gpuE2ELNS1_3repE0EEENS1_30default_config_static_selectorELNS0_4arch9wavefront6targetE0EEEvT1_: ; @_ZN7rocprim17ROCPRIM_400000_NS6detail17trampoline_kernelINS0_14default_configENS1_20scan_config_selectorIN3c107complexIfEEEEZZNS1_9scan_implILNS1_25lookback_scan_determinismE0ELb0ELb0ES3_PKS7_PS7_S7_ZZZN2at6native31launch_logcumsumexp_cuda_kernelERKNSE_10TensorBaseESI_lENKUlvE_clEvENKUlvE2_clEvEUlS7_S7_E_S7_EEDaPvRmT3_T4_T5_mT6_P12ihipStream_tbENKUlT_T0_E_clISt17integral_constantIbLb1EESZ_EEDaSU_SV_EUlSU_E0_NS1_11comp_targetILNS1_3genE8ELNS1_11target_archE1030ELNS1_3gpuE2ELNS1_3repE0EEENS1_30default_config_static_selectorELNS0_4arch9wavefront6targetE0EEEvT1_
; %bb.0:
	.section	.rodata,"a",@progbits
	.p2align	6, 0x0
	.amdhsa_kernel _ZN7rocprim17ROCPRIM_400000_NS6detail17trampoline_kernelINS0_14default_configENS1_20scan_config_selectorIN3c107complexIfEEEEZZNS1_9scan_implILNS1_25lookback_scan_determinismE0ELb0ELb0ES3_PKS7_PS7_S7_ZZZN2at6native31launch_logcumsumexp_cuda_kernelERKNSE_10TensorBaseESI_lENKUlvE_clEvENKUlvE2_clEvEUlS7_S7_E_S7_EEDaPvRmT3_T4_T5_mT6_P12ihipStream_tbENKUlT_T0_E_clISt17integral_constantIbLb1EESZ_EEDaSU_SV_EUlSU_E0_NS1_11comp_targetILNS1_3genE8ELNS1_11target_archE1030ELNS1_3gpuE2ELNS1_3repE0EEENS1_30default_config_static_selectorELNS0_4arch9wavefront6targetE0EEEvT1_
		.amdhsa_group_segment_fixed_size 0
		.amdhsa_private_segment_fixed_size 0
		.amdhsa_kernarg_size 40
		.amdhsa_user_sgpr_count 15
		.amdhsa_user_sgpr_dispatch_ptr 0
		.amdhsa_user_sgpr_queue_ptr 0
		.amdhsa_user_sgpr_kernarg_segment_ptr 1
		.amdhsa_user_sgpr_dispatch_id 0
		.amdhsa_user_sgpr_private_segment_size 0
		.amdhsa_wavefront_size32 1
		.amdhsa_uses_dynamic_stack 0
		.amdhsa_enable_private_segment 0
		.amdhsa_system_sgpr_workgroup_id_x 1
		.amdhsa_system_sgpr_workgroup_id_y 0
		.amdhsa_system_sgpr_workgroup_id_z 0
		.amdhsa_system_sgpr_workgroup_info 0
		.amdhsa_system_vgpr_workitem_id 0
		.amdhsa_next_free_vgpr 1
		.amdhsa_next_free_sgpr 1
		.amdhsa_reserve_vcc 0
		.amdhsa_float_round_mode_32 0
		.amdhsa_float_round_mode_16_64 0
		.amdhsa_float_denorm_mode_32 3
		.amdhsa_float_denorm_mode_16_64 3
		.amdhsa_dx10_clamp 1
		.amdhsa_ieee_mode 1
		.amdhsa_fp16_overflow 0
		.amdhsa_workgroup_processor_mode 1
		.amdhsa_memory_ordered 1
		.amdhsa_forward_progress 0
		.amdhsa_shared_vgpr_count 0
		.amdhsa_exception_fp_ieee_invalid_op 0
		.amdhsa_exception_fp_denorm_src 0
		.amdhsa_exception_fp_ieee_div_zero 0
		.amdhsa_exception_fp_ieee_overflow 0
		.amdhsa_exception_fp_ieee_underflow 0
		.amdhsa_exception_fp_ieee_inexact 0
		.amdhsa_exception_int_div_zero 0
	.end_amdhsa_kernel
	.section	.text._ZN7rocprim17ROCPRIM_400000_NS6detail17trampoline_kernelINS0_14default_configENS1_20scan_config_selectorIN3c107complexIfEEEEZZNS1_9scan_implILNS1_25lookback_scan_determinismE0ELb0ELb0ES3_PKS7_PS7_S7_ZZZN2at6native31launch_logcumsumexp_cuda_kernelERKNSE_10TensorBaseESI_lENKUlvE_clEvENKUlvE2_clEvEUlS7_S7_E_S7_EEDaPvRmT3_T4_T5_mT6_P12ihipStream_tbENKUlT_T0_E_clISt17integral_constantIbLb1EESZ_EEDaSU_SV_EUlSU_E0_NS1_11comp_targetILNS1_3genE8ELNS1_11target_archE1030ELNS1_3gpuE2ELNS1_3repE0EEENS1_30default_config_static_selectorELNS0_4arch9wavefront6targetE0EEEvT1_,"axG",@progbits,_ZN7rocprim17ROCPRIM_400000_NS6detail17trampoline_kernelINS0_14default_configENS1_20scan_config_selectorIN3c107complexIfEEEEZZNS1_9scan_implILNS1_25lookback_scan_determinismE0ELb0ELb0ES3_PKS7_PS7_S7_ZZZN2at6native31launch_logcumsumexp_cuda_kernelERKNSE_10TensorBaseESI_lENKUlvE_clEvENKUlvE2_clEvEUlS7_S7_E_S7_EEDaPvRmT3_T4_T5_mT6_P12ihipStream_tbENKUlT_T0_E_clISt17integral_constantIbLb1EESZ_EEDaSU_SV_EUlSU_E0_NS1_11comp_targetILNS1_3genE8ELNS1_11target_archE1030ELNS1_3gpuE2ELNS1_3repE0EEENS1_30default_config_static_selectorELNS0_4arch9wavefront6targetE0EEEvT1_,comdat
.Lfunc_end312:
	.size	_ZN7rocprim17ROCPRIM_400000_NS6detail17trampoline_kernelINS0_14default_configENS1_20scan_config_selectorIN3c107complexIfEEEEZZNS1_9scan_implILNS1_25lookback_scan_determinismE0ELb0ELb0ES3_PKS7_PS7_S7_ZZZN2at6native31launch_logcumsumexp_cuda_kernelERKNSE_10TensorBaseESI_lENKUlvE_clEvENKUlvE2_clEvEUlS7_S7_E_S7_EEDaPvRmT3_T4_T5_mT6_P12ihipStream_tbENKUlT_T0_E_clISt17integral_constantIbLb1EESZ_EEDaSU_SV_EUlSU_E0_NS1_11comp_targetILNS1_3genE8ELNS1_11target_archE1030ELNS1_3gpuE2ELNS1_3repE0EEENS1_30default_config_static_selectorELNS0_4arch9wavefront6targetE0EEEvT1_, .Lfunc_end312-_ZN7rocprim17ROCPRIM_400000_NS6detail17trampoline_kernelINS0_14default_configENS1_20scan_config_selectorIN3c107complexIfEEEEZZNS1_9scan_implILNS1_25lookback_scan_determinismE0ELb0ELb0ES3_PKS7_PS7_S7_ZZZN2at6native31launch_logcumsumexp_cuda_kernelERKNSE_10TensorBaseESI_lENKUlvE_clEvENKUlvE2_clEvEUlS7_S7_E_S7_EEDaPvRmT3_T4_T5_mT6_P12ihipStream_tbENKUlT_T0_E_clISt17integral_constantIbLb1EESZ_EEDaSU_SV_EUlSU_E0_NS1_11comp_targetILNS1_3genE8ELNS1_11target_archE1030ELNS1_3gpuE2ELNS1_3repE0EEENS1_30default_config_static_selectorELNS0_4arch9wavefront6targetE0EEEvT1_
                                        ; -- End function
	.section	.AMDGPU.csdata,"",@progbits
; Kernel info:
; codeLenInByte = 0
; NumSgprs: 0
; NumVgprs: 0
; ScratchSize: 0
; MemoryBound: 0
; FloatMode: 240
; IeeeMode: 1
; LDSByteSize: 0 bytes/workgroup (compile time only)
; SGPRBlocks: 0
; VGPRBlocks: 0
; NumSGPRsForWavesPerEU: 1
; NumVGPRsForWavesPerEU: 1
; Occupancy: 16
; WaveLimiterHint : 0
; COMPUTE_PGM_RSRC2:SCRATCH_EN: 0
; COMPUTE_PGM_RSRC2:USER_SGPR: 15
; COMPUTE_PGM_RSRC2:TRAP_HANDLER: 0
; COMPUTE_PGM_RSRC2:TGID_X_EN: 1
; COMPUTE_PGM_RSRC2:TGID_Y_EN: 0
; COMPUTE_PGM_RSRC2:TGID_Z_EN: 0
; COMPUTE_PGM_RSRC2:TIDIG_COMP_CNT: 0
	.section	.text._ZN7rocprim17ROCPRIM_400000_NS6detail31init_lookback_scan_state_kernelINS1_19lookback_scan_stateIN3c107complexIfEELb1ELb1EEENS1_16block_id_wrapperIjLb0EEEEEvT_jT0_jPNSA_10value_typeE,"axG",@progbits,_ZN7rocprim17ROCPRIM_400000_NS6detail31init_lookback_scan_state_kernelINS1_19lookback_scan_stateIN3c107complexIfEELb1ELb1EEENS1_16block_id_wrapperIjLb0EEEEEvT_jT0_jPNSA_10value_typeE,comdat
	.protected	_ZN7rocprim17ROCPRIM_400000_NS6detail31init_lookback_scan_state_kernelINS1_19lookback_scan_stateIN3c107complexIfEELb1ELb1EEENS1_16block_id_wrapperIjLb0EEEEEvT_jT0_jPNSA_10value_typeE ; -- Begin function _ZN7rocprim17ROCPRIM_400000_NS6detail31init_lookback_scan_state_kernelINS1_19lookback_scan_stateIN3c107complexIfEELb1ELb1EEENS1_16block_id_wrapperIjLb0EEEEEvT_jT0_jPNSA_10value_typeE
	.globl	_ZN7rocprim17ROCPRIM_400000_NS6detail31init_lookback_scan_state_kernelINS1_19lookback_scan_stateIN3c107complexIfEELb1ELb1EEENS1_16block_id_wrapperIjLb0EEEEEvT_jT0_jPNSA_10value_typeE
	.p2align	8
	.type	_ZN7rocprim17ROCPRIM_400000_NS6detail31init_lookback_scan_state_kernelINS1_19lookback_scan_stateIN3c107complexIfEELb1ELb1EEENS1_16block_id_wrapperIjLb0EEEEEvT_jT0_jPNSA_10value_typeE,@function
_ZN7rocprim17ROCPRIM_400000_NS6detail31init_lookback_scan_state_kernelINS1_19lookback_scan_stateIN3c107complexIfEELb1ELb1EEENS1_16block_id_wrapperIjLb0EEEEEvT_jT0_jPNSA_10value_typeE: ; @_ZN7rocprim17ROCPRIM_400000_NS6detail31init_lookback_scan_state_kernelINS1_19lookback_scan_stateIN3c107complexIfEELb1ELb1EEENS1_16block_id_wrapperIjLb0EEEEEvT_jT0_jPNSA_10value_typeE
; %bb.0:
	s_clause 0x3
	s_load_b32 s7, s[0:1], 0x2c
	s_load_b64 s[4:5], s[0:1], 0x18
	s_load_b64 s[2:3], s[0:1], 0x0
	s_load_b32 s6, s[0:1], 0x8
	s_waitcnt lgkmcnt(0)
	s_and_b32 s7, s7, 0xffff
	s_cmp_eq_u64 s[4:5], 0
	v_mad_u64_u32 v[1:2], null, s15, s7, v[0:1]
	s_cbranch_scc1 .LBB313_10
; %bb.1:
	s_load_b32 s0, s[0:1], 0x10
	s_waitcnt lgkmcnt(0)
	s_cmp_lt_u32 s0, s6
	s_cselect_b32 s1, s0, 0
	s_delay_alu instid0(VALU_DEP_1) | instid1(SALU_CYCLE_1)
	v_cmp_eq_u32_e32 vcc_lo, s1, v1
	s_mov_b32 s1, 0
	s_and_saveexec_b32 s7, vcc_lo
	s_cbranch_execz .LBB313_9
; %bb.2:
	s_add_i32 s0, s0, 32
	s_mov_b32 s8, exec_lo
	s_lshl_b64 s[0:1], s[0:1], 4
	v_mov_b32_e32 v6, 0
	s_add_u32 s0, s2, s0
	s_addc_u32 s1, s3, s1
	s_delay_alu instid0(SALU_CYCLE_1) | instskip(SKIP_2) | instid1(VALU_DEP_1)
	v_dual_mov_b32 v3, s1 :: v_dual_mov_b32 v2, s0
	;;#ASMSTART
	global_load_dwordx4 v[2:5], v[2:3] off glc	
s_waitcnt vmcnt(0)
	;;#ASMEND
	v_and_b32_e32 v5, 0xff, v4
	v_cmpx_eq_u64_e32 0, v[5:6]
	s_cbranch_execz .LBB313_8
; %bb.3:
	v_dual_mov_b32 v8, s1 :: v_dual_mov_b32 v7, s0
	s_mov_b32 s1, 1
	s_mov_b32 s0, 0
	.p2align	6
.LBB313_4:                              ; =>This Loop Header: Depth=1
                                        ;     Child Loop BB313_5 Depth 2
	s_max_u32 s9, s1, 1
.LBB313_5:                              ;   Parent Loop BB313_4 Depth=1
                                        ; =>  This Inner Loop Header: Depth=2
	s_delay_alu instid0(SALU_CYCLE_1)
	s_add_i32 s9, s9, -1
	s_sleep 1
	s_cmp_eq_u32 s9, 0
	s_cbranch_scc0 .LBB313_5
; %bb.6:                                ;   in Loop: Header=BB313_4 Depth=1
	;;#ASMSTART
	global_load_dwordx4 v[2:5], v[7:8] off glc	
s_waitcnt vmcnt(0)
	;;#ASMEND
	v_and_b32_e32 v5, 0xff, v4
	s_cmp_lt_u32 s1, 32
	s_cselect_b32 s9, -1, 0
	s_delay_alu instid0(SALU_CYCLE_1) | instskip(NEXT) | instid1(VALU_DEP_1)
	s_cmp_lg_u32 s9, 0
	v_cmp_ne_u64_e32 vcc_lo, 0, v[5:6]
	s_addc_u32 s1, s1, 0
	s_or_b32 s0, vcc_lo, s0
	s_delay_alu instid0(SALU_CYCLE_1)
	s_and_not1_b32 exec_lo, exec_lo, s0
	s_cbranch_execnz .LBB313_4
; %bb.7:
	s_or_b32 exec_lo, exec_lo, s0
.LBB313_8:
	s_delay_alu instid0(SALU_CYCLE_1)
	s_or_b32 exec_lo, exec_lo, s8
	v_mov_b32_e32 v0, 0
	global_store_b64 v0, v[2:3], s[4:5]
.LBB313_9:
	s_or_b32 exec_lo, exec_lo, s7
.LBB313_10:
	s_delay_alu instid0(SALU_CYCLE_1) | instskip(NEXT) | instid1(VALU_DEP_1)
	s_mov_b32 s0, exec_lo
	v_cmpx_gt_u32_e64 s6, v1
	s_cbranch_execz .LBB313_12
; %bb.11:
	v_dual_mov_b32 v3, 0 :: v_dual_add_nc_u32 v2, 32, v1
	s_delay_alu instid0(VALU_DEP_1) | instskip(SKIP_2) | instid1(VALU_DEP_3)
	v_lshlrev_b64 v[5:6], 4, v[2:3]
	v_mov_b32_e32 v2, v3
	v_mov_b32_e32 v4, v3
	v_add_co_u32 v7, vcc_lo, s2, v5
	s_delay_alu instid0(VALU_DEP_4)
	v_add_co_ci_u32_e32 v8, vcc_lo, s3, v6, vcc_lo
	v_mov_b32_e32 v5, v3
	global_store_b128 v[7:8], v[2:5], off
.LBB313_12:
	s_or_b32 exec_lo, exec_lo, s0
	s_delay_alu instid0(SALU_CYCLE_1)
	s_mov_b32 s0, exec_lo
	v_cmpx_gt_u32_e32 32, v1
	s_cbranch_execz .LBB313_14
; %bb.13:
	v_dual_mov_b32 v2, 0 :: v_dual_mov_b32 v3, 0xff
	s_delay_alu instid0(VALU_DEP_1) | instskip(SKIP_1) | instid1(VALU_DEP_2)
	v_lshlrev_b64 v[4:5], 4, v[1:2]
	v_mov_b32_e32 v1, v2
	v_add_co_u32 v6, vcc_lo, s2, v4
	s_delay_alu instid0(VALU_DEP_3)
	v_add_co_ci_u32_e32 v7, vcc_lo, s3, v5, vcc_lo
	v_mov_b32_e32 v4, v2
	global_store_b128 v[6:7], v[1:4], off
.LBB313_14:
	s_nop 0
	s_sendmsg sendmsg(MSG_DEALLOC_VGPRS)
	s_endpgm
	.section	.rodata,"a",@progbits
	.p2align	6, 0x0
	.amdhsa_kernel _ZN7rocprim17ROCPRIM_400000_NS6detail31init_lookback_scan_state_kernelINS1_19lookback_scan_stateIN3c107complexIfEELb1ELb1EEENS1_16block_id_wrapperIjLb0EEEEEvT_jT0_jPNSA_10value_typeE
		.amdhsa_group_segment_fixed_size 0
		.amdhsa_private_segment_fixed_size 0
		.amdhsa_kernarg_size 288
		.amdhsa_user_sgpr_count 15
		.amdhsa_user_sgpr_dispatch_ptr 0
		.amdhsa_user_sgpr_queue_ptr 0
		.amdhsa_user_sgpr_kernarg_segment_ptr 1
		.amdhsa_user_sgpr_dispatch_id 0
		.amdhsa_user_sgpr_private_segment_size 0
		.amdhsa_wavefront_size32 1
		.amdhsa_uses_dynamic_stack 0
		.amdhsa_enable_private_segment 0
		.amdhsa_system_sgpr_workgroup_id_x 1
		.amdhsa_system_sgpr_workgroup_id_y 0
		.amdhsa_system_sgpr_workgroup_id_z 0
		.amdhsa_system_sgpr_workgroup_info 0
		.amdhsa_system_vgpr_workitem_id 0
		.amdhsa_next_free_vgpr 9
		.amdhsa_next_free_sgpr 16
		.amdhsa_reserve_vcc 1
		.amdhsa_float_round_mode_32 0
		.amdhsa_float_round_mode_16_64 0
		.amdhsa_float_denorm_mode_32 3
		.amdhsa_float_denorm_mode_16_64 3
		.amdhsa_dx10_clamp 1
		.amdhsa_ieee_mode 1
		.amdhsa_fp16_overflow 0
		.amdhsa_workgroup_processor_mode 1
		.amdhsa_memory_ordered 1
		.amdhsa_forward_progress 0
		.amdhsa_shared_vgpr_count 0
		.amdhsa_exception_fp_ieee_invalid_op 0
		.amdhsa_exception_fp_denorm_src 0
		.amdhsa_exception_fp_ieee_div_zero 0
		.amdhsa_exception_fp_ieee_overflow 0
		.amdhsa_exception_fp_ieee_underflow 0
		.amdhsa_exception_fp_ieee_inexact 0
		.amdhsa_exception_int_div_zero 0
	.end_amdhsa_kernel
	.section	.text._ZN7rocprim17ROCPRIM_400000_NS6detail31init_lookback_scan_state_kernelINS1_19lookback_scan_stateIN3c107complexIfEELb1ELb1EEENS1_16block_id_wrapperIjLb0EEEEEvT_jT0_jPNSA_10value_typeE,"axG",@progbits,_ZN7rocprim17ROCPRIM_400000_NS6detail31init_lookback_scan_state_kernelINS1_19lookback_scan_stateIN3c107complexIfEELb1ELb1EEENS1_16block_id_wrapperIjLb0EEEEEvT_jT0_jPNSA_10value_typeE,comdat
.Lfunc_end313:
	.size	_ZN7rocprim17ROCPRIM_400000_NS6detail31init_lookback_scan_state_kernelINS1_19lookback_scan_stateIN3c107complexIfEELb1ELb1EEENS1_16block_id_wrapperIjLb0EEEEEvT_jT0_jPNSA_10value_typeE, .Lfunc_end313-_ZN7rocprim17ROCPRIM_400000_NS6detail31init_lookback_scan_state_kernelINS1_19lookback_scan_stateIN3c107complexIfEELb1ELb1EEENS1_16block_id_wrapperIjLb0EEEEEvT_jT0_jPNSA_10value_typeE
                                        ; -- End function
	.section	.AMDGPU.csdata,"",@progbits
; Kernel info:
; codeLenInByte = 516
; NumSgprs: 18
; NumVgprs: 9
; ScratchSize: 0
; MemoryBound: 0
; FloatMode: 240
; IeeeMode: 1
; LDSByteSize: 0 bytes/workgroup (compile time only)
; SGPRBlocks: 2
; VGPRBlocks: 1
; NumSGPRsForWavesPerEU: 18
; NumVGPRsForWavesPerEU: 9
; Occupancy: 16
; WaveLimiterHint : 0
; COMPUTE_PGM_RSRC2:SCRATCH_EN: 0
; COMPUTE_PGM_RSRC2:USER_SGPR: 15
; COMPUTE_PGM_RSRC2:TRAP_HANDLER: 0
; COMPUTE_PGM_RSRC2:TGID_X_EN: 1
; COMPUTE_PGM_RSRC2:TGID_Y_EN: 0
; COMPUTE_PGM_RSRC2:TGID_Z_EN: 0
; COMPUTE_PGM_RSRC2:TIDIG_COMP_CNT: 0
	.section	.text._ZN7rocprim17ROCPRIM_400000_NS6detail17trampoline_kernelINS0_14default_configENS1_20scan_config_selectorIN3c107complexIfEEEEZZNS1_9scan_implILNS1_25lookback_scan_determinismE0ELb0ELb0ES3_PKS7_PS7_S7_ZZZN2at6native31launch_logcumsumexp_cuda_kernelERKNSE_10TensorBaseESI_lENKUlvE_clEvENKUlvE2_clEvEUlS7_S7_E_S7_EEDaPvRmT3_T4_T5_mT6_P12ihipStream_tbENKUlT_T0_E_clISt17integral_constantIbLb1EESY_IbLb0EEEEDaSU_SV_EUlSU_E_NS1_11comp_targetILNS1_3genE0ELNS1_11target_archE4294967295ELNS1_3gpuE0ELNS1_3repE0EEENS1_30default_config_static_selectorELNS0_4arch9wavefront6targetE0EEEvT1_,"axG",@progbits,_ZN7rocprim17ROCPRIM_400000_NS6detail17trampoline_kernelINS0_14default_configENS1_20scan_config_selectorIN3c107complexIfEEEEZZNS1_9scan_implILNS1_25lookback_scan_determinismE0ELb0ELb0ES3_PKS7_PS7_S7_ZZZN2at6native31launch_logcumsumexp_cuda_kernelERKNSE_10TensorBaseESI_lENKUlvE_clEvENKUlvE2_clEvEUlS7_S7_E_S7_EEDaPvRmT3_T4_T5_mT6_P12ihipStream_tbENKUlT_T0_E_clISt17integral_constantIbLb1EESY_IbLb0EEEEDaSU_SV_EUlSU_E_NS1_11comp_targetILNS1_3genE0ELNS1_11target_archE4294967295ELNS1_3gpuE0ELNS1_3repE0EEENS1_30default_config_static_selectorELNS0_4arch9wavefront6targetE0EEEvT1_,comdat
	.globl	_ZN7rocprim17ROCPRIM_400000_NS6detail17trampoline_kernelINS0_14default_configENS1_20scan_config_selectorIN3c107complexIfEEEEZZNS1_9scan_implILNS1_25lookback_scan_determinismE0ELb0ELb0ES3_PKS7_PS7_S7_ZZZN2at6native31launch_logcumsumexp_cuda_kernelERKNSE_10TensorBaseESI_lENKUlvE_clEvENKUlvE2_clEvEUlS7_S7_E_S7_EEDaPvRmT3_T4_T5_mT6_P12ihipStream_tbENKUlT_T0_E_clISt17integral_constantIbLb1EESY_IbLb0EEEEDaSU_SV_EUlSU_E_NS1_11comp_targetILNS1_3genE0ELNS1_11target_archE4294967295ELNS1_3gpuE0ELNS1_3repE0EEENS1_30default_config_static_selectorELNS0_4arch9wavefront6targetE0EEEvT1_ ; -- Begin function _ZN7rocprim17ROCPRIM_400000_NS6detail17trampoline_kernelINS0_14default_configENS1_20scan_config_selectorIN3c107complexIfEEEEZZNS1_9scan_implILNS1_25lookback_scan_determinismE0ELb0ELb0ES3_PKS7_PS7_S7_ZZZN2at6native31launch_logcumsumexp_cuda_kernelERKNSE_10TensorBaseESI_lENKUlvE_clEvENKUlvE2_clEvEUlS7_S7_E_S7_EEDaPvRmT3_T4_T5_mT6_P12ihipStream_tbENKUlT_T0_E_clISt17integral_constantIbLb1EESY_IbLb0EEEEDaSU_SV_EUlSU_E_NS1_11comp_targetILNS1_3genE0ELNS1_11target_archE4294967295ELNS1_3gpuE0ELNS1_3repE0EEENS1_30default_config_static_selectorELNS0_4arch9wavefront6targetE0EEEvT1_
	.p2align	8
	.type	_ZN7rocprim17ROCPRIM_400000_NS6detail17trampoline_kernelINS0_14default_configENS1_20scan_config_selectorIN3c107complexIfEEEEZZNS1_9scan_implILNS1_25lookback_scan_determinismE0ELb0ELb0ES3_PKS7_PS7_S7_ZZZN2at6native31launch_logcumsumexp_cuda_kernelERKNSE_10TensorBaseESI_lENKUlvE_clEvENKUlvE2_clEvEUlS7_S7_E_S7_EEDaPvRmT3_T4_T5_mT6_P12ihipStream_tbENKUlT_T0_E_clISt17integral_constantIbLb1EESY_IbLb0EEEEDaSU_SV_EUlSU_E_NS1_11comp_targetILNS1_3genE0ELNS1_11target_archE4294967295ELNS1_3gpuE0ELNS1_3repE0EEENS1_30default_config_static_selectorELNS0_4arch9wavefront6targetE0EEEvT1_,@function
_ZN7rocprim17ROCPRIM_400000_NS6detail17trampoline_kernelINS0_14default_configENS1_20scan_config_selectorIN3c107complexIfEEEEZZNS1_9scan_implILNS1_25lookback_scan_determinismE0ELb0ELb0ES3_PKS7_PS7_S7_ZZZN2at6native31launch_logcumsumexp_cuda_kernelERKNSE_10TensorBaseESI_lENKUlvE_clEvENKUlvE2_clEvEUlS7_S7_E_S7_EEDaPvRmT3_T4_T5_mT6_P12ihipStream_tbENKUlT_T0_E_clISt17integral_constantIbLb1EESY_IbLb0EEEEDaSU_SV_EUlSU_E_NS1_11comp_targetILNS1_3genE0ELNS1_11target_archE4294967295ELNS1_3gpuE0ELNS1_3repE0EEENS1_30default_config_static_selectorELNS0_4arch9wavefront6targetE0EEEvT1_: ; @_ZN7rocprim17ROCPRIM_400000_NS6detail17trampoline_kernelINS0_14default_configENS1_20scan_config_selectorIN3c107complexIfEEEEZZNS1_9scan_implILNS1_25lookback_scan_determinismE0ELb0ELb0ES3_PKS7_PS7_S7_ZZZN2at6native31launch_logcumsumexp_cuda_kernelERKNSE_10TensorBaseESI_lENKUlvE_clEvENKUlvE2_clEvEUlS7_S7_E_S7_EEDaPvRmT3_T4_T5_mT6_P12ihipStream_tbENKUlT_T0_E_clISt17integral_constantIbLb1EESY_IbLb0EEEEDaSU_SV_EUlSU_E_NS1_11comp_targetILNS1_3genE0ELNS1_11target_archE4294967295ELNS1_3gpuE0ELNS1_3repE0EEENS1_30default_config_static_selectorELNS0_4arch9wavefront6targetE0EEEvT1_
; %bb.0:
	.section	.rodata,"a",@progbits
	.p2align	6, 0x0
	.amdhsa_kernel _ZN7rocprim17ROCPRIM_400000_NS6detail17trampoline_kernelINS0_14default_configENS1_20scan_config_selectorIN3c107complexIfEEEEZZNS1_9scan_implILNS1_25lookback_scan_determinismE0ELb0ELb0ES3_PKS7_PS7_S7_ZZZN2at6native31launch_logcumsumexp_cuda_kernelERKNSE_10TensorBaseESI_lENKUlvE_clEvENKUlvE2_clEvEUlS7_S7_E_S7_EEDaPvRmT3_T4_T5_mT6_P12ihipStream_tbENKUlT_T0_E_clISt17integral_constantIbLb1EESY_IbLb0EEEEDaSU_SV_EUlSU_E_NS1_11comp_targetILNS1_3genE0ELNS1_11target_archE4294967295ELNS1_3gpuE0ELNS1_3repE0EEENS1_30default_config_static_selectorELNS0_4arch9wavefront6targetE0EEEvT1_
		.amdhsa_group_segment_fixed_size 0
		.amdhsa_private_segment_fixed_size 0
		.amdhsa_kernarg_size 104
		.amdhsa_user_sgpr_count 15
		.amdhsa_user_sgpr_dispatch_ptr 0
		.amdhsa_user_sgpr_queue_ptr 0
		.amdhsa_user_sgpr_kernarg_segment_ptr 1
		.amdhsa_user_sgpr_dispatch_id 0
		.amdhsa_user_sgpr_private_segment_size 0
		.amdhsa_wavefront_size32 1
		.amdhsa_uses_dynamic_stack 0
		.amdhsa_enable_private_segment 0
		.amdhsa_system_sgpr_workgroup_id_x 1
		.amdhsa_system_sgpr_workgroup_id_y 0
		.amdhsa_system_sgpr_workgroup_id_z 0
		.amdhsa_system_sgpr_workgroup_info 0
		.amdhsa_system_vgpr_workitem_id 0
		.amdhsa_next_free_vgpr 1
		.amdhsa_next_free_sgpr 1
		.amdhsa_reserve_vcc 0
		.amdhsa_float_round_mode_32 0
		.amdhsa_float_round_mode_16_64 0
		.amdhsa_float_denorm_mode_32 3
		.amdhsa_float_denorm_mode_16_64 3
		.amdhsa_dx10_clamp 1
		.amdhsa_ieee_mode 1
		.amdhsa_fp16_overflow 0
		.amdhsa_workgroup_processor_mode 1
		.amdhsa_memory_ordered 1
		.amdhsa_forward_progress 0
		.amdhsa_shared_vgpr_count 0
		.amdhsa_exception_fp_ieee_invalid_op 0
		.amdhsa_exception_fp_denorm_src 0
		.amdhsa_exception_fp_ieee_div_zero 0
		.amdhsa_exception_fp_ieee_overflow 0
		.amdhsa_exception_fp_ieee_underflow 0
		.amdhsa_exception_fp_ieee_inexact 0
		.amdhsa_exception_int_div_zero 0
	.end_amdhsa_kernel
	.section	.text._ZN7rocprim17ROCPRIM_400000_NS6detail17trampoline_kernelINS0_14default_configENS1_20scan_config_selectorIN3c107complexIfEEEEZZNS1_9scan_implILNS1_25lookback_scan_determinismE0ELb0ELb0ES3_PKS7_PS7_S7_ZZZN2at6native31launch_logcumsumexp_cuda_kernelERKNSE_10TensorBaseESI_lENKUlvE_clEvENKUlvE2_clEvEUlS7_S7_E_S7_EEDaPvRmT3_T4_T5_mT6_P12ihipStream_tbENKUlT_T0_E_clISt17integral_constantIbLb1EESY_IbLb0EEEEDaSU_SV_EUlSU_E_NS1_11comp_targetILNS1_3genE0ELNS1_11target_archE4294967295ELNS1_3gpuE0ELNS1_3repE0EEENS1_30default_config_static_selectorELNS0_4arch9wavefront6targetE0EEEvT1_,"axG",@progbits,_ZN7rocprim17ROCPRIM_400000_NS6detail17trampoline_kernelINS0_14default_configENS1_20scan_config_selectorIN3c107complexIfEEEEZZNS1_9scan_implILNS1_25lookback_scan_determinismE0ELb0ELb0ES3_PKS7_PS7_S7_ZZZN2at6native31launch_logcumsumexp_cuda_kernelERKNSE_10TensorBaseESI_lENKUlvE_clEvENKUlvE2_clEvEUlS7_S7_E_S7_EEDaPvRmT3_T4_T5_mT6_P12ihipStream_tbENKUlT_T0_E_clISt17integral_constantIbLb1EESY_IbLb0EEEEDaSU_SV_EUlSU_E_NS1_11comp_targetILNS1_3genE0ELNS1_11target_archE4294967295ELNS1_3gpuE0ELNS1_3repE0EEENS1_30default_config_static_selectorELNS0_4arch9wavefront6targetE0EEEvT1_,comdat
.Lfunc_end314:
	.size	_ZN7rocprim17ROCPRIM_400000_NS6detail17trampoline_kernelINS0_14default_configENS1_20scan_config_selectorIN3c107complexIfEEEEZZNS1_9scan_implILNS1_25lookback_scan_determinismE0ELb0ELb0ES3_PKS7_PS7_S7_ZZZN2at6native31launch_logcumsumexp_cuda_kernelERKNSE_10TensorBaseESI_lENKUlvE_clEvENKUlvE2_clEvEUlS7_S7_E_S7_EEDaPvRmT3_T4_T5_mT6_P12ihipStream_tbENKUlT_T0_E_clISt17integral_constantIbLb1EESY_IbLb0EEEEDaSU_SV_EUlSU_E_NS1_11comp_targetILNS1_3genE0ELNS1_11target_archE4294967295ELNS1_3gpuE0ELNS1_3repE0EEENS1_30default_config_static_selectorELNS0_4arch9wavefront6targetE0EEEvT1_, .Lfunc_end314-_ZN7rocprim17ROCPRIM_400000_NS6detail17trampoline_kernelINS0_14default_configENS1_20scan_config_selectorIN3c107complexIfEEEEZZNS1_9scan_implILNS1_25lookback_scan_determinismE0ELb0ELb0ES3_PKS7_PS7_S7_ZZZN2at6native31launch_logcumsumexp_cuda_kernelERKNSE_10TensorBaseESI_lENKUlvE_clEvENKUlvE2_clEvEUlS7_S7_E_S7_EEDaPvRmT3_T4_T5_mT6_P12ihipStream_tbENKUlT_T0_E_clISt17integral_constantIbLb1EESY_IbLb0EEEEDaSU_SV_EUlSU_E_NS1_11comp_targetILNS1_3genE0ELNS1_11target_archE4294967295ELNS1_3gpuE0ELNS1_3repE0EEENS1_30default_config_static_selectorELNS0_4arch9wavefront6targetE0EEEvT1_
                                        ; -- End function
	.section	.AMDGPU.csdata,"",@progbits
; Kernel info:
; codeLenInByte = 0
; NumSgprs: 0
; NumVgprs: 0
; ScratchSize: 0
; MemoryBound: 0
; FloatMode: 240
; IeeeMode: 1
; LDSByteSize: 0 bytes/workgroup (compile time only)
; SGPRBlocks: 0
; VGPRBlocks: 0
; NumSGPRsForWavesPerEU: 1
; NumVGPRsForWavesPerEU: 1
; Occupancy: 16
; WaveLimiterHint : 0
; COMPUTE_PGM_RSRC2:SCRATCH_EN: 0
; COMPUTE_PGM_RSRC2:USER_SGPR: 15
; COMPUTE_PGM_RSRC2:TRAP_HANDLER: 0
; COMPUTE_PGM_RSRC2:TGID_X_EN: 1
; COMPUTE_PGM_RSRC2:TGID_Y_EN: 0
; COMPUTE_PGM_RSRC2:TGID_Z_EN: 0
; COMPUTE_PGM_RSRC2:TIDIG_COMP_CNT: 0
	.section	.text._ZN7rocprim17ROCPRIM_400000_NS6detail17trampoline_kernelINS0_14default_configENS1_20scan_config_selectorIN3c107complexIfEEEEZZNS1_9scan_implILNS1_25lookback_scan_determinismE0ELb0ELb0ES3_PKS7_PS7_S7_ZZZN2at6native31launch_logcumsumexp_cuda_kernelERKNSE_10TensorBaseESI_lENKUlvE_clEvENKUlvE2_clEvEUlS7_S7_E_S7_EEDaPvRmT3_T4_T5_mT6_P12ihipStream_tbENKUlT_T0_E_clISt17integral_constantIbLb1EESY_IbLb0EEEEDaSU_SV_EUlSU_E_NS1_11comp_targetILNS1_3genE5ELNS1_11target_archE942ELNS1_3gpuE9ELNS1_3repE0EEENS1_30default_config_static_selectorELNS0_4arch9wavefront6targetE0EEEvT1_,"axG",@progbits,_ZN7rocprim17ROCPRIM_400000_NS6detail17trampoline_kernelINS0_14default_configENS1_20scan_config_selectorIN3c107complexIfEEEEZZNS1_9scan_implILNS1_25lookback_scan_determinismE0ELb0ELb0ES3_PKS7_PS7_S7_ZZZN2at6native31launch_logcumsumexp_cuda_kernelERKNSE_10TensorBaseESI_lENKUlvE_clEvENKUlvE2_clEvEUlS7_S7_E_S7_EEDaPvRmT3_T4_T5_mT6_P12ihipStream_tbENKUlT_T0_E_clISt17integral_constantIbLb1EESY_IbLb0EEEEDaSU_SV_EUlSU_E_NS1_11comp_targetILNS1_3genE5ELNS1_11target_archE942ELNS1_3gpuE9ELNS1_3repE0EEENS1_30default_config_static_selectorELNS0_4arch9wavefront6targetE0EEEvT1_,comdat
	.globl	_ZN7rocprim17ROCPRIM_400000_NS6detail17trampoline_kernelINS0_14default_configENS1_20scan_config_selectorIN3c107complexIfEEEEZZNS1_9scan_implILNS1_25lookback_scan_determinismE0ELb0ELb0ES3_PKS7_PS7_S7_ZZZN2at6native31launch_logcumsumexp_cuda_kernelERKNSE_10TensorBaseESI_lENKUlvE_clEvENKUlvE2_clEvEUlS7_S7_E_S7_EEDaPvRmT3_T4_T5_mT6_P12ihipStream_tbENKUlT_T0_E_clISt17integral_constantIbLb1EESY_IbLb0EEEEDaSU_SV_EUlSU_E_NS1_11comp_targetILNS1_3genE5ELNS1_11target_archE942ELNS1_3gpuE9ELNS1_3repE0EEENS1_30default_config_static_selectorELNS0_4arch9wavefront6targetE0EEEvT1_ ; -- Begin function _ZN7rocprim17ROCPRIM_400000_NS6detail17trampoline_kernelINS0_14default_configENS1_20scan_config_selectorIN3c107complexIfEEEEZZNS1_9scan_implILNS1_25lookback_scan_determinismE0ELb0ELb0ES3_PKS7_PS7_S7_ZZZN2at6native31launch_logcumsumexp_cuda_kernelERKNSE_10TensorBaseESI_lENKUlvE_clEvENKUlvE2_clEvEUlS7_S7_E_S7_EEDaPvRmT3_T4_T5_mT6_P12ihipStream_tbENKUlT_T0_E_clISt17integral_constantIbLb1EESY_IbLb0EEEEDaSU_SV_EUlSU_E_NS1_11comp_targetILNS1_3genE5ELNS1_11target_archE942ELNS1_3gpuE9ELNS1_3repE0EEENS1_30default_config_static_selectorELNS0_4arch9wavefront6targetE0EEEvT1_
	.p2align	8
	.type	_ZN7rocprim17ROCPRIM_400000_NS6detail17trampoline_kernelINS0_14default_configENS1_20scan_config_selectorIN3c107complexIfEEEEZZNS1_9scan_implILNS1_25lookback_scan_determinismE0ELb0ELb0ES3_PKS7_PS7_S7_ZZZN2at6native31launch_logcumsumexp_cuda_kernelERKNSE_10TensorBaseESI_lENKUlvE_clEvENKUlvE2_clEvEUlS7_S7_E_S7_EEDaPvRmT3_T4_T5_mT6_P12ihipStream_tbENKUlT_T0_E_clISt17integral_constantIbLb1EESY_IbLb0EEEEDaSU_SV_EUlSU_E_NS1_11comp_targetILNS1_3genE5ELNS1_11target_archE942ELNS1_3gpuE9ELNS1_3repE0EEENS1_30default_config_static_selectorELNS0_4arch9wavefront6targetE0EEEvT1_,@function
_ZN7rocprim17ROCPRIM_400000_NS6detail17trampoline_kernelINS0_14default_configENS1_20scan_config_selectorIN3c107complexIfEEEEZZNS1_9scan_implILNS1_25lookback_scan_determinismE0ELb0ELb0ES3_PKS7_PS7_S7_ZZZN2at6native31launch_logcumsumexp_cuda_kernelERKNSE_10TensorBaseESI_lENKUlvE_clEvENKUlvE2_clEvEUlS7_S7_E_S7_EEDaPvRmT3_T4_T5_mT6_P12ihipStream_tbENKUlT_T0_E_clISt17integral_constantIbLb1EESY_IbLb0EEEEDaSU_SV_EUlSU_E_NS1_11comp_targetILNS1_3genE5ELNS1_11target_archE942ELNS1_3gpuE9ELNS1_3repE0EEENS1_30default_config_static_selectorELNS0_4arch9wavefront6targetE0EEEvT1_: ; @_ZN7rocprim17ROCPRIM_400000_NS6detail17trampoline_kernelINS0_14default_configENS1_20scan_config_selectorIN3c107complexIfEEEEZZNS1_9scan_implILNS1_25lookback_scan_determinismE0ELb0ELb0ES3_PKS7_PS7_S7_ZZZN2at6native31launch_logcumsumexp_cuda_kernelERKNSE_10TensorBaseESI_lENKUlvE_clEvENKUlvE2_clEvEUlS7_S7_E_S7_EEDaPvRmT3_T4_T5_mT6_P12ihipStream_tbENKUlT_T0_E_clISt17integral_constantIbLb1EESY_IbLb0EEEEDaSU_SV_EUlSU_E_NS1_11comp_targetILNS1_3genE5ELNS1_11target_archE942ELNS1_3gpuE9ELNS1_3repE0EEENS1_30default_config_static_selectorELNS0_4arch9wavefront6targetE0EEEvT1_
; %bb.0:
	.section	.rodata,"a",@progbits
	.p2align	6, 0x0
	.amdhsa_kernel _ZN7rocprim17ROCPRIM_400000_NS6detail17trampoline_kernelINS0_14default_configENS1_20scan_config_selectorIN3c107complexIfEEEEZZNS1_9scan_implILNS1_25lookback_scan_determinismE0ELb0ELb0ES3_PKS7_PS7_S7_ZZZN2at6native31launch_logcumsumexp_cuda_kernelERKNSE_10TensorBaseESI_lENKUlvE_clEvENKUlvE2_clEvEUlS7_S7_E_S7_EEDaPvRmT3_T4_T5_mT6_P12ihipStream_tbENKUlT_T0_E_clISt17integral_constantIbLb1EESY_IbLb0EEEEDaSU_SV_EUlSU_E_NS1_11comp_targetILNS1_3genE5ELNS1_11target_archE942ELNS1_3gpuE9ELNS1_3repE0EEENS1_30default_config_static_selectorELNS0_4arch9wavefront6targetE0EEEvT1_
		.amdhsa_group_segment_fixed_size 0
		.amdhsa_private_segment_fixed_size 0
		.amdhsa_kernarg_size 104
		.amdhsa_user_sgpr_count 15
		.amdhsa_user_sgpr_dispatch_ptr 0
		.amdhsa_user_sgpr_queue_ptr 0
		.amdhsa_user_sgpr_kernarg_segment_ptr 1
		.amdhsa_user_sgpr_dispatch_id 0
		.amdhsa_user_sgpr_private_segment_size 0
		.amdhsa_wavefront_size32 1
		.amdhsa_uses_dynamic_stack 0
		.amdhsa_enable_private_segment 0
		.amdhsa_system_sgpr_workgroup_id_x 1
		.amdhsa_system_sgpr_workgroup_id_y 0
		.amdhsa_system_sgpr_workgroup_id_z 0
		.amdhsa_system_sgpr_workgroup_info 0
		.amdhsa_system_vgpr_workitem_id 0
		.amdhsa_next_free_vgpr 1
		.amdhsa_next_free_sgpr 1
		.amdhsa_reserve_vcc 0
		.amdhsa_float_round_mode_32 0
		.amdhsa_float_round_mode_16_64 0
		.amdhsa_float_denorm_mode_32 3
		.amdhsa_float_denorm_mode_16_64 3
		.amdhsa_dx10_clamp 1
		.amdhsa_ieee_mode 1
		.amdhsa_fp16_overflow 0
		.amdhsa_workgroup_processor_mode 1
		.amdhsa_memory_ordered 1
		.amdhsa_forward_progress 0
		.amdhsa_shared_vgpr_count 0
		.amdhsa_exception_fp_ieee_invalid_op 0
		.amdhsa_exception_fp_denorm_src 0
		.amdhsa_exception_fp_ieee_div_zero 0
		.amdhsa_exception_fp_ieee_overflow 0
		.amdhsa_exception_fp_ieee_underflow 0
		.amdhsa_exception_fp_ieee_inexact 0
		.amdhsa_exception_int_div_zero 0
	.end_amdhsa_kernel
	.section	.text._ZN7rocprim17ROCPRIM_400000_NS6detail17trampoline_kernelINS0_14default_configENS1_20scan_config_selectorIN3c107complexIfEEEEZZNS1_9scan_implILNS1_25lookback_scan_determinismE0ELb0ELb0ES3_PKS7_PS7_S7_ZZZN2at6native31launch_logcumsumexp_cuda_kernelERKNSE_10TensorBaseESI_lENKUlvE_clEvENKUlvE2_clEvEUlS7_S7_E_S7_EEDaPvRmT3_T4_T5_mT6_P12ihipStream_tbENKUlT_T0_E_clISt17integral_constantIbLb1EESY_IbLb0EEEEDaSU_SV_EUlSU_E_NS1_11comp_targetILNS1_3genE5ELNS1_11target_archE942ELNS1_3gpuE9ELNS1_3repE0EEENS1_30default_config_static_selectorELNS0_4arch9wavefront6targetE0EEEvT1_,"axG",@progbits,_ZN7rocprim17ROCPRIM_400000_NS6detail17trampoline_kernelINS0_14default_configENS1_20scan_config_selectorIN3c107complexIfEEEEZZNS1_9scan_implILNS1_25lookback_scan_determinismE0ELb0ELb0ES3_PKS7_PS7_S7_ZZZN2at6native31launch_logcumsumexp_cuda_kernelERKNSE_10TensorBaseESI_lENKUlvE_clEvENKUlvE2_clEvEUlS7_S7_E_S7_EEDaPvRmT3_T4_T5_mT6_P12ihipStream_tbENKUlT_T0_E_clISt17integral_constantIbLb1EESY_IbLb0EEEEDaSU_SV_EUlSU_E_NS1_11comp_targetILNS1_3genE5ELNS1_11target_archE942ELNS1_3gpuE9ELNS1_3repE0EEENS1_30default_config_static_selectorELNS0_4arch9wavefront6targetE0EEEvT1_,comdat
.Lfunc_end315:
	.size	_ZN7rocprim17ROCPRIM_400000_NS6detail17trampoline_kernelINS0_14default_configENS1_20scan_config_selectorIN3c107complexIfEEEEZZNS1_9scan_implILNS1_25lookback_scan_determinismE0ELb0ELb0ES3_PKS7_PS7_S7_ZZZN2at6native31launch_logcumsumexp_cuda_kernelERKNSE_10TensorBaseESI_lENKUlvE_clEvENKUlvE2_clEvEUlS7_S7_E_S7_EEDaPvRmT3_T4_T5_mT6_P12ihipStream_tbENKUlT_T0_E_clISt17integral_constantIbLb1EESY_IbLb0EEEEDaSU_SV_EUlSU_E_NS1_11comp_targetILNS1_3genE5ELNS1_11target_archE942ELNS1_3gpuE9ELNS1_3repE0EEENS1_30default_config_static_selectorELNS0_4arch9wavefront6targetE0EEEvT1_, .Lfunc_end315-_ZN7rocprim17ROCPRIM_400000_NS6detail17trampoline_kernelINS0_14default_configENS1_20scan_config_selectorIN3c107complexIfEEEEZZNS1_9scan_implILNS1_25lookback_scan_determinismE0ELb0ELb0ES3_PKS7_PS7_S7_ZZZN2at6native31launch_logcumsumexp_cuda_kernelERKNSE_10TensorBaseESI_lENKUlvE_clEvENKUlvE2_clEvEUlS7_S7_E_S7_EEDaPvRmT3_T4_T5_mT6_P12ihipStream_tbENKUlT_T0_E_clISt17integral_constantIbLb1EESY_IbLb0EEEEDaSU_SV_EUlSU_E_NS1_11comp_targetILNS1_3genE5ELNS1_11target_archE942ELNS1_3gpuE9ELNS1_3repE0EEENS1_30default_config_static_selectorELNS0_4arch9wavefront6targetE0EEEvT1_
                                        ; -- End function
	.section	.AMDGPU.csdata,"",@progbits
; Kernel info:
; codeLenInByte = 0
; NumSgprs: 0
; NumVgprs: 0
; ScratchSize: 0
; MemoryBound: 0
; FloatMode: 240
; IeeeMode: 1
; LDSByteSize: 0 bytes/workgroup (compile time only)
; SGPRBlocks: 0
; VGPRBlocks: 0
; NumSGPRsForWavesPerEU: 1
; NumVGPRsForWavesPerEU: 1
; Occupancy: 16
; WaveLimiterHint : 0
; COMPUTE_PGM_RSRC2:SCRATCH_EN: 0
; COMPUTE_PGM_RSRC2:USER_SGPR: 15
; COMPUTE_PGM_RSRC2:TRAP_HANDLER: 0
; COMPUTE_PGM_RSRC2:TGID_X_EN: 1
; COMPUTE_PGM_RSRC2:TGID_Y_EN: 0
; COMPUTE_PGM_RSRC2:TGID_Z_EN: 0
; COMPUTE_PGM_RSRC2:TIDIG_COMP_CNT: 0
	.section	.text._ZN7rocprim17ROCPRIM_400000_NS6detail17trampoline_kernelINS0_14default_configENS1_20scan_config_selectorIN3c107complexIfEEEEZZNS1_9scan_implILNS1_25lookback_scan_determinismE0ELb0ELb0ES3_PKS7_PS7_S7_ZZZN2at6native31launch_logcumsumexp_cuda_kernelERKNSE_10TensorBaseESI_lENKUlvE_clEvENKUlvE2_clEvEUlS7_S7_E_S7_EEDaPvRmT3_T4_T5_mT6_P12ihipStream_tbENKUlT_T0_E_clISt17integral_constantIbLb1EESY_IbLb0EEEEDaSU_SV_EUlSU_E_NS1_11comp_targetILNS1_3genE4ELNS1_11target_archE910ELNS1_3gpuE8ELNS1_3repE0EEENS1_30default_config_static_selectorELNS0_4arch9wavefront6targetE0EEEvT1_,"axG",@progbits,_ZN7rocprim17ROCPRIM_400000_NS6detail17trampoline_kernelINS0_14default_configENS1_20scan_config_selectorIN3c107complexIfEEEEZZNS1_9scan_implILNS1_25lookback_scan_determinismE0ELb0ELb0ES3_PKS7_PS7_S7_ZZZN2at6native31launch_logcumsumexp_cuda_kernelERKNSE_10TensorBaseESI_lENKUlvE_clEvENKUlvE2_clEvEUlS7_S7_E_S7_EEDaPvRmT3_T4_T5_mT6_P12ihipStream_tbENKUlT_T0_E_clISt17integral_constantIbLb1EESY_IbLb0EEEEDaSU_SV_EUlSU_E_NS1_11comp_targetILNS1_3genE4ELNS1_11target_archE910ELNS1_3gpuE8ELNS1_3repE0EEENS1_30default_config_static_selectorELNS0_4arch9wavefront6targetE0EEEvT1_,comdat
	.globl	_ZN7rocprim17ROCPRIM_400000_NS6detail17trampoline_kernelINS0_14default_configENS1_20scan_config_selectorIN3c107complexIfEEEEZZNS1_9scan_implILNS1_25lookback_scan_determinismE0ELb0ELb0ES3_PKS7_PS7_S7_ZZZN2at6native31launch_logcumsumexp_cuda_kernelERKNSE_10TensorBaseESI_lENKUlvE_clEvENKUlvE2_clEvEUlS7_S7_E_S7_EEDaPvRmT3_T4_T5_mT6_P12ihipStream_tbENKUlT_T0_E_clISt17integral_constantIbLb1EESY_IbLb0EEEEDaSU_SV_EUlSU_E_NS1_11comp_targetILNS1_3genE4ELNS1_11target_archE910ELNS1_3gpuE8ELNS1_3repE0EEENS1_30default_config_static_selectorELNS0_4arch9wavefront6targetE0EEEvT1_ ; -- Begin function _ZN7rocprim17ROCPRIM_400000_NS6detail17trampoline_kernelINS0_14default_configENS1_20scan_config_selectorIN3c107complexIfEEEEZZNS1_9scan_implILNS1_25lookback_scan_determinismE0ELb0ELb0ES3_PKS7_PS7_S7_ZZZN2at6native31launch_logcumsumexp_cuda_kernelERKNSE_10TensorBaseESI_lENKUlvE_clEvENKUlvE2_clEvEUlS7_S7_E_S7_EEDaPvRmT3_T4_T5_mT6_P12ihipStream_tbENKUlT_T0_E_clISt17integral_constantIbLb1EESY_IbLb0EEEEDaSU_SV_EUlSU_E_NS1_11comp_targetILNS1_3genE4ELNS1_11target_archE910ELNS1_3gpuE8ELNS1_3repE0EEENS1_30default_config_static_selectorELNS0_4arch9wavefront6targetE0EEEvT1_
	.p2align	8
	.type	_ZN7rocprim17ROCPRIM_400000_NS6detail17trampoline_kernelINS0_14default_configENS1_20scan_config_selectorIN3c107complexIfEEEEZZNS1_9scan_implILNS1_25lookback_scan_determinismE0ELb0ELb0ES3_PKS7_PS7_S7_ZZZN2at6native31launch_logcumsumexp_cuda_kernelERKNSE_10TensorBaseESI_lENKUlvE_clEvENKUlvE2_clEvEUlS7_S7_E_S7_EEDaPvRmT3_T4_T5_mT6_P12ihipStream_tbENKUlT_T0_E_clISt17integral_constantIbLb1EESY_IbLb0EEEEDaSU_SV_EUlSU_E_NS1_11comp_targetILNS1_3genE4ELNS1_11target_archE910ELNS1_3gpuE8ELNS1_3repE0EEENS1_30default_config_static_selectorELNS0_4arch9wavefront6targetE0EEEvT1_,@function
_ZN7rocprim17ROCPRIM_400000_NS6detail17trampoline_kernelINS0_14default_configENS1_20scan_config_selectorIN3c107complexIfEEEEZZNS1_9scan_implILNS1_25lookback_scan_determinismE0ELb0ELb0ES3_PKS7_PS7_S7_ZZZN2at6native31launch_logcumsumexp_cuda_kernelERKNSE_10TensorBaseESI_lENKUlvE_clEvENKUlvE2_clEvEUlS7_S7_E_S7_EEDaPvRmT3_T4_T5_mT6_P12ihipStream_tbENKUlT_T0_E_clISt17integral_constantIbLb1EESY_IbLb0EEEEDaSU_SV_EUlSU_E_NS1_11comp_targetILNS1_3genE4ELNS1_11target_archE910ELNS1_3gpuE8ELNS1_3repE0EEENS1_30default_config_static_selectorELNS0_4arch9wavefront6targetE0EEEvT1_: ; @_ZN7rocprim17ROCPRIM_400000_NS6detail17trampoline_kernelINS0_14default_configENS1_20scan_config_selectorIN3c107complexIfEEEEZZNS1_9scan_implILNS1_25lookback_scan_determinismE0ELb0ELb0ES3_PKS7_PS7_S7_ZZZN2at6native31launch_logcumsumexp_cuda_kernelERKNSE_10TensorBaseESI_lENKUlvE_clEvENKUlvE2_clEvEUlS7_S7_E_S7_EEDaPvRmT3_T4_T5_mT6_P12ihipStream_tbENKUlT_T0_E_clISt17integral_constantIbLb1EESY_IbLb0EEEEDaSU_SV_EUlSU_E_NS1_11comp_targetILNS1_3genE4ELNS1_11target_archE910ELNS1_3gpuE8ELNS1_3repE0EEENS1_30default_config_static_selectorELNS0_4arch9wavefront6targetE0EEEvT1_
; %bb.0:
	.section	.rodata,"a",@progbits
	.p2align	6, 0x0
	.amdhsa_kernel _ZN7rocprim17ROCPRIM_400000_NS6detail17trampoline_kernelINS0_14default_configENS1_20scan_config_selectorIN3c107complexIfEEEEZZNS1_9scan_implILNS1_25lookback_scan_determinismE0ELb0ELb0ES3_PKS7_PS7_S7_ZZZN2at6native31launch_logcumsumexp_cuda_kernelERKNSE_10TensorBaseESI_lENKUlvE_clEvENKUlvE2_clEvEUlS7_S7_E_S7_EEDaPvRmT3_T4_T5_mT6_P12ihipStream_tbENKUlT_T0_E_clISt17integral_constantIbLb1EESY_IbLb0EEEEDaSU_SV_EUlSU_E_NS1_11comp_targetILNS1_3genE4ELNS1_11target_archE910ELNS1_3gpuE8ELNS1_3repE0EEENS1_30default_config_static_selectorELNS0_4arch9wavefront6targetE0EEEvT1_
		.amdhsa_group_segment_fixed_size 0
		.amdhsa_private_segment_fixed_size 0
		.amdhsa_kernarg_size 104
		.amdhsa_user_sgpr_count 15
		.amdhsa_user_sgpr_dispatch_ptr 0
		.amdhsa_user_sgpr_queue_ptr 0
		.amdhsa_user_sgpr_kernarg_segment_ptr 1
		.amdhsa_user_sgpr_dispatch_id 0
		.amdhsa_user_sgpr_private_segment_size 0
		.amdhsa_wavefront_size32 1
		.amdhsa_uses_dynamic_stack 0
		.amdhsa_enable_private_segment 0
		.amdhsa_system_sgpr_workgroup_id_x 1
		.amdhsa_system_sgpr_workgroup_id_y 0
		.amdhsa_system_sgpr_workgroup_id_z 0
		.amdhsa_system_sgpr_workgroup_info 0
		.amdhsa_system_vgpr_workitem_id 0
		.amdhsa_next_free_vgpr 1
		.amdhsa_next_free_sgpr 1
		.amdhsa_reserve_vcc 0
		.amdhsa_float_round_mode_32 0
		.amdhsa_float_round_mode_16_64 0
		.amdhsa_float_denorm_mode_32 3
		.amdhsa_float_denorm_mode_16_64 3
		.amdhsa_dx10_clamp 1
		.amdhsa_ieee_mode 1
		.amdhsa_fp16_overflow 0
		.amdhsa_workgroup_processor_mode 1
		.amdhsa_memory_ordered 1
		.amdhsa_forward_progress 0
		.amdhsa_shared_vgpr_count 0
		.amdhsa_exception_fp_ieee_invalid_op 0
		.amdhsa_exception_fp_denorm_src 0
		.amdhsa_exception_fp_ieee_div_zero 0
		.amdhsa_exception_fp_ieee_overflow 0
		.amdhsa_exception_fp_ieee_underflow 0
		.amdhsa_exception_fp_ieee_inexact 0
		.amdhsa_exception_int_div_zero 0
	.end_amdhsa_kernel
	.section	.text._ZN7rocprim17ROCPRIM_400000_NS6detail17trampoline_kernelINS0_14default_configENS1_20scan_config_selectorIN3c107complexIfEEEEZZNS1_9scan_implILNS1_25lookback_scan_determinismE0ELb0ELb0ES3_PKS7_PS7_S7_ZZZN2at6native31launch_logcumsumexp_cuda_kernelERKNSE_10TensorBaseESI_lENKUlvE_clEvENKUlvE2_clEvEUlS7_S7_E_S7_EEDaPvRmT3_T4_T5_mT6_P12ihipStream_tbENKUlT_T0_E_clISt17integral_constantIbLb1EESY_IbLb0EEEEDaSU_SV_EUlSU_E_NS1_11comp_targetILNS1_3genE4ELNS1_11target_archE910ELNS1_3gpuE8ELNS1_3repE0EEENS1_30default_config_static_selectorELNS0_4arch9wavefront6targetE0EEEvT1_,"axG",@progbits,_ZN7rocprim17ROCPRIM_400000_NS6detail17trampoline_kernelINS0_14default_configENS1_20scan_config_selectorIN3c107complexIfEEEEZZNS1_9scan_implILNS1_25lookback_scan_determinismE0ELb0ELb0ES3_PKS7_PS7_S7_ZZZN2at6native31launch_logcumsumexp_cuda_kernelERKNSE_10TensorBaseESI_lENKUlvE_clEvENKUlvE2_clEvEUlS7_S7_E_S7_EEDaPvRmT3_T4_T5_mT6_P12ihipStream_tbENKUlT_T0_E_clISt17integral_constantIbLb1EESY_IbLb0EEEEDaSU_SV_EUlSU_E_NS1_11comp_targetILNS1_3genE4ELNS1_11target_archE910ELNS1_3gpuE8ELNS1_3repE0EEENS1_30default_config_static_selectorELNS0_4arch9wavefront6targetE0EEEvT1_,comdat
.Lfunc_end316:
	.size	_ZN7rocprim17ROCPRIM_400000_NS6detail17trampoline_kernelINS0_14default_configENS1_20scan_config_selectorIN3c107complexIfEEEEZZNS1_9scan_implILNS1_25lookback_scan_determinismE0ELb0ELb0ES3_PKS7_PS7_S7_ZZZN2at6native31launch_logcumsumexp_cuda_kernelERKNSE_10TensorBaseESI_lENKUlvE_clEvENKUlvE2_clEvEUlS7_S7_E_S7_EEDaPvRmT3_T4_T5_mT6_P12ihipStream_tbENKUlT_T0_E_clISt17integral_constantIbLb1EESY_IbLb0EEEEDaSU_SV_EUlSU_E_NS1_11comp_targetILNS1_3genE4ELNS1_11target_archE910ELNS1_3gpuE8ELNS1_3repE0EEENS1_30default_config_static_selectorELNS0_4arch9wavefront6targetE0EEEvT1_, .Lfunc_end316-_ZN7rocprim17ROCPRIM_400000_NS6detail17trampoline_kernelINS0_14default_configENS1_20scan_config_selectorIN3c107complexIfEEEEZZNS1_9scan_implILNS1_25lookback_scan_determinismE0ELb0ELb0ES3_PKS7_PS7_S7_ZZZN2at6native31launch_logcumsumexp_cuda_kernelERKNSE_10TensorBaseESI_lENKUlvE_clEvENKUlvE2_clEvEUlS7_S7_E_S7_EEDaPvRmT3_T4_T5_mT6_P12ihipStream_tbENKUlT_T0_E_clISt17integral_constantIbLb1EESY_IbLb0EEEEDaSU_SV_EUlSU_E_NS1_11comp_targetILNS1_3genE4ELNS1_11target_archE910ELNS1_3gpuE8ELNS1_3repE0EEENS1_30default_config_static_selectorELNS0_4arch9wavefront6targetE0EEEvT1_
                                        ; -- End function
	.section	.AMDGPU.csdata,"",@progbits
; Kernel info:
; codeLenInByte = 0
; NumSgprs: 0
; NumVgprs: 0
; ScratchSize: 0
; MemoryBound: 0
; FloatMode: 240
; IeeeMode: 1
; LDSByteSize: 0 bytes/workgroup (compile time only)
; SGPRBlocks: 0
; VGPRBlocks: 0
; NumSGPRsForWavesPerEU: 1
; NumVGPRsForWavesPerEU: 1
; Occupancy: 16
; WaveLimiterHint : 0
; COMPUTE_PGM_RSRC2:SCRATCH_EN: 0
; COMPUTE_PGM_RSRC2:USER_SGPR: 15
; COMPUTE_PGM_RSRC2:TRAP_HANDLER: 0
; COMPUTE_PGM_RSRC2:TGID_X_EN: 1
; COMPUTE_PGM_RSRC2:TGID_Y_EN: 0
; COMPUTE_PGM_RSRC2:TGID_Z_EN: 0
; COMPUTE_PGM_RSRC2:TIDIG_COMP_CNT: 0
	.section	.text._ZN7rocprim17ROCPRIM_400000_NS6detail17trampoline_kernelINS0_14default_configENS1_20scan_config_selectorIN3c107complexIfEEEEZZNS1_9scan_implILNS1_25lookback_scan_determinismE0ELb0ELb0ES3_PKS7_PS7_S7_ZZZN2at6native31launch_logcumsumexp_cuda_kernelERKNSE_10TensorBaseESI_lENKUlvE_clEvENKUlvE2_clEvEUlS7_S7_E_S7_EEDaPvRmT3_T4_T5_mT6_P12ihipStream_tbENKUlT_T0_E_clISt17integral_constantIbLb1EESY_IbLb0EEEEDaSU_SV_EUlSU_E_NS1_11comp_targetILNS1_3genE3ELNS1_11target_archE908ELNS1_3gpuE7ELNS1_3repE0EEENS1_30default_config_static_selectorELNS0_4arch9wavefront6targetE0EEEvT1_,"axG",@progbits,_ZN7rocprim17ROCPRIM_400000_NS6detail17trampoline_kernelINS0_14default_configENS1_20scan_config_selectorIN3c107complexIfEEEEZZNS1_9scan_implILNS1_25lookback_scan_determinismE0ELb0ELb0ES3_PKS7_PS7_S7_ZZZN2at6native31launch_logcumsumexp_cuda_kernelERKNSE_10TensorBaseESI_lENKUlvE_clEvENKUlvE2_clEvEUlS7_S7_E_S7_EEDaPvRmT3_T4_T5_mT6_P12ihipStream_tbENKUlT_T0_E_clISt17integral_constantIbLb1EESY_IbLb0EEEEDaSU_SV_EUlSU_E_NS1_11comp_targetILNS1_3genE3ELNS1_11target_archE908ELNS1_3gpuE7ELNS1_3repE0EEENS1_30default_config_static_selectorELNS0_4arch9wavefront6targetE0EEEvT1_,comdat
	.globl	_ZN7rocprim17ROCPRIM_400000_NS6detail17trampoline_kernelINS0_14default_configENS1_20scan_config_selectorIN3c107complexIfEEEEZZNS1_9scan_implILNS1_25lookback_scan_determinismE0ELb0ELb0ES3_PKS7_PS7_S7_ZZZN2at6native31launch_logcumsumexp_cuda_kernelERKNSE_10TensorBaseESI_lENKUlvE_clEvENKUlvE2_clEvEUlS7_S7_E_S7_EEDaPvRmT3_T4_T5_mT6_P12ihipStream_tbENKUlT_T0_E_clISt17integral_constantIbLb1EESY_IbLb0EEEEDaSU_SV_EUlSU_E_NS1_11comp_targetILNS1_3genE3ELNS1_11target_archE908ELNS1_3gpuE7ELNS1_3repE0EEENS1_30default_config_static_selectorELNS0_4arch9wavefront6targetE0EEEvT1_ ; -- Begin function _ZN7rocprim17ROCPRIM_400000_NS6detail17trampoline_kernelINS0_14default_configENS1_20scan_config_selectorIN3c107complexIfEEEEZZNS1_9scan_implILNS1_25lookback_scan_determinismE0ELb0ELb0ES3_PKS7_PS7_S7_ZZZN2at6native31launch_logcumsumexp_cuda_kernelERKNSE_10TensorBaseESI_lENKUlvE_clEvENKUlvE2_clEvEUlS7_S7_E_S7_EEDaPvRmT3_T4_T5_mT6_P12ihipStream_tbENKUlT_T0_E_clISt17integral_constantIbLb1EESY_IbLb0EEEEDaSU_SV_EUlSU_E_NS1_11comp_targetILNS1_3genE3ELNS1_11target_archE908ELNS1_3gpuE7ELNS1_3repE0EEENS1_30default_config_static_selectorELNS0_4arch9wavefront6targetE0EEEvT1_
	.p2align	8
	.type	_ZN7rocprim17ROCPRIM_400000_NS6detail17trampoline_kernelINS0_14default_configENS1_20scan_config_selectorIN3c107complexIfEEEEZZNS1_9scan_implILNS1_25lookback_scan_determinismE0ELb0ELb0ES3_PKS7_PS7_S7_ZZZN2at6native31launch_logcumsumexp_cuda_kernelERKNSE_10TensorBaseESI_lENKUlvE_clEvENKUlvE2_clEvEUlS7_S7_E_S7_EEDaPvRmT3_T4_T5_mT6_P12ihipStream_tbENKUlT_T0_E_clISt17integral_constantIbLb1EESY_IbLb0EEEEDaSU_SV_EUlSU_E_NS1_11comp_targetILNS1_3genE3ELNS1_11target_archE908ELNS1_3gpuE7ELNS1_3repE0EEENS1_30default_config_static_selectorELNS0_4arch9wavefront6targetE0EEEvT1_,@function
_ZN7rocprim17ROCPRIM_400000_NS6detail17trampoline_kernelINS0_14default_configENS1_20scan_config_selectorIN3c107complexIfEEEEZZNS1_9scan_implILNS1_25lookback_scan_determinismE0ELb0ELb0ES3_PKS7_PS7_S7_ZZZN2at6native31launch_logcumsumexp_cuda_kernelERKNSE_10TensorBaseESI_lENKUlvE_clEvENKUlvE2_clEvEUlS7_S7_E_S7_EEDaPvRmT3_T4_T5_mT6_P12ihipStream_tbENKUlT_T0_E_clISt17integral_constantIbLb1EESY_IbLb0EEEEDaSU_SV_EUlSU_E_NS1_11comp_targetILNS1_3genE3ELNS1_11target_archE908ELNS1_3gpuE7ELNS1_3repE0EEENS1_30default_config_static_selectorELNS0_4arch9wavefront6targetE0EEEvT1_: ; @_ZN7rocprim17ROCPRIM_400000_NS6detail17trampoline_kernelINS0_14default_configENS1_20scan_config_selectorIN3c107complexIfEEEEZZNS1_9scan_implILNS1_25lookback_scan_determinismE0ELb0ELb0ES3_PKS7_PS7_S7_ZZZN2at6native31launch_logcumsumexp_cuda_kernelERKNSE_10TensorBaseESI_lENKUlvE_clEvENKUlvE2_clEvEUlS7_S7_E_S7_EEDaPvRmT3_T4_T5_mT6_P12ihipStream_tbENKUlT_T0_E_clISt17integral_constantIbLb1EESY_IbLb0EEEEDaSU_SV_EUlSU_E_NS1_11comp_targetILNS1_3genE3ELNS1_11target_archE908ELNS1_3gpuE7ELNS1_3repE0EEENS1_30default_config_static_selectorELNS0_4arch9wavefront6targetE0EEEvT1_
; %bb.0:
	.section	.rodata,"a",@progbits
	.p2align	6, 0x0
	.amdhsa_kernel _ZN7rocprim17ROCPRIM_400000_NS6detail17trampoline_kernelINS0_14default_configENS1_20scan_config_selectorIN3c107complexIfEEEEZZNS1_9scan_implILNS1_25lookback_scan_determinismE0ELb0ELb0ES3_PKS7_PS7_S7_ZZZN2at6native31launch_logcumsumexp_cuda_kernelERKNSE_10TensorBaseESI_lENKUlvE_clEvENKUlvE2_clEvEUlS7_S7_E_S7_EEDaPvRmT3_T4_T5_mT6_P12ihipStream_tbENKUlT_T0_E_clISt17integral_constantIbLb1EESY_IbLb0EEEEDaSU_SV_EUlSU_E_NS1_11comp_targetILNS1_3genE3ELNS1_11target_archE908ELNS1_3gpuE7ELNS1_3repE0EEENS1_30default_config_static_selectorELNS0_4arch9wavefront6targetE0EEEvT1_
		.amdhsa_group_segment_fixed_size 0
		.amdhsa_private_segment_fixed_size 0
		.amdhsa_kernarg_size 104
		.amdhsa_user_sgpr_count 15
		.amdhsa_user_sgpr_dispatch_ptr 0
		.amdhsa_user_sgpr_queue_ptr 0
		.amdhsa_user_sgpr_kernarg_segment_ptr 1
		.amdhsa_user_sgpr_dispatch_id 0
		.amdhsa_user_sgpr_private_segment_size 0
		.amdhsa_wavefront_size32 1
		.amdhsa_uses_dynamic_stack 0
		.amdhsa_enable_private_segment 0
		.amdhsa_system_sgpr_workgroup_id_x 1
		.amdhsa_system_sgpr_workgroup_id_y 0
		.amdhsa_system_sgpr_workgroup_id_z 0
		.amdhsa_system_sgpr_workgroup_info 0
		.amdhsa_system_vgpr_workitem_id 0
		.amdhsa_next_free_vgpr 1
		.amdhsa_next_free_sgpr 1
		.amdhsa_reserve_vcc 0
		.amdhsa_float_round_mode_32 0
		.amdhsa_float_round_mode_16_64 0
		.amdhsa_float_denorm_mode_32 3
		.amdhsa_float_denorm_mode_16_64 3
		.amdhsa_dx10_clamp 1
		.amdhsa_ieee_mode 1
		.amdhsa_fp16_overflow 0
		.amdhsa_workgroup_processor_mode 1
		.amdhsa_memory_ordered 1
		.amdhsa_forward_progress 0
		.amdhsa_shared_vgpr_count 0
		.amdhsa_exception_fp_ieee_invalid_op 0
		.amdhsa_exception_fp_denorm_src 0
		.amdhsa_exception_fp_ieee_div_zero 0
		.amdhsa_exception_fp_ieee_overflow 0
		.amdhsa_exception_fp_ieee_underflow 0
		.amdhsa_exception_fp_ieee_inexact 0
		.amdhsa_exception_int_div_zero 0
	.end_amdhsa_kernel
	.section	.text._ZN7rocprim17ROCPRIM_400000_NS6detail17trampoline_kernelINS0_14default_configENS1_20scan_config_selectorIN3c107complexIfEEEEZZNS1_9scan_implILNS1_25lookback_scan_determinismE0ELb0ELb0ES3_PKS7_PS7_S7_ZZZN2at6native31launch_logcumsumexp_cuda_kernelERKNSE_10TensorBaseESI_lENKUlvE_clEvENKUlvE2_clEvEUlS7_S7_E_S7_EEDaPvRmT3_T4_T5_mT6_P12ihipStream_tbENKUlT_T0_E_clISt17integral_constantIbLb1EESY_IbLb0EEEEDaSU_SV_EUlSU_E_NS1_11comp_targetILNS1_3genE3ELNS1_11target_archE908ELNS1_3gpuE7ELNS1_3repE0EEENS1_30default_config_static_selectorELNS0_4arch9wavefront6targetE0EEEvT1_,"axG",@progbits,_ZN7rocprim17ROCPRIM_400000_NS6detail17trampoline_kernelINS0_14default_configENS1_20scan_config_selectorIN3c107complexIfEEEEZZNS1_9scan_implILNS1_25lookback_scan_determinismE0ELb0ELb0ES3_PKS7_PS7_S7_ZZZN2at6native31launch_logcumsumexp_cuda_kernelERKNSE_10TensorBaseESI_lENKUlvE_clEvENKUlvE2_clEvEUlS7_S7_E_S7_EEDaPvRmT3_T4_T5_mT6_P12ihipStream_tbENKUlT_T0_E_clISt17integral_constantIbLb1EESY_IbLb0EEEEDaSU_SV_EUlSU_E_NS1_11comp_targetILNS1_3genE3ELNS1_11target_archE908ELNS1_3gpuE7ELNS1_3repE0EEENS1_30default_config_static_selectorELNS0_4arch9wavefront6targetE0EEEvT1_,comdat
.Lfunc_end317:
	.size	_ZN7rocprim17ROCPRIM_400000_NS6detail17trampoline_kernelINS0_14default_configENS1_20scan_config_selectorIN3c107complexIfEEEEZZNS1_9scan_implILNS1_25lookback_scan_determinismE0ELb0ELb0ES3_PKS7_PS7_S7_ZZZN2at6native31launch_logcumsumexp_cuda_kernelERKNSE_10TensorBaseESI_lENKUlvE_clEvENKUlvE2_clEvEUlS7_S7_E_S7_EEDaPvRmT3_T4_T5_mT6_P12ihipStream_tbENKUlT_T0_E_clISt17integral_constantIbLb1EESY_IbLb0EEEEDaSU_SV_EUlSU_E_NS1_11comp_targetILNS1_3genE3ELNS1_11target_archE908ELNS1_3gpuE7ELNS1_3repE0EEENS1_30default_config_static_selectorELNS0_4arch9wavefront6targetE0EEEvT1_, .Lfunc_end317-_ZN7rocprim17ROCPRIM_400000_NS6detail17trampoline_kernelINS0_14default_configENS1_20scan_config_selectorIN3c107complexIfEEEEZZNS1_9scan_implILNS1_25lookback_scan_determinismE0ELb0ELb0ES3_PKS7_PS7_S7_ZZZN2at6native31launch_logcumsumexp_cuda_kernelERKNSE_10TensorBaseESI_lENKUlvE_clEvENKUlvE2_clEvEUlS7_S7_E_S7_EEDaPvRmT3_T4_T5_mT6_P12ihipStream_tbENKUlT_T0_E_clISt17integral_constantIbLb1EESY_IbLb0EEEEDaSU_SV_EUlSU_E_NS1_11comp_targetILNS1_3genE3ELNS1_11target_archE908ELNS1_3gpuE7ELNS1_3repE0EEENS1_30default_config_static_selectorELNS0_4arch9wavefront6targetE0EEEvT1_
                                        ; -- End function
	.section	.AMDGPU.csdata,"",@progbits
; Kernel info:
; codeLenInByte = 0
; NumSgprs: 0
; NumVgprs: 0
; ScratchSize: 0
; MemoryBound: 0
; FloatMode: 240
; IeeeMode: 1
; LDSByteSize: 0 bytes/workgroup (compile time only)
; SGPRBlocks: 0
; VGPRBlocks: 0
; NumSGPRsForWavesPerEU: 1
; NumVGPRsForWavesPerEU: 1
; Occupancy: 16
; WaveLimiterHint : 0
; COMPUTE_PGM_RSRC2:SCRATCH_EN: 0
; COMPUTE_PGM_RSRC2:USER_SGPR: 15
; COMPUTE_PGM_RSRC2:TRAP_HANDLER: 0
; COMPUTE_PGM_RSRC2:TGID_X_EN: 1
; COMPUTE_PGM_RSRC2:TGID_Y_EN: 0
; COMPUTE_PGM_RSRC2:TGID_Z_EN: 0
; COMPUTE_PGM_RSRC2:TIDIG_COMP_CNT: 0
	.section	.text._ZN7rocprim17ROCPRIM_400000_NS6detail17trampoline_kernelINS0_14default_configENS1_20scan_config_selectorIN3c107complexIfEEEEZZNS1_9scan_implILNS1_25lookback_scan_determinismE0ELb0ELb0ES3_PKS7_PS7_S7_ZZZN2at6native31launch_logcumsumexp_cuda_kernelERKNSE_10TensorBaseESI_lENKUlvE_clEvENKUlvE2_clEvEUlS7_S7_E_S7_EEDaPvRmT3_T4_T5_mT6_P12ihipStream_tbENKUlT_T0_E_clISt17integral_constantIbLb1EESY_IbLb0EEEEDaSU_SV_EUlSU_E_NS1_11comp_targetILNS1_3genE2ELNS1_11target_archE906ELNS1_3gpuE6ELNS1_3repE0EEENS1_30default_config_static_selectorELNS0_4arch9wavefront6targetE0EEEvT1_,"axG",@progbits,_ZN7rocprim17ROCPRIM_400000_NS6detail17trampoline_kernelINS0_14default_configENS1_20scan_config_selectorIN3c107complexIfEEEEZZNS1_9scan_implILNS1_25lookback_scan_determinismE0ELb0ELb0ES3_PKS7_PS7_S7_ZZZN2at6native31launch_logcumsumexp_cuda_kernelERKNSE_10TensorBaseESI_lENKUlvE_clEvENKUlvE2_clEvEUlS7_S7_E_S7_EEDaPvRmT3_T4_T5_mT6_P12ihipStream_tbENKUlT_T0_E_clISt17integral_constantIbLb1EESY_IbLb0EEEEDaSU_SV_EUlSU_E_NS1_11comp_targetILNS1_3genE2ELNS1_11target_archE906ELNS1_3gpuE6ELNS1_3repE0EEENS1_30default_config_static_selectorELNS0_4arch9wavefront6targetE0EEEvT1_,comdat
	.globl	_ZN7rocprim17ROCPRIM_400000_NS6detail17trampoline_kernelINS0_14default_configENS1_20scan_config_selectorIN3c107complexIfEEEEZZNS1_9scan_implILNS1_25lookback_scan_determinismE0ELb0ELb0ES3_PKS7_PS7_S7_ZZZN2at6native31launch_logcumsumexp_cuda_kernelERKNSE_10TensorBaseESI_lENKUlvE_clEvENKUlvE2_clEvEUlS7_S7_E_S7_EEDaPvRmT3_T4_T5_mT6_P12ihipStream_tbENKUlT_T0_E_clISt17integral_constantIbLb1EESY_IbLb0EEEEDaSU_SV_EUlSU_E_NS1_11comp_targetILNS1_3genE2ELNS1_11target_archE906ELNS1_3gpuE6ELNS1_3repE0EEENS1_30default_config_static_selectorELNS0_4arch9wavefront6targetE0EEEvT1_ ; -- Begin function _ZN7rocprim17ROCPRIM_400000_NS6detail17trampoline_kernelINS0_14default_configENS1_20scan_config_selectorIN3c107complexIfEEEEZZNS1_9scan_implILNS1_25lookback_scan_determinismE0ELb0ELb0ES3_PKS7_PS7_S7_ZZZN2at6native31launch_logcumsumexp_cuda_kernelERKNSE_10TensorBaseESI_lENKUlvE_clEvENKUlvE2_clEvEUlS7_S7_E_S7_EEDaPvRmT3_T4_T5_mT6_P12ihipStream_tbENKUlT_T0_E_clISt17integral_constantIbLb1EESY_IbLb0EEEEDaSU_SV_EUlSU_E_NS1_11comp_targetILNS1_3genE2ELNS1_11target_archE906ELNS1_3gpuE6ELNS1_3repE0EEENS1_30default_config_static_selectorELNS0_4arch9wavefront6targetE0EEEvT1_
	.p2align	8
	.type	_ZN7rocprim17ROCPRIM_400000_NS6detail17trampoline_kernelINS0_14default_configENS1_20scan_config_selectorIN3c107complexIfEEEEZZNS1_9scan_implILNS1_25lookback_scan_determinismE0ELb0ELb0ES3_PKS7_PS7_S7_ZZZN2at6native31launch_logcumsumexp_cuda_kernelERKNSE_10TensorBaseESI_lENKUlvE_clEvENKUlvE2_clEvEUlS7_S7_E_S7_EEDaPvRmT3_T4_T5_mT6_P12ihipStream_tbENKUlT_T0_E_clISt17integral_constantIbLb1EESY_IbLb0EEEEDaSU_SV_EUlSU_E_NS1_11comp_targetILNS1_3genE2ELNS1_11target_archE906ELNS1_3gpuE6ELNS1_3repE0EEENS1_30default_config_static_selectorELNS0_4arch9wavefront6targetE0EEEvT1_,@function
_ZN7rocprim17ROCPRIM_400000_NS6detail17trampoline_kernelINS0_14default_configENS1_20scan_config_selectorIN3c107complexIfEEEEZZNS1_9scan_implILNS1_25lookback_scan_determinismE0ELb0ELb0ES3_PKS7_PS7_S7_ZZZN2at6native31launch_logcumsumexp_cuda_kernelERKNSE_10TensorBaseESI_lENKUlvE_clEvENKUlvE2_clEvEUlS7_S7_E_S7_EEDaPvRmT3_T4_T5_mT6_P12ihipStream_tbENKUlT_T0_E_clISt17integral_constantIbLb1EESY_IbLb0EEEEDaSU_SV_EUlSU_E_NS1_11comp_targetILNS1_3genE2ELNS1_11target_archE906ELNS1_3gpuE6ELNS1_3repE0EEENS1_30default_config_static_selectorELNS0_4arch9wavefront6targetE0EEEvT1_: ; @_ZN7rocprim17ROCPRIM_400000_NS6detail17trampoline_kernelINS0_14default_configENS1_20scan_config_selectorIN3c107complexIfEEEEZZNS1_9scan_implILNS1_25lookback_scan_determinismE0ELb0ELb0ES3_PKS7_PS7_S7_ZZZN2at6native31launch_logcumsumexp_cuda_kernelERKNSE_10TensorBaseESI_lENKUlvE_clEvENKUlvE2_clEvEUlS7_S7_E_S7_EEDaPvRmT3_T4_T5_mT6_P12ihipStream_tbENKUlT_T0_E_clISt17integral_constantIbLb1EESY_IbLb0EEEEDaSU_SV_EUlSU_E_NS1_11comp_targetILNS1_3genE2ELNS1_11target_archE906ELNS1_3gpuE6ELNS1_3repE0EEENS1_30default_config_static_selectorELNS0_4arch9wavefront6targetE0EEEvT1_
; %bb.0:
	.section	.rodata,"a",@progbits
	.p2align	6, 0x0
	.amdhsa_kernel _ZN7rocprim17ROCPRIM_400000_NS6detail17trampoline_kernelINS0_14default_configENS1_20scan_config_selectorIN3c107complexIfEEEEZZNS1_9scan_implILNS1_25lookback_scan_determinismE0ELb0ELb0ES3_PKS7_PS7_S7_ZZZN2at6native31launch_logcumsumexp_cuda_kernelERKNSE_10TensorBaseESI_lENKUlvE_clEvENKUlvE2_clEvEUlS7_S7_E_S7_EEDaPvRmT3_T4_T5_mT6_P12ihipStream_tbENKUlT_T0_E_clISt17integral_constantIbLb1EESY_IbLb0EEEEDaSU_SV_EUlSU_E_NS1_11comp_targetILNS1_3genE2ELNS1_11target_archE906ELNS1_3gpuE6ELNS1_3repE0EEENS1_30default_config_static_selectorELNS0_4arch9wavefront6targetE0EEEvT1_
		.amdhsa_group_segment_fixed_size 0
		.amdhsa_private_segment_fixed_size 0
		.amdhsa_kernarg_size 104
		.amdhsa_user_sgpr_count 15
		.amdhsa_user_sgpr_dispatch_ptr 0
		.amdhsa_user_sgpr_queue_ptr 0
		.amdhsa_user_sgpr_kernarg_segment_ptr 1
		.amdhsa_user_sgpr_dispatch_id 0
		.amdhsa_user_sgpr_private_segment_size 0
		.amdhsa_wavefront_size32 1
		.amdhsa_uses_dynamic_stack 0
		.amdhsa_enable_private_segment 0
		.amdhsa_system_sgpr_workgroup_id_x 1
		.amdhsa_system_sgpr_workgroup_id_y 0
		.amdhsa_system_sgpr_workgroup_id_z 0
		.amdhsa_system_sgpr_workgroup_info 0
		.amdhsa_system_vgpr_workitem_id 0
		.amdhsa_next_free_vgpr 1
		.amdhsa_next_free_sgpr 1
		.amdhsa_reserve_vcc 0
		.amdhsa_float_round_mode_32 0
		.amdhsa_float_round_mode_16_64 0
		.amdhsa_float_denorm_mode_32 3
		.amdhsa_float_denorm_mode_16_64 3
		.amdhsa_dx10_clamp 1
		.amdhsa_ieee_mode 1
		.amdhsa_fp16_overflow 0
		.amdhsa_workgroup_processor_mode 1
		.amdhsa_memory_ordered 1
		.amdhsa_forward_progress 0
		.amdhsa_shared_vgpr_count 0
		.amdhsa_exception_fp_ieee_invalid_op 0
		.amdhsa_exception_fp_denorm_src 0
		.amdhsa_exception_fp_ieee_div_zero 0
		.amdhsa_exception_fp_ieee_overflow 0
		.amdhsa_exception_fp_ieee_underflow 0
		.amdhsa_exception_fp_ieee_inexact 0
		.amdhsa_exception_int_div_zero 0
	.end_amdhsa_kernel
	.section	.text._ZN7rocprim17ROCPRIM_400000_NS6detail17trampoline_kernelINS0_14default_configENS1_20scan_config_selectorIN3c107complexIfEEEEZZNS1_9scan_implILNS1_25lookback_scan_determinismE0ELb0ELb0ES3_PKS7_PS7_S7_ZZZN2at6native31launch_logcumsumexp_cuda_kernelERKNSE_10TensorBaseESI_lENKUlvE_clEvENKUlvE2_clEvEUlS7_S7_E_S7_EEDaPvRmT3_T4_T5_mT6_P12ihipStream_tbENKUlT_T0_E_clISt17integral_constantIbLb1EESY_IbLb0EEEEDaSU_SV_EUlSU_E_NS1_11comp_targetILNS1_3genE2ELNS1_11target_archE906ELNS1_3gpuE6ELNS1_3repE0EEENS1_30default_config_static_selectorELNS0_4arch9wavefront6targetE0EEEvT1_,"axG",@progbits,_ZN7rocprim17ROCPRIM_400000_NS6detail17trampoline_kernelINS0_14default_configENS1_20scan_config_selectorIN3c107complexIfEEEEZZNS1_9scan_implILNS1_25lookback_scan_determinismE0ELb0ELb0ES3_PKS7_PS7_S7_ZZZN2at6native31launch_logcumsumexp_cuda_kernelERKNSE_10TensorBaseESI_lENKUlvE_clEvENKUlvE2_clEvEUlS7_S7_E_S7_EEDaPvRmT3_T4_T5_mT6_P12ihipStream_tbENKUlT_T0_E_clISt17integral_constantIbLb1EESY_IbLb0EEEEDaSU_SV_EUlSU_E_NS1_11comp_targetILNS1_3genE2ELNS1_11target_archE906ELNS1_3gpuE6ELNS1_3repE0EEENS1_30default_config_static_selectorELNS0_4arch9wavefront6targetE0EEEvT1_,comdat
.Lfunc_end318:
	.size	_ZN7rocprim17ROCPRIM_400000_NS6detail17trampoline_kernelINS0_14default_configENS1_20scan_config_selectorIN3c107complexIfEEEEZZNS1_9scan_implILNS1_25lookback_scan_determinismE0ELb0ELb0ES3_PKS7_PS7_S7_ZZZN2at6native31launch_logcumsumexp_cuda_kernelERKNSE_10TensorBaseESI_lENKUlvE_clEvENKUlvE2_clEvEUlS7_S7_E_S7_EEDaPvRmT3_T4_T5_mT6_P12ihipStream_tbENKUlT_T0_E_clISt17integral_constantIbLb1EESY_IbLb0EEEEDaSU_SV_EUlSU_E_NS1_11comp_targetILNS1_3genE2ELNS1_11target_archE906ELNS1_3gpuE6ELNS1_3repE0EEENS1_30default_config_static_selectorELNS0_4arch9wavefront6targetE0EEEvT1_, .Lfunc_end318-_ZN7rocprim17ROCPRIM_400000_NS6detail17trampoline_kernelINS0_14default_configENS1_20scan_config_selectorIN3c107complexIfEEEEZZNS1_9scan_implILNS1_25lookback_scan_determinismE0ELb0ELb0ES3_PKS7_PS7_S7_ZZZN2at6native31launch_logcumsumexp_cuda_kernelERKNSE_10TensorBaseESI_lENKUlvE_clEvENKUlvE2_clEvEUlS7_S7_E_S7_EEDaPvRmT3_T4_T5_mT6_P12ihipStream_tbENKUlT_T0_E_clISt17integral_constantIbLb1EESY_IbLb0EEEEDaSU_SV_EUlSU_E_NS1_11comp_targetILNS1_3genE2ELNS1_11target_archE906ELNS1_3gpuE6ELNS1_3repE0EEENS1_30default_config_static_selectorELNS0_4arch9wavefront6targetE0EEEvT1_
                                        ; -- End function
	.section	.AMDGPU.csdata,"",@progbits
; Kernel info:
; codeLenInByte = 0
; NumSgprs: 0
; NumVgprs: 0
; ScratchSize: 0
; MemoryBound: 0
; FloatMode: 240
; IeeeMode: 1
; LDSByteSize: 0 bytes/workgroup (compile time only)
; SGPRBlocks: 0
; VGPRBlocks: 0
; NumSGPRsForWavesPerEU: 1
; NumVGPRsForWavesPerEU: 1
; Occupancy: 16
; WaveLimiterHint : 0
; COMPUTE_PGM_RSRC2:SCRATCH_EN: 0
; COMPUTE_PGM_RSRC2:USER_SGPR: 15
; COMPUTE_PGM_RSRC2:TRAP_HANDLER: 0
; COMPUTE_PGM_RSRC2:TGID_X_EN: 1
; COMPUTE_PGM_RSRC2:TGID_Y_EN: 0
; COMPUTE_PGM_RSRC2:TGID_Z_EN: 0
; COMPUTE_PGM_RSRC2:TIDIG_COMP_CNT: 0
	.section	.text._ZN7rocprim17ROCPRIM_400000_NS6detail17trampoline_kernelINS0_14default_configENS1_20scan_config_selectorIN3c107complexIfEEEEZZNS1_9scan_implILNS1_25lookback_scan_determinismE0ELb0ELb0ES3_PKS7_PS7_S7_ZZZN2at6native31launch_logcumsumexp_cuda_kernelERKNSE_10TensorBaseESI_lENKUlvE_clEvENKUlvE2_clEvEUlS7_S7_E_S7_EEDaPvRmT3_T4_T5_mT6_P12ihipStream_tbENKUlT_T0_E_clISt17integral_constantIbLb1EESY_IbLb0EEEEDaSU_SV_EUlSU_E_NS1_11comp_targetILNS1_3genE10ELNS1_11target_archE1201ELNS1_3gpuE5ELNS1_3repE0EEENS1_30default_config_static_selectorELNS0_4arch9wavefront6targetE0EEEvT1_,"axG",@progbits,_ZN7rocprim17ROCPRIM_400000_NS6detail17trampoline_kernelINS0_14default_configENS1_20scan_config_selectorIN3c107complexIfEEEEZZNS1_9scan_implILNS1_25lookback_scan_determinismE0ELb0ELb0ES3_PKS7_PS7_S7_ZZZN2at6native31launch_logcumsumexp_cuda_kernelERKNSE_10TensorBaseESI_lENKUlvE_clEvENKUlvE2_clEvEUlS7_S7_E_S7_EEDaPvRmT3_T4_T5_mT6_P12ihipStream_tbENKUlT_T0_E_clISt17integral_constantIbLb1EESY_IbLb0EEEEDaSU_SV_EUlSU_E_NS1_11comp_targetILNS1_3genE10ELNS1_11target_archE1201ELNS1_3gpuE5ELNS1_3repE0EEENS1_30default_config_static_selectorELNS0_4arch9wavefront6targetE0EEEvT1_,comdat
	.globl	_ZN7rocprim17ROCPRIM_400000_NS6detail17trampoline_kernelINS0_14default_configENS1_20scan_config_selectorIN3c107complexIfEEEEZZNS1_9scan_implILNS1_25lookback_scan_determinismE0ELb0ELb0ES3_PKS7_PS7_S7_ZZZN2at6native31launch_logcumsumexp_cuda_kernelERKNSE_10TensorBaseESI_lENKUlvE_clEvENKUlvE2_clEvEUlS7_S7_E_S7_EEDaPvRmT3_T4_T5_mT6_P12ihipStream_tbENKUlT_T0_E_clISt17integral_constantIbLb1EESY_IbLb0EEEEDaSU_SV_EUlSU_E_NS1_11comp_targetILNS1_3genE10ELNS1_11target_archE1201ELNS1_3gpuE5ELNS1_3repE0EEENS1_30default_config_static_selectorELNS0_4arch9wavefront6targetE0EEEvT1_ ; -- Begin function _ZN7rocprim17ROCPRIM_400000_NS6detail17trampoline_kernelINS0_14default_configENS1_20scan_config_selectorIN3c107complexIfEEEEZZNS1_9scan_implILNS1_25lookback_scan_determinismE0ELb0ELb0ES3_PKS7_PS7_S7_ZZZN2at6native31launch_logcumsumexp_cuda_kernelERKNSE_10TensorBaseESI_lENKUlvE_clEvENKUlvE2_clEvEUlS7_S7_E_S7_EEDaPvRmT3_T4_T5_mT6_P12ihipStream_tbENKUlT_T0_E_clISt17integral_constantIbLb1EESY_IbLb0EEEEDaSU_SV_EUlSU_E_NS1_11comp_targetILNS1_3genE10ELNS1_11target_archE1201ELNS1_3gpuE5ELNS1_3repE0EEENS1_30default_config_static_selectorELNS0_4arch9wavefront6targetE0EEEvT1_
	.p2align	8
	.type	_ZN7rocprim17ROCPRIM_400000_NS6detail17trampoline_kernelINS0_14default_configENS1_20scan_config_selectorIN3c107complexIfEEEEZZNS1_9scan_implILNS1_25lookback_scan_determinismE0ELb0ELb0ES3_PKS7_PS7_S7_ZZZN2at6native31launch_logcumsumexp_cuda_kernelERKNSE_10TensorBaseESI_lENKUlvE_clEvENKUlvE2_clEvEUlS7_S7_E_S7_EEDaPvRmT3_T4_T5_mT6_P12ihipStream_tbENKUlT_T0_E_clISt17integral_constantIbLb1EESY_IbLb0EEEEDaSU_SV_EUlSU_E_NS1_11comp_targetILNS1_3genE10ELNS1_11target_archE1201ELNS1_3gpuE5ELNS1_3repE0EEENS1_30default_config_static_selectorELNS0_4arch9wavefront6targetE0EEEvT1_,@function
_ZN7rocprim17ROCPRIM_400000_NS6detail17trampoline_kernelINS0_14default_configENS1_20scan_config_selectorIN3c107complexIfEEEEZZNS1_9scan_implILNS1_25lookback_scan_determinismE0ELb0ELb0ES3_PKS7_PS7_S7_ZZZN2at6native31launch_logcumsumexp_cuda_kernelERKNSE_10TensorBaseESI_lENKUlvE_clEvENKUlvE2_clEvEUlS7_S7_E_S7_EEDaPvRmT3_T4_T5_mT6_P12ihipStream_tbENKUlT_T0_E_clISt17integral_constantIbLb1EESY_IbLb0EEEEDaSU_SV_EUlSU_E_NS1_11comp_targetILNS1_3genE10ELNS1_11target_archE1201ELNS1_3gpuE5ELNS1_3repE0EEENS1_30default_config_static_selectorELNS0_4arch9wavefront6targetE0EEEvT1_: ; @_ZN7rocprim17ROCPRIM_400000_NS6detail17trampoline_kernelINS0_14default_configENS1_20scan_config_selectorIN3c107complexIfEEEEZZNS1_9scan_implILNS1_25lookback_scan_determinismE0ELb0ELb0ES3_PKS7_PS7_S7_ZZZN2at6native31launch_logcumsumexp_cuda_kernelERKNSE_10TensorBaseESI_lENKUlvE_clEvENKUlvE2_clEvEUlS7_S7_E_S7_EEDaPvRmT3_T4_T5_mT6_P12ihipStream_tbENKUlT_T0_E_clISt17integral_constantIbLb1EESY_IbLb0EEEEDaSU_SV_EUlSU_E_NS1_11comp_targetILNS1_3genE10ELNS1_11target_archE1201ELNS1_3gpuE5ELNS1_3repE0EEENS1_30default_config_static_selectorELNS0_4arch9wavefront6targetE0EEEvT1_
; %bb.0:
	.section	.rodata,"a",@progbits
	.p2align	6, 0x0
	.amdhsa_kernel _ZN7rocprim17ROCPRIM_400000_NS6detail17trampoline_kernelINS0_14default_configENS1_20scan_config_selectorIN3c107complexIfEEEEZZNS1_9scan_implILNS1_25lookback_scan_determinismE0ELb0ELb0ES3_PKS7_PS7_S7_ZZZN2at6native31launch_logcumsumexp_cuda_kernelERKNSE_10TensorBaseESI_lENKUlvE_clEvENKUlvE2_clEvEUlS7_S7_E_S7_EEDaPvRmT3_T4_T5_mT6_P12ihipStream_tbENKUlT_T0_E_clISt17integral_constantIbLb1EESY_IbLb0EEEEDaSU_SV_EUlSU_E_NS1_11comp_targetILNS1_3genE10ELNS1_11target_archE1201ELNS1_3gpuE5ELNS1_3repE0EEENS1_30default_config_static_selectorELNS0_4arch9wavefront6targetE0EEEvT1_
		.amdhsa_group_segment_fixed_size 0
		.amdhsa_private_segment_fixed_size 0
		.amdhsa_kernarg_size 104
		.amdhsa_user_sgpr_count 15
		.amdhsa_user_sgpr_dispatch_ptr 0
		.amdhsa_user_sgpr_queue_ptr 0
		.amdhsa_user_sgpr_kernarg_segment_ptr 1
		.amdhsa_user_sgpr_dispatch_id 0
		.amdhsa_user_sgpr_private_segment_size 0
		.amdhsa_wavefront_size32 1
		.amdhsa_uses_dynamic_stack 0
		.amdhsa_enable_private_segment 0
		.amdhsa_system_sgpr_workgroup_id_x 1
		.amdhsa_system_sgpr_workgroup_id_y 0
		.amdhsa_system_sgpr_workgroup_id_z 0
		.amdhsa_system_sgpr_workgroup_info 0
		.amdhsa_system_vgpr_workitem_id 0
		.amdhsa_next_free_vgpr 1
		.amdhsa_next_free_sgpr 1
		.amdhsa_reserve_vcc 0
		.amdhsa_float_round_mode_32 0
		.amdhsa_float_round_mode_16_64 0
		.amdhsa_float_denorm_mode_32 3
		.amdhsa_float_denorm_mode_16_64 3
		.amdhsa_dx10_clamp 1
		.amdhsa_ieee_mode 1
		.amdhsa_fp16_overflow 0
		.amdhsa_workgroup_processor_mode 1
		.amdhsa_memory_ordered 1
		.amdhsa_forward_progress 0
		.amdhsa_shared_vgpr_count 0
		.amdhsa_exception_fp_ieee_invalid_op 0
		.amdhsa_exception_fp_denorm_src 0
		.amdhsa_exception_fp_ieee_div_zero 0
		.amdhsa_exception_fp_ieee_overflow 0
		.amdhsa_exception_fp_ieee_underflow 0
		.amdhsa_exception_fp_ieee_inexact 0
		.amdhsa_exception_int_div_zero 0
	.end_amdhsa_kernel
	.section	.text._ZN7rocprim17ROCPRIM_400000_NS6detail17trampoline_kernelINS0_14default_configENS1_20scan_config_selectorIN3c107complexIfEEEEZZNS1_9scan_implILNS1_25lookback_scan_determinismE0ELb0ELb0ES3_PKS7_PS7_S7_ZZZN2at6native31launch_logcumsumexp_cuda_kernelERKNSE_10TensorBaseESI_lENKUlvE_clEvENKUlvE2_clEvEUlS7_S7_E_S7_EEDaPvRmT3_T4_T5_mT6_P12ihipStream_tbENKUlT_T0_E_clISt17integral_constantIbLb1EESY_IbLb0EEEEDaSU_SV_EUlSU_E_NS1_11comp_targetILNS1_3genE10ELNS1_11target_archE1201ELNS1_3gpuE5ELNS1_3repE0EEENS1_30default_config_static_selectorELNS0_4arch9wavefront6targetE0EEEvT1_,"axG",@progbits,_ZN7rocprim17ROCPRIM_400000_NS6detail17trampoline_kernelINS0_14default_configENS1_20scan_config_selectorIN3c107complexIfEEEEZZNS1_9scan_implILNS1_25lookback_scan_determinismE0ELb0ELb0ES3_PKS7_PS7_S7_ZZZN2at6native31launch_logcumsumexp_cuda_kernelERKNSE_10TensorBaseESI_lENKUlvE_clEvENKUlvE2_clEvEUlS7_S7_E_S7_EEDaPvRmT3_T4_T5_mT6_P12ihipStream_tbENKUlT_T0_E_clISt17integral_constantIbLb1EESY_IbLb0EEEEDaSU_SV_EUlSU_E_NS1_11comp_targetILNS1_3genE10ELNS1_11target_archE1201ELNS1_3gpuE5ELNS1_3repE0EEENS1_30default_config_static_selectorELNS0_4arch9wavefront6targetE0EEEvT1_,comdat
.Lfunc_end319:
	.size	_ZN7rocprim17ROCPRIM_400000_NS6detail17trampoline_kernelINS0_14default_configENS1_20scan_config_selectorIN3c107complexIfEEEEZZNS1_9scan_implILNS1_25lookback_scan_determinismE0ELb0ELb0ES3_PKS7_PS7_S7_ZZZN2at6native31launch_logcumsumexp_cuda_kernelERKNSE_10TensorBaseESI_lENKUlvE_clEvENKUlvE2_clEvEUlS7_S7_E_S7_EEDaPvRmT3_T4_T5_mT6_P12ihipStream_tbENKUlT_T0_E_clISt17integral_constantIbLb1EESY_IbLb0EEEEDaSU_SV_EUlSU_E_NS1_11comp_targetILNS1_3genE10ELNS1_11target_archE1201ELNS1_3gpuE5ELNS1_3repE0EEENS1_30default_config_static_selectorELNS0_4arch9wavefront6targetE0EEEvT1_, .Lfunc_end319-_ZN7rocprim17ROCPRIM_400000_NS6detail17trampoline_kernelINS0_14default_configENS1_20scan_config_selectorIN3c107complexIfEEEEZZNS1_9scan_implILNS1_25lookback_scan_determinismE0ELb0ELb0ES3_PKS7_PS7_S7_ZZZN2at6native31launch_logcumsumexp_cuda_kernelERKNSE_10TensorBaseESI_lENKUlvE_clEvENKUlvE2_clEvEUlS7_S7_E_S7_EEDaPvRmT3_T4_T5_mT6_P12ihipStream_tbENKUlT_T0_E_clISt17integral_constantIbLb1EESY_IbLb0EEEEDaSU_SV_EUlSU_E_NS1_11comp_targetILNS1_3genE10ELNS1_11target_archE1201ELNS1_3gpuE5ELNS1_3repE0EEENS1_30default_config_static_selectorELNS0_4arch9wavefront6targetE0EEEvT1_
                                        ; -- End function
	.section	.AMDGPU.csdata,"",@progbits
; Kernel info:
; codeLenInByte = 0
; NumSgprs: 0
; NumVgprs: 0
; ScratchSize: 0
; MemoryBound: 0
; FloatMode: 240
; IeeeMode: 1
; LDSByteSize: 0 bytes/workgroup (compile time only)
; SGPRBlocks: 0
; VGPRBlocks: 0
; NumSGPRsForWavesPerEU: 1
; NumVGPRsForWavesPerEU: 1
; Occupancy: 16
; WaveLimiterHint : 0
; COMPUTE_PGM_RSRC2:SCRATCH_EN: 0
; COMPUTE_PGM_RSRC2:USER_SGPR: 15
; COMPUTE_PGM_RSRC2:TRAP_HANDLER: 0
; COMPUTE_PGM_RSRC2:TGID_X_EN: 1
; COMPUTE_PGM_RSRC2:TGID_Y_EN: 0
; COMPUTE_PGM_RSRC2:TGID_Z_EN: 0
; COMPUTE_PGM_RSRC2:TIDIG_COMP_CNT: 0
	.section	.text._ZN7rocprim17ROCPRIM_400000_NS6detail17trampoline_kernelINS0_14default_configENS1_20scan_config_selectorIN3c107complexIfEEEEZZNS1_9scan_implILNS1_25lookback_scan_determinismE0ELb0ELb0ES3_PKS7_PS7_S7_ZZZN2at6native31launch_logcumsumexp_cuda_kernelERKNSE_10TensorBaseESI_lENKUlvE_clEvENKUlvE2_clEvEUlS7_S7_E_S7_EEDaPvRmT3_T4_T5_mT6_P12ihipStream_tbENKUlT_T0_E_clISt17integral_constantIbLb1EESY_IbLb0EEEEDaSU_SV_EUlSU_E_NS1_11comp_targetILNS1_3genE10ELNS1_11target_archE1200ELNS1_3gpuE4ELNS1_3repE0EEENS1_30default_config_static_selectorELNS0_4arch9wavefront6targetE0EEEvT1_,"axG",@progbits,_ZN7rocprim17ROCPRIM_400000_NS6detail17trampoline_kernelINS0_14default_configENS1_20scan_config_selectorIN3c107complexIfEEEEZZNS1_9scan_implILNS1_25lookback_scan_determinismE0ELb0ELb0ES3_PKS7_PS7_S7_ZZZN2at6native31launch_logcumsumexp_cuda_kernelERKNSE_10TensorBaseESI_lENKUlvE_clEvENKUlvE2_clEvEUlS7_S7_E_S7_EEDaPvRmT3_T4_T5_mT6_P12ihipStream_tbENKUlT_T0_E_clISt17integral_constantIbLb1EESY_IbLb0EEEEDaSU_SV_EUlSU_E_NS1_11comp_targetILNS1_3genE10ELNS1_11target_archE1200ELNS1_3gpuE4ELNS1_3repE0EEENS1_30default_config_static_selectorELNS0_4arch9wavefront6targetE0EEEvT1_,comdat
	.globl	_ZN7rocprim17ROCPRIM_400000_NS6detail17trampoline_kernelINS0_14default_configENS1_20scan_config_selectorIN3c107complexIfEEEEZZNS1_9scan_implILNS1_25lookback_scan_determinismE0ELb0ELb0ES3_PKS7_PS7_S7_ZZZN2at6native31launch_logcumsumexp_cuda_kernelERKNSE_10TensorBaseESI_lENKUlvE_clEvENKUlvE2_clEvEUlS7_S7_E_S7_EEDaPvRmT3_T4_T5_mT6_P12ihipStream_tbENKUlT_T0_E_clISt17integral_constantIbLb1EESY_IbLb0EEEEDaSU_SV_EUlSU_E_NS1_11comp_targetILNS1_3genE10ELNS1_11target_archE1200ELNS1_3gpuE4ELNS1_3repE0EEENS1_30default_config_static_selectorELNS0_4arch9wavefront6targetE0EEEvT1_ ; -- Begin function _ZN7rocprim17ROCPRIM_400000_NS6detail17trampoline_kernelINS0_14default_configENS1_20scan_config_selectorIN3c107complexIfEEEEZZNS1_9scan_implILNS1_25lookback_scan_determinismE0ELb0ELb0ES3_PKS7_PS7_S7_ZZZN2at6native31launch_logcumsumexp_cuda_kernelERKNSE_10TensorBaseESI_lENKUlvE_clEvENKUlvE2_clEvEUlS7_S7_E_S7_EEDaPvRmT3_T4_T5_mT6_P12ihipStream_tbENKUlT_T0_E_clISt17integral_constantIbLb1EESY_IbLb0EEEEDaSU_SV_EUlSU_E_NS1_11comp_targetILNS1_3genE10ELNS1_11target_archE1200ELNS1_3gpuE4ELNS1_3repE0EEENS1_30default_config_static_selectorELNS0_4arch9wavefront6targetE0EEEvT1_
	.p2align	8
	.type	_ZN7rocprim17ROCPRIM_400000_NS6detail17trampoline_kernelINS0_14default_configENS1_20scan_config_selectorIN3c107complexIfEEEEZZNS1_9scan_implILNS1_25lookback_scan_determinismE0ELb0ELb0ES3_PKS7_PS7_S7_ZZZN2at6native31launch_logcumsumexp_cuda_kernelERKNSE_10TensorBaseESI_lENKUlvE_clEvENKUlvE2_clEvEUlS7_S7_E_S7_EEDaPvRmT3_T4_T5_mT6_P12ihipStream_tbENKUlT_T0_E_clISt17integral_constantIbLb1EESY_IbLb0EEEEDaSU_SV_EUlSU_E_NS1_11comp_targetILNS1_3genE10ELNS1_11target_archE1200ELNS1_3gpuE4ELNS1_3repE0EEENS1_30default_config_static_selectorELNS0_4arch9wavefront6targetE0EEEvT1_,@function
_ZN7rocprim17ROCPRIM_400000_NS6detail17trampoline_kernelINS0_14default_configENS1_20scan_config_selectorIN3c107complexIfEEEEZZNS1_9scan_implILNS1_25lookback_scan_determinismE0ELb0ELb0ES3_PKS7_PS7_S7_ZZZN2at6native31launch_logcumsumexp_cuda_kernelERKNSE_10TensorBaseESI_lENKUlvE_clEvENKUlvE2_clEvEUlS7_S7_E_S7_EEDaPvRmT3_T4_T5_mT6_P12ihipStream_tbENKUlT_T0_E_clISt17integral_constantIbLb1EESY_IbLb0EEEEDaSU_SV_EUlSU_E_NS1_11comp_targetILNS1_3genE10ELNS1_11target_archE1200ELNS1_3gpuE4ELNS1_3repE0EEENS1_30default_config_static_selectorELNS0_4arch9wavefront6targetE0EEEvT1_: ; @_ZN7rocprim17ROCPRIM_400000_NS6detail17trampoline_kernelINS0_14default_configENS1_20scan_config_selectorIN3c107complexIfEEEEZZNS1_9scan_implILNS1_25lookback_scan_determinismE0ELb0ELb0ES3_PKS7_PS7_S7_ZZZN2at6native31launch_logcumsumexp_cuda_kernelERKNSE_10TensorBaseESI_lENKUlvE_clEvENKUlvE2_clEvEUlS7_S7_E_S7_EEDaPvRmT3_T4_T5_mT6_P12ihipStream_tbENKUlT_T0_E_clISt17integral_constantIbLb1EESY_IbLb0EEEEDaSU_SV_EUlSU_E_NS1_11comp_targetILNS1_3genE10ELNS1_11target_archE1200ELNS1_3gpuE4ELNS1_3repE0EEENS1_30default_config_static_selectorELNS0_4arch9wavefront6targetE0EEEvT1_
; %bb.0:
	.section	.rodata,"a",@progbits
	.p2align	6, 0x0
	.amdhsa_kernel _ZN7rocprim17ROCPRIM_400000_NS6detail17trampoline_kernelINS0_14default_configENS1_20scan_config_selectorIN3c107complexIfEEEEZZNS1_9scan_implILNS1_25lookback_scan_determinismE0ELb0ELb0ES3_PKS7_PS7_S7_ZZZN2at6native31launch_logcumsumexp_cuda_kernelERKNSE_10TensorBaseESI_lENKUlvE_clEvENKUlvE2_clEvEUlS7_S7_E_S7_EEDaPvRmT3_T4_T5_mT6_P12ihipStream_tbENKUlT_T0_E_clISt17integral_constantIbLb1EESY_IbLb0EEEEDaSU_SV_EUlSU_E_NS1_11comp_targetILNS1_3genE10ELNS1_11target_archE1200ELNS1_3gpuE4ELNS1_3repE0EEENS1_30default_config_static_selectorELNS0_4arch9wavefront6targetE0EEEvT1_
		.amdhsa_group_segment_fixed_size 0
		.amdhsa_private_segment_fixed_size 0
		.amdhsa_kernarg_size 104
		.amdhsa_user_sgpr_count 15
		.amdhsa_user_sgpr_dispatch_ptr 0
		.amdhsa_user_sgpr_queue_ptr 0
		.amdhsa_user_sgpr_kernarg_segment_ptr 1
		.amdhsa_user_sgpr_dispatch_id 0
		.amdhsa_user_sgpr_private_segment_size 0
		.amdhsa_wavefront_size32 1
		.amdhsa_uses_dynamic_stack 0
		.amdhsa_enable_private_segment 0
		.amdhsa_system_sgpr_workgroup_id_x 1
		.amdhsa_system_sgpr_workgroup_id_y 0
		.amdhsa_system_sgpr_workgroup_id_z 0
		.amdhsa_system_sgpr_workgroup_info 0
		.amdhsa_system_vgpr_workitem_id 0
		.amdhsa_next_free_vgpr 1
		.amdhsa_next_free_sgpr 1
		.amdhsa_reserve_vcc 0
		.amdhsa_float_round_mode_32 0
		.amdhsa_float_round_mode_16_64 0
		.amdhsa_float_denorm_mode_32 3
		.amdhsa_float_denorm_mode_16_64 3
		.amdhsa_dx10_clamp 1
		.amdhsa_ieee_mode 1
		.amdhsa_fp16_overflow 0
		.amdhsa_workgroup_processor_mode 1
		.amdhsa_memory_ordered 1
		.amdhsa_forward_progress 0
		.amdhsa_shared_vgpr_count 0
		.amdhsa_exception_fp_ieee_invalid_op 0
		.amdhsa_exception_fp_denorm_src 0
		.amdhsa_exception_fp_ieee_div_zero 0
		.amdhsa_exception_fp_ieee_overflow 0
		.amdhsa_exception_fp_ieee_underflow 0
		.amdhsa_exception_fp_ieee_inexact 0
		.amdhsa_exception_int_div_zero 0
	.end_amdhsa_kernel
	.section	.text._ZN7rocprim17ROCPRIM_400000_NS6detail17trampoline_kernelINS0_14default_configENS1_20scan_config_selectorIN3c107complexIfEEEEZZNS1_9scan_implILNS1_25lookback_scan_determinismE0ELb0ELb0ES3_PKS7_PS7_S7_ZZZN2at6native31launch_logcumsumexp_cuda_kernelERKNSE_10TensorBaseESI_lENKUlvE_clEvENKUlvE2_clEvEUlS7_S7_E_S7_EEDaPvRmT3_T4_T5_mT6_P12ihipStream_tbENKUlT_T0_E_clISt17integral_constantIbLb1EESY_IbLb0EEEEDaSU_SV_EUlSU_E_NS1_11comp_targetILNS1_3genE10ELNS1_11target_archE1200ELNS1_3gpuE4ELNS1_3repE0EEENS1_30default_config_static_selectorELNS0_4arch9wavefront6targetE0EEEvT1_,"axG",@progbits,_ZN7rocprim17ROCPRIM_400000_NS6detail17trampoline_kernelINS0_14default_configENS1_20scan_config_selectorIN3c107complexIfEEEEZZNS1_9scan_implILNS1_25lookback_scan_determinismE0ELb0ELb0ES3_PKS7_PS7_S7_ZZZN2at6native31launch_logcumsumexp_cuda_kernelERKNSE_10TensorBaseESI_lENKUlvE_clEvENKUlvE2_clEvEUlS7_S7_E_S7_EEDaPvRmT3_T4_T5_mT6_P12ihipStream_tbENKUlT_T0_E_clISt17integral_constantIbLb1EESY_IbLb0EEEEDaSU_SV_EUlSU_E_NS1_11comp_targetILNS1_3genE10ELNS1_11target_archE1200ELNS1_3gpuE4ELNS1_3repE0EEENS1_30default_config_static_selectorELNS0_4arch9wavefront6targetE0EEEvT1_,comdat
.Lfunc_end320:
	.size	_ZN7rocprim17ROCPRIM_400000_NS6detail17trampoline_kernelINS0_14default_configENS1_20scan_config_selectorIN3c107complexIfEEEEZZNS1_9scan_implILNS1_25lookback_scan_determinismE0ELb0ELb0ES3_PKS7_PS7_S7_ZZZN2at6native31launch_logcumsumexp_cuda_kernelERKNSE_10TensorBaseESI_lENKUlvE_clEvENKUlvE2_clEvEUlS7_S7_E_S7_EEDaPvRmT3_T4_T5_mT6_P12ihipStream_tbENKUlT_T0_E_clISt17integral_constantIbLb1EESY_IbLb0EEEEDaSU_SV_EUlSU_E_NS1_11comp_targetILNS1_3genE10ELNS1_11target_archE1200ELNS1_3gpuE4ELNS1_3repE0EEENS1_30default_config_static_selectorELNS0_4arch9wavefront6targetE0EEEvT1_, .Lfunc_end320-_ZN7rocprim17ROCPRIM_400000_NS6detail17trampoline_kernelINS0_14default_configENS1_20scan_config_selectorIN3c107complexIfEEEEZZNS1_9scan_implILNS1_25lookback_scan_determinismE0ELb0ELb0ES3_PKS7_PS7_S7_ZZZN2at6native31launch_logcumsumexp_cuda_kernelERKNSE_10TensorBaseESI_lENKUlvE_clEvENKUlvE2_clEvEUlS7_S7_E_S7_EEDaPvRmT3_T4_T5_mT6_P12ihipStream_tbENKUlT_T0_E_clISt17integral_constantIbLb1EESY_IbLb0EEEEDaSU_SV_EUlSU_E_NS1_11comp_targetILNS1_3genE10ELNS1_11target_archE1200ELNS1_3gpuE4ELNS1_3repE0EEENS1_30default_config_static_selectorELNS0_4arch9wavefront6targetE0EEEvT1_
                                        ; -- End function
	.section	.AMDGPU.csdata,"",@progbits
; Kernel info:
; codeLenInByte = 0
; NumSgprs: 0
; NumVgprs: 0
; ScratchSize: 0
; MemoryBound: 0
; FloatMode: 240
; IeeeMode: 1
; LDSByteSize: 0 bytes/workgroup (compile time only)
; SGPRBlocks: 0
; VGPRBlocks: 0
; NumSGPRsForWavesPerEU: 1
; NumVGPRsForWavesPerEU: 1
; Occupancy: 16
; WaveLimiterHint : 0
; COMPUTE_PGM_RSRC2:SCRATCH_EN: 0
; COMPUTE_PGM_RSRC2:USER_SGPR: 15
; COMPUTE_PGM_RSRC2:TRAP_HANDLER: 0
; COMPUTE_PGM_RSRC2:TGID_X_EN: 1
; COMPUTE_PGM_RSRC2:TGID_Y_EN: 0
; COMPUTE_PGM_RSRC2:TGID_Z_EN: 0
; COMPUTE_PGM_RSRC2:TIDIG_COMP_CNT: 0
	.section	.text._ZN7rocprim17ROCPRIM_400000_NS6detail17trampoline_kernelINS0_14default_configENS1_20scan_config_selectorIN3c107complexIfEEEEZZNS1_9scan_implILNS1_25lookback_scan_determinismE0ELb0ELb0ES3_PKS7_PS7_S7_ZZZN2at6native31launch_logcumsumexp_cuda_kernelERKNSE_10TensorBaseESI_lENKUlvE_clEvENKUlvE2_clEvEUlS7_S7_E_S7_EEDaPvRmT3_T4_T5_mT6_P12ihipStream_tbENKUlT_T0_E_clISt17integral_constantIbLb1EESY_IbLb0EEEEDaSU_SV_EUlSU_E_NS1_11comp_targetILNS1_3genE9ELNS1_11target_archE1100ELNS1_3gpuE3ELNS1_3repE0EEENS1_30default_config_static_selectorELNS0_4arch9wavefront6targetE0EEEvT1_,"axG",@progbits,_ZN7rocprim17ROCPRIM_400000_NS6detail17trampoline_kernelINS0_14default_configENS1_20scan_config_selectorIN3c107complexIfEEEEZZNS1_9scan_implILNS1_25lookback_scan_determinismE0ELb0ELb0ES3_PKS7_PS7_S7_ZZZN2at6native31launch_logcumsumexp_cuda_kernelERKNSE_10TensorBaseESI_lENKUlvE_clEvENKUlvE2_clEvEUlS7_S7_E_S7_EEDaPvRmT3_T4_T5_mT6_P12ihipStream_tbENKUlT_T0_E_clISt17integral_constantIbLb1EESY_IbLb0EEEEDaSU_SV_EUlSU_E_NS1_11comp_targetILNS1_3genE9ELNS1_11target_archE1100ELNS1_3gpuE3ELNS1_3repE0EEENS1_30default_config_static_selectorELNS0_4arch9wavefront6targetE0EEEvT1_,comdat
	.globl	_ZN7rocprim17ROCPRIM_400000_NS6detail17trampoline_kernelINS0_14default_configENS1_20scan_config_selectorIN3c107complexIfEEEEZZNS1_9scan_implILNS1_25lookback_scan_determinismE0ELb0ELb0ES3_PKS7_PS7_S7_ZZZN2at6native31launch_logcumsumexp_cuda_kernelERKNSE_10TensorBaseESI_lENKUlvE_clEvENKUlvE2_clEvEUlS7_S7_E_S7_EEDaPvRmT3_T4_T5_mT6_P12ihipStream_tbENKUlT_T0_E_clISt17integral_constantIbLb1EESY_IbLb0EEEEDaSU_SV_EUlSU_E_NS1_11comp_targetILNS1_3genE9ELNS1_11target_archE1100ELNS1_3gpuE3ELNS1_3repE0EEENS1_30default_config_static_selectorELNS0_4arch9wavefront6targetE0EEEvT1_ ; -- Begin function _ZN7rocprim17ROCPRIM_400000_NS6detail17trampoline_kernelINS0_14default_configENS1_20scan_config_selectorIN3c107complexIfEEEEZZNS1_9scan_implILNS1_25lookback_scan_determinismE0ELb0ELb0ES3_PKS7_PS7_S7_ZZZN2at6native31launch_logcumsumexp_cuda_kernelERKNSE_10TensorBaseESI_lENKUlvE_clEvENKUlvE2_clEvEUlS7_S7_E_S7_EEDaPvRmT3_T4_T5_mT6_P12ihipStream_tbENKUlT_T0_E_clISt17integral_constantIbLb1EESY_IbLb0EEEEDaSU_SV_EUlSU_E_NS1_11comp_targetILNS1_3genE9ELNS1_11target_archE1100ELNS1_3gpuE3ELNS1_3repE0EEENS1_30default_config_static_selectorELNS0_4arch9wavefront6targetE0EEEvT1_
	.p2align	8
	.type	_ZN7rocprim17ROCPRIM_400000_NS6detail17trampoline_kernelINS0_14default_configENS1_20scan_config_selectorIN3c107complexIfEEEEZZNS1_9scan_implILNS1_25lookback_scan_determinismE0ELb0ELb0ES3_PKS7_PS7_S7_ZZZN2at6native31launch_logcumsumexp_cuda_kernelERKNSE_10TensorBaseESI_lENKUlvE_clEvENKUlvE2_clEvEUlS7_S7_E_S7_EEDaPvRmT3_T4_T5_mT6_P12ihipStream_tbENKUlT_T0_E_clISt17integral_constantIbLb1EESY_IbLb0EEEEDaSU_SV_EUlSU_E_NS1_11comp_targetILNS1_3genE9ELNS1_11target_archE1100ELNS1_3gpuE3ELNS1_3repE0EEENS1_30default_config_static_selectorELNS0_4arch9wavefront6targetE0EEEvT1_,@function
_ZN7rocprim17ROCPRIM_400000_NS6detail17trampoline_kernelINS0_14default_configENS1_20scan_config_selectorIN3c107complexIfEEEEZZNS1_9scan_implILNS1_25lookback_scan_determinismE0ELb0ELb0ES3_PKS7_PS7_S7_ZZZN2at6native31launch_logcumsumexp_cuda_kernelERKNSE_10TensorBaseESI_lENKUlvE_clEvENKUlvE2_clEvEUlS7_S7_E_S7_EEDaPvRmT3_T4_T5_mT6_P12ihipStream_tbENKUlT_T0_E_clISt17integral_constantIbLb1EESY_IbLb0EEEEDaSU_SV_EUlSU_E_NS1_11comp_targetILNS1_3genE9ELNS1_11target_archE1100ELNS1_3gpuE3ELNS1_3repE0EEENS1_30default_config_static_selectorELNS0_4arch9wavefront6targetE0EEEvT1_: ; @_ZN7rocprim17ROCPRIM_400000_NS6detail17trampoline_kernelINS0_14default_configENS1_20scan_config_selectorIN3c107complexIfEEEEZZNS1_9scan_implILNS1_25lookback_scan_determinismE0ELb0ELb0ES3_PKS7_PS7_S7_ZZZN2at6native31launch_logcumsumexp_cuda_kernelERKNSE_10TensorBaseESI_lENKUlvE_clEvENKUlvE2_clEvEUlS7_S7_E_S7_EEDaPvRmT3_T4_T5_mT6_P12ihipStream_tbENKUlT_T0_E_clISt17integral_constantIbLb1EESY_IbLb0EEEEDaSU_SV_EUlSU_E_NS1_11comp_targetILNS1_3genE9ELNS1_11target_archE1100ELNS1_3gpuE3ELNS1_3repE0EEENS1_30default_config_static_selectorELNS0_4arch9wavefront6targetE0EEEvT1_
; %bb.0:
	s_mov_b64 s[8:9], s[0:1]
	s_clause 0x1
	s_load_b256 s[16:23], s[0:1], 0x0
	s_load_b32 s0, s[0:1], 0x38
	v_mov_b32_e32 v59, v0
	s_mov_b32 s1, 0
	s_mov_b32 s32, 0
	s_delay_alu instid0(VALU_DEP_1)
	v_lshlrev_b32_e32 v109, 3, v59
	v_lshrrev_b32_e32 v32, 2, v59
	v_or_b32_e32 v108, 0x100, v59
	v_or_b32_e32 v107, 0x200, v59
	;; [unrolled: 1-line block ×11, first 2 shown]
	s_waitcnt lgkmcnt(0)
	s_lshl_b64 s[24:25], s[18:19], 3
	v_or_b32_e32 v97, 0xc00, v59
	s_add_u32 s2, s16, s24
	s_addc_u32 s3, s17, s25
	s_add_i32 s4, s0, -1
	s_lshl_b32 s0, s15, 12
	s_lshl_b32 s5, s4, 12
	v_or_b32_e32 v96, 0xd00, v59
	s_sub_u32 s28, s22, s5
	s_subb_u32 s29, s23, 0
	s_cmp_lg_u32 s15, s4
	v_or_b32_e32 v95, 0xe00, v59
	s_cselect_b32 s33, -1, 0
	s_lshl_b64 s[22:23], s[0:1], 3
	v_or_b32_e32 v94, 0xf00, v59
	s_add_u32 s2, s2, s22
	s_addc_u32 s3, s3, s23
	s_and_b32 vcc_lo, exec_lo, s33
	s_mov_b32 s1, -1
	s_cbranch_vccz .LBB321_2
; %bb.1:
	v_add_co_u32 v26, s0, s2, v109
	s_delay_alu instid0(VALU_DEP_1)
	v_add_co_ci_u32_e64 v27, null, s3, 0, s0
	s_clause 0x1
	global_load_b64 v[0:1], v109, s[2:3]
	global_load_b64 v[2:3], v109, s[2:3] offset:2048
	v_add_co_u32 v4, vcc_lo, 0x1000, v26
	v_add_co_ci_u32_e32 v5, vcc_lo, 0, v27, vcc_lo
	v_add_co_u32 v6, vcc_lo, v26, 0x2000
	v_add_co_ci_u32_e32 v7, vcc_lo, 0, v27, vcc_lo
	;; [unrolled: 2-line block ×10, first 2 shown]
	s_clause 0xd
	global_load_b64 v[16:17], v[6:7], off offset:-4096
	global_load_b64 v[6:7], v[6:7], off
	global_load_b64 v[18:19], v[12:13], off offset:-4096
	global_load_b64 v[12:13], v[12:13], off
	global_load_b64 v[4:5], v[4:5], off offset:2048
	global_load_b64 v[8:9], v[8:9], off offset:2048
	;; [unrolled: 1-line block ×4, first 2 shown]
	global_load_b64 v[28:29], v[22:23], off offset:-4096
	global_load_b64 v[20:21], v[20:21], off offset:2048
	global_load_b64 v[22:23], v[22:23], off
	global_load_b64 v[24:25], v[24:25], off offset:2048
	global_load_b64 v[30:31], v[26:27], off
	global_load_b64 v[26:27], v[26:27], off offset:2048
	v_lshrrev_b32_e32 v34, 2, v108
	v_lshrrev_b32_e32 v35, 2, v107
	v_lshrrev_b32_e32 v36, 2, v106
	v_lshrrev_b32_e32 v37, 2, v105
	v_and_b32_e32 v33, 56, v32
	v_lshrrev_b32_e32 v38, 2, v104
	v_lshrrev_b32_e32 v39, 2, v103
	;; [unrolled: 1-line block ×11, first 2 shown]
	v_and_b32_e32 v34, 0x78, v34
	v_and_b32_e32 v35, 0xb8, v35
	;; [unrolled: 1-line block ×4, first 2 shown]
	v_add_nc_u32_e32 v33, v33, v109
	v_and_b32_e32 v38, 0x178, v38
	v_and_b32_e32 v39, 0x1b8, v39
	;; [unrolled: 1-line block ×11, first 2 shown]
	v_add_nc_u32_e32 v34, v34, v109
	v_add_nc_u32_e32 v35, v35, v109
	;; [unrolled: 1-line block ×4, first 2 shown]
	s_mov_b32 s1, 0
	v_add_nc_u32_e32 v38, v38, v109
	v_add_nc_u32_e32 v39, v39, v109
	;; [unrolled: 1-line block ×11, first 2 shown]
	s_waitcnt vmcnt(15)
	ds_store_b64 v33, v[0:1]
	s_waitcnt vmcnt(14)
	ds_store_b64 v34, v[2:3] offset:2048
	s_waitcnt vmcnt(13)
	ds_store_b64 v35, v[16:17] offset:4096
	;; [unrolled: 2-line block ×3, first 2 shown]
	ds_store_b64 v37, v[6:7] offset:8192
	s_waitcnt vmcnt(8)
	ds_store_b64 v38, v[8:9] offset:10240
	ds_store_b64 v39, v[18:19] offset:12288
	s_waitcnt vmcnt(7)
	ds_store_b64 v40, v[10:11] offset:14336
	;; [unrolled: 3-line block ×3, first 2 shown]
	s_waitcnt vmcnt(5)
	ds_store_b64 v43, v[28:29] offset:20480
	s_waitcnt vmcnt(4)
	ds_store_b64 v44, v[20:21] offset:22528
	;; [unrolled: 2-line block ×6, first 2 shown]
	s_waitcnt lgkmcnt(0)
	s_barrier
.LBB321_2:
	s_load_b64 s[26:27], s[8:9], 0x30
	v_cmp_gt_u32_e64 s0, s28, v59
	s_and_not1_b32 vcc_lo, exec_lo, s1
	s_cbranch_vccnz .LBB321_36
; %bb.3:
	s_load_b64 s[4:5], s[2:3], 0x0
	s_waitcnt lgkmcnt(0)
	v_dual_mov_b32 v1, s5 :: v_dual_mov_b32 v0, s4
	s_and_saveexec_b32 s1, s0
	s_cbranch_execz .LBB321_5
; %bb.4:
	global_load_b64 v[0:1], v109, s[2:3]
.LBB321_5:
	s_or_b32 exec_lo, exec_lo, s1
	v_dual_mov_b32 v3, s5 :: v_dual_mov_b32 v2, s4
	s_mov_b32 s0, exec_lo
	v_cmpx_gt_u32_e64 s28, v108
	s_cbranch_execz .LBB321_7
; %bb.6:
	global_load_b64 v[2:3], v109, s[2:3] offset:2048
.LBB321_7:
	s_or_b32 exec_lo, exec_lo, s0
	v_dual_mov_b32 v5, s5 :: v_dual_mov_b32 v4, s4
	s_mov_b32 s0, exec_lo
	v_cmpx_gt_u32_e64 s28, v107
	s_cbranch_execz .LBB321_9
; %bb.8:
	v_lshlrev_b32_e32 v4, 3, v107
	global_load_b64 v[4:5], v4, s[2:3]
.LBB321_9:
	s_or_b32 exec_lo, exec_lo, s0
	v_dual_mov_b32 v9, s5 :: v_dual_mov_b32 v8, s4
	s_mov_b32 s0, exec_lo
	v_cmpx_gt_u32_e64 s28, v106
	s_cbranch_execz .LBB321_11
; %bb.10:
	v_lshlrev_b32_e32 v6, 3, v106
	global_load_b64 v[8:9], v6, s[2:3]
.LBB321_11:
	s_or_b32 exec_lo, exec_lo, s0
	v_dual_mov_b32 v7, s5 :: v_dual_mov_b32 v6, s4
	s_mov_b32 s0, exec_lo
	v_cmpx_gt_u32_e64 s28, v105
	s_cbranch_execz .LBB321_13
; %bb.12:
	v_lshlrev_b32_e32 v6, 3, v105
	global_load_b64 v[6:7], v6, s[2:3]
.LBB321_13:
	s_or_b32 exec_lo, exec_lo, s0
	v_dual_mov_b32 v11, s5 :: v_dual_mov_b32 v10, s4
	s_mov_b32 s0, exec_lo
	v_cmpx_gt_u32_e64 s28, v104
	s_cbranch_execz .LBB321_15
; %bb.14:
	v_lshlrev_b32_e32 v10, 3, v104
	global_load_b64 v[10:11], v10, s[2:3]
.LBB321_15:
	s_or_b32 exec_lo, exec_lo, s0
	v_dual_mov_b32 v15, s5 :: v_dual_mov_b32 v14, s4
	s_mov_b32 s0, exec_lo
	v_cmpx_gt_u32_e64 s28, v103
	s_cbranch_execz .LBB321_17
; %bb.16:
	v_lshlrev_b32_e32 v12, 3, v103
	global_load_b64 v[14:15], v12, s[2:3]
.LBB321_17:
	s_or_b32 exec_lo, exec_lo, s0
	v_dual_mov_b32 v19, s5 :: v_dual_mov_b32 v18, s4
	s_mov_b32 s0, exec_lo
	v_cmpx_gt_u32_e64 s28, v102
	s_cbranch_execz .LBB321_19
; %bb.18:
	v_lshlrev_b32_e32 v12, 3, v102
	global_load_b64 v[18:19], v12, s[2:3]
.LBB321_19:
	s_or_b32 exec_lo, exec_lo, s0
	v_dual_mov_b32 v13, s5 :: v_dual_mov_b32 v12, s4
	s_mov_b32 s0, exec_lo
	v_cmpx_gt_u32_e64 s28, v101
	s_cbranch_execz .LBB321_21
; %bb.20:
	v_lshlrev_b32_e32 v12, 3, v101
	global_load_b64 v[12:13], v12, s[2:3]
.LBB321_21:
	s_or_b32 exec_lo, exec_lo, s0
	v_dual_mov_b32 v17, s5 :: v_dual_mov_b32 v16, s4
	s_mov_b32 s0, exec_lo
	v_cmpx_gt_u32_e64 s28, v100
	s_cbranch_execz .LBB321_23
; %bb.22:
	v_lshlrev_b32_e32 v16, 3, v100
	global_load_b64 v[16:17], v16, s[2:3]
.LBB321_23:
	s_or_b32 exec_lo, exec_lo, s0
	v_dual_mov_b32 v21, s5 :: v_dual_mov_b32 v20, s4
	s_mov_b32 s0, exec_lo
	v_cmpx_gt_u32_e64 s28, v99
	s_cbranch_execz .LBB321_25
; %bb.24:
	v_lshlrev_b32_e32 v20, 3, v99
	global_load_b64 v[20:21], v20, s[2:3]
.LBB321_25:
	s_or_b32 exec_lo, exec_lo, s0
	v_dual_mov_b32 v23, s5 :: v_dual_mov_b32 v22, s4
	s_mov_b32 s0, exec_lo
	v_cmpx_gt_u32_e64 s28, v98
	s_cbranch_execz .LBB321_27
; %bb.26:
	v_lshlrev_b32_e32 v22, 3, v98
	global_load_b64 v[22:23], v22, s[2:3]
.LBB321_27:
	s_or_b32 exec_lo, exec_lo, s0
	v_dual_mov_b32 v25, s5 :: v_dual_mov_b32 v24, s4
	s_mov_b32 s0, exec_lo
	v_cmpx_gt_u32_e64 s28, v97
	s_cbranch_execz .LBB321_29
; %bb.28:
	v_lshlrev_b32_e32 v24, 3, v97
	global_load_b64 v[24:25], v24, s[2:3]
.LBB321_29:
	s_or_b32 exec_lo, exec_lo, s0
	v_dual_mov_b32 v27, s5 :: v_dual_mov_b32 v26, s4
	s_mov_b32 s0, exec_lo
	v_cmpx_gt_u32_e64 s28, v96
	s_cbranch_execz .LBB321_31
; %bb.30:
	v_lshlrev_b32_e32 v26, 3, v96
	global_load_b64 v[26:27], v26, s[2:3]
.LBB321_31:
	s_or_b32 exec_lo, exec_lo, s0
	v_dual_mov_b32 v29, s5 :: v_dual_mov_b32 v28, s4
	s_mov_b32 s0, exec_lo
	v_cmpx_gt_u32_e64 s28, v95
	s_cbranch_execz .LBB321_33
; %bb.32:
	v_lshlrev_b32_e32 v28, 3, v95
	global_load_b64 v[28:29], v28, s[2:3]
.LBB321_33:
	s_or_b32 exec_lo, exec_lo, s0
	v_dual_mov_b32 v31, s5 :: v_dual_mov_b32 v30, s4
	s_mov_b32 s0, exec_lo
	v_cmpx_gt_u32_e64 s28, v94
	s_cbranch_execz .LBB321_35
; %bb.34:
	v_lshlrev_b32_e32 v30, 3, v94
	global_load_b64 v[30:31], v30, s[2:3]
.LBB321_35:
	s_or_b32 exec_lo, exec_lo, s0
	v_lshrrev_b32_e32 v33, 2, v108
	v_lshrrev_b32_e32 v34, 2, v107
	;; [unrolled: 1-line block ×3, first 2 shown]
	v_and_b32_e32 v32, 56, v32
	v_lshrrev_b32_e32 v36, 2, v105
	v_and_b32_e32 v33, 0x78, v33
	v_and_b32_e32 v34, 0xf8, v34
	;; [unrolled: 1-line block ×3, first 2 shown]
	v_lshrrev_b32_e32 v37, 2, v104
	v_add_nc_u32_e32 v32, v32, v109
	v_add_nc_u32_e32 v33, v33, v109
	v_lshrrev_b32_e32 v38, 2, v103
	v_add_nc_u32_e32 v34, v34, v109
	v_lshrrev_b32_e32 v39, 2, v102
	v_add_nc_u32_e32 v35, v35, v109
	v_and_b32_e32 v36, 0x1f8, v36
	v_and_b32_e32 v37, 0x1f8, v37
	s_waitcnt vmcnt(0)
	ds_store_b64 v32, v[0:1]
	ds_store_b64 v33, v[2:3] offset:2048
	ds_store_b64 v34, v[4:5] offset:4096
	;; [unrolled: 1-line block ×3, first 2 shown]
	v_lshrrev_b32_e32 v4, 2, v101
	v_and_b32_e32 v2, 0x1f8, v38
	v_lshrrev_b32_e32 v5, 2, v100
	v_and_b32_e32 v3, 0x1f8, v39
	v_add_nc_u32_e32 v0, v36, v109
	v_add_nc_u32_e32 v1, v37, v109
	v_and_b32_e32 v4, 0x3f8, v4
	v_add_nc_u32_e32 v2, v2, v109
	v_and_b32_e32 v5, 0x3f8, v5
	v_add_nc_u32_e32 v3, v3, v109
	v_lshrrev_b32_e32 v8, 2, v99
	ds_store_b64 v0, v[6:7] offset:8192
	ds_store_b64 v1, v[10:11] offset:10240
	;; [unrolled: 1-line block ×4, first 2 shown]
	v_lshrrev_b32_e32 v3, 2, v98
	v_add_nc_u32_e32 v0, v4, v109
	v_lshrrev_b32_e32 v4, 2, v97
	v_add_nc_u32_e32 v1, v5, v109
	v_lshrrev_b32_e32 v5, 2, v96
	v_lshrrev_b32_e32 v6, 2, v95
	;; [unrolled: 1-line block ×3, first 2 shown]
	v_and_b32_e32 v8, 0x3f8, v8
	v_and_b32_e32 v3, 0x3f8, v3
	;; [unrolled: 1-line block ×6, first 2 shown]
	v_add_nc_u32_e32 v2, v8, v109
	v_add_nc_u32_e32 v3, v3, v109
	;; [unrolled: 1-line block ×6, first 2 shown]
	ds_store_b64 v0, v[12:13] offset:16384
	ds_store_b64 v1, v[16:17] offset:18432
	;; [unrolled: 1-line block ×8, first 2 shown]
	s_waitcnt lgkmcnt(0)
	s_barrier
.LBB321_36:
	v_lshlrev_b32_e32 v0, 4, v59
	v_lshrrev_b32_e32 v110, 1, v59
	s_waitcnt lgkmcnt(0)
	buffer_gl0_inv
	s_cmp_lg_u32 s15, 0
	v_add_lshl_u32 v0, v110, v0, 3
	ds_load_2addr_b64 v[22:25], v0 offset1:1
	ds_load_2addr_b64 v[50:53], v0 offset0:2 offset1:3
	ds_load_2addr_b64 v[46:49], v0 offset0:4 offset1:5
	ds_load_2addr_b64 v[42:45], v0 offset0:6 offset1:7
	ds_load_2addr_b64 v[38:41], v0 offset0:8 offset1:9
	ds_load_2addr_b64 v[34:37], v0 offset0:10 offset1:11
	ds_load_2addr_b64 v[30:33], v0 offset0:12 offset1:13
	ds_load_2addr_b64 v[26:29], v0 offset0:14 offset1:15
	s_waitcnt lgkmcnt(0)
	s_barrier
	buffer_gl0_inv
	s_cbranch_scc0 .LBB321_92
; %bb.37:
	v_dual_mov_b32 v0, v22 :: v_dual_mov_b32 v1, v23
	v_dual_mov_b32 v2, v24 :: v_dual_mov_b32 v3, v25
	s_getpc_b64 s[10:11]
	s_add_u32 s10, s10, _ZZZZN2at6native31launch_logcumsumexp_cuda_kernelERKNS_10TensorBaseES3_lENKUlvE_clEvENKUlvE2_clEvENKUlN3c107complexIfEES8_E_clES8_S8_@rel32@lo+4
	s_addc_u32 s11, s11, _ZZZZN2at6native31launch_logcumsumexp_cuda_kernelERKNS_10TensorBaseES3_lENKUlvE_clEvENKUlvE2_clEvENKUlN3c107complexIfEES8_E_clES8_S8_@rel32@hi+12
	s_delay_alu instid0(SALU_CYCLE_1)
	s_swappc_b64 s[30:31], s[10:11]
	v_dual_mov_b32 v2, v50 :: v_dual_mov_b32 v3, v51
	s_swappc_b64 s[30:31], s[10:11]
	v_dual_mov_b32 v2, v52 :: v_dual_mov_b32 v3, v53
	;; [unrolled: 2-line block ×15, first 2 shown]
	v_lshrrev_b32_e32 v0, 5, v59
	v_cmp_gt_u32_e64 s12, 32, v59
	s_delay_alu instid0(VALU_DEP_2)
	v_add_lshl_u32 v0, v0, v59, 3
	ds_store_b64 v0, v[60:61]
	s_waitcnt lgkmcnt(0)
	s_waitcnt_vscnt null, 0x0
	s_barrier
	buffer_gl0_inv
	s_and_saveexec_b32 s13, s12
	s_cbranch_execz .LBB321_49
; %bb.38:
	v_lshlrev_b32_e32 v0, 1, v59
	s_delay_alu instid0(VALU_DEP_1) | instskip(NEXT) | instid1(VALU_DEP_1)
	v_and_b32_e32 v0, 0x1f8, v0
	v_lshl_or_b32 v58, v59, 6, v0
	ds_load_b64 v[54:55], v58
	ds_load_2addr_b64 v[62:65], v58 offset0:1 offset1:2
	s_waitcnt lgkmcnt(0)
	v_dual_mov_b32 v0, v54 :: v_dual_mov_b32 v3, v63
	v_dual_mov_b32 v1, v55 :: v_dual_mov_b32 v2, v62
	s_swappc_b64 s[30:31], s[10:11]
	v_dual_mov_b32 v2, v64 :: v_dual_mov_b32 v3, v65
	s_swappc_b64 s[30:31], s[10:11]
	ds_load_2addr_b64 v[62:65], v58 offset0:3 offset1:4
	s_waitcnt lgkmcnt(0)
	v_dual_mov_b32 v2, v62 :: v_dual_mov_b32 v3, v63
	s_swappc_b64 s[30:31], s[10:11]
	v_dual_mov_b32 v2, v64 :: v_dual_mov_b32 v3, v65
	s_swappc_b64 s[30:31], s[10:11]
	ds_load_2addr_b64 v[62:65], v58 offset0:5 offset1:6
	s_waitcnt lgkmcnt(0)
	v_dual_mov_b32 v2, v62 :: v_dual_mov_b32 v3, v63
	s_swappc_b64 s[30:31], s[10:11]
	v_dual_mov_b32 v2, v64 :: v_dual_mov_b32 v3, v65
	s_swappc_b64 s[30:31], s[10:11]
	ds_load_b64 v[2:3], v58 offset:56
	s_swappc_b64 s[30:31], s[10:11]
	v_dual_mov_b32 v2, v0 :: v_dual_mov_b32 v3, v1
	v_mbcnt_lo_u32_b32 v56, -1, 0
	s_mov_b32 s10, exec_lo
	s_delay_alu instid0(VALU_DEP_2) | instskip(NEXT) | instid1(VALU_DEP_3)
	v_mov_b32_dpp v0, v2 row_shr:1 row_mask:0xf bank_mask:0xf
	v_mov_b32_dpp v1, v3 row_shr:1 row_mask:0xf bank_mask:0xf
	s_delay_alu instid0(VALU_DEP_3) | instskip(NEXT) | instid1(VALU_DEP_1)
	v_and_b32_e32 v57, 15, v56
	v_cmpx_ne_u32_e32 0, v57
	s_cbranch_execz .LBB321_40
; %bb.39:
	s_getpc_b64 s[0:1]
	s_add_u32 s0, s0, _ZZZZN2at6native31launch_logcumsumexp_cuda_kernelERKNS_10TensorBaseES3_lENKUlvE_clEvENKUlvE2_clEvENKUlN3c107complexIfEES8_E_clES8_S8_@rel32@lo+4
	s_addc_u32 s1, s1, _ZZZZN2at6native31launch_logcumsumexp_cuda_kernelERKNS_10TensorBaseES3_lENKUlvE_clEvENKUlvE2_clEvENKUlN3c107complexIfEES8_E_clES8_S8_@rel32@hi+12
	s_delay_alu instid0(SALU_CYCLE_1)
	s_swappc_b64 s[30:31], s[0:1]
	v_dual_mov_b32 v2, v0 :: v_dual_mov_b32 v3, v1
.LBB321_40:
	s_or_b32 exec_lo, exec_lo, s10
	s_delay_alu instid0(VALU_DEP_1) | instskip(NEXT) | instid1(VALU_DEP_2)
	v_mov_b32_dpp v0, v2 row_shr:2 row_mask:0xf bank_mask:0xf
	v_mov_b32_dpp v1, v3 row_shr:2 row_mask:0xf bank_mask:0xf
	s_mov_b32 s10, exec_lo
	v_cmpx_lt_u32_e32 1, v57
	s_cbranch_execz .LBB321_42
; %bb.41:
	s_getpc_b64 s[0:1]
	s_add_u32 s0, s0, _ZZZZN2at6native31launch_logcumsumexp_cuda_kernelERKNS_10TensorBaseES3_lENKUlvE_clEvENKUlvE2_clEvENKUlN3c107complexIfEES8_E_clES8_S8_@rel32@lo+4
	s_addc_u32 s1, s1, _ZZZZN2at6native31launch_logcumsumexp_cuda_kernelERKNS_10TensorBaseES3_lENKUlvE_clEvENKUlvE2_clEvENKUlN3c107complexIfEES8_E_clES8_S8_@rel32@hi+12
	s_delay_alu instid0(SALU_CYCLE_1)
	s_swappc_b64 s[30:31], s[0:1]
	v_dual_mov_b32 v2, v0 :: v_dual_mov_b32 v3, v1
.LBB321_42:
	s_or_b32 exec_lo, exec_lo, s10
	s_delay_alu instid0(VALU_DEP_1) | instskip(NEXT) | instid1(VALU_DEP_2)
	v_mov_b32_dpp v0, v2 row_shr:4 row_mask:0xf bank_mask:0xf
	v_mov_b32_dpp v1, v3 row_shr:4 row_mask:0xf bank_mask:0xf
	s_mov_b32 s10, exec_lo
	v_cmpx_lt_u32_e32 3, v57
	;; [unrolled: 15-line block ×3, first 2 shown]
	s_cbranch_execz .LBB321_46
; %bb.45:
	s_getpc_b64 s[0:1]
	s_add_u32 s0, s0, _ZZZZN2at6native31launch_logcumsumexp_cuda_kernelERKNS_10TensorBaseES3_lENKUlvE_clEvENKUlvE2_clEvENKUlN3c107complexIfEES8_E_clES8_S8_@rel32@lo+4
	s_addc_u32 s1, s1, _ZZZZN2at6native31launch_logcumsumexp_cuda_kernelERKNS_10TensorBaseES3_lENKUlvE_clEvENKUlvE2_clEvENKUlN3c107complexIfEES8_E_clES8_S8_@rel32@hi+12
	s_delay_alu instid0(SALU_CYCLE_1)
	s_swappc_b64 s[30:31], s[0:1]
	v_dual_mov_b32 v2, v0 :: v_dual_mov_b32 v3, v1
.LBB321_46:
	s_or_b32 exec_lo, exec_lo, s10
	ds_swizzle_b32 v0, v2 offset:swizzle(BROADCAST,32,15)
	ds_swizzle_b32 v1, v3 offset:swizzle(BROADCAST,32,15)
	v_and_b32_e32 v4, 16, v56
	s_mov_b32 s10, exec_lo
	s_delay_alu instid0(VALU_DEP_1)
	v_cmpx_ne_u32_e32 0, v4
	s_cbranch_execz .LBB321_48
; %bb.47:
	s_getpc_b64 s[0:1]
	s_add_u32 s0, s0, _ZZZZN2at6native31launch_logcumsumexp_cuda_kernelERKNS_10TensorBaseES3_lENKUlvE_clEvENKUlvE2_clEvENKUlN3c107complexIfEES8_E_clES8_S8_@rel32@lo+4
	s_addc_u32 s1, s1, _ZZZZN2at6native31launch_logcumsumexp_cuda_kernelERKNS_10TensorBaseES3_lENKUlvE_clEvENKUlvE2_clEvENKUlN3c107complexIfEES8_E_clES8_S8_@rel32@hi+12
	s_delay_alu instid0(SALU_CYCLE_1)
	s_swappc_b64 s[30:31], s[0:1]
	v_dual_mov_b32 v2, v0 :: v_dual_mov_b32 v3, v1
.LBB321_48:
	s_or_b32 exec_lo, exec_lo, s10
	s_waitcnt lgkmcnt(1)
	v_add_nc_u32_e32 v0, -1, v56
	s_getpc_b64 s[10:11]
	s_add_u32 s10, s10, _ZZZZN2at6native31launch_logcumsumexp_cuda_kernelERKNS_10TensorBaseES3_lENKUlvE_clEvENKUlvE2_clEvENKUlN3c107complexIfEES8_E_clES8_S8_@rel32@lo+4
	s_addc_u32 s11, s11, _ZZZZN2at6native31launch_logcumsumexp_cuda_kernelERKNS_10TensorBaseES3_lENKUlvE_clEvENKUlvE2_clEvENKUlN3c107complexIfEES8_E_clES8_S8_@rel32@hi+12
	s_delay_alu instid0(VALU_DEP_1) | instskip(SKIP_2) | instid1(VALU_DEP_1)
	v_cmp_gt_i32_e32 vcc_lo, 0, v0
	v_cndmask_b32_e32 v0, v0, v56, vcc_lo
	s_waitcnt lgkmcnt(0)
	v_lshlrev_b32_e32 v1, 2, v0
	ds_bpermute_b32 v0, v1, v2
	v_mov_b32_e32 v2, v54
	ds_bpermute_b32 v1, v1, v3
	v_mov_b32_e32 v3, v55
	s_swappc_b64 s[30:31], s[10:11]
	v_cmp_eq_u32_e32 vcc_lo, 0, v59
	; wave barrier
	v_dual_cndmask_b32 v0, v0, v60 :: v_dual_cndmask_b32 v1, v1, v61
	ds_store_b64 v58, v[0:1]
	; wave barrier
	ds_load_2addr_b64 v[54:57], v58 offset0:1 offset1:2
	s_waitcnt lgkmcnt(0)
	v_dual_mov_b32 v2, v54 :: v_dual_mov_b32 v3, v55
	s_swappc_b64 s[30:31], s[10:11]
	v_dual_mov_b32 v2, v56 :: v_dual_mov_b32 v3, v57
	v_dual_mov_b32 v62, v0 :: v_dual_mov_b32 v63, v1
	s_swappc_b64 s[30:31], s[10:11]
	ds_load_2addr_b64 v[54:57], v58 offset0:3 offset1:4
	ds_store_2addr_b64 v58, v[62:63], v[0:1] offset0:1 offset1:2
	s_waitcnt lgkmcnt(1)
	v_dual_mov_b32 v2, v54 :: v_dual_mov_b32 v3, v55
	s_swappc_b64 s[30:31], s[10:11]
	v_dual_mov_b32 v2, v56 :: v_dual_mov_b32 v3, v57
	v_dual_mov_b32 v62, v0 :: v_dual_mov_b32 v63, v1
	s_swappc_b64 s[30:31], s[10:11]
	ds_load_2addr_b64 v[54:57], v58 offset0:5 offset1:6
	ds_store_2addr_b64 v58, v[62:63], v[0:1] offset0:3 offset1:4
	s_waitcnt lgkmcnt(1)
	v_dual_mov_b32 v2, v54 :: v_dual_mov_b32 v3, v55
	s_swappc_b64 s[30:31], s[10:11]
	v_dual_mov_b32 v2, v56 :: v_dual_mov_b32 v3, v57
	v_dual_mov_b32 v54, v0 :: v_dual_mov_b32 v55, v1
	s_swappc_b64 s[30:31], s[10:11]
	ds_load_b64 v[2:3], v58 offset:56
	ds_store_2addr_b64 v58, v[54:55], v[0:1] offset0:5 offset1:6
	s_swappc_b64 s[30:31], s[10:11]
	ds_store_b64 v58, v[0:1] offset:56
.LBB321_49:
	s_or_b32 exec_lo, exec_lo, s13
	v_cmp_eq_u32_e64 s11, 0, v59
	v_cmp_ne_u32_e64 s10, 0, v59
	s_waitcnt lgkmcnt(0)
	s_waitcnt_vscnt null, 0x0
	s_barrier
	buffer_gl0_inv
	s_and_saveexec_b32 s0, s10
	s_cbranch_execz .LBB321_51
; %bb.50:
	v_add_nc_u32_e32 v0, -1, v59
	s_delay_alu instid0(VALU_DEP_1) | instskip(NEXT) | instid1(VALU_DEP_1)
	v_lshrrev_b32_e32 v1, 5, v0
	v_add_lshl_u32 v0, v1, v0, 3
	ds_load_b64 v[60:61], v0
.LBB321_51:
	s_or_b32 exec_lo, exec_lo, s0
	s_and_saveexec_b32 s13, s12
	s_cbranch_execz .LBB321_97
; %bb.52:
	v_mov_b32_e32 v57, 0
	v_mbcnt_lo_u32_b32 v67, -1, 0
	s_mov_b32 s1, 0
	ds_load_b64 v[54:55], v57 offset:2096
	v_cmp_eq_u32_e64 s12, 0, v67
	s_waitcnt lgkmcnt(0)
	v_readfirstlane_b32 s14, v55
	s_delay_alu instid0(VALU_DEP_2)
	s_and_saveexec_b32 s2, s12
	s_cbranch_execz .LBB321_54
; %bb.53:
	s_add_i32 s0, s15, 32
	s_mov_b32 s6, s1
	s_lshl_b64 s[4:5], s[0:1], 4
	s_mov_b32 s16, s1
	s_add_u32 s4, s26, s4
	s_addc_u32 s5, s27, s5
	s_and_b32 s7, s14, 0xff000000
	s_and_b32 s17, s14, 0xff0000
	v_dual_mov_b32 v0, s4 :: v_dual_mov_b32 v1, s5
	s_or_b64 s[6:7], s[16:17], s[6:7]
	s_and_b32 s17, s14, 0xff00
	v_mov_b32_e32 v56, 1
	s_or_b64 s[6:7], s[6:7], s[16:17]
	s_and_b32 s17, s14, 0xff
	s_delay_alu instid0(SALU_CYCLE_1) | instskip(NEXT) | instid1(SALU_CYCLE_1)
	s_or_b64 s[0:1], s[6:7], s[16:17]
	v_mov_b32_e32 v55, s1
	;;#ASMSTART
	global_store_dwordx4 v[0:1], v[54:57] off	
s_waitcnt vmcnt(0)
	;;#ASMEND
.LBB321_54:
	s_or_b32 exec_lo, exec_lo, s2
	v_xad_u32 v65, v67, -1, s15
	s_mov_b32 s0, exec_lo
	s_delay_alu instid0(VALU_DEP_1) | instskip(NEXT) | instid1(VALU_DEP_1)
	v_add_nc_u32_e32 v56, 32, v65
	v_lshlrev_b64 v[0:1], 4, v[56:57]
	s_delay_alu instid0(VALU_DEP_1) | instskip(NEXT) | instid1(VALU_DEP_2)
	v_add_co_u32 v0, vcc_lo, s26, v0
	v_add_co_ci_u32_e32 v1, vcc_lo, s27, v1, vcc_lo
	;;#ASMSTART
	global_load_dwordx4 v[55:58], v[0:1] off glc	
s_waitcnt vmcnt(0)
	;;#ASMEND
	v_perm_b32 v2, v56, v57, 0x70605
	v_perm_b32 v3, v56, v57, 0x1000706
	v_perm_b32 v4, v56, v57, 0x2010007
	v_and_b32_e32 v5, 0xff, v57
	s_delay_alu instid0(VALU_DEP_4) | instskip(NEXT) | instid1(VALU_DEP_4)
	v_lshlrev_b32_e32 v2, 8, v2
	v_lshlrev_b32_e32 v3, 16, v3
	s_delay_alu instid0(VALU_DEP_4) | instskip(NEXT) | instid1(VALU_DEP_3)
	v_lshlrev_b32_e32 v4, 24, v4
	v_perm_b32 v2, v2, v56, 0xc0c0500
	s_delay_alu instid0(VALU_DEP_3) | instskip(NEXT) | instid1(VALU_DEP_1)
	v_and_b32_e32 v3, 0xff0000, v3
	v_or3_b32 v58, v2, v3, v4
	v_cmpx_eq_u16_e32 0, v5
	s_cbranch_execz .LBB321_60
; %bb.55:
	s_mov_b32 s2, 1
	s_mov_b32 s1, 0
	.p2align	6
.LBB321_56:                             ; =>This Loop Header: Depth=1
                                        ;     Child Loop BB321_57 Depth 2
	s_max_u32 s3, s2, 1
.LBB321_57:                             ;   Parent Loop BB321_56 Depth=1
                                        ; =>  This Inner Loop Header: Depth=2
	s_delay_alu instid0(SALU_CYCLE_1)
	s_add_i32 s3, s3, -1
	s_sleep 1
	s_cmp_eq_u32 s3, 0
	s_cbranch_scc0 .LBB321_57
; %bb.58:                               ;   in Loop: Header=BB321_56 Depth=1
	;;#ASMSTART
	global_load_dwordx4 v[55:58], v[0:1] off glc	
s_waitcnt vmcnt(0)
	;;#ASMEND
	v_and_b32_e32 v2, 0xff, v57
	s_cmp_lt_u32 s2, 32
	s_cselect_b32 s3, -1, 0
	s_delay_alu instid0(VALU_DEP_1) | instskip(SKIP_3) | instid1(SALU_CYCLE_1)
	v_cmp_ne_u16_e32 vcc_lo, 0, v2
	s_cmp_lg_u32 s3, 0
	s_addc_u32 s2, s2, 0
	s_or_b32 s1, vcc_lo, s1
	s_and_not1_b32 exec_lo, exec_lo, s1
	s_cbranch_execnz .LBB321_56
; %bb.59:
	s_or_b32 exec_lo, exec_lo, s1
	v_perm_b32 v0, v56, v57, 0x70605
	v_perm_b32 v1, v56, v57, 0x1000706
	;; [unrolled: 1-line block ×3, first 2 shown]
	s_delay_alu instid0(VALU_DEP_3) | instskip(NEXT) | instid1(VALU_DEP_3)
	v_lshlrev_b32_e32 v0, 8, v0
	v_lshlrev_b32_e32 v1, 16, v1
	s_delay_alu instid0(VALU_DEP_3) | instskip(NEXT) | instid1(VALU_DEP_3)
	v_lshlrev_b32_e32 v2, 24, v2
	v_perm_b32 v0, v0, v56, 0xc0c0500
	s_delay_alu instid0(VALU_DEP_3) | instskip(NEXT) | instid1(VALU_DEP_1)
	v_and_b32_e32 v1, 0xff0000, v1
	v_or3_b32 v58, v0, v1, v2
.LBB321_60:
	s_or_b32 exec_lo, exec_lo, s0
	v_cmp_ne_u32_e32 vcc_lo, 31, v67
	v_and_b32_e32 v1, 0xff, v57
	v_lshlrev_b32_e64 v69, v67, -1
	s_mov_b32 s16, exec_lo
	v_add_co_ci_u32_e32 v0, vcc_lo, 0, v67, vcc_lo
	s_delay_alu instid0(VALU_DEP_3) | instskip(NEXT) | instid1(VALU_DEP_2)
	v_cmp_eq_u16_e32 vcc_lo, 2, v1
	v_lshlrev_b32_e32 v68, 2, v0
	v_and_or_b32 v2, vcc_lo, v69, 0x80000000
	ds_bpermute_b32 v0, v68, v55
	ds_bpermute_b32 v1, v68, v58
	v_ctz_i32_b32_e32 v62, v2
	s_delay_alu instid0(VALU_DEP_1)
	v_cmpx_lt_u32_e64 v67, v62
	s_cbranch_execz .LBB321_62
; %bb.61:
	v_dual_mov_b32 v2, v55 :: v_dual_mov_b32 v3, v58
	s_getpc_b64 s[0:1]
	s_add_u32 s0, s0, _ZZZZN2at6native31launch_logcumsumexp_cuda_kernelERKNS_10TensorBaseES3_lENKUlvE_clEvENKUlvE2_clEvENKUlN3c107complexIfEES8_E_clES8_S8_@rel32@lo+4
	s_addc_u32 s1, s1, _ZZZZN2at6native31launch_logcumsumexp_cuda_kernelERKNS_10TensorBaseES3_lENKUlvE_clEvENKUlvE2_clEvENKUlN3c107complexIfEES8_E_clES8_S8_@rel32@hi+12
	s_delay_alu instid0(SALU_CYCLE_1)
	s_swappc_b64 s[30:31], s[0:1]
	v_dual_mov_b32 v55, v0 :: v_dual_mov_b32 v58, v1
.LBB321_62:
	s_or_b32 exec_lo, exec_lo, s16
	v_cmp_gt_u32_e32 vcc_lo, 30, v67
	v_add_nc_u32_e32 v71, 2, v67
	s_mov_b32 s16, exec_lo
	s_waitcnt lgkmcnt(1)
	v_cndmask_b32_e64 v0, 0, 1, vcc_lo
	s_delay_alu instid0(VALU_DEP_1) | instskip(NEXT) | instid1(VALU_DEP_1)
	v_lshlrev_b32_e32 v0, 1, v0
	v_add_lshl_u32 v70, v0, v67, 2
	ds_bpermute_b32 v0, v70, v55
	s_waitcnt lgkmcnt(1)
	ds_bpermute_b32 v1, v70, v58
	v_cmpx_le_u32_e64 v71, v62
	s_cbranch_execz .LBB321_64
; %bb.63:
	v_dual_mov_b32 v2, v55 :: v_dual_mov_b32 v3, v58
	s_getpc_b64 s[0:1]
	s_add_u32 s0, s0, _ZZZZN2at6native31launch_logcumsumexp_cuda_kernelERKNS_10TensorBaseES3_lENKUlvE_clEvENKUlvE2_clEvENKUlN3c107complexIfEES8_E_clES8_S8_@rel32@lo+4
	s_addc_u32 s1, s1, _ZZZZN2at6native31launch_logcumsumexp_cuda_kernelERKNS_10TensorBaseES3_lENKUlvE_clEvENKUlvE2_clEvENKUlN3c107complexIfEES8_E_clES8_S8_@rel32@hi+12
	s_delay_alu instid0(SALU_CYCLE_1)
	s_swappc_b64 s[30:31], s[0:1]
	v_dual_mov_b32 v55, v0 :: v_dual_mov_b32 v58, v1
.LBB321_64:
	s_or_b32 exec_lo, exec_lo, s16
	v_cmp_gt_u32_e32 vcc_lo, 28, v67
	v_add_nc_u32_e32 v73, 4, v67
	s_mov_b32 s16, exec_lo
	s_waitcnt lgkmcnt(1)
	v_cndmask_b32_e64 v0, 0, 1, vcc_lo
	s_delay_alu instid0(VALU_DEP_1) | instskip(NEXT) | instid1(VALU_DEP_1)
	v_lshlrev_b32_e32 v0, 2, v0
	v_add_lshl_u32 v72, v0, v67, 2
	ds_bpermute_b32 v0, v72, v55
	s_waitcnt lgkmcnt(1)
	ds_bpermute_b32 v1, v72, v58
	v_cmpx_le_u32_e64 v73, v62
	;; [unrolled: 23-line block ×3, first 2 shown]
	s_cbranch_execz .LBB321_68
; %bb.67:
	v_dual_mov_b32 v2, v55 :: v_dual_mov_b32 v3, v58
	s_getpc_b64 s[0:1]
	s_add_u32 s0, s0, _ZZZZN2at6native31launch_logcumsumexp_cuda_kernelERKNS_10TensorBaseES3_lENKUlvE_clEvENKUlvE2_clEvENKUlN3c107complexIfEES8_E_clES8_S8_@rel32@lo+4
	s_addc_u32 s1, s1, _ZZZZN2at6native31launch_logcumsumexp_cuda_kernelERKNS_10TensorBaseES3_lENKUlvE_clEvENKUlvE2_clEvENKUlN3c107complexIfEES8_E_clES8_S8_@rel32@hi+12
	s_delay_alu instid0(SALU_CYCLE_1)
	s_swappc_b64 s[30:31], s[0:1]
	v_dual_mov_b32 v55, v0 :: v_dual_mov_b32 v58, v1
.LBB321_68:
	s_or_b32 exec_lo, exec_lo, s16
	v_cmp_gt_u32_e32 vcc_lo, 16, v67
	s_delay_alu instid0(VALU_DEP_2)
	v_dual_mov_b32 v64, v55 :: v_dual_add_nc_u32 v77, 16, v67
	v_mov_b32_e32 v66, 0
	s_mov_b32 s17, 0
	s_waitcnt lgkmcnt(1)
	v_cndmask_b32_e64 v0, 0, 1, vcc_lo
                                        ; implicit-def: $sgpr16
	s_waitcnt lgkmcnt(0)
	v_mov_b32_e32 v1, v58
	v_cmp_gt_u32_e64 s0, v77, v62
	s_delay_alu instid0(VALU_DEP_3) | instskip(NEXT) | instid1(VALU_DEP_1)
	v_lshlrev_b32_e32 v0, 4, v0
	v_add_lshl_u32 v76, v0, v67, 2
	v_mov_b32_e32 v0, v64
	ds_bpermute_b32 v55, v76, v55
	ds_bpermute_b32 v56, v76, v58
	s_branch .LBB321_71
.LBB321_69:                             ;   in Loop: Header=BB321_71 Depth=1
	s_or_b32 exec_lo, exec_lo, s16
	v_subrev_nc_u32_e32 v65, 32, v65
	s_mov_b32 s0, 0
.LBB321_70:                             ;   in Loop: Header=BB321_71 Depth=1
	v_mov_b32_e32 v58, v63
	v_mov_b32_e32 v64, v62
	s_and_b32 vcc_lo, exec_lo, s0
	s_mov_b32 s17, 0
                                        ; implicit-def: $sgpr16
                                        ; implicit-def: $vgpr1
                                        ; implicit-def: $vgpr0
	s_cbranch_vccnz .LBB321_93
.LBB321_71:                             ; =>This Loop Header: Depth=1
                                        ;     Child Loop BB321_77 Depth 2
                                        ;       Child Loop BB321_78 Depth 3
	s_waitcnt lgkmcnt(0)
	v_dual_mov_b32 v62, v0 :: v_dual_mov_b32 v63, v1
	s_xor_b32 s2, s0, -1
	s_or_b32 s16, s16, exec_lo
                                        ; implicit-def: $sgpr1
                                        ; implicit-def: $vgpr0
                                        ; implicit-def: $vgpr1
	s_and_saveexec_b32 s3, s2
	s_delay_alu instid0(SALU_CYCLE_1)
	s_xor_b32 s18, exec_lo, s3
	s_cbranch_execz .LBB321_73
; %bb.72:                               ;   in Loop: Header=BB321_71 Depth=1
	s_waitcnt lgkmcnt(0)
	v_dual_mov_b32 v0, v55 :: v_dual_mov_b32 v1, v56
	v_dual_mov_b32 v2, v64 :: v_dual_mov_b32 v3, v58
	s_getpc_b64 s[0:1]
	s_add_u32 s0, s0, _ZZZZN2at6native31launch_logcumsumexp_cuda_kernelERKNS_10TensorBaseES3_lENKUlvE_clEvENKUlvE2_clEvENKUlN3c107complexIfEES8_E_clES8_S8_@rel32@lo+4
	s_addc_u32 s1, s1, _ZZZZN2at6native31launch_logcumsumexp_cuda_kernelERKNS_10TensorBaseES3_lENKUlvE_clEvENKUlvE2_clEvENKUlN3c107complexIfEES8_E_clES8_S8_@rel32@hi+12
	s_delay_alu instid0(SALU_CYCLE_1)
	s_swappc_b64 s[30:31], s[0:1]
	s_mov_b32 s1, -1
	s_and_not1_b32 s16, s16, exec_lo
                                        ; implicit-def: $sgpr0
.LBB321_73:                             ;   in Loop: Header=BB321_71 Depth=1
	s_or_b32 exec_lo, exec_lo, s18
	s_delay_alu instid0(SALU_CYCLE_1) | instskip(NEXT) | instid1(SALU_CYCLE_1)
	s_and_b32 s2, exec_lo, s16
	s_or_b32 s17, s2, s17
	s_and_not1_b32 s0, s0, exec_lo
	s_and_b32 s1, s1, exec_lo
	s_delay_alu instid0(SALU_CYCLE_1)
	s_or_b32 s0, s0, s1
	s_and_not1_b32 exec_lo, exec_lo, s17
	s_cbranch_execnz .LBB321_71
; %bb.74:                               ;   in Loop: Header=BB321_71 Depth=1
	s_or_b32 exec_lo, exec_lo, s17
	v_and_b32_e32 v0, 0xff, v57
	s_delay_alu instid0(VALU_DEP_1) | instskip(SKIP_2) | instid1(VALU_DEP_1)
	v_cmp_ne_u16_e32 vcc_lo, 2, v0
	v_cndmask_b32_e64 v0, 0, 1, vcc_lo
	;;#ASMSTART
	;;#ASMEND
	v_cmp_ne_u32_e32 vcc_lo, 0, v0
	s_cmp_lg_u32 vcc_lo, exec_lo
	s_cbranch_scc1 .LBB321_91
; %bb.75:                               ;   in Loop: Header=BB321_71 Depth=1
	v_lshlrev_b64 v[0:1], 4, v[65:66]
	s_mov_b32 s0, exec_lo
	s_delay_alu instid0(VALU_DEP_1) | instskip(NEXT) | instid1(VALU_DEP_2)
	v_add_co_u32 v0, vcc_lo, s26, v0
	v_add_co_ci_u32_e32 v1, vcc_lo, s27, v1, vcc_lo
	s_waitcnt lgkmcnt(0)
	;;#ASMSTART
	global_load_dwordx4 v[55:58], v[0:1] off glc	
s_waitcnt vmcnt(0)
	;;#ASMEND
	v_perm_b32 v2, v56, v57, 0x70605
	v_perm_b32 v3, v56, v57, 0x1000706
	;; [unrolled: 1-line block ×3, first 2 shown]
	v_and_b32_e32 v5, 0xff, v57
	s_delay_alu instid0(VALU_DEP_4) | instskip(NEXT) | instid1(VALU_DEP_4)
	v_lshlrev_b32_e32 v2, 8, v2
	v_lshlrev_b32_e32 v3, 16, v3
	s_delay_alu instid0(VALU_DEP_4) | instskip(NEXT) | instid1(VALU_DEP_3)
	v_lshlrev_b32_e32 v4, 24, v4
	v_perm_b32 v2, v2, v56, 0xc0c0500
	s_delay_alu instid0(VALU_DEP_3) | instskip(NEXT) | instid1(VALU_DEP_1)
	v_and_b32_e32 v3, 0xff0000, v3
	v_or3_b32 v56, v2, v3, v4
	v_cmpx_eq_u16_e32 0, v5
	s_cbranch_execz .LBB321_81
; %bb.76:                               ;   in Loop: Header=BB321_71 Depth=1
	s_mov_b32 s2, 1
	s_mov_b32 s1, 0
	.p2align	6
.LBB321_77:                             ;   Parent Loop BB321_71 Depth=1
                                        ; =>  This Loop Header: Depth=2
                                        ;       Child Loop BB321_78 Depth 3
	s_max_u32 s3, s2, 1
.LBB321_78:                             ;   Parent Loop BB321_71 Depth=1
                                        ;     Parent Loop BB321_77 Depth=2
                                        ; =>    This Inner Loop Header: Depth=3
	s_delay_alu instid0(SALU_CYCLE_1)
	s_add_i32 s3, s3, -1
	s_sleep 1
	s_cmp_eq_u32 s3, 0
	s_cbranch_scc0 .LBB321_78
; %bb.79:                               ;   in Loop: Header=BB321_77 Depth=2
	;;#ASMSTART
	global_load_dwordx4 v[55:58], v[0:1] off glc	
s_waitcnt vmcnt(0)
	;;#ASMEND
	v_and_b32_e32 v2, 0xff, v57
	s_cmp_lt_u32 s2, 32
	s_cselect_b32 s3, -1, 0
	s_delay_alu instid0(VALU_DEP_1) | instskip(SKIP_3) | instid1(SALU_CYCLE_1)
	v_cmp_ne_u16_e32 vcc_lo, 0, v2
	s_cmp_lg_u32 s3, 0
	s_addc_u32 s2, s2, 0
	s_or_b32 s1, vcc_lo, s1
	s_and_not1_b32 exec_lo, exec_lo, s1
	s_cbranch_execnz .LBB321_77
; %bb.80:                               ;   in Loop: Header=BB321_71 Depth=1
	s_or_b32 exec_lo, exec_lo, s1
	v_perm_b32 v0, v56, v57, 0x70605
	v_perm_b32 v1, v56, v57, 0x1000706
	v_perm_b32 v2, v56, v57, 0x2010007
	s_delay_alu instid0(VALU_DEP_3) | instskip(NEXT) | instid1(VALU_DEP_3)
	v_lshlrev_b32_e32 v0, 8, v0
	v_lshlrev_b32_e32 v1, 16, v1
	s_delay_alu instid0(VALU_DEP_3) | instskip(NEXT) | instid1(VALU_DEP_3)
	v_lshlrev_b32_e32 v2, 24, v2
	v_perm_b32 v0, v0, v56, 0xc0c0500
	s_delay_alu instid0(VALU_DEP_3) | instskip(NEXT) | instid1(VALU_DEP_1)
	v_and_b32_e32 v1, 0xff0000, v1
	v_or3_b32 v56, v0, v1, v2
.LBB321_81:                             ;   in Loop: Header=BB321_71 Depth=1
	s_or_b32 exec_lo, exec_lo, s0
	v_and_b32_e32 v1, 0xff, v57
	ds_bpermute_b32 v0, v68, v55
	s_mov_b32 s16, exec_lo
	v_cmp_eq_u16_e32 vcc_lo, 2, v1
	ds_bpermute_b32 v1, v68, v56
	v_and_or_b32 v2, vcc_lo, v69, 0x80000000
	s_delay_alu instid0(VALU_DEP_1) | instskip(NEXT) | instid1(VALU_DEP_1)
	v_ctz_i32_b32_e32 v58, v2
	v_cmpx_lt_u32_e64 v67, v58
	s_cbranch_execz .LBB321_83
; %bb.82:                               ;   in Loop: Header=BB321_71 Depth=1
	v_dual_mov_b32 v2, v55 :: v_dual_mov_b32 v3, v56
	s_getpc_b64 s[0:1]
	s_add_u32 s0, s0, _ZZZZN2at6native31launch_logcumsumexp_cuda_kernelERKNS_10TensorBaseES3_lENKUlvE_clEvENKUlvE2_clEvENKUlN3c107complexIfEES8_E_clES8_S8_@rel32@lo+4
	s_addc_u32 s1, s1, _ZZZZN2at6native31launch_logcumsumexp_cuda_kernelERKNS_10TensorBaseES3_lENKUlvE_clEvENKUlvE2_clEvENKUlN3c107complexIfEES8_E_clES8_S8_@rel32@hi+12
	s_delay_alu instid0(SALU_CYCLE_1)
	s_swappc_b64 s[30:31], s[0:1]
	v_dual_mov_b32 v55, v0 :: v_dual_mov_b32 v56, v1
.LBB321_83:                             ;   in Loop: Header=BB321_71 Depth=1
	s_or_b32 exec_lo, exec_lo, s16
	s_waitcnt lgkmcnt(1)
	ds_bpermute_b32 v0, v70, v55
	s_waitcnt lgkmcnt(1)
	ds_bpermute_b32 v1, v70, v56
	s_mov_b32 s16, exec_lo
	v_cmpx_le_u32_e64 v71, v58
	s_cbranch_execz .LBB321_85
; %bb.84:                               ;   in Loop: Header=BB321_71 Depth=1
	v_dual_mov_b32 v2, v55 :: v_dual_mov_b32 v3, v56
	s_getpc_b64 s[0:1]
	s_add_u32 s0, s0, _ZZZZN2at6native31launch_logcumsumexp_cuda_kernelERKNS_10TensorBaseES3_lENKUlvE_clEvENKUlvE2_clEvENKUlN3c107complexIfEES8_E_clES8_S8_@rel32@lo+4
	s_addc_u32 s1, s1, _ZZZZN2at6native31launch_logcumsumexp_cuda_kernelERKNS_10TensorBaseES3_lENKUlvE_clEvENKUlvE2_clEvENKUlN3c107complexIfEES8_E_clES8_S8_@rel32@hi+12
	s_delay_alu instid0(SALU_CYCLE_1)
	s_swappc_b64 s[30:31], s[0:1]
	v_dual_mov_b32 v55, v0 :: v_dual_mov_b32 v56, v1
.LBB321_85:                             ;   in Loop: Header=BB321_71 Depth=1
	s_or_b32 exec_lo, exec_lo, s16
	s_waitcnt lgkmcnt(1)
	ds_bpermute_b32 v0, v72, v55
	s_waitcnt lgkmcnt(1)
	ds_bpermute_b32 v1, v72, v56
	s_mov_b32 s16, exec_lo
	v_cmpx_le_u32_e64 v73, v58
	s_cbranch_execz .LBB321_87
; %bb.86:                               ;   in Loop: Header=BB321_71 Depth=1
	v_dual_mov_b32 v2, v55 :: v_dual_mov_b32 v3, v56
	s_getpc_b64 s[0:1]
	s_add_u32 s0, s0, _ZZZZN2at6native31launch_logcumsumexp_cuda_kernelERKNS_10TensorBaseES3_lENKUlvE_clEvENKUlvE2_clEvENKUlN3c107complexIfEES8_E_clES8_S8_@rel32@lo+4
	s_addc_u32 s1, s1, _ZZZZN2at6native31launch_logcumsumexp_cuda_kernelERKNS_10TensorBaseES3_lENKUlvE_clEvENKUlvE2_clEvENKUlN3c107complexIfEES8_E_clES8_S8_@rel32@hi+12
	s_delay_alu instid0(SALU_CYCLE_1)
	s_swappc_b64 s[30:31], s[0:1]
	v_dual_mov_b32 v55, v0 :: v_dual_mov_b32 v56, v1
.LBB321_87:                             ;   in Loop: Header=BB321_71 Depth=1
	s_or_b32 exec_lo, exec_lo, s16
	s_waitcnt lgkmcnt(1)
	ds_bpermute_b32 v0, v74, v55
	s_waitcnt lgkmcnt(1)
	ds_bpermute_b32 v1, v74, v56
	s_mov_b32 s16, exec_lo
	v_cmpx_le_u32_e64 v75, v58
	s_cbranch_execz .LBB321_89
; %bb.88:                               ;   in Loop: Header=BB321_71 Depth=1
	v_dual_mov_b32 v2, v55 :: v_dual_mov_b32 v3, v56
	s_getpc_b64 s[0:1]
	s_add_u32 s0, s0, _ZZZZN2at6native31launch_logcumsumexp_cuda_kernelERKNS_10TensorBaseES3_lENKUlvE_clEvENKUlvE2_clEvENKUlN3c107complexIfEES8_E_clES8_S8_@rel32@lo+4
	s_addc_u32 s1, s1, _ZZZZN2at6native31launch_logcumsumexp_cuda_kernelERKNS_10TensorBaseES3_lENKUlvE_clEvENKUlvE2_clEvENKUlN3c107complexIfEES8_E_clES8_S8_@rel32@hi+12
	s_delay_alu instid0(SALU_CYCLE_1)
	s_swappc_b64 s[30:31], s[0:1]
	v_dual_mov_b32 v55, v0 :: v_dual_mov_b32 v56, v1
.LBB321_89:                             ;   in Loop: Header=BB321_71 Depth=1
	s_or_b32 exec_lo, exec_lo, s16
	s_waitcnt lgkmcnt(1)
	ds_bpermute_b32 v0, v76, v55
	s_waitcnt lgkmcnt(1)
	ds_bpermute_b32 v1, v76, v56
	s_mov_b32 s16, exec_lo
	v_cmpx_le_u32_e64 v77, v58
	s_cbranch_execz .LBB321_69
; %bb.90:                               ;   in Loop: Header=BB321_71 Depth=1
	v_dual_mov_b32 v2, v55 :: v_dual_mov_b32 v3, v56
	s_getpc_b64 s[0:1]
	s_add_u32 s0, s0, _ZZZZN2at6native31launch_logcumsumexp_cuda_kernelERKNS_10TensorBaseES3_lENKUlvE_clEvENKUlvE2_clEvENKUlN3c107complexIfEES8_E_clES8_S8_@rel32@lo+4
	s_addc_u32 s1, s1, _ZZZZN2at6native31launch_logcumsumexp_cuda_kernelERKNS_10TensorBaseES3_lENKUlvE_clEvENKUlvE2_clEvENKUlN3c107complexIfEES8_E_clES8_S8_@rel32@hi+12
	s_delay_alu instid0(SALU_CYCLE_1)
	s_swappc_b64 s[30:31], s[0:1]
	v_dual_mov_b32 v55, v0 :: v_dual_mov_b32 v56, v1
	s_branch .LBB321_69
.LBB321_91:                             ;   in Loop: Header=BB321_71 Depth=1
	s_mov_b32 s0, -1
                                        ; implicit-def: $vgpr55
                                        ; implicit-def: $vgpr56
	s_branch .LBB321_70
.LBB321_92:
                                        ; implicit-def: $vgpr90_vgpr91_vgpr92_vgpr93
                                        ; implicit-def: $vgpr88_vgpr89_vgpr90_vgpr91
                                        ; implicit-def: $vgpr60
                                        ; implicit-def: $vgpr62
                                        ; implicit-def: $vgpr64
                                        ; implicit-def: $vgpr66
                                        ; implicit-def: $vgpr68
                                        ; implicit-def: $vgpr70
                                        ; implicit-def: $vgpr72
                                        ; implicit-def: $vgpr74
                                        ; implicit-def: $vgpr54_vgpr55_vgpr56_vgpr57
                                        ; implicit-def: $vgpr86_vgpr87_vgpr88_vgpr89
                                        ; implicit-def: $vgpr84_vgpr85_vgpr86_vgpr87
                                        ; implicit-def: $vgpr82_vgpr83_vgpr84_vgpr85
                                        ; implicit-def: $vgpr80_vgpr81_vgpr82_vgpr83
                                        ; implicit-def: $vgpr78_vgpr79_vgpr80_vgpr81
	s_load_b256 s[12:19], s[8:9], 0x40
	s_cbranch_execnz .LBB321_100
	s_branch .LBB321_121
.LBB321_93:
	s_and_saveexec_b32 s16, s12
	s_cbranch_execz .LBB321_95
; %bb.94:
	s_waitcnt lgkmcnt(0)
	v_dual_mov_b32 v0, v62 :: v_dual_mov_b32 v1, v63
	v_dual_mov_b32 v2, v54 :: v_dual_mov_b32 v3, s14
	s_getpc_b64 s[0:1]
	s_add_u32 s0, s0, _ZZZZN2at6native31launch_logcumsumexp_cuda_kernelERKNS_10TensorBaseES3_lENKUlvE_clEvENKUlvE2_clEvENKUlN3c107complexIfEES8_E_clES8_S8_@rel32@lo+4
	s_addc_u32 s1, s1, _ZZZZN2at6native31launch_logcumsumexp_cuda_kernelERKNS_10TensorBaseES3_lENKUlvE_clEvENKUlvE2_clEvENKUlN3c107complexIfEES8_E_clES8_S8_@rel32@hi+12
	s_delay_alu instid0(SALU_CYCLE_1)
	s_swappc_b64 s[30:31], s[0:1]
	s_add_i32 s0, s15, 32
	v_dual_mov_b32 v3, 0 :: v_dual_and_b32 v2, 0xff000000, v1
	v_and_b32_e32 v4, 0xff0000, v1
	s_mov_b32 s1, 0
	v_and_b32_e32 v5, 0xff00, v1
	s_lshl_b64 s[0:1], s[0:1], 4
	s_delay_alu instid0(SALU_CYCLE_1) | instskip(SKIP_4) | instid1(VALU_DEP_1)
	s_add_u32 s0, s26, s0
	v_or_b32_e32 v4, v4, v2
	v_mov_b32_e32 v2, 2
	s_addc_u32 s1, s27, s1
	v_and_b32_e32 v1, 0xff, v1
	v_or3_b32 v1, v4, v5, v1
	v_dual_mov_b32 v5, s1 :: v_dual_mov_b32 v4, s0
	;;#ASMSTART
	global_store_dwordx4 v[4:5], v[0:3] off	
s_waitcnt vmcnt(0)
	;;#ASMEND
.LBB321_95:
	s_or_b32 exec_lo, exec_lo, s16
	s_delay_alu instid0(SALU_CYCLE_1)
	s_and_b32 exec_lo, exec_lo, s11
	s_cbranch_execz .LBB321_97
; %bb.96:
	s_waitcnt lgkmcnt(1)
	v_mov_b32_e32 v0, 0
	ds_store_b64 v0, v[62:63]
.LBB321_97:
	s_or_b32 exec_lo, exec_lo, s13
	s_waitcnt lgkmcnt(1)
	v_dual_mov_b32 v0, 0 :: v_dual_mov_b32 v3, v23
	s_waitcnt lgkmcnt(0)
	s_waitcnt_vscnt null, 0x0
	s_barrier
	buffer_gl0_inv
	ds_load_b64 v[54:55], v0
	v_mov_b32_e32 v2, v22
	s_and_saveexec_b32 s11, s10
	s_cbranch_execz .LBB321_99
; %bb.98:
	v_dual_mov_b32 v0, v60 :: v_dual_mov_b32 v1, v61
	v_dual_mov_b32 v2, v22 :: v_dual_mov_b32 v3, v23
	s_getpc_b64 s[0:1]
	s_add_u32 s0, s0, _ZZZZN2at6native31launch_logcumsumexp_cuda_kernelERKNS_10TensorBaseES3_lENKUlvE_clEvENKUlvE2_clEvENKUlN3c107complexIfEES8_E_clES8_S8_@rel32@lo+4
	s_addc_u32 s1, s1, _ZZZZN2at6native31launch_logcumsumexp_cuda_kernelERKNS_10TensorBaseES3_lENKUlvE_clEvENKUlvE2_clEvENKUlN3c107complexIfEES8_E_clES8_S8_@rel32@hi+12
	s_delay_alu instid0(SALU_CYCLE_1)
	s_swappc_b64 s[30:31], s[0:1]
	v_dual_mov_b32 v2, v0 :: v_dual_mov_b32 v3, v1
.LBB321_99:
	s_or_b32 exec_lo, exec_lo, s11
	s_waitcnt lgkmcnt(0)
	v_dual_mov_b32 v0, v54 :: v_dual_mov_b32 v1, v55
	s_getpc_b64 s[10:11]
	s_add_u32 s10, s10, _ZZZZN2at6native31launch_logcumsumexp_cuda_kernelERKNS_10TensorBaseES3_lENKUlvE_clEvENKUlvE2_clEvENKUlN3c107complexIfEES8_E_clES8_S8_@rel32@lo+4
	s_addc_u32 s11, s11, _ZZZZN2at6native31launch_logcumsumexp_cuda_kernelERKNS_10TensorBaseES3_lENKUlvE_clEvENKUlvE2_clEvENKUlN3c107complexIfEES8_E_clES8_S8_@rel32@hi+12
	s_delay_alu instid0(SALU_CYCLE_1)
	s_swappc_b64 s[30:31], s[10:11]
	v_dual_mov_b32 v2, v24 :: v_dual_mov_b32 v3, v25
	v_dual_mov_b32 v54, v0 :: v_dual_mov_b32 v55, v1
	s_swappc_b64 s[30:31], s[10:11]
	v_dual_mov_b32 v2, v50 :: v_dual_mov_b32 v3, v51
	v_dual_mov_b32 v60, v0 :: v_dual_mov_b32 v61, v1
	;; [unrolled: 3-line block ×15, first 2 shown]
	s_swappc_b64 s[30:31], s[10:11]
	v_dual_mov_b32 v92, v0 :: v_dual_mov_b32 v93, v1
	s_load_b256 s[12:19], s[8:9], 0x40
	s_branch .LBB321_121
.LBB321_100:
	v_cmp_eq_u32_e64 s9, 0, v59
	s_waitcnt lgkmcnt(0)
	s_cmp_lg_u64 s[16:17], 0
	v_cmp_ne_u32_e64 s8, 0, v59
	s_cselect_b32 s0, -1, 0
	s_delay_alu instid0(SALU_CYCLE_1) | instskip(NEXT) | instid1(SALU_CYCLE_1)
	s_and_b32 s0, s9, s0
	s_and_saveexec_b32 s10, s0
	s_cbranch_execz .LBB321_102
; %bb.101:
	v_dual_mov_b32 v0, 0 :: v_dual_mov_b32 v3, v23
	v_mov_b32_e32 v2, v22
	s_getpc_b64 s[0:1]
	s_add_u32 s0, s0, _ZZZZN2at6native31launch_logcumsumexp_cuda_kernelERKNS_10TensorBaseES3_lENKUlvE_clEvENKUlvE2_clEvENKUlN3c107complexIfEES8_E_clES8_S8_@rel32@lo+4
	s_addc_u32 s1, s1, _ZZZZN2at6native31launch_logcumsumexp_cuda_kernelERKNS_10TensorBaseES3_lENKUlvE_clEvENKUlvE2_clEvENKUlN3c107complexIfEES8_E_clES8_S8_@rel32@hi+12
	global_load_b64 v[0:1], v0, s[12:13]
	s_swappc_b64 s[30:31], s[0:1]
	v_dual_mov_b32 v22, v0 :: v_dual_mov_b32 v23, v1
.LBB321_102:
	s_or_b32 exec_lo, exec_lo, s10
	s_delay_alu instid0(VALU_DEP_1) | instskip(SKIP_4) | instid1(SALU_CYCLE_1)
	v_dual_mov_b32 v0, v22 :: v_dual_mov_b32 v1, v23
	v_dual_mov_b32 v2, v24 :: v_dual_mov_b32 v3, v25
	s_getpc_b64 s[10:11]
	s_add_u32 s10, s10, _ZZZZN2at6native31launch_logcumsumexp_cuda_kernelERKNS_10TensorBaseES3_lENKUlvE_clEvENKUlvE2_clEvENKUlN3c107complexIfEES8_E_clES8_S8_@rel32@lo+4
	s_addc_u32 s11, s11, _ZZZZN2at6native31launch_logcumsumexp_cuda_kernelERKNS_10TensorBaseES3_lENKUlvE_clEvENKUlvE2_clEvENKUlN3c107complexIfEES8_E_clES8_S8_@rel32@hi+12
	s_swappc_b64 s[30:31], s[10:11]
	v_dual_mov_b32 v2, v50 :: v_dual_mov_b32 v3, v51
	v_dual_mov_b32 v60, v0 :: v_dual_mov_b32 v61, v1
	s_swappc_b64 s[30:31], s[10:11]
	v_dual_mov_b32 v2, v52 :: v_dual_mov_b32 v3, v53
	v_dual_mov_b32 v62, v0 :: v_dual_mov_b32 v63, v1
	s_swappc_b64 s[30:31], s[10:11]
	v_dual_mov_b32 v2, v46 :: v_dual_mov_b32 v3, v47
	v_dual_mov_b32 v80, v0 :: v_dual_mov_b32 v81, v1
	s_swappc_b64 s[30:31], s[10:11]
	v_dual_mov_b32 v2, v48 :: v_dual_mov_b32 v3, v49
	v_dual_mov_b32 v64, v0 :: v_dual_mov_b32 v65, v1
	s_swappc_b64 s[30:31], s[10:11]
	v_dual_mov_b32 v2, v42 :: v_dual_mov_b32 v3, v43
	v_dual_mov_b32 v82, v0 :: v_dual_mov_b32 v83, v1
	s_swappc_b64 s[30:31], s[10:11]
	v_dual_mov_b32 v2, v44 :: v_dual_mov_b32 v3, v45
	v_dual_mov_b32 v66, v0 :: v_dual_mov_b32 v67, v1
	s_swappc_b64 s[30:31], s[10:11]
	v_dual_mov_b32 v2, v38 :: v_dual_mov_b32 v3, v39
	v_dual_mov_b32 v84, v0 :: v_dual_mov_b32 v85, v1
	s_swappc_b64 s[30:31], s[10:11]
	v_dual_mov_b32 v2, v40 :: v_dual_mov_b32 v3, v41
	v_dual_mov_b32 v68, v0 :: v_dual_mov_b32 v69, v1
	s_swappc_b64 s[30:31], s[10:11]
	v_dual_mov_b32 v2, v34 :: v_dual_mov_b32 v3, v35
	v_dual_mov_b32 v86, v0 :: v_dual_mov_b32 v87, v1
	s_swappc_b64 s[30:31], s[10:11]
	v_dual_mov_b32 v2, v36 :: v_dual_mov_b32 v3, v37
	v_dual_mov_b32 v70, v0 :: v_dual_mov_b32 v71, v1
	s_swappc_b64 s[30:31], s[10:11]
	v_dual_mov_b32 v2, v30 :: v_dual_mov_b32 v3, v31
	v_dual_mov_b32 v88, v0 :: v_dual_mov_b32 v89, v1
	s_swappc_b64 s[30:31], s[10:11]
	v_dual_mov_b32 v2, v32 :: v_dual_mov_b32 v3, v33
	v_dual_mov_b32 v72, v0 :: v_dual_mov_b32 v73, v1
	s_swappc_b64 s[30:31], s[10:11]
	v_dual_mov_b32 v2, v26 :: v_dual_mov_b32 v3, v27
	v_dual_mov_b32 v90, v0 :: v_dual_mov_b32 v91, v1
	s_swappc_b64 s[30:31], s[10:11]
	v_dual_mov_b32 v2, v28 :: v_dual_mov_b32 v3, v29
	v_dual_mov_b32 v74, v0 :: v_dual_mov_b32 v75, v1
	s_swappc_b64 s[30:31], s[10:11]
	v_dual_mov_b32 v92, v0 :: v_dual_mov_b32 v93, v1
	v_lshrrev_b32_e32 v0, 5, v59
	s_mov_b32 s12, exec_lo
	s_delay_alu instid0(VALU_DEP_1)
	v_add_lshl_u32 v0, v0, v59, 3
	ds_store_b64 v0, v[92:93]
	s_waitcnt lgkmcnt(0)
	s_waitcnt_vscnt null, 0x0
	s_barrier
	buffer_gl0_inv
	v_cmpx_gt_u32_e32 32, v59
	s_cbranch_execz .LBB321_114
; %bb.103:
	v_lshlrev_b32_e32 v0, 1, v59
	s_delay_alu instid0(VALU_DEP_1) | instskip(NEXT) | instid1(VALU_DEP_1)
	v_and_b32_e32 v0, 0x1f8, v0
	v_lshl_or_b32 v58, v59, 6, v0
	ds_load_b64 v[54:55], v58
	ds_load_2addr_b64 v[76:79], v58 offset0:1 offset1:2
	s_waitcnt lgkmcnt(0)
	v_dual_mov_b32 v0, v54 :: v_dual_mov_b32 v3, v77
	v_dual_mov_b32 v1, v55 :: v_dual_mov_b32 v2, v76
	s_swappc_b64 s[30:31], s[10:11]
	v_dual_mov_b32 v2, v78 :: v_dual_mov_b32 v3, v79
	s_swappc_b64 s[30:31], s[10:11]
	ds_load_2addr_b64 v[76:79], v58 offset0:3 offset1:4
	s_waitcnt lgkmcnt(0)
	v_dual_mov_b32 v2, v76 :: v_dual_mov_b32 v3, v77
	s_swappc_b64 s[30:31], s[10:11]
	v_dual_mov_b32 v2, v78 :: v_dual_mov_b32 v3, v79
	s_swappc_b64 s[30:31], s[10:11]
	ds_load_2addr_b64 v[76:79], v58 offset0:5 offset1:6
	s_waitcnt lgkmcnt(0)
	v_dual_mov_b32 v2, v76 :: v_dual_mov_b32 v3, v77
	s_swappc_b64 s[30:31], s[10:11]
	v_dual_mov_b32 v2, v78 :: v_dual_mov_b32 v3, v79
	s_swappc_b64 s[30:31], s[10:11]
	ds_load_b64 v[2:3], v58 offset:56
	s_swappc_b64 s[30:31], s[10:11]
	v_dual_mov_b32 v2, v0 :: v_dual_mov_b32 v3, v1
	v_mbcnt_lo_u32_b32 v56, -1, 0
	s_mov_b32 s10, exec_lo
	s_delay_alu instid0(VALU_DEP_2) | instskip(NEXT) | instid1(VALU_DEP_3)
	v_mov_b32_dpp v0, v2 row_shr:1 row_mask:0xf bank_mask:0xf
	v_mov_b32_dpp v1, v3 row_shr:1 row_mask:0xf bank_mask:0xf
	s_delay_alu instid0(VALU_DEP_3) | instskip(NEXT) | instid1(VALU_DEP_1)
	v_and_b32_e32 v57, 15, v56
	v_cmpx_ne_u32_e32 0, v57
	s_cbranch_execz .LBB321_105
; %bb.104:
	s_getpc_b64 s[0:1]
	s_add_u32 s0, s0, _ZZZZN2at6native31launch_logcumsumexp_cuda_kernelERKNS_10TensorBaseES3_lENKUlvE_clEvENKUlvE2_clEvENKUlN3c107complexIfEES8_E_clES8_S8_@rel32@lo+4
	s_addc_u32 s1, s1, _ZZZZN2at6native31launch_logcumsumexp_cuda_kernelERKNS_10TensorBaseES3_lENKUlvE_clEvENKUlvE2_clEvENKUlN3c107complexIfEES8_E_clES8_S8_@rel32@hi+12
	s_delay_alu instid0(SALU_CYCLE_1)
	s_swappc_b64 s[30:31], s[0:1]
	v_dual_mov_b32 v2, v0 :: v_dual_mov_b32 v3, v1
.LBB321_105:
	s_or_b32 exec_lo, exec_lo, s10
	s_delay_alu instid0(VALU_DEP_1) | instskip(NEXT) | instid1(VALU_DEP_2)
	v_mov_b32_dpp v0, v2 row_shr:2 row_mask:0xf bank_mask:0xf
	v_mov_b32_dpp v1, v3 row_shr:2 row_mask:0xf bank_mask:0xf
	s_mov_b32 s10, exec_lo
	v_cmpx_lt_u32_e32 1, v57
	s_cbranch_execz .LBB321_107
; %bb.106:
	s_getpc_b64 s[0:1]
	s_add_u32 s0, s0, _ZZZZN2at6native31launch_logcumsumexp_cuda_kernelERKNS_10TensorBaseES3_lENKUlvE_clEvENKUlvE2_clEvENKUlN3c107complexIfEES8_E_clES8_S8_@rel32@lo+4
	s_addc_u32 s1, s1, _ZZZZN2at6native31launch_logcumsumexp_cuda_kernelERKNS_10TensorBaseES3_lENKUlvE_clEvENKUlvE2_clEvENKUlN3c107complexIfEES8_E_clES8_S8_@rel32@hi+12
	s_delay_alu instid0(SALU_CYCLE_1)
	s_swappc_b64 s[30:31], s[0:1]
	v_dual_mov_b32 v2, v0 :: v_dual_mov_b32 v3, v1
.LBB321_107:
	s_or_b32 exec_lo, exec_lo, s10
	s_delay_alu instid0(VALU_DEP_1) | instskip(NEXT) | instid1(VALU_DEP_2)
	v_mov_b32_dpp v0, v2 row_shr:4 row_mask:0xf bank_mask:0xf
	v_mov_b32_dpp v1, v3 row_shr:4 row_mask:0xf bank_mask:0xf
	s_mov_b32 s10, exec_lo
	v_cmpx_lt_u32_e32 3, v57
	;; [unrolled: 15-line block ×3, first 2 shown]
	s_cbranch_execz .LBB321_111
; %bb.110:
	s_getpc_b64 s[0:1]
	s_add_u32 s0, s0, _ZZZZN2at6native31launch_logcumsumexp_cuda_kernelERKNS_10TensorBaseES3_lENKUlvE_clEvENKUlvE2_clEvENKUlN3c107complexIfEES8_E_clES8_S8_@rel32@lo+4
	s_addc_u32 s1, s1, _ZZZZN2at6native31launch_logcumsumexp_cuda_kernelERKNS_10TensorBaseES3_lENKUlvE_clEvENKUlvE2_clEvENKUlN3c107complexIfEES8_E_clES8_S8_@rel32@hi+12
	s_delay_alu instid0(SALU_CYCLE_1)
	s_swappc_b64 s[30:31], s[0:1]
	v_dual_mov_b32 v2, v0 :: v_dual_mov_b32 v3, v1
.LBB321_111:
	s_or_b32 exec_lo, exec_lo, s10
	ds_swizzle_b32 v0, v2 offset:swizzle(BROADCAST,32,15)
	ds_swizzle_b32 v1, v3 offset:swizzle(BROADCAST,32,15)
	v_and_b32_e32 v4, 16, v56
	s_mov_b32 s10, exec_lo
	s_delay_alu instid0(VALU_DEP_1)
	v_cmpx_ne_u32_e32 0, v4
	s_cbranch_execz .LBB321_113
; %bb.112:
	s_getpc_b64 s[0:1]
	s_add_u32 s0, s0, _ZZZZN2at6native31launch_logcumsumexp_cuda_kernelERKNS_10TensorBaseES3_lENKUlvE_clEvENKUlvE2_clEvENKUlN3c107complexIfEES8_E_clES8_S8_@rel32@lo+4
	s_addc_u32 s1, s1, _ZZZZN2at6native31launch_logcumsumexp_cuda_kernelERKNS_10TensorBaseES3_lENKUlvE_clEvENKUlvE2_clEvENKUlN3c107complexIfEES8_E_clES8_S8_@rel32@hi+12
	s_delay_alu instid0(SALU_CYCLE_1)
	s_swappc_b64 s[30:31], s[0:1]
	v_dual_mov_b32 v2, v0 :: v_dual_mov_b32 v3, v1
.LBB321_113:
	s_or_b32 exec_lo, exec_lo, s10
	s_waitcnt lgkmcnt(1)
	v_add_nc_u32_e32 v0, -1, v56
	s_getpc_b64 s[10:11]
	s_add_u32 s10, s10, _ZZZZN2at6native31launch_logcumsumexp_cuda_kernelERKNS_10TensorBaseES3_lENKUlvE_clEvENKUlvE2_clEvENKUlN3c107complexIfEES8_E_clES8_S8_@rel32@lo+4
	s_addc_u32 s11, s11, _ZZZZN2at6native31launch_logcumsumexp_cuda_kernelERKNS_10TensorBaseES3_lENKUlvE_clEvENKUlvE2_clEvENKUlN3c107complexIfEES8_E_clES8_S8_@rel32@hi+12
	s_delay_alu instid0(VALU_DEP_1) | instskip(SKIP_2) | instid1(VALU_DEP_1)
	v_cmp_gt_i32_e32 vcc_lo, 0, v0
	v_cndmask_b32_e32 v0, v0, v56, vcc_lo
	s_waitcnt lgkmcnt(0)
	v_lshlrev_b32_e32 v1, 2, v0
	ds_bpermute_b32 v0, v1, v2
	v_mov_b32_e32 v2, v54
	ds_bpermute_b32 v1, v1, v3
	v_mov_b32_e32 v3, v55
	s_swappc_b64 s[30:31], s[10:11]
	v_cndmask_b32_e64 v0, v0, v92, s9
	v_cndmask_b32_e64 v1, v1, v93, s9
	; wave barrier
	ds_store_b64 v58, v[0:1]
	; wave barrier
	ds_load_2addr_b64 v[54:57], v58 offset0:1 offset1:2
	s_waitcnt lgkmcnt(0)
	v_dual_mov_b32 v2, v54 :: v_dual_mov_b32 v3, v55
	s_swappc_b64 s[30:31], s[10:11]
	v_dual_mov_b32 v2, v56 :: v_dual_mov_b32 v3, v57
	v_dual_mov_b32 v76, v0 :: v_dual_mov_b32 v77, v1
	s_swappc_b64 s[30:31], s[10:11]
	ds_load_2addr_b64 v[54:57], v58 offset0:3 offset1:4
	ds_store_2addr_b64 v58, v[76:77], v[0:1] offset0:1 offset1:2
	s_waitcnt lgkmcnt(1)
	v_dual_mov_b32 v2, v54 :: v_dual_mov_b32 v3, v55
	s_swappc_b64 s[30:31], s[10:11]
	v_dual_mov_b32 v2, v56 :: v_dual_mov_b32 v3, v57
	v_dual_mov_b32 v76, v0 :: v_dual_mov_b32 v77, v1
	s_swappc_b64 s[30:31], s[10:11]
	ds_load_2addr_b64 v[54:57], v58 offset0:5 offset1:6
	ds_store_2addr_b64 v58, v[76:77], v[0:1] offset0:3 offset1:4
	s_waitcnt lgkmcnt(1)
	v_dual_mov_b32 v2, v54 :: v_dual_mov_b32 v3, v55
	s_swappc_b64 s[30:31], s[10:11]
	v_dual_mov_b32 v2, v56 :: v_dual_mov_b32 v3, v57
	v_dual_mov_b32 v54, v0 :: v_dual_mov_b32 v55, v1
	s_swappc_b64 s[30:31], s[10:11]
	ds_load_b64 v[2:3], v58 offset:56
	ds_store_2addr_b64 v58, v[54:55], v[0:1] offset0:5 offset1:6
	s_swappc_b64 s[30:31], s[10:11]
	ds_store_b64 v58, v[0:1] offset:56
.LBB321_114:
	s_or_b32 exec_lo, exec_lo, s12
	v_dual_mov_b32 v1, v93 :: v_dual_mov_b32 v0, v92
	s_waitcnt lgkmcnt(0)
	s_waitcnt_vscnt null, 0x0
	s_barrier
	buffer_gl0_inv
	s_and_saveexec_b32 s0, s8
	s_cbranch_execz .LBB321_116
; %bb.115:
	v_add_nc_u32_e32 v0, -1, v59
	s_delay_alu instid0(VALU_DEP_1) | instskip(NEXT) | instid1(VALU_DEP_1)
	v_lshrrev_b32_e32 v1, 5, v0
	v_add_lshl_u32 v0, v1, v0, 3
	ds_load_b64 v[0:1], v0
.LBB321_116:
	s_or_b32 exec_lo, exec_lo, s0
	s_and_saveexec_b32 s10, s8
	s_cbranch_execz .LBB321_118
; %bb.117:
	v_dual_mov_b32 v2, v22 :: v_dual_mov_b32 v3, v23
	s_getpc_b64 s[8:9]
	s_add_u32 s8, s8, _ZZZZN2at6native31launch_logcumsumexp_cuda_kernelERKNS_10TensorBaseES3_lENKUlvE_clEvENKUlvE2_clEvENKUlN3c107complexIfEES8_E_clES8_S8_@rel32@lo+4
	s_addc_u32 s9, s9, _ZZZZN2at6native31launch_logcumsumexp_cuda_kernelERKNS_10TensorBaseES3_lENKUlvE_clEvENKUlvE2_clEvENKUlN3c107complexIfEES8_E_clES8_S8_@rel32@hi+12
	s_delay_alu instid0(SALU_CYCLE_1)
	s_swappc_b64 s[30:31], s[8:9]
	v_dual_mov_b32 v2, v24 :: v_dual_mov_b32 v3, v25
	v_dual_mov_b32 v22, v0 :: v_dual_mov_b32 v23, v1
	;;#ASMSTART
	;;#ASMEND
	s_swappc_b64 s[30:31], s[8:9]
	v_dual_mov_b32 v2, v50 :: v_dual_mov_b32 v3, v51
	v_dual_mov_b32 v60, v0 :: v_dual_mov_b32 v61, v1
	s_swappc_b64 s[30:31], s[8:9]
	v_dual_mov_b32 v2, v52 :: v_dual_mov_b32 v3, v53
	v_dual_mov_b32 v62, v0 :: v_dual_mov_b32 v63, v1
	;; [unrolled: 3-line block ×14, first 2 shown]
	s_swappc_b64 s[30:31], s[8:9]
	v_dual_mov_b32 v92, v0 :: v_dual_mov_b32 v93, v1
.LBB321_118:
	s_or_b32 exec_lo, exec_lo, s10
	s_delay_alu instid0(SALU_CYCLE_1)
	s_mov_b32 s0, exec_lo
	v_cmpx_eq_u32_e32 0xff, v59
	s_cbranch_execz .LBB321_120
; %bb.119:
	s_waitcnt lgkmcnt(0)
	v_dual_mov_b32 v3, 0 :: v_dual_and_b32 v0, 0xff000000, v93
	v_dual_mov_b32 v2, 2 :: v_dual_and_b32 v1, 0xff0000, v93
	v_and_b32_e32 v4, 0xff00, v93
	v_and_b32_e32 v5, 0xff, v93
	s_add_u32 s2, s26, 0x200
	s_delay_alu instid0(VALU_DEP_3) | instskip(SKIP_2) | instid1(VALU_DEP_2)
	v_or_b32_e32 v1, v1, v0
	v_mov_b32_e32 v0, v92
	s_addc_u32 s3, s27, 0
	v_or3_b32 v1, v1, v4, v5
	v_dual_mov_b32 v5, s3 :: v_dual_mov_b32 v4, s2
	;;#ASMSTART
	global_store_dwordx4 v[4:5], v[0:3] off	
s_waitcnt vmcnt(0)
	;;#ASMEND
.LBB321_120:
	s_or_b32 exec_lo, exec_lo, s0
	v_dual_mov_b32 v54, v22 :: v_dual_mov_b32 v55, v23
.LBB321_121:
	s_add_u32 s0, s20, s24
	s_waitcnt lgkmcnt(0)
	v_lshlrev_b32_e32 v1, 7, v59
	v_lshrrev_b32_e32 v0, 5, v59
	s_addc_u32 s1, s21, s25
	s_add_u32 s0, s0, s22
	s_addc_u32 s1, s1, s23
	s_and_b32 vcc_lo, exec_lo, s33
	s_mov_b32 s2, -1
	s_waitcnt_vscnt null, 0x0
	s_barrier
	buffer_gl0_inv
	s_cbranch_vccz .LBB321_123
; %bb.122:
	v_lshl_add_u32 v2, v110, 3, v1
	v_lshrrev_b32_e32 v3, 5, v107
	v_lshrrev_b32_e32 v4, 5, v106
	v_add_lshl_u32 v5, v0, v59, 3
	v_lshrrev_b32_e32 v10, 5, v105
	ds_store_2addr_b64 v2, v[54:55], v[60:61] offset1:1
	ds_store_2addr_b64 v2, v[62:63], v[80:81] offset0:2 offset1:3
	ds_store_2addr_b64 v2, v[64:65], v[82:83] offset0:4 offset1:5
	;; [unrolled: 1-line block ×7, first 2 shown]
	v_lshrrev_b32_e32 v2, 5, v108
	v_add_lshl_u32 v7, v3, v59, 3
	v_add_lshl_u32 v8, v4, v59, 3
	s_waitcnt lgkmcnt(0)
	s_barrier
	v_add_lshl_u32 v6, v2, v59, 3
	buffer_gl0_inv
	v_lshrrev_b32_e32 v19, 5, v100
	ds_load_b64 v[2:3], v5
	ds_load_b64 v[4:5], v6 offset:2048
	ds_load_b64 v[6:7], v7 offset:4096
	;; [unrolled: 1-line block ×3, first 2 shown]
	v_lshrrev_b32_e32 v11, 5, v104
	v_lshrrev_b32_e32 v20, 5, v99
	;; [unrolled: 1-line block ×5, first 2 shown]
	v_add_lshl_u32 v10, v10, v59, 3
	v_add_lshl_u32 v21, v19, v59, 3
	v_lshrrev_b32_e32 v19, 5, v98
	v_add_lshl_u32 v14, v11, v59, 3
	v_add_lshl_u32 v22, v20, v59, 3
	v_lshrrev_b32_e32 v20, 5, v97
	v_lshrrev_b32_e32 v23, 5, v96
	;; [unrolled: 1-line block ×4, first 2 shown]
	v_add_lshl_u32 v15, v12, v59, 3
	v_add_lshl_u32 v18, v18, v59, 3
	v_add_co_u32 v44, s3, s0, v109
	v_add_lshl_u32 v16, v13, v59, 3
	v_add_co_ci_u32_e64 v45, null, s1, 0, s3
	ds_load_b64 v[10:11], v10 offset:8192
	ds_load_b64 v[12:13], v14 offset:10240
	;; [unrolled: 1-line block ×4, first 2 shown]
	v_add_lshl_u32 v26, v19, v59, 3
	v_add_lshl_u32 v27, v20, v59, 3
	;; [unrolled: 1-line block ×5, first 2 shown]
	ds_load_b64 v[18:19], v18 offset:16384
	ds_load_b64 v[20:21], v21 offset:18432
	;; [unrolled: 1-line block ×8, first 2 shown]
	s_waitcnt lgkmcnt(14)
	global_store_b64 v109, v[4:5], s[0:1] offset:2048
	v_add_co_u32 v4, vcc_lo, 0x1000, v44
	v_add_co_ci_u32_e32 v5, vcc_lo, 0, v45, vcc_lo
	v_add_co_u32 v34, vcc_lo, v44, 0x2000
	v_add_co_ci_u32_e32 v35, vcc_lo, 0, v45, vcc_lo
	;; [unrolled: 2-line block ×6, first 2 shown]
	s_waitcnt lgkmcnt(13)
	global_store_b64 v[34:35], v[6:7], off offset:-4096
	s_waitcnt lgkmcnt(11)
	global_store_b64 v[34:35], v[10:11], off
	s_waitcnt lgkmcnt(9)
	global_store_b64 v[40:41], v[14:15], off offset:-4096
	s_waitcnt lgkmcnt(7)
	s_clause 0x3
	global_store_b64 v[40:41], v[18:19], off
	global_store_b64 v[4:5], v[8:9], off offset:2048
	global_store_b64 v[36:37], v[12:13], off offset:2048
	;; [unrolled: 1-line block ×3, first 2 shown]
	s_waitcnt lgkmcnt(6)
	global_store_b64 v[42:43], v[20:21], off offset:2048
	v_add_co_u32 v4, vcc_lo, v44, 0x6000
	v_add_co_ci_u32_e32 v5, vcc_lo, 0, v45, vcc_lo
	v_add_co_u32 v6, vcc_lo, 0x5000, v44
	v_add_co_ci_u32_e32 v7, vcc_lo, 0, v45, vcc_lo
	v_add_co_u32 v8, vcc_lo, 0x6000, v44
	v_add_co_ci_u32_e32 v9, vcc_lo, 0, v45, vcc_lo
	v_add_co_u32 v10, vcc_lo, 0x7000, v44
	v_add_co_ci_u32_e32 v11, vcc_lo, 0, v45, vcc_lo
	s_mov_b32 s2, 0
	s_waitcnt lgkmcnt(5)
	s_clause 0x1
	global_store_b64 v[4:5], v[22:23], off offset:-4096
	global_store_b64 v109, v[2:3], s[0:1]
	s_waitcnt lgkmcnt(3)
	s_clause 0x1
	global_store_b64 v[4:5], v[26:27], off
	global_store_b64 v[6:7], v[24:25], off offset:2048
	s_waitcnt lgkmcnt(2)
	global_store_b64 v[8:9], v[28:29], off offset:2048
	s_waitcnt lgkmcnt(1)
	global_store_b64 v[10:11], v[30:31], off
	s_waitcnt lgkmcnt(0)
	global_store_b64 v[10:11], v[32:33], off offset:2048
.LBB321_123:
	s_and_not1_b32 vcc_lo, exec_lo, s2
	s_cbranch_vccnz .LBB321_141
; %bb.124:
	v_lshl_add_u32 v1, v110, 3, v1
	v_lshrrev_b32_e32 v17, 5, v100
	v_lshrrev_b32_e32 v18, 5, v99
	;; [unrolled: 1-line block ×4, first 2 shown]
	ds_store_2addr_b64 v1, v[54:55], v[60:61] offset1:1
	ds_store_2addr_b64 v1, v[62:63], v[80:81] offset0:2 offset1:3
	ds_store_2addr_b64 v1, v[64:65], v[82:83] offset0:4 offset1:5
	;; [unrolled: 1-line block ×7, first 2 shown]
	v_lshrrev_b32_e32 v1, 5, v108
	v_lshrrev_b32_e32 v9, 5, v104
	;; [unrolled: 1-line block ×6, first 2 shown]
	v_add_lshl_u32 v19, v17, v59, 3
	v_lshrrev_b32_e32 v17, 5, v98
	v_add_lshl_u32 v20, v18, v59, 3
	v_lshrrev_b32_e32 v18, 5, v97
	v_lshrrev_b32_e32 v21, 5, v96
	;; [unrolled: 1-line block ×4, first 2 shown]
	v_add_lshl_u32 v34, v0, v59, 3
	v_add_lshl_u32 v8, v8, v59, 3
	;; [unrolled: 1-line block ×14, first 2 shown]
	s_waitcnt lgkmcnt(0)
	s_waitcnt_vscnt null, 0x0
	s_barrier
	buffer_gl0_inv
	ds_load_b64 v[2:3], v34
	ds_load_b64 v[0:1], v0 offset:2048
	ds_load_b64 v[4:5], v4 offset:4096
	;; [unrolled: 1-line block ×15, first 2 shown]
	v_add_co_u32 v32, s0, s0, v109
	v_mov_b32_e32 v60, 0
	v_add_co_ci_u32_e64 v33, null, s1, 0, s0
	s_mov_b32 s0, exec_lo
	v_cmpx_gt_u32_e64 s28, v59
	s_cbranch_execnz .LBB321_142
; %bb.125:
	s_or_b32 exec_lo, exec_lo, s0
	s_delay_alu instid0(SALU_CYCLE_1)
	s_mov_b32 s0, exec_lo
	v_cmpx_gt_u32_e64 s28, v108
	s_cbranch_execnz .LBB321_143
.LBB321_126:
	s_or_b32 exec_lo, exec_lo, s0
	s_delay_alu instid0(SALU_CYCLE_1)
	s_mov_b32 s0, exec_lo
	v_cmpx_gt_u32_e64 s28, v107
	s_cbranch_execnz .LBB321_144
.LBB321_127:
	s_or_b32 exec_lo, exec_lo, s0
	s_delay_alu instid0(SALU_CYCLE_1)
	s_mov_b32 s0, exec_lo
	v_cmpx_gt_u32_e64 s28, v106
	s_cbranch_execnz .LBB321_145
.LBB321_128:
	s_or_b32 exec_lo, exec_lo, s0
	s_delay_alu instid0(SALU_CYCLE_1)
	s_mov_b32 s0, exec_lo
	v_cmpx_gt_u32_e64 s28, v105
	s_cbranch_execnz .LBB321_146
.LBB321_129:
	s_or_b32 exec_lo, exec_lo, s0
	s_delay_alu instid0(SALU_CYCLE_1)
	s_mov_b32 s0, exec_lo
	v_cmpx_gt_u32_e64 s28, v104
	s_cbranch_execnz .LBB321_147
.LBB321_130:
	s_or_b32 exec_lo, exec_lo, s0
	s_delay_alu instid0(SALU_CYCLE_1)
	s_mov_b32 s0, exec_lo
	v_cmpx_gt_u32_e64 s28, v103
	s_cbranch_execnz .LBB321_148
.LBB321_131:
	s_or_b32 exec_lo, exec_lo, s0
	s_delay_alu instid0(SALU_CYCLE_1)
	s_mov_b32 s0, exec_lo
	v_cmpx_gt_u32_e64 s28, v102
	s_cbranch_execnz .LBB321_149
.LBB321_132:
	s_or_b32 exec_lo, exec_lo, s0
	s_delay_alu instid0(SALU_CYCLE_1)
	s_mov_b32 s0, exec_lo
	v_cmpx_gt_u32_e64 s28, v101
	s_cbranch_execnz .LBB321_150
.LBB321_133:
	s_or_b32 exec_lo, exec_lo, s0
	s_delay_alu instid0(SALU_CYCLE_1)
	s_mov_b32 s0, exec_lo
	v_cmpx_gt_u32_e64 s28, v100
	s_cbranch_execnz .LBB321_151
.LBB321_134:
	s_or_b32 exec_lo, exec_lo, s0
	s_delay_alu instid0(SALU_CYCLE_1)
	s_mov_b32 s0, exec_lo
	v_cmpx_gt_u32_e64 s28, v99
	s_cbranch_execnz .LBB321_152
.LBB321_135:
	s_or_b32 exec_lo, exec_lo, s0
	s_delay_alu instid0(SALU_CYCLE_1)
	s_mov_b32 s0, exec_lo
	v_cmpx_gt_u32_e64 s28, v98
	s_cbranch_execnz .LBB321_153
.LBB321_136:
	s_or_b32 exec_lo, exec_lo, s0
	s_delay_alu instid0(SALU_CYCLE_1)
	s_mov_b32 s0, exec_lo
	v_cmpx_gt_u32_e64 s28, v97
	s_cbranch_execnz .LBB321_154
.LBB321_137:
	s_or_b32 exec_lo, exec_lo, s0
	s_delay_alu instid0(SALU_CYCLE_1)
	s_mov_b32 s0, exec_lo
	v_cmpx_gt_u32_e64 s28, v96
	s_cbranch_execnz .LBB321_155
.LBB321_138:
	s_or_b32 exec_lo, exec_lo, s0
	s_delay_alu instid0(SALU_CYCLE_1)
	s_mov_b32 s0, exec_lo
	v_cmpx_gt_u32_e64 s28, v95
	s_cbranch_execnz .LBB321_156
.LBB321_139:
	s_or_b32 exec_lo, exec_lo, s0
	s_delay_alu instid0(SALU_CYCLE_1)
	s_mov_b32 s0, exec_lo
	v_cmpx_gt_u32_e64 s28, v94
	s_cbranch_execnz .LBB321_157
.LBB321_140:
	s_or_b32 exec_lo, exec_lo, s0
	v_cmp_lt_u64_e64 s0, s[18:19], 2
	s_delay_alu instid0(VALU_DEP_1)
	s_and_b32 vcc_lo, exec_lo, s0
	s_cbranch_vccz .LBB321_158
.LBB321_141:
	s_nop 0
	s_sendmsg sendmsg(MSG_DEALLOC_VGPRS)
	s_endpgm
.LBB321_142:
	ds_load_b64 v[34:35], v34
	s_waitcnt lgkmcnt(0)
	global_store_b64 v[32:33], v[34:35], off
	s_or_b32 exec_lo, exec_lo, s0
	s_delay_alu instid0(SALU_CYCLE_1)
	s_mov_b32 s0, exec_lo
	v_cmpx_gt_u32_e64 s28, v108
	s_cbranch_execz .LBB321_126
.LBB321_143:
	s_waitcnt lgkmcnt(14)
	global_store_b64 v[32:33], v[0:1], off offset:2048
	s_or_b32 exec_lo, exec_lo, s0
	s_delay_alu instid0(SALU_CYCLE_1)
	s_mov_b32 s0, exec_lo
	v_cmpx_gt_u32_e64 s28, v107
	s_cbranch_execz .LBB321_127
.LBB321_144:
	v_add_co_u32 v34, vcc_lo, 0x1000, v32
	v_add_co_ci_u32_e32 v35, vcc_lo, 0, v33, vcc_lo
	s_waitcnt lgkmcnt(13)
	global_store_b64 v[34:35], v[4:5], off
	s_or_b32 exec_lo, exec_lo, s0
	s_delay_alu instid0(SALU_CYCLE_1)
	s_mov_b32 s0, exec_lo
	v_cmpx_gt_u32_e64 s28, v106
	s_cbranch_execz .LBB321_128
.LBB321_145:
	v_add_co_u32 v34, vcc_lo, 0x1000, v32
	v_add_co_ci_u32_e32 v35, vcc_lo, 0, v33, vcc_lo
	s_waitcnt lgkmcnt(12)
	global_store_b64 v[34:35], v[6:7], off offset:2048
	s_or_b32 exec_lo, exec_lo, s0
	s_delay_alu instid0(SALU_CYCLE_1)
	s_mov_b32 s0, exec_lo
	v_cmpx_gt_u32_e64 s28, v105
	s_cbranch_execz .LBB321_129
.LBB321_146:
	v_add_co_u32 v34, vcc_lo, 0x2000, v32
	v_add_co_ci_u32_e32 v35, vcc_lo, 0, v33, vcc_lo
	s_waitcnt lgkmcnt(11)
	global_store_b64 v[34:35], v[8:9], off
	s_or_b32 exec_lo, exec_lo, s0
	s_delay_alu instid0(SALU_CYCLE_1)
	s_mov_b32 s0, exec_lo
	v_cmpx_gt_u32_e64 s28, v104
	s_cbranch_execz .LBB321_130
.LBB321_147:
	v_add_co_u32 v34, vcc_lo, 0x2000, v32
	v_add_co_ci_u32_e32 v35, vcc_lo, 0, v33, vcc_lo
	s_waitcnt lgkmcnt(10)
	global_store_b64 v[34:35], v[10:11], off offset:2048
	s_or_b32 exec_lo, exec_lo, s0
	s_delay_alu instid0(SALU_CYCLE_1)
	s_mov_b32 s0, exec_lo
	v_cmpx_gt_u32_e64 s28, v103
	s_cbranch_execz .LBB321_131
.LBB321_148:
	v_add_co_u32 v34, vcc_lo, 0x3000, v32
	v_add_co_ci_u32_e32 v35, vcc_lo, 0, v33, vcc_lo
	s_waitcnt lgkmcnt(9)
	global_store_b64 v[34:35], v[12:13], off
	s_or_b32 exec_lo, exec_lo, s0
	s_delay_alu instid0(SALU_CYCLE_1)
	s_mov_b32 s0, exec_lo
	v_cmpx_gt_u32_e64 s28, v102
	s_cbranch_execz .LBB321_132
.LBB321_149:
	v_add_co_u32 v34, vcc_lo, 0x3000, v32
	v_add_co_ci_u32_e32 v35, vcc_lo, 0, v33, vcc_lo
	s_waitcnt lgkmcnt(8)
	global_store_b64 v[34:35], v[14:15], off offset:2048
	s_or_b32 exec_lo, exec_lo, s0
	s_delay_alu instid0(SALU_CYCLE_1)
	s_mov_b32 s0, exec_lo
	v_cmpx_gt_u32_e64 s28, v101
	s_cbranch_execz .LBB321_133
.LBB321_150:
	v_add_co_u32 v34, vcc_lo, 0x4000, v32
	v_add_co_ci_u32_e32 v35, vcc_lo, 0, v33, vcc_lo
	s_waitcnt lgkmcnt(7)
	global_store_b64 v[34:35], v[16:17], off
	s_or_b32 exec_lo, exec_lo, s0
	s_delay_alu instid0(SALU_CYCLE_1)
	s_mov_b32 s0, exec_lo
	v_cmpx_gt_u32_e64 s28, v100
	s_cbranch_execz .LBB321_134
.LBB321_151:
	v_add_co_u32 v34, vcc_lo, 0x4000, v32
	v_add_co_ci_u32_e32 v35, vcc_lo, 0, v33, vcc_lo
	s_waitcnt lgkmcnt(6)
	global_store_b64 v[34:35], v[18:19], off offset:2048
	s_or_b32 exec_lo, exec_lo, s0
	s_delay_alu instid0(SALU_CYCLE_1)
	s_mov_b32 s0, exec_lo
	v_cmpx_gt_u32_e64 s28, v99
	s_cbranch_execz .LBB321_135
.LBB321_152:
	v_add_co_u32 v34, vcc_lo, 0x5000, v32
	v_add_co_ci_u32_e32 v35, vcc_lo, 0, v33, vcc_lo
	s_waitcnt lgkmcnt(5)
	global_store_b64 v[34:35], v[20:21], off
	s_or_b32 exec_lo, exec_lo, s0
	s_delay_alu instid0(SALU_CYCLE_1)
	s_mov_b32 s0, exec_lo
	v_cmpx_gt_u32_e64 s28, v98
	s_cbranch_execz .LBB321_136
.LBB321_153:
	v_add_co_u32 v34, vcc_lo, 0x5000, v32
	v_add_co_ci_u32_e32 v35, vcc_lo, 0, v33, vcc_lo
	s_waitcnt lgkmcnt(4)
	global_store_b64 v[34:35], v[22:23], off offset:2048
	s_or_b32 exec_lo, exec_lo, s0
	s_delay_alu instid0(SALU_CYCLE_1)
	s_mov_b32 s0, exec_lo
	v_cmpx_gt_u32_e64 s28, v97
	s_cbranch_execz .LBB321_137
.LBB321_154:
	v_add_co_u32 v34, vcc_lo, 0x6000, v32
	v_add_co_ci_u32_e32 v35, vcc_lo, 0, v33, vcc_lo
	s_waitcnt lgkmcnt(3)
	global_store_b64 v[34:35], v[24:25], off
	s_or_b32 exec_lo, exec_lo, s0
	s_delay_alu instid0(SALU_CYCLE_1)
	s_mov_b32 s0, exec_lo
	v_cmpx_gt_u32_e64 s28, v96
	s_cbranch_execz .LBB321_138
.LBB321_155:
	v_add_co_u32 v34, vcc_lo, 0x6000, v32
	v_add_co_ci_u32_e32 v35, vcc_lo, 0, v33, vcc_lo
	s_waitcnt lgkmcnt(2)
	global_store_b64 v[34:35], v[26:27], off offset:2048
	s_or_b32 exec_lo, exec_lo, s0
	s_delay_alu instid0(SALU_CYCLE_1)
	s_mov_b32 s0, exec_lo
	v_cmpx_gt_u32_e64 s28, v95
	s_cbranch_execz .LBB321_139
.LBB321_156:
	v_add_co_u32 v34, vcc_lo, 0x7000, v32
	v_add_co_ci_u32_e32 v35, vcc_lo, 0, v33, vcc_lo
	s_waitcnt lgkmcnt(1)
	global_store_b64 v[34:35], v[28:29], off
	s_or_b32 exec_lo, exec_lo, s0
	s_delay_alu instid0(SALU_CYCLE_1)
	s_mov_b32 s0, exec_lo
	v_cmpx_gt_u32_e64 s28, v94
	s_cbranch_execz .LBB321_140
.LBB321_157:
	v_add_co_u32 v32, vcc_lo, 0x7000, v32
	v_add_co_ci_u32_e32 v33, vcc_lo, 0, v33, vcc_lo
	s_waitcnt lgkmcnt(0)
	global_store_b64 v[32:33], v[30:31], off offset:2048
	s_or_b32 exec_lo, exec_lo, s0
	v_cmp_lt_u64_e64 s0, s[18:19], 2
	s_delay_alu instid0(VALU_DEP_1)
	s_and_b32 vcc_lo, exec_lo, s0
	s_cbranch_vccnz .LBB321_141
.LBB321_158:
	s_add_u32 s0, s28, -1
	s_addc_u32 s1, s29, -1
	s_delay_alu instid0(SALU_CYCLE_1)
	s_lshr_b64 s[2:3], s[0:1], 4
	s_mov_b32 s1, exec_lo
	v_cmpx_eq_u64_e64 s[2:3], v[59:60]
	s_cbranch_execz .LBB321_141
; %bb.159:
	s_and_b32 s0, s0, 15
	s_mov_b32 s1, 0
	s_delay_alu instid0(SALU_CYCLE_1) | instskip(NEXT) | instid1(VALU_DEP_1)
	v_cmp_lt_i64_e64 s2, s[0:1], 8
	s_and_b32 vcc_lo, exec_lo, s2
	s_mov_b32 s2, -1
	s_cbranch_vccnz .LBB321_186
; %bb.160:
	v_cmp_lt_i64_e64 s2, s[0:1], 12
	s_delay_alu instid0(VALU_DEP_1)
	s_and_b32 vcc_lo, exec_lo, s2
	s_mov_b32 s2, -1
	s_cbranch_vccnz .LBB321_173
; %bb.161:
	v_cmp_lt_i64_e64 s2, s[0:1], 14
	s_delay_alu instid0(VALU_DEP_1)
	s_and_b32 vcc_lo, exec_lo, s2
	s_mov_b32 s2, -1
	s_cbranch_vccnz .LBB321_167
; %bb.162:
	v_cmp_gt_i64_e64 s2, s[0:1], 14
	s_delay_alu instid0(VALU_DEP_1)
	s_and_b32 vcc_lo, exec_lo, s2
	s_mov_b32 s2, -1
	s_cbranch_vccz .LBB321_164
; %bb.163:
	v_mov_b32_e32 v32, 0
	s_mov_b32 s2, 0
	s_waitcnt lgkmcnt(0)
	global_store_b64 v32, v[30:31], s[14:15]
.LBB321_164:
	s_and_not1_b32 vcc_lo, exec_lo, s2
	s_cbranch_vccnz .LBB321_166
; %bb.165:
	s_waitcnt lgkmcnt(0)
	v_mov_b32_e32 v30, 0
	global_store_b64 v30, v[28:29], s[14:15]
.LBB321_166:
	s_mov_b32 s2, 0
.LBB321_167:
	s_delay_alu instid0(SALU_CYCLE_1)
	s_and_not1_b32 vcc_lo, exec_lo, s2
	s_cbranch_vccnz .LBB321_172
; %bb.168:
	v_cmp_gt_i64_e64 s2, s[0:1], 12
	s_delay_alu instid0(VALU_DEP_1)
	s_and_b32 vcc_lo, exec_lo, s2
	s_mov_b32 s2, -1
	s_cbranch_vccz .LBB321_170
; %bb.169:
	s_waitcnt lgkmcnt(1)
	v_mov_b32_e32 v28, 0
	s_mov_b32 s2, 0
	global_store_b64 v28, v[26:27], s[14:15]
.LBB321_170:
	s_and_not1_b32 vcc_lo, exec_lo, s2
	s_cbranch_vccnz .LBB321_172
; %bb.171:
	s_waitcnt lgkmcnt(2)
	v_mov_b32_e32 v26, 0
	global_store_b64 v26, v[24:25], s[14:15]
.LBB321_172:
	s_mov_b32 s2, 0
.LBB321_173:
	s_delay_alu instid0(SALU_CYCLE_1)
	s_and_not1_b32 vcc_lo, exec_lo, s2
	s_cbranch_vccnz .LBB321_185
; %bb.174:
	v_cmp_lt_i64_e64 s2, s[0:1], 10
	s_delay_alu instid0(VALU_DEP_1)
	s_and_b32 vcc_lo, exec_lo, s2
	s_mov_b32 s2, -1
	s_cbranch_vccnz .LBB321_180
; %bb.175:
	v_cmp_gt_i64_e64 s2, s[0:1], 10
	s_delay_alu instid0(VALU_DEP_1)
	s_and_b32 vcc_lo, exec_lo, s2
	s_mov_b32 s2, -1
	s_cbranch_vccz .LBB321_177
; %bb.176:
	s_waitcnt lgkmcnt(3)
	v_mov_b32_e32 v24, 0
	s_mov_b32 s2, 0
	global_store_b64 v24, v[22:23], s[14:15]
.LBB321_177:
	s_and_not1_b32 vcc_lo, exec_lo, s2
	s_cbranch_vccnz .LBB321_179
; %bb.178:
	s_waitcnt lgkmcnt(4)
	v_mov_b32_e32 v22, 0
	global_store_b64 v22, v[20:21], s[14:15]
.LBB321_179:
	s_mov_b32 s2, 0
.LBB321_180:
	s_delay_alu instid0(SALU_CYCLE_1)
	s_and_not1_b32 vcc_lo, exec_lo, s2
	s_cbranch_vccnz .LBB321_185
; %bb.181:
	v_cmp_gt_i64_e64 s2, s[0:1], 8
	s_delay_alu instid0(VALU_DEP_1)
	s_and_b32 vcc_lo, exec_lo, s2
	s_mov_b32 s2, -1
	s_cbranch_vccz .LBB321_183
; %bb.182:
	s_waitcnt lgkmcnt(5)
	v_mov_b32_e32 v20, 0
	s_mov_b32 s2, 0
	global_store_b64 v20, v[18:19], s[14:15]
.LBB321_183:
	s_and_not1_b32 vcc_lo, exec_lo, s2
	s_cbranch_vccnz .LBB321_185
; %bb.184:
	s_waitcnt lgkmcnt(6)
	v_mov_b32_e32 v18, 0
	global_store_b64 v18, v[16:17], s[14:15]
.LBB321_185:
	s_mov_b32 s2, 0
.LBB321_186:
	s_delay_alu instid0(SALU_CYCLE_1)
	s_and_not1_b32 vcc_lo, exec_lo, s2
	s_cbranch_vccnz .LBB321_141
; %bb.187:
	v_cmp_lt_i64_e64 s2, s[0:1], 4
	s_delay_alu instid0(VALU_DEP_1)
	s_and_b32 vcc_lo, exec_lo, s2
	s_mov_b32 s2, -1
	s_cbranch_vccnz .LBB321_200
; %bb.188:
	v_cmp_lt_i64_e64 s2, s[0:1], 6
	s_delay_alu instid0(VALU_DEP_1)
	s_and_b32 vcc_lo, exec_lo, s2
	s_mov_b32 s2, -1
	s_cbranch_vccnz .LBB321_194
; %bb.189:
	v_cmp_gt_i64_e64 s2, s[0:1], 6
	s_delay_alu instid0(VALU_DEP_1)
	s_and_b32 vcc_lo, exec_lo, s2
	s_mov_b32 s2, -1
	s_cbranch_vccz .LBB321_191
; %bb.190:
	s_waitcnt lgkmcnt(7)
	v_mov_b32_e32 v16, 0
	s_mov_b32 s2, 0
	global_store_b64 v16, v[14:15], s[14:15]
.LBB321_191:
	s_and_not1_b32 vcc_lo, exec_lo, s2
	s_cbranch_vccnz .LBB321_193
; %bb.192:
	s_waitcnt lgkmcnt(8)
	v_mov_b32_e32 v14, 0
	global_store_b64 v14, v[12:13], s[14:15]
.LBB321_193:
	s_mov_b32 s2, 0
.LBB321_194:
	s_delay_alu instid0(SALU_CYCLE_1)
	s_and_not1_b32 vcc_lo, exec_lo, s2
	s_cbranch_vccnz .LBB321_199
; %bb.195:
	v_cmp_gt_i64_e64 s2, s[0:1], 4
	s_delay_alu instid0(VALU_DEP_1)
	s_and_b32 vcc_lo, exec_lo, s2
	s_mov_b32 s2, -1
	s_cbranch_vccz .LBB321_197
; %bb.196:
	s_waitcnt lgkmcnt(9)
	v_mov_b32_e32 v12, 0
	s_mov_b32 s2, 0
	global_store_b64 v12, v[10:11], s[14:15]
.LBB321_197:
	s_and_not1_b32 vcc_lo, exec_lo, s2
	s_cbranch_vccnz .LBB321_199
; %bb.198:
	s_waitcnt lgkmcnt(10)
	v_mov_b32_e32 v10, 0
	global_store_b64 v10, v[8:9], s[14:15]
.LBB321_199:
	s_mov_b32 s2, 0
.LBB321_200:
	s_delay_alu instid0(SALU_CYCLE_1)
	s_and_not1_b32 vcc_lo, exec_lo, s2
	s_cbranch_vccnz .LBB321_141
; %bb.201:
	v_cmp_lt_i64_e64 s2, s[0:1], 2
	s_delay_alu instid0(VALU_DEP_1)
	s_and_b32 vcc_lo, exec_lo, s2
	s_mov_b32 s2, -1
	s_cbranch_vccnz .LBB321_207
; %bb.202:
	v_cmp_gt_i64_e64 s2, s[0:1], 2
	s_delay_alu instid0(VALU_DEP_1)
	s_and_b32 vcc_lo, exec_lo, s2
	s_mov_b32 s2, -1
	s_cbranch_vccz .LBB321_204
; %bb.203:
	s_waitcnt lgkmcnt(11)
	v_mov_b32_e32 v8, 0
	s_mov_b32 s2, 0
	global_store_b64 v8, v[6:7], s[14:15]
.LBB321_204:
	s_and_not1_b32 vcc_lo, exec_lo, s2
	s_cbranch_vccnz .LBB321_206
; %bb.205:
	s_waitcnt lgkmcnt(12)
	v_mov_b32_e32 v6, 0
	global_store_b64 v6, v[4:5], s[14:15]
.LBB321_206:
	s_mov_b32 s2, 0
.LBB321_207:
	s_delay_alu instid0(SALU_CYCLE_1)
	s_and_not1_b32 vcc_lo, exec_lo, s2
	s_cbranch_vccnz .LBB321_141
; %bb.208:
	s_cmp_eq_u64 s[0:1], 1
	s_mov_b32 s0, -1
	s_cbranch_scc1 .LBB321_210
; %bb.209:
	s_waitcnt lgkmcnt(13)
	v_mov_b32_e32 v4, 0
	s_mov_b32 s0, 0
	global_store_b64 v4, v[2:3], s[14:15]
.LBB321_210:
	s_and_not1_b32 vcc_lo, exec_lo, s0
	s_cbranch_vccnz .LBB321_141
; %bb.211:
	s_waitcnt lgkmcnt(15)
	v_mov_b32_e32 v2, 0
	s_waitcnt lgkmcnt(14)
	global_store_b64 v2, v[0:1], s[14:15]
	s_nop 0
	s_sendmsg sendmsg(MSG_DEALLOC_VGPRS)
	s_endpgm
	.section	.rodata,"a",@progbits
	.p2align	6, 0x0
	.amdhsa_kernel _ZN7rocprim17ROCPRIM_400000_NS6detail17trampoline_kernelINS0_14default_configENS1_20scan_config_selectorIN3c107complexIfEEEEZZNS1_9scan_implILNS1_25lookback_scan_determinismE0ELb0ELb0ES3_PKS7_PS7_S7_ZZZN2at6native31launch_logcumsumexp_cuda_kernelERKNSE_10TensorBaseESI_lENKUlvE_clEvENKUlvE2_clEvEUlS7_S7_E_S7_EEDaPvRmT3_T4_T5_mT6_P12ihipStream_tbENKUlT_T0_E_clISt17integral_constantIbLb1EESY_IbLb0EEEEDaSU_SV_EUlSU_E_NS1_11comp_targetILNS1_3genE9ELNS1_11target_archE1100ELNS1_3gpuE3ELNS1_3repE0EEENS1_30default_config_static_selectorELNS0_4arch9wavefront6targetE0EEEvT1_
		.amdhsa_group_segment_fixed_size 33792
		.amdhsa_private_segment_fixed_size 0
		.amdhsa_kernarg_size 104
		.amdhsa_user_sgpr_count 15
		.amdhsa_user_sgpr_dispatch_ptr 0
		.amdhsa_user_sgpr_queue_ptr 0
		.amdhsa_user_sgpr_kernarg_segment_ptr 1
		.amdhsa_user_sgpr_dispatch_id 0
		.amdhsa_user_sgpr_private_segment_size 0
		.amdhsa_wavefront_size32 1
		.amdhsa_uses_dynamic_stack 0
		.amdhsa_enable_private_segment 0
		.amdhsa_system_sgpr_workgroup_id_x 1
		.amdhsa_system_sgpr_workgroup_id_y 0
		.amdhsa_system_sgpr_workgroup_id_z 0
		.amdhsa_system_sgpr_workgroup_info 0
		.amdhsa_system_vgpr_workitem_id 0
		.amdhsa_next_free_vgpr 111
		.amdhsa_next_free_sgpr 34
		.amdhsa_reserve_vcc 1
		.amdhsa_float_round_mode_32 0
		.amdhsa_float_round_mode_16_64 0
		.amdhsa_float_denorm_mode_32 3
		.amdhsa_float_denorm_mode_16_64 3
		.amdhsa_dx10_clamp 1
		.amdhsa_ieee_mode 1
		.amdhsa_fp16_overflow 0
		.amdhsa_workgroup_processor_mode 1
		.amdhsa_memory_ordered 1
		.amdhsa_forward_progress 0
		.amdhsa_shared_vgpr_count 0
		.amdhsa_exception_fp_ieee_invalid_op 0
		.amdhsa_exception_fp_denorm_src 0
		.amdhsa_exception_fp_ieee_div_zero 0
		.amdhsa_exception_fp_ieee_overflow 0
		.amdhsa_exception_fp_ieee_underflow 0
		.amdhsa_exception_fp_ieee_inexact 0
		.amdhsa_exception_int_div_zero 0
	.end_amdhsa_kernel
	.section	.text._ZN7rocprim17ROCPRIM_400000_NS6detail17trampoline_kernelINS0_14default_configENS1_20scan_config_selectorIN3c107complexIfEEEEZZNS1_9scan_implILNS1_25lookback_scan_determinismE0ELb0ELb0ES3_PKS7_PS7_S7_ZZZN2at6native31launch_logcumsumexp_cuda_kernelERKNSE_10TensorBaseESI_lENKUlvE_clEvENKUlvE2_clEvEUlS7_S7_E_S7_EEDaPvRmT3_T4_T5_mT6_P12ihipStream_tbENKUlT_T0_E_clISt17integral_constantIbLb1EESY_IbLb0EEEEDaSU_SV_EUlSU_E_NS1_11comp_targetILNS1_3genE9ELNS1_11target_archE1100ELNS1_3gpuE3ELNS1_3repE0EEENS1_30default_config_static_selectorELNS0_4arch9wavefront6targetE0EEEvT1_,"axG",@progbits,_ZN7rocprim17ROCPRIM_400000_NS6detail17trampoline_kernelINS0_14default_configENS1_20scan_config_selectorIN3c107complexIfEEEEZZNS1_9scan_implILNS1_25lookback_scan_determinismE0ELb0ELb0ES3_PKS7_PS7_S7_ZZZN2at6native31launch_logcumsumexp_cuda_kernelERKNSE_10TensorBaseESI_lENKUlvE_clEvENKUlvE2_clEvEUlS7_S7_E_S7_EEDaPvRmT3_T4_T5_mT6_P12ihipStream_tbENKUlT_T0_E_clISt17integral_constantIbLb1EESY_IbLb0EEEEDaSU_SV_EUlSU_E_NS1_11comp_targetILNS1_3genE9ELNS1_11target_archE1100ELNS1_3gpuE3ELNS1_3repE0EEENS1_30default_config_static_selectorELNS0_4arch9wavefront6targetE0EEEvT1_,comdat
.Lfunc_end321:
	.size	_ZN7rocprim17ROCPRIM_400000_NS6detail17trampoline_kernelINS0_14default_configENS1_20scan_config_selectorIN3c107complexIfEEEEZZNS1_9scan_implILNS1_25lookback_scan_determinismE0ELb0ELb0ES3_PKS7_PS7_S7_ZZZN2at6native31launch_logcumsumexp_cuda_kernelERKNSE_10TensorBaseESI_lENKUlvE_clEvENKUlvE2_clEvEUlS7_S7_E_S7_EEDaPvRmT3_T4_T5_mT6_P12ihipStream_tbENKUlT_T0_E_clISt17integral_constantIbLb1EESY_IbLb0EEEEDaSU_SV_EUlSU_E_NS1_11comp_targetILNS1_3genE9ELNS1_11target_archE1100ELNS1_3gpuE3ELNS1_3repE0EEENS1_30default_config_static_selectorELNS0_4arch9wavefront6targetE0EEEvT1_, .Lfunc_end321-_ZN7rocprim17ROCPRIM_400000_NS6detail17trampoline_kernelINS0_14default_configENS1_20scan_config_selectorIN3c107complexIfEEEEZZNS1_9scan_implILNS1_25lookback_scan_determinismE0ELb0ELb0ES3_PKS7_PS7_S7_ZZZN2at6native31launch_logcumsumexp_cuda_kernelERKNSE_10TensorBaseESI_lENKUlvE_clEvENKUlvE2_clEvEUlS7_S7_E_S7_EEDaPvRmT3_T4_T5_mT6_P12ihipStream_tbENKUlT_T0_E_clISt17integral_constantIbLb1EESY_IbLb0EEEEDaSU_SV_EUlSU_E_NS1_11comp_targetILNS1_3genE9ELNS1_11target_archE1100ELNS1_3gpuE3ELNS1_3repE0EEENS1_30default_config_static_selectorELNS0_4arch9wavefront6targetE0EEEvT1_
                                        ; -- End function
	.section	.AMDGPU.csdata,"",@progbits
; Kernel info:
; codeLenInByte = 11524
; NumSgprs: 36
; NumVgprs: 111
; ScratchSize: 0
; MemoryBound: 0
; FloatMode: 240
; IeeeMode: 1
; LDSByteSize: 33792 bytes/workgroup (compile time only)
; SGPRBlocks: 4
; VGPRBlocks: 13
; NumSGPRsForWavesPerEU: 36
; NumVGPRsForWavesPerEU: 111
; Occupancy: 6
; WaveLimiterHint : 0
; COMPUTE_PGM_RSRC2:SCRATCH_EN: 0
; COMPUTE_PGM_RSRC2:USER_SGPR: 15
; COMPUTE_PGM_RSRC2:TRAP_HANDLER: 0
; COMPUTE_PGM_RSRC2:TGID_X_EN: 1
; COMPUTE_PGM_RSRC2:TGID_Y_EN: 0
; COMPUTE_PGM_RSRC2:TGID_Z_EN: 0
; COMPUTE_PGM_RSRC2:TIDIG_COMP_CNT: 0
	.section	.text._ZN7rocprim17ROCPRIM_400000_NS6detail17trampoline_kernelINS0_14default_configENS1_20scan_config_selectorIN3c107complexIfEEEEZZNS1_9scan_implILNS1_25lookback_scan_determinismE0ELb0ELb0ES3_PKS7_PS7_S7_ZZZN2at6native31launch_logcumsumexp_cuda_kernelERKNSE_10TensorBaseESI_lENKUlvE_clEvENKUlvE2_clEvEUlS7_S7_E_S7_EEDaPvRmT3_T4_T5_mT6_P12ihipStream_tbENKUlT_T0_E_clISt17integral_constantIbLb1EESY_IbLb0EEEEDaSU_SV_EUlSU_E_NS1_11comp_targetILNS1_3genE8ELNS1_11target_archE1030ELNS1_3gpuE2ELNS1_3repE0EEENS1_30default_config_static_selectorELNS0_4arch9wavefront6targetE0EEEvT1_,"axG",@progbits,_ZN7rocprim17ROCPRIM_400000_NS6detail17trampoline_kernelINS0_14default_configENS1_20scan_config_selectorIN3c107complexIfEEEEZZNS1_9scan_implILNS1_25lookback_scan_determinismE0ELb0ELb0ES3_PKS7_PS7_S7_ZZZN2at6native31launch_logcumsumexp_cuda_kernelERKNSE_10TensorBaseESI_lENKUlvE_clEvENKUlvE2_clEvEUlS7_S7_E_S7_EEDaPvRmT3_T4_T5_mT6_P12ihipStream_tbENKUlT_T0_E_clISt17integral_constantIbLb1EESY_IbLb0EEEEDaSU_SV_EUlSU_E_NS1_11comp_targetILNS1_3genE8ELNS1_11target_archE1030ELNS1_3gpuE2ELNS1_3repE0EEENS1_30default_config_static_selectorELNS0_4arch9wavefront6targetE0EEEvT1_,comdat
	.globl	_ZN7rocprim17ROCPRIM_400000_NS6detail17trampoline_kernelINS0_14default_configENS1_20scan_config_selectorIN3c107complexIfEEEEZZNS1_9scan_implILNS1_25lookback_scan_determinismE0ELb0ELb0ES3_PKS7_PS7_S7_ZZZN2at6native31launch_logcumsumexp_cuda_kernelERKNSE_10TensorBaseESI_lENKUlvE_clEvENKUlvE2_clEvEUlS7_S7_E_S7_EEDaPvRmT3_T4_T5_mT6_P12ihipStream_tbENKUlT_T0_E_clISt17integral_constantIbLb1EESY_IbLb0EEEEDaSU_SV_EUlSU_E_NS1_11comp_targetILNS1_3genE8ELNS1_11target_archE1030ELNS1_3gpuE2ELNS1_3repE0EEENS1_30default_config_static_selectorELNS0_4arch9wavefront6targetE0EEEvT1_ ; -- Begin function _ZN7rocprim17ROCPRIM_400000_NS6detail17trampoline_kernelINS0_14default_configENS1_20scan_config_selectorIN3c107complexIfEEEEZZNS1_9scan_implILNS1_25lookback_scan_determinismE0ELb0ELb0ES3_PKS7_PS7_S7_ZZZN2at6native31launch_logcumsumexp_cuda_kernelERKNSE_10TensorBaseESI_lENKUlvE_clEvENKUlvE2_clEvEUlS7_S7_E_S7_EEDaPvRmT3_T4_T5_mT6_P12ihipStream_tbENKUlT_T0_E_clISt17integral_constantIbLb1EESY_IbLb0EEEEDaSU_SV_EUlSU_E_NS1_11comp_targetILNS1_3genE8ELNS1_11target_archE1030ELNS1_3gpuE2ELNS1_3repE0EEENS1_30default_config_static_selectorELNS0_4arch9wavefront6targetE0EEEvT1_
	.p2align	8
	.type	_ZN7rocprim17ROCPRIM_400000_NS6detail17trampoline_kernelINS0_14default_configENS1_20scan_config_selectorIN3c107complexIfEEEEZZNS1_9scan_implILNS1_25lookback_scan_determinismE0ELb0ELb0ES3_PKS7_PS7_S7_ZZZN2at6native31launch_logcumsumexp_cuda_kernelERKNSE_10TensorBaseESI_lENKUlvE_clEvENKUlvE2_clEvEUlS7_S7_E_S7_EEDaPvRmT3_T4_T5_mT6_P12ihipStream_tbENKUlT_T0_E_clISt17integral_constantIbLb1EESY_IbLb0EEEEDaSU_SV_EUlSU_E_NS1_11comp_targetILNS1_3genE8ELNS1_11target_archE1030ELNS1_3gpuE2ELNS1_3repE0EEENS1_30default_config_static_selectorELNS0_4arch9wavefront6targetE0EEEvT1_,@function
_ZN7rocprim17ROCPRIM_400000_NS6detail17trampoline_kernelINS0_14default_configENS1_20scan_config_selectorIN3c107complexIfEEEEZZNS1_9scan_implILNS1_25lookback_scan_determinismE0ELb0ELb0ES3_PKS7_PS7_S7_ZZZN2at6native31launch_logcumsumexp_cuda_kernelERKNSE_10TensorBaseESI_lENKUlvE_clEvENKUlvE2_clEvEUlS7_S7_E_S7_EEDaPvRmT3_T4_T5_mT6_P12ihipStream_tbENKUlT_T0_E_clISt17integral_constantIbLb1EESY_IbLb0EEEEDaSU_SV_EUlSU_E_NS1_11comp_targetILNS1_3genE8ELNS1_11target_archE1030ELNS1_3gpuE2ELNS1_3repE0EEENS1_30default_config_static_selectorELNS0_4arch9wavefront6targetE0EEEvT1_: ; @_ZN7rocprim17ROCPRIM_400000_NS6detail17trampoline_kernelINS0_14default_configENS1_20scan_config_selectorIN3c107complexIfEEEEZZNS1_9scan_implILNS1_25lookback_scan_determinismE0ELb0ELb0ES3_PKS7_PS7_S7_ZZZN2at6native31launch_logcumsumexp_cuda_kernelERKNSE_10TensorBaseESI_lENKUlvE_clEvENKUlvE2_clEvEUlS7_S7_E_S7_EEDaPvRmT3_T4_T5_mT6_P12ihipStream_tbENKUlT_T0_E_clISt17integral_constantIbLb1EESY_IbLb0EEEEDaSU_SV_EUlSU_E_NS1_11comp_targetILNS1_3genE8ELNS1_11target_archE1030ELNS1_3gpuE2ELNS1_3repE0EEENS1_30default_config_static_selectorELNS0_4arch9wavefront6targetE0EEEvT1_
; %bb.0:
	.section	.rodata,"a",@progbits
	.p2align	6, 0x0
	.amdhsa_kernel _ZN7rocprim17ROCPRIM_400000_NS6detail17trampoline_kernelINS0_14default_configENS1_20scan_config_selectorIN3c107complexIfEEEEZZNS1_9scan_implILNS1_25lookback_scan_determinismE0ELb0ELb0ES3_PKS7_PS7_S7_ZZZN2at6native31launch_logcumsumexp_cuda_kernelERKNSE_10TensorBaseESI_lENKUlvE_clEvENKUlvE2_clEvEUlS7_S7_E_S7_EEDaPvRmT3_T4_T5_mT6_P12ihipStream_tbENKUlT_T0_E_clISt17integral_constantIbLb1EESY_IbLb0EEEEDaSU_SV_EUlSU_E_NS1_11comp_targetILNS1_3genE8ELNS1_11target_archE1030ELNS1_3gpuE2ELNS1_3repE0EEENS1_30default_config_static_selectorELNS0_4arch9wavefront6targetE0EEEvT1_
		.amdhsa_group_segment_fixed_size 0
		.amdhsa_private_segment_fixed_size 0
		.amdhsa_kernarg_size 104
		.amdhsa_user_sgpr_count 15
		.amdhsa_user_sgpr_dispatch_ptr 0
		.amdhsa_user_sgpr_queue_ptr 0
		.amdhsa_user_sgpr_kernarg_segment_ptr 1
		.amdhsa_user_sgpr_dispatch_id 0
		.amdhsa_user_sgpr_private_segment_size 0
		.amdhsa_wavefront_size32 1
		.amdhsa_uses_dynamic_stack 0
		.amdhsa_enable_private_segment 0
		.amdhsa_system_sgpr_workgroup_id_x 1
		.amdhsa_system_sgpr_workgroup_id_y 0
		.amdhsa_system_sgpr_workgroup_id_z 0
		.amdhsa_system_sgpr_workgroup_info 0
		.amdhsa_system_vgpr_workitem_id 0
		.amdhsa_next_free_vgpr 1
		.amdhsa_next_free_sgpr 1
		.amdhsa_reserve_vcc 0
		.amdhsa_float_round_mode_32 0
		.amdhsa_float_round_mode_16_64 0
		.amdhsa_float_denorm_mode_32 3
		.amdhsa_float_denorm_mode_16_64 3
		.amdhsa_dx10_clamp 1
		.amdhsa_ieee_mode 1
		.amdhsa_fp16_overflow 0
		.amdhsa_workgroup_processor_mode 1
		.amdhsa_memory_ordered 1
		.amdhsa_forward_progress 0
		.amdhsa_shared_vgpr_count 0
		.amdhsa_exception_fp_ieee_invalid_op 0
		.amdhsa_exception_fp_denorm_src 0
		.amdhsa_exception_fp_ieee_div_zero 0
		.amdhsa_exception_fp_ieee_overflow 0
		.amdhsa_exception_fp_ieee_underflow 0
		.amdhsa_exception_fp_ieee_inexact 0
		.amdhsa_exception_int_div_zero 0
	.end_amdhsa_kernel
	.section	.text._ZN7rocprim17ROCPRIM_400000_NS6detail17trampoline_kernelINS0_14default_configENS1_20scan_config_selectorIN3c107complexIfEEEEZZNS1_9scan_implILNS1_25lookback_scan_determinismE0ELb0ELb0ES3_PKS7_PS7_S7_ZZZN2at6native31launch_logcumsumexp_cuda_kernelERKNSE_10TensorBaseESI_lENKUlvE_clEvENKUlvE2_clEvEUlS7_S7_E_S7_EEDaPvRmT3_T4_T5_mT6_P12ihipStream_tbENKUlT_T0_E_clISt17integral_constantIbLb1EESY_IbLb0EEEEDaSU_SV_EUlSU_E_NS1_11comp_targetILNS1_3genE8ELNS1_11target_archE1030ELNS1_3gpuE2ELNS1_3repE0EEENS1_30default_config_static_selectorELNS0_4arch9wavefront6targetE0EEEvT1_,"axG",@progbits,_ZN7rocprim17ROCPRIM_400000_NS6detail17trampoline_kernelINS0_14default_configENS1_20scan_config_selectorIN3c107complexIfEEEEZZNS1_9scan_implILNS1_25lookback_scan_determinismE0ELb0ELb0ES3_PKS7_PS7_S7_ZZZN2at6native31launch_logcumsumexp_cuda_kernelERKNSE_10TensorBaseESI_lENKUlvE_clEvENKUlvE2_clEvEUlS7_S7_E_S7_EEDaPvRmT3_T4_T5_mT6_P12ihipStream_tbENKUlT_T0_E_clISt17integral_constantIbLb1EESY_IbLb0EEEEDaSU_SV_EUlSU_E_NS1_11comp_targetILNS1_3genE8ELNS1_11target_archE1030ELNS1_3gpuE2ELNS1_3repE0EEENS1_30default_config_static_selectorELNS0_4arch9wavefront6targetE0EEEvT1_,comdat
.Lfunc_end322:
	.size	_ZN7rocprim17ROCPRIM_400000_NS6detail17trampoline_kernelINS0_14default_configENS1_20scan_config_selectorIN3c107complexIfEEEEZZNS1_9scan_implILNS1_25lookback_scan_determinismE0ELb0ELb0ES3_PKS7_PS7_S7_ZZZN2at6native31launch_logcumsumexp_cuda_kernelERKNSE_10TensorBaseESI_lENKUlvE_clEvENKUlvE2_clEvEUlS7_S7_E_S7_EEDaPvRmT3_T4_T5_mT6_P12ihipStream_tbENKUlT_T0_E_clISt17integral_constantIbLb1EESY_IbLb0EEEEDaSU_SV_EUlSU_E_NS1_11comp_targetILNS1_3genE8ELNS1_11target_archE1030ELNS1_3gpuE2ELNS1_3repE0EEENS1_30default_config_static_selectorELNS0_4arch9wavefront6targetE0EEEvT1_, .Lfunc_end322-_ZN7rocprim17ROCPRIM_400000_NS6detail17trampoline_kernelINS0_14default_configENS1_20scan_config_selectorIN3c107complexIfEEEEZZNS1_9scan_implILNS1_25lookback_scan_determinismE0ELb0ELb0ES3_PKS7_PS7_S7_ZZZN2at6native31launch_logcumsumexp_cuda_kernelERKNSE_10TensorBaseESI_lENKUlvE_clEvENKUlvE2_clEvEUlS7_S7_E_S7_EEDaPvRmT3_T4_T5_mT6_P12ihipStream_tbENKUlT_T0_E_clISt17integral_constantIbLb1EESY_IbLb0EEEEDaSU_SV_EUlSU_E_NS1_11comp_targetILNS1_3genE8ELNS1_11target_archE1030ELNS1_3gpuE2ELNS1_3repE0EEENS1_30default_config_static_selectorELNS0_4arch9wavefront6targetE0EEEvT1_
                                        ; -- End function
	.section	.AMDGPU.csdata,"",@progbits
; Kernel info:
; codeLenInByte = 0
; NumSgprs: 0
; NumVgprs: 0
; ScratchSize: 0
; MemoryBound: 0
; FloatMode: 240
; IeeeMode: 1
; LDSByteSize: 0 bytes/workgroup (compile time only)
; SGPRBlocks: 0
; VGPRBlocks: 0
; NumSGPRsForWavesPerEU: 1
; NumVGPRsForWavesPerEU: 1
; Occupancy: 16
; WaveLimiterHint : 0
; COMPUTE_PGM_RSRC2:SCRATCH_EN: 0
; COMPUTE_PGM_RSRC2:USER_SGPR: 15
; COMPUTE_PGM_RSRC2:TRAP_HANDLER: 0
; COMPUTE_PGM_RSRC2:TGID_X_EN: 1
; COMPUTE_PGM_RSRC2:TGID_Y_EN: 0
; COMPUTE_PGM_RSRC2:TGID_Z_EN: 0
; COMPUTE_PGM_RSRC2:TIDIG_COMP_CNT: 0
	.section	.text._ZN7rocprim17ROCPRIM_400000_NS6detail17trampoline_kernelINS0_14default_configENS1_20scan_config_selectorIN3c107complexIfEEEEZZNS1_9scan_implILNS1_25lookback_scan_determinismE0ELb0ELb0ES3_PKS7_PS7_S7_ZZZN2at6native31launch_logcumsumexp_cuda_kernelERKNSE_10TensorBaseESI_lENKUlvE_clEvENKUlvE2_clEvEUlS7_S7_E_S7_EEDaPvRmT3_T4_T5_mT6_P12ihipStream_tbENKUlT_T0_E_clISt17integral_constantIbLb1EESY_IbLb0EEEEDaSU_SV_EUlSU_E0_NS1_11comp_targetILNS1_3genE0ELNS1_11target_archE4294967295ELNS1_3gpuE0ELNS1_3repE0EEENS1_30default_config_static_selectorELNS0_4arch9wavefront6targetE0EEEvT1_,"axG",@progbits,_ZN7rocprim17ROCPRIM_400000_NS6detail17trampoline_kernelINS0_14default_configENS1_20scan_config_selectorIN3c107complexIfEEEEZZNS1_9scan_implILNS1_25lookback_scan_determinismE0ELb0ELb0ES3_PKS7_PS7_S7_ZZZN2at6native31launch_logcumsumexp_cuda_kernelERKNSE_10TensorBaseESI_lENKUlvE_clEvENKUlvE2_clEvEUlS7_S7_E_S7_EEDaPvRmT3_T4_T5_mT6_P12ihipStream_tbENKUlT_T0_E_clISt17integral_constantIbLb1EESY_IbLb0EEEEDaSU_SV_EUlSU_E0_NS1_11comp_targetILNS1_3genE0ELNS1_11target_archE4294967295ELNS1_3gpuE0ELNS1_3repE0EEENS1_30default_config_static_selectorELNS0_4arch9wavefront6targetE0EEEvT1_,comdat
	.globl	_ZN7rocprim17ROCPRIM_400000_NS6detail17trampoline_kernelINS0_14default_configENS1_20scan_config_selectorIN3c107complexIfEEEEZZNS1_9scan_implILNS1_25lookback_scan_determinismE0ELb0ELb0ES3_PKS7_PS7_S7_ZZZN2at6native31launch_logcumsumexp_cuda_kernelERKNSE_10TensorBaseESI_lENKUlvE_clEvENKUlvE2_clEvEUlS7_S7_E_S7_EEDaPvRmT3_T4_T5_mT6_P12ihipStream_tbENKUlT_T0_E_clISt17integral_constantIbLb1EESY_IbLb0EEEEDaSU_SV_EUlSU_E0_NS1_11comp_targetILNS1_3genE0ELNS1_11target_archE4294967295ELNS1_3gpuE0ELNS1_3repE0EEENS1_30default_config_static_selectorELNS0_4arch9wavefront6targetE0EEEvT1_ ; -- Begin function _ZN7rocprim17ROCPRIM_400000_NS6detail17trampoline_kernelINS0_14default_configENS1_20scan_config_selectorIN3c107complexIfEEEEZZNS1_9scan_implILNS1_25lookback_scan_determinismE0ELb0ELb0ES3_PKS7_PS7_S7_ZZZN2at6native31launch_logcumsumexp_cuda_kernelERKNSE_10TensorBaseESI_lENKUlvE_clEvENKUlvE2_clEvEUlS7_S7_E_S7_EEDaPvRmT3_T4_T5_mT6_P12ihipStream_tbENKUlT_T0_E_clISt17integral_constantIbLb1EESY_IbLb0EEEEDaSU_SV_EUlSU_E0_NS1_11comp_targetILNS1_3genE0ELNS1_11target_archE4294967295ELNS1_3gpuE0ELNS1_3repE0EEENS1_30default_config_static_selectorELNS0_4arch9wavefront6targetE0EEEvT1_
	.p2align	8
	.type	_ZN7rocprim17ROCPRIM_400000_NS6detail17trampoline_kernelINS0_14default_configENS1_20scan_config_selectorIN3c107complexIfEEEEZZNS1_9scan_implILNS1_25lookback_scan_determinismE0ELb0ELb0ES3_PKS7_PS7_S7_ZZZN2at6native31launch_logcumsumexp_cuda_kernelERKNSE_10TensorBaseESI_lENKUlvE_clEvENKUlvE2_clEvEUlS7_S7_E_S7_EEDaPvRmT3_T4_T5_mT6_P12ihipStream_tbENKUlT_T0_E_clISt17integral_constantIbLb1EESY_IbLb0EEEEDaSU_SV_EUlSU_E0_NS1_11comp_targetILNS1_3genE0ELNS1_11target_archE4294967295ELNS1_3gpuE0ELNS1_3repE0EEENS1_30default_config_static_selectorELNS0_4arch9wavefront6targetE0EEEvT1_,@function
_ZN7rocprim17ROCPRIM_400000_NS6detail17trampoline_kernelINS0_14default_configENS1_20scan_config_selectorIN3c107complexIfEEEEZZNS1_9scan_implILNS1_25lookback_scan_determinismE0ELb0ELb0ES3_PKS7_PS7_S7_ZZZN2at6native31launch_logcumsumexp_cuda_kernelERKNSE_10TensorBaseESI_lENKUlvE_clEvENKUlvE2_clEvEUlS7_S7_E_S7_EEDaPvRmT3_T4_T5_mT6_P12ihipStream_tbENKUlT_T0_E_clISt17integral_constantIbLb1EESY_IbLb0EEEEDaSU_SV_EUlSU_E0_NS1_11comp_targetILNS1_3genE0ELNS1_11target_archE4294967295ELNS1_3gpuE0ELNS1_3repE0EEENS1_30default_config_static_selectorELNS0_4arch9wavefront6targetE0EEEvT1_: ; @_ZN7rocprim17ROCPRIM_400000_NS6detail17trampoline_kernelINS0_14default_configENS1_20scan_config_selectorIN3c107complexIfEEEEZZNS1_9scan_implILNS1_25lookback_scan_determinismE0ELb0ELb0ES3_PKS7_PS7_S7_ZZZN2at6native31launch_logcumsumexp_cuda_kernelERKNSE_10TensorBaseESI_lENKUlvE_clEvENKUlvE2_clEvEUlS7_S7_E_S7_EEDaPvRmT3_T4_T5_mT6_P12ihipStream_tbENKUlT_T0_E_clISt17integral_constantIbLb1EESY_IbLb0EEEEDaSU_SV_EUlSU_E0_NS1_11comp_targetILNS1_3genE0ELNS1_11target_archE4294967295ELNS1_3gpuE0ELNS1_3repE0EEENS1_30default_config_static_selectorELNS0_4arch9wavefront6targetE0EEEvT1_
; %bb.0:
	.section	.rodata,"a",@progbits
	.p2align	6, 0x0
	.amdhsa_kernel _ZN7rocprim17ROCPRIM_400000_NS6detail17trampoline_kernelINS0_14default_configENS1_20scan_config_selectorIN3c107complexIfEEEEZZNS1_9scan_implILNS1_25lookback_scan_determinismE0ELb0ELb0ES3_PKS7_PS7_S7_ZZZN2at6native31launch_logcumsumexp_cuda_kernelERKNSE_10TensorBaseESI_lENKUlvE_clEvENKUlvE2_clEvEUlS7_S7_E_S7_EEDaPvRmT3_T4_T5_mT6_P12ihipStream_tbENKUlT_T0_E_clISt17integral_constantIbLb1EESY_IbLb0EEEEDaSU_SV_EUlSU_E0_NS1_11comp_targetILNS1_3genE0ELNS1_11target_archE4294967295ELNS1_3gpuE0ELNS1_3repE0EEENS1_30default_config_static_selectorELNS0_4arch9wavefront6targetE0EEEvT1_
		.amdhsa_group_segment_fixed_size 0
		.amdhsa_private_segment_fixed_size 0
		.amdhsa_kernarg_size 40
		.amdhsa_user_sgpr_count 15
		.amdhsa_user_sgpr_dispatch_ptr 0
		.amdhsa_user_sgpr_queue_ptr 0
		.amdhsa_user_sgpr_kernarg_segment_ptr 1
		.amdhsa_user_sgpr_dispatch_id 0
		.amdhsa_user_sgpr_private_segment_size 0
		.amdhsa_wavefront_size32 1
		.amdhsa_uses_dynamic_stack 0
		.amdhsa_enable_private_segment 0
		.amdhsa_system_sgpr_workgroup_id_x 1
		.amdhsa_system_sgpr_workgroup_id_y 0
		.amdhsa_system_sgpr_workgroup_id_z 0
		.amdhsa_system_sgpr_workgroup_info 0
		.amdhsa_system_vgpr_workitem_id 0
		.amdhsa_next_free_vgpr 1
		.amdhsa_next_free_sgpr 1
		.amdhsa_reserve_vcc 0
		.amdhsa_float_round_mode_32 0
		.amdhsa_float_round_mode_16_64 0
		.amdhsa_float_denorm_mode_32 3
		.amdhsa_float_denorm_mode_16_64 3
		.amdhsa_dx10_clamp 1
		.amdhsa_ieee_mode 1
		.amdhsa_fp16_overflow 0
		.amdhsa_workgroup_processor_mode 1
		.amdhsa_memory_ordered 1
		.amdhsa_forward_progress 0
		.amdhsa_shared_vgpr_count 0
		.amdhsa_exception_fp_ieee_invalid_op 0
		.amdhsa_exception_fp_denorm_src 0
		.amdhsa_exception_fp_ieee_div_zero 0
		.amdhsa_exception_fp_ieee_overflow 0
		.amdhsa_exception_fp_ieee_underflow 0
		.amdhsa_exception_fp_ieee_inexact 0
		.amdhsa_exception_int_div_zero 0
	.end_amdhsa_kernel
	.section	.text._ZN7rocprim17ROCPRIM_400000_NS6detail17trampoline_kernelINS0_14default_configENS1_20scan_config_selectorIN3c107complexIfEEEEZZNS1_9scan_implILNS1_25lookback_scan_determinismE0ELb0ELb0ES3_PKS7_PS7_S7_ZZZN2at6native31launch_logcumsumexp_cuda_kernelERKNSE_10TensorBaseESI_lENKUlvE_clEvENKUlvE2_clEvEUlS7_S7_E_S7_EEDaPvRmT3_T4_T5_mT6_P12ihipStream_tbENKUlT_T0_E_clISt17integral_constantIbLb1EESY_IbLb0EEEEDaSU_SV_EUlSU_E0_NS1_11comp_targetILNS1_3genE0ELNS1_11target_archE4294967295ELNS1_3gpuE0ELNS1_3repE0EEENS1_30default_config_static_selectorELNS0_4arch9wavefront6targetE0EEEvT1_,"axG",@progbits,_ZN7rocprim17ROCPRIM_400000_NS6detail17trampoline_kernelINS0_14default_configENS1_20scan_config_selectorIN3c107complexIfEEEEZZNS1_9scan_implILNS1_25lookback_scan_determinismE0ELb0ELb0ES3_PKS7_PS7_S7_ZZZN2at6native31launch_logcumsumexp_cuda_kernelERKNSE_10TensorBaseESI_lENKUlvE_clEvENKUlvE2_clEvEUlS7_S7_E_S7_EEDaPvRmT3_T4_T5_mT6_P12ihipStream_tbENKUlT_T0_E_clISt17integral_constantIbLb1EESY_IbLb0EEEEDaSU_SV_EUlSU_E0_NS1_11comp_targetILNS1_3genE0ELNS1_11target_archE4294967295ELNS1_3gpuE0ELNS1_3repE0EEENS1_30default_config_static_selectorELNS0_4arch9wavefront6targetE0EEEvT1_,comdat
.Lfunc_end323:
	.size	_ZN7rocprim17ROCPRIM_400000_NS6detail17trampoline_kernelINS0_14default_configENS1_20scan_config_selectorIN3c107complexIfEEEEZZNS1_9scan_implILNS1_25lookback_scan_determinismE0ELb0ELb0ES3_PKS7_PS7_S7_ZZZN2at6native31launch_logcumsumexp_cuda_kernelERKNSE_10TensorBaseESI_lENKUlvE_clEvENKUlvE2_clEvEUlS7_S7_E_S7_EEDaPvRmT3_T4_T5_mT6_P12ihipStream_tbENKUlT_T0_E_clISt17integral_constantIbLb1EESY_IbLb0EEEEDaSU_SV_EUlSU_E0_NS1_11comp_targetILNS1_3genE0ELNS1_11target_archE4294967295ELNS1_3gpuE0ELNS1_3repE0EEENS1_30default_config_static_selectorELNS0_4arch9wavefront6targetE0EEEvT1_, .Lfunc_end323-_ZN7rocprim17ROCPRIM_400000_NS6detail17trampoline_kernelINS0_14default_configENS1_20scan_config_selectorIN3c107complexIfEEEEZZNS1_9scan_implILNS1_25lookback_scan_determinismE0ELb0ELb0ES3_PKS7_PS7_S7_ZZZN2at6native31launch_logcumsumexp_cuda_kernelERKNSE_10TensorBaseESI_lENKUlvE_clEvENKUlvE2_clEvEUlS7_S7_E_S7_EEDaPvRmT3_T4_T5_mT6_P12ihipStream_tbENKUlT_T0_E_clISt17integral_constantIbLb1EESY_IbLb0EEEEDaSU_SV_EUlSU_E0_NS1_11comp_targetILNS1_3genE0ELNS1_11target_archE4294967295ELNS1_3gpuE0ELNS1_3repE0EEENS1_30default_config_static_selectorELNS0_4arch9wavefront6targetE0EEEvT1_
                                        ; -- End function
	.section	.AMDGPU.csdata,"",@progbits
; Kernel info:
; codeLenInByte = 0
; NumSgprs: 0
; NumVgprs: 0
; ScratchSize: 0
; MemoryBound: 0
; FloatMode: 240
; IeeeMode: 1
; LDSByteSize: 0 bytes/workgroup (compile time only)
; SGPRBlocks: 0
; VGPRBlocks: 0
; NumSGPRsForWavesPerEU: 1
; NumVGPRsForWavesPerEU: 1
; Occupancy: 16
; WaveLimiterHint : 0
; COMPUTE_PGM_RSRC2:SCRATCH_EN: 0
; COMPUTE_PGM_RSRC2:USER_SGPR: 15
; COMPUTE_PGM_RSRC2:TRAP_HANDLER: 0
; COMPUTE_PGM_RSRC2:TGID_X_EN: 1
; COMPUTE_PGM_RSRC2:TGID_Y_EN: 0
; COMPUTE_PGM_RSRC2:TGID_Z_EN: 0
; COMPUTE_PGM_RSRC2:TIDIG_COMP_CNT: 0
	.section	.text._ZN7rocprim17ROCPRIM_400000_NS6detail17trampoline_kernelINS0_14default_configENS1_20scan_config_selectorIN3c107complexIfEEEEZZNS1_9scan_implILNS1_25lookback_scan_determinismE0ELb0ELb0ES3_PKS7_PS7_S7_ZZZN2at6native31launch_logcumsumexp_cuda_kernelERKNSE_10TensorBaseESI_lENKUlvE_clEvENKUlvE2_clEvEUlS7_S7_E_S7_EEDaPvRmT3_T4_T5_mT6_P12ihipStream_tbENKUlT_T0_E_clISt17integral_constantIbLb1EESY_IbLb0EEEEDaSU_SV_EUlSU_E0_NS1_11comp_targetILNS1_3genE5ELNS1_11target_archE942ELNS1_3gpuE9ELNS1_3repE0EEENS1_30default_config_static_selectorELNS0_4arch9wavefront6targetE0EEEvT1_,"axG",@progbits,_ZN7rocprim17ROCPRIM_400000_NS6detail17trampoline_kernelINS0_14default_configENS1_20scan_config_selectorIN3c107complexIfEEEEZZNS1_9scan_implILNS1_25lookback_scan_determinismE0ELb0ELb0ES3_PKS7_PS7_S7_ZZZN2at6native31launch_logcumsumexp_cuda_kernelERKNSE_10TensorBaseESI_lENKUlvE_clEvENKUlvE2_clEvEUlS7_S7_E_S7_EEDaPvRmT3_T4_T5_mT6_P12ihipStream_tbENKUlT_T0_E_clISt17integral_constantIbLb1EESY_IbLb0EEEEDaSU_SV_EUlSU_E0_NS1_11comp_targetILNS1_3genE5ELNS1_11target_archE942ELNS1_3gpuE9ELNS1_3repE0EEENS1_30default_config_static_selectorELNS0_4arch9wavefront6targetE0EEEvT1_,comdat
	.globl	_ZN7rocprim17ROCPRIM_400000_NS6detail17trampoline_kernelINS0_14default_configENS1_20scan_config_selectorIN3c107complexIfEEEEZZNS1_9scan_implILNS1_25lookback_scan_determinismE0ELb0ELb0ES3_PKS7_PS7_S7_ZZZN2at6native31launch_logcumsumexp_cuda_kernelERKNSE_10TensorBaseESI_lENKUlvE_clEvENKUlvE2_clEvEUlS7_S7_E_S7_EEDaPvRmT3_T4_T5_mT6_P12ihipStream_tbENKUlT_T0_E_clISt17integral_constantIbLb1EESY_IbLb0EEEEDaSU_SV_EUlSU_E0_NS1_11comp_targetILNS1_3genE5ELNS1_11target_archE942ELNS1_3gpuE9ELNS1_3repE0EEENS1_30default_config_static_selectorELNS0_4arch9wavefront6targetE0EEEvT1_ ; -- Begin function _ZN7rocprim17ROCPRIM_400000_NS6detail17trampoline_kernelINS0_14default_configENS1_20scan_config_selectorIN3c107complexIfEEEEZZNS1_9scan_implILNS1_25lookback_scan_determinismE0ELb0ELb0ES3_PKS7_PS7_S7_ZZZN2at6native31launch_logcumsumexp_cuda_kernelERKNSE_10TensorBaseESI_lENKUlvE_clEvENKUlvE2_clEvEUlS7_S7_E_S7_EEDaPvRmT3_T4_T5_mT6_P12ihipStream_tbENKUlT_T0_E_clISt17integral_constantIbLb1EESY_IbLb0EEEEDaSU_SV_EUlSU_E0_NS1_11comp_targetILNS1_3genE5ELNS1_11target_archE942ELNS1_3gpuE9ELNS1_3repE0EEENS1_30default_config_static_selectorELNS0_4arch9wavefront6targetE0EEEvT1_
	.p2align	8
	.type	_ZN7rocprim17ROCPRIM_400000_NS6detail17trampoline_kernelINS0_14default_configENS1_20scan_config_selectorIN3c107complexIfEEEEZZNS1_9scan_implILNS1_25lookback_scan_determinismE0ELb0ELb0ES3_PKS7_PS7_S7_ZZZN2at6native31launch_logcumsumexp_cuda_kernelERKNSE_10TensorBaseESI_lENKUlvE_clEvENKUlvE2_clEvEUlS7_S7_E_S7_EEDaPvRmT3_T4_T5_mT6_P12ihipStream_tbENKUlT_T0_E_clISt17integral_constantIbLb1EESY_IbLb0EEEEDaSU_SV_EUlSU_E0_NS1_11comp_targetILNS1_3genE5ELNS1_11target_archE942ELNS1_3gpuE9ELNS1_3repE0EEENS1_30default_config_static_selectorELNS0_4arch9wavefront6targetE0EEEvT1_,@function
_ZN7rocprim17ROCPRIM_400000_NS6detail17trampoline_kernelINS0_14default_configENS1_20scan_config_selectorIN3c107complexIfEEEEZZNS1_9scan_implILNS1_25lookback_scan_determinismE0ELb0ELb0ES3_PKS7_PS7_S7_ZZZN2at6native31launch_logcumsumexp_cuda_kernelERKNSE_10TensorBaseESI_lENKUlvE_clEvENKUlvE2_clEvEUlS7_S7_E_S7_EEDaPvRmT3_T4_T5_mT6_P12ihipStream_tbENKUlT_T0_E_clISt17integral_constantIbLb1EESY_IbLb0EEEEDaSU_SV_EUlSU_E0_NS1_11comp_targetILNS1_3genE5ELNS1_11target_archE942ELNS1_3gpuE9ELNS1_3repE0EEENS1_30default_config_static_selectorELNS0_4arch9wavefront6targetE0EEEvT1_: ; @_ZN7rocprim17ROCPRIM_400000_NS6detail17trampoline_kernelINS0_14default_configENS1_20scan_config_selectorIN3c107complexIfEEEEZZNS1_9scan_implILNS1_25lookback_scan_determinismE0ELb0ELb0ES3_PKS7_PS7_S7_ZZZN2at6native31launch_logcumsumexp_cuda_kernelERKNSE_10TensorBaseESI_lENKUlvE_clEvENKUlvE2_clEvEUlS7_S7_E_S7_EEDaPvRmT3_T4_T5_mT6_P12ihipStream_tbENKUlT_T0_E_clISt17integral_constantIbLb1EESY_IbLb0EEEEDaSU_SV_EUlSU_E0_NS1_11comp_targetILNS1_3genE5ELNS1_11target_archE942ELNS1_3gpuE9ELNS1_3repE0EEENS1_30default_config_static_selectorELNS0_4arch9wavefront6targetE0EEEvT1_
; %bb.0:
	.section	.rodata,"a",@progbits
	.p2align	6, 0x0
	.amdhsa_kernel _ZN7rocprim17ROCPRIM_400000_NS6detail17trampoline_kernelINS0_14default_configENS1_20scan_config_selectorIN3c107complexIfEEEEZZNS1_9scan_implILNS1_25lookback_scan_determinismE0ELb0ELb0ES3_PKS7_PS7_S7_ZZZN2at6native31launch_logcumsumexp_cuda_kernelERKNSE_10TensorBaseESI_lENKUlvE_clEvENKUlvE2_clEvEUlS7_S7_E_S7_EEDaPvRmT3_T4_T5_mT6_P12ihipStream_tbENKUlT_T0_E_clISt17integral_constantIbLb1EESY_IbLb0EEEEDaSU_SV_EUlSU_E0_NS1_11comp_targetILNS1_3genE5ELNS1_11target_archE942ELNS1_3gpuE9ELNS1_3repE0EEENS1_30default_config_static_selectorELNS0_4arch9wavefront6targetE0EEEvT1_
		.amdhsa_group_segment_fixed_size 0
		.amdhsa_private_segment_fixed_size 0
		.amdhsa_kernarg_size 40
		.amdhsa_user_sgpr_count 15
		.amdhsa_user_sgpr_dispatch_ptr 0
		.amdhsa_user_sgpr_queue_ptr 0
		.amdhsa_user_sgpr_kernarg_segment_ptr 1
		.amdhsa_user_sgpr_dispatch_id 0
		.amdhsa_user_sgpr_private_segment_size 0
		.amdhsa_wavefront_size32 1
		.amdhsa_uses_dynamic_stack 0
		.amdhsa_enable_private_segment 0
		.amdhsa_system_sgpr_workgroup_id_x 1
		.amdhsa_system_sgpr_workgroup_id_y 0
		.amdhsa_system_sgpr_workgroup_id_z 0
		.amdhsa_system_sgpr_workgroup_info 0
		.amdhsa_system_vgpr_workitem_id 0
		.amdhsa_next_free_vgpr 1
		.amdhsa_next_free_sgpr 1
		.amdhsa_reserve_vcc 0
		.amdhsa_float_round_mode_32 0
		.amdhsa_float_round_mode_16_64 0
		.amdhsa_float_denorm_mode_32 3
		.amdhsa_float_denorm_mode_16_64 3
		.amdhsa_dx10_clamp 1
		.amdhsa_ieee_mode 1
		.amdhsa_fp16_overflow 0
		.amdhsa_workgroup_processor_mode 1
		.amdhsa_memory_ordered 1
		.amdhsa_forward_progress 0
		.amdhsa_shared_vgpr_count 0
		.amdhsa_exception_fp_ieee_invalid_op 0
		.amdhsa_exception_fp_denorm_src 0
		.amdhsa_exception_fp_ieee_div_zero 0
		.amdhsa_exception_fp_ieee_overflow 0
		.amdhsa_exception_fp_ieee_underflow 0
		.amdhsa_exception_fp_ieee_inexact 0
		.amdhsa_exception_int_div_zero 0
	.end_amdhsa_kernel
	.section	.text._ZN7rocprim17ROCPRIM_400000_NS6detail17trampoline_kernelINS0_14default_configENS1_20scan_config_selectorIN3c107complexIfEEEEZZNS1_9scan_implILNS1_25lookback_scan_determinismE0ELb0ELb0ES3_PKS7_PS7_S7_ZZZN2at6native31launch_logcumsumexp_cuda_kernelERKNSE_10TensorBaseESI_lENKUlvE_clEvENKUlvE2_clEvEUlS7_S7_E_S7_EEDaPvRmT3_T4_T5_mT6_P12ihipStream_tbENKUlT_T0_E_clISt17integral_constantIbLb1EESY_IbLb0EEEEDaSU_SV_EUlSU_E0_NS1_11comp_targetILNS1_3genE5ELNS1_11target_archE942ELNS1_3gpuE9ELNS1_3repE0EEENS1_30default_config_static_selectorELNS0_4arch9wavefront6targetE0EEEvT1_,"axG",@progbits,_ZN7rocprim17ROCPRIM_400000_NS6detail17trampoline_kernelINS0_14default_configENS1_20scan_config_selectorIN3c107complexIfEEEEZZNS1_9scan_implILNS1_25lookback_scan_determinismE0ELb0ELb0ES3_PKS7_PS7_S7_ZZZN2at6native31launch_logcumsumexp_cuda_kernelERKNSE_10TensorBaseESI_lENKUlvE_clEvENKUlvE2_clEvEUlS7_S7_E_S7_EEDaPvRmT3_T4_T5_mT6_P12ihipStream_tbENKUlT_T0_E_clISt17integral_constantIbLb1EESY_IbLb0EEEEDaSU_SV_EUlSU_E0_NS1_11comp_targetILNS1_3genE5ELNS1_11target_archE942ELNS1_3gpuE9ELNS1_3repE0EEENS1_30default_config_static_selectorELNS0_4arch9wavefront6targetE0EEEvT1_,comdat
.Lfunc_end324:
	.size	_ZN7rocprim17ROCPRIM_400000_NS6detail17trampoline_kernelINS0_14default_configENS1_20scan_config_selectorIN3c107complexIfEEEEZZNS1_9scan_implILNS1_25lookback_scan_determinismE0ELb0ELb0ES3_PKS7_PS7_S7_ZZZN2at6native31launch_logcumsumexp_cuda_kernelERKNSE_10TensorBaseESI_lENKUlvE_clEvENKUlvE2_clEvEUlS7_S7_E_S7_EEDaPvRmT3_T4_T5_mT6_P12ihipStream_tbENKUlT_T0_E_clISt17integral_constantIbLb1EESY_IbLb0EEEEDaSU_SV_EUlSU_E0_NS1_11comp_targetILNS1_3genE5ELNS1_11target_archE942ELNS1_3gpuE9ELNS1_3repE0EEENS1_30default_config_static_selectorELNS0_4arch9wavefront6targetE0EEEvT1_, .Lfunc_end324-_ZN7rocprim17ROCPRIM_400000_NS6detail17trampoline_kernelINS0_14default_configENS1_20scan_config_selectorIN3c107complexIfEEEEZZNS1_9scan_implILNS1_25lookback_scan_determinismE0ELb0ELb0ES3_PKS7_PS7_S7_ZZZN2at6native31launch_logcumsumexp_cuda_kernelERKNSE_10TensorBaseESI_lENKUlvE_clEvENKUlvE2_clEvEUlS7_S7_E_S7_EEDaPvRmT3_T4_T5_mT6_P12ihipStream_tbENKUlT_T0_E_clISt17integral_constantIbLb1EESY_IbLb0EEEEDaSU_SV_EUlSU_E0_NS1_11comp_targetILNS1_3genE5ELNS1_11target_archE942ELNS1_3gpuE9ELNS1_3repE0EEENS1_30default_config_static_selectorELNS0_4arch9wavefront6targetE0EEEvT1_
                                        ; -- End function
	.section	.AMDGPU.csdata,"",@progbits
; Kernel info:
; codeLenInByte = 0
; NumSgprs: 0
; NumVgprs: 0
; ScratchSize: 0
; MemoryBound: 0
; FloatMode: 240
; IeeeMode: 1
; LDSByteSize: 0 bytes/workgroup (compile time only)
; SGPRBlocks: 0
; VGPRBlocks: 0
; NumSGPRsForWavesPerEU: 1
; NumVGPRsForWavesPerEU: 1
; Occupancy: 16
; WaveLimiterHint : 0
; COMPUTE_PGM_RSRC2:SCRATCH_EN: 0
; COMPUTE_PGM_RSRC2:USER_SGPR: 15
; COMPUTE_PGM_RSRC2:TRAP_HANDLER: 0
; COMPUTE_PGM_RSRC2:TGID_X_EN: 1
; COMPUTE_PGM_RSRC2:TGID_Y_EN: 0
; COMPUTE_PGM_RSRC2:TGID_Z_EN: 0
; COMPUTE_PGM_RSRC2:TIDIG_COMP_CNT: 0
	.section	.text._ZN7rocprim17ROCPRIM_400000_NS6detail17trampoline_kernelINS0_14default_configENS1_20scan_config_selectorIN3c107complexIfEEEEZZNS1_9scan_implILNS1_25lookback_scan_determinismE0ELb0ELb0ES3_PKS7_PS7_S7_ZZZN2at6native31launch_logcumsumexp_cuda_kernelERKNSE_10TensorBaseESI_lENKUlvE_clEvENKUlvE2_clEvEUlS7_S7_E_S7_EEDaPvRmT3_T4_T5_mT6_P12ihipStream_tbENKUlT_T0_E_clISt17integral_constantIbLb1EESY_IbLb0EEEEDaSU_SV_EUlSU_E0_NS1_11comp_targetILNS1_3genE4ELNS1_11target_archE910ELNS1_3gpuE8ELNS1_3repE0EEENS1_30default_config_static_selectorELNS0_4arch9wavefront6targetE0EEEvT1_,"axG",@progbits,_ZN7rocprim17ROCPRIM_400000_NS6detail17trampoline_kernelINS0_14default_configENS1_20scan_config_selectorIN3c107complexIfEEEEZZNS1_9scan_implILNS1_25lookback_scan_determinismE0ELb0ELb0ES3_PKS7_PS7_S7_ZZZN2at6native31launch_logcumsumexp_cuda_kernelERKNSE_10TensorBaseESI_lENKUlvE_clEvENKUlvE2_clEvEUlS7_S7_E_S7_EEDaPvRmT3_T4_T5_mT6_P12ihipStream_tbENKUlT_T0_E_clISt17integral_constantIbLb1EESY_IbLb0EEEEDaSU_SV_EUlSU_E0_NS1_11comp_targetILNS1_3genE4ELNS1_11target_archE910ELNS1_3gpuE8ELNS1_3repE0EEENS1_30default_config_static_selectorELNS0_4arch9wavefront6targetE0EEEvT1_,comdat
	.globl	_ZN7rocprim17ROCPRIM_400000_NS6detail17trampoline_kernelINS0_14default_configENS1_20scan_config_selectorIN3c107complexIfEEEEZZNS1_9scan_implILNS1_25lookback_scan_determinismE0ELb0ELb0ES3_PKS7_PS7_S7_ZZZN2at6native31launch_logcumsumexp_cuda_kernelERKNSE_10TensorBaseESI_lENKUlvE_clEvENKUlvE2_clEvEUlS7_S7_E_S7_EEDaPvRmT3_T4_T5_mT6_P12ihipStream_tbENKUlT_T0_E_clISt17integral_constantIbLb1EESY_IbLb0EEEEDaSU_SV_EUlSU_E0_NS1_11comp_targetILNS1_3genE4ELNS1_11target_archE910ELNS1_3gpuE8ELNS1_3repE0EEENS1_30default_config_static_selectorELNS0_4arch9wavefront6targetE0EEEvT1_ ; -- Begin function _ZN7rocprim17ROCPRIM_400000_NS6detail17trampoline_kernelINS0_14default_configENS1_20scan_config_selectorIN3c107complexIfEEEEZZNS1_9scan_implILNS1_25lookback_scan_determinismE0ELb0ELb0ES3_PKS7_PS7_S7_ZZZN2at6native31launch_logcumsumexp_cuda_kernelERKNSE_10TensorBaseESI_lENKUlvE_clEvENKUlvE2_clEvEUlS7_S7_E_S7_EEDaPvRmT3_T4_T5_mT6_P12ihipStream_tbENKUlT_T0_E_clISt17integral_constantIbLb1EESY_IbLb0EEEEDaSU_SV_EUlSU_E0_NS1_11comp_targetILNS1_3genE4ELNS1_11target_archE910ELNS1_3gpuE8ELNS1_3repE0EEENS1_30default_config_static_selectorELNS0_4arch9wavefront6targetE0EEEvT1_
	.p2align	8
	.type	_ZN7rocprim17ROCPRIM_400000_NS6detail17trampoline_kernelINS0_14default_configENS1_20scan_config_selectorIN3c107complexIfEEEEZZNS1_9scan_implILNS1_25lookback_scan_determinismE0ELb0ELb0ES3_PKS7_PS7_S7_ZZZN2at6native31launch_logcumsumexp_cuda_kernelERKNSE_10TensorBaseESI_lENKUlvE_clEvENKUlvE2_clEvEUlS7_S7_E_S7_EEDaPvRmT3_T4_T5_mT6_P12ihipStream_tbENKUlT_T0_E_clISt17integral_constantIbLb1EESY_IbLb0EEEEDaSU_SV_EUlSU_E0_NS1_11comp_targetILNS1_3genE4ELNS1_11target_archE910ELNS1_3gpuE8ELNS1_3repE0EEENS1_30default_config_static_selectorELNS0_4arch9wavefront6targetE0EEEvT1_,@function
_ZN7rocprim17ROCPRIM_400000_NS6detail17trampoline_kernelINS0_14default_configENS1_20scan_config_selectorIN3c107complexIfEEEEZZNS1_9scan_implILNS1_25lookback_scan_determinismE0ELb0ELb0ES3_PKS7_PS7_S7_ZZZN2at6native31launch_logcumsumexp_cuda_kernelERKNSE_10TensorBaseESI_lENKUlvE_clEvENKUlvE2_clEvEUlS7_S7_E_S7_EEDaPvRmT3_T4_T5_mT6_P12ihipStream_tbENKUlT_T0_E_clISt17integral_constantIbLb1EESY_IbLb0EEEEDaSU_SV_EUlSU_E0_NS1_11comp_targetILNS1_3genE4ELNS1_11target_archE910ELNS1_3gpuE8ELNS1_3repE0EEENS1_30default_config_static_selectorELNS0_4arch9wavefront6targetE0EEEvT1_: ; @_ZN7rocprim17ROCPRIM_400000_NS6detail17trampoline_kernelINS0_14default_configENS1_20scan_config_selectorIN3c107complexIfEEEEZZNS1_9scan_implILNS1_25lookback_scan_determinismE0ELb0ELb0ES3_PKS7_PS7_S7_ZZZN2at6native31launch_logcumsumexp_cuda_kernelERKNSE_10TensorBaseESI_lENKUlvE_clEvENKUlvE2_clEvEUlS7_S7_E_S7_EEDaPvRmT3_T4_T5_mT6_P12ihipStream_tbENKUlT_T0_E_clISt17integral_constantIbLb1EESY_IbLb0EEEEDaSU_SV_EUlSU_E0_NS1_11comp_targetILNS1_3genE4ELNS1_11target_archE910ELNS1_3gpuE8ELNS1_3repE0EEENS1_30default_config_static_selectorELNS0_4arch9wavefront6targetE0EEEvT1_
; %bb.0:
	.section	.rodata,"a",@progbits
	.p2align	6, 0x0
	.amdhsa_kernel _ZN7rocprim17ROCPRIM_400000_NS6detail17trampoline_kernelINS0_14default_configENS1_20scan_config_selectorIN3c107complexIfEEEEZZNS1_9scan_implILNS1_25lookback_scan_determinismE0ELb0ELb0ES3_PKS7_PS7_S7_ZZZN2at6native31launch_logcumsumexp_cuda_kernelERKNSE_10TensorBaseESI_lENKUlvE_clEvENKUlvE2_clEvEUlS7_S7_E_S7_EEDaPvRmT3_T4_T5_mT6_P12ihipStream_tbENKUlT_T0_E_clISt17integral_constantIbLb1EESY_IbLb0EEEEDaSU_SV_EUlSU_E0_NS1_11comp_targetILNS1_3genE4ELNS1_11target_archE910ELNS1_3gpuE8ELNS1_3repE0EEENS1_30default_config_static_selectorELNS0_4arch9wavefront6targetE0EEEvT1_
		.amdhsa_group_segment_fixed_size 0
		.amdhsa_private_segment_fixed_size 0
		.amdhsa_kernarg_size 40
		.amdhsa_user_sgpr_count 15
		.amdhsa_user_sgpr_dispatch_ptr 0
		.amdhsa_user_sgpr_queue_ptr 0
		.amdhsa_user_sgpr_kernarg_segment_ptr 1
		.amdhsa_user_sgpr_dispatch_id 0
		.amdhsa_user_sgpr_private_segment_size 0
		.amdhsa_wavefront_size32 1
		.amdhsa_uses_dynamic_stack 0
		.amdhsa_enable_private_segment 0
		.amdhsa_system_sgpr_workgroup_id_x 1
		.amdhsa_system_sgpr_workgroup_id_y 0
		.amdhsa_system_sgpr_workgroup_id_z 0
		.amdhsa_system_sgpr_workgroup_info 0
		.amdhsa_system_vgpr_workitem_id 0
		.amdhsa_next_free_vgpr 1
		.amdhsa_next_free_sgpr 1
		.amdhsa_reserve_vcc 0
		.amdhsa_float_round_mode_32 0
		.amdhsa_float_round_mode_16_64 0
		.amdhsa_float_denorm_mode_32 3
		.amdhsa_float_denorm_mode_16_64 3
		.amdhsa_dx10_clamp 1
		.amdhsa_ieee_mode 1
		.amdhsa_fp16_overflow 0
		.amdhsa_workgroup_processor_mode 1
		.amdhsa_memory_ordered 1
		.amdhsa_forward_progress 0
		.amdhsa_shared_vgpr_count 0
		.amdhsa_exception_fp_ieee_invalid_op 0
		.amdhsa_exception_fp_denorm_src 0
		.amdhsa_exception_fp_ieee_div_zero 0
		.amdhsa_exception_fp_ieee_overflow 0
		.amdhsa_exception_fp_ieee_underflow 0
		.amdhsa_exception_fp_ieee_inexact 0
		.amdhsa_exception_int_div_zero 0
	.end_amdhsa_kernel
	.section	.text._ZN7rocprim17ROCPRIM_400000_NS6detail17trampoline_kernelINS0_14default_configENS1_20scan_config_selectorIN3c107complexIfEEEEZZNS1_9scan_implILNS1_25lookback_scan_determinismE0ELb0ELb0ES3_PKS7_PS7_S7_ZZZN2at6native31launch_logcumsumexp_cuda_kernelERKNSE_10TensorBaseESI_lENKUlvE_clEvENKUlvE2_clEvEUlS7_S7_E_S7_EEDaPvRmT3_T4_T5_mT6_P12ihipStream_tbENKUlT_T0_E_clISt17integral_constantIbLb1EESY_IbLb0EEEEDaSU_SV_EUlSU_E0_NS1_11comp_targetILNS1_3genE4ELNS1_11target_archE910ELNS1_3gpuE8ELNS1_3repE0EEENS1_30default_config_static_selectorELNS0_4arch9wavefront6targetE0EEEvT1_,"axG",@progbits,_ZN7rocprim17ROCPRIM_400000_NS6detail17trampoline_kernelINS0_14default_configENS1_20scan_config_selectorIN3c107complexIfEEEEZZNS1_9scan_implILNS1_25lookback_scan_determinismE0ELb0ELb0ES3_PKS7_PS7_S7_ZZZN2at6native31launch_logcumsumexp_cuda_kernelERKNSE_10TensorBaseESI_lENKUlvE_clEvENKUlvE2_clEvEUlS7_S7_E_S7_EEDaPvRmT3_T4_T5_mT6_P12ihipStream_tbENKUlT_T0_E_clISt17integral_constantIbLb1EESY_IbLb0EEEEDaSU_SV_EUlSU_E0_NS1_11comp_targetILNS1_3genE4ELNS1_11target_archE910ELNS1_3gpuE8ELNS1_3repE0EEENS1_30default_config_static_selectorELNS0_4arch9wavefront6targetE0EEEvT1_,comdat
.Lfunc_end325:
	.size	_ZN7rocprim17ROCPRIM_400000_NS6detail17trampoline_kernelINS0_14default_configENS1_20scan_config_selectorIN3c107complexIfEEEEZZNS1_9scan_implILNS1_25lookback_scan_determinismE0ELb0ELb0ES3_PKS7_PS7_S7_ZZZN2at6native31launch_logcumsumexp_cuda_kernelERKNSE_10TensorBaseESI_lENKUlvE_clEvENKUlvE2_clEvEUlS7_S7_E_S7_EEDaPvRmT3_T4_T5_mT6_P12ihipStream_tbENKUlT_T0_E_clISt17integral_constantIbLb1EESY_IbLb0EEEEDaSU_SV_EUlSU_E0_NS1_11comp_targetILNS1_3genE4ELNS1_11target_archE910ELNS1_3gpuE8ELNS1_3repE0EEENS1_30default_config_static_selectorELNS0_4arch9wavefront6targetE0EEEvT1_, .Lfunc_end325-_ZN7rocprim17ROCPRIM_400000_NS6detail17trampoline_kernelINS0_14default_configENS1_20scan_config_selectorIN3c107complexIfEEEEZZNS1_9scan_implILNS1_25lookback_scan_determinismE0ELb0ELb0ES3_PKS7_PS7_S7_ZZZN2at6native31launch_logcumsumexp_cuda_kernelERKNSE_10TensorBaseESI_lENKUlvE_clEvENKUlvE2_clEvEUlS7_S7_E_S7_EEDaPvRmT3_T4_T5_mT6_P12ihipStream_tbENKUlT_T0_E_clISt17integral_constantIbLb1EESY_IbLb0EEEEDaSU_SV_EUlSU_E0_NS1_11comp_targetILNS1_3genE4ELNS1_11target_archE910ELNS1_3gpuE8ELNS1_3repE0EEENS1_30default_config_static_selectorELNS0_4arch9wavefront6targetE0EEEvT1_
                                        ; -- End function
	.section	.AMDGPU.csdata,"",@progbits
; Kernel info:
; codeLenInByte = 0
; NumSgprs: 0
; NumVgprs: 0
; ScratchSize: 0
; MemoryBound: 0
; FloatMode: 240
; IeeeMode: 1
; LDSByteSize: 0 bytes/workgroup (compile time only)
; SGPRBlocks: 0
; VGPRBlocks: 0
; NumSGPRsForWavesPerEU: 1
; NumVGPRsForWavesPerEU: 1
; Occupancy: 16
; WaveLimiterHint : 0
; COMPUTE_PGM_RSRC2:SCRATCH_EN: 0
; COMPUTE_PGM_RSRC2:USER_SGPR: 15
; COMPUTE_PGM_RSRC2:TRAP_HANDLER: 0
; COMPUTE_PGM_RSRC2:TGID_X_EN: 1
; COMPUTE_PGM_RSRC2:TGID_Y_EN: 0
; COMPUTE_PGM_RSRC2:TGID_Z_EN: 0
; COMPUTE_PGM_RSRC2:TIDIG_COMP_CNT: 0
	.section	.text._ZN7rocprim17ROCPRIM_400000_NS6detail17trampoline_kernelINS0_14default_configENS1_20scan_config_selectorIN3c107complexIfEEEEZZNS1_9scan_implILNS1_25lookback_scan_determinismE0ELb0ELb0ES3_PKS7_PS7_S7_ZZZN2at6native31launch_logcumsumexp_cuda_kernelERKNSE_10TensorBaseESI_lENKUlvE_clEvENKUlvE2_clEvEUlS7_S7_E_S7_EEDaPvRmT3_T4_T5_mT6_P12ihipStream_tbENKUlT_T0_E_clISt17integral_constantIbLb1EESY_IbLb0EEEEDaSU_SV_EUlSU_E0_NS1_11comp_targetILNS1_3genE3ELNS1_11target_archE908ELNS1_3gpuE7ELNS1_3repE0EEENS1_30default_config_static_selectorELNS0_4arch9wavefront6targetE0EEEvT1_,"axG",@progbits,_ZN7rocprim17ROCPRIM_400000_NS6detail17trampoline_kernelINS0_14default_configENS1_20scan_config_selectorIN3c107complexIfEEEEZZNS1_9scan_implILNS1_25lookback_scan_determinismE0ELb0ELb0ES3_PKS7_PS7_S7_ZZZN2at6native31launch_logcumsumexp_cuda_kernelERKNSE_10TensorBaseESI_lENKUlvE_clEvENKUlvE2_clEvEUlS7_S7_E_S7_EEDaPvRmT3_T4_T5_mT6_P12ihipStream_tbENKUlT_T0_E_clISt17integral_constantIbLb1EESY_IbLb0EEEEDaSU_SV_EUlSU_E0_NS1_11comp_targetILNS1_3genE3ELNS1_11target_archE908ELNS1_3gpuE7ELNS1_3repE0EEENS1_30default_config_static_selectorELNS0_4arch9wavefront6targetE0EEEvT1_,comdat
	.globl	_ZN7rocprim17ROCPRIM_400000_NS6detail17trampoline_kernelINS0_14default_configENS1_20scan_config_selectorIN3c107complexIfEEEEZZNS1_9scan_implILNS1_25lookback_scan_determinismE0ELb0ELb0ES3_PKS7_PS7_S7_ZZZN2at6native31launch_logcumsumexp_cuda_kernelERKNSE_10TensorBaseESI_lENKUlvE_clEvENKUlvE2_clEvEUlS7_S7_E_S7_EEDaPvRmT3_T4_T5_mT6_P12ihipStream_tbENKUlT_T0_E_clISt17integral_constantIbLb1EESY_IbLb0EEEEDaSU_SV_EUlSU_E0_NS1_11comp_targetILNS1_3genE3ELNS1_11target_archE908ELNS1_3gpuE7ELNS1_3repE0EEENS1_30default_config_static_selectorELNS0_4arch9wavefront6targetE0EEEvT1_ ; -- Begin function _ZN7rocprim17ROCPRIM_400000_NS6detail17trampoline_kernelINS0_14default_configENS1_20scan_config_selectorIN3c107complexIfEEEEZZNS1_9scan_implILNS1_25lookback_scan_determinismE0ELb0ELb0ES3_PKS7_PS7_S7_ZZZN2at6native31launch_logcumsumexp_cuda_kernelERKNSE_10TensorBaseESI_lENKUlvE_clEvENKUlvE2_clEvEUlS7_S7_E_S7_EEDaPvRmT3_T4_T5_mT6_P12ihipStream_tbENKUlT_T0_E_clISt17integral_constantIbLb1EESY_IbLb0EEEEDaSU_SV_EUlSU_E0_NS1_11comp_targetILNS1_3genE3ELNS1_11target_archE908ELNS1_3gpuE7ELNS1_3repE0EEENS1_30default_config_static_selectorELNS0_4arch9wavefront6targetE0EEEvT1_
	.p2align	8
	.type	_ZN7rocprim17ROCPRIM_400000_NS6detail17trampoline_kernelINS0_14default_configENS1_20scan_config_selectorIN3c107complexIfEEEEZZNS1_9scan_implILNS1_25lookback_scan_determinismE0ELb0ELb0ES3_PKS7_PS7_S7_ZZZN2at6native31launch_logcumsumexp_cuda_kernelERKNSE_10TensorBaseESI_lENKUlvE_clEvENKUlvE2_clEvEUlS7_S7_E_S7_EEDaPvRmT3_T4_T5_mT6_P12ihipStream_tbENKUlT_T0_E_clISt17integral_constantIbLb1EESY_IbLb0EEEEDaSU_SV_EUlSU_E0_NS1_11comp_targetILNS1_3genE3ELNS1_11target_archE908ELNS1_3gpuE7ELNS1_3repE0EEENS1_30default_config_static_selectorELNS0_4arch9wavefront6targetE0EEEvT1_,@function
_ZN7rocprim17ROCPRIM_400000_NS6detail17trampoline_kernelINS0_14default_configENS1_20scan_config_selectorIN3c107complexIfEEEEZZNS1_9scan_implILNS1_25lookback_scan_determinismE0ELb0ELb0ES3_PKS7_PS7_S7_ZZZN2at6native31launch_logcumsumexp_cuda_kernelERKNSE_10TensorBaseESI_lENKUlvE_clEvENKUlvE2_clEvEUlS7_S7_E_S7_EEDaPvRmT3_T4_T5_mT6_P12ihipStream_tbENKUlT_T0_E_clISt17integral_constantIbLb1EESY_IbLb0EEEEDaSU_SV_EUlSU_E0_NS1_11comp_targetILNS1_3genE3ELNS1_11target_archE908ELNS1_3gpuE7ELNS1_3repE0EEENS1_30default_config_static_selectorELNS0_4arch9wavefront6targetE0EEEvT1_: ; @_ZN7rocprim17ROCPRIM_400000_NS6detail17trampoline_kernelINS0_14default_configENS1_20scan_config_selectorIN3c107complexIfEEEEZZNS1_9scan_implILNS1_25lookback_scan_determinismE0ELb0ELb0ES3_PKS7_PS7_S7_ZZZN2at6native31launch_logcumsumexp_cuda_kernelERKNSE_10TensorBaseESI_lENKUlvE_clEvENKUlvE2_clEvEUlS7_S7_E_S7_EEDaPvRmT3_T4_T5_mT6_P12ihipStream_tbENKUlT_T0_E_clISt17integral_constantIbLb1EESY_IbLb0EEEEDaSU_SV_EUlSU_E0_NS1_11comp_targetILNS1_3genE3ELNS1_11target_archE908ELNS1_3gpuE7ELNS1_3repE0EEENS1_30default_config_static_selectorELNS0_4arch9wavefront6targetE0EEEvT1_
; %bb.0:
	.section	.rodata,"a",@progbits
	.p2align	6, 0x0
	.amdhsa_kernel _ZN7rocprim17ROCPRIM_400000_NS6detail17trampoline_kernelINS0_14default_configENS1_20scan_config_selectorIN3c107complexIfEEEEZZNS1_9scan_implILNS1_25lookback_scan_determinismE0ELb0ELb0ES3_PKS7_PS7_S7_ZZZN2at6native31launch_logcumsumexp_cuda_kernelERKNSE_10TensorBaseESI_lENKUlvE_clEvENKUlvE2_clEvEUlS7_S7_E_S7_EEDaPvRmT3_T4_T5_mT6_P12ihipStream_tbENKUlT_T0_E_clISt17integral_constantIbLb1EESY_IbLb0EEEEDaSU_SV_EUlSU_E0_NS1_11comp_targetILNS1_3genE3ELNS1_11target_archE908ELNS1_3gpuE7ELNS1_3repE0EEENS1_30default_config_static_selectorELNS0_4arch9wavefront6targetE0EEEvT1_
		.amdhsa_group_segment_fixed_size 0
		.amdhsa_private_segment_fixed_size 0
		.amdhsa_kernarg_size 40
		.amdhsa_user_sgpr_count 15
		.amdhsa_user_sgpr_dispatch_ptr 0
		.amdhsa_user_sgpr_queue_ptr 0
		.amdhsa_user_sgpr_kernarg_segment_ptr 1
		.amdhsa_user_sgpr_dispatch_id 0
		.amdhsa_user_sgpr_private_segment_size 0
		.amdhsa_wavefront_size32 1
		.amdhsa_uses_dynamic_stack 0
		.amdhsa_enable_private_segment 0
		.amdhsa_system_sgpr_workgroup_id_x 1
		.amdhsa_system_sgpr_workgroup_id_y 0
		.amdhsa_system_sgpr_workgroup_id_z 0
		.amdhsa_system_sgpr_workgroup_info 0
		.amdhsa_system_vgpr_workitem_id 0
		.amdhsa_next_free_vgpr 1
		.amdhsa_next_free_sgpr 1
		.amdhsa_reserve_vcc 0
		.amdhsa_float_round_mode_32 0
		.amdhsa_float_round_mode_16_64 0
		.amdhsa_float_denorm_mode_32 3
		.amdhsa_float_denorm_mode_16_64 3
		.amdhsa_dx10_clamp 1
		.amdhsa_ieee_mode 1
		.amdhsa_fp16_overflow 0
		.amdhsa_workgroup_processor_mode 1
		.amdhsa_memory_ordered 1
		.amdhsa_forward_progress 0
		.amdhsa_shared_vgpr_count 0
		.amdhsa_exception_fp_ieee_invalid_op 0
		.amdhsa_exception_fp_denorm_src 0
		.amdhsa_exception_fp_ieee_div_zero 0
		.amdhsa_exception_fp_ieee_overflow 0
		.amdhsa_exception_fp_ieee_underflow 0
		.amdhsa_exception_fp_ieee_inexact 0
		.amdhsa_exception_int_div_zero 0
	.end_amdhsa_kernel
	.section	.text._ZN7rocprim17ROCPRIM_400000_NS6detail17trampoline_kernelINS0_14default_configENS1_20scan_config_selectorIN3c107complexIfEEEEZZNS1_9scan_implILNS1_25lookback_scan_determinismE0ELb0ELb0ES3_PKS7_PS7_S7_ZZZN2at6native31launch_logcumsumexp_cuda_kernelERKNSE_10TensorBaseESI_lENKUlvE_clEvENKUlvE2_clEvEUlS7_S7_E_S7_EEDaPvRmT3_T4_T5_mT6_P12ihipStream_tbENKUlT_T0_E_clISt17integral_constantIbLb1EESY_IbLb0EEEEDaSU_SV_EUlSU_E0_NS1_11comp_targetILNS1_3genE3ELNS1_11target_archE908ELNS1_3gpuE7ELNS1_3repE0EEENS1_30default_config_static_selectorELNS0_4arch9wavefront6targetE0EEEvT1_,"axG",@progbits,_ZN7rocprim17ROCPRIM_400000_NS6detail17trampoline_kernelINS0_14default_configENS1_20scan_config_selectorIN3c107complexIfEEEEZZNS1_9scan_implILNS1_25lookback_scan_determinismE0ELb0ELb0ES3_PKS7_PS7_S7_ZZZN2at6native31launch_logcumsumexp_cuda_kernelERKNSE_10TensorBaseESI_lENKUlvE_clEvENKUlvE2_clEvEUlS7_S7_E_S7_EEDaPvRmT3_T4_T5_mT6_P12ihipStream_tbENKUlT_T0_E_clISt17integral_constantIbLb1EESY_IbLb0EEEEDaSU_SV_EUlSU_E0_NS1_11comp_targetILNS1_3genE3ELNS1_11target_archE908ELNS1_3gpuE7ELNS1_3repE0EEENS1_30default_config_static_selectorELNS0_4arch9wavefront6targetE0EEEvT1_,comdat
.Lfunc_end326:
	.size	_ZN7rocprim17ROCPRIM_400000_NS6detail17trampoline_kernelINS0_14default_configENS1_20scan_config_selectorIN3c107complexIfEEEEZZNS1_9scan_implILNS1_25lookback_scan_determinismE0ELb0ELb0ES3_PKS7_PS7_S7_ZZZN2at6native31launch_logcumsumexp_cuda_kernelERKNSE_10TensorBaseESI_lENKUlvE_clEvENKUlvE2_clEvEUlS7_S7_E_S7_EEDaPvRmT3_T4_T5_mT6_P12ihipStream_tbENKUlT_T0_E_clISt17integral_constantIbLb1EESY_IbLb0EEEEDaSU_SV_EUlSU_E0_NS1_11comp_targetILNS1_3genE3ELNS1_11target_archE908ELNS1_3gpuE7ELNS1_3repE0EEENS1_30default_config_static_selectorELNS0_4arch9wavefront6targetE0EEEvT1_, .Lfunc_end326-_ZN7rocprim17ROCPRIM_400000_NS6detail17trampoline_kernelINS0_14default_configENS1_20scan_config_selectorIN3c107complexIfEEEEZZNS1_9scan_implILNS1_25lookback_scan_determinismE0ELb0ELb0ES3_PKS7_PS7_S7_ZZZN2at6native31launch_logcumsumexp_cuda_kernelERKNSE_10TensorBaseESI_lENKUlvE_clEvENKUlvE2_clEvEUlS7_S7_E_S7_EEDaPvRmT3_T4_T5_mT6_P12ihipStream_tbENKUlT_T0_E_clISt17integral_constantIbLb1EESY_IbLb0EEEEDaSU_SV_EUlSU_E0_NS1_11comp_targetILNS1_3genE3ELNS1_11target_archE908ELNS1_3gpuE7ELNS1_3repE0EEENS1_30default_config_static_selectorELNS0_4arch9wavefront6targetE0EEEvT1_
                                        ; -- End function
	.section	.AMDGPU.csdata,"",@progbits
; Kernel info:
; codeLenInByte = 0
; NumSgprs: 0
; NumVgprs: 0
; ScratchSize: 0
; MemoryBound: 0
; FloatMode: 240
; IeeeMode: 1
; LDSByteSize: 0 bytes/workgroup (compile time only)
; SGPRBlocks: 0
; VGPRBlocks: 0
; NumSGPRsForWavesPerEU: 1
; NumVGPRsForWavesPerEU: 1
; Occupancy: 16
; WaveLimiterHint : 0
; COMPUTE_PGM_RSRC2:SCRATCH_EN: 0
; COMPUTE_PGM_RSRC2:USER_SGPR: 15
; COMPUTE_PGM_RSRC2:TRAP_HANDLER: 0
; COMPUTE_PGM_RSRC2:TGID_X_EN: 1
; COMPUTE_PGM_RSRC2:TGID_Y_EN: 0
; COMPUTE_PGM_RSRC2:TGID_Z_EN: 0
; COMPUTE_PGM_RSRC2:TIDIG_COMP_CNT: 0
	.section	.text._ZN7rocprim17ROCPRIM_400000_NS6detail17trampoline_kernelINS0_14default_configENS1_20scan_config_selectorIN3c107complexIfEEEEZZNS1_9scan_implILNS1_25lookback_scan_determinismE0ELb0ELb0ES3_PKS7_PS7_S7_ZZZN2at6native31launch_logcumsumexp_cuda_kernelERKNSE_10TensorBaseESI_lENKUlvE_clEvENKUlvE2_clEvEUlS7_S7_E_S7_EEDaPvRmT3_T4_T5_mT6_P12ihipStream_tbENKUlT_T0_E_clISt17integral_constantIbLb1EESY_IbLb0EEEEDaSU_SV_EUlSU_E0_NS1_11comp_targetILNS1_3genE2ELNS1_11target_archE906ELNS1_3gpuE6ELNS1_3repE0EEENS1_30default_config_static_selectorELNS0_4arch9wavefront6targetE0EEEvT1_,"axG",@progbits,_ZN7rocprim17ROCPRIM_400000_NS6detail17trampoline_kernelINS0_14default_configENS1_20scan_config_selectorIN3c107complexIfEEEEZZNS1_9scan_implILNS1_25lookback_scan_determinismE0ELb0ELb0ES3_PKS7_PS7_S7_ZZZN2at6native31launch_logcumsumexp_cuda_kernelERKNSE_10TensorBaseESI_lENKUlvE_clEvENKUlvE2_clEvEUlS7_S7_E_S7_EEDaPvRmT3_T4_T5_mT6_P12ihipStream_tbENKUlT_T0_E_clISt17integral_constantIbLb1EESY_IbLb0EEEEDaSU_SV_EUlSU_E0_NS1_11comp_targetILNS1_3genE2ELNS1_11target_archE906ELNS1_3gpuE6ELNS1_3repE0EEENS1_30default_config_static_selectorELNS0_4arch9wavefront6targetE0EEEvT1_,comdat
	.globl	_ZN7rocprim17ROCPRIM_400000_NS6detail17trampoline_kernelINS0_14default_configENS1_20scan_config_selectorIN3c107complexIfEEEEZZNS1_9scan_implILNS1_25lookback_scan_determinismE0ELb0ELb0ES3_PKS7_PS7_S7_ZZZN2at6native31launch_logcumsumexp_cuda_kernelERKNSE_10TensorBaseESI_lENKUlvE_clEvENKUlvE2_clEvEUlS7_S7_E_S7_EEDaPvRmT3_T4_T5_mT6_P12ihipStream_tbENKUlT_T0_E_clISt17integral_constantIbLb1EESY_IbLb0EEEEDaSU_SV_EUlSU_E0_NS1_11comp_targetILNS1_3genE2ELNS1_11target_archE906ELNS1_3gpuE6ELNS1_3repE0EEENS1_30default_config_static_selectorELNS0_4arch9wavefront6targetE0EEEvT1_ ; -- Begin function _ZN7rocprim17ROCPRIM_400000_NS6detail17trampoline_kernelINS0_14default_configENS1_20scan_config_selectorIN3c107complexIfEEEEZZNS1_9scan_implILNS1_25lookback_scan_determinismE0ELb0ELb0ES3_PKS7_PS7_S7_ZZZN2at6native31launch_logcumsumexp_cuda_kernelERKNSE_10TensorBaseESI_lENKUlvE_clEvENKUlvE2_clEvEUlS7_S7_E_S7_EEDaPvRmT3_T4_T5_mT6_P12ihipStream_tbENKUlT_T0_E_clISt17integral_constantIbLb1EESY_IbLb0EEEEDaSU_SV_EUlSU_E0_NS1_11comp_targetILNS1_3genE2ELNS1_11target_archE906ELNS1_3gpuE6ELNS1_3repE0EEENS1_30default_config_static_selectorELNS0_4arch9wavefront6targetE0EEEvT1_
	.p2align	8
	.type	_ZN7rocprim17ROCPRIM_400000_NS6detail17trampoline_kernelINS0_14default_configENS1_20scan_config_selectorIN3c107complexIfEEEEZZNS1_9scan_implILNS1_25lookback_scan_determinismE0ELb0ELb0ES3_PKS7_PS7_S7_ZZZN2at6native31launch_logcumsumexp_cuda_kernelERKNSE_10TensorBaseESI_lENKUlvE_clEvENKUlvE2_clEvEUlS7_S7_E_S7_EEDaPvRmT3_T4_T5_mT6_P12ihipStream_tbENKUlT_T0_E_clISt17integral_constantIbLb1EESY_IbLb0EEEEDaSU_SV_EUlSU_E0_NS1_11comp_targetILNS1_3genE2ELNS1_11target_archE906ELNS1_3gpuE6ELNS1_3repE0EEENS1_30default_config_static_selectorELNS0_4arch9wavefront6targetE0EEEvT1_,@function
_ZN7rocprim17ROCPRIM_400000_NS6detail17trampoline_kernelINS0_14default_configENS1_20scan_config_selectorIN3c107complexIfEEEEZZNS1_9scan_implILNS1_25lookback_scan_determinismE0ELb0ELb0ES3_PKS7_PS7_S7_ZZZN2at6native31launch_logcumsumexp_cuda_kernelERKNSE_10TensorBaseESI_lENKUlvE_clEvENKUlvE2_clEvEUlS7_S7_E_S7_EEDaPvRmT3_T4_T5_mT6_P12ihipStream_tbENKUlT_T0_E_clISt17integral_constantIbLb1EESY_IbLb0EEEEDaSU_SV_EUlSU_E0_NS1_11comp_targetILNS1_3genE2ELNS1_11target_archE906ELNS1_3gpuE6ELNS1_3repE0EEENS1_30default_config_static_selectorELNS0_4arch9wavefront6targetE0EEEvT1_: ; @_ZN7rocprim17ROCPRIM_400000_NS6detail17trampoline_kernelINS0_14default_configENS1_20scan_config_selectorIN3c107complexIfEEEEZZNS1_9scan_implILNS1_25lookback_scan_determinismE0ELb0ELb0ES3_PKS7_PS7_S7_ZZZN2at6native31launch_logcumsumexp_cuda_kernelERKNSE_10TensorBaseESI_lENKUlvE_clEvENKUlvE2_clEvEUlS7_S7_E_S7_EEDaPvRmT3_T4_T5_mT6_P12ihipStream_tbENKUlT_T0_E_clISt17integral_constantIbLb1EESY_IbLb0EEEEDaSU_SV_EUlSU_E0_NS1_11comp_targetILNS1_3genE2ELNS1_11target_archE906ELNS1_3gpuE6ELNS1_3repE0EEENS1_30default_config_static_selectorELNS0_4arch9wavefront6targetE0EEEvT1_
; %bb.0:
	.section	.rodata,"a",@progbits
	.p2align	6, 0x0
	.amdhsa_kernel _ZN7rocprim17ROCPRIM_400000_NS6detail17trampoline_kernelINS0_14default_configENS1_20scan_config_selectorIN3c107complexIfEEEEZZNS1_9scan_implILNS1_25lookback_scan_determinismE0ELb0ELb0ES3_PKS7_PS7_S7_ZZZN2at6native31launch_logcumsumexp_cuda_kernelERKNSE_10TensorBaseESI_lENKUlvE_clEvENKUlvE2_clEvEUlS7_S7_E_S7_EEDaPvRmT3_T4_T5_mT6_P12ihipStream_tbENKUlT_T0_E_clISt17integral_constantIbLb1EESY_IbLb0EEEEDaSU_SV_EUlSU_E0_NS1_11comp_targetILNS1_3genE2ELNS1_11target_archE906ELNS1_3gpuE6ELNS1_3repE0EEENS1_30default_config_static_selectorELNS0_4arch9wavefront6targetE0EEEvT1_
		.amdhsa_group_segment_fixed_size 0
		.amdhsa_private_segment_fixed_size 0
		.amdhsa_kernarg_size 40
		.amdhsa_user_sgpr_count 15
		.amdhsa_user_sgpr_dispatch_ptr 0
		.amdhsa_user_sgpr_queue_ptr 0
		.amdhsa_user_sgpr_kernarg_segment_ptr 1
		.amdhsa_user_sgpr_dispatch_id 0
		.amdhsa_user_sgpr_private_segment_size 0
		.amdhsa_wavefront_size32 1
		.amdhsa_uses_dynamic_stack 0
		.amdhsa_enable_private_segment 0
		.amdhsa_system_sgpr_workgroup_id_x 1
		.amdhsa_system_sgpr_workgroup_id_y 0
		.amdhsa_system_sgpr_workgroup_id_z 0
		.amdhsa_system_sgpr_workgroup_info 0
		.amdhsa_system_vgpr_workitem_id 0
		.amdhsa_next_free_vgpr 1
		.amdhsa_next_free_sgpr 1
		.amdhsa_reserve_vcc 0
		.amdhsa_float_round_mode_32 0
		.amdhsa_float_round_mode_16_64 0
		.amdhsa_float_denorm_mode_32 3
		.amdhsa_float_denorm_mode_16_64 3
		.amdhsa_dx10_clamp 1
		.amdhsa_ieee_mode 1
		.amdhsa_fp16_overflow 0
		.amdhsa_workgroup_processor_mode 1
		.amdhsa_memory_ordered 1
		.amdhsa_forward_progress 0
		.amdhsa_shared_vgpr_count 0
		.amdhsa_exception_fp_ieee_invalid_op 0
		.amdhsa_exception_fp_denorm_src 0
		.amdhsa_exception_fp_ieee_div_zero 0
		.amdhsa_exception_fp_ieee_overflow 0
		.amdhsa_exception_fp_ieee_underflow 0
		.amdhsa_exception_fp_ieee_inexact 0
		.amdhsa_exception_int_div_zero 0
	.end_amdhsa_kernel
	.section	.text._ZN7rocprim17ROCPRIM_400000_NS6detail17trampoline_kernelINS0_14default_configENS1_20scan_config_selectorIN3c107complexIfEEEEZZNS1_9scan_implILNS1_25lookback_scan_determinismE0ELb0ELb0ES3_PKS7_PS7_S7_ZZZN2at6native31launch_logcumsumexp_cuda_kernelERKNSE_10TensorBaseESI_lENKUlvE_clEvENKUlvE2_clEvEUlS7_S7_E_S7_EEDaPvRmT3_T4_T5_mT6_P12ihipStream_tbENKUlT_T0_E_clISt17integral_constantIbLb1EESY_IbLb0EEEEDaSU_SV_EUlSU_E0_NS1_11comp_targetILNS1_3genE2ELNS1_11target_archE906ELNS1_3gpuE6ELNS1_3repE0EEENS1_30default_config_static_selectorELNS0_4arch9wavefront6targetE0EEEvT1_,"axG",@progbits,_ZN7rocprim17ROCPRIM_400000_NS6detail17trampoline_kernelINS0_14default_configENS1_20scan_config_selectorIN3c107complexIfEEEEZZNS1_9scan_implILNS1_25lookback_scan_determinismE0ELb0ELb0ES3_PKS7_PS7_S7_ZZZN2at6native31launch_logcumsumexp_cuda_kernelERKNSE_10TensorBaseESI_lENKUlvE_clEvENKUlvE2_clEvEUlS7_S7_E_S7_EEDaPvRmT3_T4_T5_mT6_P12ihipStream_tbENKUlT_T0_E_clISt17integral_constantIbLb1EESY_IbLb0EEEEDaSU_SV_EUlSU_E0_NS1_11comp_targetILNS1_3genE2ELNS1_11target_archE906ELNS1_3gpuE6ELNS1_3repE0EEENS1_30default_config_static_selectorELNS0_4arch9wavefront6targetE0EEEvT1_,comdat
.Lfunc_end327:
	.size	_ZN7rocprim17ROCPRIM_400000_NS6detail17trampoline_kernelINS0_14default_configENS1_20scan_config_selectorIN3c107complexIfEEEEZZNS1_9scan_implILNS1_25lookback_scan_determinismE0ELb0ELb0ES3_PKS7_PS7_S7_ZZZN2at6native31launch_logcumsumexp_cuda_kernelERKNSE_10TensorBaseESI_lENKUlvE_clEvENKUlvE2_clEvEUlS7_S7_E_S7_EEDaPvRmT3_T4_T5_mT6_P12ihipStream_tbENKUlT_T0_E_clISt17integral_constantIbLb1EESY_IbLb0EEEEDaSU_SV_EUlSU_E0_NS1_11comp_targetILNS1_3genE2ELNS1_11target_archE906ELNS1_3gpuE6ELNS1_3repE0EEENS1_30default_config_static_selectorELNS0_4arch9wavefront6targetE0EEEvT1_, .Lfunc_end327-_ZN7rocprim17ROCPRIM_400000_NS6detail17trampoline_kernelINS0_14default_configENS1_20scan_config_selectorIN3c107complexIfEEEEZZNS1_9scan_implILNS1_25lookback_scan_determinismE0ELb0ELb0ES3_PKS7_PS7_S7_ZZZN2at6native31launch_logcumsumexp_cuda_kernelERKNSE_10TensorBaseESI_lENKUlvE_clEvENKUlvE2_clEvEUlS7_S7_E_S7_EEDaPvRmT3_T4_T5_mT6_P12ihipStream_tbENKUlT_T0_E_clISt17integral_constantIbLb1EESY_IbLb0EEEEDaSU_SV_EUlSU_E0_NS1_11comp_targetILNS1_3genE2ELNS1_11target_archE906ELNS1_3gpuE6ELNS1_3repE0EEENS1_30default_config_static_selectorELNS0_4arch9wavefront6targetE0EEEvT1_
                                        ; -- End function
	.section	.AMDGPU.csdata,"",@progbits
; Kernel info:
; codeLenInByte = 0
; NumSgprs: 0
; NumVgprs: 0
; ScratchSize: 0
; MemoryBound: 0
; FloatMode: 240
; IeeeMode: 1
; LDSByteSize: 0 bytes/workgroup (compile time only)
; SGPRBlocks: 0
; VGPRBlocks: 0
; NumSGPRsForWavesPerEU: 1
; NumVGPRsForWavesPerEU: 1
; Occupancy: 16
; WaveLimiterHint : 0
; COMPUTE_PGM_RSRC2:SCRATCH_EN: 0
; COMPUTE_PGM_RSRC2:USER_SGPR: 15
; COMPUTE_PGM_RSRC2:TRAP_HANDLER: 0
; COMPUTE_PGM_RSRC2:TGID_X_EN: 1
; COMPUTE_PGM_RSRC2:TGID_Y_EN: 0
; COMPUTE_PGM_RSRC2:TGID_Z_EN: 0
; COMPUTE_PGM_RSRC2:TIDIG_COMP_CNT: 0
	.section	.text._ZN7rocprim17ROCPRIM_400000_NS6detail17trampoline_kernelINS0_14default_configENS1_20scan_config_selectorIN3c107complexIfEEEEZZNS1_9scan_implILNS1_25lookback_scan_determinismE0ELb0ELb0ES3_PKS7_PS7_S7_ZZZN2at6native31launch_logcumsumexp_cuda_kernelERKNSE_10TensorBaseESI_lENKUlvE_clEvENKUlvE2_clEvEUlS7_S7_E_S7_EEDaPvRmT3_T4_T5_mT6_P12ihipStream_tbENKUlT_T0_E_clISt17integral_constantIbLb1EESY_IbLb0EEEEDaSU_SV_EUlSU_E0_NS1_11comp_targetILNS1_3genE10ELNS1_11target_archE1201ELNS1_3gpuE5ELNS1_3repE0EEENS1_30default_config_static_selectorELNS0_4arch9wavefront6targetE0EEEvT1_,"axG",@progbits,_ZN7rocprim17ROCPRIM_400000_NS6detail17trampoline_kernelINS0_14default_configENS1_20scan_config_selectorIN3c107complexIfEEEEZZNS1_9scan_implILNS1_25lookback_scan_determinismE0ELb0ELb0ES3_PKS7_PS7_S7_ZZZN2at6native31launch_logcumsumexp_cuda_kernelERKNSE_10TensorBaseESI_lENKUlvE_clEvENKUlvE2_clEvEUlS7_S7_E_S7_EEDaPvRmT3_T4_T5_mT6_P12ihipStream_tbENKUlT_T0_E_clISt17integral_constantIbLb1EESY_IbLb0EEEEDaSU_SV_EUlSU_E0_NS1_11comp_targetILNS1_3genE10ELNS1_11target_archE1201ELNS1_3gpuE5ELNS1_3repE0EEENS1_30default_config_static_selectorELNS0_4arch9wavefront6targetE0EEEvT1_,comdat
	.globl	_ZN7rocprim17ROCPRIM_400000_NS6detail17trampoline_kernelINS0_14default_configENS1_20scan_config_selectorIN3c107complexIfEEEEZZNS1_9scan_implILNS1_25lookback_scan_determinismE0ELb0ELb0ES3_PKS7_PS7_S7_ZZZN2at6native31launch_logcumsumexp_cuda_kernelERKNSE_10TensorBaseESI_lENKUlvE_clEvENKUlvE2_clEvEUlS7_S7_E_S7_EEDaPvRmT3_T4_T5_mT6_P12ihipStream_tbENKUlT_T0_E_clISt17integral_constantIbLb1EESY_IbLb0EEEEDaSU_SV_EUlSU_E0_NS1_11comp_targetILNS1_3genE10ELNS1_11target_archE1201ELNS1_3gpuE5ELNS1_3repE0EEENS1_30default_config_static_selectorELNS0_4arch9wavefront6targetE0EEEvT1_ ; -- Begin function _ZN7rocprim17ROCPRIM_400000_NS6detail17trampoline_kernelINS0_14default_configENS1_20scan_config_selectorIN3c107complexIfEEEEZZNS1_9scan_implILNS1_25lookback_scan_determinismE0ELb0ELb0ES3_PKS7_PS7_S7_ZZZN2at6native31launch_logcumsumexp_cuda_kernelERKNSE_10TensorBaseESI_lENKUlvE_clEvENKUlvE2_clEvEUlS7_S7_E_S7_EEDaPvRmT3_T4_T5_mT6_P12ihipStream_tbENKUlT_T0_E_clISt17integral_constantIbLb1EESY_IbLb0EEEEDaSU_SV_EUlSU_E0_NS1_11comp_targetILNS1_3genE10ELNS1_11target_archE1201ELNS1_3gpuE5ELNS1_3repE0EEENS1_30default_config_static_selectorELNS0_4arch9wavefront6targetE0EEEvT1_
	.p2align	8
	.type	_ZN7rocprim17ROCPRIM_400000_NS6detail17trampoline_kernelINS0_14default_configENS1_20scan_config_selectorIN3c107complexIfEEEEZZNS1_9scan_implILNS1_25lookback_scan_determinismE0ELb0ELb0ES3_PKS7_PS7_S7_ZZZN2at6native31launch_logcumsumexp_cuda_kernelERKNSE_10TensorBaseESI_lENKUlvE_clEvENKUlvE2_clEvEUlS7_S7_E_S7_EEDaPvRmT3_T4_T5_mT6_P12ihipStream_tbENKUlT_T0_E_clISt17integral_constantIbLb1EESY_IbLb0EEEEDaSU_SV_EUlSU_E0_NS1_11comp_targetILNS1_3genE10ELNS1_11target_archE1201ELNS1_3gpuE5ELNS1_3repE0EEENS1_30default_config_static_selectorELNS0_4arch9wavefront6targetE0EEEvT1_,@function
_ZN7rocprim17ROCPRIM_400000_NS6detail17trampoline_kernelINS0_14default_configENS1_20scan_config_selectorIN3c107complexIfEEEEZZNS1_9scan_implILNS1_25lookback_scan_determinismE0ELb0ELb0ES3_PKS7_PS7_S7_ZZZN2at6native31launch_logcumsumexp_cuda_kernelERKNSE_10TensorBaseESI_lENKUlvE_clEvENKUlvE2_clEvEUlS7_S7_E_S7_EEDaPvRmT3_T4_T5_mT6_P12ihipStream_tbENKUlT_T0_E_clISt17integral_constantIbLb1EESY_IbLb0EEEEDaSU_SV_EUlSU_E0_NS1_11comp_targetILNS1_3genE10ELNS1_11target_archE1201ELNS1_3gpuE5ELNS1_3repE0EEENS1_30default_config_static_selectorELNS0_4arch9wavefront6targetE0EEEvT1_: ; @_ZN7rocprim17ROCPRIM_400000_NS6detail17trampoline_kernelINS0_14default_configENS1_20scan_config_selectorIN3c107complexIfEEEEZZNS1_9scan_implILNS1_25lookback_scan_determinismE0ELb0ELb0ES3_PKS7_PS7_S7_ZZZN2at6native31launch_logcumsumexp_cuda_kernelERKNSE_10TensorBaseESI_lENKUlvE_clEvENKUlvE2_clEvEUlS7_S7_E_S7_EEDaPvRmT3_T4_T5_mT6_P12ihipStream_tbENKUlT_T0_E_clISt17integral_constantIbLb1EESY_IbLb0EEEEDaSU_SV_EUlSU_E0_NS1_11comp_targetILNS1_3genE10ELNS1_11target_archE1201ELNS1_3gpuE5ELNS1_3repE0EEENS1_30default_config_static_selectorELNS0_4arch9wavefront6targetE0EEEvT1_
; %bb.0:
	.section	.rodata,"a",@progbits
	.p2align	6, 0x0
	.amdhsa_kernel _ZN7rocprim17ROCPRIM_400000_NS6detail17trampoline_kernelINS0_14default_configENS1_20scan_config_selectorIN3c107complexIfEEEEZZNS1_9scan_implILNS1_25lookback_scan_determinismE0ELb0ELb0ES3_PKS7_PS7_S7_ZZZN2at6native31launch_logcumsumexp_cuda_kernelERKNSE_10TensorBaseESI_lENKUlvE_clEvENKUlvE2_clEvEUlS7_S7_E_S7_EEDaPvRmT3_T4_T5_mT6_P12ihipStream_tbENKUlT_T0_E_clISt17integral_constantIbLb1EESY_IbLb0EEEEDaSU_SV_EUlSU_E0_NS1_11comp_targetILNS1_3genE10ELNS1_11target_archE1201ELNS1_3gpuE5ELNS1_3repE0EEENS1_30default_config_static_selectorELNS0_4arch9wavefront6targetE0EEEvT1_
		.amdhsa_group_segment_fixed_size 0
		.amdhsa_private_segment_fixed_size 0
		.amdhsa_kernarg_size 40
		.amdhsa_user_sgpr_count 15
		.amdhsa_user_sgpr_dispatch_ptr 0
		.amdhsa_user_sgpr_queue_ptr 0
		.amdhsa_user_sgpr_kernarg_segment_ptr 1
		.amdhsa_user_sgpr_dispatch_id 0
		.amdhsa_user_sgpr_private_segment_size 0
		.amdhsa_wavefront_size32 1
		.amdhsa_uses_dynamic_stack 0
		.amdhsa_enable_private_segment 0
		.amdhsa_system_sgpr_workgroup_id_x 1
		.amdhsa_system_sgpr_workgroup_id_y 0
		.amdhsa_system_sgpr_workgroup_id_z 0
		.amdhsa_system_sgpr_workgroup_info 0
		.amdhsa_system_vgpr_workitem_id 0
		.amdhsa_next_free_vgpr 1
		.amdhsa_next_free_sgpr 1
		.amdhsa_reserve_vcc 0
		.amdhsa_float_round_mode_32 0
		.amdhsa_float_round_mode_16_64 0
		.amdhsa_float_denorm_mode_32 3
		.amdhsa_float_denorm_mode_16_64 3
		.amdhsa_dx10_clamp 1
		.amdhsa_ieee_mode 1
		.amdhsa_fp16_overflow 0
		.amdhsa_workgroup_processor_mode 1
		.amdhsa_memory_ordered 1
		.amdhsa_forward_progress 0
		.amdhsa_shared_vgpr_count 0
		.amdhsa_exception_fp_ieee_invalid_op 0
		.amdhsa_exception_fp_denorm_src 0
		.amdhsa_exception_fp_ieee_div_zero 0
		.amdhsa_exception_fp_ieee_overflow 0
		.amdhsa_exception_fp_ieee_underflow 0
		.amdhsa_exception_fp_ieee_inexact 0
		.amdhsa_exception_int_div_zero 0
	.end_amdhsa_kernel
	.section	.text._ZN7rocprim17ROCPRIM_400000_NS6detail17trampoline_kernelINS0_14default_configENS1_20scan_config_selectorIN3c107complexIfEEEEZZNS1_9scan_implILNS1_25lookback_scan_determinismE0ELb0ELb0ES3_PKS7_PS7_S7_ZZZN2at6native31launch_logcumsumexp_cuda_kernelERKNSE_10TensorBaseESI_lENKUlvE_clEvENKUlvE2_clEvEUlS7_S7_E_S7_EEDaPvRmT3_T4_T5_mT6_P12ihipStream_tbENKUlT_T0_E_clISt17integral_constantIbLb1EESY_IbLb0EEEEDaSU_SV_EUlSU_E0_NS1_11comp_targetILNS1_3genE10ELNS1_11target_archE1201ELNS1_3gpuE5ELNS1_3repE0EEENS1_30default_config_static_selectorELNS0_4arch9wavefront6targetE0EEEvT1_,"axG",@progbits,_ZN7rocprim17ROCPRIM_400000_NS6detail17trampoline_kernelINS0_14default_configENS1_20scan_config_selectorIN3c107complexIfEEEEZZNS1_9scan_implILNS1_25lookback_scan_determinismE0ELb0ELb0ES3_PKS7_PS7_S7_ZZZN2at6native31launch_logcumsumexp_cuda_kernelERKNSE_10TensorBaseESI_lENKUlvE_clEvENKUlvE2_clEvEUlS7_S7_E_S7_EEDaPvRmT3_T4_T5_mT6_P12ihipStream_tbENKUlT_T0_E_clISt17integral_constantIbLb1EESY_IbLb0EEEEDaSU_SV_EUlSU_E0_NS1_11comp_targetILNS1_3genE10ELNS1_11target_archE1201ELNS1_3gpuE5ELNS1_3repE0EEENS1_30default_config_static_selectorELNS0_4arch9wavefront6targetE0EEEvT1_,comdat
.Lfunc_end328:
	.size	_ZN7rocprim17ROCPRIM_400000_NS6detail17trampoline_kernelINS0_14default_configENS1_20scan_config_selectorIN3c107complexIfEEEEZZNS1_9scan_implILNS1_25lookback_scan_determinismE0ELb0ELb0ES3_PKS7_PS7_S7_ZZZN2at6native31launch_logcumsumexp_cuda_kernelERKNSE_10TensorBaseESI_lENKUlvE_clEvENKUlvE2_clEvEUlS7_S7_E_S7_EEDaPvRmT3_T4_T5_mT6_P12ihipStream_tbENKUlT_T0_E_clISt17integral_constantIbLb1EESY_IbLb0EEEEDaSU_SV_EUlSU_E0_NS1_11comp_targetILNS1_3genE10ELNS1_11target_archE1201ELNS1_3gpuE5ELNS1_3repE0EEENS1_30default_config_static_selectorELNS0_4arch9wavefront6targetE0EEEvT1_, .Lfunc_end328-_ZN7rocprim17ROCPRIM_400000_NS6detail17trampoline_kernelINS0_14default_configENS1_20scan_config_selectorIN3c107complexIfEEEEZZNS1_9scan_implILNS1_25lookback_scan_determinismE0ELb0ELb0ES3_PKS7_PS7_S7_ZZZN2at6native31launch_logcumsumexp_cuda_kernelERKNSE_10TensorBaseESI_lENKUlvE_clEvENKUlvE2_clEvEUlS7_S7_E_S7_EEDaPvRmT3_T4_T5_mT6_P12ihipStream_tbENKUlT_T0_E_clISt17integral_constantIbLb1EESY_IbLb0EEEEDaSU_SV_EUlSU_E0_NS1_11comp_targetILNS1_3genE10ELNS1_11target_archE1201ELNS1_3gpuE5ELNS1_3repE0EEENS1_30default_config_static_selectorELNS0_4arch9wavefront6targetE0EEEvT1_
                                        ; -- End function
	.section	.AMDGPU.csdata,"",@progbits
; Kernel info:
; codeLenInByte = 0
; NumSgprs: 0
; NumVgprs: 0
; ScratchSize: 0
; MemoryBound: 0
; FloatMode: 240
; IeeeMode: 1
; LDSByteSize: 0 bytes/workgroup (compile time only)
; SGPRBlocks: 0
; VGPRBlocks: 0
; NumSGPRsForWavesPerEU: 1
; NumVGPRsForWavesPerEU: 1
; Occupancy: 16
; WaveLimiterHint : 0
; COMPUTE_PGM_RSRC2:SCRATCH_EN: 0
; COMPUTE_PGM_RSRC2:USER_SGPR: 15
; COMPUTE_PGM_RSRC2:TRAP_HANDLER: 0
; COMPUTE_PGM_RSRC2:TGID_X_EN: 1
; COMPUTE_PGM_RSRC2:TGID_Y_EN: 0
; COMPUTE_PGM_RSRC2:TGID_Z_EN: 0
; COMPUTE_PGM_RSRC2:TIDIG_COMP_CNT: 0
	.section	.text._ZN7rocprim17ROCPRIM_400000_NS6detail17trampoline_kernelINS0_14default_configENS1_20scan_config_selectorIN3c107complexIfEEEEZZNS1_9scan_implILNS1_25lookback_scan_determinismE0ELb0ELb0ES3_PKS7_PS7_S7_ZZZN2at6native31launch_logcumsumexp_cuda_kernelERKNSE_10TensorBaseESI_lENKUlvE_clEvENKUlvE2_clEvEUlS7_S7_E_S7_EEDaPvRmT3_T4_T5_mT6_P12ihipStream_tbENKUlT_T0_E_clISt17integral_constantIbLb1EESY_IbLb0EEEEDaSU_SV_EUlSU_E0_NS1_11comp_targetILNS1_3genE10ELNS1_11target_archE1200ELNS1_3gpuE4ELNS1_3repE0EEENS1_30default_config_static_selectorELNS0_4arch9wavefront6targetE0EEEvT1_,"axG",@progbits,_ZN7rocprim17ROCPRIM_400000_NS6detail17trampoline_kernelINS0_14default_configENS1_20scan_config_selectorIN3c107complexIfEEEEZZNS1_9scan_implILNS1_25lookback_scan_determinismE0ELb0ELb0ES3_PKS7_PS7_S7_ZZZN2at6native31launch_logcumsumexp_cuda_kernelERKNSE_10TensorBaseESI_lENKUlvE_clEvENKUlvE2_clEvEUlS7_S7_E_S7_EEDaPvRmT3_T4_T5_mT6_P12ihipStream_tbENKUlT_T0_E_clISt17integral_constantIbLb1EESY_IbLb0EEEEDaSU_SV_EUlSU_E0_NS1_11comp_targetILNS1_3genE10ELNS1_11target_archE1200ELNS1_3gpuE4ELNS1_3repE0EEENS1_30default_config_static_selectorELNS0_4arch9wavefront6targetE0EEEvT1_,comdat
	.globl	_ZN7rocprim17ROCPRIM_400000_NS6detail17trampoline_kernelINS0_14default_configENS1_20scan_config_selectorIN3c107complexIfEEEEZZNS1_9scan_implILNS1_25lookback_scan_determinismE0ELb0ELb0ES3_PKS7_PS7_S7_ZZZN2at6native31launch_logcumsumexp_cuda_kernelERKNSE_10TensorBaseESI_lENKUlvE_clEvENKUlvE2_clEvEUlS7_S7_E_S7_EEDaPvRmT3_T4_T5_mT6_P12ihipStream_tbENKUlT_T0_E_clISt17integral_constantIbLb1EESY_IbLb0EEEEDaSU_SV_EUlSU_E0_NS1_11comp_targetILNS1_3genE10ELNS1_11target_archE1200ELNS1_3gpuE4ELNS1_3repE0EEENS1_30default_config_static_selectorELNS0_4arch9wavefront6targetE0EEEvT1_ ; -- Begin function _ZN7rocprim17ROCPRIM_400000_NS6detail17trampoline_kernelINS0_14default_configENS1_20scan_config_selectorIN3c107complexIfEEEEZZNS1_9scan_implILNS1_25lookback_scan_determinismE0ELb0ELb0ES3_PKS7_PS7_S7_ZZZN2at6native31launch_logcumsumexp_cuda_kernelERKNSE_10TensorBaseESI_lENKUlvE_clEvENKUlvE2_clEvEUlS7_S7_E_S7_EEDaPvRmT3_T4_T5_mT6_P12ihipStream_tbENKUlT_T0_E_clISt17integral_constantIbLb1EESY_IbLb0EEEEDaSU_SV_EUlSU_E0_NS1_11comp_targetILNS1_3genE10ELNS1_11target_archE1200ELNS1_3gpuE4ELNS1_3repE0EEENS1_30default_config_static_selectorELNS0_4arch9wavefront6targetE0EEEvT1_
	.p2align	8
	.type	_ZN7rocprim17ROCPRIM_400000_NS6detail17trampoline_kernelINS0_14default_configENS1_20scan_config_selectorIN3c107complexIfEEEEZZNS1_9scan_implILNS1_25lookback_scan_determinismE0ELb0ELb0ES3_PKS7_PS7_S7_ZZZN2at6native31launch_logcumsumexp_cuda_kernelERKNSE_10TensorBaseESI_lENKUlvE_clEvENKUlvE2_clEvEUlS7_S7_E_S7_EEDaPvRmT3_T4_T5_mT6_P12ihipStream_tbENKUlT_T0_E_clISt17integral_constantIbLb1EESY_IbLb0EEEEDaSU_SV_EUlSU_E0_NS1_11comp_targetILNS1_3genE10ELNS1_11target_archE1200ELNS1_3gpuE4ELNS1_3repE0EEENS1_30default_config_static_selectorELNS0_4arch9wavefront6targetE0EEEvT1_,@function
_ZN7rocprim17ROCPRIM_400000_NS6detail17trampoline_kernelINS0_14default_configENS1_20scan_config_selectorIN3c107complexIfEEEEZZNS1_9scan_implILNS1_25lookback_scan_determinismE0ELb0ELb0ES3_PKS7_PS7_S7_ZZZN2at6native31launch_logcumsumexp_cuda_kernelERKNSE_10TensorBaseESI_lENKUlvE_clEvENKUlvE2_clEvEUlS7_S7_E_S7_EEDaPvRmT3_T4_T5_mT6_P12ihipStream_tbENKUlT_T0_E_clISt17integral_constantIbLb1EESY_IbLb0EEEEDaSU_SV_EUlSU_E0_NS1_11comp_targetILNS1_3genE10ELNS1_11target_archE1200ELNS1_3gpuE4ELNS1_3repE0EEENS1_30default_config_static_selectorELNS0_4arch9wavefront6targetE0EEEvT1_: ; @_ZN7rocprim17ROCPRIM_400000_NS6detail17trampoline_kernelINS0_14default_configENS1_20scan_config_selectorIN3c107complexIfEEEEZZNS1_9scan_implILNS1_25lookback_scan_determinismE0ELb0ELb0ES3_PKS7_PS7_S7_ZZZN2at6native31launch_logcumsumexp_cuda_kernelERKNSE_10TensorBaseESI_lENKUlvE_clEvENKUlvE2_clEvEUlS7_S7_E_S7_EEDaPvRmT3_T4_T5_mT6_P12ihipStream_tbENKUlT_T0_E_clISt17integral_constantIbLb1EESY_IbLb0EEEEDaSU_SV_EUlSU_E0_NS1_11comp_targetILNS1_3genE10ELNS1_11target_archE1200ELNS1_3gpuE4ELNS1_3repE0EEENS1_30default_config_static_selectorELNS0_4arch9wavefront6targetE0EEEvT1_
; %bb.0:
	.section	.rodata,"a",@progbits
	.p2align	6, 0x0
	.amdhsa_kernel _ZN7rocprim17ROCPRIM_400000_NS6detail17trampoline_kernelINS0_14default_configENS1_20scan_config_selectorIN3c107complexIfEEEEZZNS1_9scan_implILNS1_25lookback_scan_determinismE0ELb0ELb0ES3_PKS7_PS7_S7_ZZZN2at6native31launch_logcumsumexp_cuda_kernelERKNSE_10TensorBaseESI_lENKUlvE_clEvENKUlvE2_clEvEUlS7_S7_E_S7_EEDaPvRmT3_T4_T5_mT6_P12ihipStream_tbENKUlT_T0_E_clISt17integral_constantIbLb1EESY_IbLb0EEEEDaSU_SV_EUlSU_E0_NS1_11comp_targetILNS1_3genE10ELNS1_11target_archE1200ELNS1_3gpuE4ELNS1_3repE0EEENS1_30default_config_static_selectorELNS0_4arch9wavefront6targetE0EEEvT1_
		.amdhsa_group_segment_fixed_size 0
		.amdhsa_private_segment_fixed_size 0
		.amdhsa_kernarg_size 40
		.amdhsa_user_sgpr_count 15
		.amdhsa_user_sgpr_dispatch_ptr 0
		.amdhsa_user_sgpr_queue_ptr 0
		.amdhsa_user_sgpr_kernarg_segment_ptr 1
		.amdhsa_user_sgpr_dispatch_id 0
		.amdhsa_user_sgpr_private_segment_size 0
		.amdhsa_wavefront_size32 1
		.amdhsa_uses_dynamic_stack 0
		.amdhsa_enable_private_segment 0
		.amdhsa_system_sgpr_workgroup_id_x 1
		.amdhsa_system_sgpr_workgroup_id_y 0
		.amdhsa_system_sgpr_workgroup_id_z 0
		.amdhsa_system_sgpr_workgroup_info 0
		.amdhsa_system_vgpr_workitem_id 0
		.amdhsa_next_free_vgpr 1
		.amdhsa_next_free_sgpr 1
		.amdhsa_reserve_vcc 0
		.amdhsa_float_round_mode_32 0
		.amdhsa_float_round_mode_16_64 0
		.amdhsa_float_denorm_mode_32 3
		.amdhsa_float_denorm_mode_16_64 3
		.amdhsa_dx10_clamp 1
		.amdhsa_ieee_mode 1
		.amdhsa_fp16_overflow 0
		.amdhsa_workgroup_processor_mode 1
		.amdhsa_memory_ordered 1
		.amdhsa_forward_progress 0
		.amdhsa_shared_vgpr_count 0
		.amdhsa_exception_fp_ieee_invalid_op 0
		.amdhsa_exception_fp_denorm_src 0
		.amdhsa_exception_fp_ieee_div_zero 0
		.amdhsa_exception_fp_ieee_overflow 0
		.amdhsa_exception_fp_ieee_underflow 0
		.amdhsa_exception_fp_ieee_inexact 0
		.amdhsa_exception_int_div_zero 0
	.end_amdhsa_kernel
	.section	.text._ZN7rocprim17ROCPRIM_400000_NS6detail17trampoline_kernelINS0_14default_configENS1_20scan_config_selectorIN3c107complexIfEEEEZZNS1_9scan_implILNS1_25lookback_scan_determinismE0ELb0ELb0ES3_PKS7_PS7_S7_ZZZN2at6native31launch_logcumsumexp_cuda_kernelERKNSE_10TensorBaseESI_lENKUlvE_clEvENKUlvE2_clEvEUlS7_S7_E_S7_EEDaPvRmT3_T4_T5_mT6_P12ihipStream_tbENKUlT_T0_E_clISt17integral_constantIbLb1EESY_IbLb0EEEEDaSU_SV_EUlSU_E0_NS1_11comp_targetILNS1_3genE10ELNS1_11target_archE1200ELNS1_3gpuE4ELNS1_3repE0EEENS1_30default_config_static_selectorELNS0_4arch9wavefront6targetE0EEEvT1_,"axG",@progbits,_ZN7rocprim17ROCPRIM_400000_NS6detail17trampoline_kernelINS0_14default_configENS1_20scan_config_selectorIN3c107complexIfEEEEZZNS1_9scan_implILNS1_25lookback_scan_determinismE0ELb0ELb0ES3_PKS7_PS7_S7_ZZZN2at6native31launch_logcumsumexp_cuda_kernelERKNSE_10TensorBaseESI_lENKUlvE_clEvENKUlvE2_clEvEUlS7_S7_E_S7_EEDaPvRmT3_T4_T5_mT6_P12ihipStream_tbENKUlT_T0_E_clISt17integral_constantIbLb1EESY_IbLb0EEEEDaSU_SV_EUlSU_E0_NS1_11comp_targetILNS1_3genE10ELNS1_11target_archE1200ELNS1_3gpuE4ELNS1_3repE0EEENS1_30default_config_static_selectorELNS0_4arch9wavefront6targetE0EEEvT1_,comdat
.Lfunc_end329:
	.size	_ZN7rocprim17ROCPRIM_400000_NS6detail17trampoline_kernelINS0_14default_configENS1_20scan_config_selectorIN3c107complexIfEEEEZZNS1_9scan_implILNS1_25lookback_scan_determinismE0ELb0ELb0ES3_PKS7_PS7_S7_ZZZN2at6native31launch_logcumsumexp_cuda_kernelERKNSE_10TensorBaseESI_lENKUlvE_clEvENKUlvE2_clEvEUlS7_S7_E_S7_EEDaPvRmT3_T4_T5_mT6_P12ihipStream_tbENKUlT_T0_E_clISt17integral_constantIbLb1EESY_IbLb0EEEEDaSU_SV_EUlSU_E0_NS1_11comp_targetILNS1_3genE10ELNS1_11target_archE1200ELNS1_3gpuE4ELNS1_3repE0EEENS1_30default_config_static_selectorELNS0_4arch9wavefront6targetE0EEEvT1_, .Lfunc_end329-_ZN7rocprim17ROCPRIM_400000_NS6detail17trampoline_kernelINS0_14default_configENS1_20scan_config_selectorIN3c107complexIfEEEEZZNS1_9scan_implILNS1_25lookback_scan_determinismE0ELb0ELb0ES3_PKS7_PS7_S7_ZZZN2at6native31launch_logcumsumexp_cuda_kernelERKNSE_10TensorBaseESI_lENKUlvE_clEvENKUlvE2_clEvEUlS7_S7_E_S7_EEDaPvRmT3_T4_T5_mT6_P12ihipStream_tbENKUlT_T0_E_clISt17integral_constantIbLb1EESY_IbLb0EEEEDaSU_SV_EUlSU_E0_NS1_11comp_targetILNS1_3genE10ELNS1_11target_archE1200ELNS1_3gpuE4ELNS1_3repE0EEENS1_30default_config_static_selectorELNS0_4arch9wavefront6targetE0EEEvT1_
                                        ; -- End function
	.section	.AMDGPU.csdata,"",@progbits
; Kernel info:
; codeLenInByte = 0
; NumSgprs: 0
; NumVgprs: 0
; ScratchSize: 0
; MemoryBound: 0
; FloatMode: 240
; IeeeMode: 1
; LDSByteSize: 0 bytes/workgroup (compile time only)
; SGPRBlocks: 0
; VGPRBlocks: 0
; NumSGPRsForWavesPerEU: 1
; NumVGPRsForWavesPerEU: 1
; Occupancy: 16
; WaveLimiterHint : 0
; COMPUTE_PGM_RSRC2:SCRATCH_EN: 0
; COMPUTE_PGM_RSRC2:USER_SGPR: 15
; COMPUTE_PGM_RSRC2:TRAP_HANDLER: 0
; COMPUTE_PGM_RSRC2:TGID_X_EN: 1
; COMPUTE_PGM_RSRC2:TGID_Y_EN: 0
; COMPUTE_PGM_RSRC2:TGID_Z_EN: 0
; COMPUTE_PGM_RSRC2:TIDIG_COMP_CNT: 0
	.section	.text._ZN7rocprim17ROCPRIM_400000_NS6detail17trampoline_kernelINS0_14default_configENS1_20scan_config_selectorIN3c107complexIfEEEEZZNS1_9scan_implILNS1_25lookback_scan_determinismE0ELb0ELb0ES3_PKS7_PS7_S7_ZZZN2at6native31launch_logcumsumexp_cuda_kernelERKNSE_10TensorBaseESI_lENKUlvE_clEvENKUlvE2_clEvEUlS7_S7_E_S7_EEDaPvRmT3_T4_T5_mT6_P12ihipStream_tbENKUlT_T0_E_clISt17integral_constantIbLb1EESY_IbLb0EEEEDaSU_SV_EUlSU_E0_NS1_11comp_targetILNS1_3genE9ELNS1_11target_archE1100ELNS1_3gpuE3ELNS1_3repE0EEENS1_30default_config_static_selectorELNS0_4arch9wavefront6targetE0EEEvT1_,"axG",@progbits,_ZN7rocprim17ROCPRIM_400000_NS6detail17trampoline_kernelINS0_14default_configENS1_20scan_config_selectorIN3c107complexIfEEEEZZNS1_9scan_implILNS1_25lookback_scan_determinismE0ELb0ELb0ES3_PKS7_PS7_S7_ZZZN2at6native31launch_logcumsumexp_cuda_kernelERKNSE_10TensorBaseESI_lENKUlvE_clEvENKUlvE2_clEvEUlS7_S7_E_S7_EEDaPvRmT3_T4_T5_mT6_P12ihipStream_tbENKUlT_T0_E_clISt17integral_constantIbLb1EESY_IbLb0EEEEDaSU_SV_EUlSU_E0_NS1_11comp_targetILNS1_3genE9ELNS1_11target_archE1100ELNS1_3gpuE3ELNS1_3repE0EEENS1_30default_config_static_selectorELNS0_4arch9wavefront6targetE0EEEvT1_,comdat
	.globl	_ZN7rocprim17ROCPRIM_400000_NS6detail17trampoline_kernelINS0_14default_configENS1_20scan_config_selectorIN3c107complexIfEEEEZZNS1_9scan_implILNS1_25lookback_scan_determinismE0ELb0ELb0ES3_PKS7_PS7_S7_ZZZN2at6native31launch_logcumsumexp_cuda_kernelERKNSE_10TensorBaseESI_lENKUlvE_clEvENKUlvE2_clEvEUlS7_S7_E_S7_EEDaPvRmT3_T4_T5_mT6_P12ihipStream_tbENKUlT_T0_E_clISt17integral_constantIbLb1EESY_IbLb0EEEEDaSU_SV_EUlSU_E0_NS1_11comp_targetILNS1_3genE9ELNS1_11target_archE1100ELNS1_3gpuE3ELNS1_3repE0EEENS1_30default_config_static_selectorELNS0_4arch9wavefront6targetE0EEEvT1_ ; -- Begin function _ZN7rocprim17ROCPRIM_400000_NS6detail17trampoline_kernelINS0_14default_configENS1_20scan_config_selectorIN3c107complexIfEEEEZZNS1_9scan_implILNS1_25lookback_scan_determinismE0ELb0ELb0ES3_PKS7_PS7_S7_ZZZN2at6native31launch_logcumsumexp_cuda_kernelERKNSE_10TensorBaseESI_lENKUlvE_clEvENKUlvE2_clEvEUlS7_S7_E_S7_EEDaPvRmT3_T4_T5_mT6_P12ihipStream_tbENKUlT_T0_E_clISt17integral_constantIbLb1EESY_IbLb0EEEEDaSU_SV_EUlSU_E0_NS1_11comp_targetILNS1_3genE9ELNS1_11target_archE1100ELNS1_3gpuE3ELNS1_3repE0EEENS1_30default_config_static_selectorELNS0_4arch9wavefront6targetE0EEEvT1_
	.p2align	8
	.type	_ZN7rocprim17ROCPRIM_400000_NS6detail17trampoline_kernelINS0_14default_configENS1_20scan_config_selectorIN3c107complexIfEEEEZZNS1_9scan_implILNS1_25lookback_scan_determinismE0ELb0ELb0ES3_PKS7_PS7_S7_ZZZN2at6native31launch_logcumsumexp_cuda_kernelERKNSE_10TensorBaseESI_lENKUlvE_clEvENKUlvE2_clEvEUlS7_S7_E_S7_EEDaPvRmT3_T4_T5_mT6_P12ihipStream_tbENKUlT_T0_E_clISt17integral_constantIbLb1EESY_IbLb0EEEEDaSU_SV_EUlSU_E0_NS1_11comp_targetILNS1_3genE9ELNS1_11target_archE1100ELNS1_3gpuE3ELNS1_3repE0EEENS1_30default_config_static_selectorELNS0_4arch9wavefront6targetE0EEEvT1_,@function
_ZN7rocprim17ROCPRIM_400000_NS6detail17trampoline_kernelINS0_14default_configENS1_20scan_config_selectorIN3c107complexIfEEEEZZNS1_9scan_implILNS1_25lookback_scan_determinismE0ELb0ELb0ES3_PKS7_PS7_S7_ZZZN2at6native31launch_logcumsumexp_cuda_kernelERKNSE_10TensorBaseESI_lENKUlvE_clEvENKUlvE2_clEvEUlS7_S7_E_S7_EEDaPvRmT3_T4_T5_mT6_P12ihipStream_tbENKUlT_T0_E_clISt17integral_constantIbLb1EESY_IbLb0EEEEDaSU_SV_EUlSU_E0_NS1_11comp_targetILNS1_3genE9ELNS1_11target_archE1100ELNS1_3gpuE3ELNS1_3repE0EEENS1_30default_config_static_selectorELNS0_4arch9wavefront6targetE0EEEvT1_: ; @_ZN7rocprim17ROCPRIM_400000_NS6detail17trampoline_kernelINS0_14default_configENS1_20scan_config_selectorIN3c107complexIfEEEEZZNS1_9scan_implILNS1_25lookback_scan_determinismE0ELb0ELb0ES3_PKS7_PS7_S7_ZZZN2at6native31launch_logcumsumexp_cuda_kernelERKNSE_10TensorBaseESI_lENKUlvE_clEvENKUlvE2_clEvEUlS7_S7_E_S7_EEDaPvRmT3_T4_T5_mT6_P12ihipStream_tbENKUlT_T0_E_clISt17integral_constantIbLb1EESY_IbLb0EEEEDaSU_SV_EUlSU_E0_NS1_11comp_targetILNS1_3genE9ELNS1_11target_archE1100ELNS1_3gpuE3ELNS1_3repE0EEENS1_30default_config_static_selectorELNS0_4arch9wavefront6targetE0EEEvT1_
; %bb.0:
	s_load_b128 s[4:7], s[0:1], 0x0
	s_mov_b32 s32, 0
	s_waitcnt lgkmcnt(0)
	s_load_b64 s[2:3], s[4:5], 0x0
	s_waitcnt lgkmcnt(0)
	v_dual_mov_b32 v84, v0 :: v_dual_mov_b32 v1, s3
	s_delay_alu instid0(VALU_DEP_1) | instskip(SKIP_1) | instid1(VALU_DEP_2)
	v_cmp_gt_u32_e64 s8, s6, v84
	v_dual_mov_b32 v0, s2 :: v_dual_lshlrev_b32 v91, 3, v84
	s_and_saveexec_b32 s7, s8
	s_cbranch_execz .LBB330_2
; %bb.1:
	global_load_b64 v[0:1], v91, s[4:5]
.LBB330_2:
	s_or_b32 exec_lo, exec_lo, s7
	v_or_b32_e32 v32, 0x100, v84
	v_dual_mov_b32 v3, s3 :: v_dual_mov_b32 v2, s2
	s_delay_alu instid0(VALU_DEP_2) | instskip(NEXT) | instid1(VALU_DEP_1)
	v_cmp_gt_u32_e64 s9, s6, v32
	s_and_saveexec_b32 s7, s9
	s_cbranch_execz .LBB330_4
; %bb.3:
	global_load_b64 v[2:3], v91, s[4:5] offset:2048
.LBB330_4:
	s_or_b32 exec_lo, exec_lo, s7
	v_or_b32_e32 v33, 0x200, v84
	v_dual_mov_b32 v5, s3 :: v_dual_mov_b32 v4, s2
	s_delay_alu instid0(VALU_DEP_2) | instskip(NEXT) | instid1(VALU_DEP_1)
	v_cmp_gt_u32_e64 s10, s6, v33
	s_and_saveexec_b32 s7, s10
	s_cbranch_execz .LBB330_6
; %bb.5:
	v_lshlrev_b32_e32 v4, 3, v33
	global_load_b64 v[4:5], v4, s[4:5]
.LBB330_6:
	s_or_b32 exec_lo, exec_lo, s7
	v_or_b32_e32 v34, 0x300, v84
	v_dual_mov_b32 v9, s3 :: v_dual_mov_b32 v8, s2
	s_delay_alu instid0(VALU_DEP_2) | instskip(NEXT) | instid1(VALU_DEP_1)
	v_cmp_gt_u32_e64 s11, s6, v34
	s_and_saveexec_b32 s7, s11
	s_cbranch_execz .LBB330_8
; %bb.7:
	v_lshlrev_b32_e32 v6, 3, v34
	global_load_b64 v[8:9], v6, s[4:5]
.LBB330_8:
	;; [unrolled: 11-line block ×14, first 2 shown]
	s_or_b32 exec_lo, exec_lo, s2
	v_lshrrev_b32_e32 v47, 2, v84
	v_lshrrev_b32_e32 v33, 2, v33
	;; [unrolled: 1-line block ×5, first 2 shown]
	v_and_b32_e32 v47, 56, v47
	v_and_b32_e32 v33, 0xf8, v33
	;; [unrolled: 1-line block ×4, first 2 shown]
	s_load_b64 s[24:25], s[0:1], 0x20
	v_add_nc_u32_e32 v92, v47, v91
	v_add_nc_u32_e32 v94, v33, v91
	v_and_b32_e32 v33, 0x1f8, v35
	v_lshrrev_b32_e32 v35, 2, v38
	v_add_nc_u32_e32 v93, v32, v91
	v_add_nc_u32_e32 v95, v34, v91
	s_waitcnt vmcnt(0)
	ds_store_b64 v92, v[0:1]
	ds_store_b64 v93, v[2:3] offset:2048
	ds_store_b64 v94, v[4:5] offset:4096
	;; [unrolled: 1-line block ×3, first 2 shown]
	v_and_b32_e32 v0, 0x1f8, v35
	v_lshrrev_b32_e32 v1, 2, v39
	v_lshrrev_b32_e32 v2, 2, v40
	;; [unrolled: 1-line block ×4, first 2 shown]
	v_add_nc_u32_e32 v99, v0, v91
	v_and_b32_e32 v0, 0x3f8, v1
	v_and_b32_e32 v1, 0x3f8, v2
	;; [unrolled: 1-line block ×4, first 2 shown]
	v_lshrrev_b32_e32 v32, 2, v36
	v_add_nc_u32_e32 v100, v0, v91
	v_lshrrev_b32_e32 v0, 2, v43
	v_add_nc_u32_e32 v101, v1, v91
	v_lshrrev_b32_e32 v1, 2, v44
	v_lshrrev_b32_e32 v36, 2, v37
	v_add_nc_u32_e32 v102, v2, v91
	v_lshrrev_b32_e32 v2, 2, v45
	v_add_nc_u32_e32 v103, v3, v91
	v_lshrrev_b32_e32 v3, 2, v46
	v_and_b32_e32 v0, 0x3f8, v0
	v_lshlrev_b32_e32 v4, 4, v84
	v_lshrrev_b32_e32 v5, 1, v84
	v_and_b32_e32 v32, 0x1f8, v32
	v_and_b32_e32 v1, 0x3f8, v1
	;; [unrolled: 1-line block ×5, first 2 shown]
	v_add_nc_u32_e32 v96, v33, v91
	v_add_nc_u32_e32 v104, v0, v91
	v_add_lshl_u32 v108, v5, v4, 3
	v_add_nc_u32_e32 v97, v32, v91
	v_add_nc_u32_e32 v105, v1, v91
	;; [unrolled: 1-line block ×5, first 2 shown]
	ds_store_b64 v96, v[6:7] offset:8192
	ds_store_b64 v97, v[10:11] offset:10240
	;; [unrolled: 1-line block ×12, first 2 shown]
	s_waitcnt lgkmcnt(0)
	s_barrier
	buffer_gl0_inv
	ds_load_2addr_b64 v[22:25], v108 offset1:1
	ds_load_2addr_b64 v[50:53], v108 offset0:2 offset1:3
	ds_load_2addr_b64 v[46:49], v108 offset0:4 offset1:5
	;; [unrolled: 1-line block ×7, first 2 shown]
	s_waitcnt lgkmcnt(0)
	s_barrier
	buffer_gl0_inv
	s_getpc_b64 s[26:27]
	s_add_u32 s26, s26, _ZZZZN2at6native31launch_logcumsumexp_cuda_kernelERKNS_10TensorBaseES3_lENKUlvE_clEvENKUlvE2_clEvENKUlN3c107complexIfEES8_E_clES8_S8_@rel32@lo+4
	s_addc_u32 s27, s27, _ZZZZN2at6native31launch_logcumsumexp_cuda_kernelERKNS_10TensorBaseES3_lENKUlvE_clEvENKUlvE2_clEvENKUlN3c107complexIfEES8_E_clES8_S8_@rel32@hi+12
	v_dual_mov_b32 v3, v25 :: v_dual_mov_b32 v0, v22
	v_dual_mov_b32 v1, v23 :: v_dual_mov_b32 v2, v24
	s_swappc_b64 s[30:31], s[26:27]
	v_dual_mov_b32 v2, v50 :: v_dual_mov_b32 v3, v51
	s_delay_alu instid0(VALU_DEP_2)
	v_dual_mov_b32 v85, v0 :: v_dual_mov_b32 v86, v1
	s_swappc_b64 s[30:31], s[26:27]
	v_dual_mov_b32 v2, v52 :: v_dual_mov_b32 v3, v53
	v_dual_mov_b32 v54, v0 :: v_dual_mov_b32 v55, v1
	s_swappc_b64 s[30:31], s[26:27]
	v_dual_mov_b32 v2, v46 :: v_dual_mov_b32 v3, v47
	;; [unrolled: 3-line block ×14, first 2 shown]
	s_mov_b32 s28, exec_lo
	ds_store_b64 v92, v[80:81]
	s_waitcnt lgkmcnt(0)
	s_waitcnt_vscnt null, 0x0
	s_barrier
	buffer_gl0_inv
	v_cmpx_gt_u32_e32 32, v84
	s_cbranch_execz .LBB330_44
; %bb.33:
	v_lshlrev_b32_e32 v0, 1, v84
	s_delay_alu instid0(VALU_DEP_1) | instskip(NEXT) | instid1(VALU_DEP_1)
	v_and_b32_e32 v0, 0x1f8, v0
	v_lshl_or_b32 v109, v84, 6, v0
	ds_load_b64 v[82:83], v109
	ds_load_2addr_b64 v[87:90], v109 offset0:1 offset1:2
	s_waitcnt lgkmcnt(0)
	v_dual_mov_b32 v0, v82 :: v_dual_mov_b32 v3, v88
	v_mov_b32_e32 v1, v83
	v_mov_b32_e32 v2, v87
	s_swappc_b64 s[30:31], s[26:27]
	v_dual_mov_b32 v2, v89 :: v_dual_mov_b32 v3, v90
	s_swappc_b64 s[30:31], s[26:27]
	ds_load_2addr_b64 v[87:90], v109 offset0:3 offset1:4
	s_waitcnt lgkmcnt(0)
	v_dual_mov_b32 v2, v87 :: v_dual_mov_b32 v3, v88
	s_swappc_b64 s[30:31], s[26:27]
	v_dual_mov_b32 v2, v89 :: v_dual_mov_b32 v3, v90
	s_swappc_b64 s[30:31], s[26:27]
	ds_load_2addr_b64 v[87:90], v109 offset0:5 offset1:6
	s_waitcnt lgkmcnt(0)
	v_dual_mov_b32 v2, v87 :: v_dual_mov_b32 v3, v88
	s_swappc_b64 s[30:31], s[26:27]
	v_dual_mov_b32 v2, v89 :: v_dual_mov_b32 v3, v90
	s_swappc_b64 s[30:31], s[26:27]
	ds_load_b64 v[2:3], v109 offset:56
	s_swappc_b64 s[30:31], s[26:27]
	v_dual_mov_b32 v2, v0 :: v_dual_mov_b32 v3, v1
	v_mbcnt_lo_u32_b32 v87, -1, 0
	s_mov_b32 s26, exec_lo
	s_delay_alu instid0(VALU_DEP_2) | instskip(NEXT) | instid1(VALU_DEP_3)
	v_mov_b32_dpp v0, v2 row_shr:1 row_mask:0xf bank_mask:0xf
	v_mov_b32_dpp v1, v3 row_shr:1 row_mask:0xf bank_mask:0xf
	s_delay_alu instid0(VALU_DEP_3) | instskip(NEXT) | instid1(VALU_DEP_1)
	v_and_b32_e32 v88, 15, v87
	v_cmpx_ne_u32_e32 0, v88
	s_cbranch_execz .LBB330_35
; %bb.34:
	s_getpc_b64 s[0:1]
	s_add_u32 s0, s0, _ZZZZN2at6native31launch_logcumsumexp_cuda_kernelERKNS_10TensorBaseES3_lENKUlvE_clEvENKUlvE2_clEvENKUlN3c107complexIfEES8_E_clES8_S8_@rel32@lo+4
	s_addc_u32 s1, s1, _ZZZZN2at6native31launch_logcumsumexp_cuda_kernelERKNS_10TensorBaseES3_lENKUlvE_clEvENKUlvE2_clEvENKUlN3c107complexIfEES8_E_clES8_S8_@rel32@hi+12
	s_delay_alu instid0(SALU_CYCLE_1)
	s_swappc_b64 s[30:31], s[0:1]
	v_dual_mov_b32 v2, v0 :: v_dual_mov_b32 v3, v1
.LBB330_35:
	s_or_b32 exec_lo, exec_lo, s26
	s_delay_alu instid0(VALU_DEP_1) | instskip(NEXT) | instid1(VALU_DEP_2)
	v_mov_b32_dpp v0, v2 row_shr:2 row_mask:0xf bank_mask:0xf
	v_mov_b32_dpp v1, v3 row_shr:2 row_mask:0xf bank_mask:0xf
	s_mov_b32 s26, exec_lo
	v_cmpx_lt_u32_e32 1, v88
	s_cbranch_execz .LBB330_37
; %bb.36:
	s_getpc_b64 s[0:1]
	s_add_u32 s0, s0, _ZZZZN2at6native31launch_logcumsumexp_cuda_kernelERKNS_10TensorBaseES3_lENKUlvE_clEvENKUlvE2_clEvENKUlN3c107complexIfEES8_E_clES8_S8_@rel32@lo+4
	s_addc_u32 s1, s1, _ZZZZN2at6native31launch_logcumsumexp_cuda_kernelERKNS_10TensorBaseES3_lENKUlvE_clEvENKUlvE2_clEvENKUlN3c107complexIfEES8_E_clES8_S8_@rel32@hi+12
	s_delay_alu instid0(SALU_CYCLE_1)
	s_swappc_b64 s[30:31], s[0:1]
	v_dual_mov_b32 v2, v0 :: v_dual_mov_b32 v3, v1
.LBB330_37:
	s_or_b32 exec_lo, exec_lo, s26
	s_delay_alu instid0(VALU_DEP_1) | instskip(NEXT) | instid1(VALU_DEP_2)
	v_mov_b32_dpp v0, v2 row_shr:4 row_mask:0xf bank_mask:0xf
	v_mov_b32_dpp v1, v3 row_shr:4 row_mask:0xf bank_mask:0xf
	s_mov_b32 s26, exec_lo
	v_cmpx_lt_u32_e32 3, v88
	;; [unrolled: 15-line block ×3, first 2 shown]
	s_cbranch_execz .LBB330_41
; %bb.40:
	s_getpc_b64 s[0:1]
	s_add_u32 s0, s0, _ZZZZN2at6native31launch_logcumsumexp_cuda_kernelERKNS_10TensorBaseES3_lENKUlvE_clEvENKUlvE2_clEvENKUlN3c107complexIfEES8_E_clES8_S8_@rel32@lo+4
	s_addc_u32 s1, s1, _ZZZZN2at6native31launch_logcumsumexp_cuda_kernelERKNS_10TensorBaseES3_lENKUlvE_clEvENKUlvE2_clEvENKUlN3c107complexIfEES8_E_clES8_S8_@rel32@hi+12
	s_delay_alu instid0(SALU_CYCLE_1)
	s_swappc_b64 s[30:31], s[0:1]
	v_dual_mov_b32 v2, v0 :: v_dual_mov_b32 v3, v1
.LBB330_41:
	s_or_b32 exec_lo, exec_lo, s26
	ds_swizzle_b32 v0, v2 offset:swizzle(BROADCAST,32,15)
	ds_swizzle_b32 v1, v3 offset:swizzle(BROADCAST,32,15)
	v_and_b32_e32 v4, 16, v87
	s_mov_b32 s26, exec_lo
	s_delay_alu instid0(VALU_DEP_1)
	v_cmpx_ne_u32_e32 0, v4
	s_cbranch_execz .LBB330_43
; %bb.42:
	s_getpc_b64 s[0:1]
	s_add_u32 s0, s0, _ZZZZN2at6native31launch_logcumsumexp_cuda_kernelERKNS_10TensorBaseES3_lENKUlvE_clEvENKUlvE2_clEvENKUlN3c107complexIfEES8_E_clES8_S8_@rel32@lo+4
	s_addc_u32 s1, s1, _ZZZZN2at6native31launch_logcumsumexp_cuda_kernelERKNS_10TensorBaseES3_lENKUlvE_clEvENKUlvE2_clEvENKUlN3c107complexIfEES8_E_clES8_S8_@rel32@hi+12
	s_delay_alu instid0(SALU_CYCLE_1)
	s_swappc_b64 s[30:31], s[0:1]
	v_dual_mov_b32 v2, v0 :: v_dual_mov_b32 v3, v1
.LBB330_43:
	s_or_b32 exec_lo, exec_lo, s26
	s_waitcnt lgkmcnt(1)
	v_add_nc_u32_e32 v0, -1, v87
	s_getpc_b64 s[26:27]
	s_add_u32 s26, s26, _ZZZZN2at6native31launch_logcumsumexp_cuda_kernelERKNS_10TensorBaseES3_lENKUlvE_clEvENKUlvE2_clEvENKUlN3c107complexIfEES8_E_clES8_S8_@rel32@lo+4
	s_addc_u32 s27, s27, _ZZZZN2at6native31launch_logcumsumexp_cuda_kernelERKNS_10TensorBaseES3_lENKUlvE_clEvENKUlvE2_clEvENKUlN3c107complexIfEES8_E_clES8_S8_@rel32@hi+12
	s_delay_alu instid0(VALU_DEP_1) | instskip(SKIP_2) | instid1(VALU_DEP_1)
	v_cmp_gt_i32_e32 vcc_lo, 0, v0
	v_cndmask_b32_e32 v0, v0, v87, vcc_lo
	s_waitcnt lgkmcnt(0)
	v_lshlrev_b32_e32 v1, 2, v0
	ds_bpermute_b32 v0, v1, v2
	v_mov_b32_e32 v2, v82
	ds_bpermute_b32 v1, v1, v3
	v_mov_b32_e32 v3, v83
	s_swappc_b64 s[30:31], s[26:27]
	v_cmp_eq_u32_e32 vcc_lo, 0, v84
	; wave barrier
	v_dual_cndmask_b32 v0, v0, v80 :: v_dual_cndmask_b32 v1, v1, v81
	ds_store_b64 v109, v[0:1]
	; wave barrier
	ds_load_2addr_b64 v[87:90], v109 offset0:1 offset1:2
	s_waitcnt lgkmcnt(0)
	v_dual_mov_b32 v2, v87 :: v_dual_mov_b32 v3, v88
	s_swappc_b64 s[30:31], s[26:27]
	v_dual_mov_b32 v2, v89 :: v_dual_mov_b32 v3, v90
	v_dual_mov_b32 v82, v0 :: v_dual_mov_b32 v83, v1
	s_swappc_b64 s[30:31], s[26:27]
	ds_load_2addr_b64 v[87:90], v109 offset0:3 offset1:4
	ds_store_2addr_b64 v109, v[82:83], v[0:1] offset0:1 offset1:2
	s_waitcnt lgkmcnt(1)
	v_dual_mov_b32 v2, v87 :: v_dual_mov_b32 v3, v88
	s_swappc_b64 s[30:31], s[26:27]
	v_dual_mov_b32 v2, v89 :: v_dual_mov_b32 v3, v90
	v_dual_mov_b32 v82, v0 :: v_dual_mov_b32 v83, v1
	s_swappc_b64 s[30:31], s[26:27]
	ds_load_2addr_b64 v[87:90], v109 offset0:5 offset1:6
	ds_store_2addr_b64 v109, v[82:83], v[0:1] offset0:3 offset1:4
	s_waitcnt lgkmcnt(1)
	v_dual_mov_b32 v2, v87 :: v_dual_mov_b32 v3, v88
	s_swappc_b64 s[30:31], s[26:27]
	v_dual_mov_b32 v2, v89 :: v_dual_mov_b32 v3, v90
	v_dual_mov_b32 v82, v0 :: v_dual_mov_b32 v83, v1
	s_swappc_b64 s[30:31], s[26:27]
	ds_load_b64 v[2:3], v109 offset:56
	ds_store_2addr_b64 v109, v[82:83], v[0:1] offset0:5 offset1:6
	s_swappc_b64 s[30:31], s[26:27]
	ds_store_b64 v109, v[0:1] offset:56
.LBB330_44:
	s_or_b32 exec_lo, exec_lo, s28
	v_cmp_ne_u32_e32 vcc_lo, 0, v84
	v_dual_mov_b32 v1, v81 :: v_dual_mov_b32 v0, v80
	s_waitcnt lgkmcnt(0)
	s_waitcnt_vscnt null, 0x0
	s_barrier
	buffer_gl0_inv
	s_and_saveexec_b32 s0, vcc_lo
	s_cbranch_execz .LBB330_46
; %bb.45:
	v_add_nc_u32_e32 v0, -1, v84
	s_delay_alu instid0(VALU_DEP_1) | instskip(NEXT) | instid1(VALU_DEP_1)
	v_lshrrev_b32_e32 v1, 5, v0
	v_add_lshl_u32 v0, v1, v0, 3
	ds_load_b64 v[0:1], v0
.LBB330_46:
	s_or_b32 exec_lo, exec_lo, s0
	s_and_saveexec_b32 s28, vcc_lo
	s_cbranch_execz .LBB330_48
; %bb.47:
	v_dual_mov_b32 v2, v22 :: v_dual_mov_b32 v3, v23
	s_getpc_b64 s[26:27]
	s_add_u32 s26, s26, _ZZZZN2at6native31launch_logcumsumexp_cuda_kernelERKNS_10TensorBaseES3_lENKUlvE_clEvENKUlvE2_clEvENKUlN3c107complexIfEES8_E_clES8_S8_@rel32@lo+4
	s_addc_u32 s27, s27, _ZZZZN2at6native31launch_logcumsumexp_cuda_kernelERKNS_10TensorBaseES3_lENKUlvE_clEvENKUlvE2_clEvENKUlN3c107complexIfEES8_E_clES8_S8_@rel32@hi+12
	s_delay_alu instid0(SALU_CYCLE_1)
	s_swappc_b64 s[30:31], s[26:27]
	v_dual_mov_b32 v2, v24 :: v_dual_mov_b32 v3, v25
	v_dual_mov_b32 v22, v0 :: v_dual_mov_b32 v23, v1
	;;#ASMSTART
	;;#ASMEND
	s_swappc_b64 s[30:31], s[26:27]
	v_dual_mov_b32 v2, v50 :: v_dual_mov_b32 v3, v51
	v_dual_mov_b32 v85, v0 :: v_dual_mov_b32 v86, v1
	s_swappc_b64 s[30:31], s[26:27]
	v_dual_mov_b32 v2, v52 :: v_dual_mov_b32 v3, v53
	v_dual_mov_b32 v54, v0 :: v_dual_mov_b32 v55, v1
	s_swappc_b64 s[30:31], s[26:27]
	v_dual_mov_b32 v2, v46 :: v_dual_mov_b32 v3, v47
	v_dual_mov_b32 v56, v0 :: v_dual_mov_b32 v57, v1
	s_swappc_b64 s[30:31], s[26:27]
	v_dual_mov_b32 v2, v48 :: v_dual_mov_b32 v3, v49
	v_dual_mov_b32 v58, v0 :: v_dual_mov_b32 v59, v1
	s_swappc_b64 s[30:31], s[26:27]
	v_dual_mov_b32 v2, v42 :: v_dual_mov_b32 v3, v43
	v_dual_mov_b32 v60, v0 :: v_dual_mov_b32 v61, v1
	s_swappc_b64 s[30:31], s[26:27]
	v_dual_mov_b32 v2, v44 :: v_dual_mov_b32 v3, v45
	v_dual_mov_b32 v62, v0 :: v_dual_mov_b32 v63, v1
	s_swappc_b64 s[30:31], s[26:27]
	v_dual_mov_b32 v2, v38 :: v_dual_mov_b32 v3, v39
	v_dual_mov_b32 v64, v0 :: v_dual_mov_b32 v65, v1
	s_swappc_b64 s[30:31], s[26:27]
	v_dual_mov_b32 v2, v40 :: v_dual_mov_b32 v3, v41
	v_dual_mov_b32 v66, v0 :: v_dual_mov_b32 v67, v1
	s_swappc_b64 s[30:31], s[26:27]
	v_dual_mov_b32 v2, v34 :: v_dual_mov_b32 v3, v35
	v_dual_mov_b32 v68, v0 :: v_dual_mov_b32 v69, v1
	s_swappc_b64 s[30:31], s[26:27]
	v_dual_mov_b32 v2, v36 :: v_dual_mov_b32 v3, v37
	v_dual_mov_b32 v70, v0 :: v_dual_mov_b32 v71, v1
	s_swappc_b64 s[30:31], s[26:27]
	v_dual_mov_b32 v2, v30 :: v_dual_mov_b32 v3, v31
	v_dual_mov_b32 v72, v0 :: v_dual_mov_b32 v73, v1
	s_swappc_b64 s[30:31], s[26:27]
	v_dual_mov_b32 v2, v32 :: v_dual_mov_b32 v3, v33
	v_dual_mov_b32 v74, v0 :: v_dual_mov_b32 v75, v1
	s_swappc_b64 s[30:31], s[26:27]
	v_dual_mov_b32 v2, v26 :: v_dual_mov_b32 v3, v27
	v_dual_mov_b32 v76, v0 :: v_dual_mov_b32 v77, v1
	s_swappc_b64 s[30:31], s[26:27]
	v_dual_mov_b32 v2, v28 :: v_dual_mov_b32 v3, v29
	v_dual_mov_b32 v78, v0 :: v_dual_mov_b32 v79, v1
	s_swappc_b64 s[30:31], s[26:27]
	v_dual_mov_b32 v80, v0 :: v_dual_mov_b32 v81, v1
.LBB330_48:
	s_or_b32 exec_lo, exec_lo, s28
	s_waitcnt lgkmcnt(0)
	v_dual_mov_b32 v0, v85 :: v_dual_mov_b32 v1, v86
	s_waitcnt_vscnt null, 0x0
	s_barrier
	buffer_gl0_inv
	ds_store_2addr_b64 v108, v[22:23], v[0:1] offset1:1
	ds_store_2addr_b64 v108, v[54:55], v[56:57] offset0:2 offset1:3
	ds_store_2addr_b64 v108, v[58:59], v[60:61] offset0:4 offset1:5
	;; [unrolled: 1-line block ×7, first 2 shown]
	s_waitcnt lgkmcnt(0)
	s_barrier
	buffer_gl0_inv
	ds_load_b64 v[30:31], v93 offset:2048
	ds_load_b64 v[28:29], v94 offset:4096
	;; [unrolled: 1-line block ×15, first 2 shown]
	v_add_co_u32 v2, s0, s24, v91
	s_delay_alu instid0(VALU_DEP_1)
	v_add_co_ci_u32_e64 v3, null, s25, 0, s0
	s_and_saveexec_b32 s0, s8
	s_cbranch_execnz .LBB330_65
; %bb.49:
	s_or_b32 exec_lo, exec_lo, s0
	s_and_saveexec_b32 s0, s9
	s_cbranch_execnz .LBB330_66
.LBB330_50:
	s_or_b32 exec_lo, exec_lo, s0
	s_and_saveexec_b32 s0, s10
	s_cbranch_execnz .LBB330_67
.LBB330_51:
	s_or_b32 exec_lo, exec_lo, s0
	s_and_saveexec_b32 s0, s11
	s_cbranch_execnz .LBB330_68
.LBB330_52:
	s_or_b32 exec_lo, exec_lo, s0
	s_and_saveexec_b32 s0, s12
	s_cbranch_execnz .LBB330_69
.LBB330_53:
	s_or_b32 exec_lo, exec_lo, s0
	s_and_saveexec_b32 s0, s13
	s_cbranch_execnz .LBB330_70
.LBB330_54:
	s_or_b32 exec_lo, exec_lo, s0
	s_and_saveexec_b32 s0, s14
	s_cbranch_execnz .LBB330_71
.LBB330_55:
	s_or_b32 exec_lo, exec_lo, s0
	s_and_saveexec_b32 s0, s15
	s_cbranch_execnz .LBB330_72
.LBB330_56:
	s_or_b32 exec_lo, exec_lo, s0
	s_and_saveexec_b32 s0, s16
	s_cbranch_execnz .LBB330_73
.LBB330_57:
	s_or_b32 exec_lo, exec_lo, s0
	s_and_saveexec_b32 s0, s17
	s_cbranch_execnz .LBB330_74
.LBB330_58:
	s_or_b32 exec_lo, exec_lo, s0
	s_and_saveexec_b32 s0, s18
	s_cbranch_execnz .LBB330_75
.LBB330_59:
	s_or_b32 exec_lo, exec_lo, s0
	s_and_saveexec_b32 s0, s19
	s_cbranch_execnz .LBB330_76
.LBB330_60:
	s_or_b32 exec_lo, exec_lo, s0
	s_and_saveexec_b32 s0, s20
	s_cbranch_execnz .LBB330_77
.LBB330_61:
	s_or_b32 exec_lo, exec_lo, s0
	s_and_saveexec_b32 s0, s21
	s_cbranch_execnz .LBB330_78
.LBB330_62:
	s_or_b32 exec_lo, exec_lo, s0
	s_and_saveexec_b32 s0, s22
	s_cbranch_execnz .LBB330_79
.LBB330_63:
	s_or_b32 exec_lo, exec_lo, s0
	s_and_saveexec_b32 s0, s23
	s_cbranch_execnz .LBB330_80
.LBB330_64:
	s_nop 0
	s_sendmsg sendmsg(MSG_DEALLOC_VGPRS)
	s_endpgm
.LBB330_65:
	ds_load_b64 v[32:33], v92
	s_waitcnt lgkmcnt(0)
	global_store_b64 v[2:3], v[32:33], off
	s_or_b32 exec_lo, exec_lo, s0
	s_and_saveexec_b32 s0, s9
	s_cbranch_execz .LBB330_50
.LBB330_66:
	s_waitcnt lgkmcnt(14)
	global_store_b64 v[2:3], v[30:31], off offset:2048
	s_or_b32 exec_lo, exec_lo, s0
	s_and_saveexec_b32 s0, s10
	s_cbranch_execz .LBB330_51
.LBB330_67:
	s_waitcnt lgkmcnt(14)
	v_add_co_u32 v30, vcc_lo, 0x1000, v2
	v_add_co_ci_u32_e32 v31, vcc_lo, 0, v3, vcc_lo
	s_waitcnt lgkmcnt(13)
	global_store_b64 v[30:31], v[28:29], off
	s_or_b32 exec_lo, exec_lo, s0
	s_and_saveexec_b32 s0, s11
	s_cbranch_execz .LBB330_52
.LBB330_68:
	s_waitcnt lgkmcnt(13)
	v_add_co_u32 v28, vcc_lo, 0x1000, v2
	v_add_co_ci_u32_e32 v29, vcc_lo, 0, v3, vcc_lo
	s_waitcnt lgkmcnt(12)
	global_store_b64 v[28:29], v[26:27], off offset:2048
	s_or_b32 exec_lo, exec_lo, s0
	s_and_saveexec_b32 s0, s12
	s_cbranch_execz .LBB330_53
.LBB330_69:
	s_waitcnt lgkmcnt(12)
	v_add_co_u32 v26, vcc_lo, 0x2000, v2
	v_add_co_ci_u32_e32 v27, vcc_lo, 0, v3, vcc_lo
	s_waitcnt lgkmcnt(11)
	global_store_b64 v[26:27], v[24:25], off
	s_or_b32 exec_lo, exec_lo, s0
	s_and_saveexec_b32 s0, s13
	s_cbranch_execz .LBB330_54
.LBB330_70:
	s_waitcnt lgkmcnt(11)
	v_add_co_u32 v24, vcc_lo, 0x2000, v2
	v_add_co_ci_u32_e32 v25, vcc_lo, 0, v3, vcc_lo
	s_waitcnt lgkmcnt(10)
	global_store_b64 v[24:25], v[22:23], off offset:2048
	s_or_b32 exec_lo, exec_lo, s0
	s_and_saveexec_b32 s0, s14
	s_cbranch_execz .LBB330_55
.LBB330_71:
	s_waitcnt lgkmcnt(10)
	v_add_co_u32 v22, vcc_lo, 0x3000, v2
	v_add_co_ci_u32_e32 v23, vcc_lo, 0, v3, vcc_lo
	s_waitcnt lgkmcnt(9)
	global_store_b64 v[22:23], v[20:21], off
	s_or_b32 exec_lo, exec_lo, s0
	s_and_saveexec_b32 s0, s15
	s_cbranch_execz .LBB330_56
.LBB330_72:
	s_waitcnt lgkmcnt(9)
	v_add_co_u32 v20, vcc_lo, 0x3000, v2
	v_add_co_ci_u32_e32 v21, vcc_lo, 0, v3, vcc_lo
	s_waitcnt lgkmcnt(8)
	global_store_b64 v[20:21], v[18:19], off offset:2048
	s_or_b32 exec_lo, exec_lo, s0
	s_and_saveexec_b32 s0, s16
	s_cbranch_execz .LBB330_57
.LBB330_73:
	s_waitcnt lgkmcnt(8)
	v_add_co_u32 v18, vcc_lo, 0x4000, v2
	v_add_co_ci_u32_e32 v19, vcc_lo, 0, v3, vcc_lo
	s_waitcnt lgkmcnt(7)
	global_store_b64 v[18:19], v[16:17], off
	s_or_b32 exec_lo, exec_lo, s0
	s_and_saveexec_b32 s0, s17
	s_cbranch_execz .LBB330_58
.LBB330_74:
	s_waitcnt lgkmcnt(7)
	v_add_co_u32 v16, vcc_lo, 0x4000, v2
	v_add_co_ci_u32_e32 v17, vcc_lo, 0, v3, vcc_lo
	s_waitcnt lgkmcnt(6)
	global_store_b64 v[16:17], v[14:15], off offset:2048
	s_or_b32 exec_lo, exec_lo, s0
	s_and_saveexec_b32 s0, s18
	s_cbranch_execz .LBB330_59
.LBB330_75:
	s_waitcnt lgkmcnt(6)
	v_add_co_u32 v14, vcc_lo, 0x5000, v2
	v_add_co_ci_u32_e32 v15, vcc_lo, 0, v3, vcc_lo
	s_waitcnt lgkmcnt(5)
	global_store_b64 v[14:15], v[12:13], off
	s_or_b32 exec_lo, exec_lo, s0
	s_and_saveexec_b32 s0, s19
	s_cbranch_execz .LBB330_60
.LBB330_76:
	s_waitcnt lgkmcnt(5)
	v_add_co_u32 v12, vcc_lo, 0x5000, v2
	v_add_co_ci_u32_e32 v13, vcc_lo, 0, v3, vcc_lo
	s_waitcnt lgkmcnt(4)
	global_store_b64 v[12:13], v[10:11], off offset:2048
	s_or_b32 exec_lo, exec_lo, s0
	s_and_saveexec_b32 s0, s20
	s_cbranch_execz .LBB330_61
.LBB330_77:
	s_waitcnt lgkmcnt(4)
	v_add_co_u32 v10, vcc_lo, 0x6000, v2
	v_add_co_ci_u32_e32 v11, vcc_lo, 0, v3, vcc_lo
	s_waitcnt lgkmcnt(3)
	global_store_b64 v[10:11], v[8:9], off
	s_or_b32 exec_lo, exec_lo, s0
	s_and_saveexec_b32 s0, s21
	s_cbranch_execz .LBB330_62
.LBB330_78:
	s_waitcnt lgkmcnt(3)
	v_add_co_u32 v8, vcc_lo, 0x6000, v2
	v_add_co_ci_u32_e32 v9, vcc_lo, 0, v3, vcc_lo
	s_waitcnt lgkmcnt(2)
	global_store_b64 v[8:9], v[6:7], off offset:2048
	s_or_b32 exec_lo, exec_lo, s0
	s_and_saveexec_b32 s0, s22
	s_cbranch_execz .LBB330_63
.LBB330_79:
	s_waitcnt lgkmcnt(2)
	v_add_co_u32 v6, vcc_lo, 0x7000, v2
	v_add_co_ci_u32_e32 v7, vcc_lo, 0, v3, vcc_lo
	s_waitcnt lgkmcnt(1)
	global_store_b64 v[6:7], v[4:5], off
	s_or_b32 exec_lo, exec_lo, s0
	s_and_saveexec_b32 s0, s23
	s_cbranch_execz .LBB330_64
.LBB330_80:
	v_add_co_u32 v2, vcc_lo, 0x7000, v2
	v_add_co_ci_u32_e32 v3, vcc_lo, 0, v3, vcc_lo
	s_waitcnt lgkmcnt(0)
	global_store_b64 v[2:3], v[0:1], off offset:2048
	s_nop 0
	s_sendmsg sendmsg(MSG_DEALLOC_VGPRS)
	s_endpgm
	.section	.rodata,"a",@progbits
	.p2align	6, 0x0
	.amdhsa_kernel _ZN7rocprim17ROCPRIM_400000_NS6detail17trampoline_kernelINS0_14default_configENS1_20scan_config_selectorIN3c107complexIfEEEEZZNS1_9scan_implILNS1_25lookback_scan_determinismE0ELb0ELb0ES3_PKS7_PS7_S7_ZZZN2at6native31launch_logcumsumexp_cuda_kernelERKNSE_10TensorBaseESI_lENKUlvE_clEvENKUlvE2_clEvEUlS7_S7_E_S7_EEDaPvRmT3_T4_T5_mT6_P12ihipStream_tbENKUlT_T0_E_clISt17integral_constantIbLb1EESY_IbLb0EEEEDaSU_SV_EUlSU_E0_NS1_11comp_targetILNS1_3genE9ELNS1_11target_archE1100ELNS1_3gpuE3ELNS1_3repE0EEENS1_30default_config_static_selectorELNS0_4arch9wavefront6targetE0EEEvT1_
		.amdhsa_group_segment_fixed_size 33792
		.amdhsa_private_segment_fixed_size 0
		.amdhsa_kernarg_size 40
		.amdhsa_user_sgpr_count 15
		.amdhsa_user_sgpr_dispatch_ptr 0
		.amdhsa_user_sgpr_queue_ptr 0
		.amdhsa_user_sgpr_kernarg_segment_ptr 1
		.amdhsa_user_sgpr_dispatch_id 0
		.amdhsa_user_sgpr_private_segment_size 0
		.amdhsa_wavefront_size32 1
		.amdhsa_uses_dynamic_stack 0
		.amdhsa_enable_private_segment 0
		.amdhsa_system_sgpr_workgroup_id_x 1
		.amdhsa_system_sgpr_workgroup_id_y 0
		.amdhsa_system_sgpr_workgroup_id_z 0
		.amdhsa_system_sgpr_workgroup_info 0
		.amdhsa_system_vgpr_workitem_id 0
		.amdhsa_next_free_vgpr 110
		.amdhsa_next_free_sgpr 33
		.amdhsa_reserve_vcc 1
		.amdhsa_float_round_mode_32 0
		.amdhsa_float_round_mode_16_64 0
		.amdhsa_float_denorm_mode_32 3
		.amdhsa_float_denorm_mode_16_64 3
		.amdhsa_dx10_clamp 1
		.amdhsa_ieee_mode 1
		.amdhsa_fp16_overflow 0
		.amdhsa_workgroup_processor_mode 1
		.amdhsa_memory_ordered 1
		.amdhsa_forward_progress 0
		.amdhsa_shared_vgpr_count 0
		.amdhsa_exception_fp_ieee_invalid_op 0
		.amdhsa_exception_fp_denorm_src 0
		.amdhsa_exception_fp_ieee_div_zero 0
		.amdhsa_exception_fp_ieee_overflow 0
		.amdhsa_exception_fp_ieee_underflow 0
		.amdhsa_exception_fp_ieee_inexact 0
		.amdhsa_exception_int_div_zero 0
	.end_amdhsa_kernel
	.section	.text._ZN7rocprim17ROCPRIM_400000_NS6detail17trampoline_kernelINS0_14default_configENS1_20scan_config_selectorIN3c107complexIfEEEEZZNS1_9scan_implILNS1_25lookback_scan_determinismE0ELb0ELb0ES3_PKS7_PS7_S7_ZZZN2at6native31launch_logcumsumexp_cuda_kernelERKNSE_10TensorBaseESI_lENKUlvE_clEvENKUlvE2_clEvEUlS7_S7_E_S7_EEDaPvRmT3_T4_T5_mT6_P12ihipStream_tbENKUlT_T0_E_clISt17integral_constantIbLb1EESY_IbLb0EEEEDaSU_SV_EUlSU_E0_NS1_11comp_targetILNS1_3genE9ELNS1_11target_archE1100ELNS1_3gpuE3ELNS1_3repE0EEENS1_30default_config_static_selectorELNS0_4arch9wavefront6targetE0EEEvT1_,"axG",@progbits,_ZN7rocprim17ROCPRIM_400000_NS6detail17trampoline_kernelINS0_14default_configENS1_20scan_config_selectorIN3c107complexIfEEEEZZNS1_9scan_implILNS1_25lookback_scan_determinismE0ELb0ELb0ES3_PKS7_PS7_S7_ZZZN2at6native31launch_logcumsumexp_cuda_kernelERKNSE_10TensorBaseESI_lENKUlvE_clEvENKUlvE2_clEvEUlS7_S7_E_S7_EEDaPvRmT3_T4_T5_mT6_P12ihipStream_tbENKUlT_T0_E_clISt17integral_constantIbLb1EESY_IbLb0EEEEDaSU_SV_EUlSU_E0_NS1_11comp_targetILNS1_3genE9ELNS1_11target_archE1100ELNS1_3gpuE3ELNS1_3repE0EEENS1_30default_config_static_selectorELNS0_4arch9wavefront6targetE0EEEvT1_,comdat
.Lfunc_end330:
	.size	_ZN7rocprim17ROCPRIM_400000_NS6detail17trampoline_kernelINS0_14default_configENS1_20scan_config_selectorIN3c107complexIfEEEEZZNS1_9scan_implILNS1_25lookback_scan_determinismE0ELb0ELb0ES3_PKS7_PS7_S7_ZZZN2at6native31launch_logcumsumexp_cuda_kernelERKNSE_10TensorBaseESI_lENKUlvE_clEvENKUlvE2_clEvEUlS7_S7_E_S7_EEDaPvRmT3_T4_T5_mT6_P12ihipStream_tbENKUlT_T0_E_clISt17integral_constantIbLb1EESY_IbLb0EEEEDaSU_SV_EUlSU_E0_NS1_11comp_targetILNS1_3genE9ELNS1_11target_archE1100ELNS1_3gpuE3ELNS1_3repE0EEENS1_30default_config_static_selectorELNS0_4arch9wavefront6targetE0EEEvT1_, .Lfunc_end330-_ZN7rocprim17ROCPRIM_400000_NS6detail17trampoline_kernelINS0_14default_configENS1_20scan_config_selectorIN3c107complexIfEEEEZZNS1_9scan_implILNS1_25lookback_scan_determinismE0ELb0ELb0ES3_PKS7_PS7_S7_ZZZN2at6native31launch_logcumsumexp_cuda_kernelERKNSE_10TensorBaseESI_lENKUlvE_clEvENKUlvE2_clEvEUlS7_S7_E_S7_EEDaPvRmT3_T4_T5_mT6_P12ihipStream_tbENKUlT_T0_E_clISt17integral_constantIbLb1EESY_IbLb0EEEEDaSU_SV_EUlSU_E0_NS1_11comp_targetILNS1_3genE9ELNS1_11target_archE1100ELNS1_3gpuE3ELNS1_3repE0EEENS1_30default_config_static_selectorELNS0_4arch9wavefront6targetE0EEEvT1_
                                        ; -- End function
	.section	.AMDGPU.csdata,"",@progbits
; Kernel info:
; codeLenInByte = 4096
; NumSgprs: 35
; NumVgprs: 110
; ScratchSize: 0
; MemoryBound: 0
; FloatMode: 240
; IeeeMode: 1
; LDSByteSize: 33792 bytes/workgroup (compile time only)
; SGPRBlocks: 4
; VGPRBlocks: 13
; NumSGPRsForWavesPerEU: 35
; NumVGPRsForWavesPerEU: 110
; Occupancy: 6
; WaveLimiterHint : 0
; COMPUTE_PGM_RSRC2:SCRATCH_EN: 0
; COMPUTE_PGM_RSRC2:USER_SGPR: 15
; COMPUTE_PGM_RSRC2:TRAP_HANDLER: 0
; COMPUTE_PGM_RSRC2:TGID_X_EN: 1
; COMPUTE_PGM_RSRC2:TGID_Y_EN: 0
; COMPUTE_PGM_RSRC2:TGID_Z_EN: 0
; COMPUTE_PGM_RSRC2:TIDIG_COMP_CNT: 0
	.section	.text._ZN7rocprim17ROCPRIM_400000_NS6detail17trampoline_kernelINS0_14default_configENS1_20scan_config_selectorIN3c107complexIfEEEEZZNS1_9scan_implILNS1_25lookback_scan_determinismE0ELb0ELb0ES3_PKS7_PS7_S7_ZZZN2at6native31launch_logcumsumexp_cuda_kernelERKNSE_10TensorBaseESI_lENKUlvE_clEvENKUlvE2_clEvEUlS7_S7_E_S7_EEDaPvRmT3_T4_T5_mT6_P12ihipStream_tbENKUlT_T0_E_clISt17integral_constantIbLb1EESY_IbLb0EEEEDaSU_SV_EUlSU_E0_NS1_11comp_targetILNS1_3genE8ELNS1_11target_archE1030ELNS1_3gpuE2ELNS1_3repE0EEENS1_30default_config_static_selectorELNS0_4arch9wavefront6targetE0EEEvT1_,"axG",@progbits,_ZN7rocprim17ROCPRIM_400000_NS6detail17trampoline_kernelINS0_14default_configENS1_20scan_config_selectorIN3c107complexIfEEEEZZNS1_9scan_implILNS1_25lookback_scan_determinismE0ELb0ELb0ES3_PKS7_PS7_S7_ZZZN2at6native31launch_logcumsumexp_cuda_kernelERKNSE_10TensorBaseESI_lENKUlvE_clEvENKUlvE2_clEvEUlS7_S7_E_S7_EEDaPvRmT3_T4_T5_mT6_P12ihipStream_tbENKUlT_T0_E_clISt17integral_constantIbLb1EESY_IbLb0EEEEDaSU_SV_EUlSU_E0_NS1_11comp_targetILNS1_3genE8ELNS1_11target_archE1030ELNS1_3gpuE2ELNS1_3repE0EEENS1_30default_config_static_selectorELNS0_4arch9wavefront6targetE0EEEvT1_,comdat
	.globl	_ZN7rocprim17ROCPRIM_400000_NS6detail17trampoline_kernelINS0_14default_configENS1_20scan_config_selectorIN3c107complexIfEEEEZZNS1_9scan_implILNS1_25lookback_scan_determinismE0ELb0ELb0ES3_PKS7_PS7_S7_ZZZN2at6native31launch_logcumsumexp_cuda_kernelERKNSE_10TensorBaseESI_lENKUlvE_clEvENKUlvE2_clEvEUlS7_S7_E_S7_EEDaPvRmT3_T4_T5_mT6_P12ihipStream_tbENKUlT_T0_E_clISt17integral_constantIbLb1EESY_IbLb0EEEEDaSU_SV_EUlSU_E0_NS1_11comp_targetILNS1_3genE8ELNS1_11target_archE1030ELNS1_3gpuE2ELNS1_3repE0EEENS1_30default_config_static_selectorELNS0_4arch9wavefront6targetE0EEEvT1_ ; -- Begin function _ZN7rocprim17ROCPRIM_400000_NS6detail17trampoline_kernelINS0_14default_configENS1_20scan_config_selectorIN3c107complexIfEEEEZZNS1_9scan_implILNS1_25lookback_scan_determinismE0ELb0ELb0ES3_PKS7_PS7_S7_ZZZN2at6native31launch_logcumsumexp_cuda_kernelERKNSE_10TensorBaseESI_lENKUlvE_clEvENKUlvE2_clEvEUlS7_S7_E_S7_EEDaPvRmT3_T4_T5_mT6_P12ihipStream_tbENKUlT_T0_E_clISt17integral_constantIbLb1EESY_IbLb0EEEEDaSU_SV_EUlSU_E0_NS1_11comp_targetILNS1_3genE8ELNS1_11target_archE1030ELNS1_3gpuE2ELNS1_3repE0EEENS1_30default_config_static_selectorELNS0_4arch9wavefront6targetE0EEEvT1_
	.p2align	8
	.type	_ZN7rocprim17ROCPRIM_400000_NS6detail17trampoline_kernelINS0_14default_configENS1_20scan_config_selectorIN3c107complexIfEEEEZZNS1_9scan_implILNS1_25lookback_scan_determinismE0ELb0ELb0ES3_PKS7_PS7_S7_ZZZN2at6native31launch_logcumsumexp_cuda_kernelERKNSE_10TensorBaseESI_lENKUlvE_clEvENKUlvE2_clEvEUlS7_S7_E_S7_EEDaPvRmT3_T4_T5_mT6_P12ihipStream_tbENKUlT_T0_E_clISt17integral_constantIbLb1EESY_IbLb0EEEEDaSU_SV_EUlSU_E0_NS1_11comp_targetILNS1_3genE8ELNS1_11target_archE1030ELNS1_3gpuE2ELNS1_3repE0EEENS1_30default_config_static_selectorELNS0_4arch9wavefront6targetE0EEEvT1_,@function
_ZN7rocprim17ROCPRIM_400000_NS6detail17trampoline_kernelINS0_14default_configENS1_20scan_config_selectorIN3c107complexIfEEEEZZNS1_9scan_implILNS1_25lookback_scan_determinismE0ELb0ELb0ES3_PKS7_PS7_S7_ZZZN2at6native31launch_logcumsumexp_cuda_kernelERKNSE_10TensorBaseESI_lENKUlvE_clEvENKUlvE2_clEvEUlS7_S7_E_S7_EEDaPvRmT3_T4_T5_mT6_P12ihipStream_tbENKUlT_T0_E_clISt17integral_constantIbLb1EESY_IbLb0EEEEDaSU_SV_EUlSU_E0_NS1_11comp_targetILNS1_3genE8ELNS1_11target_archE1030ELNS1_3gpuE2ELNS1_3repE0EEENS1_30default_config_static_selectorELNS0_4arch9wavefront6targetE0EEEvT1_: ; @_ZN7rocprim17ROCPRIM_400000_NS6detail17trampoline_kernelINS0_14default_configENS1_20scan_config_selectorIN3c107complexIfEEEEZZNS1_9scan_implILNS1_25lookback_scan_determinismE0ELb0ELb0ES3_PKS7_PS7_S7_ZZZN2at6native31launch_logcumsumexp_cuda_kernelERKNSE_10TensorBaseESI_lENKUlvE_clEvENKUlvE2_clEvEUlS7_S7_E_S7_EEDaPvRmT3_T4_T5_mT6_P12ihipStream_tbENKUlT_T0_E_clISt17integral_constantIbLb1EESY_IbLb0EEEEDaSU_SV_EUlSU_E0_NS1_11comp_targetILNS1_3genE8ELNS1_11target_archE1030ELNS1_3gpuE2ELNS1_3repE0EEENS1_30default_config_static_selectorELNS0_4arch9wavefront6targetE0EEEvT1_
; %bb.0:
	.section	.rodata,"a",@progbits
	.p2align	6, 0x0
	.amdhsa_kernel _ZN7rocprim17ROCPRIM_400000_NS6detail17trampoline_kernelINS0_14default_configENS1_20scan_config_selectorIN3c107complexIfEEEEZZNS1_9scan_implILNS1_25lookback_scan_determinismE0ELb0ELb0ES3_PKS7_PS7_S7_ZZZN2at6native31launch_logcumsumexp_cuda_kernelERKNSE_10TensorBaseESI_lENKUlvE_clEvENKUlvE2_clEvEUlS7_S7_E_S7_EEDaPvRmT3_T4_T5_mT6_P12ihipStream_tbENKUlT_T0_E_clISt17integral_constantIbLb1EESY_IbLb0EEEEDaSU_SV_EUlSU_E0_NS1_11comp_targetILNS1_3genE8ELNS1_11target_archE1030ELNS1_3gpuE2ELNS1_3repE0EEENS1_30default_config_static_selectorELNS0_4arch9wavefront6targetE0EEEvT1_
		.amdhsa_group_segment_fixed_size 0
		.amdhsa_private_segment_fixed_size 0
		.amdhsa_kernarg_size 40
		.amdhsa_user_sgpr_count 15
		.amdhsa_user_sgpr_dispatch_ptr 0
		.amdhsa_user_sgpr_queue_ptr 0
		.amdhsa_user_sgpr_kernarg_segment_ptr 1
		.amdhsa_user_sgpr_dispatch_id 0
		.amdhsa_user_sgpr_private_segment_size 0
		.amdhsa_wavefront_size32 1
		.amdhsa_uses_dynamic_stack 0
		.amdhsa_enable_private_segment 0
		.amdhsa_system_sgpr_workgroup_id_x 1
		.amdhsa_system_sgpr_workgroup_id_y 0
		.amdhsa_system_sgpr_workgroup_id_z 0
		.amdhsa_system_sgpr_workgroup_info 0
		.amdhsa_system_vgpr_workitem_id 0
		.amdhsa_next_free_vgpr 1
		.amdhsa_next_free_sgpr 1
		.amdhsa_reserve_vcc 0
		.amdhsa_float_round_mode_32 0
		.amdhsa_float_round_mode_16_64 0
		.amdhsa_float_denorm_mode_32 3
		.amdhsa_float_denorm_mode_16_64 3
		.amdhsa_dx10_clamp 1
		.amdhsa_ieee_mode 1
		.amdhsa_fp16_overflow 0
		.amdhsa_workgroup_processor_mode 1
		.amdhsa_memory_ordered 1
		.amdhsa_forward_progress 0
		.amdhsa_shared_vgpr_count 0
		.amdhsa_exception_fp_ieee_invalid_op 0
		.amdhsa_exception_fp_denorm_src 0
		.amdhsa_exception_fp_ieee_div_zero 0
		.amdhsa_exception_fp_ieee_overflow 0
		.amdhsa_exception_fp_ieee_underflow 0
		.amdhsa_exception_fp_ieee_inexact 0
		.amdhsa_exception_int_div_zero 0
	.end_amdhsa_kernel
	.section	.text._ZN7rocprim17ROCPRIM_400000_NS6detail17trampoline_kernelINS0_14default_configENS1_20scan_config_selectorIN3c107complexIfEEEEZZNS1_9scan_implILNS1_25lookback_scan_determinismE0ELb0ELb0ES3_PKS7_PS7_S7_ZZZN2at6native31launch_logcumsumexp_cuda_kernelERKNSE_10TensorBaseESI_lENKUlvE_clEvENKUlvE2_clEvEUlS7_S7_E_S7_EEDaPvRmT3_T4_T5_mT6_P12ihipStream_tbENKUlT_T0_E_clISt17integral_constantIbLb1EESY_IbLb0EEEEDaSU_SV_EUlSU_E0_NS1_11comp_targetILNS1_3genE8ELNS1_11target_archE1030ELNS1_3gpuE2ELNS1_3repE0EEENS1_30default_config_static_selectorELNS0_4arch9wavefront6targetE0EEEvT1_,"axG",@progbits,_ZN7rocprim17ROCPRIM_400000_NS6detail17trampoline_kernelINS0_14default_configENS1_20scan_config_selectorIN3c107complexIfEEEEZZNS1_9scan_implILNS1_25lookback_scan_determinismE0ELb0ELb0ES3_PKS7_PS7_S7_ZZZN2at6native31launch_logcumsumexp_cuda_kernelERKNSE_10TensorBaseESI_lENKUlvE_clEvENKUlvE2_clEvEUlS7_S7_E_S7_EEDaPvRmT3_T4_T5_mT6_P12ihipStream_tbENKUlT_T0_E_clISt17integral_constantIbLb1EESY_IbLb0EEEEDaSU_SV_EUlSU_E0_NS1_11comp_targetILNS1_3genE8ELNS1_11target_archE1030ELNS1_3gpuE2ELNS1_3repE0EEENS1_30default_config_static_selectorELNS0_4arch9wavefront6targetE0EEEvT1_,comdat
.Lfunc_end331:
	.size	_ZN7rocprim17ROCPRIM_400000_NS6detail17trampoline_kernelINS0_14default_configENS1_20scan_config_selectorIN3c107complexIfEEEEZZNS1_9scan_implILNS1_25lookback_scan_determinismE0ELb0ELb0ES3_PKS7_PS7_S7_ZZZN2at6native31launch_logcumsumexp_cuda_kernelERKNSE_10TensorBaseESI_lENKUlvE_clEvENKUlvE2_clEvEUlS7_S7_E_S7_EEDaPvRmT3_T4_T5_mT6_P12ihipStream_tbENKUlT_T0_E_clISt17integral_constantIbLb1EESY_IbLb0EEEEDaSU_SV_EUlSU_E0_NS1_11comp_targetILNS1_3genE8ELNS1_11target_archE1030ELNS1_3gpuE2ELNS1_3repE0EEENS1_30default_config_static_selectorELNS0_4arch9wavefront6targetE0EEEvT1_, .Lfunc_end331-_ZN7rocprim17ROCPRIM_400000_NS6detail17trampoline_kernelINS0_14default_configENS1_20scan_config_selectorIN3c107complexIfEEEEZZNS1_9scan_implILNS1_25lookback_scan_determinismE0ELb0ELb0ES3_PKS7_PS7_S7_ZZZN2at6native31launch_logcumsumexp_cuda_kernelERKNSE_10TensorBaseESI_lENKUlvE_clEvENKUlvE2_clEvEUlS7_S7_E_S7_EEDaPvRmT3_T4_T5_mT6_P12ihipStream_tbENKUlT_T0_E_clISt17integral_constantIbLb1EESY_IbLb0EEEEDaSU_SV_EUlSU_E0_NS1_11comp_targetILNS1_3genE8ELNS1_11target_archE1030ELNS1_3gpuE2ELNS1_3repE0EEENS1_30default_config_static_selectorELNS0_4arch9wavefront6targetE0EEEvT1_
                                        ; -- End function
	.section	.AMDGPU.csdata,"",@progbits
; Kernel info:
; codeLenInByte = 0
; NumSgprs: 0
; NumVgprs: 0
; ScratchSize: 0
; MemoryBound: 0
; FloatMode: 240
; IeeeMode: 1
; LDSByteSize: 0 bytes/workgroup (compile time only)
; SGPRBlocks: 0
; VGPRBlocks: 0
; NumSGPRsForWavesPerEU: 1
; NumVGPRsForWavesPerEU: 1
; Occupancy: 16
; WaveLimiterHint : 0
; COMPUTE_PGM_RSRC2:SCRATCH_EN: 0
; COMPUTE_PGM_RSRC2:USER_SGPR: 15
; COMPUTE_PGM_RSRC2:TRAP_HANDLER: 0
; COMPUTE_PGM_RSRC2:TGID_X_EN: 1
; COMPUTE_PGM_RSRC2:TGID_Y_EN: 0
; COMPUTE_PGM_RSRC2:TGID_Z_EN: 0
; COMPUTE_PGM_RSRC2:TIDIG_COMP_CNT: 0
	.section	.text._ZN7rocprim17ROCPRIM_400000_NS6detail31init_lookback_scan_state_kernelINS1_19lookback_scan_stateIN3c107complexIfEELb0ELb1EEENS1_16block_id_wrapperIjLb1EEEEEvT_jT0_jPNSA_10value_typeE,"axG",@progbits,_ZN7rocprim17ROCPRIM_400000_NS6detail31init_lookback_scan_state_kernelINS1_19lookback_scan_stateIN3c107complexIfEELb0ELb1EEENS1_16block_id_wrapperIjLb1EEEEEvT_jT0_jPNSA_10value_typeE,comdat
	.protected	_ZN7rocprim17ROCPRIM_400000_NS6detail31init_lookback_scan_state_kernelINS1_19lookback_scan_stateIN3c107complexIfEELb0ELb1EEENS1_16block_id_wrapperIjLb1EEEEEvT_jT0_jPNSA_10value_typeE ; -- Begin function _ZN7rocprim17ROCPRIM_400000_NS6detail31init_lookback_scan_state_kernelINS1_19lookback_scan_stateIN3c107complexIfEELb0ELb1EEENS1_16block_id_wrapperIjLb1EEEEEvT_jT0_jPNSA_10value_typeE
	.globl	_ZN7rocprim17ROCPRIM_400000_NS6detail31init_lookback_scan_state_kernelINS1_19lookback_scan_stateIN3c107complexIfEELb0ELb1EEENS1_16block_id_wrapperIjLb1EEEEEvT_jT0_jPNSA_10value_typeE
	.p2align	8
	.type	_ZN7rocprim17ROCPRIM_400000_NS6detail31init_lookback_scan_state_kernelINS1_19lookback_scan_stateIN3c107complexIfEELb0ELb1EEENS1_16block_id_wrapperIjLb1EEEEEvT_jT0_jPNSA_10value_typeE,@function
_ZN7rocprim17ROCPRIM_400000_NS6detail31init_lookback_scan_state_kernelINS1_19lookback_scan_stateIN3c107complexIfEELb0ELb1EEENS1_16block_id_wrapperIjLb1EEEEEvT_jT0_jPNSA_10value_typeE: ; @_ZN7rocprim17ROCPRIM_400000_NS6detail31init_lookback_scan_state_kernelINS1_19lookback_scan_stateIN3c107complexIfEELb0ELb1EEENS1_16block_id_wrapperIjLb1EEEEEvT_jT0_jPNSA_10value_typeE
; %bb.0:
	s_clause 0x3
	s_load_b32 s6, s[0:1], 0x34
	s_load_b64 s[4:5], s[0:1], 0x20
	s_load_b64 s[2:3], s[0:1], 0x0
	s_load_b32 s8, s[0:1], 0x8
	s_waitcnt lgkmcnt(0)
	s_and_b32 s6, s6, 0xffff
	s_cmp_eq_u64 s[4:5], 0
	v_mad_u64_u32 v[1:2], null, s15, s6, v[0:1]
	s_cbranch_scc1 .LBB332_8
; %bb.1:
	s_load_b32 s6, s[0:1], 0x18
	s_waitcnt lgkmcnt(0)
	s_cmp_lt_u32 s6, s8
	s_cselect_b32 s7, s6, 0
	s_delay_alu instid0(VALU_DEP_1) | instid1(SALU_CYCLE_1)
	v_cmp_eq_u32_e32 vcc_lo, s7, v1
	s_mov_b32 s7, 0
	s_and_saveexec_b32 s9, vcc_lo
	s_cbranch_execz .LBB332_7
; %bb.2:
	s_add_i32 s6, s6, 32
	s_mov_b32 s10, exec_lo
	s_lshl_b64 s[6:7], s[6:7], 4
	v_mov_b32_e32 v6, 0
	s_add_u32 s6, s2, s6
	s_addc_u32 s7, s3, s7
	s_delay_alu instid0(SALU_CYCLE_1) | instskip(SKIP_2) | instid1(VALU_DEP_1)
	v_dual_mov_b32 v2, s6 :: v_dual_mov_b32 v3, s7
	;;#ASMSTART
	global_load_dwordx4 v[2:5], v[2:3] off glc	
s_waitcnt vmcnt(0)
	;;#ASMEND
	v_and_b32_e32 v5, 0xff, v4
	v_cmpx_eq_u64_e32 0, v[5:6]
	s_cbranch_execz .LBB332_6
; %bb.3:
	v_dual_mov_b32 v8, s7 :: v_dual_mov_b32 v7, s6
	s_mov_b32 s6, 0
.LBB332_4:                              ; =>This Inner Loop Header: Depth=1
	;;#ASMSTART
	global_load_dwordx4 v[2:5], v[7:8] off glc	
s_waitcnt vmcnt(0)
	;;#ASMEND
	v_and_b32_e32 v5, 0xff, v4
	s_delay_alu instid0(VALU_DEP_1) | instskip(SKIP_1) | instid1(SALU_CYCLE_1)
	v_cmp_ne_u64_e32 vcc_lo, 0, v[5:6]
	s_or_b32 s6, vcc_lo, s6
	s_and_not1_b32 exec_lo, exec_lo, s6
	s_cbranch_execnz .LBB332_4
; %bb.5:
	s_or_b32 exec_lo, exec_lo, s6
.LBB332_6:
	s_delay_alu instid0(SALU_CYCLE_1)
	s_or_b32 exec_lo, exec_lo, s10
	v_mov_b32_e32 v0, 0
	global_store_b64 v0, v[2:3], s[4:5]
.LBB332_7:
	s_or_b32 exec_lo, exec_lo, s9
.LBB332_8:
	s_delay_alu instid0(SALU_CYCLE_1) | instskip(NEXT) | instid1(VALU_DEP_1)
	s_mov_b32 s4, exec_lo
	v_cmpx_eq_u32_e32 0, v1
	s_cbranch_execz .LBB332_10
; %bb.9:
	s_load_b64 s[0:1], s[0:1], 0x10
	v_mov_b32_e32 v0, 0
	s_waitcnt lgkmcnt(0)
	global_store_b32 v0, v0, s[0:1]
.LBB332_10:
	s_or_b32 exec_lo, exec_lo, s4
	s_delay_alu instid0(SALU_CYCLE_1)
	s_mov_b32 s0, exec_lo
	v_cmpx_gt_u32_e64 s8, v1
	s_cbranch_execz .LBB332_12
; %bb.11:
	v_dual_mov_b32 v3, 0 :: v_dual_add_nc_u32 v2, 32, v1
	s_delay_alu instid0(VALU_DEP_1) | instskip(SKIP_2) | instid1(VALU_DEP_3)
	v_lshlrev_b64 v[5:6], 4, v[2:3]
	v_mov_b32_e32 v2, v3
	v_mov_b32_e32 v4, v3
	v_add_co_u32 v7, vcc_lo, s2, v5
	s_delay_alu instid0(VALU_DEP_4)
	v_add_co_ci_u32_e32 v8, vcc_lo, s3, v6, vcc_lo
	v_mov_b32_e32 v5, v3
	global_store_b128 v[7:8], v[2:5], off
.LBB332_12:
	s_or_b32 exec_lo, exec_lo, s0
	s_delay_alu instid0(SALU_CYCLE_1)
	s_mov_b32 s0, exec_lo
	v_cmpx_gt_u32_e32 32, v1
	s_cbranch_execz .LBB332_14
; %bb.13:
	v_dual_mov_b32 v2, 0 :: v_dual_mov_b32 v3, 0xff
	s_delay_alu instid0(VALU_DEP_1) | instskip(SKIP_1) | instid1(VALU_DEP_2)
	v_lshlrev_b64 v[4:5], 4, v[1:2]
	v_mov_b32_e32 v1, v2
	v_add_co_u32 v6, vcc_lo, s2, v4
	s_delay_alu instid0(VALU_DEP_3)
	v_add_co_ci_u32_e32 v7, vcc_lo, s3, v5, vcc_lo
	v_mov_b32_e32 v4, v2
	global_store_b128 v[6:7], v[1:4], off
.LBB332_14:
	s_nop 0
	s_sendmsg sendmsg(MSG_DEALLOC_VGPRS)
	s_endpgm
	.section	.rodata,"a",@progbits
	.p2align	6, 0x0
	.amdhsa_kernel _ZN7rocprim17ROCPRIM_400000_NS6detail31init_lookback_scan_state_kernelINS1_19lookback_scan_stateIN3c107complexIfEELb0ELb1EEENS1_16block_id_wrapperIjLb1EEEEEvT_jT0_jPNSA_10value_typeE
		.amdhsa_group_segment_fixed_size 0
		.amdhsa_private_segment_fixed_size 0
		.amdhsa_kernarg_size 296
		.amdhsa_user_sgpr_count 15
		.amdhsa_user_sgpr_dispatch_ptr 0
		.amdhsa_user_sgpr_queue_ptr 0
		.amdhsa_user_sgpr_kernarg_segment_ptr 1
		.amdhsa_user_sgpr_dispatch_id 0
		.amdhsa_user_sgpr_private_segment_size 0
		.amdhsa_wavefront_size32 1
		.amdhsa_uses_dynamic_stack 0
		.amdhsa_enable_private_segment 0
		.amdhsa_system_sgpr_workgroup_id_x 1
		.amdhsa_system_sgpr_workgroup_id_y 0
		.amdhsa_system_sgpr_workgroup_id_z 0
		.amdhsa_system_sgpr_workgroup_info 0
		.amdhsa_system_vgpr_workitem_id 0
		.amdhsa_next_free_vgpr 9
		.amdhsa_next_free_sgpr 16
		.amdhsa_reserve_vcc 1
		.amdhsa_float_round_mode_32 0
		.amdhsa_float_round_mode_16_64 0
		.amdhsa_float_denorm_mode_32 3
		.amdhsa_float_denorm_mode_16_64 3
		.amdhsa_dx10_clamp 1
		.amdhsa_ieee_mode 1
		.amdhsa_fp16_overflow 0
		.amdhsa_workgroup_processor_mode 1
		.amdhsa_memory_ordered 1
		.amdhsa_forward_progress 0
		.amdhsa_shared_vgpr_count 0
		.amdhsa_exception_fp_ieee_invalid_op 0
		.amdhsa_exception_fp_denorm_src 0
		.amdhsa_exception_fp_ieee_div_zero 0
		.amdhsa_exception_fp_ieee_overflow 0
		.amdhsa_exception_fp_ieee_underflow 0
		.amdhsa_exception_fp_ieee_inexact 0
		.amdhsa_exception_int_div_zero 0
	.end_amdhsa_kernel
	.section	.text._ZN7rocprim17ROCPRIM_400000_NS6detail31init_lookback_scan_state_kernelINS1_19lookback_scan_stateIN3c107complexIfEELb0ELb1EEENS1_16block_id_wrapperIjLb1EEEEEvT_jT0_jPNSA_10value_typeE,"axG",@progbits,_ZN7rocprim17ROCPRIM_400000_NS6detail31init_lookback_scan_state_kernelINS1_19lookback_scan_stateIN3c107complexIfEELb0ELb1EEENS1_16block_id_wrapperIjLb1EEEEEvT_jT0_jPNSA_10value_typeE,comdat
.Lfunc_end332:
	.size	_ZN7rocprim17ROCPRIM_400000_NS6detail31init_lookback_scan_state_kernelINS1_19lookback_scan_stateIN3c107complexIfEELb0ELb1EEENS1_16block_id_wrapperIjLb1EEEEEvT_jT0_jPNSA_10value_typeE, .Lfunc_end332-_ZN7rocprim17ROCPRIM_400000_NS6detail31init_lookback_scan_state_kernelINS1_19lookback_scan_stateIN3c107complexIfEELb0ELb1EEENS1_16block_id_wrapperIjLb1EEEEEvT_jT0_jPNSA_10value_typeE
                                        ; -- End function
	.section	.AMDGPU.csdata,"",@progbits
; Kernel info:
; codeLenInByte = 512
; NumSgprs: 18
; NumVgprs: 9
; ScratchSize: 0
; MemoryBound: 0
; FloatMode: 240
; IeeeMode: 1
; LDSByteSize: 0 bytes/workgroup (compile time only)
; SGPRBlocks: 2
; VGPRBlocks: 1
; NumSGPRsForWavesPerEU: 18
; NumVGPRsForWavesPerEU: 9
; Occupancy: 16
; WaveLimiterHint : 0
; COMPUTE_PGM_RSRC2:SCRATCH_EN: 0
; COMPUTE_PGM_RSRC2:USER_SGPR: 15
; COMPUTE_PGM_RSRC2:TRAP_HANDLER: 0
; COMPUTE_PGM_RSRC2:TGID_X_EN: 1
; COMPUTE_PGM_RSRC2:TGID_Y_EN: 0
; COMPUTE_PGM_RSRC2:TGID_Z_EN: 0
; COMPUTE_PGM_RSRC2:TIDIG_COMP_CNT: 0
	.section	.text._ZN7rocprim17ROCPRIM_400000_NS6detail17trampoline_kernelINS0_14default_configENS1_20scan_config_selectorIN3c107complexIfEEEEZZNS1_9scan_implILNS1_25lookback_scan_determinismE0ELb0ELb0ES3_PKS7_PS7_S7_ZZZN2at6native31launch_logcumsumexp_cuda_kernelERKNSE_10TensorBaseESI_lENKUlvE_clEvENKUlvE2_clEvEUlS7_S7_E_S7_EEDaPvRmT3_T4_T5_mT6_P12ihipStream_tbENKUlT_T0_E_clISt17integral_constantIbLb0EESY_IbLb1EEEEDaSU_SV_EUlSU_E_NS1_11comp_targetILNS1_3genE0ELNS1_11target_archE4294967295ELNS1_3gpuE0ELNS1_3repE0EEENS1_30default_config_static_selectorELNS0_4arch9wavefront6targetE0EEEvT1_,"axG",@progbits,_ZN7rocprim17ROCPRIM_400000_NS6detail17trampoline_kernelINS0_14default_configENS1_20scan_config_selectorIN3c107complexIfEEEEZZNS1_9scan_implILNS1_25lookback_scan_determinismE0ELb0ELb0ES3_PKS7_PS7_S7_ZZZN2at6native31launch_logcumsumexp_cuda_kernelERKNSE_10TensorBaseESI_lENKUlvE_clEvENKUlvE2_clEvEUlS7_S7_E_S7_EEDaPvRmT3_T4_T5_mT6_P12ihipStream_tbENKUlT_T0_E_clISt17integral_constantIbLb0EESY_IbLb1EEEEDaSU_SV_EUlSU_E_NS1_11comp_targetILNS1_3genE0ELNS1_11target_archE4294967295ELNS1_3gpuE0ELNS1_3repE0EEENS1_30default_config_static_selectorELNS0_4arch9wavefront6targetE0EEEvT1_,comdat
	.globl	_ZN7rocprim17ROCPRIM_400000_NS6detail17trampoline_kernelINS0_14default_configENS1_20scan_config_selectorIN3c107complexIfEEEEZZNS1_9scan_implILNS1_25lookback_scan_determinismE0ELb0ELb0ES3_PKS7_PS7_S7_ZZZN2at6native31launch_logcumsumexp_cuda_kernelERKNSE_10TensorBaseESI_lENKUlvE_clEvENKUlvE2_clEvEUlS7_S7_E_S7_EEDaPvRmT3_T4_T5_mT6_P12ihipStream_tbENKUlT_T0_E_clISt17integral_constantIbLb0EESY_IbLb1EEEEDaSU_SV_EUlSU_E_NS1_11comp_targetILNS1_3genE0ELNS1_11target_archE4294967295ELNS1_3gpuE0ELNS1_3repE0EEENS1_30default_config_static_selectorELNS0_4arch9wavefront6targetE0EEEvT1_ ; -- Begin function _ZN7rocprim17ROCPRIM_400000_NS6detail17trampoline_kernelINS0_14default_configENS1_20scan_config_selectorIN3c107complexIfEEEEZZNS1_9scan_implILNS1_25lookback_scan_determinismE0ELb0ELb0ES3_PKS7_PS7_S7_ZZZN2at6native31launch_logcumsumexp_cuda_kernelERKNSE_10TensorBaseESI_lENKUlvE_clEvENKUlvE2_clEvEUlS7_S7_E_S7_EEDaPvRmT3_T4_T5_mT6_P12ihipStream_tbENKUlT_T0_E_clISt17integral_constantIbLb0EESY_IbLb1EEEEDaSU_SV_EUlSU_E_NS1_11comp_targetILNS1_3genE0ELNS1_11target_archE4294967295ELNS1_3gpuE0ELNS1_3repE0EEENS1_30default_config_static_selectorELNS0_4arch9wavefront6targetE0EEEvT1_
	.p2align	8
	.type	_ZN7rocprim17ROCPRIM_400000_NS6detail17trampoline_kernelINS0_14default_configENS1_20scan_config_selectorIN3c107complexIfEEEEZZNS1_9scan_implILNS1_25lookback_scan_determinismE0ELb0ELb0ES3_PKS7_PS7_S7_ZZZN2at6native31launch_logcumsumexp_cuda_kernelERKNSE_10TensorBaseESI_lENKUlvE_clEvENKUlvE2_clEvEUlS7_S7_E_S7_EEDaPvRmT3_T4_T5_mT6_P12ihipStream_tbENKUlT_T0_E_clISt17integral_constantIbLb0EESY_IbLb1EEEEDaSU_SV_EUlSU_E_NS1_11comp_targetILNS1_3genE0ELNS1_11target_archE4294967295ELNS1_3gpuE0ELNS1_3repE0EEENS1_30default_config_static_selectorELNS0_4arch9wavefront6targetE0EEEvT1_,@function
_ZN7rocprim17ROCPRIM_400000_NS6detail17trampoline_kernelINS0_14default_configENS1_20scan_config_selectorIN3c107complexIfEEEEZZNS1_9scan_implILNS1_25lookback_scan_determinismE0ELb0ELb0ES3_PKS7_PS7_S7_ZZZN2at6native31launch_logcumsumexp_cuda_kernelERKNSE_10TensorBaseESI_lENKUlvE_clEvENKUlvE2_clEvEUlS7_S7_E_S7_EEDaPvRmT3_T4_T5_mT6_P12ihipStream_tbENKUlT_T0_E_clISt17integral_constantIbLb0EESY_IbLb1EEEEDaSU_SV_EUlSU_E_NS1_11comp_targetILNS1_3genE0ELNS1_11target_archE4294967295ELNS1_3gpuE0ELNS1_3repE0EEENS1_30default_config_static_selectorELNS0_4arch9wavefront6targetE0EEEvT1_: ; @_ZN7rocprim17ROCPRIM_400000_NS6detail17trampoline_kernelINS0_14default_configENS1_20scan_config_selectorIN3c107complexIfEEEEZZNS1_9scan_implILNS1_25lookback_scan_determinismE0ELb0ELb0ES3_PKS7_PS7_S7_ZZZN2at6native31launch_logcumsumexp_cuda_kernelERKNSE_10TensorBaseESI_lENKUlvE_clEvENKUlvE2_clEvEUlS7_S7_E_S7_EEDaPvRmT3_T4_T5_mT6_P12ihipStream_tbENKUlT_T0_E_clISt17integral_constantIbLb0EESY_IbLb1EEEEDaSU_SV_EUlSU_E_NS1_11comp_targetILNS1_3genE0ELNS1_11target_archE4294967295ELNS1_3gpuE0ELNS1_3repE0EEENS1_30default_config_static_selectorELNS0_4arch9wavefront6targetE0EEEvT1_
; %bb.0:
	.section	.rodata,"a",@progbits
	.p2align	6, 0x0
	.amdhsa_kernel _ZN7rocprim17ROCPRIM_400000_NS6detail17trampoline_kernelINS0_14default_configENS1_20scan_config_selectorIN3c107complexIfEEEEZZNS1_9scan_implILNS1_25lookback_scan_determinismE0ELb0ELb0ES3_PKS7_PS7_S7_ZZZN2at6native31launch_logcumsumexp_cuda_kernelERKNSE_10TensorBaseESI_lENKUlvE_clEvENKUlvE2_clEvEUlS7_S7_E_S7_EEDaPvRmT3_T4_T5_mT6_P12ihipStream_tbENKUlT_T0_E_clISt17integral_constantIbLb0EESY_IbLb1EEEEDaSU_SV_EUlSU_E_NS1_11comp_targetILNS1_3genE0ELNS1_11target_archE4294967295ELNS1_3gpuE0ELNS1_3repE0EEENS1_30default_config_static_selectorELNS0_4arch9wavefront6targetE0EEEvT1_
		.amdhsa_group_segment_fixed_size 0
		.amdhsa_private_segment_fixed_size 0
		.amdhsa_kernarg_size 104
		.amdhsa_user_sgpr_count 15
		.amdhsa_user_sgpr_dispatch_ptr 0
		.amdhsa_user_sgpr_queue_ptr 0
		.amdhsa_user_sgpr_kernarg_segment_ptr 1
		.amdhsa_user_sgpr_dispatch_id 0
		.amdhsa_user_sgpr_private_segment_size 0
		.amdhsa_wavefront_size32 1
		.amdhsa_uses_dynamic_stack 0
		.amdhsa_enable_private_segment 0
		.amdhsa_system_sgpr_workgroup_id_x 1
		.amdhsa_system_sgpr_workgroup_id_y 0
		.amdhsa_system_sgpr_workgroup_id_z 0
		.amdhsa_system_sgpr_workgroup_info 0
		.amdhsa_system_vgpr_workitem_id 0
		.amdhsa_next_free_vgpr 1
		.amdhsa_next_free_sgpr 1
		.amdhsa_reserve_vcc 0
		.amdhsa_float_round_mode_32 0
		.amdhsa_float_round_mode_16_64 0
		.amdhsa_float_denorm_mode_32 3
		.amdhsa_float_denorm_mode_16_64 3
		.amdhsa_dx10_clamp 1
		.amdhsa_ieee_mode 1
		.amdhsa_fp16_overflow 0
		.amdhsa_workgroup_processor_mode 1
		.amdhsa_memory_ordered 1
		.amdhsa_forward_progress 0
		.amdhsa_shared_vgpr_count 0
		.amdhsa_exception_fp_ieee_invalid_op 0
		.amdhsa_exception_fp_denorm_src 0
		.amdhsa_exception_fp_ieee_div_zero 0
		.amdhsa_exception_fp_ieee_overflow 0
		.amdhsa_exception_fp_ieee_underflow 0
		.amdhsa_exception_fp_ieee_inexact 0
		.amdhsa_exception_int_div_zero 0
	.end_amdhsa_kernel
	.section	.text._ZN7rocprim17ROCPRIM_400000_NS6detail17trampoline_kernelINS0_14default_configENS1_20scan_config_selectorIN3c107complexIfEEEEZZNS1_9scan_implILNS1_25lookback_scan_determinismE0ELb0ELb0ES3_PKS7_PS7_S7_ZZZN2at6native31launch_logcumsumexp_cuda_kernelERKNSE_10TensorBaseESI_lENKUlvE_clEvENKUlvE2_clEvEUlS7_S7_E_S7_EEDaPvRmT3_T4_T5_mT6_P12ihipStream_tbENKUlT_T0_E_clISt17integral_constantIbLb0EESY_IbLb1EEEEDaSU_SV_EUlSU_E_NS1_11comp_targetILNS1_3genE0ELNS1_11target_archE4294967295ELNS1_3gpuE0ELNS1_3repE0EEENS1_30default_config_static_selectorELNS0_4arch9wavefront6targetE0EEEvT1_,"axG",@progbits,_ZN7rocprim17ROCPRIM_400000_NS6detail17trampoline_kernelINS0_14default_configENS1_20scan_config_selectorIN3c107complexIfEEEEZZNS1_9scan_implILNS1_25lookback_scan_determinismE0ELb0ELb0ES3_PKS7_PS7_S7_ZZZN2at6native31launch_logcumsumexp_cuda_kernelERKNSE_10TensorBaseESI_lENKUlvE_clEvENKUlvE2_clEvEUlS7_S7_E_S7_EEDaPvRmT3_T4_T5_mT6_P12ihipStream_tbENKUlT_T0_E_clISt17integral_constantIbLb0EESY_IbLb1EEEEDaSU_SV_EUlSU_E_NS1_11comp_targetILNS1_3genE0ELNS1_11target_archE4294967295ELNS1_3gpuE0ELNS1_3repE0EEENS1_30default_config_static_selectorELNS0_4arch9wavefront6targetE0EEEvT1_,comdat
.Lfunc_end333:
	.size	_ZN7rocprim17ROCPRIM_400000_NS6detail17trampoline_kernelINS0_14default_configENS1_20scan_config_selectorIN3c107complexIfEEEEZZNS1_9scan_implILNS1_25lookback_scan_determinismE0ELb0ELb0ES3_PKS7_PS7_S7_ZZZN2at6native31launch_logcumsumexp_cuda_kernelERKNSE_10TensorBaseESI_lENKUlvE_clEvENKUlvE2_clEvEUlS7_S7_E_S7_EEDaPvRmT3_T4_T5_mT6_P12ihipStream_tbENKUlT_T0_E_clISt17integral_constantIbLb0EESY_IbLb1EEEEDaSU_SV_EUlSU_E_NS1_11comp_targetILNS1_3genE0ELNS1_11target_archE4294967295ELNS1_3gpuE0ELNS1_3repE0EEENS1_30default_config_static_selectorELNS0_4arch9wavefront6targetE0EEEvT1_, .Lfunc_end333-_ZN7rocprim17ROCPRIM_400000_NS6detail17trampoline_kernelINS0_14default_configENS1_20scan_config_selectorIN3c107complexIfEEEEZZNS1_9scan_implILNS1_25lookback_scan_determinismE0ELb0ELb0ES3_PKS7_PS7_S7_ZZZN2at6native31launch_logcumsumexp_cuda_kernelERKNSE_10TensorBaseESI_lENKUlvE_clEvENKUlvE2_clEvEUlS7_S7_E_S7_EEDaPvRmT3_T4_T5_mT6_P12ihipStream_tbENKUlT_T0_E_clISt17integral_constantIbLb0EESY_IbLb1EEEEDaSU_SV_EUlSU_E_NS1_11comp_targetILNS1_3genE0ELNS1_11target_archE4294967295ELNS1_3gpuE0ELNS1_3repE0EEENS1_30default_config_static_selectorELNS0_4arch9wavefront6targetE0EEEvT1_
                                        ; -- End function
	.section	.AMDGPU.csdata,"",@progbits
; Kernel info:
; codeLenInByte = 0
; NumSgprs: 0
; NumVgprs: 0
; ScratchSize: 0
; MemoryBound: 0
; FloatMode: 240
; IeeeMode: 1
; LDSByteSize: 0 bytes/workgroup (compile time only)
; SGPRBlocks: 0
; VGPRBlocks: 0
; NumSGPRsForWavesPerEU: 1
; NumVGPRsForWavesPerEU: 1
; Occupancy: 16
; WaveLimiterHint : 0
; COMPUTE_PGM_RSRC2:SCRATCH_EN: 0
; COMPUTE_PGM_RSRC2:USER_SGPR: 15
; COMPUTE_PGM_RSRC2:TRAP_HANDLER: 0
; COMPUTE_PGM_RSRC2:TGID_X_EN: 1
; COMPUTE_PGM_RSRC2:TGID_Y_EN: 0
; COMPUTE_PGM_RSRC2:TGID_Z_EN: 0
; COMPUTE_PGM_RSRC2:TIDIG_COMP_CNT: 0
	.section	.text._ZN7rocprim17ROCPRIM_400000_NS6detail17trampoline_kernelINS0_14default_configENS1_20scan_config_selectorIN3c107complexIfEEEEZZNS1_9scan_implILNS1_25lookback_scan_determinismE0ELb0ELb0ES3_PKS7_PS7_S7_ZZZN2at6native31launch_logcumsumexp_cuda_kernelERKNSE_10TensorBaseESI_lENKUlvE_clEvENKUlvE2_clEvEUlS7_S7_E_S7_EEDaPvRmT3_T4_T5_mT6_P12ihipStream_tbENKUlT_T0_E_clISt17integral_constantIbLb0EESY_IbLb1EEEEDaSU_SV_EUlSU_E_NS1_11comp_targetILNS1_3genE5ELNS1_11target_archE942ELNS1_3gpuE9ELNS1_3repE0EEENS1_30default_config_static_selectorELNS0_4arch9wavefront6targetE0EEEvT1_,"axG",@progbits,_ZN7rocprim17ROCPRIM_400000_NS6detail17trampoline_kernelINS0_14default_configENS1_20scan_config_selectorIN3c107complexIfEEEEZZNS1_9scan_implILNS1_25lookback_scan_determinismE0ELb0ELb0ES3_PKS7_PS7_S7_ZZZN2at6native31launch_logcumsumexp_cuda_kernelERKNSE_10TensorBaseESI_lENKUlvE_clEvENKUlvE2_clEvEUlS7_S7_E_S7_EEDaPvRmT3_T4_T5_mT6_P12ihipStream_tbENKUlT_T0_E_clISt17integral_constantIbLb0EESY_IbLb1EEEEDaSU_SV_EUlSU_E_NS1_11comp_targetILNS1_3genE5ELNS1_11target_archE942ELNS1_3gpuE9ELNS1_3repE0EEENS1_30default_config_static_selectorELNS0_4arch9wavefront6targetE0EEEvT1_,comdat
	.globl	_ZN7rocprim17ROCPRIM_400000_NS6detail17trampoline_kernelINS0_14default_configENS1_20scan_config_selectorIN3c107complexIfEEEEZZNS1_9scan_implILNS1_25lookback_scan_determinismE0ELb0ELb0ES3_PKS7_PS7_S7_ZZZN2at6native31launch_logcumsumexp_cuda_kernelERKNSE_10TensorBaseESI_lENKUlvE_clEvENKUlvE2_clEvEUlS7_S7_E_S7_EEDaPvRmT3_T4_T5_mT6_P12ihipStream_tbENKUlT_T0_E_clISt17integral_constantIbLb0EESY_IbLb1EEEEDaSU_SV_EUlSU_E_NS1_11comp_targetILNS1_3genE5ELNS1_11target_archE942ELNS1_3gpuE9ELNS1_3repE0EEENS1_30default_config_static_selectorELNS0_4arch9wavefront6targetE0EEEvT1_ ; -- Begin function _ZN7rocprim17ROCPRIM_400000_NS6detail17trampoline_kernelINS0_14default_configENS1_20scan_config_selectorIN3c107complexIfEEEEZZNS1_9scan_implILNS1_25lookback_scan_determinismE0ELb0ELb0ES3_PKS7_PS7_S7_ZZZN2at6native31launch_logcumsumexp_cuda_kernelERKNSE_10TensorBaseESI_lENKUlvE_clEvENKUlvE2_clEvEUlS7_S7_E_S7_EEDaPvRmT3_T4_T5_mT6_P12ihipStream_tbENKUlT_T0_E_clISt17integral_constantIbLb0EESY_IbLb1EEEEDaSU_SV_EUlSU_E_NS1_11comp_targetILNS1_3genE5ELNS1_11target_archE942ELNS1_3gpuE9ELNS1_3repE0EEENS1_30default_config_static_selectorELNS0_4arch9wavefront6targetE0EEEvT1_
	.p2align	8
	.type	_ZN7rocprim17ROCPRIM_400000_NS6detail17trampoline_kernelINS0_14default_configENS1_20scan_config_selectorIN3c107complexIfEEEEZZNS1_9scan_implILNS1_25lookback_scan_determinismE0ELb0ELb0ES3_PKS7_PS7_S7_ZZZN2at6native31launch_logcumsumexp_cuda_kernelERKNSE_10TensorBaseESI_lENKUlvE_clEvENKUlvE2_clEvEUlS7_S7_E_S7_EEDaPvRmT3_T4_T5_mT6_P12ihipStream_tbENKUlT_T0_E_clISt17integral_constantIbLb0EESY_IbLb1EEEEDaSU_SV_EUlSU_E_NS1_11comp_targetILNS1_3genE5ELNS1_11target_archE942ELNS1_3gpuE9ELNS1_3repE0EEENS1_30default_config_static_selectorELNS0_4arch9wavefront6targetE0EEEvT1_,@function
_ZN7rocprim17ROCPRIM_400000_NS6detail17trampoline_kernelINS0_14default_configENS1_20scan_config_selectorIN3c107complexIfEEEEZZNS1_9scan_implILNS1_25lookback_scan_determinismE0ELb0ELb0ES3_PKS7_PS7_S7_ZZZN2at6native31launch_logcumsumexp_cuda_kernelERKNSE_10TensorBaseESI_lENKUlvE_clEvENKUlvE2_clEvEUlS7_S7_E_S7_EEDaPvRmT3_T4_T5_mT6_P12ihipStream_tbENKUlT_T0_E_clISt17integral_constantIbLb0EESY_IbLb1EEEEDaSU_SV_EUlSU_E_NS1_11comp_targetILNS1_3genE5ELNS1_11target_archE942ELNS1_3gpuE9ELNS1_3repE0EEENS1_30default_config_static_selectorELNS0_4arch9wavefront6targetE0EEEvT1_: ; @_ZN7rocprim17ROCPRIM_400000_NS6detail17trampoline_kernelINS0_14default_configENS1_20scan_config_selectorIN3c107complexIfEEEEZZNS1_9scan_implILNS1_25lookback_scan_determinismE0ELb0ELb0ES3_PKS7_PS7_S7_ZZZN2at6native31launch_logcumsumexp_cuda_kernelERKNSE_10TensorBaseESI_lENKUlvE_clEvENKUlvE2_clEvEUlS7_S7_E_S7_EEDaPvRmT3_T4_T5_mT6_P12ihipStream_tbENKUlT_T0_E_clISt17integral_constantIbLb0EESY_IbLb1EEEEDaSU_SV_EUlSU_E_NS1_11comp_targetILNS1_3genE5ELNS1_11target_archE942ELNS1_3gpuE9ELNS1_3repE0EEENS1_30default_config_static_selectorELNS0_4arch9wavefront6targetE0EEEvT1_
; %bb.0:
	.section	.rodata,"a",@progbits
	.p2align	6, 0x0
	.amdhsa_kernel _ZN7rocprim17ROCPRIM_400000_NS6detail17trampoline_kernelINS0_14default_configENS1_20scan_config_selectorIN3c107complexIfEEEEZZNS1_9scan_implILNS1_25lookback_scan_determinismE0ELb0ELb0ES3_PKS7_PS7_S7_ZZZN2at6native31launch_logcumsumexp_cuda_kernelERKNSE_10TensorBaseESI_lENKUlvE_clEvENKUlvE2_clEvEUlS7_S7_E_S7_EEDaPvRmT3_T4_T5_mT6_P12ihipStream_tbENKUlT_T0_E_clISt17integral_constantIbLb0EESY_IbLb1EEEEDaSU_SV_EUlSU_E_NS1_11comp_targetILNS1_3genE5ELNS1_11target_archE942ELNS1_3gpuE9ELNS1_3repE0EEENS1_30default_config_static_selectorELNS0_4arch9wavefront6targetE0EEEvT1_
		.amdhsa_group_segment_fixed_size 0
		.amdhsa_private_segment_fixed_size 0
		.amdhsa_kernarg_size 104
		.amdhsa_user_sgpr_count 15
		.amdhsa_user_sgpr_dispatch_ptr 0
		.amdhsa_user_sgpr_queue_ptr 0
		.amdhsa_user_sgpr_kernarg_segment_ptr 1
		.amdhsa_user_sgpr_dispatch_id 0
		.amdhsa_user_sgpr_private_segment_size 0
		.amdhsa_wavefront_size32 1
		.amdhsa_uses_dynamic_stack 0
		.amdhsa_enable_private_segment 0
		.amdhsa_system_sgpr_workgroup_id_x 1
		.amdhsa_system_sgpr_workgroup_id_y 0
		.amdhsa_system_sgpr_workgroup_id_z 0
		.amdhsa_system_sgpr_workgroup_info 0
		.amdhsa_system_vgpr_workitem_id 0
		.amdhsa_next_free_vgpr 1
		.amdhsa_next_free_sgpr 1
		.amdhsa_reserve_vcc 0
		.amdhsa_float_round_mode_32 0
		.amdhsa_float_round_mode_16_64 0
		.amdhsa_float_denorm_mode_32 3
		.amdhsa_float_denorm_mode_16_64 3
		.amdhsa_dx10_clamp 1
		.amdhsa_ieee_mode 1
		.amdhsa_fp16_overflow 0
		.amdhsa_workgroup_processor_mode 1
		.amdhsa_memory_ordered 1
		.amdhsa_forward_progress 0
		.amdhsa_shared_vgpr_count 0
		.amdhsa_exception_fp_ieee_invalid_op 0
		.amdhsa_exception_fp_denorm_src 0
		.amdhsa_exception_fp_ieee_div_zero 0
		.amdhsa_exception_fp_ieee_overflow 0
		.amdhsa_exception_fp_ieee_underflow 0
		.amdhsa_exception_fp_ieee_inexact 0
		.amdhsa_exception_int_div_zero 0
	.end_amdhsa_kernel
	.section	.text._ZN7rocprim17ROCPRIM_400000_NS6detail17trampoline_kernelINS0_14default_configENS1_20scan_config_selectorIN3c107complexIfEEEEZZNS1_9scan_implILNS1_25lookback_scan_determinismE0ELb0ELb0ES3_PKS7_PS7_S7_ZZZN2at6native31launch_logcumsumexp_cuda_kernelERKNSE_10TensorBaseESI_lENKUlvE_clEvENKUlvE2_clEvEUlS7_S7_E_S7_EEDaPvRmT3_T4_T5_mT6_P12ihipStream_tbENKUlT_T0_E_clISt17integral_constantIbLb0EESY_IbLb1EEEEDaSU_SV_EUlSU_E_NS1_11comp_targetILNS1_3genE5ELNS1_11target_archE942ELNS1_3gpuE9ELNS1_3repE0EEENS1_30default_config_static_selectorELNS0_4arch9wavefront6targetE0EEEvT1_,"axG",@progbits,_ZN7rocprim17ROCPRIM_400000_NS6detail17trampoline_kernelINS0_14default_configENS1_20scan_config_selectorIN3c107complexIfEEEEZZNS1_9scan_implILNS1_25lookback_scan_determinismE0ELb0ELb0ES3_PKS7_PS7_S7_ZZZN2at6native31launch_logcumsumexp_cuda_kernelERKNSE_10TensorBaseESI_lENKUlvE_clEvENKUlvE2_clEvEUlS7_S7_E_S7_EEDaPvRmT3_T4_T5_mT6_P12ihipStream_tbENKUlT_T0_E_clISt17integral_constantIbLb0EESY_IbLb1EEEEDaSU_SV_EUlSU_E_NS1_11comp_targetILNS1_3genE5ELNS1_11target_archE942ELNS1_3gpuE9ELNS1_3repE0EEENS1_30default_config_static_selectorELNS0_4arch9wavefront6targetE0EEEvT1_,comdat
.Lfunc_end334:
	.size	_ZN7rocprim17ROCPRIM_400000_NS6detail17trampoline_kernelINS0_14default_configENS1_20scan_config_selectorIN3c107complexIfEEEEZZNS1_9scan_implILNS1_25lookback_scan_determinismE0ELb0ELb0ES3_PKS7_PS7_S7_ZZZN2at6native31launch_logcumsumexp_cuda_kernelERKNSE_10TensorBaseESI_lENKUlvE_clEvENKUlvE2_clEvEUlS7_S7_E_S7_EEDaPvRmT3_T4_T5_mT6_P12ihipStream_tbENKUlT_T0_E_clISt17integral_constantIbLb0EESY_IbLb1EEEEDaSU_SV_EUlSU_E_NS1_11comp_targetILNS1_3genE5ELNS1_11target_archE942ELNS1_3gpuE9ELNS1_3repE0EEENS1_30default_config_static_selectorELNS0_4arch9wavefront6targetE0EEEvT1_, .Lfunc_end334-_ZN7rocprim17ROCPRIM_400000_NS6detail17trampoline_kernelINS0_14default_configENS1_20scan_config_selectorIN3c107complexIfEEEEZZNS1_9scan_implILNS1_25lookback_scan_determinismE0ELb0ELb0ES3_PKS7_PS7_S7_ZZZN2at6native31launch_logcumsumexp_cuda_kernelERKNSE_10TensorBaseESI_lENKUlvE_clEvENKUlvE2_clEvEUlS7_S7_E_S7_EEDaPvRmT3_T4_T5_mT6_P12ihipStream_tbENKUlT_T0_E_clISt17integral_constantIbLb0EESY_IbLb1EEEEDaSU_SV_EUlSU_E_NS1_11comp_targetILNS1_3genE5ELNS1_11target_archE942ELNS1_3gpuE9ELNS1_3repE0EEENS1_30default_config_static_selectorELNS0_4arch9wavefront6targetE0EEEvT1_
                                        ; -- End function
	.section	.AMDGPU.csdata,"",@progbits
; Kernel info:
; codeLenInByte = 0
; NumSgprs: 0
; NumVgprs: 0
; ScratchSize: 0
; MemoryBound: 0
; FloatMode: 240
; IeeeMode: 1
; LDSByteSize: 0 bytes/workgroup (compile time only)
; SGPRBlocks: 0
; VGPRBlocks: 0
; NumSGPRsForWavesPerEU: 1
; NumVGPRsForWavesPerEU: 1
; Occupancy: 16
; WaveLimiterHint : 0
; COMPUTE_PGM_RSRC2:SCRATCH_EN: 0
; COMPUTE_PGM_RSRC2:USER_SGPR: 15
; COMPUTE_PGM_RSRC2:TRAP_HANDLER: 0
; COMPUTE_PGM_RSRC2:TGID_X_EN: 1
; COMPUTE_PGM_RSRC2:TGID_Y_EN: 0
; COMPUTE_PGM_RSRC2:TGID_Z_EN: 0
; COMPUTE_PGM_RSRC2:TIDIG_COMP_CNT: 0
	.section	.text._ZN7rocprim17ROCPRIM_400000_NS6detail17trampoline_kernelINS0_14default_configENS1_20scan_config_selectorIN3c107complexIfEEEEZZNS1_9scan_implILNS1_25lookback_scan_determinismE0ELb0ELb0ES3_PKS7_PS7_S7_ZZZN2at6native31launch_logcumsumexp_cuda_kernelERKNSE_10TensorBaseESI_lENKUlvE_clEvENKUlvE2_clEvEUlS7_S7_E_S7_EEDaPvRmT3_T4_T5_mT6_P12ihipStream_tbENKUlT_T0_E_clISt17integral_constantIbLb0EESY_IbLb1EEEEDaSU_SV_EUlSU_E_NS1_11comp_targetILNS1_3genE4ELNS1_11target_archE910ELNS1_3gpuE8ELNS1_3repE0EEENS1_30default_config_static_selectorELNS0_4arch9wavefront6targetE0EEEvT1_,"axG",@progbits,_ZN7rocprim17ROCPRIM_400000_NS6detail17trampoline_kernelINS0_14default_configENS1_20scan_config_selectorIN3c107complexIfEEEEZZNS1_9scan_implILNS1_25lookback_scan_determinismE0ELb0ELb0ES3_PKS7_PS7_S7_ZZZN2at6native31launch_logcumsumexp_cuda_kernelERKNSE_10TensorBaseESI_lENKUlvE_clEvENKUlvE2_clEvEUlS7_S7_E_S7_EEDaPvRmT3_T4_T5_mT6_P12ihipStream_tbENKUlT_T0_E_clISt17integral_constantIbLb0EESY_IbLb1EEEEDaSU_SV_EUlSU_E_NS1_11comp_targetILNS1_3genE4ELNS1_11target_archE910ELNS1_3gpuE8ELNS1_3repE0EEENS1_30default_config_static_selectorELNS0_4arch9wavefront6targetE0EEEvT1_,comdat
	.globl	_ZN7rocprim17ROCPRIM_400000_NS6detail17trampoline_kernelINS0_14default_configENS1_20scan_config_selectorIN3c107complexIfEEEEZZNS1_9scan_implILNS1_25lookback_scan_determinismE0ELb0ELb0ES3_PKS7_PS7_S7_ZZZN2at6native31launch_logcumsumexp_cuda_kernelERKNSE_10TensorBaseESI_lENKUlvE_clEvENKUlvE2_clEvEUlS7_S7_E_S7_EEDaPvRmT3_T4_T5_mT6_P12ihipStream_tbENKUlT_T0_E_clISt17integral_constantIbLb0EESY_IbLb1EEEEDaSU_SV_EUlSU_E_NS1_11comp_targetILNS1_3genE4ELNS1_11target_archE910ELNS1_3gpuE8ELNS1_3repE0EEENS1_30default_config_static_selectorELNS0_4arch9wavefront6targetE0EEEvT1_ ; -- Begin function _ZN7rocprim17ROCPRIM_400000_NS6detail17trampoline_kernelINS0_14default_configENS1_20scan_config_selectorIN3c107complexIfEEEEZZNS1_9scan_implILNS1_25lookback_scan_determinismE0ELb0ELb0ES3_PKS7_PS7_S7_ZZZN2at6native31launch_logcumsumexp_cuda_kernelERKNSE_10TensorBaseESI_lENKUlvE_clEvENKUlvE2_clEvEUlS7_S7_E_S7_EEDaPvRmT3_T4_T5_mT6_P12ihipStream_tbENKUlT_T0_E_clISt17integral_constantIbLb0EESY_IbLb1EEEEDaSU_SV_EUlSU_E_NS1_11comp_targetILNS1_3genE4ELNS1_11target_archE910ELNS1_3gpuE8ELNS1_3repE0EEENS1_30default_config_static_selectorELNS0_4arch9wavefront6targetE0EEEvT1_
	.p2align	8
	.type	_ZN7rocprim17ROCPRIM_400000_NS6detail17trampoline_kernelINS0_14default_configENS1_20scan_config_selectorIN3c107complexIfEEEEZZNS1_9scan_implILNS1_25lookback_scan_determinismE0ELb0ELb0ES3_PKS7_PS7_S7_ZZZN2at6native31launch_logcumsumexp_cuda_kernelERKNSE_10TensorBaseESI_lENKUlvE_clEvENKUlvE2_clEvEUlS7_S7_E_S7_EEDaPvRmT3_T4_T5_mT6_P12ihipStream_tbENKUlT_T0_E_clISt17integral_constantIbLb0EESY_IbLb1EEEEDaSU_SV_EUlSU_E_NS1_11comp_targetILNS1_3genE4ELNS1_11target_archE910ELNS1_3gpuE8ELNS1_3repE0EEENS1_30default_config_static_selectorELNS0_4arch9wavefront6targetE0EEEvT1_,@function
_ZN7rocprim17ROCPRIM_400000_NS6detail17trampoline_kernelINS0_14default_configENS1_20scan_config_selectorIN3c107complexIfEEEEZZNS1_9scan_implILNS1_25lookback_scan_determinismE0ELb0ELb0ES3_PKS7_PS7_S7_ZZZN2at6native31launch_logcumsumexp_cuda_kernelERKNSE_10TensorBaseESI_lENKUlvE_clEvENKUlvE2_clEvEUlS7_S7_E_S7_EEDaPvRmT3_T4_T5_mT6_P12ihipStream_tbENKUlT_T0_E_clISt17integral_constantIbLb0EESY_IbLb1EEEEDaSU_SV_EUlSU_E_NS1_11comp_targetILNS1_3genE4ELNS1_11target_archE910ELNS1_3gpuE8ELNS1_3repE0EEENS1_30default_config_static_selectorELNS0_4arch9wavefront6targetE0EEEvT1_: ; @_ZN7rocprim17ROCPRIM_400000_NS6detail17trampoline_kernelINS0_14default_configENS1_20scan_config_selectorIN3c107complexIfEEEEZZNS1_9scan_implILNS1_25lookback_scan_determinismE0ELb0ELb0ES3_PKS7_PS7_S7_ZZZN2at6native31launch_logcumsumexp_cuda_kernelERKNSE_10TensorBaseESI_lENKUlvE_clEvENKUlvE2_clEvEUlS7_S7_E_S7_EEDaPvRmT3_T4_T5_mT6_P12ihipStream_tbENKUlT_T0_E_clISt17integral_constantIbLb0EESY_IbLb1EEEEDaSU_SV_EUlSU_E_NS1_11comp_targetILNS1_3genE4ELNS1_11target_archE910ELNS1_3gpuE8ELNS1_3repE0EEENS1_30default_config_static_selectorELNS0_4arch9wavefront6targetE0EEEvT1_
; %bb.0:
	.section	.rodata,"a",@progbits
	.p2align	6, 0x0
	.amdhsa_kernel _ZN7rocprim17ROCPRIM_400000_NS6detail17trampoline_kernelINS0_14default_configENS1_20scan_config_selectorIN3c107complexIfEEEEZZNS1_9scan_implILNS1_25lookback_scan_determinismE0ELb0ELb0ES3_PKS7_PS7_S7_ZZZN2at6native31launch_logcumsumexp_cuda_kernelERKNSE_10TensorBaseESI_lENKUlvE_clEvENKUlvE2_clEvEUlS7_S7_E_S7_EEDaPvRmT3_T4_T5_mT6_P12ihipStream_tbENKUlT_T0_E_clISt17integral_constantIbLb0EESY_IbLb1EEEEDaSU_SV_EUlSU_E_NS1_11comp_targetILNS1_3genE4ELNS1_11target_archE910ELNS1_3gpuE8ELNS1_3repE0EEENS1_30default_config_static_selectorELNS0_4arch9wavefront6targetE0EEEvT1_
		.amdhsa_group_segment_fixed_size 0
		.amdhsa_private_segment_fixed_size 0
		.amdhsa_kernarg_size 104
		.amdhsa_user_sgpr_count 15
		.amdhsa_user_sgpr_dispatch_ptr 0
		.amdhsa_user_sgpr_queue_ptr 0
		.amdhsa_user_sgpr_kernarg_segment_ptr 1
		.amdhsa_user_sgpr_dispatch_id 0
		.amdhsa_user_sgpr_private_segment_size 0
		.amdhsa_wavefront_size32 1
		.amdhsa_uses_dynamic_stack 0
		.amdhsa_enable_private_segment 0
		.amdhsa_system_sgpr_workgroup_id_x 1
		.amdhsa_system_sgpr_workgroup_id_y 0
		.amdhsa_system_sgpr_workgroup_id_z 0
		.amdhsa_system_sgpr_workgroup_info 0
		.amdhsa_system_vgpr_workitem_id 0
		.amdhsa_next_free_vgpr 1
		.amdhsa_next_free_sgpr 1
		.amdhsa_reserve_vcc 0
		.amdhsa_float_round_mode_32 0
		.amdhsa_float_round_mode_16_64 0
		.amdhsa_float_denorm_mode_32 3
		.amdhsa_float_denorm_mode_16_64 3
		.amdhsa_dx10_clamp 1
		.amdhsa_ieee_mode 1
		.amdhsa_fp16_overflow 0
		.amdhsa_workgroup_processor_mode 1
		.amdhsa_memory_ordered 1
		.amdhsa_forward_progress 0
		.amdhsa_shared_vgpr_count 0
		.amdhsa_exception_fp_ieee_invalid_op 0
		.amdhsa_exception_fp_denorm_src 0
		.amdhsa_exception_fp_ieee_div_zero 0
		.amdhsa_exception_fp_ieee_overflow 0
		.amdhsa_exception_fp_ieee_underflow 0
		.amdhsa_exception_fp_ieee_inexact 0
		.amdhsa_exception_int_div_zero 0
	.end_amdhsa_kernel
	.section	.text._ZN7rocprim17ROCPRIM_400000_NS6detail17trampoline_kernelINS0_14default_configENS1_20scan_config_selectorIN3c107complexIfEEEEZZNS1_9scan_implILNS1_25lookback_scan_determinismE0ELb0ELb0ES3_PKS7_PS7_S7_ZZZN2at6native31launch_logcumsumexp_cuda_kernelERKNSE_10TensorBaseESI_lENKUlvE_clEvENKUlvE2_clEvEUlS7_S7_E_S7_EEDaPvRmT3_T4_T5_mT6_P12ihipStream_tbENKUlT_T0_E_clISt17integral_constantIbLb0EESY_IbLb1EEEEDaSU_SV_EUlSU_E_NS1_11comp_targetILNS1_3genE4ELNS1_11target_archE910ELNS1_3gpuE8ELNS1_3repE0EEENS1_30default_config_static_selectorELNS0_4arch9wavefront6targetE0EEEvT1_,"axG",@progbits,_ZN7rocprim17ROCPRIM_400000_NS6detail17trampoline_kernelINS0_14default_configENS1_20scan_config_selectorIN3c107complexIfEEEEZZNS1_9scan_implILNS1_25lookback_scan_determinismE0ELb0ELb0ES3_PKS7_PS7_S7_ZZZN2at6native31launch_logcumsumexp_cuda_kernelERKNSE_10TensorBaseESI_lENKUlvE_clEvENKUlvE2_clEvEUlS7_S7_E_S7_EEDaPvRmT3_T4_T5_mT6_P12ihipStream_tbENKUlT_T0_E_clISt17integral_constantIbLb0EESY_IbLb1EEEEDaSU_SV_EUlSU_E_NS1_11comp_targetILNS1_3genE4ELNS1_11target_archE910ELNS1_3gpuE8ELNS1_3repE0EEENS1_30default_config_static_selectorELNS0_4arch9wavefront6targetE0EEEvT1_,comdat
.Lfunc_end335:
	.size	_ZN7rocprim17ROCPRIM_400000_NS6detail17trampoline_kernelINS0_14default_configENS1_20scan_config_selectorIN3c107complexIfEEEEZZNS1_9scan_implILNS1_25lookback_scan_determinismE0ELb0ELb0ES3_PKS7_PS7_S7_ZZZN2at6native31launch_logcumsumexp_cuda_kernelERKNSE_10TensorBaseESI_lENKUlvE_clEvENKUlvE2_clEvEUlS7_S7_E_S7_EEDaPvRmT3_T4_T5_mT6_P12ihipStream_tbENKUlT_T0_E_clISt17integral_constantIbLb0EESY_IbLb1EEEEDaSU_SV_EUlSU_E_NS1_11comp_targetILNS1_3genE4ELNS1_11target_archE910ELNS1_3gpuE8ELNS1_3repE0EEENS1_30default_config_static_selectorELNS0_4arch9wavefront6targetE0EEEvT1_, .Lfunc_end335-_ZN7rocprim17ROCPRIM_400000_NS6detail17trampoline_kernelINS0_14default_configENS1_20scan_config_selectorIN3c107complexIfEEEEZZNS1_9scan_implILNS1_25lookback_scan_determinismE0ELb0ELb0ES3_PKS7_PS7_S7_ZZZN2at6native31launch_logcumsumexp_cuda_kernelERKNSE_10TensorBaseESI_lENKUlvE_clEvENKUlvE2_clEvEUlS7_S7_E_S7_EEDaPvRmT3_T4_T5_mT6_P12ihipStream_tbENKUlT_T0_E_clISt17integral_constantIbLb0EESY_IbLb1EEEEDaSU_SV_EUlSU_E_NS1_11comp_targetILNS1_3genE4ELNS1_11target_archE910ELNS1_3gpuE8ELNS1_3repE0EEENS1_30default_config_static_selectorELNS0_4arch9wavefront6targetE0EEEvT1_
                                        ; -- End function
	.section	.AMDGPU.csdata,"",@progbits
; Kernel info:
; codeLenInByte = 0
; NumSgprs: 0
; NumVgprs: 0
; ScratchSize: 0
; MemoryBound: 0
; FloatMode: 240
; IeeeMode: 1
; LDSByteSize: 0 bytes/workgroup (compile time only)
; SGPRBlocks: 0
; VGPRBlocks: 0
; NumSGPRsForWavesPerEU: 1
; NumVGPRsForWavesPerEU: 1
; Occupancy: 16
; WaveLimiterHint : 0
; COMPUTE_PGM_RSRC2:SCRATCH_EN: 0
; COMPUTE_PGM_RSRC2:USER_SGPR: 15
; COMPUTE_PGM_RSRC2:TRAP_HANDLER: 0
; COMPUTE_PGM_RSRC2:TGID_X_EN: 1
; COMPUTE_PGM_RSRC2:TGID_Y_EN: 0
; COMPUTE_PGM_RSRC2:TGID_Z_EN: 0
; COMPUTE_PGM_RSRC2:TIDIG_COMP_CNT: 0
	.section	.text._ZN7rocprim17ROCPRIM_400000_NS6detail17trampoline_kernelINS0_14default_configENS1_20scan_config_selectorIN3c107complexIfEEEEZZNS1_9scan_implILNS1_25lookback_scan_determinismE0ELb0ELb0ES3_PKS7_PS7_S7_ZZZN2at6native31launch_logcumsumexp_cuda_kernelERKNSE_10TensorBaseESI_lENKUlvE_clEvENKUlvE2_clEvEUlS7_S7_E_S7_EEDaPvRmT3_T4_T5_mT6_P12ihipStream_tbENKUlT_T0_E_clISt17integral_constantIbLb0EESY_IbLb1EEEEDaSU_SV_EUlSU_E_NS1_11comp_targetILNS1_3genE3ELNS1_11target_archE908ELNS1_3gpuE7ELNS1_3repE0EEENS1_30default_config_static_selectorELNS0_4arch9wavefront6targetE0EEEvT1_,"axG",@progbits,_ZN7rocprim17ROCPRIM_400000_NS6detail17trampoline_kernelINS0_14default_configENS1_20scan_config_selectorIN3c107complexIfEEEEZZNS1_9scan_implILNS1_25lookback_scan_determinismE0ELb0ELb0ES3_PKS7_PS7_S7_ZZZN2at6native31launch_logcumsumexp_cuda_kernelERKNSE_10TensorBaseESI_lENKUlvE_clEvENKUlvE2_clEvEUlS7_S7_E_S7_EEDaPvRmT3_T4_T5_mT6_P12ihipStream_tbENKUlT_T0_E_clISt17integral_constantIbLb0EESY_IbLb1EEEEDaSU_SV_EUlSU_E_NS1_11comp_targetILNS1_3genE3ELNS1_11target_archE908ELNS1_3gpuE7ELNS1_3repE0EEENS1_30default_config_static_selectorELNS0_4arch9wavefront6targetE0EEEvT1_,comdat
	.globl	_ZN7rocprim17ROCPRIM_400000_NS6detail17trampoline_kernelINS0_14default_configENS1_20scan_config_selectorIN3c107complexIfEEEEZZNS1_9scan_implILNS1_25lookback_scan_determinismE0ELb0ELb0ES3_PKS7_PS7_S7_ZZZN2at6native31launch_logcumsumexp_cuda_kernelERKNSE_10TensorBaseESI_lENKUlvE_clEvENKUlvE2_clEvEUlS7_S7_E_S7_EEDaPvRmT3_T4_T5_mT6_P12ihipStream_tbENKUlT_T0_E_clISt17integral_constantIbLb0EESY_IbLb1EEEEDaSU_SV_EUlSU_E_NS1_11comp_targetILNS1_3genE3ELNS1_11target_archE908ELNS1_3gpuE7ELNS1_3repE0EEENS1_30default_config_static_selectorELNS0_4arch9wavefront6targetE0EEEvT1_ ; -- Begin function _ZN7rocprim17ROCPRIM_400000_NS6detail17trampoline_kernelINS0_14default_configENS1_20scan_config_selectorIN3c107complexIfEEEEZZNS1_9scan_implILNS1_25lookback_scan_determinismE0ELb0ELb0ES3_PKS7_PS7_S7_ZZZN2at6native31launch_logcumsumexp_cuda_kernelERKNSE_10TensorBaseESI_lENKUlvE_clEvENKUlvE2_clEvEUlS7_S7_E_S7_EEDaPvRmT3_T4_T5_mT6_P12ihipStream_tbENKUlT_T0_E_clISt17integral_constantIbLb0EESY_IbLb1EEEEDaSU_SV_EUlSU_E_NS1_11comp_targetILNS1_3genE3ELNS1_11target_archE908ELNS1_3gpuE7ELNS1_3repE0EEENS1_30default_config_static_selectorELNS0_4arch9wavefront6targetE0EEEvT1_
	.p2align	8
	.type	_ZN7rocprim17ROCPRIM_400000_NS6detail17trampoline_kernelINS0_14default_configENS1_20scan_config_selectorIN3c107complexIfEEEEZZNS1_9scan_implILNS1_25lookback_scan_determinismE0ELb0ELb0ES3_PKS7_PS7_S7_ZZZN2at6native31launch_logcumsumexp_cuda_kernelERKNSE_10TensorBaseESI_lENKUlvE_clEvENKUlvE2_clEvEUlS7_S7_E_S7_EEDaPvRmT3_T4_T5_mT6_P12ihipStream_tbENKUlT_T0_E_clISt17integral_constantIbLb0EESY_IbLb1EEEEDaSU_SV_EUlSU_E_NS1_11comp_targetILNS1_3genE3ELNS1_11target_archE908ELNS1_3gpuE7ELNS1_3repE0EEENS1_30default_config_static_selectorELNS0_4arch9wavefront6targetE0EEEvT1_,@function
_ZN7rocprim17ROCPRIM_400000_NS6detail17trampoline_kernelINS0_14default_configENS1_20scan_config_selectorIN3c107complexIfEEEEZZNS1_9scan_implILNS1_25lookback_scan_determinismE0ELb0ELb0ES3_PKS7_PS7_S7_ZZZN2at6native31launch_logcumsumexp_cuda_kernelERKNSE_10TensorBaseESI_lENKUlvE_clEvENKUlvE2_clEvEUlS7_S7_E_S7_EEDaPvRmT3_T4_T5_mT6_P12ihipStream_tbENKUlT_T0_E_clISt17integral_constantIbLb0EESY_IbLb1EEEEDaSU_SV_EUlSU_E_NS1_11comp_targetILNS1_3genE3ELNS1_11target_archE908ELNS1_3gpuE7ELNS1_3repE0EEENS1_30default_config_static_selectorELNS0_4arch9wavefront6targetE0EEEvT1_: ; @_ZN7rocprim17ROCPRIM_400000_NS6detail17trampoline_kernelINS0_14default_configENS1_20scan_config_selectorIN3c107complexIfEEEEZZNS1_9scan_implILNS1_25lookback_scan_determinismE0ELb0ELb0ES3_PKS7_PS7_S7_ZZZN2at6native31launch_logcumsumexp_cuda_kernelERKNSE_10TensorBaseESI_lENKUlvE_clEvENKUlvE2_clEvEUlS7_S7_E_S7_EEDaPvRmT3_T4_T5_mT6_P12ihipStream_tbENKUlT_T0_E_clISt17integral_constantIbLb0EESY_IbLb1EEEEDaSU_SV_EUlSU_E_NS1_11comp_targetILNS1_3genE3ELNS1_11target_archE908ELNS1_3gpuE7ELNS1_3repE0EEENS1_30default_config_static_selectorELNS0_4arch9wavefront6targetE0EEEvT1_
; %bb.0:
	.section	.rodata,"a",@progbits
	.p2align	6, 0x0
	.amdhsa_kernel _ZN7rocprim17ROCPRIM_400000_NS6detail17trampoline_kernelINS0_14default_configENS1_20scan_config_selectorIN3c107complexIfEEEEZZNS1_9scan_implILNS1_25lookback_scan_determinismE0ELb0ELb0ES3_PKS7_PS7_S7_ZZZN2at6native31launch_logcumsumexp_cuda_kernelERKNSE_10TensorBaseESI_lENKUlvE_clEvENKUlvE2_clEvEUlS7_S7_E_S7_EEDaPvRmT3_T4_T5_mT6_P12ihipStream_tbENKUlT_T0_E_clISt17integral_constantIbLb0EESY_IbLb1EEEEDaSU_SV_EUlSU_E_NS1_11comp_targetILNS1_3genE3ELNS1_11target_archE908ELNS1_3gpuE7ELNS1_3repE0EEENS1_30default_config_static_selectorELNS0_4arch9wavefront6targetE0EEEvT1_
		.amdhsa_group_segment_fixed_size 0
		.amdhsa_private_segment_fixed_size 0
		.amdhsa_kernarg_size 104
		.amdhsa_user_sgpr_count 15
		.amdhsa_user_sgpr_dispatch_ptr 0
		.amdhsa_user_sgpr_queue_ptr 0
		.amdhsa_user_sgpr_kernarg_segment_ptr 1
		.amdhsa_user_sgpr_dispatch_id 0
		.amdhsa_user_sgpr_private_segment_size 0
		.amdhsa_wavefront_size32 1
		.amdhsa_uses_dynamic_stack 0
		.amdhsa_enable_private_segment 0
		.amdhsa_system_sgpr_workgroup_id_x 1
		.amdhsa_system_sgpr_workgroup_id_y 0
		.amdhsa_system_sgpr_workgroup_id_z 0
		.amdhsa_system_sgpr_workgroup_info 0
		.amdhsa_system_vgpr_workitem_id 0
		.amdhsa_next_free_vgpr 1
		.amdhsa_next_free_sgpr 1
		.amdhsa_reserve_vcc 0
		.amdhsa_float_round_mode_32 0
		.amdhsa_float_round_mode_16_64 0
		.amdhsa_float_denorm_mode_32 3
		.amdhsa_float_denorm_mode_16_64 3
		.amdhsa_dx10_clamp 1
		.amdhsa_ieee_mode 1
		.amdhsa_fp16_overflow 0
		.amdhsa_workgroup_processor_mode 1
		.amdhsa_memory_ordered 1
		.amdhsa_forward_progress 0
		.amdhsa_shared_vgpr_count 0
		.amdhsa_exception_fp_ieee_invalid_op 0
		.amdhsa_exception_fp_denorm_src 0
		.amdhsa_exception_fp_ieee_div_zero 0
		.amdhsa_exception_fp_ieee_overflow 0
		.amdhsa_exception_fp_ieee_underflow 0
		.amdhsa_exception_fp_ieee_inexact 0
		.amdhsa_exception_int_div_zero 0
	.end_amdhsa_kernel
	.section	.text._ZN7rocprim17ROCPRIM_400000_NS6detail17trampoline_kernelINS0_14default_configENS1_20scan_config_selectorIN3c107complexIfEEEEZZNS1_9scan_implILNS1_25lookback_scan_determinismE0ELb0ELb0ES3_PKS7_PS7_S7_ZZZN2at6native31launch_logcumsumexp_cuda_kernelERKNSE_10TensorBaseESI_lENKUlvE_clEvENKUlvE2_clEvEUlS7_S7_E_S7_EEDaPvRmT3_T4_T5_mT6_P12ihipStream_tbENKUlT_T0_E_clISt17integral_constantIbLb0EESY_IbLb1EEEEDaSU_SV_EUlSU_E_NS1_11comp_targetILNS1_3genE3ELNS1_11target_archE908ELNS1_3gpuE7ELNS1_3repE0EEENS1_30default_config_static_selectorELNS0_4arch9wavefront6targetE0EEEvT1_,"axG",@progbits,_ZN7rocprim17ROCPRIM_400000_NS6detail17trampoline_kernelINS0_14default_configENS1_20scan_config_selectorIN3c107complexIfEEEEZZNS1_9scan_implILNS1_25lookback_scan_determinismE0ELb0ELb0ES3_PKS7_PS7_S7_ZZZN2at6native31launch_logcumsumexp_cuda_kernelERKNSE_10TensorBaseESI_lENKUlvE_clEvENKUlvE2_clEvEUlS7_S7_E_S7_EEDaPvRmT3_T4_T5_mT6_P12ihipStream_tbENKUlT_T0_E_clISt17integral_constantIbLb0EESY_IbLb1EEEEDaSU_SV_EUlSU_E_NS1_11comp_targetILNS1_3genE3ELNS1_11target_archE908ELNS1_3gpuE7ELNS1_3repE0EEENS1_30default_config_static_selectorELNS0_4arch9wavefront6targetE0EEEvT1_,comdat
.Lfunc_end336:
	.size	_ZN7rocprim17ROCPRIM_400000_NS6detail17trampoline_kernelINS0_14default_configENS1_20scan_config_selectorIN3c107complexIfEEEEZZNS1_9scan_implILNS1_25lookback_scan_determinismE0ELb0ELb0ES3_PKS7_PS7_S7_ZZZN2at6native31launch_logcumsumexp_cuda_kernelERKNSE_10TensorBaseESI_lENKUlvE_clEvENKUlvE2_clEvEUlS7_S7_E_S7_EEDaPvRmT3_T4_T5_mT6_P12ihipStream_tbENKUlT_T0_E_clISt17integral_constantIbLb0EESY_IbLb1EEEEDaSU_SV_EUlSU_E_NS1_11comp_targetILNS1_3genE3ELNS1_11target_archE908ELNS1_3gpuE7ELNS1_3repE0EEENS1_30default_config_static_selectorELNS0_4arch9wavefront6targetE0EEEvT1_, .Lfunc_end336-_ZN7rocprim17ROCPRIM_400000_NS6detail17trampoline_kernelINS0_14default_configENS1_20scan_config_selectorIN3c107complexIfEEEEZZNS1_9scan_implILNS1_25lookback_scan_determinismE0ELb0ELb0ES3_PKS7_PS7_S7_ZZZN2at6native31launch_logcumsumexp_cuda_kernelERKNSE_10TensorBaseESI_lENKUlvE_clEvENKUlvE2_clEvEUlS7_S7_E_S7_EEDaPvRmT3_T4_T5_mT6_P12ihipStream_tbENKUlT_T0_E_clISt17integral_constantIbLb0EESY_IbLb1EEEEDaSU_SV_EUlSU_E_NS1_11comp_targetILNS1_3genE3ELNS1_11target_archE908ELNS1_3gpuE7ELNS1_3repE0EEENS1_30default_config_static_selectorELNS0_4arch9wavefront6targetE0EEEvT1_
                                        ; -- End function
	.section	.AMDGPU.csdata,"",@progbits
; Kernel info:
; codeLenInByte = 0
; NumSgprs: 0
; NumVgprs: 0
; ScratchSize: 0
; MemoryBound: 0
; FloatMode: 240
; IeeeMode: 1
; LDSByteSize: 0 bytes/workgroup (compile time only)
; SGPRBlocks: 0
; VGPRBlocks: 0
; NumSGPRsForWavesPerEU: 1
; NumVGPRsForWavesPerEU: 1
; Occupancy: 16
; WaveLimiterHint : 0
; COMPUTE_PGM_RSRC2:SCRATCH_EN: 0
; COMPUTE_PGM_RSRC2:USER_SGPR: 15
; COMPUTE_PGM_RSRC2:TRAP_HANDLER: 0
; COMPUTE_PGM_RSRC2:TGID_X_EN: 1
; COMPUTE_PGM_RSRC2:TGID_Y_EN: 0
; COMPUTE_PGM_RSRC2:TGID_Z_EN: 0
; COMPUTE_PGM_RSRC2:TIDIG_COMP_CNT: 0
	.section	.text._ZN7rocprim17ROCPRIM_400000_NS6detail17trampoline_kernelINS0_14default_configENS1_20scan_config_selectorIN3c107complexIfEEEEZZNS1_9scan_implILNS1_25lookback_scan_determinismE0ELb0ELb0ES3_PKS7_PS7_S7_ZZZN2at6native31launch_logcumsumexp_cuda_kernelERKNSE_10TensorBaseESI_lENKUlvE_clEvENKUlvE2_clEvEUlS7_S7_E_S7_EEDaPvRmT3_T4_T5_mT6_P12ihipStream_tbENKUlT_T0_E_clISt17integral_constantIbLb0EESY_IbLb1EEEEDaSU_SV_EUlSU_E_NS1_11comp_targetILNS1_3genE2ELNS1_11target_archE906ELNS1_3gpuE6ELNS1_3repE0EEENS1_30default_config_static_selectorELNS0_4arch9wavefront6targetE0EEEvT1_,"axG",@progbits,_ZN7rocprim17ROCPRIM_400000_NS6detail17trampoline_kernelINS0_14default_configENS1_20scan_config_selectorIN3c107complexIfEEEEZZNS1_9scan_implILNS1_25lookback_scan_determinismE0ELb0ELb0ES3_PKS7_PS7_S7_ZZZN2at6native31launch_logcumsumexp_cuda_kernelERKNSE_10TensorBaseESI_lENKUlvE_clEvENKUlvE2_clEvEUlS7_S7_E_S7_EEDaPvRmT3_T4_T5_mT6_P12ihipStream_tbENKUlT_T0_E_clISt17integral_constantIbLb0EESY_IbLb1EEEEDaSU_SV_EUlSU_E_NS1_11comp_targetILNS1_3genE2ELNS1_11target_archE906ELNS1_3gpuE6ELNS1_3repE0EEENS1_30default_config_static_selectorELNS0_4arch9wavefront6targetE0EEEvT1_,comdat
	.globl	_ZN7rocprim17ROCPRIM_400000_NS6detail17trampoline_kernelINS0_14default_configENS1_20scan_config_selectorIN3c107complexIfEEEEZZNS1_9scan_implILNS1_25lookback_scan_determinismE0ELb0ELb0ES3_PKS7_PS7_S7_ZZZN2at6native31launch_logcumsumexp_cuda_kernelERKNSE_10TensorBaseESI_lENKUlvE_clEvENKUlvE2_clEvEUlS7_S7_E_S7_EEDaPvRmT3_T4_T5_mT6_P12ihipStream_tbENKUlT_T0_E_clISt17integral_constantIbLb0EESY_IbLb1EEEEDaSU_SV_EUlSU_E_NS1_11comp_targetILNS1_3genE2ELNS1_11target_archE906ELNS1_3gpuE6ELNS1_3repE0EEENS1_30default_config_static_selectorELNS0_4arch9wavefront6targetE0EEEvT1_ ; -- Begin function _ZN7rocprim17ROCPRIM_400000_NS6detail17trampoline_kernelINS0_14default_configENS1_20scan_config_selectorIN3c107complexIfEEEEZZNS1_9scan_implILNS1_25lookback_scan_determinismE0ELb0ELb0ES3_PKS7_PS7_S7_ZZZN2at6native31launch_logcumsumexp_cuda_kernelERKNSE_10TensorBaseESI_lENKUlvE_clEvENKUlvE2_clEvEUlS7_S7_E_S7_EEDaPvRmT3_T4_T5_mT6_P12ihipStream_tbENKUlT_T0_E_clISt17integral_constantIbLb0EESY_IbLb1EEEEDaSU_SV_EUlSU_E_NS1_11comp_targetILNS1_3genE2ELNS1_11target_archE906ELNS1_3gpuE6ELNS1_3repE0EEENS1_30default_config_static_selectorELNS0_4arch9wavefront6targetE0EEEvT1_
	.p2align	8
	.type	_ZN7rocprim17ROCPRIM_400000_NS6detail17trampoline_kernelINS0_14default_configENS1_20scan_config_selectorIN3c107complexIfEEEEZZNS1_9scan_implILNS1_25lookback_scan_determinismE0ELb0ELb0ES3_PKS7_PS7_S7_ZZZN2at6native31launch_logcumsumexp_cuda_kernelERKNSE_10TensorBaseESI_lENKUlvE_clEvENKUlvE2_clEvEUlS7_S7_E_S7_EEDaPvRmT3_T4_T5_mT6_P12ihipStream_tbENKUlT_T0_E_clISt17integral_constantIbLb0EESY_IbLb1EEEEDaSU_SV_EUlSU_E_NS1_11comp_targetILNS1_3genE2ELNS1_11target_archE906ELNS1_3gpuE6ELNS1_3repE0EEENS1_30default_config_static_selectorELNS0_4arch9wavefront6targetE0EEEvT1_,@function
_ZN7rocprim17ROCPRIM_400000_NS6detail17trampoline_kernelINS0_14default_configENS1_20scan_config_selectorIN3c107complexIfEEEEZZNS1_9scan_implILNS1_25lookback_scan_determinismE0ELb0ELb0ES3_PKS7_PS7_S7_ZZZN2at6native31launch_logcumsumexp_cuda_kernelERKNSE_10TensorBaseESI_lENKUlvE_clEvENKUlvE2_clEvEUlS7_S7_E_S7_EEDaPvRmT3_T4_T5_mT6_P12ihipStream_tbENKUlT_T0_E_clISt17integral_constantIbLb0EESY_IbLb1EEEEDaSU_SV_EUlSU_E_NS1_11comp_targetILNS1_3genE2ELNS1_11target_archE906ELNS1_3gpuE6ELNS1_3repE0EEENS1_30default_config_static_selectorELNS0_4arch9wavefront6targetE0EEEvT1_: ; @_ZN7rocprim17ROCPRIM_400000_NS6detail17trampoline_kernelINS0_14default_configENS1_20scan_config_selectorIN3c107complexIfEEEEZZNS1_9scan_implILNS1_25lookback_scan_determinismE0ELb0ELb0ES3_PKS7_PS7_S7_ZZZN2at6native31launch_logcumsumexp_cuda_kernelERKNSE_10TensorBaseESI_lENKUlvE_clEvENKUlvE2_clEvEUlS7_S7_E_S7_EEDaPvRmT3_T4_T5_mT6_P12ihipStream_tbENKUlT_T0_E_clISt17integral_constantIbLb0EESY_IbLb1EEEEDaSU_SV_EUlSU_E_NS1_11comp_targetILNS1_3genE2ELNS1_11target_archE906ELNS1_3gpuE6ELNS1_3repE0EEENS1_30default_config_static_selectorELNS0_4arch9wavefront6targetE0EEEvT1_
; %bb.0:
	.section	.rodata,"a",@progbits
	.p2align	6, 0x0
	.amdhsa_kernel _ZN7rocprim17ROCPRIM_400000_NS6detail17trampoline_kernelINS0_14default_configENS1_20scan_config_selectorIN3c107complexIfEEEEZZNS1_9scan_implILNS1_25lookback_scan_determinismE0ELb0ELb0ES3_PKS7_PS7_S7_ZZZN2at6native31launch_logcumsumexp_cuda_kernelERKNSE_10TensorBaseESI_lENKUlvE_clEvENKUlvE2_clEvEUlS7_S7_E_S7_EEDaPvRmT3_T4_T5_mT6_P12ihipStream_tbENKUlT_T0_E_clISt17integral_constantIbLb0EESY_IbLb1EEEEDaSU_SV_EUlSU_E_NS1_11comp_targetILNS1_3genE2ELNS1_11target_archE906ELNS1_3gpuE6ELNS1_3repE0EEENS1_30default_config_static_selectorELNS0_4arch9wavefront6targetE0EEEvT1_
		.amdhsa_group_segment_fixed_size 0
		.amdhsa_private_segment_fixed_size 0
		.amdhsa_kernarg_size 104
		.amdhsa_user_sgpr_count 15
		.amdhsa_user_sgpr_dispatch_ptr 0
		.amdhsa_user_sgpr_queue_ptr 0
		.amdhsa_user_sgpr_kernarg_segment_ptr 1
		.amdhsa_user_sgpr_dispatch_id 0
		.amdhsa_user_sgpr_private_segment_size 0
		.amdhsa_wavefront_size32 1
		.amdhsa_uses_dynamic_stack 0
		.amdhsa_enable_private_segment 0
		.amdhsa_system_sgpr_workgroup_id_x 1
		.amdhsa_system_sgpr_workgroup_id_y 0
		.amdhsa_system_sgpr_workgroup_id_z 0
		.amdhsa_system_sgpr_workgroup_info 0
		.amdhsa_system_vgpr_workitem_id 0
		.amdhsa_next_free_vgpr 1
		.amdhsa_next_free_sgpr 1
		.amdhsa_reserve_vcc 0
		.amdhsa_float_round_mode_32 0
		.amdhsa_float_round_mode_16_64 0
		.amdhsa_float_denorm_mode_32 3
		.amdhsa_float_denorm_mode_16_64 3
		.amdhsa_dx10_clamp 1
		.amdhsa_ieee_mode 1
		.amdhsa_fp16_overflow 0
		.amdhsa_workgroup_processor_mode 1
		.amdhsa_memory_ordered 1
		.amdhsa_forward_progress 0
		.amdhsa_shared_vgpr_count 0
		.amdhsa_exception_fp_ieee_invalid_op 0
		.amdhsa_exception_fp_denorm_src 0
		.amdhsa_exception_fp_ieee_div_zero 0
		.amdhsa_exception_fp_ieee_overflow 0
		.amdhsa_exception_fp_ieee_underflow 0
		.amdhsa_exception_fp_ieee_inexact 0
		.amdhsa_exception_int_div_zero 0
	.end_amdhsa_kernel
	.section	.text._ZN7rocprim17ROCPRIM_400000_NS6detail17trampoline_kernelINS0_14default_configENS1_20scan_config_selectorIN3c107complexIfEEEEZZNS1_9scan_implILNS1_25lookback_scan_determinismE0ELb0ELb0ES3_PKS7_PS7_S7_ZZZN2at6native31launch_logcumsumexp_cuda_kernelERKNSE_10TensorBaseESI_lENKUlvE_clEvENKUlvE2_clEvEUlS7_S7_E_S7_EEDaPvRmT3_T4_T5_mT6_P12ihipStream_tbENKUlT_T0_E_clISt17integral_constantIbLb0EESY_IbLb1EEEEDaSU_SV_EUlSU_E_NS1_11comp_targetILNS1_3genE2ELNS1_11target_archE906ELNS1_3gpuE6ELNS1_3repE0EEENS1_30default_config_static_selectorELNS0_4arch9wavefront6targetE0EEEvT1_,"axG",@progbits,_ZN7rocprim17ROCPRIM_400000_NS6detail17trampoline_kernelINS0_14default_configENS1_20scan_config_selectorIN3c107complexIfEEEEZZNS1_9scan_implILNS1_25lookback_scan_determinismE0ELb0ELb0ES3_PKS7_PS7_S7_ZZZN2at6native31launch_logcumsumexp_cuda_kernelERKNSE_10TensorBaseESI_lENKUlvE_clEvENKUlvE2_clEvEUlS7_S7_E_S7_EEDaPvRmT3_T4_T5_mT6_P12ihipStream_tbENKUlT_T0_E_clISt17integral_constantIbLb0EESY_IbLb1EEEEDaSU_SV_EUlSU_E_NS1_11comp_targetILNS1_3genE2ELNS1_11target_archE906ELNS1_3gpuE6ELNS1_3repE0EEENS1_30default_config_static_selectorELNS0_4arch9wavefront6targetE0EEEvT1_,comdat
.Lfunc_end337:
	.size	_ZN7rocprim17ROCPRIM_400000_NS6detail17trampoline_kernelINS0_14default_configENS1_20scan_config_selectorIN3c107complexIfEEEEZZNS1_9scan_implILNS1_25lookback_scan_determinismE0ELb0ELb0ES3_PKS7_PS7_S7_ZZZN2at6native31launch_logcumsumexp_cuda_kernelERKNSE_10TensorBaseESI_lENKUlvE_clEvENKUlvE2_clEvEUlS7_S7_E_S7_EEDaPvRmT3_T4_T5_mT6_P12ihipStream_tbENKUlT_T0_E_clISt17integral_constantIbLb0EESY_IbLb1EEEEDaSU_SV_EUlSU_E_NS1_11comp_targetILNS1_3genE2ELNS1_11target_archE906ELNS1_3gpuE6ELNS1_3repE0EEENS1_30default_config_static_selectorELNS0_4arch9wavefront6targetE0EEEvT1_, .Lfunc_end337-_ZN7rocprim17ROCPRIM_400000_NS6detail17trampoline_kernelINS0_14default_configENS1_20scan_config_selectorIN3c107complexIfEEEEZZNS1_9scan_implILNS1_25lookback_scan_determinismE0ELb0ELb0ES3_PKS7_PS7_S7_ZZZN2at6native31launch_logcumsumexp_cuda_kernelERKNSE_10TensorBaseESI_lENKUlvE_clEvENKUlvE2_clEvEUlS7_S7_E_S7_EEDaPvRmT3_T4_T5_mT6_P12ihipStream_tbENKUlT_T0_E_clISt17integral_constantIbLb0EESY_IbLb1EEEEDaSU_SV_EUlSU_E_NS1_11comp_targetILNS1_3genE2ELNS1_11target_archE906ELNS1_3gpuE6ELNS1_3repE0EEENS1_30default_config_static_selectorELNS0_4arch9wavefront6targetE0EEEvT1_
                                        ; -- End function
	.section	.AMDGPU.csdata,"",@progbits
; Kernel info:
; codeLenInByte = 0
; NumSgprs: 0
; NumVgprs: 0
; ScratchSize: 0
; MemoryBound: 0
; FloatMode: 240
; IeeeMode: 1
; LDSByteSize: 0 bytes/workgroup (compile time only)
; SGPRBlocks: 0
; VGPRBlocks: 0
; NumSGPRsForWavesPerEU: 1
; NumVGPRsForWavesPerEU: 1
; Occupancy: 16
; WaveLimiterHint : 0
; COMPUTE_PGM_RSRC2:SCRATCH_EN: 0
; COMPUTE_PGM_RSRC2:USER_SGPR: 15
; COMPUTE_PGM_RSRC2:TRAP_HANDLER: 0
; COMPUTE_PGM_RSRC2:TGID_X_EN: 1
; COMPUTE_PGM_RSRC2:TGID_Y_EN: 0
; COMPUTE_PGM_RSRC2:TGID_Z_EN: 0
; COMPUTE_PGM_RSRC2:TIDIG_COMP_CNT: 0
	.section	.text._ZN7rocprim17ROCPRIM_400000_NS6detail17trampoline_kernelINS0_14default_configENS1_20scan_config_selectorIN3c107complexIfEEEEZZNS1_9scan_implILNS1_25lookback_scan_determinismE0ELb0ELb0ES3_PKS7_PS7_S7_ZZZN2at6native31launch_logcumsumexp_cuda_kernelERKNSE_10TensorBaseESI_lENKUlvE_clEvENKUlvE2_clEvEUlS7_S7_E_S7_EEDaPvRmT3_T4_T5_mT6_P12ihipStream_tbENKUlT_T0_E_clISt17integral_constantIbLb0EESY_IbLb1EEEEDaSU_SV_EUlSU_E_NS1_11comp_targetILNS1_3genE10ELNS1_11target_archE1201ELNS1_3gpuE5ELNS1_3repE0EEENS1_30default_config_static_selectorELNS0_4arch9wavefront6targetE0EEEvT1_,"axG",@progbits,_ZN7rocprim17ROCPRIM_400000_NS6detail17trampoline_kernelINS0_14default_configENS1_20scan_config_selectorIN3c107complexIfEEEEZZNS1_9scan_implILNS1_25lookback_scan_determinismE0ELb0ELb0ES3_PKS7_PS7_S7_ZZZN2at6native31launch_logcumsumexp_cuda_kernelERKNSE_10TensorBaseESI_lENKUlvE_clEvENKUlvE2_clEvEUlS7_S7_E_S7_EEDaPvRmT3_T4_T5_mT6_P12ihipStream_tbENKUlT_T0_E_clISt17integral_constantIbLb0EESY_IbLb1EEEEDaSU_SV_EUlSU_E_NS1_11comp_targetILNS1_3genE10ELNS1_11target_archE1201ELNS1_3gpuE5ELNS1_3repE0EEENS1_30default_config_static_selectorELNS0_4arch9wavefront6targetE0EEEvT1_,comdat
	.globl	_ZN7rocprim17ROCPRIM_400000_NS6detail17trampoline_kernelINS0_14default_configENS1_20scan_config_selectorIN3c107complexIfEEEEZZNS1_9scan_implILNS1_25lookback_scan_determinismE0ELb0ELb0ES3_PKS7_PS7_S7_ZZZN2at6native31launch_logcumsumexp_cuda_kernelERKNSE_10TensorBaseESI_lENKUlvE_clEvENKUlvE2_clEvEUlS7_S7_E_S7_EEDaPvRmT3_T4_T5_mT6_P12ihipStream_tbENKUlT_T0_E_clISt17integral_constantIbLb0EESY_IbLb1EEEEDaSU_SV_EUlSU_E_NS1_11comp_targetILNS1_3genE10ELNS1_11target_archE1201ELNS1_3gpuE5ELNS1_3repE0EEENS1_30default_config_static_selectorELNS0_4arch9wavefront6targetE0EEEvT1_ ; -- Begin function _ZN7rocprim17ROCPRIM_400000_NS6detail17trampoline_kernelINS0_14default_configENS1_20scan_config_selectorIN3c107complexIfEEEEZZNS1_9scan_implILNS1_25lookback_scan_determinismE0ELb0ELb0ES3_PKS7_PS7_S7_ZZZN2at6native31launch_logcumsumexp_cuda_kernelERKNSE_10TensorBaseESI_lENKUlvE_clEvENKUlvE2_clEvEUlS7_S7_E_S7_EEDaPvRmT3_T4_T5_mT6_P12ihipStream_tbENKUlT_T0_E_clISt17integral_constantIbLb0EESY_IbLb1EEEEDaSU_SV_EUlSU_E_NS1_11comp_targetILNS1_3genE10ELNS1_11target_archE1201ELNS1_3gpuE5ELNS1_3repE0EEENS1_30default_config_static_selectorELNS0_4arch9wavefront6targetE0EEEvT1_
	.p2align	8
	.type	_ZN7rocprim17ROCPRIM_400000_NS6detail17trampoline_kernelINS0_14default_configENS1_20scan_config_selectorIN3c107complexIfEEEEZZNS1_9scan_implILNS1_25lookback_scan_determinismE0ELb0ELb0ES3_PKS7_PS7_S7_ZZZN2at6native31launch_logcumsumexp_cuda_kernelERKNSE_10TensorBaseESI_lENKUlvE_clEvENKUlvE2_clEvEUlS7_S7_E_S7_EEDaPvRmT3_T4_T5_mT6_P12ihipStream_tbENKUlT_T0_E_clISt17integral_constantIbLb0EESY_IbLb1EEEEDaSU_SV_EUlSU_E_NS1_11comp_targetILNS1_3genE10ELNS1_11target_archE1201ELNS1_3gpuE5ELNS1_3repE0EEENS1_30default_config_static_selectorELNS0_4arch9wavefront6targetE0EEEvT1_,@function
_ZN7rocprim17ROCPRIM_400000_NS6detail17trampoline_kernelINS0_14default_configENS1_20scan_config_selectorIN3c107complexIfEEEEZZNS1_9scan_implILNS1_25lookback_scan_determinismE0ELb0ELb0ES3_PKS7_PS7_S7_ZZZN2at6native31launch_logcumsumexp_cuda_kernelERKNSE_10TensorBaseESI_lENKUlvE_clEvENKUlvE2_clEvEUlS7_S7_E_S7_EEDaPvRmT3_T4_T5_mT6_P12ihipStream_tbENKUlT_T0_E_clISt17integral_constantIbLb0EESY_IbLb1EEEEDaSU_SV_EUlSU_E_NS1_11comp_targetILNS1_3genE10ELNS1_11target_archE1201ELNS1_3gpuE5ELNS1_3repE0EEENS1_30default_config_static_selectorELNS0_4arch9wavefront6targetE0EEEvT1_: ; @_ZN7rocprim17ROCPRIM_400000_NS6detail17trampoline_kernelINS0_14default_configENS1_20scan_config_selectorIN3c107complexIfEEEEZZNS1_9scan_implILNS1_25lookback_scan_determinismE0ELb0ELb0ES3_PKS7_PS7_S7_ZZZN2at6native31launch_logcumsumexp_cuda_kernelERKNSE_10TensorBaseESI_lENKUlvE_clEvENKUlvE2_clEvEUlS7_S7_E_S7_EEDaPvRmT3_T4_T5_mT6_P12ihipStream_tbENKUlT_T0_E_clISt17integral_constantIbLb0EESY_IbLb1EEEEDaSU_SV_EUlSU_E_NS1_11comp_targetILNS1_3genE10ELNS1_11target_archE1201ELNS1_3gpuE5ELNS1_3repE0EEENS1_30default_config_static_selectorELNS0_4arch9wavefront6targetE0EEEvT1_
; %bb.0:
	.section	.rodata,"a",@progbits
	.p2align	6, 0x0
	.amdhsa_kernel _ZN7rocprim17ROCPRIM_400000_NS6detail17trampoline_kernelINS0_14default_configENS1_20scan_config_selectorIN3c107complexIfEEEEZZNS1_9scan_implILNS1_25lookback_scan_determinismE0ELb0ELb0ES3_PKS7_PS7_S7_ZZZN2at6native31launch_logcumsumexp_cuda_kernelERKNSE_10TensorBaseESI_lENKUlvE_clEvENKUlvE2_clEvEUlS7_S7_E_S7_EEDaPvRmT3_T4_T5_mT6_P12ihipStream_tbENKUlT_T0_E_clISt17integral_constantIbLb0EESY_IbLb1EEEEDaSU_SV_EUlSU_E_NS1_11comp_targetILNS1_3genE10ELNS1_11target_archE1201ELNS1_3gpuE5ELNS1_3repE0EEENS1_30default_config_static_selectorELNS0_4arch9wavefront6targetE0EEEvT1_
		.amdhsa_group_segment_fixed_size 0
		.amdhsa_private_segment_fixed_size 0
		.amdhsa_kernarg_size 104
		.amdhsa_user_sgpr_count 15
		.amdhsa_user_sgpr_dispatch_ptr 0
		.amdhsa_user_sgpr_queue_ptr 0
		.amdhsa_user_sgpr_kernarg_segment_ptr 1
		.amdhsa_user_sgpr_dispatch_id 0
		.amdhsa_user_sgpr_private_segment_size 0
		.amdhsa_wavefront_size32 1
		.amdhsa_uses_dynamic_stack 0
		.amdhsa_enable_private_segment 0
		.amdhsa_system_sgpr_workgroup_id_x 1
		.amdhsa_system_sgpr_workgroup_id_y 0
		.amdhsa_system_sgpr_workgroup_id_z 0
		.amdhsa_system_sgpr_workgroup_info 0
		.amdhsa_system_vgpr_workitem_id 0
		.amdhsa_next_free_vgpr 1
		.amdhsa_next_free_sgpr 1
		.amdhsa_reserve_vcc 0
		.amdhsa_float_round_mode_32 0
		.amdhsa_float_round_mode_16_64 0
		.amdhsa_float_denorm_mode_32 3
		.amdhsa_float_denorm_mode_16_64 3
		.amdhsa_dx10_clamp 1
		.amdhsa_ieee_mode 1
		.amdhsa_fp16_overflow 0
		.amdhsa_workgroup_processor_mode 1
		.amdhsa_memory_ordered 1
		.amdhsa_forward_progress 0
		.amdhsa_shared_vgpr_count 0
		.amdhsa_exception_fp_ieee_invalid_op 0
		.amdhsa_exception_fp_denorm_src 0
		.amdhsa_exception_fp_ieee_div_zero 0
		.amdhsa_exception_fp_ieee_overflow 0
		.amdhsa_exception_fp_ieee_underflow 0
		.amdhsa_exception_fp_ieee_inexact 0
		.amdhsa_exception_int_div_zero 0
	.end_amdhsa_kernel
	.section	.text._ZN7rocprim17ROCPRIM_400000_NS6detail17trampoline_kernelINS0_14default_configENS1_20scan_config_selectorIN3c107complexIfEEEEZZNS1_9scan_implILNS1_25lookback_scan_determinismE0ELb0ELb0ES3_PKS7_PS7_S7_ZZZN2at6native31launch_logcumsumexp_cuda_kernelERKNSE_10TensorBaseESI_lENKUlvE_clEvENKUlvE2_clEvEUlS7_S7_E_S7_EEDaPvRmT3_T4_T5_mT6_P12ihipStream_tbENKUlT_T0_E_clISt17integral_constantIbLb0EESY_IbLb1EEEEDaSU_SV_EUlSU_E_NS1_11comp_targetILNS1_3genE10ELNS1_11target_archE1201ELNS1_3gpuE5ELNS1_3repE0EEENS1_30default_config_static_selectorELNS0_4arch9wavefront6targetE0EEEvT1_,"axG",@progbits,_ZN7rocprim17ROCPRIM_400000_NS6detail17trampoline_kernelINS0_14default_configENS1_20scan_config_selectorIN3c107complexIfEEEEZZNS1_9scan_implILNS1_25lookback_scan_determinismE0ELb0ELb0ES3_PKS7_PS7_S7_ZZZN2at6native31launch_logcumsumexp_cuda_kernelERKNSE_10TensorBaseESI_lENKUlvE_clEvENKUlvE2_clEvEUlS7_S7_E_S7_EEDaPvRmT3_T4_T5_mT6_P12ihipStream_tbENKUlT_T0_E_clISt17integral_constantIbLb0EESY_IbLb1EEEEDaSU_SV_EUlSU_E_NS1_11comp_targetILNS1_3genE10ELNS1_11target_archE1201ELNS1_3gpuE5ELNS1_3repE0EEENS1_30default_config_static_selectorELNS0_4arch9wavefront6targetE0EEEvT1_,comdat
.Lfunc_end338:
	.size	_ZN7rocprim17ROCPRIM_400000_NS6detail17trampoline_kernelINS0_14default_configENS1_20scan_config_selectorIN3c107complexIfEEEEZZNS1_9scan_implILNS1_25lookback_scan_determinismE0ELb0ELb0ES3_PKS7_PS7_S7_ZZZN2at6native31launch_logcumsumexp_cuda_kernelERKNSE_10TensorBaseESI_lENKUlvE_clEvENKUlvE2_clEvEUlS7_S7_E_S7_EEDaPvRmT3_T4_T5_mT6_P12ihipStream_tbENKUlT_T0_E_clISt17integral_constantIbLb0EESY_IbLb1EEEEDaSU_SV_EUlSU_E_NS1_11comp_targetILNS1_3genE10ELNS1_11target_archE1201ELNS1_3gpuE5ELNS1_3repE0EEENS1_30default_config_static_selectorELNS0_4arch9wavefront6targetE0EEEvT1_, .Lfunc_end338-_ZN7rocprim17ROCPRIM_400000_NS6detail17trampoline_kernelINS0_14default_configENS1_20scan_config_selectorIN3c107complexIfEEEEZZNS1_9scan_implILNS1_25lookback_scan_determinismE0ELb0ELb0ES3_PKS7_PS7_S7_ZZZN2at6native31launch_logcumsumexp_cuda_kernelERKNSE_10TensorBaseESI_lENKUlvE_clEvENKUlvE2_clEvEUlS7_S7_E_S7_EEDaPvRmT3_T4_T5_mT6_P12ihipStream_tbENKUlT_T0_E_clISt17integral_constantIbLb0EESY_IbLb1EEEEDaSU_SV_EUlSU_E_NS1_11comp_targetILNS1_3genE10ELNS1_11target_archE1201ELNS1_3gpuE5ELNS1_3repE0EEENS1_30default_config_static_selectorELNS0_4arch9wavefront6targetE0EEEvT1_
                                        ; -- End function
	.section	.AMDGPU.csdata,"",@progbits
; Kernel info:
; codeLenInByte = 0
; NumSgprs: 0
; NumVgprs: 0
; ScratchSize: 0
; MemoryBound: 0
; FloatMode: 240
; IeeeMode: 1
; LDSByteSize: 0 bytes/workgroup (compile time only)
; SGPRBlocks: 0
; VGPRBlocks: 0
; NumSGPRsForWavesPerEU: 1
; NumVGPRsForWavesPerEU: 1
; Occupancy: 16
; WaveLimiterHint : 0
; COMPUTE_PGM_RSRC2:SCRATCH_EN: 0
; COMPUTE_PGM_RSRC2:USER_SGPR: 15
; COMPUTE_PGM_RSRC2:TRAP_HANDLER: 0
; COMPUTE_PGM_RSRC2:TGID_X_EN: 1
; COMPUTE_PGM_RSRC2:TGID_Y_EN: 0
; COMPUTE_PGM_RSRC2:TGID_Z_EN: 0
; COMPUTE_PGM_RSRC2:TIDIG_COMP_CNT: 0
	.section	.text._ZN7rocprim17ROCPRIM_400000_NS6detail17trampoline_kernelINS0_14default_configENS1_20scan_config_selectorIN3c107complexIfEEEEZZNS1_9scan_implILNS1_25lookback_scan_determinismE0ELb0ELb0ES3_PKS7_PS7_S7_ZZZN2at6native31launch_logcumsumexp_cuda_kernelERKNSE_10TensorBaseESI_lENKUlvE_clEvENKUlvE2_clEvEUlS7_S7_E_S7_EEDaPvRmT3_T4_T5_mT6_P12ihipStream_tbENKUlT_T0_E_clISt17integral_constantIbLb0EESY_IbLb1EEEEDaSU_SV_EUlSU_E_NS1_11comp_targetILNS1_3genE10ELNS1_11target_archE1200ELNS1_3gpuE4ELNS1_3repE0EEENS1_30default_config_static_selectorELNS0_4arch9wavefront6targetE0EEEvT1_,"axG",@progbits,_ZN7rocprim17ROCPRIM_400000_NS6detail17trampoline_kernelINS0_14default_configENS1_20scan_config_selectorIN3c107complexIfEEEEZZNS1_9scan_implILNS1_25lookback_scan_determinismE0ELb0ELb0ES3_PKS7_PS7_S7_ZZZN2at6native31launch_logcumsumexp_cuda_kernelERKNSE_10TensorBaseESI_lENKUlvE_clEvENKUlvE2_clEvEUlS7_S7_E_S7_EEDaPvRmT3_T4_T5_mT6_P12ihipStream_tbENKUlT_T0_E_clISt17integral_constantIbLb0EESY_IbLb1EEEEDaSU_SV_EUlSU_E_NS1_11comp_targetILNS1_3genE10ELNS1_11target_archE1200ELNS1_3gpuE4ELNS1_3repE0EEENS1_30default_config_static_selectorELNS0_4arch9wavefront6targetE0EEEvT1_,comdat
	.globl	_ZN7rocprim17ROCPRIM_400000_NS6detail17trampoline_kernelINS0_14default_configENS1_20scan_config_selectorIN3c107complexIfEEEEZZNS1_9scan_implILNS1_25lookback_scan_determinismE0ELb0ELb0ES3_PKS7_PS7_S7_ZZZN2at6native31launch_logcumsumexp_cuda_kernelERKNSE_10TensorBaseESI_lENKUlvE_clEvENKUlvE2_clEvEUlS7_S7_E_S7_EEDaPvRmT3_T4_T5_mT6_P12ihipStream_tbENKUlT_T0_E_clISt17integral_constantIbLb0EESY_IbLb1EEEEDaSU_SV_EUlSU_E_NS1_11comp_targetILNS1_3genE10ELNS1_11target_archE1200ELNS1_3gpuE4ELNS1_3repE0EEENS1_30default_config_static_selectorELNS0_4arch9wavefront6targetE0EEEvT1_ ; -- Begin function _ZN7rocprim17ROCPRIM_400000_NS6detail17trampoline_kernelINS0_14default_configENS1_20scan_config_selectorIN3c107complexIfEEEEZZNS1_9scan_implILNS1_25lookback_scan_determinismE0ELb0ELb0ES3_PKS7_PS7_S7_ZZZN2at6native31launch_logcumsumexp_cuda_kernelERKNSE_10TensorBaseESI_lENKUlvE_clEvENKUlvE2_clEvEUlS7_S7_E_S7_EEDaPvRmT3_T4_T5_mT6_P12ihipStream_tbENKUlT_T0_E_clISt17integral_constantIbLb0EESY_IbLb1EEEEDaSU_SV_EUlSU_E_NS1_11comp_targetILNS1_3genE10ELNS1_11target_archE1200ELNS1_3gpuE4ELNS1_3repE0EEENS1_30default_config_static_selectorELNS0_4arch9wavefront6targetE0EEEvT1_
	.p2align	8
	.type	_ZN7rocprim17ROCPRIM_400000_NS6detail17trampoline_kernelINS0_14default_configENS1_20scan_config_selectorIN3c107complexIfEEEEZZNS1_9scan_implILNS1_25lookback_scan_determinismE0ELb0ELb0ES3_PKS7_PS7_S7_ZZZN2at6native31launch_logcumsumexp_cuda_kernelERKNSE_10TensorBaseESI_lENKUlvE_clEvENKUlvE2_clEvEUlS7_S7_E_S7_EEDaPvRmT3_T4_T5_mT6_P12ihipStream_tbENKUlT_T0_E_clISt17integral_constantIbLb0EESY_IbLb1EEEEDaSU_SV_EUlSU_E_NS1_11comp_targetILNS1_3genE10ELNS1_11target_archE1200ELNS1_3gpuE4ELNS1_3repE0EEENS1_30default_config_static_selectorELNS0_4arch9wavefront6targetE0EEEvT1_,@function
_ZN7rocprim17ROCPRIM_400000_NS6detail17trampoline_kernelINS0_14default_configENS1_20scan_config_selectorIN3c107complexIfEEEEZZNS1_9scan_implILNS1_25lookback_scan_determinismE0ELb0ELb0ES3_PKS7_PS7_S7_ZZZN2at6native31launch_logcumsumexp_cuda_kernelERKNSE_10TensorBaseESI_lENKUlvE_clEvENKUlvE2_clEvEUlS7_S7_E_S7_EEDaPvRmT3_T4_T5_mT6_P12ihipStream_tbENKUlT_T0_E_clISt17integral_constantIbLb0EESY_IbLb1EEEEDaSU_SV_EUlSU_E_NS1_11comp_targetILNS1_3genE10ELNS1_11target_archE1200ELNS1_3gpuE4ELNS1_3repE0EEENS1_30default_config_static_selectorELNS0_4arch9wavefront6targetE0EEEvT1_: ; @_ZN7rocprim17ROCPRIM_400000_NS6detail17trampoline_kernelINS0_14default_configENS1_20scan_config_selectorIN3c107complexIfEEEEZZNS1_9scan_implILNS1_25lookback_scan_determinismE0ELb0ELb0ES3_PKS7_PS7_S7_ZZZN2at6native31launch_logcumsumexp_cuda_kernelERKNSE_10TensorBaseESI_lENKUlvE_clEvENKUlvE2_clEvEUlS7_S7_E_S7_EEDaPvRmT3_T4_T5_mT6_P12ihipStream_tbENKUlT_T0_E_clISt17integral_constantIbLb0EESY_IbLb1EEEEDaSU_SV_EUlSU_E_NS1_11comp_targetILNS1_3genE10ELNS1_11target_archE1200ELNS1_3gpuE4ELNS1_3repE0EEENS1_30default_config_static_selectorELNS0_4arch9wavefront6targetE0EEEvT1_
; %bb.0:
	.section	.rodata,"a",@progbits
	.p2align	6, 0x0
	.amdhsa_kernel _ZN7rocprim17ROCPRIM_400000_NS6detail17trampoline_kernelINS0_14default_configENS1_20scan_config_selectorIN3c107complexIfEEEEZZNS1_9scan_implILNS1_25lookback_scan_determinismE0ELb0ELb0ES3_PKS7_PS7_S7_ZZZN2at6native31launch_logcumsumexp_cuda_kernelERKNSE_10TensorBaseESI_lENKUlvE_clEvENKUlvE2_clEvEUlS7_S7_E_S7_EEDaPvRmT3_T4_T5_mT6_P12ihipStream_tbENKUlT_T0_E_clISt17integral_constantIbLb0EESY_IbLb1EEEEDaSU_SV_EUlSU_E_NS1_11comp_targetILNS1_3genE10ELNS1_11target_archE1200ELNS1_3gpuE4ELNS1_3repE0EEENS1_30default_config_static_selectorELNS0_4arch9wavefront6targetE0EEEvT1_
		.amdhsa_group_segment_fixed_size 0
		.amdhsa_private_segment_fixed_size 0
		.amdhsa_kernarg_size 104
		.amdhsa_user_sgpr_count 15
		.amdhsa_user_sgpr_dispatch_ptr 0
		.amdhsa_user_sgpr_queue_ptr 0
		.amdhsa_user_sgpr_kernarg_segment_ptr 1
		.amdhsa_user_sgpr_dispatch_id 0
		.amdhsa_user_sgpr_private_segment_size 0
		.amdhsa_wavefront_size32 1
		.amdhsa_uses_dynamic_stack 0
		.amdhsa_enable_private_segment 0
		.amdhsa_system_sgpr_workgroup_id_x 1
		.amdhsa_system_sgpr_workgroup_id_y 0
		.amdhsa_system_sgpr_workgroup_id_z 0
		.amdhsa_system_sgpr_workgroup_info 0
		.amdhsa_system_vgpr_workitem_id 0
		.amdhsa_next_free_vgpr 1
		.amdhsa_next_free_sgpr 1
		.amdhsa_reserve_vcc 0
		.amdhsa_float_round_mode_32 0
		.amdhsa_float_round_mode_16_64 0
		.amdhsa_float_denorm_mode_32 3
		.amdhsa_float_denorm_mode_16_64 3
		.amdhsa_dx10_clamp 1
		.amdhsa_ieee_mode 1
		.amdhsa_fp16_overflow 0
		.amdhsa_workgroup_processor_mode 1
		.amdhsa_memory_ordered 1
		.amdhsa_forward_progress 0
		.amdhsa_shared_vgpr_count 0
		.amdhsa_exception_fp_ieee_invalid_op 0
		.amdhsa_exception_fp_denorm_src 0
		.amdhsa_exception_fp_ieee_div_zero 0
		.amdhsa_exception_fp_ieee_overflow 0
		.amdhsa_exception_fp_ieee_underflow 0
		.amdhsa_exception_fp_ieee_inexact 0
		.amdhsa_exception_int_div_zero 0
	.end_amdhsa_kernel
	.section	.text._ZN7rocprim17ROCPRIM_400000_NS6detail17trampoline_kernelINS0_14default_configENS1_20scan_config_selectorIN3c107complexIfEEEEZZNS1_9scan_implILNS1_25lookback_scan_determinismE0ELb0ELb0ES3_PKS7_PS7_S7_ZZZN2at6native31launch_logcumsumexp_cuda_kernelERKNSE_10TensorBaseESI_lENKUlvE_clEvENKUlvE2_clEvEUlS7_S7_E_S7_EEDaPvRmT3_T4_T5_mT6_P12ihipStream_tbENKUlT_T0_E_clISt17integral_constantIbLb0EESY_IbLb1EEEEDaSU_SV_EUlSU_E_NS1_11comp_targetILNS1_3genE10ELNS1_11target_archE1200ELNS1_3gpuE4ELNS1_3repE0EEENS1_30default_config_static_selectorELNS0_4arch9wavefront6targetE0EEEvT1_,"axG",@progbits,_ZN7rocprim17ROCPRIM_400000_NS6detail17trampoline_kernelINS0_14default_configENS1_20scan_config_selectorIN3c107complexIfEEEEZZNS1_9scan_implILNS1_25lookback_scan_determinismE0ELb0ELb0ES3_PKS7_PS7_S7_ZZZN2at6native31launch_logcumsumexp_cuda_kernelERKNSE_10TensorBaseESI_lENKUlvE_clEvENKUlvE2_clEvEUlS7_S7_E_S7_EEDaPvRmT3_T4_T5_mT6_P12ihipStream_tbENKUlT_T0_E_clISt17integral_constantIbLb0EESY_IbLb1EEEEDaSU_SV_EUlSU_E_NS1_11comp_targetILNS1_3genE10ELNS1_11target_archE1200ELNS1_3gpuE4ELNS1_3repE0EEENS1_30default_config_static_selectorELNS0_4arch9wavefront6targetE0EEEvT1_,comdat
.Lfunc_end339:
	.size	_ZN7rocprim17ROCPRIM_400000_NS6detail17trampoline_kernelINS0_14default_configENS1_20scan_config_selectorIN3c107complexIfEEEEZZNS1_9scan_implILNS1_25lookback_scan_determinismE0ELb0ELb0ES3_PKS7_PS7_S7_ZZZN2at6native31launch_logcumsumexp_cuda_kernelERKNSE_10TensorBaseESI_lENKUlvE_clEvENKUlvE2_clEvEUlS7_S7_E_S7_EEDaPvRmT3_T4_T5_mT6_P12ihipStream_tbENKUlT_T0_E_clISt17integral_constantIbLb0EESY_IbLb1EEEEDaSU_SV_EUlSU_E_NS1_11comp_targetILNS1_3genE10ELNS1_11target_archE1200ELNS1_3gpuE4ELNS1_3repE0EEENS1_30default_config_static_selectorELNS0_4arch9wavefront6targetE0EEEvT1_, .Lfunc_end339-_ZN7rocprim17ROCPRIM_400000_NS6detail17trampoline_kernelINS0_14default_configENS1_20scan_config_selectorIN3c107complexIfEEEEZZNS1_9scan_implILNS1_25lookback_scan_determinismE0ELb0ELb0ES3_PKS7_PS7_S7_ZZZN2at6native31launch_logcumsumexp_cuda_kernelERKNSE_10TensorBaseESI_lENKUlvE_clEvENKUlvE2_clEvEUlS7_S7_E_S7_EEDaPvRmT3_T4_T5_mT6_P12ihipStream_tbENKUlT_T0_E_clISt17integral_constantIbLb0EESY_IbLb1EEEEDaSU_SV_EUlSU_E_NS1_11comp_targetILNS1_3genE10ELNS1_11target_archE1200ELNS1_3gpuE4ELNS1_3repE0EEENS1_30default_config_static_selectorELNS0_4arch9wavefront6targetE0EEEvT1_
                                        ; -- End function
	.section	.AMDGPU.csdata,"",@progbits
; Kernel info:
; codeLenInByte = 0
; NumSgprs: 0
; NumVgprs: 0
; ScratchSize: 0
; MemoryBound: 0
; FloatMode: 240
; IeeeMode: 1
; LDSByteSize: 0 bytes/workgroup (compile time only)
; SGPRBlocks: 0
; VGPRBlocks: 0
; NumSGPRsForWavesPerEU: 1
; NumVGPRsForWavesPerEU: 1
; Occupancy: 16
; WaveLimiterHint : 0
; COMPUTE_PGM_RSRC2:SCRATCH_EN: 0
; COMPUTE_PGM_RSRC2:USER_SGPR: 15
; COMPUTE_PGM_RSRC2:TRAP_HANDLER: 0
; COMPUTE_PGM_RSRC2:TGID_X_EN: 1
; COMPUTE_PGM_RSRC2:TGID_Y_EN: 0
; COMPUTE_PGM_RSRC2:TGID_Z_EN: 0
; COMPUTE_PGM_RSRC2:TIDIG_COMP_CNT: 0
	.section	.text._ZN7rocprim17ROCPRIM_400000_NS6detail17trampoline_kernelINS0_14default_configENS1_20scan_config_selectorIN3c107complexIfEEEEZZNS1_9scan_implILNS1_25lookback_scan_determinismE0ELb0ELb0ES3_PKS7_PS7_S7_ZZZN2at6native31launch_logcumsumexp_cuda_kernelERKNSE_10TensorBaseESI_lENKUlvE_clEvENKUlvE2_clEvEUlS7_S7_E_S7_EEDaPvRmT3_T4_T5_mT6_P12ihipStream_tbENKUlT_T0_E_clISt17integral_constantIbLb0EESY_IbLb1EEEEDaSU_SV_EUlSU_E_NS1_11comp_targetILNS1_3genE9ELNS1_11target_archE1100ELNS1_3gpuE3ELNS1_3repE0EEENS1_30default_config_static_selectorELNS0_4arch9wavefront6targetE0EEEvT1_,"axG",@progbits,_ZN7rocprim17ROCPRIM_400000_NS6detail17trampoline_kernelINS0_14default_configENS1_20scan_config_selectorIN3c107complexIfEEEEZZNS1_9scan_implILNS1_25lookback_scan_determinismE0ELb0ELb0ES3_PKS7_PS7_S7_ZZZN2at6native31launch_logcumsumexp_cuda_kernelERKNSE_10TensorBaseESI_lENKUlvE_clEvENKUlvE2_clEvEUlS7_S7_E_S7_EEDaPvRmT3_T4_T5_mT6_P12ihipStream_tbENKUlT_T0_E_clISt17integral_constantIbLb0EESY_IbLb1EEEEDaSU_SV_EUlSU_E_NS1_11comp_targetILNS1_3genE9ELNS1_11target_archE1100ELNS1_3gpuE3ELNS1_3repE0EEENS1_30default_config_static_selectorELNS0_4arch9wavefront6targetE0EEEvT1_,comdat
	.globl	_ZN7rocprim17ROCPRIM_400000_NS6detail17trampoline_kernelINS0_14default_configENS1_20scan_config_selectorIN3c107complexIfEEEEZZNS1_9scan_implILNS1_25lookback_scan_determinismE0ELb0ELb0ES3_PKS7_PS7_S7_ZZZN2at6native31launch_logcumsumexp_cuda_kernelERKNSE_10TensorBaseESI_lENKUlvE_clEvENKUlvE2_clEvEUlS7_S7_E_S7_EEDaPvRmT3_T4_T5_mT6_P12ihipStream_tbENKUlT_T0_E_clISt17integral_constantIbLb0EESY_IbLb1EEEEDaSU_SV_EUlSU_E_NS1_11comp_targetILNS1_3genE9ELNS1_11target_archE1100ELNS1_3gpuE3ELNS1_3repE0EEENS1_30default_config_static_selectorELNS0_4arch9wavefront6targetE0EEEvT1_ ; -- Begin function _ZN7rocprim17ROCPRIM_400000_NS6detail17trampoline_kernelINS0_14default_configENS1_20scan_config_selectorIN3c107complexIfEEEEZZNS1_9scan_implILNS1_25lookback_scan_determinismE0ELb0ELb0ES3_PKS7_PS7_S7_ZZZN2at6native31launch_logcumsumexp_cuda_kernelERKNSE_10TensorBaseESI_lENKUlvE_clEvENKUlvE2_clEvEUlS7_S7_E_S7_EEDaPvRmT3_T4_T5_mT6_P12ihipStream_tbENKUlT_T0_E_clISt17integral_constantIbLb0EESY_IbLb1EEEEDaSU_SV_EUlSU_E_NS1_11comp_targetILNS1_3genE9ELNS1_11target_archE1100ELNS1_3gpuE3ELNS1_3repE0EEENS1_30default_config_static_selectorELNS0_4arch9wavefront6targetE0EEEvT1_
	.p2align	8
	.type	_ZN7rocprim17ROCPRIM_400000_NS6detail17trampoline_kernelINS0_14default_configENS1_20scan_config_selectorIN3c107complexIfEEEEZZNS1_9scan_implILNS1_25lookback_scan_determinismE0ELb0ELb0ES3_PKS7_PS7_S7_ZZZN2at6native31launch_logcumsumexp_cuda_kernelERKNSE_10TensorBaseESI_lENKUlvE_clEvENKUlvE2_clEvEUlS7_S7_E_S7_EEDaPvRmT3_T4_T5_mT6_P12ihipStream_tbENKUlT_T0_E_clISt17integral_constantIbLb0EESY_IbLb1EEEEDaSU_SV_EUlSU_E_NS1_11comp_targetILNS1_3genE9ELNS1_11target_archE1100ELNS1_3gpuE3ELNS1_3repE0EEENS1_30default_config_static_selectorELNS0_4arch9wavefront6targetE0EEEvT1_,@function
_ZN7rocprim17ROCPRIM_400000_NS6detail17trampoline_kernelINS0_14default_configENS1_20scan_config_selectorIN3c107complexIfEEEEZZNS1_9scan_implILNS1_25lookback_scan_determinismE0ELb0ELb0ES3_PKS7_PS7_S7_ZZZN2at6native31launch_logcumsumexp_cuda_kernelERKNSE_10TensorBaseESI_lENKUlvE_clEvENKUlvE2_clEvEUlS7_S7_E_S7_EEDaPvRmT3_T4_T5_mT6_P12ihipStream_tbENKUlT_T0_E_clISt17integral_constantIbLb0EESY_IbLb1EEEEDaSU_SV_EUlSU_E_NS1_11comp_targetILNS1_3genE9ELNS1_11target_archE1100ELNS1_3gpuE3ELNS1_3repE0EEENS1_30default_config_static_selectorELNS0_4arch9wavefront6targetE0EEEvT1_: ; @_ZN7rocprim17ROCPRIM_400000_NS6detail17trampoline_kernelINS0_14default_configENS1_20scan_config_selectorIN3c107complexIfEEEEZZNS1_9scan_implILNS1_25lookback_scan_determinismE0ELb0ELb0ES3_PKS7_PS7_S7_ZZZN2at6native31launch_logcumsumexp_cuda_kernelERKNSE_10TensorBaseESI_lENKUlvE_clEvENKUlvE2_clEvEUlS7_S7_E_S7_EEDaPvRmT3_T4_T5_mT6_P12ihipStream_tbENKUlT_T0_E_clISt17integral_constantIbLb0EESY_IbLb1EEEEDaSU_SV_EUlSU_E_NS1_11comp_targetILNS1_3genE9ELNS1_11target_archE1100ELNS1_3gpuE3ELNS1_3repE0EEENS1_30default_config_static_selectorELNS0_4arch9wavefront6targetE0EEEvT1_
; %bb.0:
	s_load_b64 s[28:29], s[0:1], 0x30
	v_mov_b32_e32 v59, v0
	s_mov_b32 s32, 0
	s_delay_alu instid0(VALU_DEP_1) | instskip(SKIP_1) | instid1(VALU_DEP_1)
	v_cmp_ne_u32_e64 s9, 0, v59
	v_cmp_eq_u32_e64 s10, 0, v59
	s_and_saveexec_b32 s2, s10
	s_cbranch_execz .LBB340_4
; %bb.1:
	s_mov_b32 s4, exec_lo
	s_mov_b32 s3, exec_lo
	v_mbcnt_lo_u32_b32 v0, s4, 0
                                        ; implicit-def: $vgpr1
	s_delay_alu instid0(VALU_DEP_1)
	v_cmpx_eq_u32_e32 0, v0
	s_cbranch_execz .LBB340_3
; %bb.2:
	s_load_b64 s[6:7], s[0:1], 0x60
	s_bcnt1_i32_b32 s4, s4
	s_delay_alu instid0(SALU_CYCLE_1)
	v_dual_mov_b32 v1, 0 :: v_dual_mov_b32 v2, s4
	s_waitcnt lgkmcnt(0)
	global_atomic_add_u32 v1, v1, v2, s[6:7] glc
.LBB340_3:
	s_or_b32 exec_lo, exec_lo, s3
	s_waitcnt vmcnt(0)
	v_readfirstlane_b32 s3, v1
	s_delay_alu instid0(VALU_DEP_1)
	v_dual_mov_b32 v1, 0 :: v_dual_add_nc_u32 v0, s3, v0
	ds_store_b32 v1, v0
.LBB340_4:
	s_or_b32 exec_lo, exec_lo, s2
	v_dual_mov_b32 v0, 0 :: v_dual_lshlrev_b32 v109, 3, v59
	s_clause 0x2
	s_load_b256 s[20:27], s[0:1], 0x0
	s_load_b32 s2, s[0:1], 0x38
	s_load_b256 s[12:19], s[0:1], 0x40
	s_waitcnt lgkmcnt(0)
	s_barrier
	buffer_gl0_inv
	ds_load_b32 v0, v0
	s_mov_b32 s1, 0
	v_lshrrev_b32_e32 v32, 2, v59
	v_or_b32_e32 v108, 0x100, v59
	v_or_b32_e32 v107, 0x200, v59
	;; [unrolled: 1-line block ×11, first 2 shown]
	s_lshl_b64 s[22:23], s[22:23], 3
	v_or_b32_e32 v98, 0xc00, v59
	s_add_u32 s3, s20, s22
	s_addc_u32 s4, s21, s23
	s_add_i32 s2, s2, -1
	v_or_b32_e32 v96, 0xd00, v59
	s_waitcnt lgkmcnt(0)
	v_readfirstlane_b32 s35, v0
	s_lshl_b32 s5, s2, 12
	v_cmp_ne_u32_e64 s8, s2, v0
	v_or_b32_e32 v95, 0xe00, v59
	v_or_b32_e32 v94, 0xf00, v59
	s_lshl_b32 s0, s35, 12
	s_sub_u32 s33, s26, s5
	s_subb_u32 s34, s27, 0
	s_lshl_b64 s[20:21], s[0:1], 3
	s_mov_b32 s1, -1
	s_add_u32 s2, s3, s20
	s_addc_u32 s3, s4, s21
	s_and_b32 vcc_lo, exec_lo, s8
	s_barrier
	buffer_gl0_inv
	s_cbranch_vccz .LBB340_6
; %bb.5:
	v_add_co_u32 v26, s0, s2, v109
	s_delay_alu instid0(VALU_DEP_1)
	v_add_co_ci_u32_e64 v27, null, s3, 0, s0
	s_clause 0x1
	global_load_b64 v[0:1], v109, s[2:3]
	global_load_b64 v[2:3], v109, s[2:3] offset:2048
	v_add_co_u32 v4, vcc_lo, 0x1000, v26
	v_add_co_ci_u32_e32 v5, vcc_lo, 0, v27, vcc_lo
	v_add_co_u32 v6, vcc_lo, v26, 0x2000
	v_add_co_ci_u32_e32 v7, vcc_lo, 0, v27, vcc_lo
	;; [unrolled: 2-line block ×10, first 2 shown]
	s_clause 0xd
	global_load_b64 v[16:17], v[6:7], off offset:-4096
	global_load_b64 v[6:7], v[6:7], off
	global_load_b64 v[18:19], v[12:13], off offset:-4096
	global_load_b64 v[12:13], v[12:13], off
	global_load_b64 v[4:5], v[4:5], off offset:2048
	global_load_b64 v[8:9], v[8:9], off offset:2048
	;; [unrolled: 1-line block ×4, first 2 shown]
	global_load_b64 v[28:29], v[22:23], off offset:-4096
	global_load_b64 v[20:21], v[20:21], off offset:2048
	global_load_b64 v[22:23], v[22:23], off
	global_load_b64 v[24:25], v[24:25], off offset:2048
	global_load_b64 v[30:31], v[26:27], off
	global_load_b64 v[26:27], v[26:27], off offset:2048
	v_lshrrev_b32_e32 v34, 2, v108
	v_lshrrev_b32_e32 v35, 2, v107
	;; [unrolled: 1-line block ×4, first 2 shown]
	v_and_b32_e32 v33, 56, v32
	v_lshrrev_b32_e32 v38, 2, v104
	v_lshrrev_b32_e32 v39, 2, v103
	;; [unrolled: 1-line block ×11, first 2 shown]
	v_and_b32_e32 v34, 0x78, v34
	v_and_b32_e32 v35, 0xb8, v35
	;; [unrolled: 1-line block ×4, first 2 shown]
	v_add_nc_u32_e32 v33, v33, v109
	v_and_b32_e32 v38, 0x178, v38
	v_and_b32_e32 v39, 0x1b8, v39
	;; [unrolled: 1-line block ×11, first 2 shown]
	v_add_nc_u32_e32 v34, v34, v109
	v_add_nc_u32_e32 v35, v35, v109
	;; [unrolled: 1-line block ×4, first 2 shown]
	s_mov_b32 s1, 0
	v_add_nc_u32_e32 v38, v38, v109
	v_add_nc_u32_e32 v39, v39, v109
	;; [unrolled: 1-line block ×11, first 2 shown]
	s_waitcnt vmcnt(15)
	ds_store_b64 v33, v[0:1]
	s_waitcnt vmcnt(14)
	ds_store_b64 v34, v[2:3] offset:2048
	s_waitcnt vmcnt(13)
	ds_store_b64 v35, v[16:17] offset:4096
	;; [unrolled: 2-line block ×3, first 2 shown]
	ds_store_b64 v37, v[6:7] offset:8192
	s_waitcnt vmcnt(8)
	ds_store_b64 v38, v[8:9] offset:10240
	ds_store_b64 v39, v[18:19] offset:12288
	s_waitcnt vmcnt(7)
	ds_store_b64 v40, v[10:11] offset:14336
	;; [unrolled: 3-line block ×3, first 2 shown]
	s_waitcnt vmcnt(5)
	ds_store_b64 v43, v[28:29] offset:20480
	s_waitcnt vmcnt(4)
	ds_store_b64 v44, v[20:21] offset:22528
	;; [unrolled: 2-line block ×6, first 2 shown]
	s_waitcnt lgkmcnt(0)
	s_barrier
.LBB340_6:
	v_cmp_gt_u32_e64 s0, s33, v59
	s_and_not1_b32 vcc_lo, exec_lo, s1
	s_cbranch_vccnz .LBB340_40
; %bb.7:
	v_mov_b32_e32 v0, 0
	global_load_b64 v[0:1], v0, s[2:3]
	s_waitcnt vmcnt(0)
	v_dual_mov_b32 v3, v1 :: v_dual_mov_b32 v2, v0
	s_and_saveexec_b32 s1, s0
	s_cbranch_execz .LBB340_9
; %bb.8:
	global_load_b64 v[2:3], v109, s[2:3]
.LBB340_9:
	s_or_b32 exec_lo, exec_lo, s1
	v_dual_mov_b32 v5, v1 :: v_dual_mov_b32 v4, v0
	s_mov_b32 s0, exec_lo
	v_cmpx_gt_u32_e64 s33, v108
	s_cbranch_execz .LBB340_11
; %bb.10:
	global_load_b64 v[4:5], v109, s[2:3] offset:2048
.LBB340_11:
	s_or_b32 exec_lo, exec_lo, s0
	v_dual_mov_b32 v7, v1 :: v_dual_mov_b32 v6, v0
	s_mov_b32 s0, exec_lo
	v_cmpx_gt_u32_e64 s33, v107
	s_cbranch_execz .LBB340_13
; %bb.12:
	v_lshlrev_b32_e32 v6, 3, v107
	global_load_b64 v[6:7], v6, s[2:3]
.LBB340_13:
	s_or_b32 exec_lo, exec_lo, s0
	v_dual_mov_b32 v11, v1 :: v_dual_mov_b32 v10, v0
	s_mov_b32 s0, exec_lo
	v_cmpx_gt_u32_e64 s33, v106
	s_cbranch_execz .LBB340_15
; %bb.14:
	v_lshlrev_b32_e32 v8, 3, v106
	global_load_b64 v[10:11], v8, s[2:3]
.LBB340_15:
	;; [unrolled: 9-line block ×13, first 2 shown]
	s_or_b32 exec_lo, exec_lo, s0
	s_delay_alu instid0(SALU_CYCLE_1)
	s_mov_b32 s0, exec_lo
	v_cmpx_gt_u32_e64 s33, v94
	s_cbranch_execz .LBB340_39
; %bb.38:
	v_lshlrev_b32_e32 v0, 3, v94
	global_load_b64 v[0:1], v0, s[2:3]
.LBB340_39:
	s_or_b32 exec_lo, exec_lo, s0
	v_lshrrev_b32_e32 v33, 2, v108
	v_lshrrev_b32_e32 v34, 2, v107
	;; [unrolled: 1-line block ×3, first 2 shown]
	v_and_b32_e32 v32, 56, v32
	v_lshrrev_b32_e32 v36, 2, v105
	v_and_b32_e32 v33, 0x78, v33
	v_and_b32_e32 v34, 0xf8, v34
	;; [unrolled: 1-line block ×3, first 2 shown]
	v_lshrrev_b32_e32 v37, 2, v104
	v_add_nc_u32_e32 v32, v32, v109
	v_add_nc_u32_e32 v33, v33, v109
	v_lshrrev_b32_e32 v38, 2, v103
	v_add_nc_u32_e32 v34, v34, v109
	v_lshrrev_b32_e32 v39, 2, v102
	v_add_nc_u32_e32 v35, v35, v109
	v_and_b32_e32 v36, 0x1f8, v36
	v_and_b32_e32 v37, 0x1f8, v37
	s_waitcnt vmcnt(0)
	ds_store_b64 v32, v[2:3]
	ds_store_b64 v33, v[4:5] offset:2048
	ds_store_b64 v34, v[6:7] offset:4096
	;; [unrolled: 1-line block ×3, first 2 shown]
	v_lshrrev_b32_e32 v6, 2, v101
	v_and_b32_e32 v4, 0x1f8, v38
	v_lshrrev_b32_e32 v7, 2, v100
	v_and_b32_e32 v5, 0x1f8, v39
	v_add_nc_u32_e32 v2, v36, v109
	v_add_nc_u32_e32 v3, v37, v109
	v_and_b32_e32 v6, 0x3f8, v6
	v_add_nc_u32_e32 v4, v4, v109
	v_and_b32_e32 v7, 0x3f8, v7
	v_add_nc_u32_e32 v5, v5, v109
	v_lshrrev_b32_e32 v10, 2, v99
	ds_store_b64 v2, v[8:9] offset:8192
	ds_store_b64 v3, v[12:13] offset:10240
	;; [unrolled: 1-line block ×4, first 2 shown]
	v_lshrrev_b32_e32 v5, 2, v97
	v_add_nc_u32_e32 v2, v6, v109
	v_lshrrev_b32_e32 v6, 2, v98
	v_add_nc_u32_e32 v3, v7, v109
	v_lshrrev_b32_e32 v7, 2, v96
	v_lshrrev_b32_e32 v8, 2, v95
	;; [unrolled: 1-line block ×3, first 2 shown]
	v_and_b32_e32 v10, 0x3f8, v10
	v_and_b32_e32 v5, 0x3f8, v5
	;; [unrolled: 1-line block ×6, first 2 shown]
	v_add_nc_u32_e32 v4, v10, v109
	v_add_nc_u32_e32 v5, v5, v109
	;; [unrolled: 1-line block ×6, first 2 shown]
	ds_store_b64 v2, v[14:15] offset:16384
	ds_store_b64 v3, v[18:19] offset:18432
	;; [unrolled: 1-line block ×8, first 2 shown]
	s_waitcnt lgkmcnt(0)
	s_barrier
.LBB340_40:
	v_lshlrev_b32_e32 v0, 4, v59
	v_lshrrev_b32_e32 v110, 1, v59
	buffer_gl0_inv
	s_cmp_lg_u32 s35, 0
	v_add_lshl_u32 v0, v110, v0, 3
	ds_load_2addr_b64 v[22:25], v0 offset1:1
	ds_load_2addr_b64 v[50:53], v0 offset0:2 offset1:3
	ds_load_2addr_b64 v[46:49], v0 offset0:4 offset1:5
	;; [unrolled: 1-line block ×7, first 2 shown]
	s_waitcnt lgkmcnt(0)
	s_barrier
	buffer_gl0_inv
	s_cbranch_scc0 .LBB340_92
; %bb.41:
	v_dual_mov_b32 v0, v22 :: v_dual_mov_b32 v1, v23
	v_dual_mov_b32 v2, v24 :: v_dual_mov_b32 v3, v25
	s_getpc_b64 s[26:27]
	s_add_u32 s26, s26, _ZZZZN2at6native31launch_logcumsumexp_cuda_kernelERKNS_10TensorBaseES3_lENKUlvE_clEvENKUlvE2_clEvENKUlN3c107complexIfEES8_E_clES8_S8_@rel32@lo+4
	s_addc_u32 s27, s27, _ZZZZN2at6native31launch_logcumsumexp_cuda_kernelERKNS_10TensorBaseES3_lENKUlvE_clEvENKUlvE2_clEvENKUlN3c107complexIfEES8_E_clES8_S8_@rel32@hi+12
	s_delay_alu instid0(SALU_CYCLE_1)
	s_swappc_b64 s[30:31], s[26:27]
	v_dual_mov_b32 v2, v50 :: v_dual_mov_b32 v3, v51
	s_swappc_b64 s[30:31], s[26:27]
	v_dual_mov_b32 v2, v52 :: v_dual_mov_b32 v3, v53
	;; [unrolled: 2-line block ×15, first 2 shown]
	v_lshrrev_b32_e32 v0, 5, v59
	v_cmp_gt_u32_e64 s11, 32, v59
	s_delay_alu instid0(VALU_DEP_2)
	v_add_lshl_u32 v0, v0, v59, 3
	ds_store_b64 v0, v[60:61]
	s_waitcnt lgkmcnt(0)
	s_waitcnt_vscnt null, 0x0
	s_barrier
	buffer_gl0_inv
	s_and_saveexec_b32 s36, s11
	s_cbranch_execz .LBB340_53
; %bb.42:
	v_lshlrev_b32_e32 v0, 1, v59
	s_delay_alu instid0(VALU_DEP_1) | instskip(NEXT) | instid1(VALU_DEP_1)
	v_and_b32_e32 v0, 0x1f8, v0
	v_lshl_or_b32 v58, v59, 6, v0
	ds_load_b64 v[54:55], v58
	ds_load_2addr_b64 v[62:65], v58 offset0:1 offset1:2
	s_waitcnt lgkmcnt(0)
	v_dual_mov_b32 v0, v54 :: v_dual_mov_b32 v3, v63
	v_dual_mov_b32 v1, v55 :: v_dual_mov_b32 v2, v62
	s_swappc_b64 s[30:31], s[26:27]
	v_dual_mov_b32 v2, v64 :: v_dual_mov_b32 v3, v65
	s_swappc_b64 s[30:31], s[26:27]
	ds_load_2addr_b64 v[62:65], v58 offset0:3 offset1:4
	s_waitcnt lgkmcnt(0)
	v_dual_mov_b32 v2, v62 :: v_dual_mov_b32 v3, v63
	s_swappc_b64 s[30:31], s[26:27]
	v_dual_mov_b32 v2, v64 :: v_dual_mov_b32 v3, v65
	s_swappc_b64 s[30:31], s[26:27]
	ds_load_2addr_b64 v[62:65], v58 offset0:5 offset1:6
	s_waitcnt lgkmcnt(0)
	v_dual_mov_b32 v2, v62 :: v_dual_mov_b32 v3, v63
	s_swappc_b64 s[30:31], s[26:27]
	v_dual_mov_b32 v2, v64 :: v_dual_mov_b32 v3, v65
	s_swappc_b64 s[30:31], s[26:27]
	ds_load_b64 v[2:3], v58 offset:56
	s_swappc_b64 s[30:31], s[26:27]
	v_dual_mov_b32 v2, v0 :: v_dual_mov_b32 v3, v1
	v_mbcnt_lo_u32_b32 v56, -1, 0
	s_mov_b32 s26, exec_lo
	s_delay_alu instid0(VALU_DEP_2) | instskip(NEXT) | instid1(VALU_DEP_3)
	v_mov_b32_dpp v0, v2 row_shr:1 row_mask:0xf bank_mask:0xf
	v_mov_b32_dpp v1, v3 row_shr:1 row_mask:0xf bank_mask:0xf
	s_delay_alu instid0(VALU_DEP_3) | instskip(NEXT) | instid1(VALU_DEP_1)
	v_and_b32_e32 v57, 15, v56
	v_cmpx_ne_u32_e32 0, v57
	s_cbranch_execz .LBB340_44
; %bb.43:
	s_getpc_b64 s[0:1]
	s_add_u32 s0, s0, _ZZZZN2at6native31launch_logcumsumexp_cuda_kernelERKNS_10TensorBaseES3_lENKUlvE_clEvENKUlvE2_clEvENKUlN3c107complexIfEES8_E_clES8_S8_@rel32@lo+4
	s_addc_u32 s1, s1, _ZZZZN2at6native31launch_logcumsumexp_cuda_kernelERKNS_10TensorBaseES3_lENKUlvE_clEvENKUlvE2_clEvENKUlN3c107complexIfEES8_E_clES8_S8_@rel32@hi+12
	s_delay_alu instid0(SALU_CYCLE_1)
	s_swappc_b64 s[30:31], s[0:1]
	v_dual_mov_b32 v2, v0 :: v_dual_mov_b32 v3, v1
.LBB340_44:
	s_or_b32 exec_lo, exec_lo, s26
	s_delay_alu instid0(VALU_DEP_1) | instskip(NEXT) | instid1(VALU_DEP_2)
	v_mov_b32_dpp v0, v2 row_shr:2 row_mask:0xf bank_mask:0xf
	v_mov_b32_dpp v1, v3 row_shr:2 row_mask:0xf bank_mask:0xf
	s_mov_b32 s26, exec_lo
	v_cmpx_lt_u32_e32 1, v57
	s_cbranch_execz .LBB340_46
; %bb.45:
	s_getpc_b64 s[0:1]
	s_add_u32 s0, s0, _ZZZZN2at6native31launch_logcumsumexp_cuda_kernelERKNS_10TensorBaseES3_lENKUlvE_clEvENKUlvE2_clEvENKUlN3c107complexIfEES8_E_clES8_S8_@rel32@lo+4
	s_addc_u32 s1, s1, _ZZZZN2at6native31launch_logcumsumexp_cuda_kernelERKNS_10TensorBaseES3_lENKUlvE_clEvENKUlvE2_clEvENKUlN3c107complexIfEES8_E_clES8_S8_@rel32@hi+12
	s_delay_alu instid0(SALU_CYCLE_1)
	s_swappc_b64 s[30:31], s[0:1]
	v_dual_mov_b32 v2, v0 :: v_dual_mov_b32 v3, v1
.LBB340_46:
	s_or_b32 exec_lo, exec_lo, s26
	s_delay_alu instid0(VALU_DEP_1) | instskip(NEXT) | instid1(VALU_DEP_2)
	v_mov_b32_dpp v0, v2 row_shr:4 row_mask:0xf bank_mask:0xf
	v_mov_b32_dpp v1, v3 row_shr:4 row_mask:0xf bank_mask:0xf
	s_mov_b32 s26, exec_lo
	v_cmpx_lt_u32_e32 3, v57
	s_cbranch_execz .LBB340_48
; %bb.47:
	s_getpc_b64 s[0:1]
	s_add_u32 s0, s0, _ZZZZN2at6native31launch_logcumsumexp_cuda_kernelERKNS_10TensorBaseES3_lENKUlvE_clEvENKUlvE2_clEvENKUlN3c107complexIfEES8_E_clES8_S8_@rel32@lo+4
	s_addc_u32 s1, s1, _ZZZZN2at6native31launch_logcumsumexp_cuda_kernelERKNS_10TensorBaseES3_lENKUlvE_clEvENKUlvE2_clEvENKUlN3c107complexIfEES8_E_clES8_S8_@rel32@hi+12
	s_delay_alu instid0(SALU_CYCLE_1)
	s_swappc_b64 s[30:31], s[0:1]
	v_dual_mov_b32 v2, v0 :: v_dual_mov_b32 v3, v1
.LBB340_48:
	s_or_b32 exec_lo, exec_lo, s26
	s_delay_alu instid0(VALU_DEP_1) | instskip(NEXT) | instid1(VALU_DEP_2)
	v_mov_b32_dpp v0, v2 row_shr:8 row_mask:0xf bank_mask:0xf
	v_mov_b32_dpp v1, v3 row_shr:8 row_mask:0xf bank_mask:0xf
	s_mov_b32 s26, exec_lo
	v_cmpx_lt_u32_e32 7, v57
	s_cbranch_execz .LBB340_50
; %bb.49:
	s_getpc_b64 s[0:1]
	s_add_u32 s0, s0, _ZZZZN2at6native31launch_logcumsumexp_cuda_kernelERKNS_10TensorBaseES3_lENKUlvE_clEvENKUlvE2_clEvENKUlN3c107complexIfEES8_E_clES8_S8_@rel32@lo+4
	s_addc_u32 s1, s1, _ZZZZN2at6native31launch_logcumsumexp_cuda_kernelERKNS_10TensorBaseES3_lENKUlvE_clEvENKUlvE2_clEvENKUlN3c107complexIfEES8_E_clES8_S8_@rel32@hi+12
	s_delay_alu instid0(SALU_CYCLE_1)
	s_swappc_b64 s[30:31], s[0:1]
	v_dual_mov_b32 v2, v0 :: v_dual_mov_b32 v3, v1
.LBB340_50:
	s_or_b32 exec_lo, exec_lo, s26
	ds_swizzle_b32 v0, v2 offset:swizzle(BROADCAST,32,15)
	ds_swizzle_b32 v1, v3 offset:swizzle(BROADCAST,32,15)
	v_and_b32_e32 v4, 16, v56
	s_mov_b32 s26, exec_lo
	s_delay_alu instid0(VALU_DEP_1)
	v_cmpx_ne_u32_e32 0, v4
	s_cbranch_execz .LBB340_52
; %bb.51:
	s_getpc_b64 s[0:1]
	s_add_u32 s0, s0, _ZZZZN2at6native31launch_logcumsumexp_cuda_kernelERKNS_10TensorBaseES3_lENKUlvE_clEvENKUlvE2_clEvENKUlN3c107complexIfEES8_E_clES8_S8_@rel32@lo+4
	s_addc_u32 s1, s1, _ZZZZN2at6native31launch_logcumsumexp_cuda_kernelERKNS_10TensorBaseES3_lENKUlvE_clEvENKUlvE2_clEvENKUlN3c107complexIfEES8_E_clES8_S8_@rel32@hi+12
	s_delay_alu instid0(SALU_CYCLE_1)
	s_swappc_b64 s[30:31], s[0:1]
	v_dual_mov_b32 v2, v0 :: v_dual_mov_b32 v3, v1
.LBB340_52:
	s_or_b32 exec_lo, exec_lo, s26
	s_waitcnt lgkmcnt(1)
	v_add_nc_u32_e32 v0, -1, v56
	s_getpc_b64 s[26:27]
	s_add_u32 s26, s26, _ZZZZN2at6native31launch_logcumsumexp_cuda_kernelERKNS_10TensorBaseES3_lENKUlvE_clEvENKUlvE2_clEvENKUlN3c107complexIfEES8_E_clES8_S8_@rel32@lo+4
	s_addc_u32 s27, s27, _ZZZZN2at6native31launch_logcumsumexp_cuda_kernelERKNS_10TensorBaseES3_lENKUlvE_clEvENKUlvE2_clEvENKUlN3c107complexIfEES8_E_clES8_S8_@rel32@hi+12
	s_delay_alu instid0(VALU_DEP_1) | instskip(SKIP_2) | instid1(VALU_DEP_1)
	v_cmp_gt_i32_e32 vcc_lo, 0, v0
	v_cndmask_b32_e32 v0, v0, v56, vcc_lo
	s_waitcnt lgkmcnt(0)
	v_lshlrev_b32_e32 v1, 2, v0
	ds_bpermute_b32 v0, v1, v2
	v_mov_b32_e32 v2, v54
	ds_bpermute_b32 v1, v1, v3
	v_mov_b32_e32 v3, v55
	s_swappc_b64 s[30:31], s[26:27]
	v_cndmask_b32_e64 v0, v0, v60, s10
	v_cndmask_b32_e64 v1, v1, v61, s10
	; wave barrier
	ds_store_b64 v58, v[0:1]
	; wave barrier
	ds_load_2addr_b64 v[54:57], v58 offset0:1 offset1:2
	s_waitcnt lgkmcnt(0)
	v_dual_mov_b32 v2, v54 :: v_dual_mov_b32 v3, v55
	s_swappc_b64 s[30:31], s[26:27]
	v_dual_mov_b32 v2, v56 :: v_dual_mov_b32 v3, v57
	v_dual_mov_b32 v62, v0 :: v_dual_mov_b32 v63, v1
	s_swappc_b64 s[30:31], s[26:27]
	ds_load_2addr_b64 v[54:57], v58 offset0:3 offset1:4
	ds_store_2addr_b64 v58, v[62:63], v[0:1] offset0:1 offset1:2
	s_waitcnt lgkmcnt(1)
	v_dual_mov_b32 v2, v54 :: v_dual_mov_b32 v3, v55
	s_swappc_b64 s[30:31], s[26:27]
	v_dual_mov_b32 v2, v56 :: v_dual_mov_b32 v3, v57
	v_dual_mov_b32 v62, v0 :: v_dual_mov_b32 v63, v1
	s_swappc_b64 s[30:31], s[26:27]
	ds_load_2addr_b64 v[54:57], v58 offset0:5 offset1:6
	ds_store_2addr_b64 v58, v[62:63], v[0:1] offset0:3 offset1:4
	s_waitcnt lgkmcnt(1)
	v_dual_mov_b32 v2, v54 :: v_dual_mov_b32 v3, v55
	s_swappc_b64 s[30:31], s[26:27]
	v_dual_mov_b32 v2, v56 :: v_dual_mov_b32 v3, v57
	v_dual_mov_b32 v54, v0 :: v_dual_mov_b32 v55, v1
	s_swappc_b64 s[30:31], s[26:27]
	ds_load_b64 v[2:3], v58 offset:56
	ds_store_2addr_b64 v58, v[54:55], v[0:1] offset0:5 offset1:6
	s_swappc_b64 s[30:31], s[26:27]
	ds_store_b64 v58, v[0:1] offset:56
.LBB340_53:
	s_or_b32 exec_lo, exec_lo, s36
	s_waitcnt lgkmcnt(0)
	s_waitcnt_vscnt null, 0x0
	s_barrier
	buffer_gl0_inv
	s_and_saveexec_b32 s0, s9
	s_cbranch_execz .LBB340_55
; %bb.54:
	v_add_nc_u32_e32 v0, -1, v59
	s_delay_alu instid0(VALU_DEP_1) | instskip(NEXT) | instid1(VALU_DEP_1)
	v_lshrrev_b32_e32 v1, 5, v0
	v_add_lshl_u32 v0, v1, v0, 3
	ds_load_b64 v[60:61], v0
.LBB340_55:
	s_or_b32 exec_lo, exec_lo, s0
	s_and_saveexec_b32 s26, s11
	s_cbranch_execz .LBB340_97
; %bb.56:
	v_mov_b32_e32 v57, 0
	v_mbcnt_lo_u32_b32 v67, -1, 0
	s_mov_b32 s1, 0
	ds_load_b64 v[54:55], v57 offset:2096
	v_cmp_eq_u32_e64 s11, 0, v67
	s_waitcnt lgkmcnt(0)
	v_readfirstlane_b32 s27, v55
	s_delay_alu instid0(VALU_DEP_2)
	s_and_saveexec_b32 s2, s11
	s_cbranch_execz .LBB340_58
; %bb.57:
	s_add_i32 s0, s35, 32
	s_mov_b32 s6, s1
	s_lshl_b64 s[4:5], s[0:1], 4
	s_mov_b32 s30, s1
	s_add_u32 s4, s28, s4
	s_addc_u32 s5, s29, s5
	s_and_b32 s7, s27, 0xff000000
	s_and_b32 s31, s27, 0xff0000
	v_dual_mov_b32 v0, s4 :: v_dual_mov_b32 v1, s5
	s_or_b64 s[6:7], s[30:31], s[6:7]
	s_and_b32 s31, s27, 0xff00
	v_mov_b32_e32 v56, 1
	s_or_b64 s[6:7], s[6:7], s[30:31]
	s_and_b32 s31, s27, 0xff
	s_delay_alu instid0(SALU_CYCLE_1) | instskip(NEXT) | instid1(SALU_CYCLE_1)
	s_or_b64 s[0:1], s[6:7], s[30:31]
	v_mov_b32_e32 v55, s1
	;;#ASMSTART
	global_store_dwordx4 v[0:1], v[54:57] off	
s_waitcnt vmcnt(0)
	;;#ASMEND
.LBB340_58:
	s_or_b32 exec_lo, exec_lo, s2
	v_xad_u32 v65, v67, -1, s35
	s_mov_b32 s0, exec_lo
	s_delay_alu instid0(VALU_DEP_1) | instskip(NEXT) | instid1(VALU_DEP_1)
	v_add_nc_u32_e32 v56, 32, v65
	v_lshlrev_b64 v[0:1], 4, v[56:57]
	s_delay_alu instid0(VALU_DEP_1) | instskip(NEXT) | instid1(VALU_DEP_2)
	v_add_co_u32 v0, vcc_lo, s28, v0
	v_add_co_ci_u32_e32 v1, vcc_lo, s29, v1, vcc_lo
	;;#ASMSTART
	global_load_dwordx4 v[55:58], v[0:1] off glc	
s_waitcnt vmcnt(0)
	;;#ASMEND
	v_perm_b32 v2, v56, v57, 0x70605
	v_perm_b32 v3, v56, v57, 0x1000706
	;; [unrolled: 1-line block ×3, first 2 shown]
	v_and_b32_e32 v5, 0xff, v57
	s_delay_alu instid0(VALU_DEP_4) | instskip(NEXT) | instid1(VALU_DEP_4)
	v_lshlrev_b32_e32 v2, 8, v2
	v_lshlrev_b32_e32 v3, 16, v3
	s_delay_alu instid0(VALU_DEP_4) | instskip(NEXT) | instid1(VALU_DEP_3)
	v_lshlrev_b32_e32 v4, 24, v4
	v_perm_b32 v2, v2, v56, 0xc0c0500
	s_delay_alu instid0(VALU_DEP_3) | instskip(NEXT) | instid1(VALU_DEP_1)
	v_and_b32_e32 v3, 0xff0000, v3
	v_or3_b32 v58, v2, v3, v4
	v_cmpx_eq_u16_e32 0, v5
	s_cbranch_execz .LBB340_62
; %bb.59:
	s_mov_b32 s1, 0
.LBB340_60:                             ; =>This Inner Loop Header: Depth=1
	;;#ASMSTART
	global_load_dwordx4 v[55:58], v[0:1] off glc	
s_waitcnt vmcnt(0)
	;;#ASMEND
	v_and_b32_e32 v2, 0xff, v57
	s_delay_alu instid0(VALU_DEP_1) | instskip(SKIP_1) | instid1(SALU_CYCLE_1)
	v_cmp_ne_u16_e32 vcc_lo, 0, v2
	s_or_b32 s1, vcc_lo, s1
	s_and_not1_b32 exec_lo, exec_lo, s1
	s_cbranch_execnz .LBB340_60
; %bb.61:
	s_or_b32 exec_lo, exec_lo, s1
	v_perm_b32 v0, v56, v57, 0x70605
	v_perm_b32 v1, v56, v57, 0x1000706
	;; [unrolled: 1-line block ×3, first 2 shown]
	s_delay_alu instid0(VALU_DEP_3) | instskip(NEXT) | instid1(VALU_DEP_3)
	v_lshlrev_b32_e32 v0, 8, v0
	v_lshlrev_b32_e32 v1, 16, v1
	s_delay_alu instid0(VALU_DEP_3) | instskip(NEXT) | instid1(VALU_DEP_3)
	v_lshlrev_b32_e32 v2, 24, v2
	v_perm_b32 v0, v0, v56, 0xc0c0500
	s_delay_alu instid0(VALU_DEP_3) | instskip(NEXT) | instid1(VALU_DEP_1)
	v_and_b32_e32 v1, 0xff0000, v1
	v_or3_b32 v58, v0, v1, v2
.LBB340_62:
	s_or_b32 exec_lo, exec_lo, s0
	v_cmp_ne_u32_e32 vcc_lo, 31, v67
	v_and_b32_e32 v1, 0xff, v57
	v_lshlrev_b32_e64 v69, v67, -1
	s_mov_b32 s36, exec_lo
	v_add_co_ci_u32_e32 v0, vcc_lo, 0, v67, vcc_lo
	s_delay_alu instid0(VALU_DEP_3) | instskip(NEXT) | instid1(VALU_DEP_2)
	v_cmp_eq_u16_e32 vcc_lo, 2, v1
	v_lshlrev_b32_e32 v68, 2, v0
	v_and_or_b32 v2, vcc_lo, v69, 0x80000000
	ds_bpermute_b32 v0, v68, v55
	ds_bpermute_b32 v1, v68, v58
	v_ctz_i32_b32_e32 v62, v2
	s_delay_alu instid0(VALU_DEP_1)
	v_cmpx_lt_u32_e64 v67, v62
	s_cbranch_execz .LBB340_64
; %bb.63:
	v_dual_mov_b32 v2, v55 :: v_dual_mov_b32 v3, v58
	s_getpc_b64 s[0:1]
	s_add_u32 s0, s0, _ZZZZN2at6native31launch_logcumsumexp_cuda_kernelERKNS_10TensorBaseES3_lENKUlvE_clEvENKUlvE2_clEvENKUlN3c107complexIfEES8_E_clES8_S8_@rel32@lo+4
	s_addc_u32 s1, s1, _ZZZZN2at6native31launch_logcumsumexp_cuda_kernelERKNS_10TensorBaseES3_lENKUlvE_clEvENKUlvE2_clEvENKUlN3c107complexIfEES8_E_clES8_S8_@rel32@hi+12
	s_delay_alu instid0(SALU_CYCLE_1)
	s_swappc_b64 s[30:31], s[0:1]
	v_dual_mov_b32 v55, v0 :: v_dual_mov_b32 v58, v1
.LBB340_64:
	s_or_b32 exec_lo, exec_lo, s36
	v_cmp_gt_u32_e32 vcc_lo, 30, v67
	v_add_nc_u32_e32 v71, 2, v67
	s_mov_b32 s36, exec_lo
	s_waitcnt lgkmcnt(1)
	v_cndmask_b32_e64 v0, 0, 1, vcc_lo
	s_delay_alu instid0(VALU_DEP_1) | instskip(NEXT) | instid1(VALU_DEP_1)
	v_lshlrev_b32_e32 v0, 1, v0
	v_add_lshl_u32 v70, v0, v67, 2
	ds_bpermute_b32 v0, v70, v55
	s_waitcnt lgkmcnt(1)
	ds_bpermute_b32 v1, v70, v58
	v_cmpx_le_u32_e64 v71, v62
	s_cbranch_execz .LBB340_66
; %bb.65:
	v_dual_mov_b32 v2, v55 :: v_dual_mov_b32 v3, v58
	s_getpc_b64 s[0:1]
	s_add_u32 s0, s0, _ZZZZN2at6native31launch_logcumsumexp_cuda_kernelERKNS_10TensorBaseES3_lENKUlvE_clEvENKUlvE2_clEvENKUlN3c107complexIfEES8_E_clES8_S8_@rel32@lo+4
	s_addc_u32 s1, s1, _ZZZZN2at6native31launch_logcumsumexp_cuda_kernelERKNS_10TensorBaseES3_lENKUlvE_clEvENKUlvE2_clEvENKUlN3c107complexIfEES8_E_clES8_S8_@rel32@hi+12
	s_delay_alu instid0(SALU_CYCLE_1)
	s_swappc_b64 s[30:31], s[0:1]
	v_dual_mov_b32 v55, v0 :: v_dual_mov_b32 v58, v1
.LBB340_66:
	s_or_b32 exec_lo, exec_lo, s36
	v_cmp_gt_u32_e32 vcc_lo, 28, v67
	v_add_nc_u32_e32 v73, 4, v67
	s_mov_b32 s36, exec_lo
	s_waitcnt lgkmcnt(1)
	v_cndmask_b32_e64 v0, 0, 1, vcc_lo
	s_delay_alu instid0(VALU_DEP_1) | instskip(NEXT) | instid1(VALU_DEP_1)
	v_lshlrev_b32_e32 v0, 2, v0
	v_add_lshl_u32 v72, v0, v67, 2
	ds_bpermute_b32 v0, v72, v55
	s_waitcnt lgkmcnt(1)
	ds_bpermute_b32 v1, v72, v58
	v_cmpx_le_u32_e64 v73, v62
	;; [unrolled: 23-line block ×3, first 2 shown]
	s_cbranch_execz .LBB340_70
; %bb.69:
	v_dual_mov_b32 v2, v55 :: v_dual_mov_b32 v3, v58
	s_getpc_b64 s[0:1]
	s_add_u32 s0, s0, _ZZZZN2at6native31launch_logcumsumexp_cuda_kernelERKNS_10TensorBaseES3_lENKUlvE_clEvENKUlvE2_clEvENKUlN3c107complexIfEES8_E_clES8_S8_@rel32@lo+4
	s_addc_u32 s1, s1, _ZZZZN2at6native31launch_logcumsumexp_cuda_kernelERKNS_10TensorBaseES3_lENKUlvE_clEvENKUlvE2_clEvENKUlN3c107complexIfEES8_E_clES8_S8_@rel32@hi+12
	s_delay_alu instid0(SALU_CYCLE_1)
	s_swappc_b64 s[30:31], s[0:1]
	v_dual_mov_b32 v55, v0 :: v_dual_mov_b32 v58, v1
.LBB340_70:
	s_or_b32 exec_lo, exec_lo, s36
	v_cmp_gt_u32_e32 vcc_lo, 16, v67
	s_delay_alu instid0(VALU_DEP_2)
	v_dual_mov_b32 v64, v55 :: v_dual_add_nc_u32 v77, 16, v67
	v_mov_b32_e32 v66, 0
	s_mov_b32 s37, 0
	s_waitcnt lgkmcnt(1)
	v_cndmask_b32_e64 v0, 0, 1, vcc_lo
                                        ; implicit-def: $sgpr36
	s_waitcnt lgkmcnt(0)
	v_mov_b32_e32 v1, v58
	v_cmp_gt_u32_e64 s0, v77, v62
	s_delay_alu instid0(VALU_DEP_3) | instskip(NEXT) | instid1(VALU_DEP_1)
	v_lshlrev_b32_e32 v0, 4, v0
	v_add_lshl_u32 v76, v0, v67, 2
	v_mov_b32_e32 v0, v64
	ds_bpermute_b32 v55, v76, v55
	ds_bpermute_b32 v56, v76, v58
	s_branch .LBB340_73
.LBB340_71:                             ;   in Loop: Header=BB340_73 Depth=1
	s_or_b32 exec_lo, exec_lo, s36
	v_subrev_nc_u32_e32 v65, 32, v65
	s_mov_b32 s0, 0
.LBB340_72:                             ;   in Loop: Header=BB340_73 Depth=1
	v_mov_b32_e32 v58, v63
	v_mov_b32_e32 v64, v62
	s_and_b32 vcc_lo, exec_lo, s0
	s_mov_b32 s37, 0
                                        ; implicit-def: $sgpr36
                                        ; implicit-def: $vgpr1
                                        ; implicit-def: $vgpr0
	s_cbranch_vccnz .LBB340_93
.LBB340_73:                             ; =>This Loop Header: Depth=1
                                        ;     Child Loop BB340_79 Depth 2
	s_waitcnt lgkmcnt(0)
	v_dual_mov_b32 v62, v0 :: v_dual_mov_b32 v63, v1
	s_xor_b32 s2, s0, -1
	s_or_b32 s36, s36, exec_lo
                                        ; implicit-def: $sgpr1
                                        ; implicit-def: $vgpr0
                                        ; implicit-def: $vgpr1
	s_and_saveexec_b32 s3, s2
	s_delay_alu instid0(SALU_CYCLE_1)
	s_xor_b32 s38, exec_lo, s3
	s_cbranch_execz .LBB340_75
; %bb.74:                               ;   in Loop: Header=BB340_73 Depth=1
	s_waitcnt lgkmcnt(0)
	v_dual_mov_b32 v0, v55 :: v_dual_mov_b32 v1, v56
	v_dual_mov_b32 v2, v64 :: v_dual_mov_b32 v3, v58
	s_getpc_b64 s[0:1]
	s_add_u32 s0, s0, _ZZZZN2at6native31launch_logcumsumexp_cuda_kernelERKNS_10TensorBaseES3_lENKUlvE_clEvENKUlvE2_clEvENKUlN3c107complexIfEES8_E_clES8_S8_@rel32@lo+4
	s_addc_u32 s1, s1, _ZZZZN2at6native31launch_logcumsumexp_cuda_kernelERKNS_10TensorBaseES3_lENKUlvE_clEvENKUlvE2_clEvENKUlN3c107complexIfEES8_E_clES8_S8_@rel32@hi+12
	s_delay_alu instid0(SALU_CYCLE_1)
	s_swappc_b64 s[30:31], s[0:1]
	s_mov_b32 s1, -1
	s_and_not1_b32 s36, s36, exec_lo
                                        ; implicit-def: $sgpr0
.LBB340_75:                             ;   in Loop: Header=BB340_73 Depth=1
	s_or_b32 exec_lo, exec_lo, s38
	s_delay_alu instid0(SALU_CYCLE_1) | instskip(NEXT) | instid1(SALU_CYCLE_1)
	s_and_b32 s2, exec_lo, s36
	s_or_b32 s37, s2, s37
	s_and_not1_b32 s0, s0, exec_lo
	s_and_b32 s1, s1, exec_lo
	s_delay_alu instid0(SALU_CYCLE_1)
	s_or_b32 s0, s0, s1
	s_and_not1_b32 exec_lo, exec_lo, s37
	s_cbranch_execnz .LBB340_73
; %bb.76:                               ;   in Loop: Header=BB340_73 Depth=1
	s_or_b32 exec_lo, exec_lo, s37
	v_and_b32_e32 v0, 0xff, v57
	s_delay_alu instid0(VALU_DEP_1) | instskip(SKIP_2) | instid1(VALU_DEP_1)
	v_cmp_ne_u16_e32 vcc_lo, 2, v0
	v_cndmask_b32_e64 v0, 0, 1, vcc_lo
	;;#ASMSTART
	;;#ASMEND
	v_cmp_ne_u32_e32 vcc_lo, 0, v0
	s_cmp_lg_u32 vcc_lo, exec_lo
	s_cbranch_scc1 .LBB340_91
; %bb.77:                               ;   in Loop: Header=BB340_73 Depth=1
	v_lshlrev_b64 v[0:1], 4, v[65:66]
	s_mov_b32 s0, exec_lo
	s_delay_alu instid0(VALU_DEP_1) | instskip(NEXT) | instid1(VALU_DEP_2)
	v_add_co_u32 v0, vcc_lo, s28, v0
	v_add_co_ci_u32_e32 v1, vcc_lo, s29, v1, vcc_lo
	s_waitcnt lgkmcnt(0)
	;;#ASMSTART
	global_load_dwordx4 v[55:58], v[0:1] off glc	
s_waitcnt vmcnt(0)
	;;#ASMEND
	v_perm_b32 v2, v56, v57, 0x70605
	v_perm_b32 v3, v56, v57, 0x1000706
	;; [unrolled: 1-line block ×3, first 2 shown]
	v_and_b32_e32 v5, 0xff, v57
	s_delay_alu instid0(VALU_DEP_4) | instskip(NEXT) | instid1(VALU_DEP_4)
	v_lshlrev_b32_e32 v2, 8, v2
	v_lshlrev_b32_e32 v3, 16, v3
	s_delay_alu instid0(VALU_DEP_4) | instskip(NEXT) | instid1(VALU_DEP_3)
	v_lshlrev_b32_e32 v4, 24, v4
	v_perm_b32 v2, v2, v56, 0xc0c0500
	s_delay_alu instid0(VALU_DEP_3) | instskip(NEXT) | instid1(VALU_DEP_1)
	v_and_b32_e32 v3, 0xff0000, v3
	v_or3_b32 v56, v2, v3, v4
	v_cmpx_eq_u16_e32 0, v5
	s_cbranch_execz .LBB340_81
; %bb.78:                               ;   in Loop: Header=BB340_73 Depth=1
	s_mov_b32 s1, 0
.LBB340_79:                             ;   Parent Loop BB340_73 Depth=1
                                        ; =>  This Inner Loop Header: Depth=2
	;;#ASMSTART
	global_load_dwordx4 v[55:58], v[0:1] off glc	
s_waitcnt vmcnt(0)
	;;#ASMEND
	v_and_b32_e32 v2, 0xff, v57
	s_delay_alu instid0(VALU_DEP_1) | instskip(SKIP_1) | instid1(SALU_CYCLE_1)
	v_cmp_ne_u16_e32 vcc_lo, 0, v2
	s_or_b32 s1, vcc_lo, s1
	s_and_not1_b32 exec_lo, exec_lo, s1
	s_cbranch_execnz .LBB340_79
; %bb.80:                               ;   in Loop: Header=BB340_73 Depth=1
	s_or_b32 exec_lo, exec_lo, s1
	v_perm_b32 v0, v56, v57, 0x70605
	v_perm_b32 v1, v56, v57, 0x1000706
	;; [unrolled: 1-line block ×3, first 2 shown]
	s_delay_alu instid0(VALU_DEP_3) | instskip(NEXT) | instid1(VALU_DEP_3)
	v_lshlrev_b32_e32 v0, 8, v0
	v_lshlrev_b32_e32 v1, 16, v1
	s_delay_alu instid0(VALU_DEP_3) | instskip(NEXT) | instid1(VALU_DEP_3)
	v_lshlrev_b32_e32 v2, 24, v2
	v_perm_b32 v0, v0, v56, 0xc0c0500
	s_delay_alu instid0(VALU_DEP_3) | instskip(NEXT) | instid1(VALU_DEP_1)
	v_and_b32_e32 v1, 0xff0000, v1
	v_or3_b32 v56, v0, v1, v2
.LBB340_81:                             ;   in Loop: Header=BB340_73 Depth=1
	s_or_b32 exec_lo, exec_lo, s0
	v_and_b32_e32 v1, 0xff, v57
	ds_bpermute_b32 v0, v68, v55
	s_mov_b32 s36, exec_lo
	v_cmp_eq_u16_e32 vcc_lo, 2, v1
	ds_bpermute_b32 v1, v68, v56
	v_and_or_b32 v2, vcc_lo, v69, 0x80000000
	s_delay_alu instid0(VALU_DEP_1) | instskip(NEXT) | instid1(VALU_DEP_1)
	v_ctz_i32_b32_e32 v58, v2
	v_cmpx_lt_u32_e64 v67, v58
	s_cbranch_execz .LBB340_83
; %bb.82:                               ;   in Loop: Header=BB340_73 Depth=1
	v_dual_mov_b32 v2, v55 :: v_dual_mov_b32 v3, v56
	s_getpc_b64 s[0:1]
	s_add_u32 s0, s0, _ZZZZN2at6native31launch_logcumsumexp_cuda_kernelERKNS_10TensorBaseES3_lENKUlvE_clEvENKUlvE2_clEvENKUlN3c107complexIfEES8_E_clES8_S8_@rel32@lo+4
	s_addc_u32 s1, s1, _ZZZZN2at6native31launch_logcumsumexp_cuda_kernelERKNS_10TensorBaseES3_lENKUlvE_clEvENKUlvE2_clEvENKUlN3c107complexIfEES8_E_clES8_S8_@rel32@hi+12
	s_delay_alu instid0(SALU_CYCLE_1)
	s_swappc_b64 s[30:31], s[0:1]
	v_dual_mov_b32 v55, v0 :: v_dual_mov_b32 v56, v1
.LBB340_83:                             ;   in Loop: Header=BB340_73 Depth=1
	s_or_b32 exec_lo, exec_lo, s36
	s_waitcnt lgkmcnt(1)
	ds_bpermute_b32 v0, v70, v55
	s_waitcnt lgkmcnt(1)
	ds_bpermute_b32 v1, v70, v56
	s_mov_b32 s36, exec_lo
	v_cmpx_le_u32_e64 v71, v58
	s_cbranch_execz .LBB340_85
; %bb.84:                               ;   in Loop: Header=BB340_73 Depth=1
	v_dual_mov_b32 v2, v55 :: v_dual_mov_b32 v3, v56
	s_getpc_b64 s[0:1]
	s_add_u32 s0, s0, _ZZZZN2at6native31launch_logcumsumexp_cuda_kernelERKNS_10TensorBaseES3_lENKUlvE_clEvENKUlvE2_clEvENKUlN3c107complexIfEES8_E_clES8_S8_@rel32@lo+4
	s_addc_u32 s1, s1, _ZZZZN2at6native31launch_logcumsumexp_cuda_kernelERKNS_10TensorBaseES3_lENKUlvE_clEvENKUlvE2_clEvENKUlN3c107complexIfEES8_E_clES8_S8_@rel32@hi+12
	s_delay_alu instid0(SALU_CYCLE_1)
	s_swappc_b64 s[30:31], s[0:1]
	v_dual_mov_b32 v55, v0 :: v_dual_mov_b32 v56, v1
.LBB340_85:                             ;   in Loop: Header=BB340_73 Depth=1
	s_or_b32 exec_lo, exec_lo, s36
	s_waitcnt lgkmcnt(1)
	ds_bpermute_b32 v0, v72, v55
	s_waitcnt lgkmcnt(1)
	ds_bpermute_b32 v1, v72, v56
	s_mov_b32 s36, exec_lo
	v_cmpx_le_u32_e64 v73, v58
	;; [unrolled: 17-line block ×4, first 2 shown]
	s_cbranch_execz .LBB340_71
; %bb.90:                               ;   in Loop: Header=BB340_73 Depth=1
	v_dual_mov_b32 v2, v55 :: v_dual_mov_b32 v3, v56
	s_getpc_b64 s[0:1]
	s_add_u32 s0, s0, _ZZZZN2at6native31launch_logcumsumexp_cuda_kernelERKNS_10TensorBaseES3_lENKUlvE_clEvENKUlvE2_clEvENKUlN3c107complexIfEES8_E_clES8_S8_@rel32@lo+4
	s_addc_u32 s1, s1, _ZZZZN2at6native31launch_logcumsumexp_cuda_kernelERKNS_10TensorBaseES3_lENKUlvE_clEvENKUlvE2_clEvENKUlN3c107complexIfEES8_E_clES8_S8_@rel32@hi+12
	s_delay_alu instid0(SALU_CYCLE_1)
	s_swappc_b64 s[30:31], s[0:1]
	v_dual_mov_b32 v55, v0 :: v_dual_mov_b32 v56, v1
	s_branch .LBB340_71
.LBB340_91:                             ;   in Loop: Header=BB340_73 Depth=1
	s_mov_b32 s0, -1
                                        ; implicit-def: $vgpr55
                                        ; implicit-def: $vgpr56
	s_branch .LBB340_72
.LBB340_92:
                                        ; implicit-def: $vgpr90_vgpr91_vgpr92_vgpr93
                                        ; implicit-def: $vgpr88_vgpr89_vgpr90_vgpr91
                                        ; implicit-def: $vgpr60
                                        ; implicit-def: $vgpr62
                                        ; implicit-def: $vgpr64
                                        ; implicit-def: $vgpr66
                                        ; implicit-def: $vgpr68
                                        ; implicit-def: $vgpr70
                                        ; implicit-def: $vgpr72
                                        ; implicit-def: $vgpr74
                                        ; implicit-def: $vgpr54_vgpr55_vgpr56_vgpr57
                                        ; implicit-def: $vgpr86_vgpr87_vgpr88_vgpr89
                                        ; implicit-def: $vgpr84_vgpr85_vgpr86_vgpr87
                                        ; implicit-def: $vgpr82_vgpr83_vgpr84_vgpr85
                                        ; implicit-def: $vgpr80_vgpr81_vgpr82_vgpr83
                                        ; implicit-def: $vgpr78_vgpr79_vgpr80_vgpr81
	s_cbranch_execnz .LBB340_100
	s_branch .LBB340_121
.LBB340_93:
	s_and_saveexec_b32 s36, s11
	s_cbranch_execz .LBB340_95
; %bb.94:
	s_waitcnt lgkmcnt(0)
	v_dual_mov_b32 v0, v62 :: v_dual_mov_b32 v1, v63
	v_dual_mov_b32 v2, v54 :: v_dual_mov_b32 v3, s27
	s_getpc_b64 s[0:1]
	s_add_u32 s0, s0, _ZZZZN2at6native31launch_logcumsumexp_cuda_kernelERKNS_10TensorBaseES3_lENKUlvE_clEvENKUlvE2_clEvENKUlN3c107complexIfEES8_E_clES8_S8_@rel32@lo+4
	s_addc_u32 s1, s1, _ZZZZN2at6native31launch_logcumsumexp_cuda_kernelERKNS_10TensorBaseES3_lENKUlvE_clEvENKUlvE2_clEvENKUlN3c107complexIfEES8_E_clES8_S8_@rel32@hi+12
	s_delay_alu instid0(SALU_CYCLE_1)
	s_swappc_b64 s[30:31], s[0:1]
	s_add_i32 s0, s35, 32
	v_dual_mov_b32 v3, 0 :: v_dual_and_b32 v2, 0xff000000, v1
	v_and_b32_e32 v4, 0xff0000, v1
	s_mov_b32 s1, 0
	v_and_b32_e32 v5, 0xff00, v1
	s_lshl_b64 s[0:1], s[0:1], 4
	s_delay_alu instid0(SALU_CYCLE_1) | instskip(SKIP_4) | instid1(VALU_DEP_1)
	s_add_u32 s0, s28, s0
	v_or_b32_e32 v4, v4, v2
	v_mov_b32_e32 v2, 2
	s_addc_u32 s1, s29, s1
	v_and_b32_e32 v1, 0xff, v1
	v_or3_b32 v1, v4, v5, v1
	v_dual_mov_b32 v5, s1 :: v_dual_mov_b32 v4, s0
	;;#ASMSTART
	global_store_dwordx4 v[4:5], v[0:3] off	
s_waitcnt vmcnt(0)
	;;#ASMEND
.LBB340_95:
	s_or_b32 exec_lo, exec_lo, s36
	s_delay_alu instid0(SALU_CYCLE_1)
	s_and_b32 exec_lo, exec_lo, s10
	s_cbranch_execz .LBB340_97
; %bb.96:
	s_waitcnt lgkmcnt(1)
	v_mov_b32_e32 v0, 0
	ds_store_b64 v0, v[62:63]
.LBB340_97:
	s_or_b32 exec_lo, exec_lo, s26
	s_waitcnt lgkmcnt(1)
	v_dual_mov_b32 v0, 0 :: v_dual_mov_b32 v3, v23
	s_waitcnt lgkmcnt(0)
	s_waitcnt_vscnt null, 0x0
	s_barrier
	buffer_gl0_inv
	ds_load_b64 v[54:55], v0
	v_mov_b32_e32 v2, v22
	s_and_saveexec_b32 s11, s9
	s_cbranch_execz .LBB340_99
; %bb.98:
	v_dual_mov_b32 v0, v60 :: v_dual_mov_b32 v1, v61
	v_dual_mov_b32 v2, v22 :: v_dual_mov_b32 v3, v23
	s_getpc_b64 s[0:1]
	s_add_u32 s0, s0, _ZZZZN2at6native31launch_logcumsumexp_cuda_kernelERKNS_10TensorBaseES3_lENKUlvE_clEvENKUlvE2_clEvENKUlN3c107complexIfEES8_E_clES8_S8_@rel32@lo+4
	s_addc_u32 s1, s1, _ZZZZN2at6native31launch_logcumsumexp_cuda_kernelERKNS_10TensorBaseES3_lENKUlvE_clEvENKUlvE2_clEvENKUlN3c107complexIfEES8_E_clES8_S8_@rel32@hi+12
	s_delay_alu instid0(SALU_CYCLE_1)
	s_swappc_b64 s[30:31], s[0:1]
	v_dual_mov_b32 v2, v0 :: v_dual_mov_b32 v3, v1
.LBB340_99:
	s_or_b32 exec_lo, exec_lo, s11
	s_waitcnt lgkmcnt(0)
	v_dual_mov_b32 v0, v54 :: v_dual_mov_b32 v1, v55
	s_getpc_b64 s[26:27]
	s_add_u32 s26, s26, _ZZZZN2at6native31launch_logcumsumexp_cuda_kernelERKNS_10TensorBaseES3_lENKUlvE_clEvENKUlvE2_clEvENKUlN3c107complexIfEES8_E_clES8_S8_@rel32@lo+4
	s_addc_u32 s27, s27, _ZZZZN2at6native31launch_logcumsumexp_cuda_kernelERKNS_10TensorBaseES3_lENKUlvE_clEvENKUlvE2_clEvENKUlN3c107complexIfEES8_E_clES8_S8_@rel32@hi+12
	s_delay_alu instid0(SALU_CYCLE_1)
	s_swappc_b64 s[30:31], s[26:27]
	v_dual_mov_b32 v2, v24 :: v_dual_mov_b32 v3, v25
	v_dual_mov_b32 v54, v0 :: v_dual_mov_b32 v55, v1
	s_swappc_b64 s[30:31], s[26:27]
	v_dual_mov_b32 v2, v50 :: v_dual_mov_b32 v3, v51
	v_dual_mov_b32 v60, v0 :: v_dual_mov_b32 v61, v1
	;; [unrolled: 3-line block ×15, first 2 shown]
	s_swappc_b64 s[30:31], s[26:27]
	v_dual_mov_b32 v92, v0 :: v_dual_mov_b32 v93, v1
	s_branch .LBB340_121
.LBB340_100:
	s_cmp_lg_u64 s[16:17], 0
	s_cselect_b32 s0, -1, 0
	s_delay_alu instid0(SALU_CYCLE_1) | instskip(NEXT) | instid1(SALU_CYCLE_1)
	s_and_b32 s0, s10, s0
	s_and_saveexec_b32 s11, s0
	s_cbranch_execz .LBB340_102
; %bb.101:
	v_dual_mov_b32 v0, 0 :: v_dual_mov_b32 v3, v23
	v_mov_b32_e32 v2, v22
	s_getpc_b64 s[0:1]
	s_add_u32 s0, s0, _ZZZZN2at6native31launch_logcumsumexp_cuda_kernelERKNS_10TensorBaseES3_lENKUlvE_clEvENKUlvE2_clEvENKUlN3c107complexIfEES8_E_clES8_S8_@rel32@lo+4
	s_addc_u32 s1, s1, _ZZZZN2at6native31launch_logcumsumexp_cuda_kernelERKNS_10TensorBaseES3_lENKUlvE_clEvENKUlvE2_clEvENKUlN3c107complexIfEES8_E_clES8_S8_@rel32@hi+12
	global_load_b64 v[0:1], v0, s[12:13]
	s_swappc_b64 s[30:31], s[0:1]
	v_dual_mov_b32 v22, v0 :: v_dual_mov_b32 v23, v1
.LBB340_102:
	s_or_b32 exec_lo, exec_lo, s11
	s_delay_alu instid0(VALU_DEP_1) | instskip(SKIP_4) | instid1(SALU_CYCLE_1)
	v_dual_mov_b32 v0, v22 :: v_dual_mov_b32 v1, v23
	v_dual_mov_b32 v2, v24 :: v_dual_mov_b32 v3, v25
	s_getpc_b64 s[12:13]
	s_add_u32 s12, s12, _ZZZZN2at6native31launch_logcumsumexp_cuda_kernelERKNS_10TensorBaseES3_lENKUlvE_clEvENKUlvE2_clEvENKUlN3c107complexIfEES8_E_clES8_S8_@rel32@lo+4
	s_addc_u32 s13, s13, _ZZZZN2at6native31launch_logcumsumexp_cuda_kernelERKNS_10TensorBaseES3_lENKUlvE_clEvENKUlvE2_clEvENKUlN3c107complexIfEES8_E_clES8_S8_@rel32@hi+12
	s_swappc_b64 s[30:31], s[12:13]
	v_dual_mov_b32 v2, v50 :: v_dual_mov_b32 v3, v51
	v_dual_mov_b32 v60, v0 :: v_dual_mov_b32 v61, v1
	s_swappc_b64 s[30:31], s[12:13]
	v_dual_mov_b32 v2, v52 :: v_dual_mov_b32 v3, v53
	v_dual_mov_b32 v62, v0 :: v_dual_mov_b32 v63, v1
	;; [unrolled: 3-line block ×14, first 2 shown]
	s_swappc_b64 s[30:31], s[12:13]
	v_dual_mov_b32 v92, v0 :: v_dual_mov_b32 v93, v1
	v_lshrrev_b32_e32 v0, 5, v59
	s_mov_b32 s11, exec_lo
	s_delay_alu instid0(VALU_DEP_1)
	v_add_lshl_u32 v0, v0, v59, 3
	ds_store_b64 v0, v[92:93]
	s_waitcnt lgkmcnt(0)
	s_waitcnt_vscnt null, 0x0
	s_barrier
	buffer_gl0_inv
	v_cmpx_gt_u32_e32 32, v59
	s_cbranch_execz .LBB340_114
; %bb.103:
	v_lshlrev_b32_e32 v0, 1, v59
	s_delay_alu instid0(VALU_DEP_1) | instskip(NEXT) | instid1(VALU_DEP_1)
	v_and_b32_e32 v0, 0x1f8, v0
	v_lshl_or_b32 v58, v59, 6, v0
	ds_load_b64 v[54:55], v58
	ds_load_2addr_b64 v[76:79], v58 offset0:1 offset1:2
	s_waitcnt lgkmcnt(0)
	v_dual_mov_b32 v0, v54 :: v_dual_mov_b32 v3, v77
	v_dual_mov_b32 v1, v55 :: v_dual_mov_b32 v2, v76
	s_swappc_b64 s[30:31], s[12:13]
	v_dual_mov_b32 v2, v78 :: v_dual_mov_b32 v3, v79
	s_swappc_b64 s[30:31], s[12:13]
	ds_load_2addr_b64 v[76:79], v58 offset0:3 offset1:4
	s_waitcnt lgkmcnt(0)
	v_dual_mov_b32 v2, v76 :: v_dual_mov_b32 v3, v77
	s_swappc_b64 s[30:31], s[12:13]
	v_dual_mov_b32 v2, v78 :: v_dual_mov_b32 v3, v79
	s_swappc_b64 s[30:31], s[12:13]
	ds_load_2addr_b64 v[76:79], v58 offset0:5 offset1:6
	s_waitcnt lgkmcnt(0)
	v_dual_mov_b32 v2, v76 :: v_dual_mov_b32 v3, v77
	s_swappc_b64 s[30:31], s[12:13]
	v_dual_mov_b32 v2, v78 :: v_dual_mov_b32 v3, v79
	s_swappc_b64 s[30:31], s[12:13]
	ds_load_b64 v[2:3], v58 offset:56
	s_swappc_b64 s[30:31], s[12:13]
	v_dual_mov_b32 v2, v0 :: v_dual_mov_b32 v3, v1
	v_mbcnt_lo_u32_b32 v56, -1, 0
	s_mov_b32 s12, exec_lo
	s_delay_alu instid0(VALU_DEP_2) | instskip(NEXT) | instid1(VALU_DEP_3)
	v_mov_b32_dpp v0, v2 row_shr:1 row_mask:0xf bank_mask:0xf
	v_mov_b32_dpp v1, v3 row_shr:1 row_mask:0xf bank_mask:0xf
	s_delay_alu instid0(VALU_DEP_3) | instskip(NEXT) | instid1(VALU_DEP_1)
	v_and_b32_e32 v57, 15, v56
	v_cmpx_ne_u32_e32 0, v57
	s_cbranch_execz .LBB340_105
; %bb.104:
	s_getpc_b64 s[0:1]
	s_add_u32 s0, s0, _ZZZZN2at6native31launch_logcumsumexp_cuda_kernelERKNS_10TensorBaseES3_lENKUlvE_clEvENKUlvE2_clEvENKUlN3c107complexIfEES8_E_clES8_S8_@rel32@lo+4
	s_addc_u32 s1, s1, _ZZZZN2at6native31launch_logcumsumexp_cuda_kernelERKNS_10TensorBaseES3_lENKUlvE_clEvENKUlvE2_clEvENKUlN3c107complexIfEES8_E_clES8_S8_@rel32@hi+12
	s_delay_alu instid0(SALU_CYCLE_1)
	s_swappc_b64 s[30:31], s[0:1]
	v_dual_mov_b32 v2, v0 :: v_dual_mov_b32 v3, v1
.LBB340_105:
	s_or_b32 exec_lo, exec_lo, s12
	s_delay_alu instid0(VALU_DEP_1) | instskip(NEXT) | instid1(VALU_DEP_2)
	v_mov_b32_dpp v0, v2 row_shr:2 row_mask:0xf bank_mask:0xf
	v_mov_b32_dpp v1, v3 row_shr:2 row_mask:0xf bank_mask:0xf
	s_mov_b32 s12, exec_lo
	v_cmpx_lt_u32_e32 1, v57
	s_cbranch_execz .LBB340_107
; %bb.106:
	s_getpc_b64 s[0:1]
	s_add_u32 s0, s0, _ZZZZN2at6native31launch_logcumsumexp_cuda_kernelERKNS_10TensorBaseES3_lENKUlvE_clEvENKUlvE2_clEvENKUlN3c107complexIfEES8_E_clES8_S8_@rel32@lo+4
	s_addc_u32 s1, s1, _ZZZZN2at6native31launch_logcumsumexp_cuda_kernelERKNS_10TensorBaseES3_lENKUlvE_clEvENKUlvE2_clEvENKUlN3c107complexIfEES8_E_clES8_S8_@rel32@hi+12
	s_delay_alu instid0(SALU_CYCLE_1)
	s_swappc_b64 s[30:31], s[0:1]
	v_dual_mov_b32 v2, v0 :: v_dual_mov_b32 v3, v1
.LBB340_107:
	s_or_b32 exec_lo, exec_lo, s12
	s_delay_alu instid0(VALU_DEP_1) | instskip(NEXT) | instid1(VALU_DEP_2)
	v_mov_b32_dpp v0, v2 row_shr:4 row_mask:0xf bank_mask:0xf
	v_mov_b32_dpp v1, v3 row_shr:4 row_mask:0xf bank_mask:0xf
	s_mov_b32 s12, exec_lo
	v_cmpx_lt_u32_e32 3, v57
	;; [unrolled: 15-line block ×3, first 2 shown]
	s_cbranch_execz .LBB340_111
; %bb.110:
	s_getpc_b64 s[0:1]
	s_add_u32 s0, s0, _ZZZZN2at6native31launch_logcumsumexp_cuda_kernelERKNS_10TensorBaseES3_lENKUlvE_clEvENKUlvE2_clEvENKUlN3c107complexIfEES8_E_clES8_S8_@rel32@lo+4
	s_addc_u32 s1, s1, _ZZZZN2at6native31launch_logcumsumexp_cuda_kernelERKNS_10TensorBaseES3_lENKUlvE_clEvENKUlvE2_clEvENKUlN3c107complexIfEES8_E_clES8_S8_@rel32@hi+12
	s_delay_alu instid0(SALU_CYCLE_1)
	s_swappc_b64 s[30:31], s[0:1]
	v_dual_mov_b32 v2, v0 :: v_dual_mov_b32 v3, v1
.LBB340_111:
	s_or_b32 exec_lo, exec_lo, s12
	ds_swizzle_b32 v0, v2 offset:swizzle(BROADCAST,32,15)
	ds_swizzle_b32 v1, v3 offset:swizzle(BROADCAST,32,15)
	v_and_b32_e32 v4, 16, v56
	s_mov_b32 s12, exec_lo
	s_delay_alu instid0(VALU_DEP_1)
	v_cmpx_ne_u32_e32 0, v4
	s_cbranch_execz .LBB340_113
; %bb.112:
	s_getpc_b64 s[0:1]
	s_add_u32 s0, s0, _ZZZZN2at6native31launch_logcumsumexp_cuda_kernelERKNS_10TensorBaseES3_lENKUlvE_clEvENKUlvE2_clEvENKUlN3c107complexIfEES8_E_clES8_S8_@rel32@lo+4
	s_addc_u32 s1, s1, _ZZZZN2at6native31launch_logcumsumexp_cuda_kernelERKNS_10TensorBaseES3_lENKUlvE_clEvENKUlvE2_clEvENKUlN3c107complexIfEES8_E_clES8_S8_@rel32@hi+12
	s_delay_alu instid0(SALU_CYCLE_1)
	s_swappc_b64 s[30:31], s[0:1]
	v_dual_mov_b32 v2, v0 :: v_dual_mov_b32 v3, v1
.LBB340_113:
	s_or_b32 exec_lo, exec_lo, s12
	s_waitcnt lgkmcnt(1)
	v_add_nc_u32_e32 v0, -1, v56
	s_getpc_b64 s[12:13]
	s_add_u32 s12, s12, _ZZZZN2at6native31launch_logcumsumexp_cuda_kernelERKNS_10TensorBaseES3_lENKUlvE_clEvENKUlvE2_clEvENKUlN3c107complexIfEES8_E_clES8_S8_@rel32@lo+4
	s_addc_u32 s13, s13, _ZZZZN2at6native31launch_logcumsumexp_cuda_kernelERKNS_10TensorBaseES3_lENKUlvE_clEvENKUlvE2_clEvENKUlN3c107complexIfEES8_E_clES8_S8_@rel32@hi+12
	s_delay_alu instid0(VALU_DEP_1) | instskip(SKIP_2) | instid1(VALU_DEP_1)
	v_cmp_gt_i32_e32 vcc_lo, 0, v0
	v_cndmask_b32_e32 v0, v0, v56, vcc_lo
	s_waitcnt lgkmcnt(0)
	v_lshlrev_b32_e32 v1, 2, v0
	ds_bpermute_b32 v0, v1, v2
	v_mov_b32_e32 v2, v54
	ds_bpermute_b32 v1, v1, v3
	v_mov_b32_e32 v3, v55
	s_swappc_b64 s[30:31], s[12:13]
	v_cndmask_b32_e64 v0, v0, v92, s10
	v_cndmask_b32_e64 v1, v1, v93, s10
	; wave barrier
	ds_store_b64 v58, v[0:1]
	; wave barrier
	ds_load_2addr_b64 v[54:57], v58 offset0:1 offset1:2
	s_waitcnt lgkmcnt(0)
	v_dual_mov_b32 v2, v54 :: v_dual_mov_b32 v3, v55
	s_swappc_b64 s[30:31], s[12:13]
	v_dual_mov_b32 v2, v56 :: v_dual_mov_b32 v3, v57
	v_dual_mov_b32 v76, v0 :: v_dual_mov_b32 v77, v1
	s_swappc_b64 s[30:31], s[12:13]
	ds_load_2addr_b64 v[54:57], v58 offset0:3 offset1:4
	ds_store_2addr_b64 v58, v[76:77], v[0:1] offset0:1 offset1:2
	s_waitcnt lgkmcnt(1)
	v_dual_mov_b32 v2, v54 :: v_dual_mov_b32 v3, v55
	s_swappc_b64 s[30:31], s[12:13]
	v_dual_mov_b32 v2, v56 :: v_dual_mov_b32 v3, v57
	v_dual_mov_b32 v76, v0 :: v_dual_mov_b32 v77, v1
	s_swappc_b64 s[30:31], s[12:13]
	ds_load_2addr_b64 v[54:57], v58 offset0:5 offset1:6
	ds_store_2addr_b64 v58, v[76:77], v[0:1] offset0:3 offset1:4
	s_waitcnt lgkmcnt(1)
	v_dual_mov_b32 v2, v54 :: v_dual_mov_b32 v3, v55
	s_swappc_b64 s[30:31], s[12:13]
	v_dual_mov_b32 v2, v56 :: v_dual_mov_b32 v3, v57
	v_dual_mov_b32 v54, v0 :: v_dual_mov_b32 v55, v1
	s_swappc_b64 s[30:31], s[12:13]
	ds_load_b64 v[2:3], v58 offset:56
	ds_store_2addr_b64 v58, v[54:55], v[0:1] offset0:5 offset1:6
	s_swappc_b64 s[30:31], s[12:13]
	ds_store_b64 v58, v[0:1] offset:56
.LBB340_114:
	s_or_b32 exec_lo, exec_lo, s11
	v_dual_mov_b32 v1, v93 :: v_dual_mov_b32 v0, v92
	s_waitcnt lgkmcnt(0)
	s_waitcnt_vscnt null, 0x0
	s_barrier
	buffer_gl0_inv
	s_and_saveexec_b32 s0, s9
	s_cbranch_execz .LBB340_116
; %bb.115:
	v_add_nc_u32_e32 v0, -1, v59
	s_delay_alu instid0(VALU_DEP_1) | instskip(NEXT) | instid1(VALU_DEP_1)
	v_lshrrev_b32_e32 v1, 5, v0
	v_add_lshl_u32 v0, v1, v0, 3
	ds_load_b64 v[0:1], v0
.LBB340_116:
	s_or_b32 exec_lo, exec_lo, s0
	s_and_saveexec_b32 s12, s9
	s_cbranch_execz .LBB340_118
; %bb.117:
	v_dual_mov_b32 v2, v22 :: v_dual_mov_b32 v3, v23
	s_getpc_b64 s[10:11]
	s_add_u32 s10, s10, _ZZZZN2at6native31launch_logcumsumexp_cuda_kernelERKNS_10TensorBaseES3_lENKUlvE_clEvENKUlvE2_clEvENKUlN3c107complexIfEES8_E_clES8_S8_@rel32@lo+4
	s_addc_u32 s11, s11, _ZZZZN2at6native31launch_logcumsumexp_cuda_kernelERKNS_10TensorBaseES3_lENKUlvE_clEvENKUlvE2_clEvENKUlN3c107complexIfEES8_E_clES8_S8_@rel32@hi+12
	s_delay_alu instid0(SALU_CYCLE_1)
	s_swappc_b64 s[30:31], s[10:11]
	v_dual_mov_b32 v2, v24 :: v_dual_mov_b32 v3, v25
	v_dual_mov_b32 v22, v0 :: v_dual_mov_b32 v23, v1
	;;#ASMSTART
	;;#ASMEND
	s_swappc_b64 s[30:31], s[10:11]
	v_dual_mov_b32 v2, v50 :: v_dual_mov_b32 v3, v51
	v_dual_mov_b32 v60, v0 :: v_dual_mov_b32 v61, v1
	s_swappc_b64 s[30:31], s[10:11]
	v_dual_mov_b32 v2, v52 :: v_dual_mov_b32 v3, v53
	v_dual_mov_b32 v62, v0 :: v_dual_mov_b32 v63, v1
	;; [unrolled: 3-line block ×14, first 2 shown]
	s_swappc_b64 s[30:31], s[10:11]
	v_dual_mov_b32 v92, v0 :: v_dual_mov_b32 v93, v1
.LBB340_118:
	s_or_b32 exec_lo, exec_lo, s12
	s_delay_alu instid0(SALU_CYCLE_1)
	s_mov_b32 s0, exec_lo
	v_cmpx_eq_u32_e32 0xff, v59
	s_cbranch_execz .LBB340_120
; %bb.119:
	s_waitcnt lgkmcnt(0)
	v_dual_mov_b32 v3, 0 :: v_dual_and_b32 v0, 0xff000000, v93
	v_dual_mov_b32 v2, 2 :: v_dual_and_b32 v1, 0xff0000, v93
	v_and_b32_e32 v4, 0xff00, v93
	v_and_b32_e32 v5, 0xff, v93
	s_add_u32 s2, s28, 0x200
	s_delay_alu instid0(VALU_DEP_3) | instskip(SKIP_2) | instid1(VALU_DEP_2)
	v_or_b32_e32 v1, v1, v0
	v_mov_b32_e32 v0, v92
	s_addc_u32 s3, s29, 0
	v_or3_b32 v1, v1, v4, v5
	v_dual_mov_b32 v5, s3 :: v_dual_mov_b32 v4, s2
	;;#ASMSTART
	global_store_dwordx4 v[4:5], v[0:3] off	
s_waitcnt vmcnt(0)
	;;#ASMEND
.LBB340_120:
	s_or_b32 exec_lo, exec_lo, s0
	v_dual_mov_b32 v54, v22 :: v_dual_mov_b32 v55, v23
.LBB340_121:
	s_add_u32 s0, s24, s22
	s_waitcnt lgkmcnt(0)
	v_lshlrev_b32_e32 v1, 7, v59
	v_lshrrev_b32_e32 v0, 5, v59
	s_addc_u32 s1, s25, s23
	s_add_u32 s0, s0, s20
	s_addc_u32 s1, s1, s21
	s_and_b32 vcc_lo, exec_lo, s8
	s_mov_b32 s2, -1
	s_waitcnt_vscnt null, 0x0
	s_barrier
	buffer_gl0_inv
	s_cbranch_vccz .LBB340_123
; %bb.122:
	v_lshl_add_u32 v2, v110, 3, v1
	v_lshrrev_b32_e32 v3, 5, v107
	v_lshrrev_b32_e32 v4, 5, v106
	v_add_lshl_u32 v5, v0, v59, 3
	v_lshrrev_b32_e32 v10, 5, v105
	ds_store_2addr_b64 v2, v[54:55], v[60:61] offset1:1
	ds_store_2addr_b64 v2, v[62:63], v[80:81] offset0:2 offset1:3
	ds_store_2addr_b64 v2, v[64:65], v[82:83] offset0:4 offset1:5
	;; [unrolled: 1-line block ×7, first 2 shown]
	v_lshrrev_b32_e32 v2, 5, v108
	v_add_lshl_u32 v7, v3, v59, 3
	v_add_lshl_u32 v8, v4, v59, 3
	s_waitcnt lgkmcnt(0)
	s_barrier
	v_add_lshl_u32 v6, v2, v59, 3
	buffer_gl0_inv
	v_lshrrev_b32_e32 v19, 5, v100
	ds_load_b64 v[2:3], v5
	ds_load_b64 v[4:5], v6 offset:2048
	ds_load_b64 v[6:7], v7 offset:4096
	;; [unrolled: 1-line block ×3, first 2 shown]
	v_lshrrev_b32_e32 v11, 5, v104
	v_lshrrev_b32_e32 v20, 5, v99
	;; [unrolled: 1-line block ×5, first 2 shown]
	v_add_lshl_u32 v10, v10, v59, 3
	v_add_lshl_u32 v21, v19, v59, 3
	v_lshrrev_b32_e32 v19, 5, v97
	v_add_lshl_u32 v14, v11, v59, 3
	v_add_lshl_u32 v22, v20, v59, 3
	v_lshrrev_b32_e32 v20, 5, v98
	v_lshrrev_b32_e32 v23, 5, v96
	;; [unrolled: 1-line block ×4, first 2 shown]
	v_add_lshl_u32 v15, v12, v59, 3
	v_add_lshl_u32 v18, v18, v59, 3
	v_add_co_u32 v44, s3, s0, v109
	v_add_lshl_u32 v16, v13, v59, 3
	v_add_co_ci_u32_e64 v45, null, s1, 0, s3
	ds_load_b64 v[10:11], v10 offset:8192
	ds_load_b64 v[12:13], v14 offset:10240
	;; [unrolled: 1-line block ×4, first 2 shown]
	v_add_lshl_u32 v26, v19, v59, 3
	v_add_lshl_u32 v27, v20, v59, 3
	v_add_lshl_u32 v28, v23, v59, 3
	v_add_lshl_u32 v30, v24, v59, 3
	v_add_lshl_u32 v32, v25, v59, 3
	ds_load_b64 v[18:19], v18 offset:16384
	ds_load_b64 v[20:21], v21 offset:18432
	;; [unrolled: 1-line block ×8, first 2 shown]
	s_waitcnt lgkmcnt(14)
	global_store_b64 v109, v[4:5], s[0:1] offset:2048
	v_add_co_u32 v4, vcc_lo, 0x1000, v44
	v_add_co_ci_u32_e32 v5, vcc_lo, 0, v45, vcc_lo
	v_add_co_u32 v34, vcc_lo, v44, 0x2000
	v_add_co_ci_u32_e32 v35, vcc_lo, 0, v45, vcc_lo
	;; [unrolled: 2-line block ×6, first 2 shown]
	s_waitcnt lgkmcnt(13)
	global_store_b64 v[34:35], v[6:7], off offset:-4096
	s_waitcnt lgkmcnt(11)
	global_store_b64 v[34:35], v[10:11], off
	s_waitcnt lgkmcnt(9)
	global_store_b64 v[40:41], v[14:15], off offset:-4096
	s_waitcnt lgkmcnt(7)
	s_clause 0x3
	global_store_b64 v[40:41], v[18:19], off
	global_store_b64 v[4:5], v[8:9], off offset:2048
	global_store_b64 v[36:37], v[12:13], off offset:2048
	;; [unrolled: 1-line block ×3, first 2 shown]
	s_waitcnt lgkmcnt(6)
	global_store_b64 v[42:43], v[20:21], off offset:2048
	v_add_co_u32 v4, vcc_lo, v44, 0x6000
	v_add_co_ci_u32_e32 v5, vcc_lo, 0, v45, vcc_lo
	v_add_co_u32 v6, vcc_lo, 0x5000, v44
	v_add_co_ci_u32_e32 v7, vcc_lo, 0, v45, vcc_lo
	;; [unrolled: 2-line block ×4, first 2 shown]
	s_mov_b32 s2, 0
	s_waitcnt lgkmcnt(5)
	s_clause 0x1
	global_store_b64 v[4:5], v[22:23], off offset:-4096
	global_store_b64 v109, v[2:3], s[0:1]
	s_waitcnt lgkmcnt(3)
	s_clause 0x1
	global_store_b64 v[4:5], v[26:27], off
	global_store_b64 v[6:7], v[24:25], off offset:2048
	s_waitcnt lgkmcnt(2)
	global_store_b64 v[8:9], v[28:29], off offset:2048
	s_waitcnt lgkmcnt(1)
	global_store_b64 v[10:11], v[30:31], off
	s_waitcnt lgkmcnt(0)
	global_store_b64 v[10:11], v[32:33], off offset:2048
.LBB340_123:
	s_and_not1_b32 vcc_lo, exec_lo, s2
	s_cbranch_vccnz .LBB340_141
; %bb.124:
	v_lshl_add_u32 v1, v110, 3, v1
	v_lshrrev_b32_e32 v17, 5, v100
	v_lshrrev_b32_e32 v18, 5, v99
	;; [unrolled: 1-line block ×4, first 2 shown]
	ds_store_2addr_b64 v1, v[54:55], v[60:61] offset1:1
	ds_store_2addr_b64 v1, v[62:63], v[80:81] offset0:2 offset1:3
	ds_store_2addr_b64 v1, v[64:65], v[82:83] offset0:4 offset1:5
	;; [unrolled: 1-line block ×7, first 2 shown]
	v_lshrrev_b32_e32 v1, 5, v108
	v_lshrrev_b32_e32 v9, 5, v104
	v_lshrrev_b32_e32 v2, 5, v107
	v_lshrrev_b32_e32 v10, 5, v103
	v_lshrrev_b32_e32 v3, 5, v106
	v_lshrrev_b32_e32 v11, 5, v102
	v_add_lshl_u32 v19, v17, v59, 3
	v_lshrrev_b32_e32 v17, 5, v97
	v_add_lshl_u32 v20, v18, v59, 3
	v_lshrrev_b32_e32 v18, 5, v98
	v_lshrrev_b32_e32 v21, 5, v96
	;; [unrolled: 1-line block ×4, first 2 shown]
	v_add_lshl_u32 v34, v0, v59, 3
	v_add_lshl_u32 v8, v8, v59, 3
	;; [unrolled: 1-line block ×14, first 2 shown]
	s_waitcnt lgkmcnt(0)
	s_waitcnt_vscnt null, 0x0
	s_barrier
	buffer_gl0_inv
	ds_load_b64 v[2:3], v34
	ds_load_b64 v[0:1], v0 offset:2048
	ds_load_b64 v[4:5], v4 offset:4096
	;; [unrolled: 1-line block ×15, first 2 shown]
	v_add_co_u32 v32, s0, s0, v109
	v_mov_b32_e32 v60, 0
	v_add_co_ci_u32_e64 v33, null, s1, 0, s0
	s_mov_b32 s0, exec_lo
	v_cmpx_gt_u32_e64 s33, v59
	s_cbranch_execnz .LBB340_142
; %bb.125:
	s_or_b32 exec_lo, exec_lo, s0
	s_delay_alu instid0(SALU_CYCLE_1)
	s_mov_b32 s0, exec_lo
	v_cmpx_gt_u32_e64 s33, v108
	s_cbranch_execnz .LBB340_143
.LBB340_126:
	s_or_b32 exec_lo, exec_lo, s0
	s_delay_alu instid0(SALU_CYCLE_1)
	s_mov_b32 s0, exec_lo
	v_cmpx_gt_u32_e64 s33, v107
	s_cbranch_execnz .LBB340_144
.LBB340_127:
	s_or_b32 exec_lo, exec_lo, s0
	s_delay_alu instid0(SALU_CYCLE_1)
	s_mov_b32 s0, exec_lo
	v_cmpx_gt_u32_e64 s33, v106
	s_cbranch_execnz .LBB340_145
.LBB340_128:
	s_or_b32 exec_lo, exec_lo, s0
	s_delay_alu instid0(SALU_CYCLE_1)
	s_mov_b32 s0, exec_lo
	v_cmpx_gt_u32_e64 s33, v105
	s_cbranch_execnz .LBB340_146
.LBB340_129:
	s_or_b32 exec_lo, exec_lo, s0
	s_delay_alu instid0(SALU_CYCLE_1)
	s_mov_b32 s0, exec_lo
	v_cmpx_gt_u32_e64 s33, v104
	s_cbranch_execnz .LBB340_147
.LBB340_130:
	s_or_b32 exec_lo, exec_lo, s0
	s_delay_alu instid0(SALU_CYCLE_1)
	s_mov_b32 s0, exec_lo
	v_cmpx_gt_u32_e64 s33, v103
	s_cbranch_execnz .LBB340_148
.LBB340_131:
	s_or_b32 exec_lo, exec_lo, s0
	s_delay_alu instid0(SALU_CYCLE_1)
	s_mov_b32 s0, exec_lo
	v_cmpx_gt_u32_e64 s33, v102
	s_cbranch_execnz .LBB340_149
.LBB340_132:
	s_or_b32 exec_lo, exec_lo, s0
	s_delay_alu instid0(SALU_CYCLE_1)
	s_mov_b32 s0, exec_lo
	v_cmpx_gt_u32_e64 s33, v101
	s_cbranch_execnz .LBB340_150
.LBB340_133:
	s_or_b32 exec_lo, exec_lo, s0
	s_delay_alu instid0(SALU_CYCLE_1)
	s_mov_b32 s0, exec_lo
	v_cmpx_gt_u32_e64 s33, v100
	s_cbranch_execnz .LBB340_151
.LBB340_134:
	s_or_b32 exec_lo, exec_lo, s0
	s_delay_alu instid0(SALU_CYCLE_1)
	s_mov_b32 s0, exec_lo
	v_cmpx_gt_u32_e64 s33, v99
	s_cbranch_execnz .LBB340_152
.LBB340_135:
	s_or_b32 exec_lo, exec_lo, s0
	s_delay_alu instid0(SALU_CYCLE_1)
	s_mov_b32 s0, exec_lo
	v_cmpx_gt_u32_e64 s33, v97
	s_cbranch_execnz .LBB340_153
.LBB340_136:
	s_or_b32 exec_lo, exec_lo, s0
	s_delay_alu instid0(SALU_CYCLE_1)
	s_mov_b32 s0, exec_lo
	v_cmpx_gt_u32_e64 s33, v98
	s_cbranch_execnz .LBB340_154
.LBB340_137:
	s_or_b32 exec_lo, exec_lo, s0
	s_delay_alu instid0(SALU_CYCLE_1)
	s_mov_b32 s0, exec_lo
	v_cmpx_gt_u32_e64 s33, v96
	s_cbranch_execnz .LBB340_155
.LBB340_138:
	s_or_b32 exec_lo, exec_lo, s0
	s_delay_alu instid0(SALU_CYCLE_1)
	s_mov_b32 s0, exec_lo
	v_cmpx_gt_u32_e64 s33, v95
	s_cbranch_execnz .LBB340_156
.LBB340_139:
	s_or_b32 exec_lo, exec_lo, s0
	s_delay_alu instid0(SALU_CYCLE_1)
	s_mov_b32 s0, exec_lo
	v_cmpx_gt_u32_e64 s33, v94
	s_cbranch_execnz .LBB340_157
.LBB340_140:
	s_or_b32 exec_lo, exec_lo, s0
	v_cmp_lt_u64_e64 s0, s[18:19], 2
	s_delay_alu instid0(VALU_DEP_1)
	s_and_b32 vcc_lo, exec_lo, s0
	s_cbranch_vccz .LBB340_158
.LBB340_141:
	s_nop 0
	s_sendmsg sendmsg(MSG_DEALLOC_VGPRS)
	s_endpgm
.LBB340_142:
	ds_load_b64 v[34:35], v34
	s_waitcnt lgkmcnt(0)
	global_store_b64 v[32:33], v[34:35], off
	s_or_b32 exec_lo, exec_lo, s0
	s_delay_alu instid0(SALU_CYCLE_1)
	s_mov_b32 s0, exec_lo
	v_cmpx_gt_u32_e64 s33, v108
	s_cbranch_execz .LBB340_126
.LBB340_143:
	s_waitcnt lgkmcnt(14)
	global_store_b64 v[32:33], v[0:1], off offset:2048
	s_or_b32 exec_lo, exec_lo, s0
	s_delay_alu instid0(SALU_CYCLE_1)
	s_mov_b32 s0, exec_lo
	v_cmpx_gt_u32_e64 s33, v107
	s_cbranch_execz .LBB340_127
.LBB340_144:
	v_add_co_u32 v34, vcc_lo, 0x1000, v32
	v_add_co_ci_u32_e32 v35, vcc_lo, 0, v33, vcc_lo
	s_waitcnt lgkmcnt(13)
	global_store_b64 v[34:35], v[4:5], off
	s_or_b32 exec_lo, exec_lo, s0
	s_delay_alu instid0(SALU_CYCLE_1)
	s_mov_b32 s0, exec_lo
	v_cmpx_gt_u32_e64 s33, v106
	s_cbranch_execz .LBB340_128
.LBB340_145:
	v_add_co_u32 v34, vcc_lo, 0x1000, v32
	v_add_co_ci_u32_e32 v35, vcc_lo, 0, v33, vcc_lo
	s_waitcnt lgkmcnt(12)
	global_store_b64 v[34:35], v[6:7], off offset:2048
	s_or_b32 exec_lo, exec_lo, s0
	s_delay_alu instid0(SALU_CYCLE_1)
	s_mov_b32 s0, exec_lo
	v_cmpx_gt_u32_e64 s33, v105
	s_cbranch_execz .LBB340_129
.LBB340_146:
	v_add_co_u32 v34, vcc_lo, 0x2000, v32
	v_add_co_ci_u32_e32 v35, vcc_lo, 0, v33, vcc_lo
	s_waitcnt lgkmcnt(11)
	global_store_b64 v[34:35], v[8:9], off
	s_or_b32 exec_lo, exec_lo, s0
	s_delay_alu instid0(SALU_CYCLE_1)
	s_mov_b32 s0, exec_lo
	v_cmpx_gt_u32_e64 s33, v104
	s_cbranch_execz .LBB340_130
.LBB340_147:
	v_add_co_u32 v34, vcc_lo, 0x2000, v32
	v_add_co_ci_u32_e32 v35, vcc_lo, 0, v33, vcc_lo
	s_waitcnt lgkmcnt(10)
	global_store_b64 v[34:35], v[10:11], off offset:2048
	s_or_b32 exec_lo, exec_lo, s0
	s_delay_alu instid0(SALU_CYCLE_1)
	s_mov_b32 s0, exec_lo
	v_cmpx_gt_u32_e64 s33, v103
	s_cbranch_execz .LBB340_131
.LBB340_148:
	v_add_co_u32 v34, vcc_lo, 0x3000, v32
	v_add_co_ci_u32_e32 v35, vcc_lo, 0, v33, vcc_lo
	s_waitcnt lgkmcnt(9)
	global_store_b64 v[34:35], v[12:13], off
	s_or_b32 exec_lo, exec_lo, s0
	s_delay_alu instid0(SALU_CYCLE_1)
	s_mov_b32 s0, exec_lo
	v_cmpx_gt_u32_e64 s33, v102
	s_cbranch_execz .LBB340_132
.LBB340_149:
	v_add_co_u32 v34, vcc_lo, 0x3000, v32
	v_add_co_ci_u32_e32 v35, vcc_lo, 0, v33, vcc_lo
	s_waitcnt lgkmcnt(8)
	global_store_b64 v[34:35], v[14:15], off offset:2048
	s_or_b32 exec_lo, exec_lo, s0
	s_delay_alu instid0(SALU_CYCLE_1)
	s_mov_b32 s0, exec_lo
	v_cmpx_gt_u32_e64 s33, v101
	s_cbranch_execz .LBB340_133
.LBB340_150:
	v_add_co_u32 v34, vcc_lo, 0x4000, v32
	v_add_co_ci_u32_e32 v35, vcc_lo, 0, v33, vcc_lo
	s_waitcnt lgkmcnt(7)
	global_store_b64 v[34:35], v[16:17], off
	s_or_b32 exec_lo, exec_lo, s0
	s_delay_alu instid0(SALU_CYCLE_1)
	s_mov_b32 s0, exec_lo
	v_cmpx_gt_u32_e64 s33, v100
	s_cbranch_execz .LBB340_134
.LBB340_151:
	v_add_co_u32 v34, vcc_lo, 0x4000, v32
	v_add_co_ci_u32_e32 v35, vcc_lo, 0, v33, vcc_lo
	s_waitcnt lgkmcnt(6)
	global_store_b64 v[34:35], v[18:19], off offset:2048
	s_or_b32 exec_lo, exec_lo, s0
	s_delay_alu instid0(SALU_CYCLE_1)
	s_mov_b32 s0, exec_lo
	v_cmpx_gt_u32_e64 s33, v99
	s_cbranch_execz .LBB340_135
.LBB340_152:
	v_add_co_u32 v34, vcc_lo, 0x5000, v32
	v_add_co_ci_u32_e32 v35, vcc_lo, 0, v33, vcc_lo
	s_waitcnt lgkmcnt(5)
	global_store_b64 v[34:35], v[20:21], off
	s_or_b32 exec_lo, exec_lo, s0
	s_delay_alu instid0(SALU_CYCLE_1)
	s_mov_b32 s0, exec_lo
	v_cmpx_gt_u32_e64 s33, v97
	s_cbranch_execz .LBB340_136
.LBB340_153:
	v_add_co_u32 v34, vcc_lo, 0x5000, v32
	v_add_co_ci_u32_e32 v35, vcc_lo, 0, v33, vcc_lo
	s_waitcnt lgkmcnt(4)
	global_store_b64 v[34:35], v[22:23], off offset:2048
	s_or_b32 exec_lo, exec_lo, s0
	s_delay_alu instid0(SALU_CYCLE_1)
	s_mov_b32 s0, exec_lo
	v_cmpx_gt_u32_e64 s33, v98
	s_cbranch_execz .LBB340_137
.LBB340_154:
	v_add_co_u32 v34, vcc_lo, 0x6000, v32
	v_add_co_ci_u32_e32 v35, vcc_lo, 0, v33, vcc_lo
	s_waitcnt lgkmcnt(3)
	global_store_b64 v[34:35], v[24:25], off
	s_or_b32 exec_lo, exec_lo, s0
	s_delay_alu instid0(SALU_CYCLE_1)
	s_mov_b32 s0, exec_lo
	v_cmpx_gt_u32_e64 s33, v96
	s_cbranch_execz .LBB340_138
.LBB340_155:
	v_add_co_u32 v34, vcc_lo, 0x6000, v32
	v_add_co_ci_u32_e32 v35, vcc_lo, 0, v33, vcc_lo
	s_waitcnt lgkmcnt(2)
	global_store_b64 v[34:35], v[26:27], off offset:2048
	s_or_b32 exec_lo, exec_lo, s0
	s_delay_alu instid0(SALU_CYCLE_1)
	s_mov_b32 s0, exec_lo
	v_cmpx_gt_u32_e64 s33, v95
	s_cbranch_execz .LBB340_139
.LBB340_156:
	v_add_co_u32 v34, vcc_lo, 0x7000, v32
	v_add_co_ci_u32_e32 v35, vcc_lo, 0, v33, vcc_lo
	s_waitcnt lgkmcnt(1)
	global_store_b64 v[34:35], v[28:29], off
	s_or_b32 exec_lo, exec_lo, s0
	s_delay_alu instid0(SALU_CYCLE_1)
	s_mov_b32 s0, exec_lo
	v_cmpx_gt_u32_e64 s33, v94
	s_cbranch_execz .LBB340_140
.LBB340_157:
	v_add_co_u32 v32, vcc_lo, 0x7000, v32
	v_add_co_ci_u32_e32 v33, vcc_lo, 0, v33, vcc_lo
	s_waitcnt lgkmcnt(0)
	global_store_b64 v[32:33], v[30:31], off offset:2048
	s_or_b32 exec_lo, exec_lo, s0
	v_cmp_lt_u64_e64 s0, s[18:19], 2
	s_delay_alu instid0(VALU_DEP_1)
	s_and_b32 vcc_lo, exec_lo, s0
	s_cbranch_vccnz .LBB340_141
.LBB340_158:
	s_add_u32 s0, s33, -1
	s_addc_u32 s1, s34, -1
	s_delay_alu instid0(SALU_CYCLE_1)
	s_lshr_b64 s[2:3], s[0:1], 4
	s_mov_b32 s1, exec_lo
	v_cmpx_eq_u64_e64 s[2:3], v[59:60]
	s_cbranch_execz .LBB340_141
; %bb.159:
	s_and_b32 s0, s0, 15
	s_mov_b32 s1, 0
	s_delay_alu instid0(SALU_CYCLE_1) | instskip(NEXT) | instid1(VALU_DEP_1)
	v_cmp_lt_i64_e64 s2, s[0:1], 8
	s_and_b32 vcc_lo, exec_lo, s2
	s_mov_b32 s2, -1
	s_cbranch_vccnz .LBB340_186
; %bb.160:
	v_cmp_lt_i64_e64 s2, s[0:1], 12
	s_delay_alu instid0(VALU_DEP_1)
	s_and_b32 vcc_lo, exec_lo, s2
	s_mov_b32 s2, -1
	s_cbranch_vccnz .LBB340_173
; %bb.161:
	v_cmp_lt_i64_e64 s2, s[0:1], 14
	s_delay_alu instid0(VALU_DEP_1)
	s_and_b32 vcc_lo, exec_lo, s2
	s_mov_b32 s2, -1
	s_cbranch_vccnz .LBB340_167
; %bb.162:
	v_cmp_gt_i64_e64 s2, s[0:1], 14
	s_delay_alu instid0(VALU_DEP_1)
	s_and_b32 vcc_lo, exec_lo, s2
	s_mov_b32 s2, -1
	s_cbranch_vccz .LBB340_164
; %bb.163:
	v_mov_b32_e32 v32, 0
	s_mov_b32 s2, 0
	s_waitcnt lgkmcnt(0)
	global_store_b64 v32, v[30:31], s[14:15]
.LBB340_164:
	s_and_not1_b32 vcc_lo, exec_lo, s2
	s_cbranch_vccnz .LBB340_166
; %bb.165:
	s_waitcnt lgkmcnt(0)
	v_mov_b32_e32 v30, 0
	global_store_b64 v30, v[28:29], s[14:15]
.LBB340_166:
	s_mov_b32 s2, 0
.LBB340_167:
	s_delay_alu instid0(SALU_CYCLE_1)
	s_and_not1_b32 vcc_lo, exec_lo, s2
	s_cbranch_vccnz .LBB340_172
; %bb.168:
	v_cmp_gt_i64_e64 s2, s[0:1], 12
	s_delay_alu instid0(VALU_DEP_1)
	s_and_b32 vcc_lo, exec_lo, s2
	s_mov_b32 s2, -1
	s_cbranch_vccz .LBB340_170
; %bb.169:
	s_waitcnt lgkmcnt(1)
	v_mov_b32_e32 v28, 0
	s_mov_b32 s2, 0
	global_store_b64 v28, v[26:27], s[14:15]
.LBB340_170:
	s_and_not1_b32 vcc_lo, exec_lo, s2
	s_cbranch_vccnz .LBB340_172
; %bb.171:
	s_waitcnt lgkmcnt(2)
	v_mov_b32_e32 v26, 0
	global_store_b64 v26, v[24:25], s[14:15]
.LBB340_172:
	s_mov_b32 s2, 0
.LBB340_173:
	s_delay_alu instid0(SALU_CYCLE_1)
	s_and_not1_b32 vcc_lo, exec_lo, s2
	s_cbranch_vccnz .LBB340_185
; %bb.174:
	v_cmp_lt_i64_e64 s2, s[0:1], 10
	s_delay_alu instid0(VALU_DEP_1)
	s_and_b32 vcc_lo, exec_lo, s2
	s_mov_b32 s2, -1
	s_cbranch_vccnz .LBB340_180
; %bb.175:
	v_cmp_gt_i64_e64 s2, s[0:1], 10
	s_delay_alu instid0(VALU_DEP_1)
	s_and_b32 vcc_lo, exec_lo, s2
	s_mov_b32 s2, -1
	s_cbranch_vccz .LBB340_177
; %bb.176:
	s_waitcnt lgkmcnt(3)
	v_mov_b32_e32 v24, 0
	s_mov_b32 s2, 0
	global_store_b64 v24, v[22:23], s[14:15]
.LBB340_177:
	s_and_not1_b32 vcc_lo, exec_lo, s2
	s_cbranch_vccnz .LBB340_179
; %bb.178:
	s_waitcnt lgkmcnt(4)
	v_mov_b32_e32 v22, 0
	global_store_b64 v22, v[20:21], s[14:15]
.LBB340_179:
	s_mov_b32 s2, 0
.LBB340_180:
	s_delay_alu instid0(SALU_CYCLE_1)
	s_and_not1_b32 vcc_lo, exec_lo, s2
	s_cbranch_vccnz .LBB340_185
; %bb.181:
	v_cmp_gt_i64_e64 s2, s[0:1], 8
	s_delay_alu instid0(VALU_DEP_1)
	s_and_b32 vcc_lo, exec_lo, s2
	s_mov_b32 s2, -1
	s_cbranch_vccz .LBB340_183
; %bb.182:
	s_waitcnt lgkmcnt(5)
	v_mov_b32_e32 v20, 0
	s_mov_b32 s2, 0
	global_store_b64 v20, v[18:19], s[14:15]
.LBB340_183:
	s_and_not1_b32 vcc_lo, exec_lo, s2
	s_cbranch_vccnz .LBB340_185
; %bb.184:
	s_waitcnt lgkmcnt(6)
	v_mov_b32_e32 v18, 0
	global_store_b64 v18, v[16:17], s[14:15]
.LBB340_185:
	s_mov_b32 s2, 0
.LBB340_186:
	s_delay_alu instid0(SALU_CYCLE_1)
	s_and_not1_b32 vcc_lo, exec_lo, s2
	s_cbranch_vccnz .LBB340_141
; %bb.187:
	v_cmp_lt_i64_e64 s2, s[0:1], 4
	s_delay_alu instid0(VALU_DEP_1)
	s_and_b32 vcc_lo, exec_lo, s2
	s_mov_b32 s2, -1
	s_cbranch_vccnz .LBB340_200
; %bb.188:
	v_cmp_lt_i64_e64 s2, s[0:1], 6
	s_delay_alu instid0(VALU_DEP_1)
	s_and_b32 vcc_lo, exec_lo, s2
	s_mov_b32 s2, -1
	s_cbranch_vccnz .LBB340_194
; %bb.189:
	v_cmp_gt_i64_e64 s2, s[0:1], 6
	s_delay_alu instid0(VALU_DEP_1)
	s_and_b32 vcc_lo, exec_lo, s2
	s_mov_b32 s2, -1
	s_cbranch_vccz .LBB340_191
; %bb.190:
	s_waitcnt lgkmcnt(7)
	v_mov_b32_e32 v16, 0
	s_mov_b32 s2, 0
	global_store_b64 v16, v[14:15], s[14:15]
.LBB340_191:
	s_and_not1_b32 vcc_lo, exec_lo, s2
	s_cbranch_vccnz .LBB340_193
; %bb.192:
	s_waitcnt lgkmcnt(8)
	v_mov_b32_e32 v14, 0
	global_store_b64 v14, v[12:13], s[14:15]
.LBB340_193:
	s_mov_b32 s2, 0
.LBB340_194:
	s_delay_alu instid0(SALU_CYCLE_1)
	s_and_not1_b32 vcc_lo, exec_lo, s2
	s_cbranch_vccnz .LBB340_199
; %bb.195:
	v_cmp_gt_i64_e64 s2, s[0:1], 4
	s_delay_alu instid0(VALU_DEP_1)
	s_and_b32 vcc_lo, exec_lo, s2
	s_mov_b32 s2, -1
	s_cbranch_vccz .LBB340_197
; %bb.196:
	s_waitcnt lgkmcnt(9)
	v_mov_b32_e32 v12, 0
	s_mov_b32 s2, 0
	global_store_b64 v12, v[10:11], s[14:15]
.LBB340_197:
	s_and_not1_b32 vcc_lo, exec_lo, s2
	s_cbranch_vccnz .LBB340_199
; %bb.198:
	s_waitcnt lgkmcnt(10)
	v_mov_b32_e32 v10, 0
	global_store_b64 v10, v[8:9], s[14:15]
.LBB340_199:
	s_mov_b32 s2, 0
.LBB340_200:
	s_delay_alu instid0(SALU_CYCLE_1)
	s_and_not1_b32 vcc_lo, exec_lo, s2
	s_cbranch_vccnz .LBB340_141
; %bb.201:
	v_cmp_lt_i64_e64 s2, s[0:1], 2
	s_delay_alu instid0(VALU_DEP_1)
	s_and_b32 vcc_lo, exec_lo, s2
	s_mov_b32 s2, -1
	s_cbranch_vccnz .LBB340_207
; %bb.202:
	v_cmp_gt_i64_e64 s2, s[0:1], 2
	s_delay_alu instid0(VALU_DEP_1)
	s_and_b32 vcc_lo, exec_lo, s2
	s_mov_b32 s2, -1
	s_cbranch_vccz .LBB340_204
; %bb.203:
	s_waitcnt lgkmcnt(11)
	v_mov_b32_e32 v8, 0
	s_mov_b32 s2, 0
	global_store_b64 v8, v[6:7], s[14:15]
.LBB340_204:
	s_and_not1_b32 vcc_lo, exec_lo, s2
	s_cbranch_vccnz .LBB340_206
; %bb.205:
	s_waitcnt lgkmcnt(12)
	v_mov_b32_e32 v6, 0
	global_store_b64 v6, v[4:5], s[14:15]
.LBB340_206:
	s_mov_b32 s2, 0
.LBB340_207:
	s_delay_alu instid0(SALU_CYCLE_1)
	s_and_not1_b32 vcc_lo, exec_lo, s2
	s_cbranch_vccnz .LBB340_141
; %bb.208:
	s_cmp_eq_u64 s[0:1], 1
	s_mov_b32 s0, -1
	s_cbranch_scc1 .LBB340_210
; %bb.209:
	s_waitcnt lgkmcnt(13)
	v_mov_b32_e32 v4, 0
	s_mov_b32 s0, 0
	global_store_b64 v4, v[2:3], s[14:15]
.LBB340_210:
	s_and_not1_b32 vcc_lo, exec_lo, s0
	s_cbranch_vccnz .LBB340_141
; %bb.211:
	s_waitcnt lgkmcnt(15)
	v_mov_b32_e32 v2, 0
	s_waitcnt lgkmcnt(14)
	global_store_b64 v2, v[0:1], s[14:15]
	s_nop 0
	s_sendmsg sendmsg(MSG_DEALLOC_VGPRS)
	s_endpgm
	.section	.rodata,"a",@progbits
	.p2align	6, 0x0
	.amdhsa_kernel _ZN7rocprim17ROCPRIM_400000_NS6detail17trampoline_kernelINS0_14default_configENS1_20scan_config_selectorIN3c107complexIfEEEEZZNS1_9scan_implILNS1_25lookback_scan_determinismE0ELb0ELb0ES3_PKS7_PS7_S7_ZZZN2at6native31launch_logcumsumexp_cuda_kernelERKNSE_10TensorBaseESI_lENKUlvE_clEvENKUlvE2_clEvEUlS7_S7_E_S7_EEDaPvRmT3_T4_T5_mT6_P12ihipStream_tbENKUlT_T0_E_clISt17integral_constantIbLb0EESY_IbLb1EEEEDaSU_SV_EUlSU_E_NS1_11comp_targetILNS1_3genE9ELNS1_11target_archE1100ELNS1_3gpuE3ELNS1_3repE0EEENS1_30default_config_static_selectorELNS0_4arch9wavefront6targetE0EEEvT1_
		.amdhsa_group_segment_fixed_size 33792
		.amdhsa_private_segment_fixed_size 0
		.amdhsa_kernarg_size 104
		.amdhsa_user_sgpr_count 15
		.amdhsa_user_sgpr_dispatch_ptr 0
		.amdhsa_user_sgpr_queue_ptr 0
		.amdhsa_user_sgpr_kernarg_segment_ptr 1
		.amdhsa_user_sgpr_dispatch_id 0
		.amdhsa_user_sgpr_private_segment_size 0
		.amdhsa_wavefront_size32 1
		.amdhsa_uses_dynamic_stack 0
		.amdhsa_enable_private_segment 0
		.amdhsa_system_sgpr_workgroup_id_x 1
		.amdhsa_system_sgpr_workgroup_id_y 0
		.amdhsa_system_sgpr_workgroup_id_z 0
		.amdhsa_system_sgpr_workgroup_info 0
		.amdhsa_system_vgpr_workitem_id 0
		.amdhsa_next_free_vgpr 111
		.amdhsa_next_free_sgpr 39
		.amdhsa_reserve_vcc 1
		.amdhsa_float_round_mode_32 0
		.amdhsa_float_round_mode_16_64 0
		.amdhsa_float_denorm_mode_32 3
		.amdhsa_float_denorm_mode_16_64 3
		.amdhsa_dx10_clamp 1
		.amdhsa_ieee_mode 1
		.amdhsa_fp16_overflow 0
		.amdhsa_workgroup_processor_mode 1
		.amdhsa_memory_ordered 1
		.amdhsa_forward_progress 0
		.amdhsa_shared_vgpr_count 0
		.amdhsa_exception_fp_ieee_invalid_op 0
		.amdhsa_exception_fp_denorm_src 0
		.amdhsa_exception_fp_ieee_div_zero 0
		.amdhsa_exception_fp_ieee_overflow 0
		.amdhsa_exception_fp_ieee_underflow 0
		.amdhsa_exception_fp_ieee_inexact 0
		.amdhsa_exception_int_div_zero 0
	.end_amdhsa_kernel
	.section	.text._ZN7rocprim17ROCPRIM_400000_NS6detail17trampoline_kernelINS0_14default_configENS1_20scan_config_selectorIN3c107complexIfEEEEZZNS1_9scan_implILNS1_25lookback_scan_determinismE0ELb0ELb0ES3_PKS7_PS7_S7_ZZZN2at6native31launch_logcumsumexp_cuda_kernelERKNSE_10TensorBaseESI_lENKUlvE_clEvENKUlvE2_clEvEUlS7_S7_E_S7_EEDaPvRmT3_T4_T5_mT6_P12ihipStream_tbENKUlT_T0_E_clISt17integral_constantIbLb0EESY_IbLb1EEEEDaSU_SV_EUlSU_E_NS1_11comp_targetILNS1_3genE9ELNS1_11target_archE1100ELNS1_3gpuE3ELNS1_3repE0EEENS1_30default_config_static_selectorELNS0_4arch9wavefront6targetE0EEEvT1_,"axG",@progbits,_ZN7rocprim17ROCPRIM_400000_NS6detail17trampoline_kernelINS0_14default_configENS1_20scan_config_selectorIN3c107complexIfEEEEZZNS1_9scan_implILNS1_25lookback_scan_determinismE0ELb0ELb0ES3_PKS7_PS7_S7_ZZZN2at6native31launch_logcumsumexp_cuda_kernelERKNSE_10TensorBaseESI_lENKUlvE_clEvENKUlvE2_clEvEUlS7_S7_E_S7_EEDaPvRmT3_T4_T5_mT6_P12ihipStream_tbENKUlT_T0_E_clISt17integral_constantIbLb0EESY_IbLb1EEEEDaSU_SV_EUlSU_E_NS1_11comp_targetILNS1_3genE9ELNS1_11target_archE1100ELNS1_3gpuE3ELNS1_3repE0EEENS1_30default_config_static_selectorELNS0_4arch9wavefront6targetE0EEEvT1_,comdat
.Lfunc_end340:
	.size	_ZN7rocprim17ROCPRIM_400000_NS6detail17trampoline_kernelINS0_14default_configENS1_20scan_config_selectorIN3c107complexIfEEEEZZNS1_9scan_implILNS1_25lookback_scan_determinismE0ELb0ELb0ES3_PKS7_PS7_S7_ZZZN2at6native31launch_logcumsumexp_cuda_kernelERKNSE_10TensorBaseESI_lENKUlvE_clEvENKUlvE2_clEvEUlS7_S7_E_S7_EEDaPvRmT3_T4_T5_mT6_P12ihipStream_tbENKUlT_T0_E_clISt17integral_constantIbLb0EESY_IbLb1EEEEDaSU_SV_EUlSU_E_NS1_11comp_targetILNS1_3genE9ELNS1_11target_archE1100ELNS1_3gpuE3ELNS1_3repE0EEENS1_30default_config_static_selectorELNS0_4arch9wavefront6targetE0EEEvT1_, .Lfunc_end340-_ZN7rocprim17ROCPRIM_400000_NS6detail17trampoline_kernelINS0_14default_configENS1_20scan_config_selectorIN3c107complexIfEEEEZZNS1_9scan_implILNS1_25lookback_scan_determinismE0ELb0ELb0ES3_PKS7_PS7_S7_ZZZN2at6native31launch_logcumsumexp_cuda_kernelERKNSE_10TensorBaseESI_lENKUlvE_clEvENKUlvE2_clEvEUlS7_S7_E_S7_EEDaPvRmT3_T4_T5_mT6_P12ihipStream_tbENKUlT_T0_E_clISt17integral_constantIbLb0EESY_IbLb1EEEEDaSU_SV_EUlSU_E_NS1_11comp_targetILNS1_3genE9ELNS1_11target_archE1100ELNS1_3gpuE3ELNS1_3repE0EEENS1_30default_config_static_selectorELNS0_4arch9wavefront6targetE0EEEvT1_
                                        ; -- End function
	.section	.AMDGPU.csdata,"",@progbits
; Kernel info:
; codeLenInByte = 11556
; NumSgprs: 41
; NumVgprs: 111
; ScratchSize: 0
; MemoryBound: 0
; FloatMode: 240
; IeeeMode: 1
; LDSByteSize: 33792 bytes/workgroup (compile time only)
; SGPRBlocks: 5
; VGPRBlocks: 13
; NumSGPRsForWavesPerEU: 41
; NumVGPRsForWavesPerEU: 111
; Occupancy: 6
; WaveLimiterHint : 0
; COMPUTE_PGM_RSRC2:SCRATCH_EN: 0
; COMPUTE_PGM_RSRC2:USER_SGPR: 15
; COMPUTE_PGM_RSRC2:TRAP_HANDLER: 0
; COMPUTE_PGM_RSRC2:TGID_X_EN: 1
; COMPUTE_PGM_RSRC2:TGID_Y_EN: 0
; COMPUTE_PGM_RSRC2:TGID_Z_EN: 0
; COMPUTE_PGM_RSRC2:TIDIG_COMP_CNT: 0
	.section	.text._ZN7rocprim17ROCPRIM_400000_NS6detail17trampoline_kernelINS0_14default_configENS1_20scan_config_selectorIN3c107complexIfEEEEZZNS1_9scan_implILNS1_25lookback_scan_determinismE0ELb0ELb0ES3_PKS7_PS7_S7_ZZZN2at6native31launch_logcumsumexp_cuda_kernelERKNSE_10TensorBaseESI_lENKUlvE_clEvENKUlvE2_clEvEUlS7_S7_E_S7_EEDaPvRmT3_T4_T5_mT6_P12ihipStream_tbENKUlT_T0_E_clISt17integral_constantIbLb0EESY_IbLb1EEEEDaSU_SV_EUlSU_E_NS1_11comp_targetILNS1_3genE8ELNS1_11target_archE1030ELNS1_3gpuE2ELNS1_3repE0EEENS1_30default_config_static_selectorELNS0_4arch9wavefront6targetE0EEEvT1_,"axG",@progbits,_ZN7rocprim17ROCPRIM_400000_NS6detail17trampoline_kernelINS0_14default_configENS1_20scan_config_selectorIN3c107complexIfEEEEZZNS1_9scan_implILNS1_25lookback_scan_determinismE0ELb0ELb0ES3_PKS7_PS7_S7_ZZZN2at6native31launch_logcumsumexp_cuda_kernelERKNSE_10TensorBaseESI_lENKUlvE_clEvENKUlvE2_clEvEUlS7_S7_E_S7_EEDaPvRmT3_T4_T5_mT6_P12ihipStream_tbENKUlT_T0_E_clISt17integral_constantIbLb0EESY_IbLb1EEEEDaSU_SV_EUlSU_E_NS1_11comp_targetILNS1_3genE8ELNS1_11target_archE1030ELNS1_3gpuE2ELNS1_3repE0EEENS1_30default_config_static_selectorELNS0_4arch9wavefront6targetE0EEEvT1_,comdat
	.globl	_ZN7rocprim17ROCPRIM_400000_NS6detail17trampoline_kernelINS0_14default_configENS1_20scan_config_selectorIN3c107complexIfEEEEZZNS1_9scan_implILNS1_25lookback_scan_determinismE0ELb0ELb0ES3_PKS7_PS7_S7_ZZZN2at6native31launch_logcumsumexp_cuda_kernelERKNSE_10TensorBaseESI_lENKUlvE_clEvENKUlvE2_clEvEUlS7_S7_E_S7_EEDaPvRmT3_T4_T5_mT6_P12ihipStream_tbENKUlT_T0_E_clISt17integral_constantIbLb0EESY_IbLb1EEEEDaSU_SV_EUlSU_E_NS1_11comp_targetILNS1_3genE8ELNS1_11target_archE1030ELNS1_3gpuE2ELNS1_3repE0EEENS1_30default_config_static_selectorELNS0_4arch9wavefront6targetE0EEEvT1_ ; -- Begin function _ZN7rocprim17ROCPRIM_400000_NS6detail17trampoline_kernelINS0_14default_configENS1_20scan_config_selectorIN3c107complexIfEEEEZZNS1_9scan_implILNS1_25lookback_scan_determinismE0ELb0ELb0ES3_PKS7_PS7_S7_ZZZN2at6native31launch_logcumsumexp_cuda_kernelERKNSE_10TensorBaseESI_lENKUlvE_clEvENKUlvE2_clEvEUlS7_S7_E_S7_EEDaPvRmT3_T4_T5_mT6_P12ihipStream_tbENKUlT_T0_E_clISt17integral_constantIbLb0EESY_IbLb1EEEEDaSU_SV_EUlSU_E_NS1_11comp_targetILNS1_3genE8ELNS1_11target_archE1030ELNS1_3gpuE2ELNS1_3repE0EEENS1_30default_config_static_selectorELNS0_4arch9wavefront6targetE0EEEvT1_
	.p2align	8
	.type	_ZN7rocprim17ROCPRIM_400000_NS6detail17trampoline_kernelINS0_14default_configENS1_20scan_config_selectorIN3c107complexIfEEEEZZNS1_9scan_implILNS1_25lookback_scan_determinismE0ELb0ELb0ES3_PKS7_PS7_S7_ZZZN2at6native31launch_logcumsumexp_cuda_kernelERKNSE_10TensorBaseESI_lENKUlvE_clEvENKUlvE2_clEvEUlS7_S7_E_S7_EEDaPvRmT3_T4_T5_mT6_P12ihipStream_tbENKUlT_T0_E_clISt17integral_constantIbLb0EESY_IbLb1EEEEDaSU_SV_EUlSU_E_NS1_11comp_targetILNS1_3genE8ELNS1_11target_archE1030ELNS1_3gpuE2ELNS1_3repE0EEENS1_30default_config_static_selectorELNS0_4arch9wavefront6targetE0EEEvT1_,@function
_ZN7rocprim17ROCPRIM_400000_NS6detail17trampoline_kernelINS0_14default_configENS1_20scan_config_selectorIN3c107complexIfEEEEZZNS1_9scan_implILNS1_25lookback_scan_determinismE0ELb0ELb0ES3_PKS7_PS7_S7_ZZZN2at6native31launch_logcumsumexp_cuda_kernelERKNSE_10TensorBaseESI_lENKUlvE_clEvENKUlvE2_clEvEUlS7_S7_E_S7_EEDaPvRmT3_T4_T5_mT6_P12ihipStream_tbENKUlT_T0_E_clISt17integral_constantIbLb0EESY_IbLb1EEEEDaSU_SV_EUlSU_E_NS1_11comp_targetILNS1_3genE8ELNS1_11target_archE1030ELNS1_3gpuE2ELNS1_3repE0EEENS1_30default_config_static_selectorELNS0_4arch9wavefront6targetE0EEEvT1_: ; @_ZN7rocprim17ROCPRIM_400000_NS6detail17trampoline_kernelINS0_14default_configENS1_20scan_config_selectorIN3c107complexIfEEEEZZNS1_9scan_implILNS1_25lookback_scan_determinismE0ELb0ELb0ES3_PKS7_PS7_S7_ZZZN2at6native31launch_logcumsumexp_cuda_kernelERKNSE_10TensorBaseESI_lENKUlvE_clEvENKUlvE2_clEvEUlS7_S7_E_S7_EEDaPvRmT3_T4_T5_mT6_P12ihipStream_tbENKUlT_T0_E_clISt17integral_constantIbLb0EESY_IbLb1EEEEDaSU_SV_EUlSU_E_NS1_11comp_targetILNS1_3genE8ELNS1_11target_archE1030ELNS1_3gpuE2ELNS1_3repE0EEENS1_30default_config_static_selectorELNS0_4arch9wavefront6targetE0EEEvT1_
; %bb.0:
	.section	.rodata,"a",@progbits
	.p2align	6, 0x0
	.amdhsa_kernel _ZN7rocprim17ROCPRIM_400000_NS6detail17trampoline_kernelINS0_14default_configENS1_20scan_config_selectorIN3c107complexIfEEEEZZNS1_9scan_implILNS1_25lookback_scan_determinismE0ELb0ELb0ES3_PKS7_PS7_S7_ZZZN2at6native31launch_logcumsumexp_cuda_kernelERKNSE_10TensorBaseESI_lENKUlvE_clEvENKUlvE2_clEvEUlS7_S7_E_S7_EEDaPvRmT3_T4_T5_mT6_P12ihipStream_tbENKUlT_T0_E_clISt17integral_constantIbLb0EESY_IbLb1EEEEDaSU_SV_EUlSU_E_NS1_11comp_targetILNS1_3genE8ELNS1_11target_archE1030ELNS1_3gpuE2ELNS1_3repE0EEENS1_30default_config_static_selectorELNS0_4arch9wavefront6targetE0EEEvT1_
		.amdhsa_group_segment_fixed_size 0
		.amdhsa_private_segment_fixed_size 0
		.amdhsa_kernarg_size 104
		.amdhsa_user_sgpr_count 15
		.amdhsa_user_sgpr_dispatch_ptr 0
		.amdhsa_user_sgpr_queue_ptr 0
		.amdhsa_user_sgpr_kernarg_segment_ptr 1
		.amdhsa_user_sgpr_dispatch_id 0
		.amdhsa_user_sgpr_private_segment_size 0
		.amdhsa_wavefront_size32 1
		.amdhsa_uses_dynamic_stack 0
		.amdhsa_enable_private_segment 0
		.amdhsa_system_sgpr_workgroup_id_x 1
		.amdhsa_system_sgpr_workgroup_id_y 0
		.amdhsa_system_sgpr_workgroup_id_z 0
		.amdhsa_system_sgpr_workgroup_info 0
		.amdhsa_system_vgpr_workitem_id 0
		.amdhsa_next_free_vgpr 1
		.amdhsa_next_free_sgpr 1
		.amdhsa_reserve_vcc 0
		.amdhsa_float_round_mode_32 0
		.amdhsa_float_round_mode_16_64 0
		.amdhsa_float_denorm_mode_32 3
		.amdhsa_float_denorm_mode_16_64 3
		.amdhsa_dx10_clamp 1
		.amdhsa_ieee_mode 1
		.amdhsa_fp16_overflow 0
		.amdhsa_workgroup_processor_mode 1
		.amdhsa_memory_ordered 1
		.amdhsa_forward_progress 0
		.amdhsa_shared_vgpr_count 0
		.amdhsa_exception_fp_ieee_invalid_op 0
		.amdhsa_exception_fp_denorm_src 0
		.amdhsa_exception_fp_ieee_div_zero 0
		.amdhsa_exception_fp_ieee_overflow 0
		.amdhsa_exception_fp_ieee_underflow 0
		.amdhsa_exception_fp_ieee_inexact 0
		.amdhsa_exception_int_div_zero 0
	.end_amdhsa_kernel
	.section	.text._ZN7rocprim17ROCPRIM_400000_NS6detail17trampoline_kernelINS0_14default_configENS1_20scan_config_selectorIN3c107complexIfEEEEZZNS1_9scan_implILNS1_25lookback_scan_determinismE0ELb0ELb0ES3_PKS7_PS7_S7_ZZZN2at6native31launch_logcumsumexp_cuda_kernelERKNSE_10TensorBaseESI_lENKUlvE_clEvENKUlvE2_clEvEUlS7_S7_E_S7_EEDaPvRmT3_T4_T5_mT6_P12ihipStream_tbENKUlT_T0_E_clISt17integral_constantIbLb0EESY_IbLb1EEEEDaSU_SV_EUlSU_E_NS1_11comp_targetILNS1_3genE8ELNS1_11target_archE1030ELNS1_3gpuE2ELNS1_3repE0EEENS1_30default_config_static_selectorELNS0_4arch9wavefront6targetE0EEEvT1_,"axG",@progbits,_ZN7rocprim17ROCPRIM_400000_NS6detail17trampoline_kernelINS0_14default_configENS1_20scan_config_selectorIN3c107complexIfEEEEZZNS1_9scan_implILNS1_25lookback_scan_determinismE0ELb0ELb0ES3_PKS7_PS7_S7_ZZZN2at6native31launch_logcumsumexp_cuda_kernelERKNSE_10TensorBaseESI_lENKUlvE_clEvENKUlvE2_clEvEUlS7_S7_E_S7_EEDaPvRmT3_T4_T5_mT6_P12ihipStream_tbENKUlT_T0_E_clISt17integral_constantIbLb0EESY_IbLb1EEEEDaSU_SV_EUlSU_E_NS1_11comp_targetILNS1_3genE8ELNS1_11target_archE1030ELNS1_3gpuE2ELNS1_3repE0EEENS1_30default_config_static_selectorELNS0_4arch9wavefront6targetE0EEEvT1_,comdat
.Lfunc_end341:
	.size	_ZN7rocprim17ROCPRIM_400000_NS6detail17trampoline_kernelINS0_14default_configENS1_20scan_config_selectorIN3c107complexIfEEEEZZNS1_9scan_implILNS1_25lookback_scan_determinismE0ELb0ELb0ES3_PKS7_PS7_S7_ZZZN2at6native31launch_logcumsumexp_cuda_kernelERKNSE_10TensorBaseESI_lENKUlvE_clEvENKUlvE2_clEvEUlS7_S7_E_S7_EEDaPvRmT3_T4_T5_mT6_P12ihipStream_tbENKUlT_T0_E_clISt17integral_constantIbLb0EESY_IbLb1EEEEDaSU_SV_EUlSU_E_NS1_11comp_targetILNS1_3genE8ELNS1_11target_archE1030ELNS1_3gpuE2ELNS1_3repE0EEENS1_30default_config_static_selectorELNS0_4arch9wavefront6targetE0EEEvT1_, .Lfunc_end341-_ZN7rocprim17ROCPRIM_400000_NS6detail17trampoline_kernelINS0_14default_configENS1_20scan_config_selectorIN3c107complexIfEEEEZZNS1_9scan_implILNS1_25lookback_scan_determinismE0ELb0ELb0ES3_PKS7_PS7_S7_ZZZN2at6native31launch_logcumsumexp_cuda_kernelERKNSE_10TensorBaseESI_lENKUlvE_clEvENKUlvE2_clEvEUlS7_S7_E_S7_EEDaPvRmT3_T4_T5_mT6_P12ihipStream_tbENKUlT_T0_E_clISt17integral_constantIbLb0EESY_IbLb1EEEEDaSU_SV_EUlSU_E_NS1_11comp_targetILNS1_3genE8ELNS1_11target_archE1030ELNS1_3gpuE2ELNS1_3repE0EEENS1_30default_config_static_selectorELNS0_4arch9wavefront6targetE0EEEvT1_
                                        ; -- End function
	.section	.AMDGPU.csdata,"",@progbits
; Kernel info:
; codeLenInByte = 0
; NumSgprs: 0
; NumVgprs: 0
; ScratchSize: 0
; MemoryBound: 0
; FloatMode: 240
; IeeeMode: 1
; LDSByteSize: 0 bytes/workgroup (compile time only)
; SGPRBlocks: 0
; VGPRBlocks: 0
; NumSGPRsForWavesPerEU: 1
; NumVGPRsForWavesPerEU: 1
; Occupancy: 16
; WaveLimiterHint : 0
; COMPUTE_PGM_RSRC2:SCRATCH_EN: 0
; COMPUTE_PGM_RSRC2:USER_SGPR: 15
; COMPUTE_PGM_RSRC2:TRAP_HANDLER: 0
; COMPUTE_PGM_RSRC2:TGID_X_EN: 1
; COMPUTE_PGM_RSRC2:TGID_Y_EN: 0
; COMPUTE_PGM_RSRC2:TGID_Z_EN: 0
; COMPUTE_PGM_RSRC2:TIDIG_COMP_CNT: 0
	.section	.text._ZN7rocprim17ROCPRIM_400000_NS6detail17trampoline_kernelINS0_14default_configENS1_20scan_config_selectorIN3c107complexIfEEEEZZNS1_9scan_implILNS1_25lookback_scan_determinismE0ELb0ELb0ES3_PKS7_PS7_S7_ZZZN2at6native31launch_logcumsumexp_cuda_kernelERKNSE_10TensorBaseESI_lENKUlvE_clEvENKUlvE2_clEvEUlS7_S7_E_S7_EEDaPvRmT3_T4_T5_mT6_P12ihipStream_tbENKUlT_T0_E_clISt17integral_constantIbLb0EESY_IbLb1EEEEDaSU_SV_EUlSU_E0_NS1_11comp_targetILNS1_3genE0ELNS1_11target_archE4294967295ELNS1_3gpuE0ELNS1_3repE0EEENS1_30default_config_static_selectorELNS0_4arch9wavefront6targetE0EEEvT1_,"axG",@progbits,_ZN7rocprim17ROCPRIM_400000_NS6detail17trampoline_kernelINS0_14default_configENS1_20scan_config_selectorIN3c107complexIfEEEEZZNS1_9scan_implILNS1_25lookback_scan_determinismE0ELb0ELb0ES3_PKS7_PS7_S7_ZZZN2at6native31launch_logcumsumexp_cuda_kernelERKNSE_10TensorBaseESI_lENKUlvE_clEvENKUlvE2_clEvEUlS7_S7_E_S7_EEDaPvRmT3_T4_T5_mT6_P12ihipStream_tbENKUlT_T0_E_clISt17integral_constantIbLb0EESY_IbLb1EEEEDaSU_SV_EUlSU_E0_NS1_11comp_targetILNS1_3genE0ELNS1_11target_archE4294967295ELNS1_3gpuE0ELNS1_3repE0EEENS1_30default_config_static_selectorELNS0_4arch9wavefront6targetE0EEEvT1_,comdat
	.globl	_ZN7rocprim17ROCPRIM_400000_NS6detail17trampoline_kernelINS0_14default_configENS1_20scan_config_selectorIN3c107complexIfEEEEZZNS1_9scan_implILNS1_25lookback_scan_determinismE0ELb0ELb0ES3_PKS7_PS7_S7_ZZZN2at6native31launch_logcumsumexp_cuda_kernelERKNSE_10TensorBaseESI_lENKUlvE_clEvENKUlvE2_clEvEUlS7_S7_E_S7_EEDaPvRmT3_T4_T5_mT6_P12ihipStream_tbENKUlT_T0_E_clISt17integral_constantIbLb0EESY_IbLb1EEEEDaSU_SV_EUlSU_E0_NS1_11comp_targetILNS1_3genE0ELNS1_11target_archE4294967295ELNS1_3gpuE0ELNS1_3repE0EEENS1_30default_config_static_selectorELNS0_4arch9wavefront6targetE0EEEvT1_ ; -- Begin function _ZN7rocprim17ROCPRIM_400000_NS6detail17trampoline_kernelINS0_14default_configENS1_20scan_config_selectorIN3c107complexIfEEEEZZNS1_9scan_implILNS1_25lookback_scan_determinismE0ELb0ELb0ES3_PKS7_PS7_S7_ZZZN2at6native31launch_logcumsumexp_cuda_kernelERKNSE_10TensorBaseESI_lENKUlvE_clEvENKUlvE2_clEvEUlS7_S7_E_S7_EEDaPvRmT3_T4_T5_mT6_P12ihipStream_tbENKUlT_T0_E_clISt17integral_constantIbLb0EESY_IbLb1EEEEDaSU_SV_EUlSU_E0_NS1_11comp_targetILNS1_3genE0ELNS1_11target_archE4294967295ELNS1_3gpuE0ELNS1_3repE0EEENS1_30default_config_static_selectorELNS0_4arch9wavefront6targetE0EEEvT1_
	.p2align	8
	.type	_ZN7rocprim17ROCPRIM_400000_NS6detail17trampoline_kernelINS0_14default_configENS1_20scan_config_selectorIN3c107complexIfEEEEZZNS1_9scan_implILNS1_25lookback_scan_determinismE0ELb0ELb0ES3_PKS7_PS7_S7_ZZZN2at6native31launch_logcumsumexp_cuda_kernelERKNSE_10TensorBaseESI_lENKUlvE_clEvENKUlvE2_clEvEUlS7_S7_E_S7_EEDaPvRmT3_T4_T5_mT6_P12ihipStream_tbENKUlT_T0_E_clISt17integral_constantIbLb0EESY_IbLb1EEEEDaSU_SV_EUlSU_E0_NS1_11comp_targetILNS1_3genE0ELNS1_11target_archE4294967295ELNS1_3gpuE0ELNS1_3repE0EEENS1_30default_config_static_selectorELNS0_4arch9wavefront6targetE0EEEvT1_,@function
_ZN7rocprim17ROCPRIM_400000_NS6detail17trampoline_kernelINS0_14default_configENS1_20scan_config_selectorIN3c107complexIfEEEEZZNS1_9scan_implILNS1_25lookback_scan_determinismE0ELb0ELb0ES3_PKS7_PS7_S7_ZZZN2at6native31launch_logcumsumexp_cuda_kernelERKNSE_10TensorBaseESI_lENKUlvE_clEvENKUlvE2_clEvEUlS7_S7_E_S7_EEDaPvRmT3_T4_T5_mT6_P12ihipStream_tbENKUlT_T0_E_clISt17integral_constantIbLb0EESY_IbLb1EEEEDaSU_SV_EUlSU_E0_NS1_11comp_targetILNS1_3genE0ELNS1_11target_archE4294967295ELNS1_3gpuE0ELNS1_3repE0EEENS1_30default_config_static_selectorELNS0_4arch9wavefront6targetE0EEEvT1_: ; @_ZN7rocprim17ROCPRIM_400000_NS6detail17trampoline_kernelINS0_14default_configENS1_20scan_config_selectorIN3c107complexIfEEEEZZNS1_9scan_implILNS1_25lookback_scan_determinismE0ELb0ELb0ES3_PKS7_PS7_S7_ZZZN2at6native31launch_logcumsumexp_cuda_kernelERKNSE_10TensorBaseESI_lENKUlvE_clEvENKUlvE2_clEvEUlS7_S7_E_S7_EEDaPvRmT3_T4_T5_mT6_P12ihipStream_tbENKUlT_T0_E_clISt17integral_constantIbLb0EESY_IbLb1EEEEDaSU_SV_EUlSU_E0_NS1_11comp_targetILNS1_3genE0ELNS1_11target_archE4294967295ELNS1_3gpuE0ELNS1_3repE0EEENS1_30default_config_static_selectorELNS0_4arch9wavefront6targetE0EEEvT1_
; %bb.0:
	.section	.rodata,"a",@progbits
	.p2align	6, 0x0
	.amdhsa_kernel _ZN7rocprim17ROCPRIM_400000_NS6detail17trampoline_kernelINS0_14default_configENS1_20scan_config_selectorIN3c107complexIfEEEEZZNS1_9scan_implILNS1_25lookback_scan_determinismE0ELb0ELb0ES3_PKS7_PS7_S7_ZZZN2at6native31launch_logcumsumexp_cuda_kernelERKNSE_10TensorBaseESI_lENKUlvE_clEvENKUlvE2_clEvEUlS7_S7_E_S7_EEDaPvRmT3_T4_T5_mT6_P12ihipStream_tbENKUlT_T0_E_clISt17integral_constantIbLb0EESY_IbLb1EEEEDaSU_SV_EUlSU_E0_NS1_11comp_targetILNS1_3genE0ELNS1_11target_archE4294967295ELNS1_3gpuE0ELNS1_3repE0EEENS1_30default_config_static_selectorELNS0_4arch9wavefront6targetE0EEEvT1_
		.amdhsa_group_segment_fixed_size 0
		.amdhsa_private_segment_fixed_size 0
		.amdhsa_kernarg_size 40
		.amdhsa_user_sgpr_count 15
		.amdhsa_user_sgpr_dispatch_ptr 0
		.amdhsa_user_sgpr_queue_ptr 0
		.amdhsa_user_sgpr_kernarg_segment_ptr 1
		.amdhsa_user_sgpr_dispatch_id 0
		.amdhsa_user_sgpr_private_segment_size 0
		.amdhsa_wavefront_size32 1
		.amdhsa_uses_dynamic_stack 0
		.amdhsa_enable_private_segment 0
		.amdhsa_system_sgpr_workgroup_id_x 1
		.amdhsa_system_sgpr_workgroup_id_y 0
		.amdhsa_system_sgpr_workgroup_id_z 0
		.amdhsa_system_sgpr_workgroup_info 0
		.amdhsa_system_vgpr_workitem_id 0
		.amdhsa_next_free_vgpr 1
		.amdhsa_next_free_sgpr 1
		.amdhsa_reserve_vcc 0
		.amdhsa_float_round_mode_32 0
		.amdhsa_float_round_mode_16_64 0
		.amdhsa_float_denorm_mode_32 3
		.amdhsa_float_denorm_mode_16_64 3
		.amdhsa_dx10_clamp 1
		.amdhsa_ieee_mode 1
		.amdhsa_fp16_overflow 0
		.amdhsa_workgroup_processor_mode 1
		.amdhsa_memory_ordered 1
		.amdhsa_forward_progress 0
		.amdhsa_shared_vgpr_count 0
		.amdhsa_exception_fp_ieee_invalid_op 0
		.amdhsa_exception_fp_denorm_src 0
		.amdhsa_exception_fp_ieee_div_zero 0
		.amdhsa_exception_fp_ieee_overflow 0
		.amdhsa_exception_fp_ieee_underflow 0
		.amdhsa_exception_fp_ieee_inexact 0
		.amdhsa_exception_int_div_zero 0
	.end_amdhsa_kernel
	.section	.text._ZN7rocprim17ROCPRIM_400000_NS6detail17trampoline_kernelINS0_14default_configENS1_20scan_config_selectorIN3c107complexIfEEEEZZNS1_9scan_implILNS1_25lookback_scan_determinismE0ELb0ELb0ES3_PKS7_PS7_S7_ZZZN2at6native31launch_logcumsumexp_cuda_kernelERKNSE_10TensorBaseESI_lENKUlvE_clEvENKUlvE2_clEvEUlS7_S7_E_S7_EEDaPvRmT3_T4_T5_mT6_P12ihipStream_tbENKUlT_T0_E_clISt17integral_constantIbLb0EESY_IbLb1EEEEDaSU_SV_EUlSU_E0_NS1_11comp_targetILNS1_3genE0ELNS1_11target_archE4294967295ELNS1_3gpuE0ELNS1_3repE0EEENS1_30default_config_static_selectorELNS0_4arch9wavefront6targetE0EEEvT1_,"axG",@progbits,_ZN7rocprim17ROCPRIM_400000_NS6detail17trampoline_kernelINS0_14default_configENS1_20scan_config_selectorIN3c107complexIfEEEEZZNS1_9scan_implILNS1_25lookback_scan_determinismE0ELb0ELb0ES3_PKS7_PS7_S7_ZZZN2at6native31launch_logcumsumexp_cuda_kernelERKNSE_10TensorBaseESI_lENKUlvE_clEvENKUlvE2_clEvEUlS7_S7_E_S7_EEDaPvRmT3_T4_T5_mT6_P12ihipStream_tbENKUlT_T0_E_clISt17integral_constantIbLb0EESY_IbLb1EEEEDaSU_SV_EUlSU_E0_NS1_11comp_targetILNS1_3genE0ELNS1_11target_archE4294967295ELNS1_3gpuE0ELNS1_3repE0EEENS1_30default_config_static_selectorELNS0_4arch9wavefront6targetE0EEEvT1_,comdat
.Lfunc_end342:
	.size	_ZN7rocprim17ROCPRIM_400000_NS6detail17trampoline_kernelINS0_14default_configENS1_20scan_config_selectorIN3c107complexIfEEEEZZNS1_9scan_implILNS1_25lookback_scan_determinismE0ELb0ELb0ES3_PKS7_PS7_S7_ZZZN2at6native31launch_logcumsumexp_cuda_kernelERKNSE_10TensorBaseESI_lENKUlvE_clEvENKUlvE2_clEvEUlS7_S7_E_S7_EEDaPvRmT3_T4_T5_mT6_P12ihipStream_tbENKUlT_T0_E_clISt17integral_constantIbLb0EESY_IbLb1EEEEDaSU_SV_EUlSU_E0_NS1_11comp_targetILNS1_3genE0ELNS1_11target_archE4294967295ELNS1_3gpuE0ELNS1_3repE0EEENS1_30default_config_static_selectorELNS0_4arch9wavefront6targetE0EEEvT1_, .Lfunc_end342-_ZN7rocprim17ROCPRIM_400000_NS6detail17trampoline_kernelINS0_14default_configENS1_20scan_config_selectorIN3c107complexIfEEEEZZNS1_9scan_implILNS1_25lookback_scan_determinismE0ELb0ELb0ES3_PKS7_PS7_S7_ZZZN2at6native31launch_logcumsumexp_cuda_kernelERKNSE_10TensorBaseESI_lENKUlvE_clEvENKUlvE2_clEvEUlS7_S7_E_S7_EEDaPvRmT3_T4_T5_mT6_P12ihipStream_tbENKUlT_T0_E_clISt17integral_constantIbLb0EESY_IbLb1EEEEDaSU_SV_EUlSU_E0_NS1_11comp_targetILNS1_3genE0ELNS1_11target_archE4294967295ELNS1_3gpuE0ELNS1_3repE0EEENS1_30default_config_static_selectorELNS0_4arch9wavefront6targetE0EEEvT1_
                                        ; -- End function
	.section	.AMDGPU.csdata,"",@progbits
; Kernel info:
; codeLenInByte = 0
; NumSgprs: 0
; NumVgprs: 0
; ScratchSize: 0
; MemoryBound: 0
; FloatMode: 240
; IeeeMode: 1
; LDSByteSize: 0 bytes/workgroup (compile time only)
; SGPRBlocks: 0
; VGPRBlocks: 0
; NumSGPRsForWavesPerEU: 1
; NumVGPRsForWavesPerEU: 1
; Occupancy: 16
; WaveLimiterHint : 0
; COMPUTE_PGM_RSRC2:SCRATCH_EN: 0
; COMPUTE_PGM_RSRC2:USER_SGPR: 15
; COMPUTE_PGM_RSRC2:TRAP_HANDLER: 0
; COMPUTE_PGM_RSRC2:TGID_X_EN: 1
; COMPUTE_PGM_RSRC2:TGID_Y_EN: 0
; COMPUTE_PGM_RSRC2:TGID_Z_EN: 0
; COMPUTE_PGM_RSRC2:TIDIG_COMP_CNT: 0
	.section	.text._ZN7rocprim17ROCPRIM_400000_NS6detail17trampoline_kernelINS0_14default_configENS1_20scan_config_selectorIN3c107complexIfEEEEZZNS1_9scan_implILNS1_25lookback_scan_determinismE0ELb0ELb0ES3_PKS7_PS7_S7_ZZZN2at6native31launch_logcumsumexp_cuda_kernelERKNSE_10TensorBaseESI_lENKUlvE_clEvENKUlvE2_clEvEUlS7_S7_E_S7_EEDaPvRmT3_T4_T5_mT6_P12ihipStream_tbENKUlT_T0_E_clISt17integral_constantIbLb0EESY_IbLb1EEEEDaSU_SV_EUlSU_E0_NS1_11comp_targetILNS1_3genE5ELNS1_11target_archE942ELNS1_3gpuE9ELNS1_3repE0EEENS1_30default_config_static_selectorELNS0_4arch9wavefront6targetE0EEEvT1_,"axG",@progbits,_ZN7rocprim17ROCPRIM_400000_NS6detail17trampoline_kernelINS0_14default_configENS1_20scan_config_selectorIN3c107complexIfEEEEZZNS1_9scan_implILNS1_25lookback_scan_determinismE0ELb0ELb0ES3_PKS7_PS7_S7_ZZZN2at6native31launch_logcumsumexp_cuda_kernelERKNSE_10TensorBaseESI_lENKUlvE_clEvENKUlvE2_clEvEUlS7_S7_E_S7_EEDaPvRmT3_T4_T5_mT6_P12ihipStream_tbENKUlT_T0_E_clISt17integral_constantIbLb0EESY_IbLb1EEEEDaSU_SV_EUlSU_E0_NS1_11comp_targetILNS1_3genE5ELNS1_11target_archE942ELNS1_3gpuE9ELNS1_3repE0EEENS1_30default_config_static_selectorELNS0_4arch9wavefront6targetE0EEEvT1_,comdat
	.globl	_ZN7rocprim17ROCPRIM_400000_NS6detail17trampoline_kernelINS0_14default_configENS1_20scan_config_selectorIN3c107complexIfEEEEZZNS1_9scan_implILNS1_25lookback_scan_determinismE0ELb0ELb0ES3_PKS7_PS7_S7_ZZZN2at6native31launch_logcumsumexp_cuda_kernelERKNSE_10TensorBaseESI_lENKUlvE_clEvENKUlvE2_clEvEUlS7_S7_E_S7_EEDaPvRmT3_T4_T5_mT6_P12ihipStream_tbENKUlT_T0_E_clISt17integral_constantIbLb0EESY_IbLb1EEEEDaSU_SV_EUlSU_E0_NS1_11comp_targetILNS1_3genE5ELNS1_11target_archE942ELNS1_3gpuE9ELNS1_3repE0EEENS1_30default_config_static_selectorELNS0_4arch9wavefront6targetE0EEEvT1_ ; -- Begin function _ZN7rocprim17ROCPRIM_400000_NS6detail17trampoline_kernelINS0_14default_configENS1_20scan_config_selectorIN3c107complexIfEEEEZZNS1_9scan_implILNS1_25lookback_scan_determinismE0ELb0ELb0ES3_PKS7_PS7_S7_ZZZN2at6native31launch_logcumsumexp_cuda_kernelERKNSE_10TensorBaseESI_lENKUlvE_clEvENKUlvE2_clEvEUlS7_S7_E_S7_EEDaPvRmT3_T4_T5_mT6_P12ihipStream_tbENKUlT_T0_E_clISt17integral_constantIbLb0EESY_IbLb1EEEEDaSU_SV_EUlSU_E0_NS1_11comp_targetILNS1_3genE5ELNS1_11target_archE942ELNS1_3gpuE9ELNS1_3repE0EEENS1_30default_config_static_selectorELNS0_4arch9wavefront6targetE0EEEvT1_
	.p2align	8
	.type	_ZN7rocprim17ROCPRIM_400000_NS6detail17trampoline_kernelINS0_14default_configENS1_20scan_config_selectorIN3c107complexIfEEEEZZNS1_9scan_implILNS1_25lookback_scan_determinismE0ELb0ELb0ES3_PKS7_PS7_S7_ZZZN2at6native31launch_logcumsumexp_cuda_kernelERKNSE_10TensorBaseESI_lENKUlvE_clEvENKUlvE2_clEvEUlS7_S7_E_S7_EEDaPvRmT3_T4_T5_mT6_P12ihipStream_tbENKUlT_T0_E_clISt17integral_constantIbLb0EESY_IbLb1EEEEDaSU_SV_EUlSU_E0_NS1_11comp_targetILNS1_3genE5ELNS1_11target_archE942ELNS1_3gpuE9ELNS1_3repE0EEENS1_30default_config_static_selectorELNS0_4arch9wavefront6targetE0EEEvT1_,@function
_ZN7rocprim17ROCPRIM_400000_NS6detail17trampoline_kernelINS0_14default_configENS1_20scan_config_selectorIN3c107complexIfEEEEZZNS1_9scan_implILNS1_25lookback_scan_determinismE0ELb0ELb0ES3_PKS7_PS7_S7_ZZZN2at6native31launch_logcumsumexp_cuda_kernelERKNSE_10TensorBaseESI_lENKUlvE_clEvENKUlvE2_clEvEUlS7_S7_E_S7_EEDaPvRmT3_T4_T5_mT6_P12ihipStream_tbENKUlT_T0_E_clISt17integral_constantIbLb0EESY_IbLb1EEEEDaSU_SV_EUlSU_E0_NS1_11comp_targetILNS1_3genE5ELNS1_11target_archE942ELNS1_3gpuE9ELNS1_3repE0EEENS1_30default_config_static_selectorELNS0_4arch9wavefront6targetE0EEEvT1_: ; @_ZN7rocprim17ROCPRIM_400000_NS6detail17trampoline_kernelINS0_14default_configENS1_20scan_config_selectorIN3c107complexIfEEEEZZNS1_9scan_implILNS1_25lookback_scan_determinismE0ELb0ELb0ES3_PKS7_PS7_S7_ZZZN2at6native31launch_logcumsumexp_cuda_kernelERKNSE_10TensorBaseESI_lENKUlvE_clEvENKUlvE2_clEvEUlS7_S7_E_S7_EEDaPvRmT3_T4_T5_mT6_P12ihipStream_tbENKUlT_T0_E_clISt17integral_constantIbLb0EESY_IbLb1EEEEDaSU_SV_EUlSU_E0_NS1_11comp_targetILNS1_3genE5ELNS1_11target_archE942ELNS1_3gpuE9ELNS1_3repE0EEENS1_30default_config_static_selectorELNS0_4arch9wavefront6targetE0EEEvT1_
; %bb.0:
	.section	.rodata,"a",@progbits
	.p2align	6, 0x0
	.amdhsa_kernel _ZN7rocprim17ROCPRIM_400000_NS6detail17trampoline_kernelINS0_14default_configENS1_20scan_config_selectorIN3c107complexIfEEEEZZNS1_9scan_implILNS1_25lookback_scan_determinismE0ELb0ELb0ES3_PKS7_PS7_S7_ZZZN2at6native31launch_logcumsumexp_cuda_kernelERKNSE_10TensorBaseESI_lENKUlvE_clEvENKUlvE2_clEvEUlS7_S7_E_S7_EEDaPvRmT3_T4_T5_mT6_P12ihipStream_tbENKUlT_T0_E_clISt17integral_constantIbLb0EESY_IbLb1EEEEDaSU_SV_EUlSU_E0_NS1_11comp_targetILNS1_3genE5ELNS1_11target_archE942ELNS1_3gpuE9ELNS1_3repE0EEENS1_30default_config_static_selectorELNS0_4arch9wavefront6targetE0EEEvT1_
		.amdhsa_group_segment_fixed_size 0
		.amdhsa_private_segment_fixed_size 0
		.amdhsa_kernarg_size 40
		.amdhsa_user_sgpr_count 15
		.amdhsa_user_sgpr_dispatch_ptr 0
		.amdhsa_user_sgpr_queue_ptr 0
		.amdhsa_user_sgpr_kernarg_segment_ptr 1
		.amdhsa_user_sgpr_dispatch_id 0
		.amdhsa_user_sgpr_private_segment_size 0
		.amdhsa_wavefront_size32 1
		.amdhsa_uses_dynamic_stack 0
		.amdhsa_enable_private_segment 0
		.amdhsa_system_sgpr_workgroup_id_x 1
		.amdhsa_system_sgpr_workgroup_id_y 0
		.amdhsa_system_sgpr_workgroup_id_z 0
		.amdhsa_system_sgpr_workgroup_info 0
		.amdhsa_system_vgpr_workitem_id 0
		.amdhsa_next_free_vgpr 1
		.amdhsa_next_free_sgpr 1
		.amdhsa_reserve_vcc 0
		.amdhsa_float_round_mode_32 0
		.amdhsa_float_round_mode_16_64 0
		.amdhsa_float_denorm_mode_32 3
		.amdhsa_float_denorm_mode_16_64 3
		.amdhsa_dx10_clamp 1
		.amdhsa_ieee_mode 1
		.amdhsa_fp16_overflow 0
		.amdhsa_workgroup_processor_mode 1
		.amdhsa_memory_ordered 1
		.amdhsa_forward_progress 0
		.amdhsa_shared_vgpr_count 0
		.amdhsa_exception_fp_ieee_invalid_op 0
		.amdhsa_exception_fp_denorm_src 0
		.amdhsa_exception_fp_ieee_div_zero 0
		.amdhsa_exception_fp_ieee_overflow 0
		.amdhsa_exception_fp_ieee_underflow 0
		.amdhsa_exception_fp_ieee_inexact 0
		.amdhsa_exception_int_div_zero 0
	.end_amdhsa_kernel
	.section	.text._ZN7rocprim17ROCPRIM_400000_NS6detail17trampoline_kernelINS0_14default_configENS1_20scan_config_selectorIN3c107complexIfEEEEZZNS1_9scan_implILNS1_25lookback_scan_determinismE0ELb0ELb0ES3_PKS7_PS7_S7_ZZZN2at6native31launch_logcumsumexp_cuda_kernelERKNSE_10TensorBaseESI_lENKUlvE_clEvENKUlvE2_clEvEUlS7_S7_E_S7_EEDaPvRmT3_T4_T5_mT6_P12ihipStream_tbENKUlT_T0_E_clISt17integral_constantIbLb0EESY_IbLb1EEEEDaSU_SV_EUlSU_E0_NS1_11comp_targetILNS1_3genE5ELNS1_11target_archE942ELNS1_3gpuE9ELNS1_3repE0EEENS1_30default_config_static_selectorELNS0_4arch9wavefront6targetE0EEEvT1_,"axG",@progbits,_ZN7rocprim17ROCPRIM_400000_NS6detail17trampoline_kernelINS0_14default_configENS1_20scan_config_selectorIN3c107complexIfEEEEZZNS1_9scan_implILNS1_25lookback_scan_determinismE0ELb0ELb0ES3_PKS7_PS7_S7_ZZZN2at6native31launch_logcumsumexp_cuda_kernelERKNSE_10TensorBaseESI_lENKUlvE_clEvENKUlvE2_clEvEUlS7_S7_E_S7_EEDaPvRmT3_T4_T5_mT6_P12ihipStream_tbENKUlT_T0_E_clISt17integral_constantIbLb0EESY_IbLb1EEEEDaSU_SV_EUlSU_E0_NS1_11comp_targetILNS1_3genE5ELNS1_11target_archE942ELNS1_3gpuE9ELNS1_3repE0EEENS1_30default_config_static_selectorELNS0_4arch9wavefront6targetE0EEEvT1_,comdat
.Lfunc_end343:
	.size	_ZN7rocprim17ROCPRIM_400000_NS6detail17trampoline_kernelINS0_14default_configENS1_20scan_config_selectorIN3c107complexIfEEEEZZNS1_9scan_implILNS1_25lookback_scan_determinismE0ELb0ELb0ES3_PKS7_PS7_S7_ZZZN2at6native31launch_logcumsumexp_cuda_kernelERKNSE_10TensorBaseESI_lENKUlvE_clEvENKUlvE2_clEvEUlS7_S7_E_S7_EEDaPvRmT3_T4_T5_mT6_P12ihipStream_tbENKUlT_T0_E_clISt17integral_constantIbLb0EESY_IbLb1EEEEDaSU_SV_EUlSU_E0_NS1_11comp_targetILNS1_3genE5ELNS1_11target_archE942ELNS1_3gpuE9ELNS1_3repE0EEENS1_30default_config_static_selectorELNS0_4arch9wavefront6targetE0EEEvT1_, .Lfunc_end343-_ZN7rocprim17ROCPRIM_400000_NS6detail17trampoline_kernelINS0_14default_configENS1_20scan_config_selectorIN3c107complexIfEEEEZZNS1_9scan_implILNS1_25lookback_scan_determinismE0ELb0ELb0ES3_PKS7_PS7_S7_ZZZN2at6native31launch_logcumsumexp_cuda_kernelERKNSE_10TensorBaseESI_lENKUlvE_clEvENKUlvE2_clEvEUlS7_S7_E_S7_EEDaPvRmT3_T4_T5_mT6_P12ihipStream_tbENKUlT_T0_E_clISt17integral_constantIbLb0EESY_IbLb1EEEEDaSU_SV_EUlSU_E0_NS1_11comp_targetILNS1_3genE5ELNS1_11target_archE942ELNS1_3gpuE9ELNS1_3repE0EEENS1_30default_config_static_selectorELNS0_4arch9wavefront6targetE0EEEvT1_
                                        ; -- End function
	.section	.AMDGPU.csdata,"",@progbits
; Kernel info:
; codeLenInByte = 0
; NumSgprs: 0
; NumVgprs: 0
; ScratchSize: 0
; MemoryBound: 0
; FloatMode: 240
; IeeeMode: 1
; LDSByteSize: 0 bytes/workgroup (compile time only)
; SGPRBlocks: 0
; VGPRBlocks: 0
; NumSGPRsForWavesPerEU: 1
; NumVGPRsForWavesPerEU: 1
; Occupancy: 16
; WaveLimiterHint : 0
; COMPUTE_PGM_RSRC2:SCRATCH_EN: 0
; COMPUTE_PGM_RSRC2:USER_SGPR: 15
; COMPUTE_PGM_RSRC2:TRAP_HANDLER: 0
; COMPUTE_PGM_RSRC2:TGID_X_EN: 1
; COMPUTE_PGM_RSRC2:TGID_Y_EN: 0
; COMPUTE_PGM_RSRC2:TGID_Z_EN: 0
; COMPUTE_PGM_RSRC2:TIDIG_COMP_CNT: 0
	.section	.text._ZN7rocprim17ROCPRIM_400000_NS6detail17trampoline_kernelINS0_14default_configENS1_20scan_config_selectorIN3c107complexIfEEEEZZNS1_9scan_implILNS1_25lookback_scan_determinismE0ELb0ELb0ES3_PKS7_PS7_S7_ZZZN2at6native31launch_logcumsumexp_cuda_kernelERKNSE_10TensorBaseESI_lENKUlvE_clEvENKUlvE2_clEvEUlS7_S7_E_S7_EEDaPvRmT3_T4_T5_mT6_P12ihipStream_tbENKUlT_T0_E_clISt17integral_constantIbLb0EESY_IbLb1EEEEDaSU_SV_EUlSU_E0_NS1_11comp_targetILNS1_3genE4ELNS1_11target_archE910ELNS1_3gpuE8ELNS1_3repE0EEENS1_30default_config_static_selectorELNS0_4arch9wavefront6targetE0EEEvT1_,"axG",@progbits,_ZN7rocprim17ROCPRIM_400000_NS6detail17trampoline_kernelINS0_14default_configENS1_20scan_config_selectorIN3c107complexIfEEEEZZNS1_9scan_implILNS1_25lookback_scan_determinismE0ELb0ELb0ES3_PKS7_PS7_S7_ZZZN2at6native31launch_logcumsumexp_cuda_kernelERKNSE_10TensorBaseESI_lENKUlvE_clEvENKUlvE2_clEvEUlS7_S7_E_S7_EEDaPvRmT3_T4_T5_mT6_P12ihipStream_tbENKUlT_T0_E_clISt17integral_constantIbLb0EESY_IbLb1EEEEDaSU_SV_EUlSU_E0_NS1_11comp_targetILNS1_3genE4ELNS1_11target_archE910ELNS1_3gpuE8ELNS1_3repE0EEENS1_30default_config_static_selectorELNS0_4arch9wavefront6targetE0EEEvT1_,comdat
	.globl	_ZN7rocprim17ROCPRIM_400000_NS6detail17trampoline_kernelINS0_14default_configENS1_20scan_config_selectorIN3c107complexIfEEEEZZNS1_9scan_implILNS1_25lookback_scan_determinismE0ELb0ELb0ES3_PKS7_PS7_S7_ZZZN2at6native31launch_logcumsumexp_cuda_kernelERKNSE_10TensorBaseESI_lENKUlvE_clEvENKUlvE2_clEvEUlS7_S7_E_S7_EEDaPvRmT3_T4_T5_mT6_P12ihipStream_tbENKUlT_T0_E_clISt17integral_constantIbLb0EESY_IbLb1EEEEDaSU_SV_EUlSU_E0_NS1_11comp_targetILNS1_3genE4ELNS1_11target_archE910ELNS1_3gpuE8ELNS1_3repE0EEENS1_30default_config_static_selectorELNS0_4arch9wavefront6targetE0EEEvT1_ ; -- Begin function _ZN7rocprim17ROCPRIM_400000_NS6detail17trampoline_kernelINS0_14default_configENS1_20scan_config_selectorIN3c107complexIfEEEEZZNS1_9scan_implILNS1_25lookback_scan_determinismE0ELb0ELb0ES3_PKS7_PS7_S7_ZZZN2at6native31launch_logcumsumexp_cuda_kernelERKNSE_10TensorBaseESI_lENKUlvE_clEvENKUlvE2_clEvEUlS7_S7_E_S7_EEDaPvRmT3_T4_T5_mT6_P12ihipStream_tbENKUlT_T0_E_clISt17integral_constantIbLb0EESY_IbLb1EEEEDaSU_SV_EUlSU_E0_NS1_11comp_targetILNS1_3genE4ELNS1_11target_archE910ELNS1_3gpuE8ELNS1_3repE0EEENS1_30default_config_static_selectorELNS0_4arch9wavefront6targetE0EEEvT1_
	.p2align	8
	.type	_ZN7rocprim17ROCPRIM_400000_NS6detail17trampoline_kernelINS0_14default_configENS1_20scan_config_selectorIN3c107complexIfEEEEZZNS1_9scan_implILNS1_25lookback_scan_determinismE0ELb0ELb0ES3_PKS7_PS7_S7_ZZZN2at6native31launch_logcumsumexp_cuda_kernelERKNSE_10TensorBaseESI_lENKUlvE_clEvENKUlvE2_clEvEUlS7_S7_E_S7_EEDaPvRmT3_T4_T5_mT6_P12ihipStream_tbENKUlT_T0_E_clISt17integral_constantIbLb0EESY_IbLb1EEEEDaSU_SV_EUlSU_E0_NS1_11comp_targetILNS1_3genE4ELNS1_11target_archE910ELNS1_3gpuE8ELNS1_3repE0EEENS1_30default_config_static_selectorELNS0_4arch9wavefront6targetE0EEEvT1_,@function
_ZN7rocprim17ROCPRIM_400000_NS6detail17trampoline_kernelINS0_14default_configENS1_20scan_config_selectorIN3c107complexIfEEEEZZNS1_9scan_implILNS1_25lookback_scan_determinismE0ELb0ELb0ES3_PKS7_PS7_S7_ZZZN2at6native31launch_logcumsumexp_cuda_kernelERKNSE_10TensorBaseESI_lENKUlvE_clEvENKUlvE2_clEvEUlS7_S7_E_S7_EEDaPvRmT3_T4_T5_mT6_P12ihipStream_tbENKUlT_T0_E_clISt17integral_constantIbLb0EESY_IbLb1EEEEDaSU_SV_EUlSU_E0_NS1_11comp_targetILNS1_3genE4ELNS1_11target_archE910ELNS1_3gpuE8ELNS1_3repE0EEENS1_30default_config_static_selectorELNS0_4arch9wavefront6targetE0EEEvT1_: ; @_ZN7rocprim17ROCPRIM_400000_NS6detail17trampoline_kernelINS0_14default_configENS1_20scan_config_selectorIN3c107complexIfEEEEZZNS1_9scan_implILNS1_25lookback_scan_determinismE0ELb0ELb0ES3_PKS7_PS7_S7_ZZZN2at6native31launch_logcumsumexp_cuda_kernelERKNSE_10TensorBaseESI_lENKUlvE_clEvENKUlvE2_clEvEUlS7_S7_E_S7_EEDaPvRmT3_T4_T5_mT6_P12ihipStream_tbENKUlT_T0_E_clISt17integral_constantIbLb0EESY_IbLb1EEEEDaSU_SV_EUlSU_E0_NS1_11comp_targetILNS1_3genE4ELNS1_11target_archE910ELNS1_3gpuE8ELNS1_3repE0EEENS1_30default_config_static_selectorELNS0_4arch9wavefront6targetE0EEEvT1_
; %bb.0:
	.section	.rodata,"a",@progbits
	.p2align	6, 0x0
	.amdhsa_kernel _ZN7rocprim17ROCPRIM_400000_NS6detail17trampoline_kernelINS0_14default_configENS1_20scan_config_selectorIN3c107complexIfEEEEZZNS1_9scan_implILNS1_25lookback_scan_determinismE0ELb0ELb0ES3_PKS7_PS7_S7_ZZZN2at6native31launch_logcumsumexp_cuda_kernelERKNSE_10TensorBaseESI_lENKUlvE_clEvENKUlvE2_clEvEUlS7_S7_E_S7_EEDaPvRmT3_T4_T5_mT6_P12ihipStream_tbENKUlT_T0_E_clISt17integral_constantIbLb0EESY_IbLb1EEEEDaSU_SV_EUlSU_E0_NS1_11comp_targetILNS1_3genE4ELNS1_11target_archE910ELNS1_3gpuE8ELNS1_3repE0EEENS1_30default_config_static_selectorELNS0_4arch9wavefront6targetE0EEEvT1_
		.amdhsa_group_segment_fixed_size 0
		.amdhsa_private_segment_fixed_size 0
		.amdhsa_kernarg_size 40
		.amdhsa_user_sgpr_count 15
		.amdhsa_user_sgpr_dispatch_ptr 0
		.amdhsa_user_sgpr_queue_ptr 0
		.amdhsa_user_sgpr_kernarg_segment_ptr 1
		.amdhsa_user_sgpr_dispatch_id 0
		.amdhsa_user_sgpr_private_segment_size 0
		.amdhsa_wavefront_size32 1
		.amdhsa_uses_dynamic_stack 0
		.amdhsa_enable_private_segment 0
		.amdhsa_system_sgpr_workgroup_id_x 1
		.amdhsa_system_sgpr_workgroup_id_y 0
		.amdhsa_system_sgpr_workgroup_id_z 0
		.amdhsa_system_sgpr_workgroup_info 0
		.amdhsa_system_vgpr_workitem_id 0
		.amdhsa_next_free_vgpr 1
		.amdhsa_next_free_sgpr 1
		.amdhsa_reserve_vcc 0
		.amdhsa_float_round_mode_32 0
		.amdhsa_float_round_mode_16_64 0
		.amdhsa_float_denorm_mode_32 3
		.amdhsa_float_denorm_mode_16_64 3
		.amdhsa_dx10_clamp 1
		.amdhsa_ieee_mode 1
		.amdhsa_fp16_overflow 0
		.amdhsa_workgroup_processor_mode 1
		.amdhsa_memory_ordered 1
		.amdhsa_forward_progress 0
		.amdhsa_shared_vgpr_count 0
		.amdhsa_exception_fp_ieee_invalid_op 0
		.amdhsa_exception_fp_denorm_src 0
		.amdhsa_exception_fp_ieee_div_zero 0
		.amdhsa_exception_fp_ieee_overflow 0
		.amdhsa_exception_fp_ieee_underflow 0
		.amdhsa_exception_fp_ieee_inexact 0
		.amdhsa_exception_int_div_zero 0
	.end_amdhsa_kernel
	.section	.text._ZN7rocprim17ROCPRIM_400000_NS6detail17trampoline_kernelINS0_14default_configENS1_20scan_config_selectorIN3c107complexIfEEEEZZNS1_9scan_implILNS1_25lookback_scan_determinismE0ELb0ELb0ES3_PKS7_PS7_S7_ZZZN2at6native31launch_logcumsumexp_cuda_kernelERKNSE_10TensorBaseESI_lENKUlvE_clEvENKUlvE2_clEvEUlS7_S7_E_S7_EEDaPvRmT3_T4_T5_mT6_P12ihipStream_tbENKUlT_T0_E_clISt17integral_constantIbLb0EESY_IbLb1EEEEDaSU_SV_EUlSU_E0_NS1_11comp_targetILNS1_3genE4ELNS1_11target_archE910ELNS1_3gpuE8ELNS1_3repE0EEENS1_30default_config_static_selectorELNS0_4arch9wavefront6targetE0EEEvT1_,"axG",@progbits,_ZN7rocprim17ROCPRIM_400000_NS6detail17trampoline_kernelINS0_14default_configENS1_20scan_config_selectorIN3c107complexIfEEEEZZNS1_9scan_implILNS1_25lookback_scan_determinismE0ELb0ELb0ES3_PKS7_PS7_S7_ZZZN2at6native31launch_logcumsumexp_cuda_kernelERKNSE_10TensorBaseESI_lENKUlvE_clEvENKUlvE2_clEvEUlS7_S7_E_S7_EEDaPvRmT3_T4_T5_mT6_P12ihipStream_tbENKUlT_T0_E_clISt17integral_constantIbLb0EESY_IbLb1EEEEDaSU_SV_EUlSU_E0_NS1_11comp_targetILNS1_3genE4ELNS1_11target_archE910ELNS1_3gpuE8ELNS1_3repE0EEENS1_30default_config_static_selectorELNS0_4arch9wavefront6targetE0EEEvT1_,comdat
.Lfunc_end344:
	.size	_ZN7rocprim17ROCPRIM_400000_NS6detail17trampoline_kernelINS0_14default_configENS1_20scan_config_selectorIN3c107complexIfEEEEZZNS1_9scan_implILNS1_25lookback_scan_determinismE0ELb0ELb0ES3_PKS7_PS7_S7_ZZZN2at6native31launch_logcumsumexp_cuda_kernelERKNSE_10TensorBaseESI_lENKUlvE_clEvENKUlvE2_clEvEUlS7_S7_E_S7_EEDaPvRmT3_T4_T5_mT6_P12ihipStream_tbENKUlT_T0_E_clISt17integral_constantIbLb0EESY_IbLb1EEEEDaSU_SV_EUlSU_E0_NS1_11comp_targetILNS1_3genE4ELNS1_11target_archE910ELNS1_3gpuE8ELNS1_3repE0EEENS1_30default_config_static_selectorELNS0_4arch9wavefront6targetE0EEEvT1_, .Lfunc_end344-_ZN7rocprim17ROCPRIM_400000_NS6detail17trampoline_kernelINS0_14default_configENS1_20scan_config_selectorIN3c107complexIfEEEEZZNS1_9scan_implILNS1_25lookback_scan_determinismE0ELb0ELb0ES3_PKS7_PS7_S7_ZZZN2at6native31launch_logcumsumexp_cuda_kernelERKNSE_10TensorBaseESI_lENKUlvE_clEvENKUlvE2_clEvEUlS7_S7_E_S7_EEDaPvRmT3_T4_T5_mT6_P12ihipStream_tbENKUlT_T0_E_clISt17integral_constantIbLb0EESY_IbLb1EEEEDaSU_SV_EUlSU_E0_NS1_11comp_targetILNS1_3genE4ELNS1_11target_archE910ELNS1_3gpuE8ELNS1_3repE0EEENS1_30default_config_static_selectorELNS0_4arch9wavefront6targetE0EEEvT1_
                                        ; -- End function
	.section	.AMDGPU.csdata,"",@progbits
; Kernel info:
; codeLenInByte = 0
; NumSgprs: 0
; NumVgprs: 0
; ScratchSize: 0
; MemoryBound: 0
; FloatMode: 240
; IeeeMode: 1
; LDSByteSize: 0 bytes/workgroup (compile time only)
; SGPRBlocks: 0
; VGPRBlocks: 0
; NumSGPRsForWavesPerEU: 1
; NumVGPRsForWavesPerEU: 1
; Occupancy: 16
; WaveLimiterHint : 0
; COMPUTE_PGM_RSRC2:SCRATCH_EN: 0
; COMPUTE_PGM_RSRC2:USER_SGPR: 15
; COMPUTE_PGM_RSRC2:TRAP_HANDLER: 0
; COMPUTE_PGM_RSRC2:TGID_X_EN: 1
; COMPUTE_PGM_RSRC2:TGID_Y_EN: 0
; COMPUTE_PGM_RSRC2:TGID_Z_EN: 0
; COMPUTE_PGM_RSRC2:TIDIG_COMP_CNT: 0
	.section	.text._ZN7rocprim17ROCPRIM_400000_NS6detail17trampoline_kernelINS0_14default_configENS1_20scan_config_selectorIN3c107complexIfEEEEZZNS1_9scan_implILNS1_25lookback_scan_determinismE0ELb0ELb0ES3_PKS7_PS7_S7_ZZZN2at6native31launch_logcumsumexp_cuda_kernelERKNSE_10TensorBaseESI_lENKUlvE_clEvENKUlvE2_clEvEUlS7_S7_E_S7_EEDaPvRmT3_T4_T5_mT6_P12ihipStream_tbENKUlT_T0_E_clISt17integral_constantIbLb0EESY_IbLb1EEEEDaSU_SV_EUlSU_E0_NS1_11comp_targetILNS1_3genE3ELNS1_11target_archE908ELNS1_3gpuE7ELNS1_3repE0EEENS1_30default_config_static_selectorELNS0_4arch9wavefront6targetE0EEEvT1_,"axG",@progbits,_ZN7rocprim17ROCPRIM_400000_NS6detail17trampoline_kernelINS0_14default_configENS1_20scan_config_selectorIN3c107complexIfEEEEZZNS1_9scan_implILNS1_25lookback_scan_determinismE0ELb0ELb0ES3_PKS7_PS7_S7_ZZZN2at6native31launch_logcumsumexp_cuda_kernelERKNSE_10TensorBaseESI_lENKUlvE_clEvENKUlvE2_clEvEUlS7_S7_E_S7_EEDaPvRmT3_T4_T5_mT6_P12ihipStream_tbENKUlT_T0_E_clISt17integral_constantIbLb0EESY_IbLb1EEEEDaSU_SV_EUlSU_E0_NS1_11comp_targetILNS1_3genE3ELNS1_11target_archE908ELNS1_3gpuE7ELNS1_3repE0EEENS1_30default_config_static_selectorELNS0_4arch9wavefront6targetE0EEEvT1_,comdat
	.globl	_ZN7rocprim17ROCPRIM_400000_NS6detail17trampoline_kernelINS0_14default_configENS1_20scan_config_selectorIN3c107complexIfEEEEZZNS1_9scan_implILNS1_25lookback_scan_determinismE0ELb0ELb0ES3_PKS7_PS7_S7_ZZZN2at6native31launch_logcumsumexp_cuda_kernelERKNSE_10TensorBaseESI_lENKUlvE_clEvENKUlvE2_clEvEUlS7_S7_E_S7_EEDaPvRmT3_T4_T5_mT6_P12ihipStream_tbENKUlT_T0_E_clISt17integral_constantIbLb0EESY_IbLb1EEEEDaSU_SV_EUlSU_E0_NS1_11comp_targetILNS1_3genE3ELNS1_11target_archE908ELNS1_3gpuE7ELNS1_3repE0EEENS1_30default_config_static_selectorELNS0_4arch9wavefront6targetE0EEEvT1_ ; -- Begin function _ZN7rocprim17ROCPRIM_400000_NS6detail17trampoline_kernelINS0_14default_configENS1_20scan_config_selectorIN3c107complexIfEEEEZZNS1_9scan_implILNS1_25lookback_scan_determinismE0ELb0ELb0ES3_PKS7_PS7_S7_ZZZN2at6native31launch_logcumsumexp_cuda_kernelERKNSE_10TensorBaseESI_lENKUlvE_clEvENKUlvE2_clEvEUlS7_S7_E_S7_EEDaPvRmT3_T4_T5_mT6_P12ihipStream_tbENKUlT_T0_E_clISt17integral_constantIbLb0EESY_IbLb1EEEEDaSU_SV_EUlSU_E0_NS1_11comp_targetILNS1_3genE3ELNS1_11target_archE908ELNS1_3gpuE7ELNS1_3repE0EEENS1_30default_config_static_selectorELNS0_4arch9wavefront6targetE0EEEvT1_
	.p2align	8
	.type	_ZN7rocprim17ROCPRIM_400000_NS6detail17trampoline_kernelINS0_14default_configENS1_20scan_config_selectorIN3c107complexIfEEEEZZNS1_9scan_implILNS1_25lookback_scan_determinismE0ELb0ELb0ES3_PKS7_PS7_S7_ZZZN2at6native31launch_logcumsumexp_cuda_kernelERKNSE_10TensorBaseESI_lENKUlvE_clEvENKUlvE2_clEvEUlS7_S7_E_S7_EEDaPvRmT3_T4_T5_mT6_P12ihipStream_tbENKUlT_T0_E_clISt17integral_constantIbLb0EESY_IbLb1EEEEDaSU_SV_EUlSU_E0_NS1_11comp_targetILNS1_3genE3ELNS1_11target_archE908ELNS1_3gpuE7ELNS1_3repE0EEENS1_30default_config_static_selectorELNS0_4arch9wavefront6targetE0EEEvT1_,@function
_ZN7rocprim17ROCPRIM_400000_NS6detail17trampoline_kernelINS0_14default_configENS1_20scan_config_selectorIN3c107complexIfEEEEZZNS1_9scan_implILNS1_25lookback_scan_determinismE0ELb0ELb0ES3_PKS7_PS7_S7_ZZZN2at6native31launch_logcumsumexp_cuda_kernelERKNSE_10TensorBaseESI_lENKUlvE_clEvENKUlvE2_clEvEUlS7_S7_E_S7_EEDaPvRmT3_T4_T5_mT6_P12ihipStream_tbENKUlT_T0_E_clISt17integral_constantIbLb0EESY_IbLb1EEEEDaSU_SV_EUlSU_E0_NS1_11comp_targetILNS1_3genE3ELNS1_11target_archE908ELNS1_3gpuE7ELNS1_3repE0EEENS1_30default_config_static_selectorELNS0_4arch9wavefront6targetE0EEEvT1_: ; @_ZN7rocprim17ROCPRIM_400000_NS6detail17trampoline_kernelINS0_14default_configENS1_20scan_config_selectorIN3c107complexIfEEEEZZNS1_9scan_implILNS1_25lookback_scan_determinismE0ELb0ELb0ES3_PKS7_PS7_S7_ZZZN2at6native31launch_logcumsumexp_cuda_kernelERKNSE_10TensorBaseESI_lENKUlvE_clEvENKUlvE2_clEvEUlS7_S7_E_S7_EEDaPvRmT3_T4_T5_mT6_P12ihipStream_tbENKUlT_T0_E_clISt17integral_constantIbLb0EESY_IbLb1EEEEDaSU_SV_EUlSU_E0_NS1_11comp_targetILNS1_3genE3ELNS1_11target_archE908ELNS1_3gpuE7ELNS1_3repE0EEENS1_30default_config_static_selectorELNS0_4arch9wavefront6targetE0EEEvT1_
; %bb.0:
	.section	.rodata,"a",@progbits
	.p2align	6, 0x0
	.amdhsa_kernel _ZN7rocprim17ROCPRIM_400000_NS6detail17trampoline_kernelINS0_14default_configENS1_20scan_config_selectorIN3c107complexIfEEEEZZNS1_9scan_implILNS1_25lookback_scan_determinismE0ELb0ELb0ES3_PKS7_PS7_S7_ZZZN2at6native31launch_logcumsumexp_cuda_kernelERKNSE_10TensorBaseESI_lENKUlvE_clEvENKUlvE2_clEvEUlS7_S7_E_S7_EEDaPvRmT3_T4_T5_mT6_P12ihipStream_tbENKUlT_T0_E_clISt17integral_constantIbLb0EESY_IbLb1EEEEDaSU_SV_EUlSU_E0_NS1_11comp_targetILNS1_3genE3ELNS1_11target_archE908ELNS1_3gpuE7ELNS1_3repE0EEENS1_30default_config_static_selectorELNS0_4arch9wavefront6targetE0EEEvT1_
		.amdhsa_group_segment_fixed_size 0
		.amdhsa_private_segment_fixed_size 0
		.amdhsa_kernarg_size 40
		.amdhsa_user_sgpr_count 15
		.amdhsa_user_sgpr_dispatch_ptr 0
		.amdhsa_user_sgpr_queue_ptr 0
		.amdhsa_user_sgpr_kernarg_segment_ptr 1
		.amdhsa_user_sgpr_dispatch_id 0
		.amdhsa_user_sgpr_private_segment_size 0
		.amdhsa_wavefront_size32 1
		.amdhsa_uses_dynamic_stack 0
		.amdhsa_enable_private_segment 0
		.amdhsa_system_sgpr_workgroup_id_x 1
		.amdhsa_system_sgpr_workgroup_id_y 0
		.amdhsa_system_sgpr_workgroup_id_z 0
		.amdhsa_system_sgpr_workgroup_info 0
		.amdhsa_system_vgpr_workitem_id 0
		.amdhsa_next_free_vgpr 1
		.amdhsa_next_free_sgpr 1
		.amdhsa_reserve_vcc 0
		.amdhsa_float_round_mode_32 0
		.amdhsa_float_round_mode_16_64 0
		.amdhsa_float_denorm_mode_32 3
		.amdhsa_float_denorm_mode_16_64 3
		.amdhsa_dx10_clamp 1
		.amdhsa_ieee_mode 1
		.amdhsa_fp16_overflow 0
		.amdhsa_workgroup_processor_mode 1
		.amdhsa_memory_ordered 1
		.amdhsa_forward_progress 0
		.amdhsa_shared_vgpr_count 0
		.amdhsa_exception_fp_ieee_invalid_op 0
		.amdhsa_exception_fp_denorm_src 0
		.amdhsa_exception_fp_ieee_div_zero 0
		.amdhsa_exception_fp_ieee_overflow 0
		.amdhsa_exception_fp_ieee_underflow 0
		.amdhsa_exception_fp_ieee_inexact 0
		.amdhsa_exception_int_div_zero 0
	.end_amdhsa_kernel
	.section	.text._ZN7rocprim17ROCPRIM_400000_NS6detail17trampoline_kernelINS0_14default_configENS1_20scan_config_selectorIN3c107complexIfEEEEZZNS1_9scan_implILNS1_25lookback_scan_determinismE0ELb0ELb0ES3_PKS7_PS7_S7_ZZZN2at6native31launch_logcumsumexp_cuda_kernelERKNSE_10TensorBaseESI_lENKUlvE_clEvENKUlvE2_clEvEUlS7_S7_E_S7_EEDaPvRmT3_T4_T5_mT6_P12ihipStream_tbENKUlT_T0_E_clISt17integral_constantIbLb0EESY_IbLb1EEEEDaSU_SV_EUlSU_E0_NS1_11comp_targetILNS1_3genE3ELNS1_11target_archE908ELNS1_3gpuE7ELNS1_3repE0EEENS1_30default_config_static_selectorELNS0_4arch9wavefront6targetE0EEEvT1_,"axG",@progbits,_ZN7rocprim17ROCPRIM_400000_NS6detail17trampoline_kernelINS0_14default_configENS1_20scan_config_selectorIN3c107complexIfEEEEZZNS1_9scan_implILNS1_25lookback_scan_determinismE0ELb0ELb0ES3_PKS7_PS7_S7_ZZZN2at6native31launch_logcumsumexp_cuda_kernelERKNSE_10TensorBaseESI_lENKUlvE_clEvENKUlvE2_clEvEUlS7_S7_E_S7_EEDaPvRmT3_T4_T5_mT6_P12ihipStream_tbENKUlT_T0_E_clISt17integral_constantIbLb0EESY_IbLb1EEEEDaSU_SV_EUlSU_E0_NS1_11comp_targetILNS1_3genE3ELNS1_11target_archE908ELNS1_3gpuE7ELNS1_3repE0EEENS1_30default_config_static_selectorELNS0_4arch9wavefront6targetE0EEEvT1_,comdat
.Lfunc_end345:
	.size	_ZN7rocprim17ROCPRIM_400000_NS6detail17trampoline_kernelINS0_14default_configENS1_20scan_config_selectorIN3c107complexIfEEEEZZNS1_9scan_implILNS1_25lookback_scan_determinismE0ELb0ELb0ES3_PKS7_PS7_S7_ZZZN2at6native31launch_logcumsumexp_cuda_kernelERKNSE_10TensorBaseESI_lENKUlvE_clEvENKUlvE2_clEvEUlS7_S7_E_S7_EEDaPvRmT3_T4_T5_mT6_P12ihipStream_tbENKUlT_T0_E_clISt17integral_constantIbLb0EESY_IbLb1EEEEDaSU_SV_EUlSU_E0_NS1_11comp_targetILNS1_3genE3ELNS1_11target_archE908ELNS1_3gpuE7ELNS1_3repE0EEENS1_30default_config_static_selectorELNS0_4arch9wavefront6targetE0EEEvT1_, .Lfunc_end345-_ZN7rocprim17ROCPRIM_400000_NS6detail17trampoline_kernelINS0_14default_configENS1_20scan_config_selectorIN3c107complexIfEEEEZZNS1_9scan_implILNS1_25lookback_scan_determinismE0ELb0ELb0ES3_PKS7_PS7_S7_ZZZN2at6native31launch_logcumsumexp_cuda_kernelERKNSE_10TensorBaseESI_lENKUlvE_clEvENKUlvE2_clEvEUlS7_S7_E_S7_EEDaPvRmT3_T4_T5_mT6_P12ihipStream_tbENKUlT_T0_E_clISt17integral_constantIbLb0EESY_IbLb1EEEEDaSU_SV_EUlSU_E0_NS1_11comp_targetILNS1_3genE3ELNS1_11target_archE908ELNS1_3gpuE7ELNS1_3repE0EEENS1_30default_config_static_selectorELNS0_4arch9wavefront6targetE0EEEvT1_
                                        ; -- End function
	.section	.AMDGPU.csdata,"",@progbits
; Kernel info:
; codeLenInByte = 0
; NumSgprs: 0
; NumVgprs: 0
; ScratchSize: 0
; MemoryBound: 0
; FloatMode: 240
; IeeeMode: 1
; LDSByteSize: 0 bytes/workgroup (compile time only)
; SGPRBlocks: 0
; VGPRBlocks: 0
; NumSGPRsForWavesPerEU: 1
; NumVGPRsForWavesPerEU: 1
; Occupancy: 16
; WaveLimiterHint : 0
; COMPUTE_PGM_RSRC2:SCRATCH_EN: 0
; COMPUTE_PGM_RSRC2:USER_SGPR: 15
; COMPUTE_PGM_RSRC2:TRAP_HANDLER: 0
; COMPUTE_PGM_RSRC2:TGID_X_EN: 1
; COMPUTE_PGM_RSRC2:TGID_Y_EN: 0
; COMPUTE_PGM_RSRC2:TGID_Z_EN: 0
; COMPUTE_PGM_RSRC2:TIDIG_COMP_CNT: 0
	.section	.text._ZN7rocprim17ROCPRIM_400000_NS6detail17trampoline_kernelINS0_14default_configENS1_20scan_config_selectorIN3c107complexIfEEEEZZNS1_9scan_implILNS1_25lookback_scan_determinismE0ELb0ELb0ES3_PKS7_PS7_S7_ZZZN2at6native31launch_logcumsumexp_cuda_kernelERKNSE_10TensorBaseESI_lENKUlvE_clEvENKUlvE2_clEvEUlS7_S7_E_S7_EEDaPvRmT3_T4_T5_mT6_P12ihipStream_tbENKUlT_T0_E_clISt17integral_constantIbLb0EESY_IbLb1EEEEDaSU_SV_EUlSU_E0_NS1_11comp_targetILNS1_3genE2ELNS1_11target_archE906ELNS1_3gpuE6ELNS1_3repE0EEENS1_30default_config_static_selectorELNS0_4arch9wavefront6targetE0EEEvT1_,"axG",@progbits,_ZN7rocprim17ROCPRIM_400000_NS6detail17trampoline_kernelINS0_14default_configENS1_20scan_config_selectorIN3c107complexIfEEEEZZNS1_9scan_implILNS1_25lookback_scan_determinismE0ELb0ELb0ES3_PKS7_PS7_S7_ZZZN2at6native31launch_logcumsumexp_cuda_kernelERKNSE_10TensorBaseESI_lENKUlvE_clEvENKUlvE2_clEvEUlS7_S7_E_S7_EEDaPvRmT3_T4_T5_mT6_P12ihipStream_tbENKUlT_T0_E_clISt17integral_constantIbLb0EESY_IbLb1EEEEDaSU_SV_EUlSU_E0_NS1_11comp_targetILNS1_3genE2ELNS1_11target_archE906ELNS1_3gpuE6ELNS1_3repE0EEENS1_30default_config_static_selectorELNS0_4arch9wavefront6targetE0EEEvT1_,comdat
	.globl	_ZN7rocprim17ROCPRIM_400000_NS6detail17trampoline_kernelINS0_14default_configENS1_20scan_config_selectorIN3c107complexIfEEEEZZNS1_9scan_implILNS1_25lookback_scan_determinismE0ELb0ELb0ES3_PKS7_PS7_S7_ZZZN2at6native31launch_logcumsumexp_cuda_kernelERKNSE_10TensorBaseESI_lENKUlvE_clEvENKUlvE2_clEvEUlS7_S7_E_S7_EEDaPvRmT3_T4_T5_mT6_P12ihipStream_tbENKUlT_T0_E_clISt17integral_constantIbLb0EESY_IbLb1EEEEDaSU_SV_EUlSU_E0_NS1_11comp_targetILNS1_3genE2ELNS1_11target_archE906ELNS1_3gpuE6ELNS1_3repE0EEENS1_30default_config_static_selectorELNS0_4arch9wavefront6targetE0EEEvT1_ ; -- Begin function _ZN7rocprim17ROCPRIM_400000_NS6detail17trampoline_kernelINS0_14default_configENS1_20scan_config_selectorIN3c107complexIfEEEEZZNS1_9scan_implILNS1_25lookback_scan_determinismE0ELb0ELb0ES3_PKS7_PS7_S7_ZZZN2at6native31launch_logcumsumexp_cuda_kernelERKNSE_10TensorBaseESI_lENKUlvE_clEvENKUlvE2_clEvEUlS7_S7_E_S7_EEDaPvRmT3_T4_T5_mT6_P12ihipStream_tbENKUlT_T0_E_clISt17integral_constantIbLb0EESY_IbLb1EEEEDaSU_SV_EUlSU_E0_NS1_11comp_targetILNS1_3genE2ELNS1_11target_archE906ELNS1_3gpuE6ELNS1_3repE0EEENS1_30default_config_static_selectorELNS0_4arch9wavefront6targetE0EEEvT1_
	.p2align	8
	.type	_ZN7rocprim17ROCPRIM_400000_NS6detail17trampoline_kernelINS0_14default_configENS1_20scan_config_selectorIN3c107complexIfEEEEZZNS1_9scan_implILNS1_25lookback_scan_determinismE0ELb0ELb0ES3_PKS7_PS7_S7_ZZZN2at6native31launch_logcumsumexp_cuda_kernelERKNSE_10TensorBaseESI_lENKUlvE_clEvENKUlvE2_clEvEUlS7_S7_E_S7_EEDaPvRmT3_T4_T5_mT6_P12ihipStream_tbENKUlT_T0_E_clISt17integral_constantIbLb0EESY_IbLb1EEEEDaSU_SV_EUlSU_E0_NS1_11comp_targetILNS1_3genE2ELNS1_11target_archE906ELNS1_3gpuE6ELNS1_3repE0EEENS1_30default_config_static_selectorELNS0_4arch9wavefront6targetE0EEEvT1_,@function
_ZN7rocprim17ROCPRIM_400000_NS6detail17trampoline_kernelINS0_14default_configENS1_20scan_config_selectorIN3c107complexIfEEEEZZNS1_9scan_implILNS1_25lookback_scan_determinismE0ELb0ELb0ES3_PKS7_PS7_S7_ZZZN2at6native31launch_logcumsumexp_cuda_kernelERKNSE_10TensorBaseESI_lENKUlvE_clEvENKUlvE2_clEvEUlS7_S7_E_S7_EEDaPvRmT3_T4_T5_mT6_P12ihipStream_tbENKUlT_T0_E_clISt17integral_constantIbLb0EESY_IbLb1EEEEDaSU_SV_EUlSU_E0_NS1_11comp_targetILNS1_3genE2ELNS1_11target_archE906ELNS1_3gpuE6ELNS1_3repE0EEENS1_30default_config_static_selectorELNS0_4arch9wavefront6targetE0EEEvT1_: ; @_ZN7rocprim17ROCPRIM_400000_NS6detail17trampoline_kernelINS0_14default_configENS1_20scan_config_selectorIN3c107complexIfEEEEZZNS1_9scan_implILNS1_25lookback_scan_determinismE0ELb0ELb0ES3_PKS7_PS7_S7_ZZZN2at6native31launch_logcumsumexp_cuda_kernelERKNSE_10TensorBaseESI_lENKUlvE_clEvENKUlvE2_clEvEUlS7_S7_E_S7_EEDaPvRmT3_T4_T5_mT6_P12ihipStream_tbENKUlT_T0_E_clISt17integral_constantIbLb0EESY_IbLb1EEEEDaSU_SV_EUlSU_E0_NS1_11comp_targetILNS1_3genE2ELNS1_11target_archE906ELNS1_3gpuE6ELNS1_3repE0EEENS1_30default_config_static_selectorELNS0_4arch9wavefront6targetE0EEEvT1_
; %bb.0:
	.section	.rodata,"a",@progbits
	.p2align	6, 0x0
	.amdhsa_kernel _ZN7rocprim17ROCPRIM_400000_NS6detail17trampoline_kernelINS0_14default_configENS1_20scan_config_selectorIN3c107complexIfEEEEZZNS1_9scan_implILNS1_25lookback_scan_determinismE0ELb0ELb0ES3_PKS7_PS7_S7_ZZZN2at6native31launch_logcumsumexp_cuda_kernelERKNSE_10TensorBaseESI_lENKUlvE_clEvENKUlvE2_clEvEUlS7_S7_E_S7_EEDaPvRmT3_T4_T5_mT6_P12ihipStream_tbENKUlT_T0_E_clISt17integral_constantIbLb0EESY_IbLb1EEEEDaSU_SV_EUlSU_E0_NS1_11comp_targetILNS1_3genE2ELNS1_11target_archE906ELNS1_3gpuE6ELNS1_3repE0EEENS1_30default_config_static_selectorELNS0_4arch9wavefront6targetE0EEEvT1_
		.amdhsa_group_segment_fixed_size 0
		.amdhsa_private_segment_fixed_size 0
		.amdhsa_kernarg_size 40
		.amdhsa_user_sgpr_count 15
		.amdhsa_user_sgpr_dispatch_ptr 0
		.amdhsa_user_sgpr_queue_ptr 0
		.amdhsa_user_sgpr_kernarg_segment_ptr 1
		.amdhsa_user_sgpr_dispatch_id 0
		.amdhsa_user_sgpr_private_segment_size 0
		.amdhsa_wavefront_size32 1
		.amdhsa_uses_dynamic_stack 0
		.amdhsa_enable_private_segment 0
		.amdhsa_system_sgpr_workgroup_id_x 1
		.amdhsa_system_sgpr_workgroup_id_y 0
		.amdhsa_system_sgpr_workgroup_id_z 0
		.amdhsa_system_sgpr_workgroup_info 0
		.amdhsa_system_vgpr_workitem_id 0
		.amdhsa_next_free_vgpr 1
		.amdhsa_next_free_sgpr 1
		.amdhsa_reserve_vcc 0
		.amdhsa_float_round_mode_32 0
		.amdhsa_float_round_mode_16_64 0
		.amdhsa_float_denorm_mode_32 3
		.amdhsa_float_denorm_mode_16_64 3
		.amdhsa_dx10_clamp 1
		.amdhsa_ieee_mode 1
		.amdhsa_fp16_overflow 0
		.amdhsa_workgroup_processor_mode 1
		.amdhsa_memory_ordered 1
		.amdhsa_forward_progress 0
		.amdhsa_shared_vgpr_count 0
		.amdhsa_exception_fp_ieee_invalid_op 0
		.amdhsa_exception_fp_denorm_src 0
		.amdhsa_exception_fp_ieee_div_zero 0
		.amdhsa_exception_fp_ieee_overflow 0
		.amdhsa_exception_fp_ieee_underflow 0
		.amdhsa_exception_fp_ieee_inexact 0
		.amdhsa_exception_int_div_zero 0
	.end_amdhsa_kernel
	.section	.text._ZN7rocprim17ROCPRIM_400000_NS6detail17trampoline_kernelINS0_14default_configENS1_20scan_config_selectorIN3c107complexIfEEEEZZNS1_9scan_implILNS1_25lookback_scan_determinismE0ELb0ELb0ES3_PKS7_PS7_S7_ZZZN2at6native31launch_logcumsumexp_cuda_kernelERKNSE_10TensorBaseESI_lENKUlvE_clEvENKUlvE2_clEvEUlS7_S7_E_S7_EEDaPvRmT3_T4_T5_mT6_P12ihipStream_tbENKUlT_T0_E_clISt17integral_constantIbLb0EESY_IbLb1EEEEDaSU_SV_EUlSU_E0_NS1_11comp_targetILNS1_3genE2ELNS1_11target_archE906ELNS1_3gpuE6ELNS1_3repE0EEENS1_30default_config_static_selectorELNS0_4arch9wavefront6targetE0EEEvT1_,"axG",@progbits,_ZN7rocprim17ROCPRIM_400000_NS6detail17trampoline_kernelINS0_14default_configENS1_20scan_config_selectorIN3c107complexIfEEEEZZNS1_9scan_implILNS1_25lookback_scan_determinismE0ELb0ELb0ES3_PKS7_PS7_S7_ZZZN2at6native31launch_logcumsumexp_cuda_kernelERKNSE_10TensorBaseESI_lENKUlvE_clEvENKUlvE2_clEvEUlS7_S7_E_S7_EEDaPvRmT3_T4_T5_mT6_P12ihipStream_tbENKUlT_T0_E_clISt17integral_constantIbLb0EESY_IbLb1EEEEDaSU_SV_EUlSU_E0_NS1_11comp_targetILNS1_3genE2ELNS1_11target_archE906ELNS1_3gpuE6ELNS1_3repE0EEENS1_30default_config_static_selectorELNS0_4arch9wavefront6targetE0EEEvT1_,comdat
.Lfunc_end346:
	.size	_ZN7rocprim17ROCPRIM_400000_NS6detail17trampoline_kernelINS0_14default_configENS1_20scan_config_selectorIN3c107complexIfEEEEZZNS1_9scan_implILNS1_25lookback_scan_determinismE0ELb0ELb0ES3_PKS7_PS7_S7_ZZZN2at6native31launch_logcumsumexp_cuda_kernelERKNSE_10TensorBaseESI_lENKUlvE_clEvENKUlvE2_clEvEUlS7_S7_E_S7_EEDaPvRmT3_T4_T5_mT6_P12ihipStream_tbENKUlT_T0_E_clISt17integral_constantIbLb0EESY_IbLb1EEEEDaSU_SV_EUlSU_E0_NS1_11comp_targetILNS1_3genE2ELNS1_11target_archE906ELNS1_3gpuE6ELNS1_3repE0EEENS1_30default_config_static_selectorELNS0_4arch9wavefront6targetE0EEEvT1_, .Lfunc_end346-_ZN7rocprim17ROCPRIM_400000_NS6detail17trampoline_kernelINS0_14default_configENS1_20scan_config_selectorIN3c107complexIfEEEEZZNS1_9scan_implILNS1_25lookback_scan_determinismE0ELb0ELb0ES3_PKS7_PS7_S7_ZZZN2at6native31launch_logcumsumexp_cuda_kernelERKNSE_10TensorBaseESI_lENKUlvE_clEvENKUlvE2_clEvEUlS7_S7_E_S7_EEDaPvRmT3_T4_T5_mT6_P12ihipStream_tbENKUlT_T0_E_clISt17integral_constantIbLb0EESY_IbLb1EEEEDaSU_SV_EUlSU_E0_NS1_11comp_targetILNS1_3genE2ELNS1_11target_archE906ELNS1_3gpuE6ELNS1_3repE0EEENS1_30default_config_static_selectorELNS0_4arch9wavefront6targetE0EEEvT1_
                                        ; -- End function
	.section	.AMDGPU.csdata,"",@progbits
; Kernel info:
; codeLenInByte = 0
; NumSgprs: 0
; NumVgprs: 0
; ScratchSize: 0
; MemoryBound: 0
; FloatMode: 240
; IeeeMode: 1
; LDSByteSize: 0 bytes/workgroup (compile time only)
; SGPRBlocks: 0
; VGPRBlocks: 0
; NumSGPRsForWavesPerEU: 1
; NumVGPRsForWavesPerEU: 1
; Occupancy: 16
; WaveLimiterHint : 0
; COMPUTE_PGM_RSRC2:SCRATCH_EN: 0
; COMPUTE_PGM_RSRC2:USER_SGPR: 15
; COMPUTE_PGM_RSRC2:TRAP_HANDLER: 0
; COMPUTE_PGM_RSRC2:TGID_X_EN: 1
; COMPUTE_PGM_RSRC2:TGID_Y_EN: 0
; COMPUTE_PGM_RSRC2:TGID_Z_EN: 0
; COMPUTE_PGM_RSRC2:TIDIG_COMP_CNT: 0
	.section	.text._ZN7rocprim17ROCPRIM_400000_NS6detail17trampoline_kernelINS0_14default_configENS1_20scan_config_selectorIN3c107complexIfEEEEZZNS1_9scan_implILNS1_25lookback_scan_determinismE0ELb0ELb0ES3_PKS7_PS7_S7_ZZZN2at6native31launch_logcumsumexp_cuda_kernelERKNSE_10TensorBaseESI_lENKUlvE_clEvENKUlvE2_clEvEUlS7_S7_E_S7_EEDaPvRmT3_T4_T5_mT6_P12ihipStream_tbENKUlT_T0_E_clISt17integral_constantIbLb0EESY_IbLb1EEEEDaSU_SV_EUlSU_E0_NS1_11comp_targetILNS1_3genE10ELNS1_11target_archE1201ELNS1_3gpuE5ELNS1_3repE0EEENS1_30default_config_static_selectorELNS0_4arch9wavefront6targetE0EEEvT1_,"axG",@progbits,_ZN7rocprim17ROCPRIM_400000_NS6detail17trampoline_kernelINS0_14default_configENS1_20scan_config_selectorIN3c107complexIfEEEEZZNS1_9scan_implILNS1_25lookback_scan_determinismE0ELb0ELb0ES3_PKS7_PS7_S7_ZZZN2at6native31launch_logcumsumexp_cuda_kernelERKNSE_10TensorBaseESI_lENKUlvE_clEvENKUlvE2_clEvEUlS7_S7_E_S7_EEDaPvRmT3_T4_T5_mT6_P12ihipStream_tbENKUlT_T0_E_clISt17integral_constantIbLb0EESY_IbLb1EEEEDaSU_SV_EUlSU_E0_NS1_11comp_targetILNS1_3genE10ELNS1_11target_archE1201ELNS1_3gpuE5ELNS1_3repE0EEENS1_30default_config_static_selectorELNS0_4arch9wavefront6targetE0EEEvT1_,comdat
	.globl	_ZN7rocprim17ROCPRIM_400000_NS6detail17trampoline_kernelINS0_14default_configENS1_20scan_config_selectorIN3c107complexIfEEEEZZNS1_9scan_implILNS1_25lookback_scan_determinismE0ELb0ELb0ES3_PKS7_PS7_S7_ZZZN2at6native31launch_logcumsumexp_cuda_kernelERKNSE_10TensorBaseESI_lENKUlvE_clEvENKUlvE2_clEvEUlS7_S7_E_S7_EEDaPvRmT3_T4_T5_mT6_P12ihipStream_tbENKUlT_T0_E_clISt17integral_constantIbLb0EESY_IbLb1EEEEDaSU_SV_EUlSU_E0_NS1_11comp_targetILNS1_3genE10ELNS1_11target_archE1201ELNS1_3gpuE5ELNS1_3repE0EEENS1_30default_config_static_selectorELNS0_4arch9wavefront6targetE0EEEvT1_ ; -- Begin function _ZN7rocprim17ROCPRIM_400000_NS6detail17trampoline_kernelINS0_14default_configENS1_20scan_config_selectorIN3c107complexIfEEEEZZNS1_9scan_implILNS1_25lookback_scan_determinismE0ELb0ELb0ES3_PKS7_PS7_S7_ZZZN2at6native31launch_logcumsumexp_cuda_kernelERKNSE_10TensorBaseESI_lENKUlvE_clEvENKUlvE2_clEvEUlS7_S7_E_S7_EEDaPvRmT3_T4_T5_mT6_P12ihipStream_tbENKUlT_T0_E_clISt17integral_constantIbLb0EESY_IbLb1EEEEDaSU_SV_EUlSU_E0_NS1_11comp_targetILNS1_3genE10ELNS1_11target_archE1201ELNS1_3gpuE5ELNS1_3repE0EEENS1_30default_config_static_selectorELNS0_4arch9wavefront6targetE0EEEvT1_
	.p2align	8
	.type	_ZN7rocprim17ROCPRIM_400000_NS6detail17trampoline_kernelINS0_14default_configENS1_20scan_config_selectorIN3c107complexIfEEEEZZNS1_9scan_implILNS1_25lookback_scan_determinismE0ELb0ELb0ES3_PKS7_PS7_S7_ZZZN2at6native31launch_logcumsumexp_cuda_kernelERKNSE_10TensorBaseESI_lENKUlvE_clEvENKUlvE2_clEvEUlS7_S7_E_S7_EEDaPvRmT3_T4_T5_mT6_P12ihipStream_tbENKUlT_T0_E_clISt17integral_constantIbLb0EESY_IbLb1EEEEDaSU_SV_EUlSU_E0_NS1_11comp_targetILNS1_3genE10ELNS1_11target_archE1201ELNS1_3gpuE5ELNS1_3repE0EEENS1_30default_config_static_selectorELNS0_4arch9wavefront6targetE0EEEvT1_,@function
_ZN7rocprim17ROCPRIM_400000_NS6detail17trampoline_kernelINS0_14default_configENS1_20scan_config_selectorIN3c107complexIfEEEEZZNS1_9scan_implILNS1_25lookback_scan_determinismE0ELb0ELb0ES3_PKS7_PS7_S7_ZZZN2at6native31launch_logcumsumexp_cuda_kernelERKNSE_10TensorBaseESI_lENKUlvE_clEvENKUlvE2_clEvEUlS7_S7_E_S7_EEDaPvRmT3_T4_T5_mT6_P12ihipStream_tbENKUlT_T0_E_clISt17integral_constantIbLb0EESY_IbLb1EEEEDaSU_SV_EUlSU_E0_NS1_11comp_targetILNS1_3genE10ELNS1_11target_archE1201ELNS1_3gpuE5ELNS1_3repE0EEENS1_30default_config_static_selectorELNS0_4arch9wavefront6targetE0EEEvT1_: ; @_ZN7rocprim17ROCPRIM_400000_NS6detail17trampoline_kernelINS0_14default_configENS1_20scan_config_selectorIN3c107complexIfEEEEZZNS1_9scan_implILNS1_25lookback_scan_determinismE0ELb0ELb0ES3_PKS7_PS7_S7_ZZZN2at6native31launch_logcumsumexp_cuda_kernelERKNSE_10TensorBaseESI_lENKUlvE_clEvENKUlvE2_clEvEUlS7_S7_E_S7_EEDaPvRmT3_T4_T5_mT6_P12ihipStream_tbENKUlT_T0_E_clISt17integral_constantIbLb0EESY_IbLb1EEEEDaSU_SV_EUlSU_E0_NS1_11comp_targetILNS1_3genE10ELNS1_11target_archE1201ELNS1_3gpuE5ELNS1_3repE0EEENS1_30default_config_static_selectorELNS0_4arch9wavefront6targetE0EEEvT1_
; %bb.0:
	.section	.rodata,"a",@progbits
	.p2align	6, 0x0
	.amdhsa_kernel _ZN7rocprim17ROCPRIM_400000_NS6detail17trampoline_kernelINS0_14default_configENS1_20scan_config_selectorIN3c107complexIfEEEEZZNS1_9scan_implILNS1_25lookback_scan_determinismE0ELb0ELb0ES3_PKS7_PS7_S7_ZZZN2at6native31launch_logcumsumexp_cuda_kernelERKNSE_10TensorBaseESI_lENKUlvE_clEvENKUlvE2_clEvEUlS7_S7_E_S7_EEDaPvRmT3_T4_T5_mT6_P12ihipStream_tbENKUlT_T0_E_clISt17integral_constantIbLb0EESY_IbLb1EEEEDaSU_SV_EUlSU_E0_NS1_11comp_targetILNS1_3genE10ELNS1_11target_archE1201ELNS1_3gpuE5ELNS1_3repE0EEENS1_30default_config_static_selectorELNS0_4arch9wavefront6targetE0EEEvT1_
		.amdhsa_group_segment_fixed_size 0
		.amdhsa_private_segment_fixed_size 0
		.amdhsa_kernarg_size 40
		.amdhsa_user_sgpr_count 15
		.amdhsa_user_sgpr_dispatch_ptr 0
		.amdhsa_user_sgpr_queue_ptr 0
		.amdhsa_user_sgpr_kernarg_segment_ptr 1
		.amdhsa_user_sgpr_dispatch_id 0
		.amdhsa_user_sgpr_private_segment_size 0
		.amdhsa_wavefront_size32 1
		.amdhsa_uses_dynamic_stack 0
		.amdhsa_enable_private_segment 0
		.amdhsa_system_sgpr_workgroup_id_x 1
		.amdhsa_system_sgpr_workgroup_id_y 0
		.amdhsa_system_sgpr_workgroup_id_z 0
		.amdhsa_system_sgpr_workgroup_info 0
		.amdhsa_system_vgpr_workitem_id 0
		.amdhsa_next_free_vgpr 1
		.amdhsa_next_free_sgpr 1
		.amdhsa_reserve_vcc 0
		.amdhsa_float_round_mode_32 0
		.amdhsa_float_round_mode_16_64 0
		.amdhsa_float_denorm_mode_32 3
		.amdhsa_float_denorm_mode_16_64 3
		.amdhsa_dx10_clamp 1
		.amdhsa_ieee_mode 1
		.amdhsa_fp16_overflow 0
		.amdhsa_workgroup_processor_mode 1
		.amdhsa_memory_ordered 1
		.amdhsa_forward_progress 0
		.amdhsa_shared_vgpr_count 0
		.amdhsa_exception_fp_ieee_invalid_op 0
		.amdhsa_exception_fp_denorm_src 0
		.amdhsa_exception_fp_ieee_div_zero 0
		.amdhsa_exception_fp_ieee_overflow 0
		.amdhsa_exception_fp_ieee_underflow 0
		.amdhsa_exception_fp_ieee_inexact 0
		.amdhsa_exception_int_div_zero 0
	.end_amdhsa_kernel
	.section	.text._ZN7rocprim17ROCPRIM_400000_NS6detail17trampoline_kernelINS0_14default_configENS1_20scan_config_selectorIN3c107complexIfEEEEZZNS1_9scan_implILNS1_25lookback_scan_determinismE0ELb0ELb0ES3_PKS7_PS7_S7_ZZZN2at6native31launch_logcumsumexp_cuda_kernelERKNSE_10TensorBaseESI_lENKUlvE_clEvENKUlvE2_clEvEUlS7_S7_E_S7_EEDaPvRmT3_T4_T5_mT6_P12ihipStream_tbENKUlT_T0_E_clISt17integral_constantIbLb0EESY_IbLb1EEEEDaSU_SV_EUlSU_E0_NS1_11comp_targetILNS1_3genE10ELNS1_11target_archE1201ELNS1_3gpuE5ELNS1_3repE0EEENS1_30default_config_static_selectorELNS0_4arch9wavefront6targetE0EEEvT1_,"axG",@progbits,_ZN7rocprim17ROCPRIM_400000_NS6detail17trampoline_kernelINS0_14default_configENS1_20scan_config_selectorIN3c107complexIfEEEEZZNS1_9scan_implILNS1_25lookback_scan_determinismE0ELb0ELb0ES3_PKS7_PS7_S7_ZZZN2at6native31launch_logcumsumexp_cuda_kernelERKNSE_10TensorBaseESI_lENKUlvE_clEvENKUlvE2_clEvEUlS7_S7_E_S7_EEDaPvRmT3_T4_T5_mT6_P12ihipStream_tbENKUlT_T0_E_clISt17integral_constantIbLb0EESY_IbLb1EEEEDaSU_SV_EUlSU_E0_NS1_11comp_targetILNS1_3genE10ELNS1_11target_archE1201ELNS1_3gpuE5ELNS1_3repE0EEENS1_30default_config_static_selectorELNS0_4arch9wavefront6targetE0EEEvT1_,comdat
.Lfunc_end347:
	.size	_ZN7rocprim17ROCPRIM_400000_NS6detail17trampoline_kernelINS0_14default_configENS1_20scan_config_selectorIN3c107complexIfEEEEZZNS1_9scan_implILNS1_25lookback_scan_determinismE0ELb0ELb0ES3_PKS7_PS7_S7_ZZZN2at6native31launch_logcumsumexp_cuda_kernelERKNSE_10TensorBaseESI_lENKUlvE_clEvENKUlvE2_clEvEUlS7_S7_E_S7_EEDaPvRmT3_T4_T5_mT6_P12ihipStream_tbENKUlT_T0_E_clISt17integral_constantIbLb0EESY_IbLb1EEEEDaSU_SV_EUlSU_E0_NS1_11comp_targetILNS1_3genE10ELNS1_11target_archE1201ELNS1_3gpuE5ELNS1_3repE0EEENS1_30default_config_static_selectorELNS0_4arch9wavefront6targetE0EEEvT1_, .Lfunc_end347-_ZN7rocprim17ROCPRIM_400000_NS6detail17trampoline_kernelINS0_14default_configENS1_20scan_config_selectorIN3c107complexIfEEEEZZNS1_9scan_implILNS1_25lookback_scan_determinismE0ELb0ELb0ES3_PKS7_PS7_S7_ZZZN2at6native31launch_logcumsumexp_cuda_kernelERKNSE_10TensorBaseESI_lENKUlvE_clEvENKUlvE2_clEvEUlS7_S7_E_S7_EEDaPvRmT3_T4_T5_mT6_P12ihipStream_tbENKUlT_T0_E_clISt17integral_constantIbLb0EESY_IbLb1EEEEDaSU_SV_EUlSU_E0_NS1_11comp_targetILNS1_3genE10ELNS1_11target_archE1201ELNS1_3gpuE5ELNS1_3repE0EEENS1_30default_config_static_selectorELNS0_4arch9wavefront6targetE0EEEvT1_
                                        ; -- End function
	.section	.AMDGPU.csdata,"",@progbits
; Kernel info:
; codeLenInByte = 0
; NumSgprs: 0
; NumVgprs: 0
; ScratchSize: 0
; MemoryBound: 0
; FloatMode: 240
; IeeeMode: 1
; LDSByteSize: 0 bytes/workgroup (compile time only)
; SGPRBlocks: 0
; VGPRBlocks: 0
; NumSGPRsForWavesPerEU: 1
; NumVGPRsForWavesPerEU: 1
; Occupancy: 16
; WaveLimiterHint : 0
; COMPUTE_PGM_RSRC2:SCRATCH_EN: 0
; COMPUTE_PGM_RSRC2:USER_SGPR: 15
; COMPUTE_PGM_RSRC2:TRAP_HANDLER: 0
; COMPUTE_PGM_RSRC2:TGID_X_EN: 1
; COMPUTE_PGM_RSRC2:TGID_Y_EN: 0
; COMPUTE_PGM_RSRC2:TGID_Z_EN: 0
; COMPUTE_PGM_RSRC2:TIDIG_COMP_CNT: 0
	.section	.text._ZN7rocprim17ROCPRIM_400000_NS6detail17trampoline_kernelINS0_14default_configENS1_20scan_config_selectorIN3c107complexIfEEEEZZNS1_9scan_implILNS1_25lookback_scan_determinismE0ELb0ELb0ES3_PKS7_PS7_S7_ZZZN2at6native31launch_logcumsumexp_cuda_kernelERKNSE_10TensorBaseESI_lENKUlvE_clEvENKUlvE2_clEvEUlS7_S7_E_S7_EEDaPvRmT3_T4_T5_mT6_P12ihipStream_tbENKUlT_T0_E_clISt17integral_constantIbLb0EESY_IbLb1EEEEDaSU_SV_EUlSU_E0_NS1_11comp_targetILNS1_3genE10ELNS1_11target_archE1200ELNS1_3gpuE4ELNS1_3repE0EEENS1_30default_config_static_selectorELNS0_4arch9wavefront6targetE0EEEvT1_,"axG",@progbits,_ZN7rocprim17ROCPRIM_400000_NS6detail17trampoline_kernelINS0_14default_configENS1_20scan_config_selectorIN3c107complexIfEEEEZZNS1_9scan_implILNS1_25lookback_scan_determinismE0ELb0ELb0ES3_PKS7_PS7_S7_ZZZN2at6native31launch_logcumsumexp_cuda_kernelERKNSE_10TensorBaseESI_lENKUlvE_clEvENKUlvE2_clEvEUlS7_S7_E_S7_EEDaPvRmT3_T4_T5_mT6_P12ihipStream_tbENKUlT_T0_E_clISt17integral_constantIbLb0EESY_IbLb1EEEEDaSU_SV_EUlSU_E0_NS1_11comp_targetILNS1_3genE10ELNS1_11target_archE1200ELNS1_3gpuE4ELNS1_3repE0EEENS1_30default_config_static_selectorELNS0_4arch9wavefront6targetE0EEEvT1_,comdat
	.globl	_ZN7rocprim17ROCPRIM_400000_NS6detail17trampoline_kernelINS0_14default_configENS1_20scan_config_selectorIN3c107complexIfEEEEZZNS1_9scan_implILNS1_25lookback_scan_determinismE0ELb0ELb0ES3_PKS7_PS7_S7_ZZZN2at6native31launch_logcumsumexp_cuda_kernelERKNSE_10TensorBaseESI_lENKUlvE_clEvENKUlvE2_clEvEUlS7_S7_E_S7_EEDaPvRmT3_T4_T5_mT6_P12ihipStream_tbENKUlT_T0_E_clISt17integral_constantIbLb0EESY_IbLb1EEEEDaSU_SV_EUlSU_E0_NS1_11comp_targetILNS1_3genE10ELNS1_11target_archE1200ELNS1_3gpuE4ELNS1_3repE0EEENS1_30default_config_static_selectorELNS0_4arch9wavefront6targetE0EEEvT1_ ; -- Begin function _ZN7rocprim17ROCPRIM_400000_NS6detail17trampoline_kernelINS0_14default_configENS1_20scan_config_selectorIN3c107complexIfEEEEZZNS1_9scan_implILNS1_25lookback_scan_determinismE0ELb0ELb0ES3_PKS7_PS7_S7_ZZZN2at6native31launch_logcumsumexp_cuda_kernelERKNSE_10TensorBaseESI_lENKUlvE_clEvENKUlvE2_clEvEUlS7_S7_E_S7_EEDaPvRmT3_T4_T5_mT6_P12ihipStream_tbENKUlT_T0_E_clISt17integral_constantIbLb0EESY_IbLb1EEEEDaSU_SV_EUlSU_E0_NS1_11comp_targetILNS1_3genE10ELNS1_11target_archE1200ELNS1_3gpuE4ELNS1_3repE0EEENS1_30default_config_static_selectorELNS0_4arch9wavefront6targetE0EEEvT1_
	.p2align	8
	.type	_ZN7rocprim17ROCPRIM_400000_NS6detail17trampoline_kernelINS0_14default_configENS1_20scan_config_selectorIN3c107complexIfEEEEZZNS1_9scan_implILNS1_25lookback_scan_determinismE0ELb0ELb0ES3_PKS7_PS7_S7_ZZZN2at6native31launch_logcumsumexp_cuda_kernelERKNSE_10TensorBaseESI_lENKUlvE_clEvENKUlvE2_clEvEUlS7_S7_E_S7_EEDaPvRmT3_T4_T5_mT6_P12ihipStream_tbENKUlT_T0_E_clISt17integral_constantIbLb0EESY_IbLb1EEEEDaSU_SV_EUlSU_E0_NS1_11comp_targetILNS1_3genE10ELNS1_11target_archE1200ELNS1_3gpuE4ELNS1_3repE0EEENS1_30default_config_static_selectorELNS0_4arch9wavefront6targetE0EEEvT1_,@function
_ZN7rocprim17ROCPRIM_400000_NS6detail17trampoline_kernelINS0_14default_configENS1_20scan_config_selectorIN3c107complexIfEEEEZZNS1_9scan_implILNS1_25lookback_scan_determinismE0ELb0ELb0ES3_PKS7_PS7_S7_ZZZN2at6native31launch_logcumsumexp_cuda_kernelERKNSE_10TensorBaseESI_lENKUlvE_clEvENKUlvE2_clEvEUlS7_S7_E_S7_EEDaPvRmT3_T4_T5_mT6_P12ihipStream_tbENKUlT_T0_E_clISt17integral_constantIbLb0EESY_IbLb1EEEEDaSU_SV_EUlSU_E0_NS1_11comp_targetILNS1_3genE10ELNS1_11target_archE1200ELNS1_3gpuE4ELNS1_3repE0EEENS1_30default_config_static_selectorELNS0_4arch9wavefront6targetE0EEEvT1_: ; @_ZN7rocprim17ROCPRIM_400000_NS6detail17trampoline_kernelINS0_14default_configENS1_20scan_config_selectorIN3c107complexIfEEEEZZNS1_9scan_implILNS1_25lookback_scan_determinismE0ELb0ELb0ES3_PKS7_PS7_S7_ZZZN2at6native31launch_logcumsumexp_cuda_kernelERKNSE_10TensorBaseESI_lENKUlvE_clEvENKUlvE2_clEvEUlS7_S7_E_S7_EEDaPvRmT3_T4_T5_mT6_P12ihipStream_tbENKUlT_T0_E_clISt17integral_constantIbLb0EESY_IbLb1EEEEDaSU_SV_EUlSU_E0_NS1_11comp_targetILNS1_3genE10ELNS1_11target_archE1200ELNS1_3gpuE4ELNS1_3repE0EEENS1_30default_config_static_selectorELNS0_4arch9wavefront6targetE0EEEvT1_
; %bb.0:
	.section	.rodata,"a",@progbits
	.p2align	6, 0x0
	.amdhsa_kernel _ZN7rocprim17ROCPRIM_400000_NS6detail17trampoline_kernelINS0_14default_configENS1_20scan_config_selectorIN3c107complexIfEEEEZZNS1_9scan_implILNS1_25lookback_scan_determinismE0ELb0ELb0ES3_PKS7_PS7_S7_ZZZN2at6native31launch_logcumsumexp_cuda_kernelERKNSE_10TensorBaseESI_lENKUlvE_clEvENKUlvE2_clEvEUlS7_S7_E_S7_EEDaPvRmT3_T4_T5_mT6_P12ihipStream_tbENKUlT_T0_E_clISt17integral_constantIbLb0EESY_IbLb1EEEEDaSU_SV_EUlSU_E0_NS1_11comp_targetILNS1_3genE10ELNS1_11target_archE1200ELNS1_3gpuE4ELNS1_3repE0EEENS1_30default_config_static_selectorELNS0_4arch9wavefront6targetE0EEEvT1_
		.amdhsa_group_segment_fixed_size 0
		.amdhsa_private_segment_fixed_size 0
		.amdhsa_kernarg_size 40
		.amdhsa_user_sgpr_count 15
		.amdhsa_user_sgpr_dispatch_ptr 0
		.amdhsa_user_sgpr_queue_ptr 0
		.amdhsa_user_sgpr_kernarg_segment_ptr 1
		.amdhsa_user_sgpr_dispatch_id 0
		.amdhsa_user_sgpr_private_segment_size 0
		.amdhsa_wavefront_size32 1
		.amdhsa_uses_dynamic_stack 0
		.amdhsa_enable_private_segment 0
		.amdhsa_system_sgpr_workgroup_id_x 1
		.amdhsa_system_sgpr_workgroup_id_y 0
		.amdhsa_system_sgpr_workgroup_id_z 0
		.amdhsa_system_sgpr_workgroup_info 0
		.amdhsa_system_vgpr_workitem_id 0
		.amdhsa_next_free_vgpr 1
		.amdhsa_next_free_sgpr 1
		.amdhsa_reserve_vcc 0
		.amdhsa_float_round_mode_32 0
		.amdhsa_float_round_mode_16_64 0
		.amdhsa_float_denorm_mode_32 3
		.amdhsa_float_denorm_mode_16_64 3
		.amdhsa_dx10_clamp 1
		.amdhsa_ieee_mode 1
		.amdhsa_fp16_overflow 0
		.amdhsa_workgroup_processor_mode 1
		.amdhsa_memory_ordered 1
		.amdhsa_forward_progress 0
		.amdhsa_shared_vgpr_count 0
		.amdhsa_exception_fp_ieee_invalid_op 0
		.amdhsa_exception_fp_denorm_src 0
		.amdhsa_exception_fp_ieee_div_zero 0
		.amdhsa_exception_fp_ieee_overflow 0
		.amdhsa_exception_fp_ieee_underflow 0
		.amdhsa_exception_fp_ieee_inexact 0
		.amdhsa_exception_int_div_zero 0
	.end_amdhsa_kernel
	.section	.text._ZN7rocprim17ROCPRIM_400000_NS6detail17trampoline_kernelINS0_14default_configENS1_20scan_config_selectorIN3c107complexIfEEEEZZNS1_9scan_implILNS1_25lookback_scan_determinismE0ELb0ELb0ES3_PKS7_PS7_S7_ZZZN2at6native31launch_logcumsumexp_cuda_kernelERKNSE_10TensorBaseESI_lENKUlvE_clEvENKUlvE2_clEvEUlS7_S7_E_S7_EEDaPvRmT3_T4_T5_mT6_P12ihipStream_tbENKUlT_T0_E_clISt17integral_constantIbLb0EESY_IbLb1EEEEDaSU_SV_EUlSU_E0_NS1_11comp_targetILNS1_3genE10ELNS1_11target_archE1200ELNS1_3gpuE4ELNS1_3repE0EEENS1_30default_config_static_selectorELNS0_4arch9wavefront6targetE0EEEvT1_,"axG",@progbits,_ZN7rocprim17ROCPRIM_400000_NS6detail17trampoline_kernelINS0_14default_configENS1_20scan_config_selectorIN3c107complexIfEEEEZZNS1_9scan_implILNS1_25lookback_scan_determinismE0ELb0ELb0ES3_PKS7_PS7_S7_ZZZN2at6native31launch_logcumsumexp_cuda_kernelERKNSE_10TensorBaseESI_lENKUlvE_clEvENKUlvE2_clEvEUlS7_S7_E_S7_EEDaPvRmT3_T4_T5_mT6_P12ihipStream_tbENKUlT_T0_E_clISt17integral_constantIbLb0EESY_IbLb1EEEEDaSU_SV_EUlSU_E0_NS1_11comp_targetILNS1_3genE10ELNS1_11target_archE1200ELNS1_3gpuE4ELNS1_3repE0EEENS1_30default_config_static_selectorELNS0_4arch9wavefront6targetE0EEEvT1_,comdat
.Lfunc_end348:
	.size	_ZN7rocprim17ROCPRIM_400000_NS6detail17trampoline_kernelINS0_14default_configENS1_20scan_config_selectorIN3c107complexIfEEEEZZNS1_9scan_implILNS1_25lookback_scan_determinismE0ELb0ELb0ES3_PKS7_PS7_S7_ZZZN2at6native31launch_logcumsumexp_cuda_kernelERKNSE_10TensorBaseESI_lENKUlvE_clEvENKUlvE2_clEvEUlS7_S7_E_S7_EEDaPvRmT3_T4_T5_mT6_P12ihipStream_tbENKUlT_T0_E_clISt17integral_constantIbLb0EESY_IbLb1EEEEDaSU_SV_EUlSU_E0_NS1_11comp_targetILNS1_3genE10ELNS1_11target_archE1200ELNS1_3gpuE4ELNS1_3repE0EEENS1_30default_config_static_selectorELNS0_4arch9wavefront6targetE0EEEvT1_, .Lfunc_end348-_ZN7rocprim17ROCPRIM_400000_NS6detail17trampoline_kernelINS0_14default_configENS1_20scan_config_selectorIN3c107complexIfEEEEZZNS1_9scan_implILNS1_25lookback_scan_determinismE0ELb0ELb0ES3_PKS7_PS7_S7_ZZZN2at6native31launch_logcumsumexp_cuda_kernelERKNSE_10TensorBaseESI_lENKUlvE_clEvENKUlvE2_clEvEUlS7_S7_E_S7_EEDaPvRmT3_T4_T5_mT6_P12ihipStream_tbENKUlT_T0_E_clISt17integral_constantIbLb0EESY_IbLb1EEEEDaSU_SV_EUlSU_E0_NS1_11comp_targetILNS1_3genE10ELNS1_11target_archE1200ELNS1_3gpuE4ELNS1_3repE0EEENS1_30default_config_static_selectorELNS0_4arch9wavefront6targetE0EEEvT1_
                                        ; -- End function
	.section	.AMDGPU.csdata,"",@progbits
; Kernel info:
; codeLenInByte = 0
; NumSgprs: 0
; NumVgprs: 0
; ScratchSize: 0
; MemoryBound: 0
; FloatMode: 240
; IeeeMode: 1
; LDSByteSize: 0 bytes/workgroup (compile time only)
; SGPRBlocks: 0
; VGPRBlocks: 0
; NumSGPRsForWavesPerEU: 1
; NumVGPRsForWavesPerEU: 1
; Occupancy: 16
; WaveLimiterHint : 0
; COMPUTE_PGM_RSRC2:SCRATCH_EN: 0
; COMPUTE_PGM_RSRC2:USER_SGPR: 15
; COMPUTE_PGM_RSRC2:TRAP_HANDLER: 0
; COMPUTE_PGM_RSRC2:TGID_X_EN: 1
; COMPUTE_PGM_RSRC2:TGID_Y_EN: 0
; COMPUTE_PGM_RSRC2:TGID_Z_EN: 0
; COMPUTE_PGM_RSRC2:TIDIG_COMP_CNT: 0
	.section	.text._ZN7rocprim17ROCPRIM_400000_NS6detail17trampoline_kernelINS0_14default_configENS1_20scan_config_selectorIN3c107complexIfEEEEZZNS1_9scan_implILNS1_25lookback_scan_determinismE0ELb0ELb0ES3_PKS7_PS7_S7_ZZZN2at6native31launch_logcumsumexp_cuda_kernelERKNSE_10TensorBaseESI_lENKUlvE_clEvENKUlvE2_clEvEUlS7_S7_E_S7_EEDaPvRmT3_T4_T5_mT6_P12ihipStream_tbENKUlT_T0_E_clISt17integral_constantIbLb0EESY_IbLb1EEEEDaSU_SV_EUlSU_E0_NS1_11comp_targetILNS1_3genE9ELNS1_11target_archE1100ELNS1_3gpuE3ELNS1_3repE0EEENS1_30default_config_static_selectorELNS0_4arch9wavefront6targetE0EEEvT1_,"axG",@progbits,_ZN7rocprim17ROCPRIM_400000_NS6detail17trampoline_kernelINS0_14default_configENS1_20scan_config_selectorIN3c107complexIfEEEEZZNS1_9scan_implILNS1_25lookback_scan_determinismE0ELb0ELb0ES3_PKS7_PS7_S7_ZZZN2at6native31launch_logcumsumexp_cuda_kernelERKNSE_10TensorBaseESI_lENKUlvE_clEvENKUlvE2_clEvEUlS7_S7_E_S7_EEDaPvRmT3_T4_T5_mT6_P12ihipStream_tbENKUlT_T0_E_clISt17integral_constantIbLb0EESY_IbLb1EEEEDaSU_SV_EUlSU_E0_NS1_11comp_targetILNS1_3genE9ELNS1_11target_archE1100ELNS1_3gpuE3ELNS1_3repE0EEENS1_30default_config_static_selectorELNS0_4arch9wavefront6targetE0EEEvT1_,comdat
	.globl	_ZN7rocprim17ROCPRIM_400000_NS6detail17trampoline_kernelINS0_14default_configENS1_20scan_config_selectorIN3c107complexIfEEEEZZNS1_9scan_implILNS1_25lookback_scan_determinismE0ELb0ELb0ES3_PKS7_PS7_S7_ZZZN2at6native31launch_logcumsumexp_cuda_kernelERKNSE_10TensorBaseESI_lENKUlvE_clEvENKUlvE2_clEvEUlS7_S7_E_S7_EEDaPvRmT3_T4_T5_mT6_P12ihipStream_tbENKUlT_T0_E_clISt17integral_constantIbLb0EESY_IbLb1EEEEDaSU_SV_EUlSU_E0_NS1_11comp_targetILNS1_3genE9ELNS1_11target_archE1100ELNS1_3gpuE3ELNS1_3repE0EEENS1_30default_config_static_selectorELNS0_4arch9wavefront6targetE0EEEvT1_ ; -- Begin function _ZN7rocprim17ROCPRIM_400000_NS6detail17trampoline_kernelINS0_14default_configENS1_20scan_config_selectorIN3c107complexIfEEEEZZNS1_9scan_implILNS1_25lookback_scan_determinismE0ELb0ELb0ES3_PKS7_PS7_S7_ZZZN2at6native31launch_logcumsumexp_cuda_kernelERKNSE_10TensorBaseESI_lENKUlvE_clEvENKUlvE2_clEvEUlS7_S7_E_S7_EEDaPvRmT3_T4_T5_mT6_P12ihipStream_tbENKUlT_T0_E_clISt17integral_constantIbLb0EESY_IbLb1EEEEDaSU_SV_EUlSU_E0_NS1_11comp_targetILNS1_3genE9ELNS1_11target_archE1100ELNS1_3gpuE3ELNS1_3repE0EEENS1_30default_config_static_selectorELNS0_4arch9wavefront6targetE0EEEvT1_
	.p2align	8
	.type	_ZN7rocprim17ROCPRIM_400000_NS6detail17trampoline_kernelINS0_14default_configENS1_20scan_config_selectorIN3c107complexIfEEEEZZNS1_9scan_implILNS1_25lookback_scan_determinismE0ELb0ELb0ES3_PKS7_PS7_S7_ZZZN2at6native31launch_logcumsumexp_cuda_kernelERKNSE_10TensorBaseESI_lENKUlvE_clEvENKUlvE2_clEvEUlS7_S7_E_S7_EEDaPvRmT3_T4_T5_mT6_P12ihipStream_tbENKUlT_T0_E_clISt17integral_constantIbLb0EESY_IbLb1EEEEDaSU_SV_EUlSU_E0_NS1_11comp_targetILNS1_3genE9ELNS1_11target_archE1100ELNS1_3gpuE3ELNS1_3repE0EEENS1_30default_config_static_selectorELNS0_4arch9wavefront6targetE0EEEvT1_,@function
_ZN7rocprim17ROCPRIM_400000_NS6detail17trampoline_kernelINS0_14default_configENS1_20scan_config_selectorIN3c107complexIfEEEEZZNS1_9scan_implILNS1_25lookback_scan_determinismE0ELb0ELb0ES3_PKS7_PS7_S7_ZZZN2at6native31launch_logcumsumexp_cuda_kernelERKNSE_10TensorBaseESI_lENKUlvE_clEvENKUlvE2_clEvEUlS7_S7_E_S7_EEDaPvRmT3_T4_T5_mT6_P12ihipStream_tbENKUlT_T0_E_clISt17integral_constantIbLb0EESY_IbLb1EEEEDaSU_SV_EUlSU_E0_NS1_11comp_targetILNS1_3genE9ELNS1_11target_archE1100ELNS1_3gpuE3ELNS1_3repE0EEENS1_30default_config_static_selectorELNS0_4arch9wavefront6targetE0EEEvT1_: ; @_ZN7rocprim17ROCPRIM_400000_NS6detail17trampoline_kernelINS0_14default_configENS1_20scan_config_selectorIN3c107complexIfEEEEZZNS1_9scan_implILNS1_25lookback_scan_determinismE0ELb0ELb0ES3_PKS7_PS7_S7_ZZZN2at6native31launch_logcumsumexp_cuda_kernelERKNSE_10TensorBaseESI_lENKUlvE_clEvENKUlvE2_clEvEUlS7_S7_E_S7_EEDaPvRmT3_T4_T5_mT6_P12ihipStream_tbENKUlT_T0_E_clISt17integral_constantIbLb0EESY_IbLb1EEEEDaSU_SV_EUlSU_E0_NS1_11comp_targetILNS1_3genE9ELNS1_11target_archE1100ELNS1_3gpuE3ELNS1_3repE0EEENS1_30default_config_static_selectorELNS0_4arch9wavefront6targetE0EEEvT1_
; %bb.0:
	s_load_b128 s[4:7], s[0:1], 0x0
	s_mov_b32 s32, 0
	s_waitcnt lgkmcnt(0)
	s_load_b64 s[2:3], s[4:5], 0x0
	s_waitcnt lgkmcnt(0)
	v_dual_mov_b32 v84, v0 :: v_dual_mov_b32 v1, s3
	s_delay_alu instid0(VALU_DEP_1) | instskip(SKIP_1) | instid1(VALU_DEP_2)
	v_cmp_gt_u32_e64 s8, s6, v84
	v_dual_mov_b32 v0, s2 :: v_dual_lshlrev_b32 v91, 3, v84
	s_and_saveexec_b32 s7, s8
	s_cbranch_execz .LBB349_2
; %bb.1:
	global_load_b64 v[0:1], v91, s[4:5]
.LBB349_2:
	s_or_b32 exec_lo, exec_lo, s7
	v_or_b32_e32 v32, 0x100, v84
	v_dual_mov_b32 v3, s3 :: v_dual_mov_b32 v2, s2
	s_delay_alu instid0(VALU_DEP_2) | instskip(NEXT) | instid1(VALU_DEP_1)
	v_cmp_gt_u32_e64 s9, s6, v32
	s_and_saveexec_b32 s7, s9
	s_cbranch_execz .LBB349_4
; %bb.3:
	global_load_b64 v[2:3], v91, s[4:5] offset:2048
.LBB349_4:
	s_or_b32 exec_lo, exec_lo, s7
	v_or_b32_e32 v33, 0x200, v84
	v_dual_mov_b32 v5, s3 :: v_dual_mov_b32 v4, s2
	s_delay_alu instid0(VALU_DEP_2) | instskip(NEXT) | instid1(VALU_DEP_1)
	v_cmp_gt_u32_e64 s10, s6, v33
	s_and_saveexec_b32 s7, s10
	s_cbranch_execz .LBB349_6
; %bb.5:
	v_lshlrev_b32_e32 v4, 3, v33
	global_load_b64 v[4:5], v4, s[4:5]
.LBB349_6:
	s_or_b32 exec_lo, exec_lo, s7
	v_or_b32_e32 v34, 0x300, v84
	v_dual_mov_b32 v9, s3 :: v_dual_mov_b32 v8, s2
	s_delay_alu instid0(VALU_DEP_2) | instskip(NEXT) | instid1(VALU_DEP_1)
	v_cmp_gt_u32_e64 s11, s6, v34
	s_and_saveexec_b32 s7, s11
	s_cbranch_execz .LBB349_8
; %bb.7:
	v_lshlrev_b32_e32 v6, 3, v34
	global_load_b64 v[8:9], v6, s[4:5]
.LBB349_8:
	;; [unrolled: 11-line block ×14, first 2 shown]
	s_or_b32 exec_lo, exec_lo, s2
	v_lshrrev_b32_e32 v47, 2, v84
	v_lshrrev_b32_e32 v33, 2, v33
	;; [unrolled: 1-line block ×5, first 2 shown]
	v_and_b32_e32 v47, 56, v47
	v_and_b32_e32 v33, 0xf8, v33
	;; [unrolled: 1-line block ×4, first 2 shown]
	s_load_b64 s[24:25], s[0:1], 0x20
	v_add_nc_u32_e32 v92, v47, v91
	v_add_nc_u32_e32 v94, v33, v91
	v_and_b32_e32 v33, 0x1f8, v35
	v_lshrrev_b32_e32 v35, 2, v38
	v_add_nc_u32_e32 v93, v32, v91
	v_add_nc_u32_e32 v95, v34, v91
	s_waitcnt vmcnt(0)
	ds_store_b64 v92, v[0:1]
	ds_store_b64 v93, v[2:3] offset:2048
	ds_store_b64 v94, v[4:5] offset:4096
	;; [unrolled: 1-line block ×3, first 2 shown]
	v_and_b32_e32 v0, 0x1f8, v35
	v_lshrrev_b32_e32 v1, 2, v39
	v_lshrrev_b32_e32 v2, 2, v40
	;; [unrolled: 1-line block ×4, first 2 shown]
	v_add_nc_u32_e32 v99, v0, v91
	v_and_b32_e32 v0, 0x3f8, v1
	v_and_b32_e32 v1, 0x3f8, v2
	v_and_b32_e32 v2, 0x3f8, v3
	v_and_b32_e32 v3, 0x3f8, v4
	v_lshrrev_b32_e32 v32, 2, v36
	v_add_nc_u32_e32 v100, v0, v91
	v_lshrrev_b32_e32 v0, 2, v43
	v_add_nc_u32_e32 v101, v1, v91
	v_lshrrev_b32_e32 v1, 2, v44
	v_lshrrev_b32_e32 v36, 2, v37
	v_add_nc_u32_e32 v102, v2, v91
	v_lshrrev_b32_e32 v2, 2, v45
	v_add_nc_u32_e32 v103, v3, v91
	v_lshrrev_b32_e32 v3, 2, v46
	v_and_b32_e32 v0, 0x3f8, v0
	v_lshlrev_b32_e32 v4, 4, v84
	v_lshrrev_b32_e32 v5, 1, v84
	v_and_b32_e32 v32, 0x1f8, v32
	v_and_b32_e32 v1, 0x3f8, v1
	;; [unrolled: 1-line block ×5, first 2 shown]
	v_add_nc_u32_e32 v96, v33, v91
	v_add_nc_u32_e32 v104, v0, v91
	v_add_lshl_u32 v108, v5, v4, 3
	v_add_nc_u32_e32 v97, v32, v91
	v_add_nc_u32_e32 v105, v1, v91
	;; [unrolled: 1-line block ×5, first 2 shown]
	ds_store_b64 v96, v[6:7] offset:8192
	ds_store_b64 v97, v[10:11] offset:10240
	;; [unrolled: 1-line block ×12, first 2 shown]
	s_waitcnt lgkmcnt(0)
	s_barrier
	buffer_gl0_inv
	ds_load_2addr_b64 v[22:25], v108 offset1:1
	ds_load_2addr_b64 v[50:53], v108 offset0:2 offset1:3
	ds_load_2addr_b64 v[46:49], v108 offset0:4 offset1:5
	;; [unrolled: 1-line block ×7, first 2 shown]
	s_waitcnt lgkmcnt(0)
	s_barrier
	buffer_gl0_inv
	s_getpc_b64 s[26:27]
	s_add_u32 s26, s26, _ZZZZN2at6native31launch_logcumsumexp_cuda_kernelERKNS_10TensorBaseES3_lENKUlvE_clEvENKUlvE2_clEvENKUlN3c107complexIfEES8_E_clES8_S8_@rel32@lo+4
	s_addc_u32 s27, s27, _ZZZZN2at6native31launch_logcumsumexp_cuda_kernelERKNS_10TensorBaseES3_lENKUlvE_clEvENKUlvE2_clEvENKUlN3c107complexIfEES8_E_clES8_S8_@rel32@hi+12
	v_dual_mov_b32 v3, v25 :: v_dual_mov_b32 v0, v22
	v_dual_mov_b32 v1, v23 :: v_dual_mov_b32 v2, v24
	s_swappc_b64 s[30:31], s[26:27]
	v_dual_mov_b32 v2, v50 :: v_dual_mov_b32 v3, v51
	s_delay_alu instid0(VALU_DEP_2)
	v_dual_mov_b32 v85, v0 :: v_dual_mov_b32 v86, v1
	s_swappc_b64 s[30:31], s[26:27]
	v_dual_mov_b32 v2, v52 :: v_dual_mov_b32 v3, v53
	v_dual_mov_b32 v54, v0 :: v_dual_mov_b32 v55, v1
	s_swappc_b64 s[30:31], s[26:27]
	v_dual_mov_b32 v2, v46 :: v_dual_mov_b32 v3, v47
	;; [unrolled: 3-line block ×14, first 2 shown]
	s_mov_b32 s28, exec_lo
	ds_store_b64 v92, v[80:81]
	s_waitcnt lgkmcnt(0)
	s_waitcnt_vscnt null, 0x0
	s_barrier
	buffer_gl0_inv
	v_cmpx_gt_u32_e32 32, v84
	s_cbranch_execz .LBB349_44
; %bb.33:
	v_lshlrev_b32_e32 v0, 1, v84
	s_delay_alu instid0(VALU_DEP_1) | instskip(NEXT) | instid1(VALU_DEP_1)
	v_and_b32_e32 v0, 0x1f8, v0
	v_lshl_or_b32 v109, v84, 6, v0
	ds_load_b64 v[82:83], v109
	ds_load_2addr_b64 v[87:90], v109 offset0:1 offset1:2
	s_waitcnt lgkmcnt(0)
	v_dual_mov_b32 v0, v82 :: v_dual_mov_b32 v3, v88
	v_mov_b32_e32 v1, v83
	v_mov_b32_e32 v2, v87
	s_swappc_b64 s[30:31], s[26:27]
	v_dual_mov_b32 v2, v89 :: v_dual_mov_b32 v3, v90
	s_swappc_b64 s[30:31], s[26:27]
	ds_load_2addr_b64 v[87:90], v109 offset0:3 offset1:4
	s_waitcnt lgkmcnt(0)
	v_dual_mov_b32 v2, v87 :: v_dual_mov_b32 v3, v88
	s_swappc_b64 s[30:31], s[26:27]
	v_dual_mov_b32 v2, v89 :: v_dual_mov_b32 v3, v90
	s_swappc_b64 s[30:31], s[26:27]
	ds_load_2addr_b64 v[87:90], v109 offset0:5 offset1:6
	s_waitcnt lgkmcnt(0)
	v_dual_mov_b32 v2, v87 :: v_dual_mov_b32 v3, v88
	s_swappc_b64 s[30:31], s[26:27]
	v_dual_mov_b32 v2, v89 :: v_dual_mov_b32 v3, v90
	s_swappc_b64 s[30:31], s[26:27]
	ds_load_b64 v[2:3], v109 offset:56
	s_swappc_b64 s[30:31], s[26:27]
	v_dual_mov_b32 v2, v0 :: v_dual_mov_b32 v3, v1
	v_mbcnt_lo_u32_b32 v87, -1, 0
	s_mov_b32 s26, exec_lo
	s_delay_alu instid0(VALU_DEP_2) | instskip(NEXT) | instid1(VALU_DEP_3)
	v_mov_b32_dpp v0, v2 row_shr:1 row_mask:0xf bank_mask:0xf
	v_mov_b32_dpp v1, v3 row_shr:1 row_mask:0xf bank_mask:0xf
	s_delay_alu instid0(VALU_DEP_3) | instskip(NEXT) | instid1(VALU_DEP_1)
	v_and_b32_e32 v88, 15, v87
	v_cmpx_ne_u32_e32 0, v88
	s_cbranch_execz .LBB349_35
; %bb.34:
	s_getpc_b64 s[0:1]
	s_add_u32 s0, s0, _ZZZZN2at6native31launch_logcumsumexp_cuda_kernelERKNS_10TensorBaseES3_lENKUlvE_clEvENKUlvE2_clEvENKUlN3c107complexIfEES8_E_clES8_S8_@rel32@lo+4
	s_addc_u32 s1, s1, _ZZZZN2at6native31launch_logcumsumexp_cuda_kernelERKNS_10TensorBaseES3_lENKUlvE_clEvENKUlvE2_clEvENKUlN3c107complexIfEES8_E_clES8_S8_@rel32@hi+12
	s_delay_alu instid0(SALU_CYCLE_1)
	s_swappc_b64 s[30:31], s[0:1]
	v_dual_mov_b32 v2, v0 :: v_dual_mov_b32 v3, v1
.LBB349_35:
	s_or_b32 exec_lo, exec_lo, s26
	s_delay_alu instid0(VALU_DEP_1) | instskip(NEXT) | instid1(VALU_DEP_2)
	v_mov_b32_dpp v0, v2 row_shr:2 row_mask:0xf bank_mask:0xf
	v_mov_b32_dpp v1, v3 row_shr:2 row_mask:0xf bank_mask:0xf
	s_mov_b32 s26, exec_lo
	v_cmpx_lt_u32_e32 1, v88
	s_cbranch_execz .LBB349_37
; %bb.36:
	s_getpc_b64 s[0:1]
	s_add_u32 s0, s0, _ZZZZN2at6native31launch_logcumsumexp_cuda_kernelERKNS_10TensorBaseES3_lENKUlvE_clEvENKUlvE2_clEvENKUlN3c107complexIfEES8_E_clES8_S8_@rel32@lo+4
	s_addc_u32 s1, s1, _ZZZZN2at6native31launch_logcumsumexp_cuda_kernelERKNS_10TensorBaseES3_lENKUlvE_clEvENKUlvE2_clEvENKUlN3c107complexIfEES8_E_clES8_S8_@rel32@hi+12
	s_delay_alu instid0(SALU_CYCLE_1)
	s_swappc_b64 s[30:31], s[0:1]
	v_dual_mov_b32 v2, v0 :: v_dual_mov_b32 v3, v1
.LBB349_37:
	s_or_b32 exec_lo, exec_lo, s26
	s_delay_alu instid0(VALU_DEP_1) | instskip(NEXT) | instid1(VALU_DEP_2)
	v_mov_b32_dpp v0, v2 row_shr:4 row_mask:0xf bank_mask:0xf
	v_mov_b32_dpp v1, v3 row_shr:4 row_mask:0xf bank_mask:0xf
	s_mov_b32 s26, exec_lo
	v_cmpx_lt_u32_e32 3, v88
	;; [unrolled: 15-line block ×3, first 2 shown]
	s_cbranch_execz .LBB349_41
; %bb.40:
	s_getpc_b64 s[0:1]
	s_add_u32 s0, s0, _ZZZZN2at6native31launch_logcumsumexp_cuda_kernelERKNS_10TensorBaseES3_lENKUlvE_clEvENKUlvE2_clEvENKUlN3c107complexIfEES8_E_clES8_S8_@rel32@lo+4
	s_addc_u32 s1, s1, _ZZZZN2at6native31launch_logcumsumexp_cuda_kernelERKNS_10TensorBaseES3_lENKUlvE_clEvENKUlvE2_clEvENKUlN3c107complexIfEES8_E_clES8_S8_@rel32@hi+12
	s_delay_alu instid0(SALU_CYCLE_1)
	s_swappc_b64 s[30:31], s[0:1]
	v_dual_mov_b32 v2, v0 :: v_dual_mov_b32 v3, v1
.LBB349_41:
	s_or_b32 exec_lo, exec_lo, s26
	ds_swizzle_b32 v0, v2 offset:swizzle(BROADCAST,32,15)
	ds_swizzle_b32 v1, v3 offset:swizzle(BROADCAST,32,15)
	v_and_b32_e32 v4, 16, v87
	s_mov_b32 s26, exec_lo
	s_delay_alu instid0(VALU_DEP_1)
	v_cmpx_ne_u32_e32 0, v4
	s_cbranch_execz .LBB349_43
; %bb.42:
	s_getpc_b64 s[0:1]
	s_add_u32 s0, s0, _ZZZZN2at6native31launch_logcumsumexp_cuda_kernelERKNS_10TensorBaseES3_lENKUlvE_clEvENKUlvE2_clEvENKUlN3c107complexIfEES8_E_clES8_S8_@rel32@lo+4
	s_addc_u32 s1, s1, _ZZZZN2at6native31launch_logcumsumexp_cuda_kernelERKNS_10TensorBaseES3_lENKUlvE_clEvENKUlvE2_clEvENKUlN3c107complexIfEES8_E_clES8_S8_@rel32@hi+12
	s_delay_alu instid0(SALU_CYCLE_1)
	s_swappc_b64 s[30:31], s[0:1]
	v_dual_mov_b32 v2, v0 :: v_dual_mov_b32 v3, v1
.LBB349_43:
	s_or_b32 exec_lo, exec_lo, s26
	s_waitcnt lgkmcnt(1)
	v_add_nc_u32_e32 v0, -1, v87
	s_getpc_b64 s[26:27]
	s_add_u32 s26, s26, _ZZZZN2at6native31launch_logcumsumexp_cuda_kernelERKNS_10TensorBaseES3_lENKUlvE_clEvENKUlvE2_clEvENKUlN3c107complexIfEES8_E_clES8_S8_@rel32@lo+4
	s_addc_u32 s27, s27, _ZZZZN2at6native31launch_logcumsumexp_cuda_kernelERKNS_10TensorBaseES3_lENKUlvE_clEvENKUlvE2_clEvENKUlN3c107complexIfEES8_E_clES8_S8_@rel32@hi+12
	s_delay_alu instid0(VALU_DEP_1) | instskip(SKIP_2) | instid1(VALU_DEP_1)
	v_cmp_gt_i32_e32 vcc_lo, 0, v0
	v_cndmask_b32_e32 v0, v0, v87, vcc_lo
	s_waitcnt lgkmcnt(0)
	v_lshlrev_b32_e32 v1, 2, v0
	ds_bpermute_b32 v0, v1, v2
	v_mov_b32_e32 v2, v82
	ds_bpermute_b32 v1, v1, v3
	v_mov_b32_e32 v3, v83
	s_swappc_b64 s[30:31], s[26:27]
	v_cmp_eq_u32_e32 vcc_lo, 0, v84
	; wave barrier
	v_dual_cndmask_b32 v0, v0, v80 :: v_dual_cndmask_b32 v1, v1, v81
	ds_store_b64 v109, v[0:1]
	; wave barrier
	ds_load_2addr_b64 v[87:90], v109 offset0:1 offset1:2
	s_waitcnt lgkmcnt(0)
	v_dual_mov_b32 v2, v87 :: v_dual_mov_b32 v3, v88
	s_swappc_b64 s[30:31], s[26:27]
	v_dual_mov_b32 v2, v89 :: v_dual_mov_b32 v3, v90
	v_dual_mov_b32 v82, v0 :: v_dual_mov_b32 v83, v1
	s_swappc_b64 s[30:31], s[26:27]
	ds_load_2addr_b64 v[87:90], v109 offset0:3 offset1:4
	ds_store_2addr_b64 v109, v[82:83], v[0:1] offset0:1 offset1:2
	s_waitcnt lgkmcnt(1)
	v_dual_mov_b32 v2, v87 :: v_dual_mov_b32 v3, v88
	s_swappc_b64 s[30:31], s[26:27]
	v_dual_mov_b32 v2, v89 :: v_dual_mov_b32 v3, v90
	v_dual_mov_b32 v82, v0 :: v_dual_mov_b32 v83, v1
	s_swappc_b64 s[30:31], s[26:27]
	ds_load_2addr_b64 v[87:90], v109 offset0:5 offset1:6
	ds_store_2addr_b64 v109, v[82:83], v[0:1] offset0:3 offset1:4
	s_waitcnt lgkmcnt(1)
	v_dual_mov_b32 v2, v87 :: v_dual_mov_b32 v3, v88
	s_swappc_b64 s[30:31], s[26:27]
	v_dual_mov_b32 v2, v89 :: v_dual_mov_b32 v3, v90
	v_dual_mov_b32 v82, v0 :: v_dual_mov_b32 v83, v1
	s_swappc_b64 s[30:31], s[26:27]
	ds_load_b64 v[2:3], v109 offset:56
	ds_store_2addr_b64 v109, v[82:83], v[0:1] offset0:5 offset1:6
	s_swappc_b64 s[30:31], s[26:27]
	ds_store_b64 v109, v[0:1] offset:56
.LBB349_44:
	s_or_b32 exec_lo, exec_lo, s28
	v_cmp_ne_u32_e32 vcc_lo, 0, v84
	v_dual_mov_b32 v1, v81 :: v_dual_mov_b32 v0, v80
	s_waitcnt lgkmcnt(0)
	s_waitcnt_vscnt null, 0x0
	s_barrier
	buffer_gl0_inv
	s_and_saveexec_b32 s0, vcc_lo
	s_cbranch_execz .LBB349_46
; %bb.45:
	v_add_nc_u32_e32 v0, -1, v84
	s_delay_alu instid0(VALU_DEP_1) | instskip(NEXT) | instid1(VALU_DEP_1)
	v_lshrrev_b32_e32 v1, 5, v0
	v_add_lshl_u32 v0, v1, v0, 3
	ds_load_b64 v[0:1], v0
.LBB349_46:
	s_or_b32 exec_lo, exec_lo, s0
	s_and_saveexec_b32 s28, vcc_lo
	s_cbranch_execz .LBB349_48
; %bb.47:
	v_dual_mov_b32 v2, v22 :: v_dual_mov_b32 v3, v23
	s_getpc_b64 s[26:27]
	s_add_u32 s26, s26, _ZZZZN2at6native31launch_logcumsumexp_cuda_kernelERKNS_10TensorBaseES3_lENKUlvE_clEvENKUlvE2_clEvENKUlN3c107complexIfEES8_E_clES8_S8_@rel32@lo+4
	s_addc_u32 s27, s27, _ZZZZN2at6native31launch_logcumsumexp_cuda_kernelERKNS_10TensorBaseES3_lENKUlvE_clEvENKUlvE2_clEvENKUlN3c107complexIfEES8_E_clES8_S8_@rel32@hi+12
	s_delay_alu instid0(SALU_CYCLE_1)
	s_swappc_b64 s[30:31], s[26:27]
	v_dual_mov_b32 v2, v24 :: v_dual_mov_b32 v3, v25
	v_dual_mov_b32 v22, v0 :: v_dual_mov_b32 v23, v1
	;;#ASMSTART
	;;#ASMEND
	s_swappc_b64 s[30:31], s[26:27]
	v_dual_mov_b32 v2, v50 :: v_dual_mov_b32 v3, v51
	v_dual_mov_b32 v85, v0 :: v_dual_mov_b32 v86, v1
	s_swappc_b64 s[30:31], s[26:27]
	v_dual_mov_b32 v2, v52 :: v_dual_mov_b32 v3, v53
	v_dual_mov_b32 v54, v0 :: v_dual_mov_b32 v55, v1
	;; [unrolled: 3-line block ×14, first 2 shown]
	s_swappc_b64 s[30:31], s[26:27]
	v_dual_mov_b32 v80, v0 :: v_dual_mov_b32 v81, v1
.LBB349_48:
	s_or_b32 exec_lo, exec_lo, s28
	s_waitcnt lgkmcnt(0)
	v_dual_mov_b32 v0, v85 :: v_dual_mov_b32 v1, v86
	s_waitcnt_vscnt null, 0x0
	s_barrier
	buffer_gl0_inv
	ds_store_2addr_b64 v108, v[22:23], v[0:1] offset1:1
	ds_store_2addr_b64 v108, v[54:55], v[56:57] offset0:2 offset1:3
	ds_store_2addr_b64 v108, v[58:59], v[60:61] offset0:4 offset1:5
	;; [unrolled: 1-line block ×7, first 2 shown]
	s_waitcnt lgkmcnt(0)
	s_barrier
	buffer_gl0_inv
	ds_load_b64 v[30:31], v93 offset:2048
	ds_load_b64 v[28:29], v94 offset:4096
	;; [unrolled: 1-line block ×15, first 2 shown]
	v_add_co_u32 v2, s0, s24, v91
	s_delay_alu instid0(VALU_DEP_1)
	v_add_co_ci_u32_e64 v3, null, s25, 0, s0
	s_and_saveexec_b32 s0, s8
	s_cbranch_execnz .LBB349_65
; %bb.49:
	s_or_b32 exec_lo, exec_lo, s0
	s_and_saveexec_b32 s0, s9
	s_cbranch_execnz .LBB349_66
.LBB349_50:
	s_or_b32 exec_lo, exec_lo, s0
	s_and_saveexec_b32 s0, s10
	s_cbranch_execnz .LBB349_67
.LBB349_51:
	s_or_b32 exec_lo, exec_lo, s0
	s_and_saveexec_b32 s0, s11
	s_cbranch_execnz .LBB349_68
.LBB349_52:
	s_or_b32 exec_lo, exec_lo, s0
	s_and_saveexec_b32 s0, s12
	s_cbranch_execnz .LBB349_69
.LBB349_53:
	s_or_b32 exec_lo, exec_lo, s0
	s_and_saveexec_b32 s0, s13
	s_cbranch_execnz .LBB349_70
.LBB349_54:
	s_or_b32 exec_lo, exec_lo, s0
	s_and_saveexec_b32 s0, s14
	s_cbranch_execnz .LBB349_71
.LBB349_55:
	s_or_b32 exec_lo, exec_lo, s0
	s_and_saveexec_b32 s0, s15
	s_cbranch_execnz .LBB349_72
.LBB349_56:
	s_or_b32 exec_lo, exec_lo, s0
	s_and_saveexec_b32 s0, s16
	s_cbranch_execnz .LBB349_73
.LBB349_57:
	s_or_b32 exec_lo, exec_lo, s0
	s_and_saveexec_b32 s0, s17
	s_cbranch_execnz .LBB349_74
.LBB349_58:
	s_or_b32 exec_lo, exec_lo, s0
	s_and_saveexec_b32 s0, s18
	s_cbranch_execnz .LBB349_75
.LBB349_59:
	s_or_b32 exec_lo, exec_lo, s0
	s_and_saveexec_b32 s0, s19
	s_cbranch_execnz .LBB349_76
.LBB349_60:
	s_or_b32 exec_lo, exec_lo, s0
	s_and_saveexec_b32 s0, s20
	s_cbranch_execnz .LBB349_77
.LBB349_61:
	s_or_b32 exec_lo, exec_lo, s0
	s_and_saveexec_b32 s0, s21
	s_cbranch_execnz .LBB349_78
.LBB349_62:
	s_or_b32 exec_lo, exec_lo, s0
	s_and_saveexec_b32 s0, s22
	s_cbranch_execnz .LBB349_79
.LBB349_63:
	s_or_b32 exec_lo, exec_lo, s0
	s_and_saveexec_b32 s0, s23
	s_cbranch_execnz .LBB349_80
.LBB349_64:
	s_nop 0
	s_sendmsg sendmsg(MSG_DEALLOC_VGPRS)
	s_endpgm
.LBB349_65:
	ds_load_b64 v[32:33], v92
	s_waitcnt lgkmcnt(0)
	global_store_b64 v[2:3], v[32:33], off
	s_or_b32 exec_lo, exec_lo, s0
	s_and_saveexec_b32 s0, s9
	s_cbranch_execz .LBB349_50
.LBB349_66:
	s_waitcnt lgkmcnt(14)
	global_store_b64 v[2:3], v[30:31], off offset:2048
	s_or_b32 exec_lo, exec_lo, s0
	s_and_saveexec_b32 s0, s10
	s_cbranch_execz .LBB349_51
.LBB349_67:
	s_waitcnt lgkmcnt(14)
	v_add_co_u32 v30, vcc_lo, 0x1000, v2
	v_add_co_ci_u32_e32 v31, vcc_lo, 0, v3, vcc_lo
	s_waitcnt lgkmcnt(13)
	global_store_b64 v[30:31], v[28:29], off
	s_or_b32 exec_lo, exec_lo, s0
	s_and_saveexec_b32 s0, s11
	s_cbranch_execz .LBB349_52
.LBB349_68:
	s_waitcnt lgkmcnt(13)
	v_add_co_u32 v28, vcc_lo, 0x1000, v2
	v_add_co_ci_u32_e32 v29, vcc_lo, 0, v3, vcc_lo
	s_waitcnt lgkmcnt(12)
	global_store_b64 v[28:29], v[26:27], off offset:2048
	s_or_b32 exec_lo, exec_lo, s0
	s_and_saveexec_b32 s0, s12
	s_cbranch_execz .LBB349_53
.LBB349_69:
	s_waitcnt lgkmcnt(12)
	v_add_co_u32 v26, vcc_lo, 0x2000, v2
	v_add_co_ci_u32_e32 v27, vcc_lo, 0, v3, vcc_lo
	s_waitcnt lgkmcnt(11)
	global_store_b64 v[26:27], v[24:25], off
	s_or_b32 exec_lo, exec_lo, s0
	s_and_saveexec_b32 s0, s13
	s_cbranch_execz .LBB349_54
.LBB349_70:
	s_waitcnt lgkmcnt(11)
	v_add_co_u32 v24, vcc_lo, 0x2000, v2
	v_add_co_ci_u32_e32 v25, vcc_lo, 0, v3, vcc_lo
	s_waitcnt lgkmcnt(10)
	global_store_b64 v[24:25], v[22:23], off offset:2048
	s_or_b32 exec_lo, exec_lo, s0
	s_and_saveexec_b32 s0, s14
	s_cbranch_execz .LBB349_55
.LBB349_71:
	s_waitcnt lgkmcnt(10)
	v_add_co_u32 v22, vcc_lo, 0x3000, v2
	v_add_co_ci_u32_e32 v23, vcc_lo, 0, v3, vcc_lo
	s_waitcnt lgkmcnt(9)
	global_store_b64 v[22:23], v[20:21], off
	s_or_b32 exec_lo, exec_lo, s0
	s_and_saveexec_b32 s0, s15
	s_cbranch_execz .LBB349_56
.LBB349_72:
	s_waitcnt lgkmcnt(9)
	v_add_co_u32 v20, vcc_lo, 0x3000, v2
	v_add_co_ci_u32_e32 v21, vcc_lo, 0, v3, vcc_lo
	s_waitcnt lgkmcnt(8)
	global_store_b64 v[20:21], v[18:19], off offset:2048
	s_or_b32 exec_lo, exec_lo, s0
	s_and_saveexec_b32 s0, s16
	s_cbranch_execz .LBB349_57
.LBB349_73:
	s_waitcnt lgkmcnt(8)
	v_add_co_u32 v18, vcc_lo, 0x4000, v2
	v_add_co_ci_u32_e32 v19, vcc_lo, 0, v3, vcc_lo
	s_waitcnt lgkmcnt(7)
	global_store_b64 v[18:19], v[16:17], off
	s_or_b32 exec_lo, exec_lo, s0
	s_and_saveexec_b32 s0, s17
	s_cbranch_execz .LBB349_58
.LBB349_74:
	s_waitcnt lgkmcnt(7)
	v_add_co_u32 v16, vcc_lo, 0x4000, v2
	v_add_co_ci_u32_e32 v17, vcc_lo, 0, v3, vcc_lo
	s_waitcnt lgkmcnt(6)
	global_store_b64 v[16:17], v[14:15], off offset:2048
	s_or_b32 exec_lo, exec_lo, s0
	s_and_saveexec_b32 s0, s18
	s_cbranch_execz .LBB349_59
.LBB349_75:
	s_waitcnt lgkmcnt(6)
	v_add_co_u32 v14, vcc_lo, 0x5000, v2
	v_add_co_ci_u32_e32 v15, vcc_lo, 0, v3, vcc_lo
	s_waitcnt lgkmcnt(5)
	global_store_b64 v[14:15], v[12:13], off
	s_or_b32 exec_lo, exec_lo, s0
	s_and_saveexec_b32 s0, s19
	s_cbranch_execz .LBB349_60
.LBB349_76:
	s_waitcnt lgkmcnt(5)
	v_add_co_u32 v12, vcc_lo, 0x5000, v2
	v_add_co_ci_u32_e32 v13, vcc_lo, 0, v3, vcc_lo
	s_waitcnt lgkmcnt(4)
	global_store_b64 v[12:13], v[10:11], off offset:2048
	s_or_b32 exec_lo, exec_lo, s0
	s_and_saveexec_b32 s0, s20
	s_cbranch_execz .LBB349_61
.LBB349_77:
	s_waitcnt lgkmcnt(4)
	v_add_co_u32 v10, vcc_lo, 0x6000, v2
	v_add_co_ci_u32_e32 v11, vcc_lo, 0, v3, vcc_lo
	s_waitcnt lgkmcnt(3)
	global_store_b64 v[10:11], v[8:9], off
	s_or_b32 exec_lo, exec_lo, s0
	s_and_saveexec_b32 s0, s21
	s_cbranch_execz .LBB349_62
.LBB349_78:
	s_waitcnt lgkmcnt(3)
	v_add_co_u32 v8, vcc_lo, 0x6000, v2
	v_add_co_ci_u32_e32 v9, vcc_lo, 0, v3, vcc_lo
	s_waitcnt lgkmcnt(2)
	global_store_b64 v[8:9], v[6:7], off offset:2048
	s_or_b32 exec_lo, exec_lo, s0
	s_and_saveexec_b32 s0, s22
	s_cbranch_execz .LBB349_63
.LBB349_79:
	s_waitcnt lgkmcnt(2)
	v_add_co_u32 v6, vcc_lo, 0x7000, v2
	v_add_co_ci_u32_e32 v7, vcc_lo, 0, v3, vcc_lo
	s_waitcnt lgkmcnt(1)
	global_store_b64 v[6:7], v[4:5], off
	s_or_b32 exec_lo, exec_lo, s0
	s_and_saveexec_b32 s0, s23
	s_cbranch_execz .LBB349_64
.LBB349_80:
	v_add_co_u32 v2, vcc_lo, 0x7000, v2
	v_add_co_ci_u32_e32 v3, vcc_lo, 0, v3, vcc_lo
	s_waitcnt lgkmcnt(0)
	global_store_b64 v[2:3], v[0:1], off offset:2048
	s_nop 0
	s_sendmsg sendmsg(MSG_DEALLOC_VGPRS)
	s_endpgm
	.section	.rodata,"a",@progbits
	.p2align	6, 0x0
	.amdhsa_kernel _ZN7rocprim17ROCPRIM_400000_NS6detail17trampoline_kernelINS0_14default_configENS1_20scan_config_selectorIN3c107complexIfEEEEZZNS1_9scan_implILNS1_25lookback_scan_determinismE0ELb0ELb0ES3_PKS7_PS7_S7_ZZZN2at6native31launch_logcumsumexp_cuda_kernelERKNSE_10TensorBaseESI_lENKUlvE_clEvENKUlvE2_clEvEUlS7_S7_E_S7_EEDaPvRmT3_T4_T5_mT6_P12ihipStream_tbENKUlT_T0_E_clISt17integral_constantIbLb0EESY_IbLb1EEEEDaSU_SV_EUlSU_E0_NS1_11comp_targetILNS1_3genE9ELNS1_11target_archE1100ELNS1_3gpuE3ELNS1_3repE0EEENS1_30default_config_static_selectorELNS0_4arch9wavefront6targetE0EEEvT1_
		.amdhsa_group_segment_fixed_size 33792
		.amdhsa_private_segment_fixed_size 0
		.amdhsa_kernarg_size 40
		.amdhsa_user_sgpr_count 15
		.amdhsa_user_sgpr_dispatch_ptr 0
		.amdhsa_user_sgpr_queue_ptr 0
		.amdhsa_user_sgpr_kernarg_segment_ptr 1
		.amdhsa_user_sgpr_dispatch_id 0
		.amdhsa_user_sgpr_private_segment_size 0
		.amdhsa_wavefront_size32 1
		.amdhsa_uses_dynamic_stack 0
		.amdhsa_enable_private_segment 0
		.amdhsa_system_sgpr_workgroup_id_x 1
		.amdhsa_system_sgpr_workgroup_id_y 0
		.amdhsa_system_sgpr_workgroup_id_z 0
		.amdhsa_system_sgpr_workgroup_info 0
		.amdhsa_system_vgpr_workitem_id 0
		.amdhsa_next_free_vgpr 110
		.amdhsa_next_free_sgpr 33
		.amdhsa_reserve_vcc 1
		.amdhsa_float_round_mode_32 0
		.amdhsa_float_round_mode_16_64 0
		.amdhsa_float_denorm_mode_32 3
		.amdhsa_float_denorm_mode_16_64 3
		.amdhsa_dx10_clamp 1
		.amdhsa_ieee_mode 1
		.amdhsa_fp16_overflow 0
		.amdhsa_workgroup_processor_mode 1
		.amdhsa_memory_ordered 1
		.amdhsa_forward_progress 0
		.amdhsa_shared_vgpr_count 0
		.amdhsa_exception_fp_ieee_invalid_op 0
		.amdhsa_exception_fp_denorm_src 0
		.amdhsa_exception_fp_ieee_div_zero 0
		.amdhsa_exception_fp_ieee_overflow 0
		.amdhsa_exception_fp_ieee_underflow 0
		.amdhsa_exception_fp_ieee_inexact 0
		.amdhsa_exception_int_div_zero 0
	.end_amdhsa_kernel
	.section	.text._ZN7rocprim17ROCPRIM_400000_NS6detail17trampoline_kernelINS0_14default_configENS1_20scan_config_selectorIN3c107complexIfEEEEZZNS1_9scan_implILNS1_25lookback_scan_determinismE0ELb0ELb0ES3_PKS7_PS7_S7_ZZZN2at6native31launch_logcumsumexp_cuda_kernelERKNSE_10TensorBaseESI_lENKUlvE_clEvENKUlvE2_clEvEUlS7_S7_E_S7_EEDaPvRmT3_T4_T5_mT6_P12ihipStream_tbENKUlT_T0_E_clISt17integral_constantIbLb0EESY_IbLb1EEEEDaSU_SV_EUlSU_E0_NS1_11comp_targetILNS1_3genE9ELNS1_11target_archE1100ELNS1_3gpuE3ELNS1_3repE0EEENS1_30default_config_static_selectorELNS0_4arch9wavefront6targetE0EEEvT1_,"axG",@progbits,_ZN7rocprim17ROCPRIM_400000_NS6detail17trampoline_kernelINS0_14default_configENS1_20scan_config_selectorIN3c107complexIfEEEEZZNS1_9scan_implILNS1_25lookback_scan_determinismE0ELb0ELb0ES3_PKS7_PS7_S7_ZZZN2at6native31launch_logcumsumexp_cuda_kernelERKNSE_10TensorBaseESI_lENKUlvE_clEvENKUlvE2_clEvEUlS7_S7_E_S7_EEDaPvRmT3_T4_T5_mT6_P12ihipStream_tbENKUlT_T0_E_clISt17integral_constantIbLb0EESY_IbLb1EEEEDaSU_SV_EUlSU_E0_NS1_11comp_targetILNS1_3genE9ELNS1_11target_archE1100ELNS1_3gpuE3ELNS1_3repE0EEENS1_30default_config_static_selectorELNS0_4arch9wavefront6targetE0EEEvT1_,comdat
.Lfunc_end349:
	.size	_ZN7rocprim17ROCPRIM_400000_NS6detail17trampoline_kernelINS0_14default_configENS1_20scan_config_selectorIN3c107complexIfEEEEZZNS1_9scan_implILNS1_25lookback_scan_determinismE0ELb0ELb0ES3_PKS7_PS7_S7_ZZZN2at6native31launch_logcumsumexp_cuda_kernelERKNSE_10TensorBaseESI_lENKUlvE_clEvENKUlvE2_clEvEUlS7_S7_E_S7_EEDaPvRmT3_T4_T5_mT6_P12ihipStream_tbENKUlT_T0_E_clISt17integral_constantIbLb0EESY_IbLb1EEEEDaSU_SV_EUlSU_E0_NS1_11comp_targetILNS1_3genE9ELNS1_11target_archE1100ELNS1_3gpuE3ELNS1_3repE0EEENS1_30default_config_static_selectorELNS0_4arch9wavefront6targetE0EEEvT1_, .Lfunc_end349-_ZN7rocprim17ROCPRIM_400000_NS6detail17trampoline_kernelINS0_14default_configENS1_20scan_config_selectorIN3c107complexIfEEEEZZNS1_9scan_implILNS1_25lookback_scan_determinismE0ELb0ELb0ES3_PKS7_PS7_S7_ZZZN2at6native31launch_logcumsumexp_cuda_kernelERKNSE_10TensorBaseESI_lENKUlvE_clEvENKUlvE2_clEvEUlS7_S7_E_S7_EEDaPvRmT3_T4_T5_mT6_P12ihipStream_tbENKUlT_T0_E_clISt17integral_constantIbLb0EESY_IbLb1EEEEDaSU_SV_EUlSU_E0_NS1_11comp_targetILNS1_3genE9ELNS1_11target_archE1100ELNS1_3gpuE3ELNS1_3repE0EEENS1_30default_config_static_selectorELNS0_4arch9wavefront6targetE0EEEvT1_
                                        ; -- End function
	.section	.AMDGPU.csdata,"",@progbits
; Kernel info:
; codeLenInByte = 4096
; NumSgprs: 35
; NumVgprs: 110
; ScratchSize: 0
; MemoryBound: 0
; FloatMode: 240
; IeeeMode: 1
; LDSByteSize: 33792 bytes/workgroup (compile time only)
; SGPRBlocks: 4
; VGPRBlocks: 13
; NumSGPRsForWavesPerEU: 35
; NumVGPRsForWavesPerEU: 110
; Occupancy: 6
; WaveLimiterHint : 0
; COMPUTE_PGM_RSRC2:SCRATCH_EN: 0
; COMPUTE_PGM_RSRC2:USER_SGPR: 15
; COMPUTE_PGM_RSRC2:TRAP_HANDLER: 0
; COMPUTE_PGM_RSRC2:TGID_X_EN: 1
; COMPUTE_PGM_RSRC2:TGID_Y_EN: 0
; COMPUTE_PGM_RSRC2:TGID_Z_EN: 0
; COMPUTE_PGM_RSRC2:TIDIG_COMP_CNT: 0
	.section	.text._ZN7rocprim17ROCPRIM_400000_NS6detail17trampoline_kernelINS0_14default_configENS1_20scan_config_selectorIN3c107complexIfEEEEZZNS1_9scan_implILNS1_25lookback_scan_determinismE0ELb0ELb0ES3_PKS7_PS7_S7_ZZZN2at6native31launch_logcumsumexp_cuda_kernelERKNSE_10TensorBaseESI_lENKUlvE_clEvENKUlvE2_clEvEUlS7_S7_E_S7_EEDaPvRmT3_T4_T5_mT6_P12ihipStream_tbENKUlT_T0_E_clISt17integral_constantIbLb0EESY_IbLb1EEEEDaSU_SV_EUlSU_E0_NS1_11comp_targetILNS1_3genE8ELNS1_11target_archE1030ELNS1_3gpuE2ELNS1_3repE0EEENS1_30default_config_static_selectorELNS0_4arch9wavefront6targetE0EEEvT1_,"axG",@progbits,_ZN7rocprim17ROCPRIM_400000_NS6detail17trampoline_kernelINS0_14default_configENS1_20scan_config_selectorIN3c107complexIfEEEEZZNS1_9scan_implILNS1_25lookback_scan_determinismE0ELb0ELb0ES3_PKS7_PS7_S7_ZZZN2at6native31launch_logcumsumexp_cuda_kernelERKNSE_10TensorBaseESI_lENKUlvE_clEvENKUlvE2_clEvEUlS7_S7_E_S7_EEDaPvRmT3_T4_T5_mT6_P12ihipStream_tbENKUlT_T0_E_clISt17integral_constantIbLb0EESY_IbLb1EEEEDaSU_SV_EUlSU_E0_NS1_11comp_targetILNS1_3genE8ELNS1_11target_archE1030ELNS1_3gpuE2ELNS1_3repE0EEENS1_30default_config_static_selectorELNS0_4arch9wavefront6targetE0EEEvT1_,comdat
	.globl	_ZN7rocprim17ROCPRIM_400000_NS6detail17trampoline_kernelINS0_14default_configENS1_20scan_config_selectorIN3c107complexIfEEEEZZNS1_9scan_implILNS1_25lookback_scan_determinismE0ELb0ELb0ES3_PKS7_PS7_S7_ZZZN2at6native31launch_logcumsumexp_cuda_kernelERKNSE_10TensorBaseESI_lENKUlvE_clEvENKUlvE2_clEvEUlS7_S7_E_S7_EEDaPvRmT3_T4_T5_mT6_P12ihipStream_tbENKUlT_T0_E_clISt17integral_constantIbLb0EESY_IbLb1EEEEDaSU_SV_EUlSU_E0_NS1_11comp_targetILNS1_3genE8ELNS1_11target_archE1030ELNS1_3gpuE2ELNS1_3repE0EEENS1_30default_config_static_selectorELNS0_4arch9wavefront6targetE0EEEvT1_ ; -- Begin function _ZN7rocprim17ROCPRIM_400000_NS6detail17trampoline_kernelINS0_14default_configENS1_20scan_config_selectorIN3c107complexIfEEEEZZNS1_9scan_implILNS1_25lookback_scan_determinismE0ELb0ELb0ES3_PKS7_PS7_S7_ZZZN2at6native31launch_logcumsumexp_cuda_kernelERKNSE_10TensorBaseESI_lENKUlvE_clEvENKUlvE2_clEvEUlS7_S7_E_S7_EEDaPvRmT3_T4_T5_mT6_P12ihipStream_tbENKUlT_T0_E_clISt17integral_constantIbLb0EESY_IbLb1EEEEDaSU_SV_EUlSU_E0_NS1_11comp_targetILNS1_3genE8ELNS1_11target_archE1030ELNS1_3gpuE2ELNS1_3repE0EEENS1_30default_config_static_selectorELNS0_4arch9wavefront6targetE0EEEvT1_
	.p2align	8
	.type	_ZN7rocprim17ROCPRIM_400000_NS6detail17trampoline_kernelINS0_14default_configENS1_20scan_config_selectorIN3c107complexIfEEEEZZNS1_9scan_implILNS1_25lookback_scan_determinismE0ELb0ELb0ES3_PKS7_PS7_S7_ZZZN2at6native31launch_logcumsumexp_cuda_kernelERKNSE_10TensorBaseESI_lENKUlvE_clEvENKUlvE2_clEvEUlS7_S7_E_S7_EEDaPvRmT3_T4_T5_mT6_P12ihipStream_tbENKUlT_T0_E_clISt17integral_constantIbLb0EESY_IbLb1EEEEDaSU_SV_EUlSU_E0_NS1_11comp_targetILNS1_3genE8ELNS1_11target_archE1030ELNS1_3gpuE2ELNS1_3repE0EEENS1_30default_config_static_selectorELNS0_4arch9wavefront6targetE0EEEvT1_,@function
_ZN7rocprim17ROCPRIM_400000_NS6detail17trampoline_kernelINS0_14default_configENS1_20scan_config_selectorIN3c107complexIfEEEEZZNS1_9scan_implILNS1_25lookback_scan_determinismE0ELb0ELb0ES3_PKS7_PS7_S7_ZZZN2at6native31launch_logcumsumexp_cuda_kernelERKNSE_10TensorBaseESI_lENKUlvE_clEvENKUlvE2_clEvEUlS7_S7_E_S7_EEDaPvRmT3_T4_T5_mT6_P12ihipStream_tbENKUlT_T0_E_clISt17integral_constantIbLb0EESY_IbLb1EEEEDaSU_SV_EUlSU_E0_NS1_11comp_targetILNS1_3genE8ELNS1_11target_archE1030ELNS1_3gpuE2ELNS1_3repE0EEENS1_30default_config_static_selectorELNS0_4arch9wavefront6targetE0EEEvT1_: ; @_ZN7rocprim17ROCPRIM_400000_NS6detail17trampoline_kernelINS0_14default_configENS1_20scan_config_selectorIN3c107complexIfEEEEZZNS1_9scan_implILNS1_25lookback_scan_determinismE0ELb0ELb0ES3_PKS7_PS7_S7_ZZZN2at6native31launch_logcumsumexp_cuda_kernelERKNSE_10TensorBaseESI_lENKUlvE_clEvENKUlvE2_clEvEUlS7_S7_E_S7_EEDaPvRmT3_T4_T5_mT6_P12ihipStream_tbENKUlT_T0_E_clISt17integral_constantIbLb0EESY_IbLb1EEEEDaSU_SV_EUlSU_E0_NS1_11comp_targetILNS1_3genE8ELNS1_11target_archE1030ELNS1_3gpuE2ELNS1_3repE0EEENS1_30default_config_static_selectorELNS0_4arch9wavefront6targetE0EEEvT1_
; %bb.0:
	.section	.rodata,"a",@progbits
	.p2align	6, 0x0
	.amdhsa_kernel _ZN7rocprim17ROCPRIM_400000_NS6detail17trampoline_kernelINS0_14default_configENS1_20scan_config_selectorIN3c107complexIfEEEEZZNS1_9scan_implILNS1_25lookback_scan_determinismE0ELb0ELb0ES3_PKS7_PS7_S7_ZZZN2at6native31launch_logcumsumexp_cuda_kernelERKNSE_10TensorBaseESI_lENKUlvE_clEvENKUlvE2_clEvEUlS7_S7_E_S7_EEDaPvRmT3_T4_T5_mT6_P12ihipStream_tbENKUlT_T0_E_clISt17integral_constantIbLb0EESY_IbLb1EEEEDaSU_SV_EUlSU_E0_NS1_11comp_targetILNS1_3genE8ELNS1_11target_archE1030ELNS1_3gpuE2ELNS1_3repE0EEENS1_30default_config_static_selectorELNS0_4arch9wavefront6targetE0EEEvT1_
		.amdhsa_group_segment_fixed_size 0
		.amdhsa_private_segment_fixed_size 0
		.amdhsa_kernarg_size 40
		.amdhsa_user_sgpr_count 15
		.amdhsa_user_sgpr_dispatch_ptr 0
		.amdhsa_user_sgpr_queue_ptr 0
		.amdhsa_user_sgpr_kernarg_segment_ptr 1
		.amdhsa_user_sgpr_dispatch_id 0
		.amdhsa_user_sgpr_private_segment_size 0
		.amdhsa_wavefront_size32 1
		.amdhsa_uses_dynamic_stack 0
		.amdhsa_enable_private_segment 0
		.amdhsa_system_sgpr_workgroup_id_x 1
		.amdhsa_system_sgpr_workgroup_id_y 0
		.amdhsa_system_sgpr_workgroup_id_z 0
		.amdhsa_system_sgpr_workgroup_info 0
		.amdhsa_system_vgpr_workitem_id 0
		.amdhsa_next_free_vgpr 1
		.amdhsa_next_free_sgpr 1
		.amdhsa_reserve_vcc 0
		.amdhsa_float_round_mode_32 0
		.amdhsa_float_round_mode_16_64 0
		.amdhsa_float_denorm_mode_32 3
		.amdhsa_float_denorm_mode_16_64 3
		.amdhsa_dx10_clamp 1
		.amdhsa_ieee_mode 1
		.amdhsa_fp16_overflow 0
		.amdhsa_workgroup_processor_mode 1
		.amdhsa_memory_ordered 1
		.amdhsa_forward_progress 0
		.amdhsa_shared_vgpr_count 0
		.amdhsa_exception_fp_ieee_invalid_op 0
		.amdhsa_exception_fp_denorm_src 0
		.amdhsa_exception_fp_ieee_div_zero 0
		.amdhsa_exception_fp_ieee_overflow 0
		.amdhsa_exception_fp_ieee_underflow 0
		.amdhsa_exception_fp_ieee_inexact 0
		.amdhsa_exception_int_div_zero 0
	.end_amdhsa_kernel
	.section	.text._ZN7rocprim17ROCPRIM_400000_NS6detail17trampoline_kernelINS0_14default_configENS1_20scan_config_selectorIN3c107complexIfEEEEZZNS1_9scan_implILNS1_25lookback_scan_determinismE0ELb0ELb0ES3_PKS7_PS7_S7_ZZZN2at6native31launch_logcumsumexp_cuda_kernelERKNSE_10TensorBaseESI_lENKUlvE_clEvENKUlvE2_clEvEUlS7_S7_E_S7_EEDaPvRmT3_T4_T5_mT6_P12ihipStream_tbENKUlT_T0_E_clISt17integral_constantIbLb0EESY_IbLb1EEEEDaSU_SV_EUlSU_E0_NS1_11comp_targetILNS1_3genE8ELNS1_11target_archE1030ELNS1_3gpuE2ELNS1_3repE0EEENS1_30default_config_static_selectorELNS0_4arch9wavefront6targetE0EEEvT1_,"axG",@progbits,_ZN7rocprim17ROCPRIM_400000_NS6detail17trampoline_kernelINS0_14default_configENS1_20scan_config_selectorIN3c107complexIfEEEEZZNS1_9scan_implILNS1_25lookback_scan_determinismE0ELb0ELb0ES3_PKS7_PS7_S7_ZZZN2at6native31launch_logcumsumexp_cuda_kernelERKNSE_10TensorBaseESI_lENKUlvE_clEvENKUlvE2_clEvEUlS7_S7_E_S7_EEDaPvRmT3_T4_T5_mT6_P12ihipStream_tbENKUlT_T0_E_clISt17integral_constantIbLb0EESY_IbLb1EEEEDaSU_SV_EUlSU_E0_NS1_11comp_targetILNS1_3genE8ELNS1_11target_archE1030ELNS1_3gpuE2ELNS1_3repE0EEENS1_30default_config_static_selectorELNS0_4arch9wavefront6targetE0EEEvT1_,comdat
.Lfunc_end350:
	.size	_ZN7rocprim17ROCPRIM_400000_NS6detail17trampoline_kernelINS0_14default_configENS1_20scan_config_selectorIN3c107complexIfEEEEZZNS1_9scan_implILNS1_25lookback_scan_determinismE0ELb0ELb0ES3_PKS7_PS7_S7_ZZZN2at6native31launch_logcumsumexp_cuda_kernelERKNSE_10TensorBaseESI_lENKUlvE_clEvENKUlvE2_clEvEUlS7_S7_E_S7_EEDaPvRmT3_T4_T5_mT6_P12ihipStream_tbENKUlT_T0_E_clISt17integral_constantIbLb0EESY_IbLb1EEEEDaSU_SV_EUlSU_E0_NS1_11comp_targetILNS1_3genE8ELNS1_11target_archE1030ELNS1_3gpuE2ELNS1_3repE0EEENS1_30default_config_static_selectorELNS0_4arch9wavefront6targetE0EEEvT1_, .Lfunc_end350-_ZN7rocprim17ROCPRIM_400000_NS6detail17trampoline_kernelINS0_14default_configENS1_20scan_config_selectorIN3c107complexIfEEEEZZNS1_9scan_implILNS1_25lookback_scan_determinismE0ELb0ELb0ES3_PKS7_PS7_S7_ZZZN2at6native31launch_logcumsumexp_cuda_kernelERKNSE_10TensorBaseESI_lENKUlvE_clEvENKUlvE2_clEvEUlS7_S7_E_S7_EEDaPvRmT3_T4_T5_mT6_P12ihipStream_tbENKUlT_T0_E_clISt17integral_constantIbLb0EESY_IbLb1EEEEDaSU_SV_EUlSU_E0_NS1_11comp_targetILNS1_3genE8ELNS1_11target_archE1030ELNS1_3gpuE2ELNS1_3repE0EEENS1_30default_config_static_selectorELNS0_4arch9wavefront6targetE0EEEvT1_
                                        ; -- End function
	.section	.AMDGPU.csdata,"",@progbits
; Kernel info:
; codeLenInByte = 0
; NumSgprs: 0
; NumVgprs: 0
; ScratchSize: 0
; MemoryBound: 0
; FloatMode: 240
; IeeeMode: 1
; LDSByteSize: 0 bytes/workgroup (compile time only)
; SGPRBlocks: 0
; VGPRBlocks: 0
; NumSGPRsForWavesPerEU: 1
; NumVGPRsForWavesPerEU: 1
; Occupancy: 16
; WaveLimiterHint : 0
; COMPUTE_PGM_RSRC2:SCRATCH_EN: 0
; COMPUTE_PGM_RSRC2:USER_SGPR: 15
; COMPUTE_PGM_RSRC2:TRAP_HANDLER: 0
; COMPUTE_PGM_RSRC2:TGID_X_EN: 1
; COMPUTE_PGM_RSRC2:TGID_Y_EN: 0
; COMPUTE_PGM_RSRC2:TGID_Z_EN: 0
; COMPUTE_PGM_RSRC2:TIDIG_COMP_CNT: 0
	.section	.text._ZN2at6native32tensor_kernel_scan_innermost_dimIN3c107complexIfEEZZZNS0_31launch_logcumsumexp_cuda_kernelERKNS_10TensorBaseES7_lENKUlvE_clEvENKUlvE2_clEvEUlS4_S4_E_EEvPT_PKSB_jjjSB_T0_,"axG",@progbits,_ZN2at6native32tensor_kernel_scan_innermost_dimIN3c107complexIfEEZZZNS0_31launch_logcumsumexp_cuda_kernelERKNS_10TensorBaseES7_lENKUlvE_clEvENKUlvE2_clEvEUlS4_S4_E_EEvPT_PKSB_jjjSB_T0_,comdat
	.globl	_ZN2at6native32tensor_kernel_scan_innermost_dimIN3c107complexIfEEZZZNS0_31launch_logcumsumexp_cuda_kernelERKNS_10TensorBaseES7_lENKUlvE_clEvENKUlvE2_clEvEUlS4_S4_E_EEvPT_PKSB_jjjSB_T0_ ; -- Begin function _ZN2at6native32tensor_kernel_scan_innermost_dimIN3c107complexIfEEZZZNS0_31launch_logcumsumexp_cuda_kernelERKNS_10TensorBaseES7_lENKUlvE_clEvENKUlvE2_clEvEUlS4_S4_E_EEvPT_PKSB_jjjSB_T0_
	.p2align	8
	.type	_ZN2at6native32tensor_kernel_scan_innermost_dimIN3c107complexIfEEZZZNS0_31launch_logcumsumexp_cuda_kernelERKNS_10TensorBaseES7_lENKUlvE_clEvENKUlvE2_clEvEUlS4_S4_E_EEvPT_PKSB_jjjSB_T0_,@function
_ZN2at6native32tensor_kernel_scan_innermost_dimIN3c107complexIfEEZZZNS0_31launch_logcumsumexp_cuda_kernelERKNS_10TensorBaseES7_lENKUlvE_clEvENKUlvE2_clEvEUlS4_S4_E_EEvPT_PKSB_jjjSB_T0_: ; @_ZN2at6native32tensor_kernel_scan_innermost_dimIN3c107complexIfEEZZZNS0_31launch_logcumsumexp_cuda_kernelERKNS_10TensorBaseES7_lENKUlvE_clEvENKUlvE2_clEvEUlS4_S4_E_EEvPT_PKSB_jjjSB_T0_
; %bb.0:
	s_clause 0x1
	s_load_b256 s[16:23], s[0:1], 0x0
	s_load_b64 s[8:9], s[0:1], 0x20
	v_bfe_u32 v12, v0, 10, 10
	s_waitcnt lgkmcnt(0)
	s_lshl_b32 s11, 2, s22
	s_mul_hi_u32 s2, s20, s21
	s_delay_alu instid0(VALU_DEP_1) | instskip(SKIP_3) | instid1(VALU_DEP_1)
	v_mul_lo_u32 v1, s11, v12
	s_mov_b32 s10, s20
	s_cmp_lg_u32 s2, 0
	s_mov_b32 s2, -1
	v_lshl_add_u32 v13, v1, 3, 0
	s_cbranch_scc1 .LBB351_126
; %bb.1:
	s_load_b32 s4, s[0:1], 0x3c
	s_add_u32 s2, s0, 48
	s_addc_u32 s3, s1, 0
	s_waitcnt lgkmcnt(0)
	s_lshr_b32 s4, s4, 16
	s_delay_alu instid0(SALU_CYCLE_1) | instskip(NEXT) | instid1(SALU_CYCLE_1)
	s_mul_i32 s12, s15, s4
	s_cmp_ge_u32 s12, s20
	s_cbranch_scc1 .LBB351_125
; %bb.2:
	s_load_b32 s28, s[2:3], 0x0
	v_dual_mov_b32 v2, 0 :: v_dual_and_b32 v11, 0x3ff, v0
	s_lshl_b32 s13, 1, s22
	s_cmp_lg_u32 s21, 0
	v_mov_b32_e32 v14, 0x4016cbe4
	s_delay_alu instid0(VALU_DEP_2)
	v_lshl_add_u32 v15, v11, 3, v13
	s_cselect_b32 s26, -1, 0
	s_lshl_b32 s3, s11, 3
	v_cmp_eq_u32_e64 s2, 0, v11
	v_add3_u32 v16, v13, s3, -8
	v_lshl_add_u32 v17, s13, 3, v15
	s_mov_b32 s14, 0x7fffff
	s_mov_b32 s23, 0x37d75334
	;; [unrolled: 1-line block ×4, first 2 shown]
	s_add_i32 s27, s22, 1
	s_mov_b32 s29, 0x3b2d2a58
	s_waitcnt lgkmcnt(0)
	s_mul_i32 s28, s28, s4
	s_branch .LBB351_4
.LBB351_3:                              ;   in Loop: Header=BB351_4 Depth=1
	s_add_i32 s12, s12, s28
	s_delay_alu instid0(SALU_CYCLE_1)
	s_cmp_ge_u32 s12, s20
	s_cbranch_scc1 .LBB351_125
.LBB351_4:                              ; =>This Loop Header: Depth=1
                                        ;     Child Loop BB351_7 Depth 2
                                        ;       Child Loop BB351_73 Depth 3
	s_and_not1_b32 vcc_lo, exec_lo, s26
	s_cbranch_vccnz .LBB351_3
; %bb.5:                                ;   in Loop: Header=BB351_4 Depth=1
	v_dual_mov_b32 v8, s9 :: v_dual_add_nc_u32 v5, s12, v12
	v_mov_b32_e32 v7, s8
	s_mov_b32 s30, 0
	s_delay_alu instid0(VALU_DEP_2) | instskip(SKIP_2) | instid1(VALU_DEP_3)
	v_mul_lo_u32 v1, v5, s21
	v_cmp_gt_u32_e32 vcc_lo, s20, v5
	v_cmp_le_u32_e64 s3, s20, v5
	v_lshlrev_b64 v[3:4], 3, v[1:2]
	s_delay_alu instid0(VALU_DEP_1) | instskip(NEXT) | instid1(VALU_DEP_1)
	v_add_co_u32 v18, s4, s18, v3
	v_add_co_ci_u32_e64 v19, s4, s19, v4, s4
	v_add_co_u32 v20, s4, s16, v3
	s_delay_alu instid0(VALU_DEP_1)
	v_add_co_ci_u32_e64 v21, s4, s17, v4, s4
	s_branch .LBB351_7
.LBB351_6:                              ;   in Loop: Header=BB351_7 Depth=2
	s_or_b32 exec_lo, exec_lo, s5
	ds_load_b64 v[7:8], v16
	s_add_i32 s30, s30, s11
	s_waitcnt lgkmcnt(0)
	s_waitcnt_vscnt null, 0x0
	s_cmp_ge_u32 s30, s21
	s_barrier
	buffer_gl0_inv
	s_cbranch_scc1 .LBB351_3
.LBB351_7:                              ;   Parent Loop BB351_4 Depth=1
                                        ; =>  This Loop Header: Depth=2
                                        ;       Child Loop BB351_73 Depth 3
	v_add_nc_u32_e32 v5, s30, v11
	s_delay_alu instid0(VALU_DEP_1)
	v_add_nc_u32_e32 v3, s13, v5
	s_and_saveexec_b32 s31, vcc_lo
	s_cbranch_execz .LBB351_66
; %bb.8:                                ;   in Loop: Header=BB351_7 Depth=2
	v_cmp_le_u32_e64 s4, s21, v5
	s_delay_alu instid0(VALU_DEP_1) | instskip(NEXT) | instid1(SALU_CYCLE_1)
	s_and_saveexec_b32 s5, s4
	s_xor_b32 s4, exec_lo, s5
	s_cbranch_execz .LBB351_10
; %bb.9:                                ;   in Loop: Header=BB351_7 Depth=2
	v_dual_mov_b32 v9, s8 :: v_dual_mov_b32 v10, s9
	ds_store_b64 v15, v[9:10]
.LBB351_10:                             ;   in Loop: Header=BB351_7 Depth=2
	s_and_not1_saveexec_b32 s5, s4
	s_cbranch_execz .LBB351_12
; %bb.11:                               ;   in Loop: Header=BB351_7 Depth=2
	v_mov_b32_e32 v6, v2
	s_delay_alu instid0(VALU_DEP_1) | instskip(NEXT) | instid1(VALU_DEP_1)
	v_lshlrev_b64 v[9:10], 3, v[5:6]
	v_add_co_u32 v9, s4, v18, v9
	s_delay_alu instid0(VALU_DEP_1)
	v_add_co_ci_u32_e64 v10, s4, v19, v10, s4
	global_load_b64 v[9:10], v[9:10], off
	s_waitcnt vmcnt(0)
	ds_store_b64 v15, v[9:10]
.LBB351_12:                             ;   in Loop: Header=BB351_7 Depth=2
	s_or_b32 exec_lo, exec_lo, s5
	v_cmp_le_u32_e64 s4, s21, v3
	s_delay_alu instid0(VALU_DEP_1) | instskip(NEXT) | instid1(SALU_CYCLE_1)
	s_and_saveexec_b32 s5, s4
	s_xor_b32 s4, exec_lo, s5
	s_cbranch_execz .LBB351_15
; %bb.13:                               ;   in Loop: Header=BB351_7 Depth=2
	v_dual_mov_b32 v9, s8 :: v_dual_mov_b32 v10, s9
	ds_store_b64 v17, v[9:10]
	s_and_not1_saveexec_b32 s5, s4
	s_cbranch_execnz .LBB351_16
.LBB351_14:                             ;   in Loop: Header=BB351_7 Depth=2
	s_or_b32 exec_lo, exec_lo, s5
	s_delay_alu instid0(SALU_CYCLE_1)
	s_and_b32 exec_lo, exec_lo, s2
	s_cbranch_execnz .LBB351_17
	s_branch .LBB351_66
.LBB351_15:                             ;   in Loop: Header=BB351_7 Depth=2
	s_and_not1_saveexec_b32 s5, s4
	s_cbranch_execz .LBB351_14
.LBB351_16:                             ;   in Loop: Header=BB351_7 Depth=2
	v_mov_b32_e32 v4, v2
	s_delay_alu instid0(VALU_DEP_1) | instskip(NEXT) | instid1(VALU_DEP_1)
	v_lshlrev_b64 v[9:10], 3, v[3:4]
	v_add_co_u32 v9, s4, v18, v9
	s_delay_alu instid0(VALU_DEP_1) | instskip(SKIP_4) | instid1(SALU_CYCLE_1)
	v_add_co_ci_u32_e64 v10, s4, v19, v10, s4
	global_load_b64 v[9:10], v[9:10], off
	s_waitcnt vmcnt(0)
	ds_store_b64 v17, v[9:10]
	s_or_b32 exec_lo, exec_lo, s5
	s_and_b32 exec_lo, exec_lo, s2
	s_cbranch_execz .LBB351_66
.LBB351_17:                             ;   in Loop: Header=BB351_7 Depth=2
	ds_load_b64 v[9:10], v13
	v_cmp_o_f32_e64 s4, v7, v7
	v_cmp_o_f32_e64 s5, v8, v8
	v_mov_b32_e32 v4, v8
	v_mov_b32_e32 v22, v7
	;; [unrolled: 1-line block ×3, first 2 shown]
	s_delay_alu instid0(VALU_DEP_4) | instskip(NEXT) | instid1(SALU_CYCLE_1)
	s_and_b32 s7, s4, s5
	s_and_saveexec_b32 s33, s7
	s_cbranch_execz .LBB351_19
; %bb.18:                               ;   in Loop: Header=BB351_7 Depth=2
	s_waitcnt lgkmcnt(0)
	v_cmp_u_f32_e64 s4, v9, v9
	v_cmp_u_f32_e64 s5, v10, v10
	v_cmp_lt_f32_e64 s6, v9, v7
	s_delay_alu instid0(VALU_DEP_2)
	s_or_b32 s4, s4, s5
	s_delay_alu instid0(VALU_DEP_1) | instid1(SALU_CYCLE_1)
	s_or_b32 s4, s6, s4
	s_delay_alu instid0(SALU_CYCLE_1) | instskip(SKIP_1) | instid1(VALU_DEP_2)
	v_cndmask_b32_e64 v4, v8, v10, s4
	v_cndmask_b32_e64 v22, v7, v9, s4
	v_mov_b32_e32 v6, v4
.LBB351_19:                             ;   in Loop: Header=BB351_7 Depth=2
	s_or_b32 exec_lo, exec_lo, s33
	s_and_saveexec_b32 s33, s7
	s_cbranch_execz .LBB351_21
; %bb.20:                               ;   in Loop: Header=BB351_7 Depth=2
	s_waitcnt lgkmcnt(0)
	v_cmp_u_f32_e64 s4, v9, v9
	v_cmp_u_f32_e64 s5, v10, v10
	v_cmp_ge_f32_e64 s6, v9, v7
	s_delay_alu instid0(VALU_DEP_2)
	s_or_b32 s4, s4, s5
	s_delay_alu instid0(VALU_DEP_1) | instid1(SALU_CYCLE_1)
	s_or_b32 s4, s6, s4
	s_delay_alu instid0(SALU_CYCLE_1)
	v_cndmask_b32_e64 v8, v8, v10, s4
	v_cndmask_b32_e64 v7, v7, v9, s4
.LBB351_21:                             ;   in Loop: Header=BB351_7 Depth=2
	s_or_b32 exec_lo, exec_lo, s33
	v_cmp_o_f32_e64 s4, v22, v22
	v_cmp_o_f32_e64 s5, v4, v4
	s_waitcnt lgkmcnt(0)
	v_dual_mov_b32 v9, 0x7fc00000 :: v_dual_mov_b32 v10, 0x7fc00000
	s_delay_alu instid0(VALU_DEP_2) | instskip(NEXT) | instid1(SALU_CYCLE_1)
	s_and_b32 s4, s4, s5
	s_and_saveexec_b32 s33, s4
	s_cbranch_execz .LBB351_65
; %bb.22:                               ;   in Loop: Header=BB351_7 Depth=2
	v_cmp_class_f32_e64 s5, v22, 0x1f8
	v_cmp_neq_f32_e64 s4, v7, v22
	s_delay_alu instid0(VALU_DEP_1) | instskip(NEXT) | instid1(SALU_CYCLE_1)
	s_or_b32 s4, s5, s4
	s_and_saveexec_b32 s5, s4
	s_delay_alu instid0(SALU_CYCLE_1)
	s_xor_b32 s34, exec_lo, s5
	s_cbranch_execz .LBB351_38
; %bb.23:                               ;   in Loop: Header=BB351_7 Depth=2
	v_sub_f32_e32 v4, v4, v8
                                        ; implicit-def: $vgpr10
                                        ; implicit-def: $vgpr9
	s_delay_alu instid0(VALU_DEP_1) | instskip(SKIP_1) | instid1(VALU_DEP_2)
	v_and_b32_e32 v6, 0x7fffffff, v4
	v_cmp_ngt_f32_e64 s35, 0x48000000, |v4|
	v_lshrrev_b32_e32 v1, 23, v6
	v_and_or_b32 v23, v6, s14, 0x800000
	s_delay_alu instid0(VALU_DEP_2) | instskip(NEXT) | instid1(VALU_DEP_4)
	v_add_nc_u32_e32 v24, 0xffffff88, v1
	s_and_saveexec_b32 s4, s35
	s_delay_alu instid0(SALU_CYCLE_1)
	s_xor_b32 s36, exec_lo, s4
	s_cbranch_execz .LBB351_25
; %bb.24:                               ;   in Loop: Header=BB351_7 Depth=2
	v_mad_u64_u32 v[9:10], null, 0xfe5163ab, v23, 0
	v_cmp_lt_u32_e64 s4, 63, v24
	s_delay_alu instid0(VALU_DEP_2) | instskip(NEXT) | instid1(VALU_DEP_2)
	v_mov_b32_e32 v1, v10
	v_cndmask_b32_e64 v10, 0, 0xffffffc0, s4
	s_delay_alu instid0(VALU_DEP_1) | instskip(NEXT) | instid1(VALU_DEP_1)
	v_add_nc_u32_e32 v10, v10, v24
	v_cmp_lt_u32_e64 s5, 31, v10
	s_delay_alu instid0(VALU_DEP_1) | instskip(NEXT) | instid1(VALU_DEP_1)
	v_cndmask_b32_e64 v31, 0, 0xffffffe0, s5
	v_add_nc_u32_e32 v10, v31, v10
	v_mad_u64_u32 v[25:26], null, 0x3c439041, v23, v[1:2]
	s_delay_alu instid0(VALU_DEP_2) | instskip(NEXT) | instid1(VALU_DEP_2)
	v_cmp_lt_u32_e64 s6, 31, v10
	v_mov_b32_e32 v1, v26
	s_delay_alu instid0(VALU_DEP_1) | instskip(NEXT) | instid1(VALU_DEP_1)
	v_mad_u64_u32 v[26:27], null, 0xdb629599, v23, v[1:2]
	v_mov_b32_e32 v1, v27
	s_delay_alu instid0(VALU_DEP_2) | instskip(NEXT) | instid1(VALU_DEP_2)
	v_cndmask_b32_e64 v9, v26, v9, s4
	v_mad_u64_u32 v[27:28], null, 0xf534ddc0, v23, v[1:2]
	s_delay_alu instid0(VALU_DEP_1) | instskip(NEXT) | instid1(VALU_DEP_1)
	v_mov_b32_e32 v1, v28
	v_mad_u64_u32 v[28:29], null, 0xfc2757d1, v23, v[1:2]
	s_delay_alu instid0(VALU_DEP_1) | instskip(NEXT) | instid1(VALU_DEP_1)
	v_mov_b32_e32 v1, v29
	v_mad_u64_u32 v[29:30], null, 0x4e441529, v23, v[1:2]
	s_delay_alu instid0(VALU_DEP_1) | instskip(NEXT) | instid1(VALU_DEP_2)
	v_mov_b32_e32 v1, v30
	v_cndmask_b32_e64 v32, v29, v27, s4
	s_delay_alu instid0(VALU_DEP_2) | instskip(SKIP_1) | instid1(VALU_DEP_1)
	v_mad_u64_u32 v[30:31], null, 0xa2f9836e, v23, v[1:2]
	v_cndmask_b32_e64 v1, 0, 0xffffffe0, s6
	v_add_nc_u32_e32 v1, v1, v10
	s_delay_alu instid0(VALU_DEP_3) | instskip(NEXT) | instid1(VALU_DEP_4)
	v_cndmask_b32_e64 v30, v30, v28, s4
	v_cndmask_b32_e64 v29, v31, v29, s4
	;; [unrolled: 1-line block ×4, first 2 shown]
	v_cmp_eq_u32_e64 s7, 0, v1
	v_cndmask_b32_e64 v25, v30, v32, s5
	v_cndmask_b32_e64 v27, v29, v30, s5
	;; [unrolled: 1-line block ×3, first 2 shown]
	v_sub_nc_u32_e32 v30, 32, v1
	v_cndmask_b32_e64 v28, v28, v10, s5
	v_cndmask_b32_e64 v9, v10, v9, s5
	v_cndmask_b32_e64 v27, v27, v25, s6
	v_cndmask_b32_e64 v25, v25, v29, s6
	s_delay_alu instid0(VALU_DEP_4) | instskip(NEXT) | instid1(VALU_DEP_4)
	v_cndmask_b32_e64 v29, v29, v28, s6
	v_cndmask_b32_e64 v9, v28, v9, s6
	s_delay_alu instid0(VALU_DEP_3) | instskip(NEXT) | instid1(VALU_DEP_3)
	v_alignbit_b32 v31, v27, v25, v30
	v_alignbit_b32 v32, v25, v29, v30
	s_delay_alu instid0(VALU_DEP_3) | instskip(NEXT) | instid1(VALU_DEP_3)
	v_alignbit_b32 v30, v29, v9, v30
	v_cndmask_b32_e64 v1, v31, v27, s7
	s_delay_alu instid0(VALU_DEP_3) | instskip(NEXT) | instid1(VALU_DEP_3)
	v_cndmask_b32_e64 v25, v32, v25, s7
	v_cndmask_b32_e64 v29, v30, v29, s7
	s_delay_alu instid0(VALU_DEP_3) | instskip(NEXT) | instid1(VALU_DEP_3)
	v_bfe_u32 v26, v1, 29, 1
	v_alignbit_b32 v10, v1, v25, 30
	s_delay_alu instid0(VALU_DEP_3) | instskip(SKIP_1) | instid1(VALU_DEP_4)
	v_alignbit_b32 v25, v25, v29, 30
	v_alignbit_b32 v9, v29, v9, 30
	v_sub_nc_u32_e32 v27, 0, v26
	s_delay_alu instid0(VALU_DEP_1) | instskip(SKIP_3) | instid1(VALU_DEP_4)
	v_xor_b32_e32 v28, v10, v27
	v_cmp_ne_u32_e64 s4, v10, v27
	v_xor_b32_e32 v25, v25, v27
	v_xor_b32_e32 v9, v9, v27
	v_clz_i32_u32_e32 v31, v28
	s_delay_alu instid0(VALU_DEP_1) | instskip(NEXT) | instid1(VALU_DEP_1)
	v_add_nc_u32_e32 v30, 1, v31
	v_cndmask_b32_e64 v10, 33, v30, s4
	s_delay_alu instid0(VALU_DEP_1) | instskip(NEXT) | instid1(VALU_DEP_1)
	v_sub_nc_u32_e32 v29, 32, v10
	v_alignbit_b32 v27, v28, v25, v29
	v_alignbit_b32 v9, v25, v9, v29
	v_lshrrev_b32_e32 v25, 29, v1
	v_lshrrev_b32_e32 v1, 30, v1
	s_delay_alu instid0(VALU_DEP_3) | instskip(NEXT) | instid1(VALU_DEP_3)
	v_alignbit_b32 v28, v27, v9, 9
	v_lshlrev_b32_e32 v25, 31, v25
	v_alignbit_b32 v27, v10, v27, 9
	s_delay_alu instid0(VALU_DEP_3) | instskip(NEXT) | instid1(VALU_DEP_2)
	v_clz_i32_u32_e32 v29, v28
	v_or_b32_e32 v27, v27, v25
	v_or_b32_e32 v25, 0x33800000, v25
	s_delay_alu instid0(VALU_DEP_3) | instskip(NEXT) | instid1(VALU_DEP_3)
	v_min_u32_e32 v29, 32, v29
	v_xor_b32_e32 v27, 1.0, v27
	s_delay_alu instid0(VALU_DEP_2) | instskip(SKIP_1) | instid1(VALU_DEP_3)
	v_sub_nc_u32_e32 v30, 31, v29
	v_add_lshl_u32 v10, v29, v10, 23
	v_mul_f32_e32 v29, 0x3fc90fda, v27
	s_delay_alu instid0(VALU_DEP_3) | instskip(NEXT) | instid1(VALU_DEP_3)
	v_alignbit_b32 v9, v28, v9, v30
	v_sub_nc_u32_e32 v10, v25, v10
	s_delay_alu instid0(VALU_DEP_3) | instskip(NEXT) | instid1(VALU_DEP_3)
	v_fma_f32 v25, 0x3fc90fda, v27, -v29
	v_lshrrev_b32_e32 v9, 9, v9
	s_delay_alu instid0(VALU_DEP_2) | instskip(NEXT) | instid1(VALU_DEP_2)
	v_fmac_f32_e32 v25, 0x33a22168, v27
	v_or_b32_e32 v9, v10, v9
	v_add_nc_u32_e32 v10, v26, v1
	s_delay_alu instid0(VALU_DEP_2) | instskip(NEXT) | instid1(VALU_DEP_1)
	v_fmac_f32_e32 v25, 0x3fc90fda, v9
	v_add_f32_e32 v9, v29, v25
.LBB351_25:                             ;   in Loop: Header=BB351_7 Depth=2
	s_or_saveexec_b32 s4, s36
	v_mul_f32_e64 v1, 0x3f22f983, |v4|
	s_delay_alu instid0(VALU_DEP_1)
	v_rndne_f32_e32 v26, v1
	s_xor_b32 exec_lo, exec_lo, s4
; %bb.26:                               ;   in Loop: Header=BB351_7 Depth=2
	s_delay_alu instid0(VALU_DEP_1) | instskip(SKIP_1) | instid1(VALU_DEP_2)
	v_fma_f32 v9, 0xbfc90fda, v26, |v4|
	v_cvt_i32_f32_e32 v10, v26
	v_fmac_f32_e32 v9, 0xb3a22168, v26
	s_delay_alu instid0(VALU_DEP_1)
	v_fmac_f32_e32 v9, 0xa7c234c4, v26
; %bb.27:                               ;   in Loop: Header=BB351_7 Depth=2
	s_or_b32 exec_lo, exec_lo, s4
                                        ; implicit-def: $vgpr25
                                        ; implicit-def: $vgpr1
	s_and_saveexec_b32 s4, s35
	s_delay_alu instid0(SALU_CYCLE_1)
	s_xor_b32 s35, exec_lo, s4
	s_cbranch_execz .LBB351_29
; %bb.28:                               ;   in Loop: Header=BB351_7 Depth=2
	v_mad_u64_u32 v[25:26], null, 0xfe5163ab, v23, 0
	v_cmp_lt_u32_e64 s4, 63, v24
	s_delay_alu instid0(VALU_DEP_1) | instskip(NEXT) | instid1(VALU_DEP_1)
	v_cndmask_b32_e64 v31, 0, 0xffffffc0, s4
	v_dual_mov_b32 v1, v26 :: v_dual_add_nc_u32 v24, v31, v24
	s_delay_alu instid0(VALU_DEP_1) | instskip(NEXT) | instid1(VALU_DEP_2)
	v_mad_u64_u32 v[26:27], null, 0x3c439041, v23, v[1:2]
	v_cmp_lt_u32_e64 s5, 31, v24
	s_delay_alu instid0(VALU_DEP_1) | instskip(NEXT) | instid1(VALU_DEP_1)
	v_cndmask_b32_e64 v32, 0, 0xffffffe0, s5
	v_dual_mov_b32 v1, v27 :: v_dual_add_nc_u32 v24, v32, v24
	s_delay_alu instid0(VALU_DEP_1) | instskip(NEXT) | instid1(VALU_DEP_2)
	v_mad_u64_u32 v[27:28], null, 0xdb629599, v23, v[1:2]
	v_cmp_lt_u32_e64 s6, 31, v24
	s_delay_alu instid0(VALU_DEP_2) | instskip(NEXT) | instid1(VALU_DEP_3)
	v_mov_b32_e32 v1, v28
	v_cndmask_b32_e64 v25, v27, v25, s4
	s_delay_alu instid0(VALU_DEP_2) | instskip(NEXT) | instid1(VALU_DEP_1)
	v_mad_u64_u32 v[28:29], null, 0xf534ddc0, v23, v[1:2]
	v_mov_b32_e32 v1, v29
	s_delay_alu instid0(VALU_DEP_1) | instskip(NEXT) | instid1(VALU_DEP_1)
	v_mad_u64_u32 v[29:30], null, 0xfc2757d1, v23, v[1:2]
	v_mov_b32_e32 v1, v30
	s_delay_alu instid0(VALU_DEP_1) | instskip(NEXT) | instid1(VALU_DEP_1)
	v_mad_u64_u32 v[30:31], null, 0x4e441529, v23, v[1:2]
	v_mov_b32_e32 v1, v31
	s_delay_alu instid0(VALU_DEP_1) | instskip(SKIP_1) | instid1(VALU_DEP_4)
	v_mad_u64_u32 v[31:32], null, 0xa2f9836e, v23, v[1:2]
	v_cndmask_b32_e64 v1, 0, 0xffffffe0, s6
	v_cndmask_b32_e64 v23, v30, v28, s4
	s_delay_alu instid0(VALU_DEP_2) | instskip(NEXT) | instid1(VALU_DEP_4)
	v_add_nc_u32_e32 v1, v1, v24
	v_cndmask_b32_e64 v31, v31, v29, s4
	v_cndmask_b32_e64 v30, v32, v30, s4
	;; [unrolled: 1-line block ×4, first 2 shown]
	v_cmp_eq_u32_e64 s7, 0, v1
	v_cndmask_b32_e64 v26, v31, v23, s5
	v_cndmask_b32_e64 v28, v30, v31, s5
	;; [unrolled: 1-line block ×3, first 2 shown]
	v_sub_nc_u32_e32 v30, 32, v1
	v_cndmask_b32_e64 v29, v29, v24, s5
	v_cndmask_b32_e64 v24, v24, v25, s5
	;; [unrolled: 1-line block ×4, first 2 shown]
	s_delay_alu instid0(VALU_DEP_4) | instskip(NEXT) | instid1(VALU_DEP_4)
	v_cndmask_b32_e64 v23, v23, v29, s6
	v_cndmask_b32_e64 v24, v29, v24, s6
	s_delay_alu instid0(VALU_DEP_3) | instskip(NEXT) | instid1(VALU_DEP_3)
	v_alignbit_b32 v31, v28, v26, v30
	v_alignbit_b32 v32, v26, v23, v30
	s_delay_alu instid0(VALU_DEP_3) | instskip(NEXT) | instid1(VALU_DEP_3)
	v_alignbit_b32 v30, v23, v24, v30
	v_cndmask_b32_e64 v1, v31, v28, s7
	s_delay_alu instid0(VALU_DEP_3) | instskip(NEXT) | instid1(VALU_DEP_3)
	v_cndmask_b32_e64 v26, v32, v26, s7
	v_cndmask_b32_e64 v23, v30, v23, s7
	s_delay_alu instid0(VALU_DEP_3) | instskip(NEXT) | instid1(VALU_DEP_3)
	v_bfe_u32 v27, v1, 29, 1
	v_alignbit_b32 v25, v1, v26, 30
	s_delay_alu instid0(VALU_DEP_3) | instskip(SKIP_1) | instid1(VALU_DEP_4)
	v_alignbit_b32 v26, v26, v23, 30
	v_alignbit_b32 v23, v23, v24, 30
	v_sub_nc_u32_e32 v28, 0, v27
	s_delay_alu instid0(VALU_DEP_1) | instskip(SKIP_3) | instid1(VALU_DEP_4)
	v_xor_b32_e32 v29, v25, v28
	v_cmp_ne_u32_e64 s4, v25, v28
	v_xor_b32_e32 v24, v26, v28
	v_xor_b32_e32 v23, v23, v28
	v_clz_i32_u32_e32 v31, v29
	s_delay_alu instid0(VALU_DEP_1) | instskip(NEXT) | instid1(VALU_DEP_1)
	v_add_nc_u32_e32 v30, 1, v31
	v_cndmask_b32_e64 v25, 33, v30, s4
	s_delay_alu instid0(VALU_DEP_1) | instskip(NEXT) | instid1(VALU_DEP_1)
	v_sub_nc_u32_e32 v26, 32, v25
	v_alignbit_b32 v28, v29, v24, v26
	v_alignbit_b32 v23, v24, v23, v26
	v_lshrrev_b32_e32 v24, 29, v1
	s_delay_alu instid0(VALU_DEP_2) | instskip(NEXT) | instid1(VALU_DEP_2)
	v_alignbit_b32 v26, v28, v23, 9
	v_lshlrev_b32_e32 v24, 31, v24
	v_alignbit_b32 v28, v25, v28, 9
	s_delay_alu instid0(VALU_DEP_3) | instskip(NEXT) | instid1(VALU_DEP_2)
	v_clz_i32_u32_e32 v29, v26
	v_or_b32_e32 v28, v28, v24
	v_or_b32_e32 v24, 0x33800000, v24
	s_delay_alu instid0(VALU_DEP_3) | instskip(NEXT) | instid1(VALU_DEP_3)
	v_min_u32_e32 v29, 32, v29
	v_xor_b32_e32 v28, 1.0, v28
	s_delay_alu instid0(VALU_DEP_2) | instskip(SKIP_1) | instid1(VALU_DEP_3)
	v_sub_nc_u32_e32 v30, 31, v29
	v_add_lshl_u32 v25, v29, v25, 23
	v_mul_f32_e32 v29, 0x3fc90fda, v28
	s_delay_alu instid0(VALU_DEP_3) | instskip(NEXT) | instid1(VALU_DEP_3)
	v_alignbit_b32 v23, v26, v23, v30
	v_sub_nc_u32_e32 v24, v24, v25
	s_delay_alu instid0(VALU_DEP_3) | instskip(NEXT) | instid1(VALU_DEP_3)
	v_fma_f32 v25, 0x3fc90fda, v28, -v29
                                        ; implicit-def: $vgpr26
	v_lshrrev_b32_e32 v23, 9, v23
	s_delay_alu instid0(VALU_DEP_2) | instskip(NEXT) | instid1(VALU_DEP_2)
	v_fmac_f32_e32 v25, 0x33a22168, v28
	v_or_b32_e32 v23, v24, v23
	s_delay_alu instid0(VALU_DEP_1) | instskip(SKIP_1) | instid1(VALU_DEP_2)
	v_fmac_f32_e32 v25, 0x3fc90fda, v23
	v_lshrrev_b32_e32 v23, 30, v1
	v_add_f32_e32 v1, v29, v25
	s_delay_alu instid0(VALU_DEP_2)
	v_add_nc_u32_e32 v25, v27, v23
	s_and_not1_saveexec_b32 s4, s35
	s_cbranch_execnz .LBB351_30
	s_branch .LBB351_31
.LBB351_29:                             ;   in Loop: Header=BB351_7 Depth=2
	s_and_not1_saveexec_b32 s4, s35
.LBB351_30:                             ;   in Loop: Header=BB351_7 Depth=2
	v_fma_f32 v1, 0xbfc90fda, v26, |v4|
	v_cvt_i32_f32_e32 v25, v26
	s_delay_alu instid0(VALU_DEP_2) | instskip(NEXT) | instid1(VALU_DEP_1)
	v_fmac_f32_e32 v1, 0xb3a22168, v26
	v_fmac_f32_e32 v1, 0xa7c234c4, v26
.LBB351_31:                             ;   in Loop: Header=BB351_7 Depth=2
	s_or_b32 exec_lo, exec_lo, s4
	v_dual_sub_f32 v22, v22, v7 :: v_dual_lshlrev_b32 v23, 30, v10
	s_delay_alu instid0(VALU_DEP_2) | instskip(SKIP_1) | instid1(VALU_DEP_3)
	v_dual_mul_f32 v27, v1, v1 :: v_dual_and_b32 v10, 1, v10
	v_mul_f32_e32 v26, v9, v9
	v_mul_f32_e32 v24, 0x3fb8aa3b, v22
	s_delay_alu instid0(VALU_DEP_4)
	v_and_b32_e32 v23, 0x80000000, v23
	v_and_b32_e32 v28, 1, v25
	v_lshlrev_b32_e32 v25, 30, v25
	v_fmaak_f32 v31, s23, v26, 0xbab64f3b
	v_fma_f32 v29, 0x3fb8aa3b, v22, -v24
	v_rndne_f32_e32 v30, v24
	v_fmaak_f32 v32, s24, v26, 0x3c0881c4
	v_cmp_eq_u32_e64 s4, 0, v10
	v_cmp_nlt_f32_e64 s5, 0x42b17218, v22
	v_fmac_f32_e32 v29, 0x32a5705f, v22
	v_dual_sub_f32 v24, v24, v30 :: v_dual_fmaak_f32 v33, s24, v27, 0x3c0881c4
	v_cvt_i32_f32_e32 v30, v30
	v_xor_b32_e32 v6, v6, v4
	s_delay_alu instid0(VALU_DEP_3) | instskip(NEXT) | instid1(VALU_DEP_4)
	v_dual_add_f32 v24, v24, v29 :: v_dual_fmaak_f32 v29, v26, v31, 0x3d2aabf7
	v_dual_fmaak_f32 v31, v26, v32, 0xbe2aaa9d :: v_dual_fmaak_f32 v32, v27, v33, 0xbe2aaa9d
	s_delay_alu instid0(VALU_DEP_2) | instskip(NEXT) | instid1(VALU_DEP_2)
	v_exp_f32_e32 v24, v24
	v_fmaak_f32 v29, v26, v29, 0xbf000004
	s_delay_alu instid0(VALU_DEP_2) | instskip(SKIP_1) | instid1(VALU_DEP_3)
	v_dual_mul_f32 v31, v26, v31 :: v_dual_mul_f32 v32, v27, v32
	v_fmaak_f32 v34, s23, v27, 0xbab64f3b
	v_fma_f32 v26, v26, v29, 1.0
	s_delay_alu instid0(VALU_DEP_3) | instskip(NEXT) | instid1(VALU_DEP_4)
	v_fmac_f32_e32 v9, v9, v31
	v_fmac_f32_e32 v1, v1, v32
	s_delay_alu instid0(VALU_DEP_4) | instskip(NEXT) | instid1(TRANS32_DEP_1)
	v_fmaak_f32 v33, v27, v34, 0x3d2aabf7
	v_ldexp_f32 v24, v24, v30
	s_delay_alu instid0(VALU_DEP_4) | instskip(SKIP_1) | instid1(VALU_DEP_4)
	v_cndmask_b32_e64 v9, -v9, v26, s4
	v_cmp_eq_u32_e64 s4, 0, v28
	v_fmaak_f32 v33, v27, v33, 0xbf000004
	s_delay_alu instid0(VALU_DEP_3) | instskip(NEXT) | instid1(VALU_DEP_2)
	v_xor_b32_e32 v9, v23, v9
	v_fma_f32 v27, v27, v33, 1.0
	s_delay_alu instid0(VALU_DEP_1) | instskip(SKIP_1) | instid1(VALU_DEP_1)
	v_cndmask_b32_e64 v1, v27, v1, s4
	v_cmp_ngt_f32_e64 s4, 0xc2ce8ed0, v22
	v_cndmask_b32_e64 v10, 0, v24, s4
	v_cmp_class_f32_e64 s4, v4, 0x1f8
	s_delay_alu instid0(VALU_DEP_2) | instskip(SKIP_1) | instid1(VALU_DEP_1)
	v_cndmask_b32_e64 v4, 0x7f800000, v10, s5
	v_and_b32_e32 v25, 0x80000000, v25
	v_xor3_b32 v1, v6, v25, v1
	s_delay_alu instid0(VALU_DEP_4) | instskip(NEXT) | instid1(VALU_DEP_2)
	v_cndmask_b32_e64 v6, 0x7fc00000, v9, s4
	v_cndmask_b32_e64 v1, 0x7fc00000, v1, s4
	s_delay_alu instid0(VALU_DEP_2) | instskip(NEXT) | instid1(VALU_DEP_2)
	v_mul_f32_e32 v10, v4, v6
	v_mul_f32_e32 v1, v4, v1
	v_fma_f32 v4, v4, v6, 1.0
	s_delay_alu instid0(VALU_DEP_2) | instskip(NEXT) | instid1(VALU_DEP_2)
	v_max_f32_e64 v9, |v10|, |v1|
	v_max_f32_e64 v6, |v4|, |v1|
	s_delay_alu instid0(VALU_DEP_2) | instskip(SKIP_1) | instid1(VALU_DEP_2)
	v_cvt_f64_f32_e32 v[22:23], v9
	v_cmp_eq_f32_e64 s4, 0x7f800000, v9
	v_frexp_exp_i32_f64_e32 v22, v[22:23]
	s_delay_alu instid0(VALU_DEP_1) | instskip(NEXT) | instid1(VALU_DEP_1)
	v_sub_nc_u32_e32 v23, 0, v22
	v_ldexp_f32 v24, |v1|, v23
	v_ldexp_f32 v23, |v10|, v23
	s_delay_alu instid0(VALU_DEP_2) | instskip(NEXT) | instid1(VALU_DEP_1)
	v_mul_f32_e32 v24, v24, v24
	v_fmac_f32_e32 v24, v23, v23
	s_delay_alu instid0(VALU_DEP_1) | instskip(SKIP_2) | instid1(VALU_DEP_1)
	v_sqrt_f32_e32 v23, v24
	s_waitcnt_depctr 0xfff
	v_ldexp_f32 v22, v23, v22
	v_cmp_ngt_f32_e64 s5, 0.5, v22
	s_delay_alu instid0(VALU_DEP_1) | instskip(NEXT) | instid1(SALU_CYCLE_1)
	s_or_b32 s4, s4, s5
	s_and_saveexec_b32 s5, s4
	s_delay_alu instid0(SALU_CYCLE_1)
	s_xor_b32 s6, exec_lo, s5
	s_cbranch_execz .LBB351_33
; %bb.32:                               ;   in Loop: Header=BB351_7 Depth=2
	v_cvt_f64_f32_e32 v[9:10], v6
	v_cmp_neq_f32_e64 s4, 0x7f800000, v6
	s_delay_alu instid0(VALU_DEP_2) | instskip(NEXT) | instid1(VALU_DEP_1)
	v_frexp_exp_i32_f64_e32 v9, v[9:10]
	v_sub_nc_u32_e32 v10, 0, v9
	s_delay_alu instid0(VALU_DEP_1) | instskip(SKIP_1) | instid1(VALU_DEP_2)
	v_ldexp_f32 v22, |v1|, v10
	v_ldexp_f32 v10, |v4|, v10
	v_mul_f32_e32 v22, v22, v22
	s_delay_alu instid0(VALU_DEP_1) | instskip(NEXT) | instid1(VALU_DEP_1)
	v_fmac_f32_e32 v22, v10, v10
	v_sqrt_f32_e32 v10, v22
	s_waitcnt_depctr 0xfff
	v_ldexp_f32 v9, v10, v9
	s_delay_alu instid0(VALU_DEP_1) | instskip(NEXT) | instid1(VALU_DEP_1)
	v_cndmask_b32_e64 v9, 0x7f800000, v9, s4
	v_cmp_gt_f32_e64 s4, 0x800000, v9
	s_delay_alu instid0(VALU_DEP_1) | instskip(NEXT) | instid1(VALU_DEP_1)
	v_cndmask_b32_e64 v10, 1.0, 0x4f800000, s4
	v_mul_f32_e32 v9, v9, v10
	s_delay_alu instid0(VALU_DEP_1) | instskip(SKIP_3) | instid1(VALU_DEP_2)
	v_log_f32_e32 v9, v9
	s_waitcnt_depctr 0xfff
	v_mul_f32_e32 v10, 0x3f317217, v9
	v_cmp_gt_f32_e64 s5, 0x7f800000, |v9|
	v_fma_f32 v22, 0x3f317217, v9, -v10
	s_delay_alu instid0(VALU_DEP_1) | instskip(NEXT) | instid1(VALU_DEP_1)
	v_fmac_f32_e32 v22, 0x3377d1cf, v9
	v_add_f32_e32 v10, v10, v22
	s_delay_alu instid0(VALU_DEP_1) | instskip(SKIP_1) | instid1(VALU_DEP_1)
	v_cndmask_b32_e64 v9, v9, v10, s5
	v_cndmask_b32_e64 v10, 0, 0x41b17218, s4
	v_sub_f32_e32 v10, v9, v10
.LBB351_33:                             ;   in Loop: Header=BB351_7 Depth=2
	s_and_not1_saveexec_b32 s5, s6
	s_cbranch_execz .LBB351_37
; %bb.34:                               ;   in Loop: Header=BB351_7 Depth=2
	s_delay_alu instid0(VALU_DEP_1) | instskip(SKIP_1) | instid1(VALU_DEP_1)
	v_dual_add_f32 v22, 2.0, v10 :: v_dual_mul_f32 v9, v1, v1
	s_mov_b32 s6, exec_lo
	v_fmac_f32_e32 v9, v10, v22
	s_delay_alu instid0(VALU_DEP_1)
	v_cmpx_neq_f32_e32 0, v9
	s_cbranch_execz .LBB351_36
; %bb.35:                               ;   in Loop: Header=BB351_7 Depth=2
	v_add_f32_e32 v10, 1.0, v9
	s_delay_alu instid0(VALU_DEP_1) | instskip(NEXT) | instid1(VALU_DEP_1)
	v_cvt_f64_f32_e32 v[22:23], v10
	v_frexp_exp_i32_f64_e32 v22, v[22:23]
	v_frexp_mant_f32_e32 v23, v10
	s_delay_alu instid0(VALU_DEP_1) | instskip(SKIP_1) | instid1(VALU_DEP_1)
	v_cmp_gt_f32_e64 s4, 0x3f2aaaab, v23
	v_add_f32_e32 v23, -1.0, v10
	v_sub_f32_e32 v25, v23, v10
	v_sub_f32_e32 v23, v9, v23
	s_delay_alu instid0(VALU_DEP_4) | instskip(SKIP_1) | instid1(VALU_DEP_2)
	v_subrev_co_ci_u32_e64 v22, s4, 0, v22, s4
	v_cmp_eq_f32_e64 s4, 0x7f800000, v9
	v_sub_nc_u32_e32 v24, 0, v22
	v_cvt_f32_i32_e32 v22, v22
	s_delay_alu instid0(VALU_DEP_2) | instskip(NEXT) | instid1(VALU_DEP_1)
	v_ldexp_f32 v10, v10, v24
	v_dual_add_f32 v25, 1.0, v25 :: v_dual_add_f32 v26, 1.0, v10
	s_delay_alu instid0(VALU_DEP_1) | instskip(NEXT) | instid1(VALU_DEP_2)
	v_add_f32_e32 v23, v23, v25
	v_add_f32_e32 v25, -1.0, v26
	s_delay_alu instid0(VALU_DEP_2) | instskip(NEXT) | instid1(VALU_DEP_2)
	v_ldexp_f32 v23, v23, v24
	v_dual_add_f32 v24, -1.0, v10 :: v_dual_sub_f32 v25, v10, v25
	s_delay_alu instid0(VALU_DEP_1) | instskip(NEXT) | instid1(VALU_DEP_1)
	v_add_f32_e32 v27, 1.0, v24
	v_sub_f32_e32 v10, v10, v27
	s_delay_alu instid0(VALU_DEP_1) | instskip(NEXT) | instid1(VALU_DEP_1)
	v_add_f32_e32 v10, v23, v10
	v_dual_add_f32 v28, v24, v10 :: v_dual_add_f32 v25, v23, v25
	s_delay_alu instid0(VALU_DEP_1) | instskip(NEXT) | instid1(VALU_DEP_1)
	v_dual_sub_f32 v24, v28, v24 :: v_dual_add_f32 v27, v26, v25
	v_sub_f32_e32 v10, v10, v24
	s_delay_alu instid0(VALU_DEP_2) | instskip(SKIP_1) | instid1(VALU_DEP_1)
	v_rcp_f32_e32 v23, v27
	v_sub_f32_e32 v26, v27, v26
	v_sub_f32_e32 v25, v25, v26
	s_waitcnt_depctr 0xfff
	v_mul_f32_e32 v29, v28, v23
	s_delay_alu instid0(VALU_DEP_1) | instskip(NEXT) | instid1(VALU_DEP_1)
	v_mul_f32_e32 v30, v27, v29
	v_fma_f32 v26, v29, v27, -v30
	s_delay_alu instid0(VALU_DEP_1) | instskip(NEXT) | instid1(VALU_DEP_1)
	v_fmac_f32_e32 v26, v29, v25
	v_add_f32_e32 v31, v30, v26
	s_delay_alu instid0(VALU_DEP_1) | instskip(SKIP_1) | instid1(VALU_DEP_2)
	v_sub_f32_e32 v32, v28, v31
	v_sub_f32_e32 v24, v31, v30
	;; [unrolled: 1-line block ×3, first 2 shown]
	s_delay_alu instid0(VALU_DEP_2) | instskip(NEXT) | instid1(VALU_DEP_2)
	v_sub_f32_e32 v24, v24, v26
	v_sub_f32_e32 v28, v28, v31
	s_delay_alu instid0(VALU_DEP_1) | instskip(NEXT) | instid1(VALU_DEP_1)
	v_add_f32_e32 v10, v10, v28
	v_add_f32_e32 v10, v24, v10
	s_delay_alu instid0(VALU_DEP_1) | instskip(NEXT) | instid1(VALU_DEP_1)
	v_add_f32_e32 v24, v32, v10
	v_mul_f32_e32 v26, v23, v24
	s_delay_alu instid0(VALU_DEP_1) | instskip(NEXT) | instid1(VALU_DEP_1)
	v_dual_sub_f32 v31, v32, v24 :: v_dual_mul_f32 v28, v27, v26
	v_add_f32_e32 v10, v10, v31
	s_delay_alu instid0(VALU_DEP_2) | instskip(NEXT) | instid1(VALU_DEP_1)
	v_fma_f32 v27, v26, v27, -v28
	v_fmac_f32_e32 v27, v26, v25
	s_delay_alu instid0(VALU_DEP_1) | instskip(NEXT) | instid1(VALU_DEP_1)
	v_add_f32_e32 v25, v28, v27
	v_sub_f32_e32 v30, v24, v25
	s_delay_alu instid0(VALU_DEP_1) | instskip(NEXT) | instid1(VALU_DEP_1)
	v_sub_f32_e32 v24, v24, v30
	v_sub_f32_e32 v24, v24, v25
	s_delay_alu instid0(VALU_DEP_1) | instskip(SKIP_2) | instid1(VALU_DEP_1)
	v_add_f32_e32 v10, v10, v24
	v_add_f32_e32 v24, v29, v26
	v_sub_f32_e32 v28, v25, v28
	v_sub_f32_e32 v25, v28, v27
	s_delay_alu instid0(VALU_DEP_1) | instskip(NEXT) | instid1(VALU_DEP_1)
	v_dual_add_f32 v10, v25, v10 :: v_dual_sub_f32 v25, v24, v29
	v_add_f32_e32 v10, v30, v10
	s_delay_alu instid0(VALU_DEP_1) | instskip(NEXT) | instid1(VALU_DEP_1)
	v_dual_sub_f32 v25, v26, v25 :: v_dual_mul_f32 v10, v23, v10
	v_add_f32_e32 v10, v25, v10
	s_delay_alu instid0(VALU_DEP_1) | instskip(NEXT) | instid1(VALU_DEP_1)
	v_add_f32_e32 v23, v24, v10
	v_mul_f32_e32 v25, v23, v23
	s_delay_alu instid0(VALU_DEP_1) | instskip(SKIP_1) | instid1(VALU_DEP_2)
	v_fmaak_f32 v26, s25, v25, 0x3ecc95a3
	v_mul_f32_e32 v27, v23, v25
	v_fmaak_f32 v25, v25, v26, 0x3f2aaada
	v_ldexp_f32 v26, v23, 1
	v_sub_f32_e32 v23, v23, v24
	s_delay_alu instid0(VALU_DEP_3) | instskip(NEXT) | instid1(VALU_DEP_2)
	v_mul_f32_e32 v25, v27, v25
	v_dual_mul_f32 v27, 0x3f317218, v22 :: v_dual_sub_f32 v10, v10, v23
	s_delay_alu instid0(VALU_DEP_2) | instskip(NEXT) | instid1(VALU_DEP_2)
	v_add_f32_e32 v24, v26, v25
	v_ldexp_f32 v10, v10, 1
	s_delay_alu instid0(VALU_DEP_2) | instskip(NEXT) | instid1(VALU_DEP_4)
	v_sub_f32_e32 v23, v24, v26
	v_fma_f32 v26, 0x3f317218, v22, -v27
	s_delay_alu instid0(VALU_DEP_1) | instskip(NEXT) | instid1(VALU_DEP_1)
	v_dual_sub_f32 v23, v25, v23 :: v_dual_fmac_f32 v26, 0xb102e308, v22
	v_add_f32_e32 v10, v10, v23
	s_delay_alu instid0(VALU_DEP_2) | instskip(NEXT) | instid1(VALU_DEP_2)
	v_add_f32_e32 v22, v27, v26
	v_add_f32_e32 v23, v24, v10
	s_delay_alu instid0(VALU_DEP_2) | instskip(NEXT) | instid1(VALU_DEP_2)
	v_sub_f32_e32 v27, v22, v27
	v_dual_add_f32 v25, v22, v23 :: v_dual_sub_f32 v24, v23, v24
	s_delay_alu instid0(VALU_DEP_2) | instskip(NEXT) | instid1(VALU_DEP_2)
	v_sub_f32_e32 v26, v26, v27
	v_sub_f32_e32 v28, v25, v22
	s_delay_alu instid0(VALU_DEP_3) | instskip(NEXT) | instid1(VALU_DEP_2)
	v_sub_f32_e32 v10, v10, v24
	v_sub_f32_e32 v29, v25, v28
	s_delay_alu instid0(VALU_DEP_2) | instskip(NEXT) | instid1(VALU_DEP_2)
	v_dual_sub_f32 v23, v23, v28 :: v_dual_add_f32 v24, v26, v10
	v_sub_f32_e32 v22, v22, v29
	s_delay_alu instid0(VALU_DEP_1) | instskip(NEXT) | instid1(VALU_DEP_3)
	v_add_f32_e32 v22, v23, v22
	v_sub_f32_e32 v23, v24, v26
	s_delay_alu instid0(VALU_DEP_2) | instskip(NEXT) | instid1(VALU_DEP_2)
	v_add_f32_e32 v22, v24, v22
	v_sub_f32_e32 v24, v24, v23
	s_delay_alu instid0(VALU_DEP_2) | instskip(NEXT) | instid1(VALU_DEP_1)
	v_dual_sub_f32 v10, v10, v23 :: v_dual_add_f32 v27, v25, v22
	v_dual_sub_f32 v24, v26, v24 :: v_dual_sub_f32 v23, v27, v25
	s_delay_alu instid0(VALU_DEP_1) | instskip(NEXT) | instid1(VALU_DEP_2)
	v_add_f32_e32 v10, v10, v24
	v_sub_f32_e32 v22, v22, v23
	s_delay_alu instid0(VALU_DEP_1) | instskip(NEXT) | instid1(VALU_DEP_1)
	v_add_f32_e32 v10, v10, v22
	v_add_f32_e32 v10, v27, v10
	s_delay_alu instid0(VALU_DEP_1) | instskip(SKIP_1) | instid1(VALU_DEP_1)
	v_cndmask_b32_e64 v10, v10, v9, s4
	v_cmp_ngt_f32_e64 s4, -1.0, v9
	v_cndmask_b32_e64 v10, 0x7fc00000, v10, s4
	v_cmp_neq_f32_e64 s4, -1.0, v9
	s_delay_alu instid0(VALU_DEP_1) | instskip(SKIP_1) | instid1(VALU_DEP_1)
	v_cndmask_b32_e64 v10, 0xff800000, v10, s4
	v_cmp_gt_f32_e64 s4, 0x33800000, |v9|
	v_cndmask_b32_e64 v9, v10, v9, s4
	s_delay_alu instid0(VALU_DEP_1)
	v_mul_f32_e32 v10, 0.5, v9
.LBB351_36:                             ;   in Loop: Header=BB351_7 Depth=2
	s_or_b32 exec_lo, exec_lo, s6
.LBB351_37:                             ;   in Loop: Header=BB351_7 Depth=2
	s_delay_alu instid0(SALU_CYCLE_1)
	s_or_b32 exec_lo, exec_lo, s5
	v_max_f32_e64 v9, |v1|, |v1|
	v_max_f32_e64 v22, |v4|, |v4|
	v_frexp_mant_f32_e32 v23, v6
	v_frexp_exp_i32_f32_e32 v6, v6
	v_cmp_gt_f32_e64 s4, |v1|, |v4|
	v_cmp_gt_i32_e64 s5, 0, v4
	v_min_f32_e32 v9, v22, v9
	v_rcp_f32_e32 v22, v23
	v_cmp_class_f32_e64 s6, v4, 0x204
	s_delay_alu instid0(VALU_DEP_2)
	v_frexp_mant_f32_e32 v23, v9
	s_waitcnt_depctr 0xfff
	v_mul_f32_e32 v22, v23, v22
	v_frexp_exp_i32_f32_e32 v9, v9
	v_cndmask_b32_e64 v23, 0, 0x40490fdb, s5
	v_cmp_class_f32_e64 s5, v1, 0x204
	s_delay_alu instid0(VALU_DEP_3) | instskip(NEXT) | instid1(VALU_DEP_1)
	v_sub_nc_u32_e32 v6, v9, v6
	v_ldexp_f32 v6, v22, v6
	s_delay_alu instid0(VALU_DEP_1) | instskip(NEXT) | instid1(VALU_DEP_1)
	v_mul_f32_e32 v9, v6, v6
	v_fmaak_f32 v22, s29, v9, 0xbc7a590c
	s_delay_alu instid0(VALU_DEP_1) | instskip(NEXT) | instid1(VALU_DEP_1)
	v_fmaak_f32 v22, v9, v22, 0x3d29fb3f
	v_fmaak_f32 v22, v9, v22, 0xbd97d4d7
	s_delay_alu instid0(VALU_DEP_1) | instskip(NEXT) | instid1(VALU_DEP_1)
	v_fmaak_f32 v22, v9, v22, 0x3dd931b2
	;; [unrolled: 3-line block ×3, first 2 shown]
	v_fmaak_f32 v22, v9, v22, 0xbeaaaa62
	s_delay_alu instid0(VALU_DEP_1) | instskip(NEXT) | instid1(VALU_DEP_1)
	v_mul_f32_e32 v9, v9, v22
	v_fmac_f32_e32 v6, v6, v9
	s_delay_alu instid0(VALU_DEP_1) | instskip(NEXT) | instid1(VALU_DEP_1)
	v_sub_f32_e32 v9, 0x3fc90fdb, v6
	v_cndmask_b32_e64 v6, v6, v9, s4
	v_cmp_gt_f32_e64 s4, 0, v4
	s_delay_alu instid0(VALU_DEP_2) | instskip(NEXT) | instid1(VALU_DEP_2)
	v_sub_f32_e32 v9, 0x40490fdb, v6
	v_cndmask_b32_e64 v22, 0x3f490fdb, v14, s4
	s_delay_alu instid0(VALU_DEP_2) | instskip(SKIP_1) | instid1(VALU_DEP_1)
	v_cndmask_b32_e64 v6, v6, v9, s4
	v_cmp_eq_f32_e64 s4, 0, v1
	v_cndmask_b32_e64 v6, v6, v23, s4
	s_and_b32 s4, s6, s5
	s_delay_alu instid0(VALU_DEP_1) | instid1(SALU_CYCLE_1)
	v_cndmask_b32_e64 v6, v6, v22, s4
	v_cmp_o_f32_e64 s4, v4, v1
	v_add_f32_e32 v22, v7, v10
	s_delay_alu instid0(VALU_DEP_2) | instskip(NEXT) | instid1(VALU_DEP_1)
	v_cndmask_b32_e64 v4, 0x7fc00000, v6, s4
                                        ; implicit-def: $vgpr6
	v_bfi_b32 v1, 0x7fffffff, v4, v1
	s_delay_alu instid0(VALU_DEP_1)
	v_add_f32_e32 v4, v8, v1
                                        ; implicit-def: $vgpr8
.LBB351_38:                             ;   in Loop: Header=BB351_7 Depth=2
	s_and_not1_saveexec_b32 s34, s34
	s_cbranch_execz .LBB351_64
; %bb.39:                               ;   in Loop: Header=BB351_7 Depth=2
	s_mov_b32 s35, exec_lo
	v_cmpx_ngt_f32_e32 0, v22
	s_cbranch_execz .LBB351_63
; %bb.40:                               ;   in Loop: Header=BB351_7 Depth=2
	v_and_b32_e32 v7, 0x7fffffff, v4
	v_cmp_ngt_f32_e64 s36, 0x48000000, |v4|
                                        ; implicit-def: $vgpr10
                                        ; implicit-def: $vgpr9
	s_delay_alu instid0(VALU_DEP_2) | instskip(SKIP_1) | instid1(VALU_DEP_2)
	v_lshrrev_b32_e32 v1, 23, v7
	v_and_or_b32 v23, v7, s14, 0x800000
	v_add_nc_u32_e32 v25, 0xffffff88, v1
	s_delay_alu instid0(VALU_DEP_4) | instskip(NEXT) | instid1(SALU_CYCLE_1)
	s_and_saveexec_b32 s4, s36
	s_xor_b32 s37, exec_lo, s4
	s_cbranch_execz .LBB351_42
; %bb.41:                               ;   in Loop: Header=BB351_7 Depth=2
	v_mad_u64_u32 v[9:10], null, 0xfe5163ab, v23, 0
	v_cmp_lt_u32_e64 s4, 63, v25
	s_delay_alu instid0(VALU_DEP_2) | instskip(NEXT) | instid1(VALU_DEP_2)
	v_mov_b32_e32 v1, v10
	v_cndmask_b32_e64 v10, 0, 0xffffffc0, s4
	s_delay_alu instid0(VALU_DEP_2) | instskip(NEXT) | instid1(VALU_DEP_2)
	v_mad_u64_u32 v[26:27], null, 0x3c439041, v23, v[1:2]
	v_add_nc_u32_e32 v10, v10, v25
	s_delay_alu instid0(VALU_DEP_1) | instskip(NEXT) | instid1(VALU_DEP_3)
	v_cmp_lt_u32_e64 s5, 31, v10
	v_mov_b32_e32 v1, v27
	s_delay_alu instid0(VALU_DEP_2) | instskip(NEXT) | instid1(VALU_DEP_2)
	v_cndmask_b32_e64 v22, 0, 0xffffffe0, s5
	v_mad_u64_u32 v[27:28], null, 0xdb629599, v23, v[1:2]
	s_delay_alu instid0(VALU_DEP_1) | instskip(NEXT) | instid1(VALU_DEP_2)
	v_dual_mov_b32 v1, v28 :: v_dual_add_nc_u32 v10, v22, v10
	v_cndmask_b32_e64 v9, v27, v9, s4
	s_delay_alu instid0(VALU_DEP_2) | instskip(NEXT) | instid1(VALU_DEP_3)
	v_cmp_lt_u32_e64 s6, 31, v10
	v_mad_u64_u32 v[28:29], null, 0xf534ddc0, v23, v[1:2]
	s_delay_alu instid0(VALU_DEP_1) | instskip(NEXT) | instid1(VALU_DEP_1)
	v_mov_b32_e32 v1, v29
	v_mad_u64_u32 v[29:30], null, 0xfc2757d1, v23, v[1:2]
	s_delay_alu instid0(VALU_DEP_1) | instskip(NEXT) | instid1(VALU_DEP_1)
	v_mov_b32_e32 v1, v30
	v_mad_u64_u32 v[30:31], null, 0x4e441529, v23, v[1:2]
	s_delay_alu instid0(VALU_DEP_1) | instskip(NEXT) | instid1(VALU_DEP_2)
	v_mov_b32_e32 v1, v31
	v_cndmask_b32_e64 v22, v30, v28, s4
	s_delay_alu instid0(VALU_DEP_2) | instskip(SKIP_1) | instid1(VALU_DEP_1)
	v_mad_u64_u32 v[31:32], null, 0xa2f9836e, v23, v[1:2]
	v_cndmask_b32_e64 v1, 0, 0xffffffe0, s6
	v_add_nc_u32_e32 v1, v1, v10
	s_delay_alu instid0(VALU_DEP_3) | instskip(NEXT) | instid1(VALU_DEP_4)
	v_cndmask_b32_e64 v24, v31, v29, s4
	v_cndmask_b32_e64 v30, v32, v30, s4
	;; [unrolled: 1-line block ×4, first 2 shown]
	v_sub_nc_u32_e32 v28, 32, v1
	v_cndmask_b32_e64 v26, v24, v22, s5
	v_cndmask_b32_e64 v24, v30, v24, s5
	;; [unrolled: 1-line block ×4, first 2 shown]
	v_cmp_eq_u32_e64 s7, 0, v1
	v_cndmask_b32_e64 v9, v10, v9, s5
	v_cndmask_b32_e64 v24, v24, v26, s6
	;; [unrolled: 1-line block ×4, first 2 shown]
	s_delay_alu instid0(VALU_DEP_4) | instskip(NEXT) | instid1(VALU_DEP_3)
	v_cndmask_b32_e64 v9, v29, v9, s6
	v_alignbit_b32 v30, v24, v26, v28
	s_delay_alu instid0(VALU_DEP_3) | instskip(NEXT) | instid1(VALU_DEP_3)
	v_alignbit_b32 v31, v26, v22, v28
	v_alignbit_b32 v28, v22, v9, v28
	s_delay_alu instid0(VALU_DEP_3) | instskip(NEXT) | instid1(VALU_DEP_3)
	v_cndmask_b32_e64 v1, v30, v24, s7
	v_cndmask_b32_e64 v24, v31, v26, s7
	s_delay_alu instid0(VALU_DEP_3) | instskip(NEXT) | instid1(VALU_DEP_3)
	v_cndmask_b32_e64 v22, v28, v22, s7
	v_bfe_u32 v26, v1, 29, 1
	s_delay_alu instid0(VALU_DEP_3) | instskip(NEXT) | instid1(VALU_DEP_3)
	v_alignbit_b32 v10, v1, v24, 30
	v_alignbit_b32 v24, v24, v22, 30
	;; [unrolled: 1-line block ×3, first 2 shown]
	s_delay_alu instid0(VALU_DEP_4) | instskip(NEXT) | instid1(VALU_DEP_1)
	v_sub_nc_u32_e32 v27, 0, v26
	v_xor_b32_e32 v29, v10, v27
	v_cmp_ne_u32_e64 s4, v10, v27
	v_xor_b32_e32 v22, v24, v27
	v_xor_b32_e32 v9, v9, v27
	s_delay_alu instid0(VALU_DEP_4) | instskip(NEXT) | instid1(VALU_DEP_1)
	v_clz_i32_u32_e32 v30, v29
	v_add_nc_u32_e32 v28, 1, v30
	s_delay_alu instid0(VALU_DEP_1) | instskip(NEXT) | instid1(VALU_DEP_1)
	v_cndmask_b32_e64 v10, 33, v28, s4
	v_sub_nc_u32_e32 v24, 32, v10
	s_delay_alu instid0(VALU_DEP_1) | instskip(SKIP_3) | instid1(VALU_DEP_3)
	v_alignbit_b32 v27, v29, v22, v24
	v_alignbit_b32 v9, v22, v9, v24
	v_lshrrev_b32_e32 v22, 29, v1
	v_lshrrev_b32_e32 v1, 30, v1
	v_alignbit_b32 v24, v27, v9, 9
	s_delay_alu instid0(VALU_DEP_3) | instskip(SKIP_1) | instid1(VALU_DEP_3)
	v_lshlrev_b32_e32 v22, 31, v22
	v_alignbit_b32 v27, v10, v27, 9
	v_clz_i32_u32_e32 v28, v24
	s_delay_alu instid0(VALU_DEP_2) | instskip(SKIP_1) | instid1(VALU_DEP_3)
	v_or_b32_e32 v27, v27, v22
	v_or_b32_e32 v22, 0x33800000, v22
	v_min_u32_e32 v28, 32, v28
	s_delay_alu instid0(VALU_DEP_3) | instskip(NEXT) | instid1(VALU_DEP_2)
	v_xor_b32_e32 v27, 1.0, v27
	v_sub_nc_u32_e32 v29, 31, v28
	v_add_lshl_u32 v10, v28, v10, 23
	s_delay_alu instid0(VALU_DEP_3) | instskip(NEXT) | instid1(VALU_DEP_3)
	v_mul_f32_e32 v28, 0x3fc90fda, v27
	v_alignbit_b32 v9, v24, v9, v29
	s_delay_alu instid0(VALU_DEP_3) | instskip(NEXT) | instid1(VALU_DEP_3)
	v_sub_nc_u32_e32 v10, v22, v10
	v_fma_f32 v22, 0x3fc90fda, v27, -v28
	s_delay_alu instid0(VALU_DEP_3) | instskip(NEXT) | instid1(VALU_DEP_2)
	v_lshrrev_b32_e32 v9, 9, v9
	v_fmac_f32_e32 v22, 0x33a22168, v27
	s_delay_alu instid0(VALU_DEP_2) | instskip(SKIP_1) | instid1(VALU_DEP_2)
	v_or_b32_e32 v9, v10, v9
	v_add_nc_u32_e32 v10, v26, v1
	v_fmac_f32_e32 v22, 0x3fc90fda, v9
	s_delay_alu instid0(VALU_DEP_1)
	v_add_f32_e32 v9, v28, v22
.LBB351_42:                             ;   in Loop: Header=BB351_7 Depth=2
	s_or_saveexec_b32 s4, s37
	v_mul_f32_e64 v1, 0x3f22f983, |v4|
	s_delay_alu instid0(VALU_DEP_1)
	v_rndne_f32_e32 v1, v1
	s_xor_b32 exec_lo, exec_lo, s4
; %bb.43:                               ;   in Loop: Header=BB351_7 Depth=2
	s_delay_alu instid0(VALU_DEP_1) | instskip(SKIP_1) | instid1(VALU_DEP_2)
	v_fma_f32 v9, 0xbfc90fda, v1, |v4|
	v_cvt_i32_f32_e32 v10, v1
	v_fmac_f32_e32 v9, 0xb3a22168, v1
	s_delay_alu instid0(VALU_DEP_1)
	v_fmac_f32_e32 v9, 0xa7c234c4, v1
; %bb.44:                               ;   in Loop: Header=BB351_7 Depth=2
	s_or_b32 exec_lo, exec_lo, s4
                                        ; implicit-def: $vgpr24
                                        ; implicit-def: $vgpr22
	s_and_saveexec_b32 s4, s36
	s_delay_alu instid0(SALU_CYCLE_1)
	s_xor_b32 s36, exec_lo, s4
	s_cbranch_execz .LBB351_46
; %bb.45:                               ;   in Loop: Header=BB351_7 Depth=2
	v_mad_u64_u32 v[26:27], null, 0xfe5163ab, v23, 0
	v_cmp_lt_u32_e64 s4, 63, v25
	s_delay_alu instid0(VALU_DEP_1) | instskip(NEXT) | instid1(VALU_DEP_1)
	v_cndmask_b32_e64 v22, 0, 0xffffffc0, s4
	v_dual_mov_b32 v1, v27 :: v_dual_add_nc_u32 v22, v22, v25
	s_delay_alu instid0(VALU_DEP_1) | instskip(NEXT) | instid1(VALU_DEP_2)
	v_mad_u64_u32 v[27:28], null, 0x3c439041, v23, v[1:2]
	v_cmp_lt_u32_e64 s5, 31, v22
	s_delay_alu instid0(VALU_DEP_2) | instskip(NEXT) | instid1(VALU_DEP_1)
	v_mov_b32_e32 v1, v28
	v_mad_u64_u32 v[28:29], null, 0xdb629599, v23, v[1:2]
	s_delay_alu instid0(VALU_DEP_1) | instskip(NEXT) | instid1(VALU_DEP_1)
	v_mov_b32_e32 v1, v29
	v_mad_u64_u32 v[29:30], null, 0xf534ddc0, v23, v[1:2]
	s_delay_alu instid0(VALU_DEP_1) | instskip(NEXT) | instid1(VALU_DEP_1)
	v_mov_b32_e32 v1, v30
	v_mad_u64_u32 v[30:31], null, 0xfc2757d1, v23, v[1:2]
	s_delay_alu instid0(VALU_DEP_1) | instskip(SKIP_1) | instid1(VALU_DEP_2)
	v_mov_b32_e32 v1, v31
	v_cndmask_b32_e64 v31, 0, 0xffffffe0, s5
	v_mad_u64_u32 v[24:25], null, 0x4e441529, v23, v[1:2]
	s_delay_alu instid0(VALU_DEP_2) | instskip(NEXT) | instid1(VALU_DEP_1)
	v_add_nc_u32_e32 v22, v31, v22
	v_cmp_lt_u32_e64 s6, 31, v22
	s_delay_alu instid0(VALU_DEP_3) | instskip(NEXT) | instid1(VALU_DEP_1)
	v_mov_b32_e32 v1, v25
	v_mad_u64_u32 v[31:32], null, 0xa2f9836e, v23, v[1:2]
	s_delay_alu instid0(VALU_DEP_3) | instskip(SKIP_1) | instid1(VALU_DEP_2)
	v_cndmask_b32_e64 v1, 0, 0xffffffe0, s6
	v_cndmask_b32_e64 v23, v24, v29, s4
	v_add_nc_u32_e32 v1, v1, v22
	s_delay_alu instid0(VALU_DEP_4)
	v_cndmask_b32_e64 v25, v31, v30, s4
	v_cndmask_b32_e64 v24, v32, v24, s4
	;; [unrolled: 1-line block ×4, first 2 shown]
	v_cmp_eq_u32_e64 s7, 0, v1
	v_cndmask_b32_e64 v27, v25, v23, s5
	v_cndmask_b32_e64 v24, v24, v25, s5
	;; [unrolled: 1-line block ×3, first 2 shown]
	v_sub_nc_u32_e32 v25, 32, v1
	v_cndmask_b32_e64 v29, v30, v22, s5
	s_delay_alu instid0(VALU_DEP_4) | instskip(NEXT) | instid1(VALU_DEP_4)
	v_cndmask_b32_e64 v24, v24, v27, s6
	v_cndmask_b32_e64 v27, v27, v23, s6
	s_delay_alu instid0(VALU_DEP_3) | instskip(NEXT) | instid1(VALU_DEP_2)
	v_cndmask_b32_e64 v23, v23, v29, s6
	v_alignbit_b32 v30, v24, v27, v25
	s_delay_alu instid0(VALU_DEP_2) | instskip(NEXT) | instid1(VALU_DEP_2)
	v_alignbit_b32 v31, v27, v23, v25
	v_cndmask_b32_e64 v1, v30, v24, s7
	v_cndmask_b32_e64 v24, v28, v26, s4
	s_delay_alu instid0(VALU_DEP_3) | instskip(NEXT) | instid1(VALU_DEP_3)
	v_cndmask_b32_e64 v26, v31, v27, s7
	v_bfe_u32 v27, v1, 29, 1
	s_delay_alu instid0(VALU_DEP_3) | instskip(NEXT) | instid1(VALU_DEP_3)
	v_cndmask_b32_e64 v22, v22, v24, s5
	v_alignbit_b32 v24, v1, v26, 30
	s_delay_alu instid0(VALU_DEP_3) | instskip(NEXT) | instid1(VALU_DEP_3)
	v_sub_nc_u32_e32 v28, 0, v27
	v_cndmask_b32_e64 v22, v29, v22, s6
	s_delay_alu instid0(VALU_DEP_2) | instskip(NEXT) | instid1(VALU_DEP_2)
	v_xor_b32_e32 v29, v24, v28
	v_alignbit_b32 v25, v23, v22, v25
	v_cmp_ne_u32_e64 s4, v24, v28
	s_delay_alu instid0(VALU_DEP_3) | instskip(NEXT) | instid1(VALU_DEP_3)
	v_clz_i32_u32_e32 v30, v29
	v_cndmask_b32_e64 v23, v25, v23, s7
	s_delay_alu instid0(VALU_DEP_2) | instskip(NEXT) | instid1(VALU_DEP_2)
	v_add_nc_u32_e32 v25, 1, v30
	v_alignbit_b32 v26, v26, v23, 30
	v_alignbit_b32 v22, v23, v22, 30
	s_delay_alu instid0(VALU_DEP_3) | instskip(NEXT) | instid1(VALU_DEP_3)
	v_cndmask_b32_e64 v24, 33, v25, s4
	v_xor_b32_e32 v23, v26, v28
	s_delay_alu instid0(VALU_DEP_3) | instskip(NEXT) | instid1(VALU_DEP_3)
	v_xor_b32_e32 v22, v22, v28
	v_sub_nc_u32_e32 v25, 32, v24
	s_delay_alu instid0(VALU_DEP_1) | instskip(NEXT) | instid1(VALU_DEP_3)
	v_alignbit_b32 v26, v29, v23, v25
	v_alignbit_b32 v22, v23, v22, v25
	v_lshrrev_b32_e32 v23, 29, v1
	v_lshrrev_b32_e32 v1, 30, v1
	s_delay_alu instid0(VALU_DEP_3) | instskip(NEXT) | instid1(VALU_DEP_3)
	v_alignbit_b32 v25, v26, v22, 9
	v_lshlrev_b32_e32 v23, 31, v23
	v_alignbit_b32 v26, v24, v26, 9
	s_delay_alu instid0(VALU_DEP_3) | instskip(NEXT) | instid1(VALU_DEP_2)
	v_clz_i32_u32_e32 v28, v25
	v_or_b32_e32 v26, v26, v23
	v_or_b32_e32 v23, 0x33800000, v23
	s_delay_alu instid0(VALU_DEP_3) | instskip(NEXT) | instid1(VALU_DEP_3)
	v_min_u32_e32 v28, 32, v28
	v_xor_b32_e32 v26, 1.0, v26
	s_delay_alu instid0(VALU_DEP_2) | instskip(SKIP_1) | instid1(VALU_DEP_3)
	v_sub_nc_u32_e32 v29, 31, v28
	v_add_lshl_u32 v24, v28, v24, 23
	v_mul_f32_e32 v28, 0x3fc90fda, v26
	s_delay_alu instid0(VALU_DEP_3) | instskip(NEXT) | instid1(VALU_DEP_3)
	v_alignbit_b32 v22, v25, v22, v29
	v_sub_nc_u32_e32 v23, v23, v24
	s_delay_alu instid0(VALU_DEP_3) | instskip(NEXT) | instid1(VALU_DEP_3)
	v_fma_f32 v24, 0x3fc90fda, v26, -v28
	v_lshrrev_b32_e32 v22, 9, v22
	s_delay_alu instid0(VALU_DEP_2) | instskip(NEXT) | instid1(VALU_DEP_2)
	v_fmac_f32_e32 v24, 0x33a22168, v26
	v_or_b32_e32 v22, v23, v22
	s_delay_alu instid0(VALU_DEP_1) | instskip(NEXT) | instid1(VALU_DEP_1)
	v_fmac_f32_e32 v24, 0x3fc90fda, v22
	v_add_f32_e32 v22, v28, v24
	v_add_nc_u32_e32 v24, v27, v1
                                        ; implicit-def: $vgpr1
	s_and_not1_saveexec_b32 s4, s36
	s_cbranch_execnz .LBB351_47
	s_branch .LBB351_48
.LBB351_46:                             ;   in Loop: Header=BB351_7 Depth=2
	s_and_not1_saveexec_b32 s4, s36
.LBB351_47:                             ;   in Loop: Header=BB351_7 Depth=2
	v_fma_f32 v22, 0xbfc90fda, v1, |v4|
	v_cvt_i32_f32_e32 v24, v1
	s_delay_alu instid0(VALU_DEP_2) | instskip(NEXT) | instid1(VALU_DEP_1)
	v_fmac_f32_e32 v22, 0xb3a22168, v1
	v_fmac_f32_e32 v22, 0xa7c234c4, v1
.LBB351_48:                             ;   in Loop: Header=BB351_7 Depth=2
	s_or_b32 exec_lo, exec_lo, s4
	v_and_b32_e32 v23, 0x7fffffff, v8
	v_cmp_ngt_f32_e64 s36, 0x48000000, |v8|
                                        ; implicit-def: $vgpr26
                                        ; implicit-def: $vgpr25
	s_delay_alu instid0(VALU_DEP_2) | instskip(SKIP_1) | instid1(VALU_DEP_2)
	v_lshrrev_b32_e32 v1, 23, v23
	v_and_or_b32 v27, v23, s14, 0x800000
	v_add_nc_u32_e32 v28, 0xffffff88, v1
	s_delay_alu instid0(VALU_DEP_4) | instskip(NEXT) | instid1(SALU_CYCLE_1)
	s_and_saveexec_b32 s4, s36
	s_xor_b32 s37, exec_lo, s4
	s_cbranch_execz .LBB351_50
; %bb.49:                               ;   in Loop: Header=BB351_7 Depth=2
	v_mad_u64_u32 v[25:26], null, 0xfe5163ab, v27, 0
	v_cmp_lt_u32_e64 s4, 63, v28
	s_delay_alu instid0(VALU_DEP_2) | instskip(NEXT) | instid1(VALU_DEP_2)
	v_mov_b32_e32 v1, v26
	v_cndmask_b32_e64 v26, 0, 0xffffffc0, s4
	s_delay_alu instid0(VALU_DEP_1) | instskip(NEXT) | instid1(VALU_DEP_1)
	v_add_nc_u32_e32 v26, v26, v28
	v_cmp_lt_u32_e64 s5, 31, v26
	s_delay_alu instid0(VALU_DEP_1) | instskip(NEXT) | instid1(VALU_DEP_1)
	v_cndmask_b32_e64 v35, 0, 0xffffffe0, s5
	v_add_nc_u32_e32 v26, v35, v26
	v_mad_u64_u32 v[29:30], null, 0x3c439041, v27, v[1:2]
	s_delay_alu instid0(VALU_DEP_2) | instskip(NEXT) | instid1(VALU_DEP_2)
	v_cmp_lt_u32_e64 s6, 31, v26
	v_mov_b32_e32 v1, v30
	s_delay_alu instid0(VALU_DEP_1) | instskip(NEXT) | instid1(VALU_DEP_1)
	v_mad_u64_u32 v[30:31], null, 0xdb629599, v27, v[1:2]
	v_mov_b32_e32 v1, v31
	s_delay_alu instid0(VALU_DEP_2) | instskip(NEXT) | instid1(VALU_DEP_2)
	v_cndmask_b32_e64 v25, v30, v25, s4
	v_mad_u64_u32 v[31:32], null, 0xf534ddc0, v27, v[1:2]
	s_delay_alu instid0(VALU_DEP_1) | instskip(NEXT) | instid1(VALU_DEP_1)
	v_mov_b32_e32 v1, v32
	v_mad_u64_u32 v[32:33], null, 0xfc2757d1, v27, v[1:2]
	s_delay_alu instid0(VALU_DEP_1) | instskip(NEXT) | instid1(VALU_DEP_1)
	v_mov_b32_e32 v1, v33
	v_mad_u64_u32 v[33:34], null, 0x4e441529, v27, v[1:2]
	s_delay_alu instid0(VALU_DEP_1) | instskip(NEXT) | instid1(VALU_DEP_2)
	v_mov_b32_e32 v1, v34
	v_cndmask_b32_e64 v36, v33, v31, s4
	s_delay_alu instid0(VALU_DEP_2) | instskip(SKIP_1) | instid1(VALU_DEP_1)
	v_mad_u64_u32 v[34:35], null, 0xa2f9836e, v27, v[1:2]
	v_cndmask_b32_e64 v1, 0, 0xffffffe0, s6
	v_add_nc_u32_e32 v1, v1, v26
	s_delay_alu instid0(VALU_DEP_3) | instskip(NEXT) | instid1(VALU_DEP_4)
	v_cndmask_b32_e64 v34, v34, v32, s4
	v_cndmask_b32_e64 v33, v35, v33, s4
	;; [unrolled: 1-line block ×4, first 2 shown]
	v_cmp_eq_u32_e64 s7, 0, v1
	v_cndmask_b32_e64 v29, v34, v36, s5
	v_cndmask_b32_e64 v31, v33, v34, s5
	;; [unrolled: 1-line block ×3, first 2 shown]
	v_sub_nc_u32_e32 v34, 32, v1
	v_cndmask_b32_e64 v32, v32, v26, s5
	v_cndmask_b32_e64 v25, v26, v25, s5
	v_cndmask_b32_e64 v31, v31, v29, s6
	v_cndmask_b32_e64 v29, v29, v33, s6
	s_delay_alu instid0(VALU_DEP_4) | instskip(NEXT) | instid1(VALU_DEP_4)
	v_cndmask_b32_e64 v33, v33, v32, s6
	v_cndmask_b32_e64 v25, v32, v25, s6
	s_delay_alu instid0(VALU_DEP_3) | instskip(NEXT) | instid1(VALU_DEP_3)
	v_alignbit_b32 v35, v31, v29, v34
	v_alignbit_b32 v36, v29, v33, v34
	s_delay_alu instid0(VALU_DEP_3) | instskip(NEXT) | instid1(VALU_DEP_3)
	v_alignbit_b32 v34, v33, v25, v34
	v_cndmask_b32_e64 v1, v35, v31, s7
	s_delay_alu instid0(VALU_DEP_3) | instskip(NEXT) | instid1(VALU_DEP_3)
	v_cndmask_b32_e64 v29, v36, v29, s7
	v_cndmask_b32_e64 v33, v34, v33, s7
	s_delay_alu instid0(VALU_DEP_3) | instskip(NEXT) | instid1(VALU_DEP_3)
	v_bfe_u32 v30, v1, 29, 1
	v_alignbit_b32 v26, v1, v29, 30
	s_delay_alu instid0(VALU_DEP_3) | instskip(SKIP_1) | instid1(VALU_DEP_4)
	v_alignbit_b32 v29, v29, v33, 30
	v_alignbit_b32 v25, v33, v25, 30
	v_sub_nc_u32_e32 v31, 0, v30
	s_delay_alu instid0(VALU_DEP_1) | instskip(SKIP_3) | instid1(VALU_DEP_4)
	v_xor_b32_e32 v32, v26, v31
	v_cmp_ne_u32_e64 s4, v26, v31
	v_xor_b32_e32 v29, v29, v31
	v_xor_b32_e32 v25, v25, v31
	v_clz_i32_u32_e32 v35, v32
	s_delay_alu instid0(VALU_DEP_1) | instskip(NEXT) | instid1(VALU_DEP_1)
	v_add_nc_u32_e32 v34, 1, v35
	v_cndmask_b32_e64 v26, 33, v34, s4
	s_delay_alu instid0(VALU_DEP_1) | instskip(NEXT) | instid1(VALU_DEP_1)
	v_sub_nc_u32_e32 v33, 32, v26
	v_alignbit_b32 v31, v32, v29, v33
	v_alignbit_b32 v25, v29, v25, v33
	v_lshrrev_b32_e32 v29, 29, v1
	v_lshrrev_b32_e32 v1, 30, v1
	s_delay_alu instid0(VALU_DEP_3) | instskip(NEXT) | instid1(VALU_DEP_3)
	v_alignbit_b32 v32, v31, v25, 9
	v_lshlrev_b32_e32 v29, 31, v29
	v_alignbit_b32 v31, v26, v31, 9
	s_delay_alu instid0(VALU_DEP_3) | instskip(NEXT) | instid1(VALU_DEP_2)
	v_clz_i32_u32_e32 v33, v32
	v_or_b32_e32 v31, v31, v29
	v_or_b32_e32 v29, 0x33800000, v29
	s_delay_alu instid0(VALU_DEP_3) | instskip(NEXT) | instid1(VALU_DEP_3)
	v_min_u32_e32 v33, 32, v33
	v_xor_b32_e32 v31, 1.0, v31
	s_delay_alu instid0(VALU_DEP_2) | instskip(SKIP_1) | instid1(VALU_DEP_3)
	v_sub_nc_u32_e32 v34, 31, v33
	v_add_lshl_u32 v26, v33, v26, 23
	v_mul_f32_e32 v33, 0x3fc90fda, v31
	s_delay_alu instid0(VALU_DEP_3) | instskip(NEXT) | instid1(VALU_DEP_3)
	v_alignbit_b32 v25, v32, v25, v34
	v_sub_nc_u32_e32 v26, v29, v26
	s_delay_alu instid0(VALU_DEP_3) | instskip(NEXT) | instid1(VALU_DEP_3)
	v_fma_f32 v29, 0x3fc90fda, v31, -v33
	v_lshrrev_b32_e32 v25, 9, v25
	s_delay_alu instid0(VALU_DEP_2) | instskip(NEXT) | instid1(VALU_DEP_2)
	v_fmac_f32_e32 v29, 0x33a22168, v31
	v_or_b32_e32 v25, v26, v25
	v_add_nc_u32_e32 v26, v30, v1
	s_delay_alu instid0(VALU_DEP_2) | instskip(NEXT) | instid1(VALU_DEP_1)
	v_fmac_f32_e32 v29, 0x3fc90fda, v25
	v_add_f32_e32 v25, v33, v29
.LBB351_50:                             ;   in Loop: Header=BB351_7 Depth=2
	s_or_saveexec_b32 s4, s37
	v_mul_f32_e64 v1, 0x3f22f983, |v8|
	s_delay_alu instid0(VALU_DEP_1)
	v_rndne_f32_e32 v30, v1
	s_xor_b32 exec_lo, exec_lo, s4
; %bb.51:                               ;   in Loop: Header=BB351_7 Depth=2
	s_delay_alu instid0(VALU_DEP_1) | instskip(SKIP_1) | instid1(VALU_DEP_2)
	v_fma_f32 v25, 0xbfc90fda, v30, |v8|
	v_cvt_i32_f32_e32 v26, v30
	v_fmac_f32_e32 v25, 0xb3a22168, v30
	s_delay_alu instid0(VALU_DEP_1)
	v_fmac_f32_e32 v25, 0xa7c234c4, v30
; %bb.52:                               ;   in Loop: Header=BB351_7 Depth=2
	s_or_b32 exec_lo, exec_lo, s4
                                        ; implicit-def: $vgpr29
                                        ; implicit-def: $vgpr1
	s_and_saveexec_b32 s4, s36
	s_delay_alu instid0(SALU_CYCLE_1)
	s_xor_b32 s36, exec_lo, s4
	s_cbranch_execz .LBB351_54
; %bb.53:                               ;   in Loop: Header=BB351_7 Depth=2
	v_mad_u64_u32 v[29:30], null, 0xfe5163ab, v27, 0
	v_cmp_lt_u32_e64 s4, 63, v28
	s_delay_alu instid0(VALU_DEP_1) | instskip(NEXT) | instid1(VALU_DEP_1)
	v_cndmask_b32_e64 v35, 0, 0xffffffc0, s4
	v_dual_mov_b32 v1, v30 :: v_dual_add_nc_u32 v28, v35, v28
	s_delay_alu instid0(VALU_DEP_1) | instskip(NEXT) | instid1(VALU_DEP_2)
	v_mad_u64_u32 v[30:31], null, 0x3c439041, v27, v[1:2]
	v_cmp_lt_u32_e64 s5, 31, v28
	s_delay_alu instid0(VALU_DEP_1) | instskip(NEXT) | instid1(VALU_DEP_1)
	v_cndmask_b32_e64 v36, 0, 0xffffffe0, s5
	v_dual_mov_b32 v1, v31 :: v_dual_add_nc_u32 v28, v36, v28
	s_delay_alu instid0(VALU_DEP_1) | instskip(NEXT) | instid1(VALU_DEP_2)
	v_mad_u64_u32 v[31:32], null, 0xdb629599, v27, v[1:2]
	v_cmp_lt_u32_e64 s6, 31, v28
	s_delay_alu instid0(VALU_DEP_2) | instskip(NEXT) | instid1(VALU_DEP_3)
	v_mov_b32_e32 v1, v32
	v_cndmask_b32_e64 v29, v31, v29, s4
	s_delay_alu instid0(VALU_DEP_2) | instskip(NEXT) | instid1(VALU_DEP_1)
	v_mad_u64_u32 v[32:33], null, 0xf534ddc0, v27, v[1:2]
	v_mov_b32_e32 v1, v33
	s_delay_alu instid0(VALU_DEP_1) | instskip(NEXT) | instid1(VALU_DEP_1)
	v_mad_u64_u32 v[33:34], null, 0xfc2757d1, v27, v[1:2]
	v_mov_b32_e32 v1, v34
	s_delay_alu instid0(VALU_DEP_1) | instskip(NEXT) | instid1(VALU_DEP_1)
	v_mad_u64_u32 v[34:35], null, 0x4e441529, v27, v[1:2]
	v_mov_b32_e32 v1, v35
	s_delay_alu instid0(VALU_DEP_1) | instskip(SKIP_1) | instid1(VALU_DEP_4)
	v_mad_u64_u32 v[35:36], null, 0xa2f9836e, v27, v[1:2]
	v_cndmask_b32_e64 v1, 0, 0xffffffe0, s6
	v_cndmask_b32_e64 v27, v34, v32, s4
	s_delay_alu instid0(VALU_DEP_2) | instskip(NEXT) | instid1(VALU_DEP_4)
	v_add_nc_u32_e32 v1, v1, v28
	v_cndmask_b32_e64 v35, v35, v33, s4
	v_cndmask_b32_e64 v34, v36, v34, s4
	v_cndmask_b32_e64 v33, v33, v31, s4
	v_cndmask_b32_e64 v28, v32, v30, s4
	v_cmp_eq_u32_e64 s7, 0, v1
	v_cndmask_b32_e64 v30, v35, v27, s5
	v_cndmask_b32_e64 v32, v34, v35, s5
	;; [unrolled: 1-line block ×3, first 2 shown]
	v_sub_nc_u32_e32 v34, 32, v1
	v_cndmask_b32_e64 v33, v33, v28, s5
	v_cndmask_b32_e64 v28, v28, v29, s5
	;; [unrolled: 1-line block ×4, first 2 shown]
	s_delay_alu instid0(VALU_DEP_4) | instskip(NEXT) | instid1(VALU_DEP_4)
	v_cndmask_b32_e64 v27, v27, v33, s6
	v_cndmask_b32_e64 v28, v33, v28, s6
	s_delay_alu instid0(VALU_DEP_3) | instskip(NEXT) | instid1(VALU_DEP_3)
	v_alignbit_b32 v35, v32, v30, v34
	v_alignbit_b32 v36, v30, v27, v34
	s_delay_alu instid0(VALU_DEP_3) | instskip(NEXT) | instid1(VALU_DEP_3)
	v_alignbit_b32 v34, v27, v28, v34
	v_cndmask_b32_e64 v1, v35, v32, s7
	s_delay_alu instid0(VALU_DEP_3) | instskip(NEXT) | instid1(VALU_DEP_3)
	v_cndmask_b32_e64 v30, v36, v30, s7
	v_cndmask_b32_e64 v27, v34, v27, s7
	s_delay_alu instid0(VALU_DEP_3) | instskip(NEXT) | instid1(VALU_DEP_3)
	v_bfe_u32 v31, v1, 29, 1
	v_alignbit_b32 v29, v1, v30, 30
	s_delay_alu instid0(VALU_DEP_3) | instskip(SKIP_1) | instid1(VALU_DEP_4)
	v_alignbit_b32 v30, v30, v27, 30
	v_alignbit_b32 v27, v27, v28, 30
	v_sub_nc_u32_e32 v32, 0, v31
	s_delay_alu instid0(VALU_DEP_1) | instskip(SKIP_3) | instid1(VALU_DEP_4)
	v_xor_b32_e32 v33, v29, v32
	v_cmp_ne_u32_e64 s4, v29, v32
	v_xor_b32_e32 v28, v30, v32
	v_xor_b32_e32 v27, v27, v32
	v_clz_i32_u32_e32 v35, v33
	s_delay_alu instid0(VALU_DEP_1) | instskip(NEXT) | instid1(VALU_DEP_1)
	v_add_nc_u32_e32 v34, 1, v35
	v_cndmask_b32_e64 v29, 33, v34, s4
	s_delay_alu instid0(VALU_DEP_1) | instskip(NEXT) | instid1(VALU_DEP_1)
	v_sub_nc_u32_e32 v30, 32, v29
	v_alignbit_b32 v32, v33, v28, v30
	v_alignbit_b32 v27, v28, v27, v30
	v_lshrrev_b32_e32 v28, 29, v1
	s_delay_alu instid0(VALU_DEP_2) | instskip(NEXT) | instid1(VALU_DEP_2)
	v_alignbit_b32 v30, v32, v27, 9
	v_lshlrev_b32_e32 v28, 31, v28
	v_alignbit_b32 v32, v29, v32, 9
	s_delay_alu instid0(VALU_DEP_3) | instskip(NEXT) | instid1(VALU_DEP_2)
	v_clz_i32_u32_e32 v33, v30
	v_or_b32_e32 v32, v32, v28
	v_or_b32_e32 v28, 0x33800000, v28
	s_delay_alu instid0(VALU_DEP_3) | instskip(NEXT) | instid1(VALU_DEP_3)
	v_min_u32_e32 v33, 32, v33
	v_xor_b32_e32 v32, 1.0, v32
	s_delay_alu instid0(VALU_DEP_2) | instskip(SKIP_1) | instid1(VALU_DEP_3)
	v_sub_nc_u32_e32 v34, 31, v33
	v_add_lshl_u32 v29, v33, v29, 23
	v_mul_f32_e32 v33, 0x3fc90fda, v32
	s_delay_alu instid0(VALU_DEP_3) | instskip(NEXT) | instid1(VALU_DEP_3)
	v_alignbit_b32 v27, v30, v27, v34
	v_sub_nc_u32_e32 v28, v28, v29
	s_delay_alu instid0(VALU_DEP_3) | instskip(NEXT) | instid1(VALU_DEP_3)
	v_fma_f32 v29, 0x3fc90fda, v32, -v33
                                        ; implicit-def: $vgpr30
	v_lshrrev_b32_e32 v27, 9, v27
	s_delay_alu instid0(VALU_DEP_2) | instskip(NEXT) | instid1(VALU_DEP_2)
	v_fmac_f32_e32 v29, 0x33a22168, v32
	v_or_b32_e32 v27, v28, v27
	s_delay_alu instid0(VALU_DEP_1) | instskip(SKIP_1) | instid1(VALU_DEP_2)
	v_fmac_f32_e32 v29, 0x3fc90fda, v27
	v_lshrrev_b32_e32 v27, 30, v1
	v_add_f32_e32 v1, v33, v29
	s_delay_alu instid0(VALU_DEP_2)
	v_add_nc_u32_e32 v29, v31, v27
	s_and_not1_saveexec_b32 s4, s36
	s_cbranch_execnz .LBB351_55
	s_branch .LBB351_56
.LBB351_54:                             ;   in Loop: Header=BB351_7 Depth=2
	s_and_not1_saveexec_b32 s4, s36
.LBB351_55:                             ;   in Loop: Header=BB351_7 Depth=2
	v_fma_f32 v1, 0xbfc90fda, v30, |v8|
	v_cvt_i32_f32_e32 v29, v30
	s_delay_alu instid0(VALU_DEP_2) | instskip(NEXT) | instid1(VALU_DEP_1)
	v_fmac_f32_e32 v1, 0xb3a22168, v30
	v_fmac_f32_e32 v1, 0xa7c234c4, v30
.LBB351_56:                             ;   in Loop: Header=BB351_7 Depth=2
	s_or_b32 exec_lo, exec_lo, s4
	v_dual_mul_f32 v27, v9, v9 :: v_dual_lshlrev_b32 v28, 30, v10
	v_mul_f32_e32 v30, v22, v22
	v_xor_b32_e32 v6, v7, v6
	v_cmp_class_f32_e64 s5, v8, 0x1f8
	s_delay_alu instid0(VALU_DEP_4) | instskip(NEXT) | instid1(VALU_DEP_4)
	v_fmaak_f32 v31, s24, v27, 0x3c0881c4
	v_dual_fmaak_f32 v32, s23, v27, 0xbab64f3b :: v_dual_fmaak_f32 v33, s23, v30, 0xbab64f3b
	v_and_b32_e32 v10, 1, v10
	v_dual_fmaak_f32 v7, s24, v30, 0x3c0881c4 :: v_dual_and_b32 v34, 1, v24
	s_delay_alu instid0(VALU_DEP_4) | instskip(NEXT) | instid1(VALU_DEP_4)
	v_fmaak_f32 v31, v27, v31, 0xbe2aaa9d
	v_dual_fmaak_f32 v32, v27, v32, 0x3d2aabf7 :: v_dual_fmaak_f32 v33, v30, v33, 0x3d2aabf7
	s_delay_alu instid0(VALU_DEP_3) | instskip(NEXT) | instid1(VALU_DEP_3)
	v_dual_fmaak_f32 v7, v30, v7, 0xbe2aaa9d :: v_dual_lshlrev_b32 v24, 30, v24
	v_dual_mul_f32 v31, v27, v31 :: v_dual_and_b32 v28, 0x80000000, v28
	s_delay_alu instid0(VALU_DEP_2) | instskip(SKIP_2) | instid1(VALU_DEP_4)
	v_dual_fmaak_f32 v32, v27, v32, 0xbf000004 :: v_dual_mul_f32 v7, v30, v7
	v_cmp_eq_u32_e64 s4, 0, v10
	v_mul_f32_e32 v10, v25, v25
	v_fmac_f32_e32 v9, v9, v31
	s_delay_alu instid0(VALU_DEP_4)
	v_fma_f32 v27, v27, v32, 1.0
	v_fmac_f32_e32 v22, v22, v7
	v_xor_b32_e32 v23, v23, v8
	v_lshlrev_b32_e32 v31, 30, v26
	v_and_b32_e32 v26, 1, v26
	v_cndmask_b32_e64 v9, v27, v9, s4
	v_mul_f32_e32 v27, v1, v1
	v_cmp_eq_u32_e64 s4, 0, v34
	s_delay_alu instid0(VALU_DEP_3) | instskip(NEXT) | instid1(VALU_DEP_3)
	v_xor3_b32 v6, v6, v28, v9
	v_fmaak_f32 v28, s24, v27, 0x3c0881c4
	v_and_b32_e32 v9, 0x80000000, v24
	s_delay_alu instid0(VALU_DEP_2) | instskip(NEXT) | instid1(VALU_DEP_1)
	v_fmaak_f32 v28, v27, v28, 0xbe2aaa9d
	v_dual_fmaak_f32 v33, v30, v33, 0xbf000004 :: v_dual_mul_f32 v28, v27, v28
	s_delay_alu instid0(VALU_DEP_1) | instskip(NEXT) | instid1(VALU_DEP_2)
	v_fma_f32 v7, v30, v33, 1.0
	v_dual_fmaak_f32 v24, s23, v10, 0xbab64f3b :: v_dual_fmac_f32 v1, v1, v28
	s_delay_alu instid0(VALU_DEP_2) | instskip(SKIP_1) | instid1(VALU_DEP_3)
	v_cndmask_b32_e64 v7, -v22, v7, s4
	v_fmaak_f32 v22, s24, v10, 0x3c0881c4
	v_fmaak_f32 v24, v10, v24, 0x3d2aabf7
	v_cmp_eq_u32_e64 s4, 0, v26
	s_delay_alu instid0(VALU_DEP_4) | instskip(NEXT) | instid1(VALU_DEP_4)
	v_xor_b32_e32 v7, v9, v7
	v_fmaak_f32 v22, v10, v22, 0xbe2aaa9d
	v_and_b32_e32 v31, 0x80000000, v31
	v_fmaak_f32 v24, v10, v24, 0xbf000004
	s_delay_alu instid0(VALU_DEP_3) | instskip(SKIP_1) | instid1(VALU_DEP_3)
	v_mul_f32_e32 v22, v10, v22
	v_fmaak_f32 v30, s23, v27, 0xbab64f3b
	v_fma_f32 v10, v10, v24, 1.0
	s_delay_alu instid0(VALU_DEP_3) | instskip(NEXT) | instid1(VALU_DEP_3)
	v_dual_fmac_f32 v25, v25, v22 :: v_dual_and_b32 v24, 1, v29
	v_fmaak_f32 v30, v27, v30, 0x3d2aabf7
	s_delay_alu instid0(VALU_DEP_2) | instskip(NEXT) | instid1(VALU_DEP_2)
	v_cndmask_b32_e64 v10, v10, v25, s4
	v_fmaak_f32 v30, v27, v30, 0xbf000004
	s_delay_alu instid0(VALU_DEP_4) | instskip(NEXT) | instid1(VALU_DEP_2)
	v_cmp_eq_u32_e64 s4, 0, v24
	v_fma_f32 v22, v27, v30, 1.0
	v_lshlrev_b32_e32 v27, 30, v29
	s_delay_alu instid0(VALU_DEP_2) | instskip(NEXT) | instid1(VALU_DEP_2)
	v_cndmask_b32_e64 v1, -v1, v22, s4
	v_and_b32_e32 v22, 0x80000000, v27
	v_cmp_class_f32_e64 s4, v4, 0x1f8
	v_xor3_b32 v4, v23, v31, v10
	s_delay_alu instid0(VALU_DEP_3) | instskip(NEXT) | instid1(VALU_DEP_3)
	v_xor_b32_e32 v1, v22, v1
	v_cndmask_b32_e64 v7, 0x7fc00000, v7, s4
	v_cndmask_b32_e64 v6, 0x7fc00000, v6, s4
	s_delay_alu instid0(VALU_DEP_4) | instskip(NEXT) | instid1(VALU_DEP_4)
	v_cndmask_b32_e64 v4, 0x7fc00000, v4, s5
	v_cndmask_b32_e64 v1, 0x7fc00000, v1, s5
	s_delay_alu instid0(VALU_DEP_4) | instskip(SKIP_1) | instid1(VALU_DEP_3)
	v_mul_f32_e32 v8, 0x7f800000, v7
	v_cmp_neq_f32_e64 s4, 0, v7
	v_dual_mul_f32 v10, 0x7f800000, v4 :: v_dual_mul_f32 v9, 0x7f800000, v1
	s_delay_alu instid0(VALU_DEP_2) | instskip(SKIP_2) | instid1(VALU_DEP_2)
	v_cndmask_b32_e64 v7, 0, v8, s4
	v_cmp_neq_f32_e64 s4, 0, v1
	v_mul_f32_e32 v8, 0x7f800000, v6
	v_cndmask_b32_e64 v1, 0, v9, s4
	v_cmp_neq_f32_e64 s4, 0, v6
	s_delay_alu instid0(VALU_DEP_2) | instskip(NEXT) | instid1(VALU_DEP_2)
	v_add_f32_e32 v7, v7, v1
	v_cndmask_b32_e64 v6, 0, v8, s4
	v_cmp_neq_f32_e64 s4, 0, v4
	s_delay_alu instid0(VALU_DEP_3) | instskip(NEXT) | instid1(VALU_DEP_2)
	v_add_f32_e32 v22, -1.0, v7
	v_cndmask_b32_e64 v4, 0, v10, s4
	s_delay_alu instid0(VALU_DEP_1) | instskip(NEXT) | instid1(VALU_DEP_1)
	v_add_f32_e32 v1, v6, v4
	v_max_f32_e64 v8, |v22|, |v1|
	s_delay_alu instid0(VALU_DEP_1) | instskip(SKIP_1) | instid1(VALU_DEP_2)
	v_cvt_f64_f32_e32 v[6:7], v8
	v_cmp_eq_f32_e64 s4, 0x7f800000, v8
	v_frexp_exp_i32_f64_e32 v4, v[6:7]
	s_delay_alu instid0(VALU_DEP_1) | instskip(NEXT) | instid1(VALU_DEP_1)
	v_sub_nc_u32_e32 v6, 0, v4
	v_ldexp_f32 v7, |v1|, v6
	v_ldexp_f32 v6, |v22|, v6
	s_delay_alu instid0(VALU_DEP_2) | instskip(NEXT) | instid1(VALU_DEP_1)
	v_mul_f32_e32 v7, v7, v7
	v_fmac_f32_e32 v7, v6, v6
	s_delay_alu instid0(VALU_DEP_1) | instskip(SKIP_3) | instid1(VALU_DEP_2)
	v_sqrt_f32_e32 v6, v7
	s_waitcnt_depctr 0xfff
	v_ldexp_f32 v6, v6, v4
	v_add_f32_e32 v4, 1.0, v22
	v_cmp_ngt_f32_e64 s5, 0.5, v6
	s_delay_alu instid0(VALU_DEP_2) | instskip(NEXT) | instid1(VALU_DEP_2)
	v_max_f32_e64 v6, |v4|, |v1|
	s_or_b32 s4, s4, s5
	s_delay_alu instid0(SALU_CYCLE_1) | instskip(NEXT) | instid1(SALU_CYCLE_1)
	s_and_saveexec_b32 s5, s4
	s_xor_b32 s6, exec_lo, s5
	s_cbranch_execz .LBB351_58
; %bb.57:                               ;   in Loop: Header=BB351_7 Depth=2
	v_cvt_f64_f32_e32 v[7:8], v6
	v_cmp_neq_f32_e64 s4, 0x7f800000, v6
	s_delay_alu instid0(VALU_DEP_2) | instskip(NEXT) | instid1(VALU_DEP_1)
	v_frexp_exp_i32_f64_e32 v7, v[7:8]
	v_sub_nc_u32_e32 v8, 0, v7
	s_delay_alu instid0(VALU_DEP_1) | instskip(SKIP_1) | instid1(VALU_DEP_2)
	v_ldexp_f32 v9, |v1|, v8
	v_ldexp_f32 v8, |v4|, v8
	v_mul_f32_e32 v9, v9, v9
	s_delay_alu instid0(VALU_DEP_1) | instskip(NEXT) | instid1(VALU_DEP_1)
	v_fmac_f32_e32 v9, v8, v8
	v_sqrt_f32_e32 v8, v9
	s_waitcnt_depctr 0xfff
	v_ldexp_f32 v7, v8, v7
	s_delay_alu instid0(VALU_DEP_1) | instskip(NEXT) | instid1(VALU_DEP_1)
	v_cndmask_b32_e64 v7, 0x7f800000, v7, s4
	v_cmp_gt_f32_e64 s4, 0x800000, v7
	s_delay_alu instid0(VALU_DEP_1) | instskip(NEXT) | instid1(VALU_DEP_1)
	v_cndmask_b32_e64 v8, 1.0, 0x4f800000, s4
	v_mul_f32_e32 v7, v7, v8
	s_delay_alu instid0(VALU_DEP_1) | instskip(SKIP_3) | instid1(VALU_DEP_2)
	v_log_f32_e32 v7, v7
	s_waitcnt_depctr 0xfff
	v_mul_f32_e32 v8, 0x3f317217, v7
	v_cmp_gt_f32_e64 s5, 0x7f800000, |v7|
	v_fma_f32 v9, 0x3f317217, v7, -v8
	s_delay_alu instid0(VALU_DEP_1) | instskip(NEXT) | instid1(VALU_DEP_1)
	v_fmac_f32_e32 v9, 0x3377d1cf, v7
	v_add_f32_e32 v8, v8, v9
	s_delay_alu instid0(VALU_DEP_1) | instskip(SKIP_1) | instid1(VALU_DEP_1)
	v_cndmask_b32_e64 v7, v7, v8, s5
	v_cndmask_b32_e64 v8, 0, 0x41b17218, s4
	v_sub_f32_e32 v22, v7, v8
.LBB351_58:                             ;   in Loop: Header=BB351_7 Depth=2
	s_and_not1_saveexec_b32 s5, s6
	s_cbranch_execz .LBB351_62
; %bb.59:                               ;   in Loop: Header=BB351_7 Depth=2
	s_delay_alu instid0(VALU_DEP_1) | instskip(SKIP_1) | instid1(VALU_DEP_1)
	v_add_f32_e32 v7, 2.0, v22
	s_mov_b32 s6, exec_lo
	v_mul_f32_e32 v7, v22, v7
	s_delay_alu instid0(VALU_DEP_1) | instskip(NEXT) | instid1(VALU_DEP_1)
	v_fmac_f32_e32 v7, v1, v1
	v_cmpx_neq_f32_e32 0, v7
	s_cbranch_execz .LBB351_61
; %bb.60:                               ;   in Loop: Header=BB351_7 Depth=2
	v_add_f32_e32 v10, 1.0, v7
	s_delay_alu instid0(VALU_DEP_1) | instskip(NEXT) | instid1(VALU_DEP_1)
	v_cvt_f64_f32_e32 v[8:9], v10
	v_frexp_exp_i32_f64_e32 v8, v[8:9]
	v_frexp_mant_f32_e32 v9, v10
	s_delay_alu instid0(VALU_DEP_1) | instskip(SKIP_1) | instid1(VALU_DEP_1)
	v_cmp_gt_f32_e64 s4, 0x3f2aaaab, v9
	v_add_f32_e32 v9, -1.0, v10
	v_sub_f32_e32 v23, v9, v10
	v_sub_f32_e32 v9, v7, v9
	s_delay_alu instid0(VALU_DEP_4) | instskip(SKIP_1) | instid1(VALU_DEP_2)
	v_subrev_co_ci_u32_e64 v8, s4, 0, v8, s4
	v_cmp_eq_f32_e64 s4, 0x7f800000, v7
	v_sub_nc_u32_e32 v22, 0, v8
	v_cvt_f32_i32_e32 v8, v8
	s_delay_alu instid0(VALU_DEP_2) | instskip(NEXT) | instid1(VALU_DEP_1)
	v_ldexp_f32 v10, v10, v22
	v_dual_add_f32 v23, 1.0, v23 :: v_dual_add_f32 v24, 1.0, v10
	s_delay_alu instid0(VALU_DEP_1) | instskip(NEXT) | instid1(VALU_DEP_2)
	v_add_f32_e32 v9, v9, v23
	v_add_f32_e32 v23, -1.0, v24
	s_delay_alu instid0(VALU_DEP_2) | instskip(NEXT) | instid1(VALU_DEP_2)
	v_ldexp_f32 v9, v9, v22
	v_dual_add_f32 v22, -1.0, v10 :: v_dual_sub_f32 v23, v10, v23
	s_delay_alu instid0(VALU_DEP_1) | instskip(NEXT) | instid1(VALU_DEP_1)
	v_add_f32_e32 v25, 1.0, v22
	v_dual_add_f32 v23, v9, v23 :: v_dual_sub_f32 v10, v10, v25
	s_delay_alu instid0(VALU_DEP_1) | instskip(NEXT) | instid1(VALU_DEP_1)
	v_add_f32_e32 v9, v9, v10
	v_dual_add_f32 v26, v22, v9 :: v_dual_add_f32 v25, v24, v23
	s_delay_alu instid0(VALU_DEP_1) | instskip(NEXT) | instid1(VALU_DEP_2)
	v_sub_f32_e32 v22, v26, v22
	v_rcp_f32_e32 v10, v25
	v_sub_f32_e32 v24, v25, v24
	s_delay_alu instid0(VALU_DEP_1) | instskip(SKIP_2) | instid1(VALU_DEP_1)
	v_sub_f32_e32 v23, v23, v24
	s_waitcnt_depctr 0xfff
	v_mul_f32_e32 v27, v26, v10
	v_mul_f32_e32 v28, v25, v27
	s_delay_alu instid0(VALU_DEP_1) | instskip(NEXT) | instid1(VALU_DEP_1)
	v_fma_f32 v24, v27, v25, -v28
	v_fmac_f32_e32 v24, v27, v23
	s_delay_alu instid0(VALU_DEP_1) | instskip(NEXT) | instid1(VALU_DEP_1)
	v_add_f32_e32 v29, v28, v24
	v_sub_f32_e32 v30, v26, v29
	s_delay_alu instid0(VALU_DEP_1) | instskip(NEXT) | instid1(VALU_DEP_1)
	v_sub_f32_e32 v26, v26, v30
	v_dual_sub_f32 v26, v26, v29 :: v_dual_sub_f32 v9, v9, v22
	v_sub_f32_e32 v22, v29, v28
	s_delay_alu instid0(VALU_DEP_1) | instskip(NEXT) | instid1(VALU_DEP_1)
	v_dual_sub_f32 v22, v22, v24 :: v_dual_add_f32 v9, v9, v26
	v_add_f32_e32 v9, v22, v9
	s_delay_alu instid0(VALU_DEP_1) | instskip(NEXT) | instid1(VALU_DEP_1)
	v_add_f32_e32 v22, v30, v9
	v_sub_f32_e32 v29, v30, v22
	v_mul_f32_e32 v24, v10, v22
	s_delay_alu instid0(VALU_DEP_1) | instskip(NEXT) | instid1(VALU_DEP_3)
	v_mul_f32_e32 v26, v25, v24
	v_add_f32_e32 v9, v9, v29
	s_delay_alu instid0(VALU_DEP_2) | instskip(NEXT) | instid1(VALU_DEP_1)
	v_fma_f32 v25, v24, v25, -v26
	v_fmac_f32_e32 v25, v24, v23
	s_delay_alu instid0(VALU_DEP_1) | instskip(NEXT) | instid1(VALU_DEP_1)
	v_add_f32_e32 v23, v26, v25
	v_sub_f32_e32 v28, v22, v23
	s_delay_alu instid0(VALU_DEP_1) | instskip(NEXT) | instid1(VALU_DEP_1)
	v_sub_f32_e32 v22, v22, v28
	v_sub_f32_e32 v22, v22, v23
	s_delay_alu instid0(VALU_DEP_1) | instskip(SKIP_1) | instid1(VALU_DEP_1)
	v_dual_add_f32 v9, v9, v22 :: v_dual_add_f32 v22, v27, v24
	v_sub_f32_e32 v26, v23, v26
	v_sub_f32_e32 v23, v26, v25
	s_delay_alu instid0(VALU_DEP_1) | instskip(NEXT) | instid1(VALU_DEP_4)
	v_add_f32_e32 v9, v23, v9
	v_sub_f32_e32 v23, v22, v27
	s_delay_alu instid0(VALU_DEP_2) | instskip(NEXT) | instid1(VALU_DEP_2)
	v_add_f32_e32 v9, v28, v9
	v_sub_f32_e32 v23, v24, v23
	s_delay_alu instid0(VALU_DEP_2) | instskip(NEXT) | instid1(VALU_DEP_1)
	v_mul_f32_e32 v9, v10, v9
	v_add_f32_e32 v9, v23, v9
	s_delay_alu instid0(VALU_DEP_1) | instskip(NEXT) | instid1(VALU_DEP_1)
	v_add_f32_e32 v10, v22, v9
	v_mul_f32_e32 v23, v10, v10
	s_delay_alu instid0(VALU_DEP_1) | instskip(SKIP_1) | instid1(VALU_DEP_2)
	v_fmaak_f32 v24, s25, v23, 0x3ecc95a3
	v_mul_f32_e32 v25, v10, v23
	v_fmaak_f32 v23, v23, v24, 0x3f2aaada
	v_ldexp_f32 v24, v10, 1
	s_delay_alu instid0(VALU_DEP_2) | instskip(SKIP_1) | instid1(VALU_DEP_2)
	v_dual_sub_f32 v10, v10, v22 :: v_dual_mul_f32 v23, v25, v23
	v_mul_f32_e32 v25, 0x3f317218, v8
	v_dual_sub_f32 v9, v9, v10 :: v_dual_add_f32 v22, v24, v23
	s_delay_alu instid0(VALU_DEP_1) | instskip(NEXT) | instid1(VALU_DEP_2)
	v_ldexp_f32 v9, v9, 1
	v_sub_f32_e32 v10, v22, v24
	s_delay_alu instid0(VALU_DEP_4) | instskip(NEXT) | instid1(VALU_DEP_2)
	v_fma_f32 v24, 0x3f317218, v8, -v25
	v_sub_f32_e32 v10, v23, v10
	s_delay_alu instid0(VALU_DEP_2) | instskip(NEXT) | instid1(VALU_DEP_2)
	v_fmac_f32_e32 v24, 0xb102e308, v8
	v_add_f32_e32 v8, v9, v10
	s_delay_alu instid0(VALU_DEP_1) | instskip(NEXT) | instid1(VALU_DEP_1)
	v_add_f32_e32 v10, v22, v8
	v_dual_sub_f32 v22, v10, v22 :: v_dual_add_f32 v9, v25, v24
	s_delay_alu instid0(VALU_DEP_1) | instskip(NEXT) | instid1(VALU_DEP_2)
	v_sub_f32_e32 v8, v8, v22
	v_add_f32_e32 v23, v9, v10
	s_delay_alu instid0(VALU_DEP_1) | instskip(NEXT) | instid1(VALU_DEP_1)
	v_sub_f32_e32 v26, v23, v9
	v_dual_sub_f32 v25, v9, v25 :: v_dual_sub_f32 v10, v10, v26
	s_delay_alu instid0(VALU_DEP_1) | instskip(NEXT) | instid1(VALU_DEP_1)
	v_dual_sub_f32 v27, v23, v26 :: v_dual_sub_f32 v24, v24, v25
	v_dual_add_f32 v22, v24, v8 :: v_dual_sub_f32 v9, v9, v27
	s_delay_alu instid0(VALU_DEP_1) | instskip(NEXT) | instid1(VALU_DEP_2)
	v_add_f32_e32 v9, v10, v9
	v_sub_f32_e32 v10, v22, v24
	s_delay_alu instid0(VALU_DEP_1) | instskip(SKIP_1) | instid1(VALU_DEP_1)
	v_dual_add_f32 v9, v22, v9 :: v_dual_sub_f32 v8, v8, v10
	v_sub_f32_e32 v22, v22, v10
	v_dual_sub_f32 v22, v24, v22 :: v_dual_add_f32 v25, v23, v9
	s_delay_alu instid0(VALU_DEP_1) | instskip(NEXT) | instid1(VALU_DEP_2)
	v_add_f32_e32 v8, v8, v22
	v_sub_f32_e32 v10, v25, v23
	s_delay_alu instid0(VALU_DEP_1) | instskip(NEXT) | instid1(VALU_DEP_1)
	v_sub_f32_e32 v9, v9, v10
	v_add_f32_e32 v8, v8, v9
	s_delay_alu instid0(VALU_DEP_1) | instskip(NEXT) | instid1(VALU_DEP_1)
	v_add_f32_e32 v8, v25, v8
	v_cndmask_b32_e64 v8, v8, v7, s4
	v_cmp_ngt_f32_e64 s4, -1.0, v7
	s_delay_alu instid0(VALU_DEP_1) | instskip(SKIP_1) | instid1(VALU_DEP_1)
	v_cndmask_b32_e64 v8, 0x7fc00000, v8, s4
	v_cmp_neq_f32_e64 s4, -1.0, v7
	v_cndmask_b32_e64 v8, 0xff800000, v8, s4
	v_cmp_gt_f32_e64 s4, 0x33800000, |v7|
	s_delay_alu instid0(VALU_DEP_1) | instskip(NEXT) | instid1(VALU_DEP_1)
	v_cndmask_b32_e64 v7, v8, v7, s4
	v_mul_f32_e32 v22, 0.5, v7
.LBB351_61:                             ;   in Loop: Header=BB351_7 Depth=2
	s_or_b32 exec_lo, exec_lo, s6
.LBB351_62:                             ;   in Loop: Header=BB351_7 Depth=2
	s_delay_alu instid0(SALU_CYCLE_1)
	s_or_b32 exec_lo, exec_lo, s5
	v_max_f32_e64 v7, |v1|, |v1|
	v_max_f32_e64 v8, |v4|, |v4|
	v_frexp_mant_f32_e32 v9, v6
	v_frexp_exp_i32_f32_e32 v6, v6
	v_cmp_gt_f32_e64 s4, |v1|, |v4|
	v_cmp_gt_i32_e64 s5, 0, v4
	v_min_f32_e32 v7, v8, v7
	v_rcp_f32_e32 v8, v9
	v_cmp_class_f32_e64 s6, v4, 0x204
	s_delay_alu instid0(VALU_DEP_2)
	v_frexp_mant_f32_e32 v9, v7
	s_waitcnt_depctr 0xfff
	v_mul_f32_e32 v8, v9, v8
	v_frexp_exp_i32_f32_e32 v7, v7
	v_cndmask_b32_e64 v9, 0, 0x40490fdb, s5
	v_cmp_class_f32_e64 s5, v1, 0x204
	s_delay_alu instid0(VALU_DEP_3) | instskip(NEXT) | instid1(VALU_DEP_1)
	v_sub_nc_u32_e32 v6, v7, v6
	v_ldexp_f32 v6, v8, v6
	s_delay_alu instid0(VALU_DEP_1) | instskip(NEXT) | instid1(VALU_DEP_1)
	v_mul_f32_e32 v7, v6, v6
	v_fmaak_f32 v8, s29, v7, 0xbc7a590c
	s_delay_alu instid0(VALU_DEP_1) | instskip(NEXT) | instid1(VALU_DEP_1)
	v_fmaak_f32 v8, v7, v8, 0x3d29fb3f
	v_fmaak_f32 v8, v7, v8, 0xbd97d4d7
	s_delay_alu instid0(VALU_DEP_1) | instskip(NEXT) | instid1(VALU_DEP_1)
	v_fmaak_f32 v8, v7, v8, 0x3dd931b2
	;; [unrolled: 3-line block ×3, first 2 shown]
	v_fmaak_f32 v8, v7, v8, 0xbeaaaa62
	s_delay_alu instid0(VALU_DEP_1) | instskip(NEXT) | instid1(VALU_DEP_1)
	v_mul_f32_e32 v7, v7, v8
	v_fmac_f32_e32 v6, v6, v7
	s_delay_alu instid0(VALU_DEP_1) | instskip(NEXT) | instid1(VALU_DEP_1)
	v_sub_f32_e32 v7, 0x3fc90fdb, v6
	v_cndmask_b32_e64 v6, v6, v7, s4
	v_cmp_gt_f32_e64 s4, 0, v4
	s_delay_alu instid0(VALU_DEP_2) | instskip(NEXT) | instid1(VALU_DEP_2)
	v_sub_f32_e32 v7, 0x40490fdb, v6
	v_cndmask_b32_e64 v8, 0x3f490fdb, v14, s4
	s_delay_alu instid0(VALU_DEP_2) | instskip(SKIP_1) | instid1(VALU_DEP_1)
	v_cndmask_b32_e64 v6, v6, v7, s4
	v_cmp_eq_f32_e64 s4, 0, v1
	v_cndmask_b32_e64 v6, v6, v9, s4
	s_and_b32 s4, s5, s6
	s_delay_alu instid0(VALU_DEP_1) | instid1(SALU_CYCLE_1)
	v_cndmask_b32_e64 v6, v6, v8, s4
	v_cmp_o_f32_e64 s4, v4, v1
	s_delay_alu instid0(VALU_DEP_1) | instskip(NEXT) | instid1(VALU_DEP_1)
	v_cndmask_b32_e64 v4, 0x7fc00000, v6, s4
	v_bfi_b32 v4, 0x7fffffff, v4, v1
.LBB351_63:                             ;   in Loop: Header=BB351_7 Depth=2
	s_or_b32 exec_lo, exec_lo, s35
.LBB351_64:                             ;   in Loop: Header=BB351_7 Depth=2
	s_delay_alu instid0(SALU_CYCLE_1) | instskip(NEXT) | instid1(VALU_DEP_1)
	s_or_b32 exec_lo, exec_lo, s34
	v_dual_mov_b32 v9, v22 :: v_dual_mov_b32 v10, v4
.LBB351_65:                             ;   in Loop: Header=BB351_7 Depth=2
	s_or_b32 exec_lo, exec_lo, s33
	ds_store_b64 v13, v[9:10]
.LBB351_66:                             ;   in Loop: Header=BB351_7 Depth=2
	s_or_b32 exec_lo, exec_lo, s31
	v_mov_b32_e32 v1, 0
	s_mov_b32 s31, 0
	s_waitcnt lgkmcnt(0)
	s_barrier
	buffer_gl0_inv
	s_branch .LBB351_73
.LBB351_67:                             ;   in Loop: Header=BB351_73 Depth=3
	s_or_b32 exec_lo, exec_lo, s6
.LBB351_68:                             ;   in Loop: Header=BB351_73 Depth=3
	s_delay_alu instid0(SALU_CYCLE_1)
	s_or_b32 exec_lo, exec_lo, s5
	v_max_f32_e64 v8, |v1|, |v1|
	v_max_f32_e64 v9, |v6|, |v6|
	v_frexp_mant_f32_e32 v22, v7
	v_frexp_exp_i32_f32_e32 v7, v7
	v_cmp_gt_f32_e64 s4, |v1|, |v6|
	v_cmp_gt_i32_e64 s5, 0, v6
	v_min_f32_e32 v8, v9, v8
	v_rcp_f32_e32 v9, v22
	v_cmp_class_f32_e64 s6, v6, 0x204
	s_delay_alu instid0(VALU_DEP_2)
	v_frexp_mant_f32_e32 v22, v8
	s_waitcnt_depctr 0xfff
	v_mul_f32_e32 v9, v22, v9
	v_frexp_exp_i32_f32_e32 v8, v8
	v_cndmask_b32_e64 v22, 0, 0x40490fdb, s5
	v_cmp_class_f32_e64 s5, v1, 0x204
	s_delay_alu instid0(VALU_DEP_3) | instskip(NEXT) | instid1(VALU_DEP_1)
	v_sub_nc_u32_e32 v7, v8, v7
	v_ldexp_f32 v7, v9, v7
	s_delay_alu instid0(VALU_DEP_1) | instskip(NEXT) | instid1(VALU_DEP_1)
	v_mul_f32_e32 v8, v7, v7
	v_fmaak_f32 v9, s29, v8, 0xbc7a590c
	s_delay_alu instid0(VALU_DEP_1) | instskip(NEXT) | instid1(VALU_DEP_1)
	v_fmaak_f32 v9, v8, v9, 0x3d29fb3f
	v_fmaak_f32 v9, v8, v9, 0xbd97d4d7
	s_delay_alu instid0(VALU_DEP_1) | instskip(NEXT) | instid1(VALU_DEP_1)
	v_fmaak_f32 v9, v8, v9, 0x3dd931b2
	;; [unrolled: 3-line block ×3, first 2 shown]
	v_fmaak_f32 v9, v8, v9, 0xbeaaaa62
	s_delay_alu instid0(VALU_DEP_1) | instskip(NEXT) | instid1(VALU_DEP_1)
	v_mul_f32_e32 v8, v8, v9
	v_fmac_f32_e32 v7, v7, v8
	s_delay_alu instid0(VALU_DEP_1) | instskip(NEXT) | instid1(VALU_DEP_1)
	v_sub_f32_e32 v8, 0x3fc90fdb, v7
	v_cndmask_b32_e64 v7, v7, v8, s4
	v_cmp_gt_f32_e64 s4, 0, v6
	s_delay_alu instid0(VALU_DEP_2) | instskip(NEXT) | instid1(VALU_DEP_2)
	v_sub_f32_e32 v8, 0x40490fdb, v7
	v_cndmask_b32_e64 v9, 0x3f490fdb, v14, s4
	s_delay_alu instid0(VALU_DEP_2) | instskip(SKIP_1) | instid1(VALU_DEP_1)
	v_cndmask_b32_e64 v7, v7, v8, s4
	v_cmp_eq_f32_e64 s4, 0, v1
	v_cndmask_b32_e64 v7, v7, v22, s4
	s_and_b32 s4, s5, s6
	s_delay_alu instid0(VALU_DEP_1) | instid1(SALU_CYCLE_1)
	v_cndmask_b32_e64 v7, v7, v9, s4
	v_cmp_o_f32_e64 s4, v6, v1
	s_delay_alu instid0(VALU_DEP_1) | instskip(NEXT) | instid1(VALU_DEP_1)
	v_cndmask_b32_e64 v6, 0x7fc00000, v7, s4
	v_bfi_b32 v22, 0x7fffffff, v6, v1
.LBB351_69:                             ;   in Loop: Header=BB351_73 Depth=3
	s_or_b32 exec_lo, exec_lo, s36
.LBB351_70:                             ;   in Loop: Header=BB351_73 Depth=3
	s_delay_alu instid0(SALU_CYCLE_1) | instskip(NEXT) | instid1(VALU_DEP_1)
	s_or_b32 exec_lo, exec_lo, s35
	v_dual_mov_b32 v8, v24 :: v_dual_mov_b32 v9, v22
.LBB351_71:                             ;   in Loop: Header=BB351_73 Depth=3
	s_or_b32 exec_lo, exec_lo, s34
	ds_store_b64 v10, v[8:9]
.LBB351_72:                             ;   in Loop: Header=BB351_73 Depth=3
	s_or_b32 exec_lo, exec_lo, s33
	s_delay_alu instid0(VALU_DEP_1)
	v_cmp_eq_u32_e64 s4, s27, v4
	v_mov_b32_e32 v1, v4
	s_waitcnt lgkmcnt(0)
	s_barrier
	buffer_gl0_inv
	s_or_b32 s31, s4, s31
	s_delay_alu instid0(SALU_CYCLE_1)
	s_and_not1_b32 exec_lo, exec_lo, s31
	s_cbranch_execz .LBB351_120
.LBB351_73:                             ;   Parent Loop BB351_4 Depth=1
                                        ;     Parent Loop BB351_7 Depth=2
                                        ; =>    This Inner Loop Header: Depth=3
	v_add_nc_u32_e32 v4, 1, v1
	s_and_saveexec_b32 s4, s3
	s_delay_alu instid0(SALU_CYCLE_1)
	s_xor_b32 s4, exec_lo, s4
; %bb.74:                               ;   in Loop: Header=BB351_73 Depth=3
	v_add_nc_u32_e32 v4, 1, v1
                                        ; implicit-def: $vgpr1
; %bb.75:                               ;   in Loop: Header=BB351_73 Depth=3
	s_and_not1_saveexec_b32 s33, s4
	s_cbranch_execz .LBB351_72
; %bb.76:                               ;   in Loop: Header=BB351_73 Depth=3
	v_lshlrev_b32_e64 v6, v1, 1
	v_lshrrev_b32_e32 v7, v1, v11
	v_bfm_b32 v1, v1, 0
	s_delay_alu instid0(VALU_DEP_2) | instskip(NEXT) | instid1(VALU_DEP_1)
	v_lshl_or_b32 v6, v7, v4, v6
	v_lshl_add_u32 v8, v6, 3, v13
	s_delay_alu instid0(VALU_DEP_1) | instskip(SKIP_2) | instid1(VALU_DEP_1)
	v_add_nc_u32_e32 v6, -8, v8
	ds_load_b64 v[6:7], v6
	v_and_b32_e32 v1, v1, v11
	v_lshl_add_u32 v10, v1, 3, v8
	ds_load_b64 v[8:9], v10
	s_waitcnt lgkmcnt(1)
	v_mov_b32_e32 v22, v7
	v_cmp_o_f32_e64 s4, v6, v6
	v_cmp_o_f32_e64 s5, v7, v7
	v_dual_mov_b32 v24, v6 :: v_dual_mov_b32 v23, v7
	s_delay_alu instid0(VALU_DEP_2) | instskip(NEXT) | instid1(SALU_CYCLE_1)
	s_and_b32 s7, s4, s5
	s_and_saveexec_b32 s34, s7
	s_cbranch_execz .LBB351_78
; %bb.77:                               ;   in Loop: Header=BB351_73 Depth=3
	s_waitcnt lgkmcnt(0)
	v_cmp_u_f32_e64 s4, v8, v8
	v_cmp_u_f32_e64 s5, v9, v9
	v_cmp_lt_f32_e64 s6, v8, v6
	s_delay_alu instid0(VALU_DEP_2)
	s_or_b32 s4, s4, s5
	s_delay_alu instid0(VALU_DEP_1) | instid1(SALU_CYCLE_1)
	s_or_b32 s4, s4, s6
	s_delay_alu instid0(SALU_CYCLE_1) | instskip(SKIP_1) | instid1(VALU_DEP_2)
	v_cndmask_b32_e64 v22, v7, v9, s4
	v_cndmask_b32_e64 v24, v6, v8, s4
	v_mov_b32_e32 v23, v22
.LBB351_78:                             ;   in Loop: Header=BB351_73 Depth=3
	s_or_b32 exec_lo, exec_lo, s34
	s_and_saveexec_b32 s34, s7
	s_cbranch_execz .LBB351_80
; %bb.79:                               ;   in Loop: Header=BB351_73 Depth=3
	s_waitcnt lgkmcnt(0)
	v_cmp_u_f32_e64 s4, v8, v8
	v_cmp_u_f32_e64 s5, v9, v9
	v_cmp_ge_f32_e64 s6, v8, v6
	s_delay_alu instid0(VALU_DEP_2)
	s_or_b32 s4, s4, s5
	s_delay_alu instid0(VALU_DEP_1) | instid1(SALU_CYCLE_1)
	s_or_b32 s4, s4, s6
	s_delay_alu instid0(SALU_CYCLE_1)
	v_cndmask_b32_e64 v7, v7, v9, s4
	v_cndmask_b32_e64 v6, v6, v8, s4
.LBB351_80:                             ;   in Loop: Header=BB351_73 Depth=3
	s_or_b32 exec_lo, exec_lo, s34
	v_cmp_o_f32_e64 s4, v24, v24
	v_cmp_o_f32_e64 s5, v22, v22
	s_waitcnt lgkmcnt(0)
	v_dual_mov_b32 v8, 0x7fc00000 :: v_dual_mov_b32 v9, 0x7fc00000
	s_delay_alu instid0(VALU_DEP_2) | instskip(NEXT) | instid1(SALU_CYCLE_1)
	s_and_b32 s4, s4, s5
	s_and_saveexec_b32 s34, s4
	s_cbranch_execz .LBB351_71
; %bb.81:                               ;   in Loop: Header=BB351_73 Depth=3
	v_cmp_class_f32_e64 s5, v24, 0x1f8
	v_cmp_neq_f32_e64 s4, v6, v24
	s_delay_alu instid0(VALU_DEP_1) | instskip(NEXT) | instid1(SALU_CYCLE_1)
	s_or_b32 s4, s5, s4
	s_and_saveexec_b32 s5, s4
	s_delay_alu instid0(SALU_CYCLE_1)
	s_xor_b32 s35, exec_lo, s5
	s_cbranch_execz .LBB351_97
; %bb.82:                               ;   in Loop: Header=BB351_73 Depth=3
	v_sub_f32_e32 v8, v22, v7
                                        ; implicit-def: $vgpr23
                                        ; implicit-def: $vgpr22
	s_delay_alu instid0(VALU_DEP_1) | instskip(SKIP_1) | instid1(VALU_DEP_2)
	v_and_b32_e32 v9, 0x7fffffff, v8
	v_cmp_ngt_f32_e64 s36, 0x48000000, |v8|
	v_lshrrev_b32_e32 v1, 23, v9
	v_and_or_b32 v25, v9, s14, 0x800000
	s_delay_alu instid0(VALU_DEP_2) | instskip(NEXT) | instid1(VALU_DEP_4)
	v_add_nc_u32_e32 v26, 0xffffff88, v1
	s_and_saveexec_b32 s4, s36
	s_delay_alu instid0(SALU_CYCLE_1)
	s_xor_b32 s37, exec_lo, s4
	s_cbranch_execz .LBB351_84
; %bb.83:                               ;   in Loop: Header=BB351_73 Depth=3
	v_mad_u64_u32 v[22:23], null, 0xfe5163ab, v25, 0
	v_cmp_lt_u32_e64 s4, 63, v26
	s_delay_alu instid0(VALU_DEP_2) | instskip(NEXT) | instid1(VALU_DEP_2)
	v_mov_b32_e32 v1, v23
	v_cndmask_b32_e64 v23, 0, 0xffffffc0, s4
	s_delay_alu instid0(VALU_DEP_2) | instskip(NEXT) | instid1(VALU_DEP_2)
	v_mad_u64_u32 v[27:28], null, 0x3c439041, v25, v[1:2]
	v_add_nc_u32_e32 v23, v23, v26
	s_delay_alu instid0(VALU_DEP_1) | instskip(NEXT) | instid1(VALU_DEP_3)
	v_cmp_lt_u32_e64 s5, 31, v23
	v_mov_b32_e32 v1, v28
	s_delay_alu instid0(VALU_DEP_2) | instskip(NEXT) | instid1(VALU_DEP_2)
	v_cndmask_b32_e64 v33, 0, 0xffffffe0, s5
	v_mad_u64_u32 v[28:29], null, 0xdb629599, v25, v[1:2]
	s_delay_alu instid0(VALU_DEP_2) | instskip(NEXT) | instid1(VALU_DEP_2)
	v_add_nc_u32_e32 v23, v33, v23
	v_mov_b32_e32 v1, v29
	s_delay_alu instid0(VALU_DEP_2) | instskip(NEXT) | instid1(VALU_DEP_4)
	v_cmp_lt_u32_e64 s6, 31, v23
	v_cndmask_b32_e64 v22, v28, v22, s4
	s_delay_alu instid0(VALU_DEP_3) | instskip(NEXT) | instid1(VALU_DEP_1)
	v_mad_u64_u32 v[29:30], null, 0xf534ddc0, v25, v[1:2]
	v_mov_b32_e32 v1, v30
	s_delay_alu instid0(VALU_DEP_1) | instskip(NEXT) | instid1(VALU_DEP_1)
	v_mad_u64_u32 v[30:31], null, 0xfc2757d1, v25, v[1:2]
	v_mov_b32_e32 v1, v31
	s_delay_alu instid0(VALU_DEP_1) | instskip(NEXT) | instid1(VALU_DEP_1)
	v_mad_u64_u32 v[31:32], null, 0x4e441529, v25, v[1:2]
	v_mov_b32_e32 v1, v32
	s_delay_alu instid0(VALU_DEP_2) | instskip(NEXT) | instid1(VALU_DEP_2)
	v_cndmask_b32_e64 v34, v31, v29, s4
	v_mad_u64_u32 v[32:33], null, 0xa2f9836e, v25, v[1:2]
	v_cndmask_b32_e64 v1, 0, 0xffffffe0, s6
	s_delay_alu instid0(VALU_DEP_1) | instskip(NEXT) | instid1(VALU_DEP_3)
	v_add_nc_u32_e32 v1, v1, v23
	v_cndmask_b32_e64 v32, v32, v30, s4
	s_delay_alu instid0(VALU_DEP_4)
	v_cndmask_b32_e64 v31, v33, v31, s4
	v_cndmask_b32_e64 v30, v30, v28, s4
	;; [unrolled: 1-line block ×3, first 2 shown]
	v_cmp_eq_u32_e64 s7, 0, v1
	v_cndmask_b32_e64 v27, v32, v34, s5
	v_cndmask_b32_e64 v29, v31, v32, s5
	;; [unrolled: 1-line block ×3, first 2 shown]
	v_sub_nc_u32_e32 v32, 32, v1
	v_cndmask_b32_e64 v30, v30, v23, s5
	v_cndmask_b32_e64 v22, v23, v22, s5
	;; [unrolled: 1-line block ×4, first 2 shown]
	s_delay_alu instid0(VALU_DEP_4) | instskip(NEXT) | instid1(VALU_DEP_4)
	v_cndmask_b32_e64 v31, v31, v30, s6
	v_cndmask_b32_e64 v22, v30, v22, s6
	s_delay_alu instid0(VALU_DEP_3) | instskip(NEXT) | instid1(VALU_DEP_3)
	v_alignbit_b32 v33, v29, v27, v32
	v_alignbit_b32 v34, v27, v31, v32
	s_delay_alu instid0(VALU_DEP_3) | instskip(NEXT) | instid1(VALU_DEP_3)
	v_alignbit_b32 v32, v31, v22, v32
	v_cndmask_b32_e64 v1, v33, v29, s7
	s_delay_alu instid0(VALU_DEP_3) | instskip(NEXT) | instid1(VALU_DEP_3)
	v_cndmask_b32_e64 v27, v34, v27, s7
	v_cndmask_b32_e64 v31, v32, v31, s7
	s_delay_alu instid0(VALU_DEP_3) | instskip(NEXT) | instid1(VALU_DEP_3)
	v_bfe_u32 v28, v1, 29, 1
	v_alignbit_b32 v23, v1, v27, 30
	s_delay_alu instid0(VALU_DEP_3) | instskip(SKIP_1) | instid1(VALU_DEP_4)
	v_alignbit_b32 v27, v27, v31, 30
	v_alignbit_b32 v22, v31, v22, 30
	v_sub_nc_u32_e32 v29, 0, v28
	s_delay_alu instid0(VALU_DEP_1) | instskip(SKIP_3) | instid1(VALU_DEP_4)
	v_xor_b32_e32 v30, v23, v29
	v_cmp_ne_u32_e64 s4, v23, v29
	v_xor_b32_e32 v27, v27, v29
	v_xor_b32_e32 v22, v22, v29
	v_clz_i32_u32_e32 v33, v30
	s_delay_alu instid0(VALU_DEP_1) | instskip(NEXT) | instid1(VALU_DEP_1)
	v_add_nc_u32_e32 v32, 1, v33
	v_cndmask_b32_e64 v23, 33, v32, s4
	s_delay_alu instid0(VALU_DEP_1) | instskip(NEXT) | instid1(VALU_DEP_1)
	v_sub_nc_u32_e32 v31, 32, v23
	v_alignbit_b32 v29, v30, v27, v31
	v_alignbit_b32 v22, v27, v22, v31
	v_lshrrev_b32_e32 v27, 29, v1
	v_lshrrev_b32_e32 v1, 30, v1
	s_delay_alu instid0(VALU_DEP_3) | instskip(NEXT) | instid1(VALU_DEP_3)
	v_alignbit_b32 v30, v29, v22, 9
	v_lshlrev_b32_e32 v27, 31, v27
	v_alignbit_b32 v29, v23, v29, 9
	s_delay_alu instid0(VALU_DEP_3) | instskip(NEXT) | instid1(VALU_DEP_2)
	v_clz_i32_u32_e32 v31, v30
	v_or_b32_e32 v29, v29, v27
	v_or_b32_e32 v27, 0x33800000, v27
	s_delay_alu instid0(VALU_DEP_3) | instskip(NEXT) | instid1(VALU_DEP_3)
	v_min_u32_e32 v31, 32, v31
	v_xor_b32_e32 v29, 1.0, v29
	s_delay_alu instid0(VALU_DEP_2) | instskip(SKIP_1) | instid1(VALU_DEP_3)
	v_sub_nc_u32_e32 v32, 31, v31
	v_add_lshl_u32 v23, v31, v23, 23
	v_mul_f32_e32 v31, 0x3fc90fda, v29
	s_delay_alu instid0(VALU_DEP_3) | instskip(NEXT) | instid1(VALU_DEP_3)
	v_alignbit_b32 v22, v30, v22, v32
	v_sub_nc_u32_e32 v23, v27, v23
	s_delay_alu instid0(VALU_DEP_3) | instskip(NEXT) | instid1(VALU_DEP_3)
	v_fma_f32 v27, 0x3fc90fda, v29, -v31
	v_lshrrev_b32_e32 v22, 9, v22
	s_delay_alu instid0(VALU_DEP_2) | instskip(NEXT) | instid1(VALU_DEP_2)
	v_fmac_f32_e32 v27, 0x33a22168, v29
	v_or_b32_e32 v22, v23, v22
	v_add_nc_u32_e32 v23, v28, v1
	s_delay_alu instid0(VALU_DEP_2) | instskip(NEXT) | instid1(VALU_DEP_1)
	v_fmac_f32_e32 v27, 0x3fc90fda, v22
	v_add_f32_e32 v22, v31, v27
.LBB351_84:                             ;   in Loop: Header=BB351_73 Depth=3
	s_or_saveexec_b32 s4, s37
	v_mul_f32_e64 v1, 0x3f22f983, |v8|
	s_delay_alu instid0(VALU_DEP_1)
	v_rndne_f32_e32 v28, v1
	s_xor_b32 exec_lo, exec_lo, s4
; %bb.85:                               ;   in Loop: Header=BB351_73 Depth=3
	s_delay_alu instid0(VALU_DEP_1) | instskip(SKIP_1) | instid1(VALU_DEP_2)
	v_fma_f32 v22, 0xbfc90fda, v28, |v8|
	v_cvt_i32_f32_e32 v23, v28
	v_fmac_f32_e32 v22, 0xb3a22168, v28
	s_delay_alu instid0(VALU_DEP_1)
	v_fmac_f32_e32 v22, 0xa7c234c4, v28
; %bb.86:                               ;   in Loop: Header=BB351_73 Depth=3
	s_or_b32 exec_lo, exec_lo, s4
                                        ; implicit-def: $vgpr27
                                        ; implicit-def: $vgpr1
	s_and_saveexec_b32 s4, s36
	s_delay_alu instid0(SALU_CYCLE_1)
	s_xor_b32 s36, exec_lo, s4
	s_cbranch_execz .LBB351_88
; %bb.87:                               ;   in Loop: Header=BB351_73 Depth=3
	v_mad_u64_u32 v[27:28], null, 0xfe5163ab, v25, 0
	v_cmp_lt_u32_e64 s4, 63, v26
	s_delay_alu instid0(VALU_DEP_1) | instskip(NEXT) | instid1(VALU_DEP_1)
	v_cndmask_b32_e64 v33, 0, 0xffffffc0, s4
	v_dual_mov_b32 v1, v28 :: v_dual_add_nc_u32 v26, v33, v26
	s_delay_alu instid0(VALU_DEP_1) | instskip(NEXT) | instid1(VALU_DEP_2)
	v_mad_u64_u32 v[28:29], null, 0x3c439041, v25, v[1:2]
	v_cmp_lt_u32_e64 s5, 31, v26
	s_delay_alu instid0(VALU_DEP_1) | instskip(NEXT) | instid1(VALU_DEP_1)
	v_cndmask_b32_e64 v34, 0, 0xffffffe0, s5
	v_dual_mov_b32 v1, v29 :: v_dual_add_nc_u32 v26, v34, v26
	s_delay_alu instid0(VALU_DEP_1) | instskip(NEXT) | instid1(VALU_DEP_2)
	v_mad_u64_u32 v[29:30], null, 0xdb629599, v25, v[1:2]
	v_cmp_lt_u32_e64 s6, 31, v26
	s_delay_alu instid0(VALU_DEP_2) | instskip(NEXT) | instid1(VALU_DEP_3)
	v_mov_b32_e32 v1, v30
	v_cndmask_b32_e64 v27, v29, v27, s4
	s_delay_alu instid0(VALU_DEP_2) | instskip(NEXT) | instid1(VALU_DEP_1)
	v_mad_u64_u32 v[30:31], null, 0xf534ddc0, v25, v[1:2]
	v_mov_b32_e32 v1, v31
	s_delay_alu instid0(VALU_DEP_1) | instskip(NEXT) | instid1(VALU_DEP_1)
	v_mad_u64_u32 v[31:32], null, 0xfc2757d1, v25, v[1:2]
	v_mov_b32_e32 v1, v32
	s_delay_alu instid0(VALU_DEP_1) | instskip(NEXT) | instid1(VALU_DEP_1)
	v_mad_u64_u32 v[32:33], null, 0x4e441529, v25, v[1:2]
	v_mov_b32_e32 v1, v33
	s_delay_alu instid0(VALU_DEP_1) | instskip(SKIP_1) | instid1(VALU_DEP_4)
	v_mad_u64_u32 v[33:34], null, 0xa2f9836e, v25, v[1:2]
	v_cndmask_b32_e64 v1, 0, 0xffffffe0, s6
	v_cndmask_b32_e64 v25, v32, v30, s4
	s_delay_alu instid0(VALU_DEP_2) | instskip(NEXT) | instid1(VALU_DEP_4)
	v_add_nc_u32_e32 v1, v1, v26
	v_cndmask_b32_e64 v33, v33, v31, s4
	v_cndmask_b32_e64 v32, v34, v32, s4
	;; [unrolled: 1-line block ×4, first 2 shown]
	v_cmp_eq_u32_e64 s7, 0, v1
	v_cndmask_b32_e64 v28, v33, v25, s5
	v_cndmask_b32_e64 v30, v32, v33, s5
	;; [unrolled: 1-line block ×3, first 2 shown]
	v_sub_nc_u32_e32 v32, 32, v1
	v_cndmask_b32_e64 v31, v31, v26, s5
	v_cndmask_b32_e64 v26, v26, v27, s5
	;; [unrolled: 1-line block ×4, first 2 shown]
	s_delay_alu instid0(VALU_DEP_4) | instskip(NEXT) | instid1(VALU_DEP_4)
	v_cndmask_b32_e64 v25, v25, v31, s6
	v_cndmask_b32_e64 v26, v31, v26, s6
	s_delay_alu instid0(VALU_DEP_3) | instskip(NEXT) | instid1(VALU_DEP_3)
	v_alignbit_b32 v33, v30, v28, v32
	v_alignbit_b32 v34, v28, v25, v32
	s_delay_alu instid0(VALU_DEP_3) | instskip(NEXT) | instid1(VALU_DEP_3)
	v_alignbit_b32 v32, v25, v26, v32
	v_cndmask_b32_e64 v1, v33, v30, s7
	s_delay_alu instid0(VALU_DEP_3) | instskip(NEXT) | instid1(VALU_DEP_3)
	v_cndmask_b32_e64 v28, v34, v28, s7
	v_cndmask_b32_e64 v25, v32, v25, s7
	s_delay_alu instid0(VALU_DEP_3) | instskip(NEXT) | instid1(VALU_DEP_3)
	v_bfe_u32 v29, v1, 29, 1
	v_alignbit_b32 v27, v1, v28, 30
	s_delay_alu instid0(VALU_DEP_3) | instskip(SKIP_1) | instid1(VALU_DEP_4)
	v_alignbit_b32 v28, v28, v25, 30
	v_alignbit_b32 v25, v25, v26, 30
	v_sub_nc_u32_e32 v30, 0, v29
	s_delay_alu instid0(VALU_DEP_1) | instskip(SKIP_3) | instid1(VALU_DEP_4)
	v_xor_b32_e32 v31, v27, v30
	v_cmp_ne_u32_e64 s4, v27, v30
	v_xor_b32_e32 v26, v28, v30
	v_xor_b32_e32 v25, v25, v30
	v_clz_i32_u32_e32 v33, v31
	s_delay_alu instid0(VALU_DEP_1) | instskip(NEXT) | instid1(VALU_DEP_1)
	v_add_nc_u32_e32 v32, 1, v33
	v_cndmask_b32_e64 v27, 33, v32, s4
	s_delay_alu instid0(VALU_DEP_1) | instskip(NEXT) | instid1(VALU_DEP_1)
	v_sub_nc_u32_e32 v28, 32, v27
	v_alignbit_b32 v30, v31, v26, v28
	v_alignbit_b32 v25, v26, v25, v28
	v_lshrrev_b32_e32 v26, 29, v1
	s_delay_alu instid0(VALU_DEP_2) | instskip(NEXT) | instid1(VALU_DEP_2)
	v_alignbit_b32 v28, v30, v25, 9
	v_lshlrev_b32_e32 v26, 31, v26
	v_alignbit_b32 v30, v27, v30, 9
	s_delay_alu instid0(VALU_DEP_3) | instskip(NEXT) | instid1(VALU_DEP_2)
	v_clz_i32_u32_e32 v31, v28
	v_or_b32_e32 v30, v30, v26
	v_or_b32_e32 v26, 0x33800000, v26
	s_delay_alu instid0(VALU_DEP_3) | instskip(NEXT) | instid1(VALU_DEP_3)
	v_min_u32_e32 v31, 32, v31
	v_xor_b32_e32 v30, 1.0, v30
	s_delay_alu instid0(VALU_DEP_2) | instskip(SKIP_1) | instid1(VALU_DEP_3)
	v_sub_nc_u32_e32 v32, 31, v31
	v_add_lshl_u32 v27, v31, v27, 23
	v_mul_f32_e32 v31, 0x3fc90fda, v30
	s_delay_alu instid0(VALU_DEP_3) | instskip(NEXT) | instid1(VALU_DEP_3)
	v_alignbit_b32 v25, v28, v25, v32
	v_sub_nc_u32_e32 v26, v26, v27
	s_delay_alu instid0(VALU_DEP_3) | instskip(NEXT) | instid1(VALU_DEP_3)
	v_fma_f32 v27, 0x3fc90fda, v30, -v31
                                        ; implicit-def: $vgpr28
	v_lshrrev_b32_e32 v25, 9, v25
	s_delay_alu instid0(VALU_DEP_2) | instskip(NEXT) | instid1(VALU_DEP_2)
	v_fmac_f32_e32 v27, 0x33a22168, v30
	v_or_b32_e32 v25, v26, v25
	s_delay_alu instid0(VALU_DEP_1) | instskip(SKIP_1) | instid1(VALU_DEP_2)
	v_fmac_f32_e32 v27, 0x3fc90fda, v25
	v_lshrrev_b32_e32 v25, 30, v1
	v_add_f32_e32 v1, v31, v27
	s_delay_alu instid0(VALU_DEP_2)
	v_add_nc_u32_e32 v27, v29, v25
	s_and_not1_saveexec_b32 s4, s36
	s_cbranch_execnz .LBB351_89
	s_branch .LBB351_90
.LBB351_88:                             ;   in Loop: Header=BB351_73 Depth=3
	s_and_not1_saveexec_b32 s4, s36
.LBB351_89:                             ;   in Loop: Header=BB351_73 Depth=3
	v_fma_f32 v1, 0xbfc90fda, v28, |v8|
	v_cvt_i32_f32_e32 v27, v28
	s_delay_alu instid0(VALU_DEP_2) | instskip(NEXT) | instid1(VALU_DEP_1)
	v_fmac_f32_e32 v1, 0xb3a22168, v28
	v_fmac_f32_e32 v1, 0xa7c234c4, v28
.LBB351_90:                             ;   in Loop: Header=BB351_73 Depth=3
	s_or_b32 exec_lo, exec_lo, s4
	v_dual_sub_f32 v24, v24, v6 :: v_dual_lshlrev_b32 v25, 30, v23
	v_dual_mul_f32 v28, v22, v22 :: v_dual_and_b32 v23, 1, v23
	s_delay_alu instid0(VALU_DEP_2) | instskip(SKIP_1) | instid1(VALU_DEP_3)
	v_dual_mul_f32 v29, v1, v1 :: v_dual_mul_f32 v26, 0x3fb8aa3b, v24
	v_and_b32_e32 v30, 1, v27
	v_cmp_eq_u32_e64 s4, 0, v23
	s_delay_alu instid0(VALU_DEP_4) | instskip(NEXT) | instid1(VALU_DEP_4)
	v_fmaak_f32 v33, s23, v28, 0xbab64f3b
	v_dual_fmaak_f32 v34, s24, v28, 0x3c0881c4 :: v_dual_fmaak_f32 v35, s24, v29, 0x3c0881c4
	v_fma_f32 v31, 0x3fb8aa3b, v24, -v26
	v_rndne_f32_e32 v32, v26
	v_lshlrev_b32_e32 v27, 30, v27
	v_xor_b32_e32 v9, v9, v8
	v_cmp_nlt_f32_e64 s5, 0x42b17218, v24
	v_fmac_f32_e32 v31, 0x32a5705f, v24
	v_dual_sub_f32 v26, v26, v32 :: v_dual_and_b32 v25, 0x80000000, v25
	v_cvt_i32_f32_e32 v32, v32
	s_delay_alu instid0(VALU_DEP_2) | instskip(SKIP_1) | instid1(VALU_DEP_2)
	v_dual_add_f32 v26, v26, v31 :: v_dual_fmaak_f32 v31, v28, v33, 0x3d2aabf7
	v_dual_fmaak_f32 v33, v28, v34, 0xbe2aaa9d :: v_dual_fmaak_f32 v34, v29, v35, 0xbe2aaa9d
	v_exp_f32_e32 v26, v26
	s_delay_alu instid0(VALU_DEP_2) | instskip(NEXT) | instid1(VALU_DEP_2)
	v_fmaak_f32 v31, v28, v31, 0xbf000004
	v_dual_mul_f32 v33, v28, v33 :: v_dual_mul_f32 v34, v29, v34
	v_fmaak_f32 v36, s23, v29, 0xbab64f3b
	v_and_b32_e32 v27, 0x80000000, v27
	s_delay_alu instid0(VALU_DEP_4) | instskip(NEXT) | instid1(VALU_DEP_4)
	v_fma_f32 v28, v28, v31, 1.0
	v_dual_fmac_f32 v22, v22, v33 :: v_dual_fmac_f32 v1, v1, v34
	s_delay_alu instid0(VALU_DEP_4) | instskip(NEXT) | instid1(TRANS32_DEP_1)
	v_fmaak_f32 v35, v29, v36, 0x3d2aabf7
	v_ldexp_f32 v26, v26, v32
	s_delay_alu instid0(VALU_DEP_3) | instskip(SKIP_1) | instid1(VALU_DEP_4)
	v_cndmask_b32_e64 v22, -v22, v28, s4
	v_cmp_eq_u32_e64 s4, 0, v30
	v_fmaak_f32 v35, v29, v35, 0xbf000004
	s_delay_alu instid0(VALU_DEP_3) | instskip(NEXT) | instid1(VALU_DEP_2)
	v_xor_b32_e32 v22, v25, v22
	v_fma_f32 v29, v29, v35, 1.0
	s_delay_alu instid0(VALU_DEP_1) | instskip(SKIP_1) | instid1(VALU_DEP_2)
	v_cndmask_b32_e64 v1, v29, v1, s4
	v_cmp_ngt_f32_e64 s4, 0xc2ce8ed0, v24
	v_xor3_b32 v1, v9, v27, v1
	s_delay_alu instid0(VALU_DEP_2) | instskip(SKIP_1) | instid1(VALU_DEP_2)
	v_cndmask_b32_e64 v23, 0, v26, s4
	v_cmp_class_f32_e64 s4, v8, 0x1f8
	v_cndmask_b32_e64 v24, 0x7f800000, v23, s5
	s_delay_alu instid0(VALU_DEP_2) | instskip(SKIP_1) | instid1(VALU_DEP_2)
	v_cndmask_b32_e64 v22, 0x7fc00000, v22, s4
	v_cndmask_b32_e64 v1, 0x7fc00000, v1, s4
	v_mul_f32_e32 v23, v24, v22
	s_delay_alu instid0(VALU_DEP_2) | instskip(NEXT) | instid1(VALU_DEP_1)
	v_mul_f32_e32 v1, v24, v1
	v_max_f32_e64 v25, |v23|, |v1|
	s_delay_alu instid0(VALU_DEP_1) | instskip(SKIP_1) | instid1(VALU_DEP_2)
	v_cvt_f64_f32_e32 v[8:9], v25
	v_cmp_eq_f32_e64 s4, 0x7f800000, v25
	v_frexp_exp_i32_f64_e32 v8, v[8:9]
	s_delay_alu instid0(VALU_DEP_1) | instskip(NEXT) | instid1(VALU_DEP_1)
	v_sub_nc_u32_e32 v9, 0, v8
	v_ldexp_f32 v26, |v1|, v9
	v_ldexp_f32 v9, |v23|, v9
	s_delay_alu instid0(VALU_DEP_2) | instskip(NEXT) | instid1(VALU_DEP_1)
	v_mul_f32_e32 v26, v26, v26
	v_fmac_f32_e32 v26, v9, v9
	s_delay_alu instid0(VALU_DEP_1) | instskip(SKIP_3) | instid1(VALU_DEP_2)
	v_sqrt_f32_e32 v9, v26
	s_waitcnt_depctr 0xfff
	v_ldexp_f32 v9, v9, v8
	v_fma_f32 v8, v24, v22, 1.0
	v_cmp_ngt_f32_e64 s5, 0.5, v9
	s_delay_alu instid0(VALU_DEP_2) | instskip(NEXT) | instid1(VALU_DEP_2)
	v_max_f32_e64 v9, |v8|, |v1|
	s_or_b32 s4, s4, s5
	s_delay_alu instid0(SALU_CYCLE_1) | instskip(NEXT) | instid1(SALU_CYCLE_1)
	s_and_saveexec_b32 s5, s4
	s_xor_b32 s6, exec_lo, s5
	s_cbranch_execz .LBB351_92
; %bb.91:                               ;   in Loop: Header=BB351_73 Depth=3
	v_cvt_f64_f32_e32 v[22:23], v9
	v_cmp_neq_f32_e64 s4, 0x7f800000, v9
	s_delay_alu instid0(VALU_DEP_2) | instskip(NEXT) | instid1(VALU_DEP_1)
	v_frexp_exp_i32_f64_e32 v22, v[22:23]
	v_sub_nc_u32_e32 v23, 0, v22
	s_delay_alu instid0(VALU_DEP_1) | instskip(SKIP_1) | instid1(VALU_DEP_2)
	v_ldexp_f32 v24, |v1|, v23
	v_ldexp_f32 v23, |v8|, v23
	v_mul_f32_e32 v24, v24, v24
	s_delay_alu instid0(VALU_DEP_1) | instskip(NEXT) | instid1(VALU_DEP_1)
	v_fmac_f32_e32 v24, v23, v23
	v_sqrt_f32_e32 v23, v24
	s_waitcnt_depctr 0xfff
	v_ldexp_f32 v22, v23, v22
	s_delay_alu instid0(VALU_DEP_1) | instskip(NEXT) | instid1(VALU_DEP_1)
	v_cndmask_b32_e64 v22, 0x7f800000, v22, s4
	v_cmp_gt_f32_e64 s4, 0x800000, v22
	s_delay_alu instid0(VALU_DEP_1) | instskip(NEXT) | instid1(VALU_DEP_1)
	v_cndmask_b32_e64 v23, 1.0, 0x4f800000, s4
	v_mul_f32_e32 v22, v22, v23
	s_delay_alu instid0(VALU_DEP_1) | instskip(SKIP_3) | instid1(VALU_DEP_2)
	v_log_f32_e32 v22, v22
	s_waitcnt_depctr 0xfff
	v_mul_f32_e32 v23, 0x3f317217, v22
	v_cmp_gt_f32_e64 s5, 0x7f800000, |v22|
	v_fma_f32 v24, 0x3f317217, v22, -v23
	s_delay_alu instid0(VALU_DEP_1) | instskip(NEXT) | instid1(VALU_DEP_1)
	v_fmac_f32_e32 v24, 0x3377d1cf, v22
	v_add_f32_e32 v23, v23, v24
	s_delay_alu instid0(VALU_DEP_1) | instskip(SKIP_1) | instid1(VALU_DEP_1)
	v_cndmask_b32_e64 v22, v22, v23, s5
	v_cndmask_b32_e64 v23, 0, 0x41b17218, s4
	v_sub_f32_e32 v23, v22, v23
.LBB351_92:                             ;   in Loop: Header=BB351_73 Depth=3
	s_and_not1_saveexec_b32 s5, s6
	s_cbranch_execz .LBB351_96
; %bb.93:                               ;   in Loop: Header=BB351_73 Depth=3
	s_delay_alu instid0(VALU_DEP_1) | instskip(SKIP_2) | instid1(VALU_DEP_1)
	v_add_f32_e32 v24, 2.0, v23
	v_mul_f32_e32 v22, v1, v1
	s_mov_b32 s6, exec_lo
	v_fmac_f32_e32 v22, v23, v24
	s_delay_alu instid0(VALU_DEP_1)
	v_cmpx_neq_f32_e32 0, v22
	s_cbranch_execz .LBB351_95
; %bb.94:                               ;   in Loop: Header=BB351_73 Depth=3
	v_add_f32_e32 v25, 1.0, v22
	s_delay_alu instid0(VALU_DEP_1) | instskip(NEXT) | instid1(VALU_DEP_1)
	v_cvt_f64_f32_e32 v[23:24], v25
	v_frexp_exp_i32_f64_e32 v23, v[23:24]
	v_frexp_mant_f32_e32 v24, v25
	s_delay_alu instid0(VALU_DEP_1) | instskip(SKIP_1) | instid1(VALU_DEP_1)
	v_cmp_gt_f32_e64 s4, 0x3f2aaaab, v24
	v_add_f32_e32 v24, -1.0, v25
	v_sub_f32_e32 v27, v24, v25
	s_delay_alu instid0(VALU_DEP_1) | instskip(NEXT) | instid1(VALU_DEP_4)
	v_dual_add_f32 v27, 1.0, v27 :: v_dual_sub_f32 v24, v22, v24
	v_subrev_co_ci_u32_e64 v23, s4, 0, v23, s4
	v_cmp_eq_f32_e64 s4, 0x7f800000, v22
	s_delay_alu instid0(VALU_DEP_2) | instskip(SKIP_1) | instid1(VALU_DEP_2)
	v_sub_nc_u32_e32 v26, 0, v23
	v_cvt_f32_i32_e32 v23, v23
	v_ldexp_f32 v25, v25, v26
	s_delay_alu instid0(VALU_DEP_1) | instskip(NEXT) | instid1(VALU_DEP_1)
	v_add_f32_e32 v28, 1.0, v25
	v_dual_add_f32 v24, v24, v27 :: v_dual_add_f32 v27, -1.0, v28
	s_delay_alu instid0(VALU_DEP_1) | instskip(NEXT) | instid1(VALU_DEP_2)
	v_ldexp_f32 v24, v24, v26
	v_dual_sub_f32 v27, v25, v27 :: v_dual_add_f32 v26, -1.0, v25
	s_delay_alu instid0(VALU_DEP_1) | instskip(NEXT) | instid1(VALU_DEP_2)
	v_add_f32_e32 v27, v24, v27
	v_add_f32_e32 v29, 1.0, v26
	s_delay_alu instid0(VALU_DEP_1) | instskip(NEXT) | instid1(VALU_DEP_1)
	v_sub_f32_e32 v25, v25, v29
	v_add_f32_e32 v24, v24, v25
	s_delay_alu instid0(VALU_DEP_1) | instskip(NEXT) | instid1(VALU_DEP_1)
	v_dual_add_f32 v30, v26, v24 :: v_dual_add_f32 v29, v28, v27
	v_sub_f32_e32 v26, v30, v26
	s_delay_alu instid0(VALU_DEP_2) | instskip(SKIP_1) | instid1(VALU_DEP_1)
	v_rcp_f32_e32 v25, v29
	v_sub_f32_e32 v28, v29, v28
	v_dual_sub_f32 v24, v24, v26 :: v_dual_sub_f32 v27, v27, v28
	s_waitcnt_depctr 0xfff
	v_mul_f32_e32 v31, v30, v25
	s_delay_alu instid0(VALU_DEP_1) | instskip(NEXT) | instid1(VALU_DEP_1)
	v_mul_f32_e32 v32, v29, v31
	v_fma_f32 v28, v31, v29, -v32
	s_delay_alu instid0(VALU_DEP_1) | instskip(NEXT) | instid1(VALU_DEP_1)
	v_fmac_f32_e32 v28, v31, v27
	v_add_f32_e32 v33, v32, v28
	s_delay_alu instid0(VALU_DEP_1) | instskip(SKIP_1) | instid1(VALU_DEP_2)
	v_sub_f32_e32 v34, v30, v33
	v_sub_f32_e32 v26, v33, v32
	;; [unrolled: 1-line block ×3, first 2 shown]
	s_delay_alu instid0(VALU_DEP_2) | instskip(NEXT) | instid1(VALU_DEP_2)
	v_sub_f32_e32 v26, v26, v28
	v_sub_f32_e32 v30, v30, v33
	s_delay_alu instid0(VALU_DEP_1) | instskip(NEXT) | instid1(VALU_DEP_1)
	v_add_f32_e32 v24, v24, v30
	v_add_f32_e32 v24, v26, v24
	s_delay_alu instid0(VALU_DEP_1) | instskip(NEXT) | instid1(VALU_DEP_1)
	v_add_f32_e32 v26, v34, v24
	v_mul_f32_e32 v28, v25, v26
	s_delay_alu instid0(VALU_DEP_1) | instskip(NEXT) | instid1(VALU_DEP_1)
	v_dual_sub_f32 v33, v34, v26 :: v_dual_mul_f32 v30, v29, v28
	v_add_f32_e32 v24, v24, v33
	s_delay_alu instid0(VALU_DEP_2) | instskip(NEXT) | instid1(VALU_DEP_1)
	v_fma_f32 v29, v28, v29, -v30
	v_fmac_f32_e32 v29, v28, v27
	s_delay_alu instid0(VALU_DEP_1) | instskip(NEXT) | instid1(VALU_DEP_1)
	v_add_f32_e32 v27, v30, v29
	v_sub_f32_e32 v32, v26, v27
	v_sub_f32_e32 v30, v27, v30
	s_delay_alu instid0(VALU_DEP_2) | instskip(NEXT) | instid1(VALU_DEP_1)
	v_sub_f32_e32 v26, v26, v32
	v_sub_f32_e32 v26, v26, v27
	s_delay_alu instid0(VALU_DEP_1) | instskip(SKIP_1) | instid1(VALU_DEP_1)
	v_dual_sub_f32 v27, v30, v29 :: v_dual_add_f32 v24, v24, v26
	v_add_f32_e32 v26, v31, v28
	v_dual_add_f32 v24, v27, v24 :: v_dual_sub_f32 v27, v26, v31
	s_delay_alu instid0(VALU_DEP_1) | instskip(NEXT) | instid1(VALU_DEP_1)
	v_add_f32_e32 v24, v32, v24
	v_dual_sub_f32 v27, v28, v27 :: v_dual_mul_f32 v24, v25, v24
	s_delay_alu instid0(VALU_DEP_1) | instskip(NEXT) | instid1(VALU_DEP_1)
	v_add_f32_e32 v24, v27, v24
	v_add_f32_e32 v25, v26, v24
	s_delay_alu instid0(VALU_DEP_1) | instskip(NEXT) | instid1(VALU_DEP_1)
	v_mul_f32_e32 v27, v25, v25
	v_fmaak_f32 v28, s25, v27, 0x3ecc95a3
	v_mul_f32_e32 v29, v25, v27
	s_delay_alu instid0(VALU_DEP_2) | instskip(SKIP_2) | instid1(VALU_DEP_3)
	v_fmaak_f32 v27, v27, v28, 0x3f2aaada
	v_ldexp_f32 v28, v25, 1
	v_sub_f32_e32 v25, v25, v26
	v_mul_f32_e32 v27, v29, v27
	s_delay_alu instid0(VALU_DEP_2) | instskip(NEXT) | instid1(VALU_DEP_2)
	v_dual_mul_f32 v29, 0x3f317218, v23 :: v_dual_sub_f32 v24, v24, v25
	v_add_f32_e32 v26, v28, v27
	s_delay_alu instid0(VALU_DEP_2) | instskip(NEXT) | instid1(VALU_DEP_2)
	v_ldexp_f32 v24, v24, 1
	v_sub_f32_e32 v25, v26, v28
	s_delay_alu instid0(VALU_DEP_4) | instskip(NEXT) | instid1(VALU_DEP_1)
	v_fma_f32 v28, 0x3f317218, v23, -v29
	v_dual_sub_f32 v25, v27, v25 :: v_dual_fmac_f32 v28, 0xb102e308, v23
	s_delay_alu instid0(VALU_DEP_1) | instskip(NEXT) | instid1(VALU_DEP_1)
	v_add_f32_e32 v23, v24, v25
	v_add_f32_e32 v25, v26, v23
	s_delay_alu instid0(VALU_DEP_1) | instskip(NEXT) | instid1(VALU_DEP_1)
	v_sub_f32_e32 v26, v25, v26
	v_dual_sub_f32 v23, v23, v26 :: v_dual_add_f32 v24, v29, v28
	s_delay_alu instid0(VALU_DEP_1) | instskip(NEXT) | instid1(VALU_DEP_1)
	v_add_f32_e32 v27, v24, v25
	v_dual_sub_f32 v29, v24, v29 :: v_dual_sub_f32 v30, v27, v24
	s_delay_alu instid0(VALU_DEP_1) | instskip(NEXT) | instid1(VALU_DEP_1)
	v_dual_sub_f32 v28, v28, v29 :: v_dual_sub_f32 v31, v27, v30
	v_dual_sub_f32 v25, v25, v30 :: v_dual_add_f32 v26, v28, v23
	s_delay_alu instid0(VALU_DEP_2) | instskip(NEXT) | instid1(VALU_DEP_1)
	v_sub_f32_e32 v24, v24, v31
	v_add_f32_e32 v24, v25, v24
	s_delay_alu instid0(VALU_DEP_3) | instskip(NEXT) | instid1(VALU_DEP_2)
	v_sub_f32_e32 v25, v26, v28
	v_add_f32_e32 v24, v26, v24
	s_delay_alu instid0(VALU_DEP_2) | instskip(SKIP_1) | instid1(VALU_DEP_2)
	v_sub_f32_e32 v26, v26, v25
	v_sub_f32_e32 v23, v23, v25
	v_dual_add_f32 v29, v27, v24 :: v_dual_sub_f32 v26, v28, v26
	s_delay_alu instid0(VALU_DEP_1) | instskip(NEXT) | instid1(VALU_DEP_1)
	v_sub_f32_e32 v25, v29, v27
	v_dual_add_f32 v23, v23, v26 :: v_dual_sub_f32 v24, v24, v25
	s_delay_alu instid0(VALU_DEP_1) | instskip(NEXT) | instid1(VALU_DEP_1)
	v_add_f32_e32 v23, v23, v24
	v_add_f32_e32 v23, v29, v23
	s_delay_alu instid0(VALU_DEP_1) | instskip(SKIP_1) | instid1(VALU_DEP_1)
	v_cndmask_b32_e64 v23, v23, v22, s4
	v_cmp_ngt_f32_e64 s4, -1.0, v22
	v_cndmask_b32_e64 v23, 0x7fc00000, v23, s4
	v_cmp_neq_f32_e64 s4, -1.0, v22
	s_delay_alu instid0(VALU_DEP_1) | instskip(SKIP_1) | instid1(VALU_DEP_1)
	v_cndmask_b32_e64 v23, 0xff800000, v23, s4
	v_cmp_gt_f32_e64 s4, 0x33800000, |v22|
	v_cndmask_b32_e64 v22, v23, v22, s4
	s_delay_alu instid0(VALU_DEP_1)
	v_mul_f32_e32 v23, 0.5, v22
.LBB351_95:                             ;   in Loop: Header=BB351_73 Depth=3
	s_or_b32 exec_lo, exec_lo, s6
.LBB351_96:                             ;   in Loop: Header=BB351_73 Depth=3
	s_delay_alu instid0(SALU_CYCLE_1)
	s_or_b32 exec_lo, exec_lo, s5
	v_max_f32_e64 v22, |v1|, |v1|
	v_max_f32_e64 v24, |v8|, |v8|
	v_frexp_mant_f32_e32 v25, v9
	v_frexp_exp_i32_f32_e32 v9, v9
	v_cmp_gt_f32_e64 s4, |v1|, |v8|
	v_cmp_gt_i32_e64 s5, 0, v8
	v_min_f32_e32 v22, v24, v22
	v_rcp_f32_e32 v24, v25
	v_cmp_class_f32_e64 s6, v8, 0x204
	s_delay_alu instid0(VALU_DEP_2)
	v_frexp_mant_f32_e32 v25, v22
	v_frexp_exp_i32_f32_e32 v22, v22
	s_waitcnt_depctr 0xfff
	v_mul_f32_e32 v24, v25, v24
	v_sub_nc_u32_e32 v9, v22, v9
	v_cndmask_b32_e64 v25, 0, 0x40490fdb, s5
	v_cmp_class_f32_e64 s5, v1, 0x204
	s_delay_alu instid0(VALU_DEP_3) | instskip(NEXT) | instid1(VALU_DEP_1)
	v_ldexp_f32 v9, v24, v9
	v_mul_f32_e32 v22, v9, v9
	s_delay_alu instid0(VALU_DEP_1) | instskip(NEXT) | instid1(VALU_DEP_1)
	v_fmaak_f32 v24, s29, v22, 0xbc7a590c
	v_fmaak_f32 v24, v22, v24, 0x3d29fb3f
	s_delay_alu instid0(VALU_DEP_1) | instskip(NEXT) | instid1(VALU_DEP_1)
	v_fmaak_f32 v24, v22, v24, 0xbd97d4d7
	v_fmaak_f32 v24, v22, v24, 0x3dd931b2
	;; [unrolled: 3-line block ×3, first 2 shown]
	s_delay_alu instid0(VALU_DEP_1) | instskip(NEXT) | instid1(VALU_DEP_1)
	v_fmaak_f32 v24, v22, v24, 0xbeaaaa62
	v_mul_f32_e32 v22, v22, v24
	s_delay_alu instid0(VALU_DEP_1) | instskip(NEXT) | instid1(VALU_DEP_1)
	v_fmac_f32_e32 v9, v9, v22
	v_sub_f32_e32 v22, 0x3fc90fdb, v9
	s_delay_alu instid0(VALU_DEP_1) | instskip(SKIP_1) | instid1(VALU_DEP_2)
	v_cndmask_b32_e64 v9, v9, v22, s4
	v_cmp_gt_f32_e64 s4, 0, v8
	v_sub_f32_e32 v22, 0x40490fdb, v9
	s_delay_alu instid0(VALU_DEP_2) | instskip(NEXT) | instid1(VALU_DEP_2)
	v_cndmask_b32_e64 v24, 0x3f490fdb, v14, s4
	v_cndmask_b32_e64 v9, v9, v22, s4
	v_cmp_eq_f32_e64 s4, 0, v1
	s_delay_alu instid0(VALU_DEP_1)
	v_cndmask_b32_e64 v9, v9, v25, s4
	s_and_b32 s4, s6, s5
	s_delay_alu instid0(VALU_DEP_1) | instid1(SALU_CYCLE_1)
	v_cndmask_b32_e64 v9, v9, v24, s4
	v_cmp_o_f32_e64 s4, v8, v1
	v_add_f32_e32 v24, v6, v23
                                        ; implicit-def: $vgpr23
	s_delay_alu instid0(VALU_DEP_2) | instskip(NEXT) | instid1(VALU_DEP_1)
	v_cndmask_b32_e64 v8, 0x7fc00000, v9, s4
	v_bfi_b32 v1, 0x7fffffff, v8, v1
	s_delay_alu instid0(VALU_DEP_1)
	v_add_f32_e32 v22, v7, v1
                                        ; implicit-def: $vgpr7
.LBB351_97:                             ;   in Loop: Header=BB351_73 Depth=3
	s_and_not1_saveexec_b32 s35, s35
	s_cbranch_execz .LBB351_70
; %bb.98:                               ;   in Loop: Header=BB351_73 Depth=3
	s_mov_b32 s36, exec_lo
	v_cmpx_ngt_f32_e32 0, v24
	s_cbranch_execz .LBB351_69
; %bb.99:                               ;   in Loop: Header=BB351_73 Depth=3
	v_and_b32_e32 v6, 0x7fffffff, v22
	v_cmp_ngt_f32_e64 s37, 0x48000000, |v22|
                                        ; implicit-def: $vgpr9
                                        ; implicit-def: $vgpr8
	s_delay_alu instid0(VALU_DEP_2) | instskip(SKIP_1) | instid1(VALU_DEP_2)
	v_lshrrev_b32_e32 v1, 23, v6
	v_and_or_b32 v25, v6, s14, 0x800000
	v_add_nc_u32_e32 v27, 0xffffff88, v1
	s_delay_alu instid0(VALU_DEP_4) | instskip(NEXT) | instid1(SALU_CYCLE_1)
	s_and_saveexec_b32 s4, s37
	s_xor_b32 s38, exec_lo, s4
	s_cbranch_execz .LBB351_101
; %bb.100:                              ;   in Loop: Header=BB351_73 Depth=3
	v_mad_u64_u32 v[8:9], null, 0xfe5163ab, v25, 0
	v_cmp_lt_u32_e64 s4, 63, v27
	s_delay_alu instid0(VALU_DEP_2) | instskip(NEXT) | instid1(VALU_DEP_2)
	v_mov_b32_e32 v1, v9
	v_cndmask_b32_e64 v9, 0, 0xffffffc0, s4
	s_delay_alu instid0(VALU_DEP_2) | instskip(NEXT) | instid1(VALU_DEP_2)
	v_mad_u64_u32 v[28:29], null, 0x3c439041, v25, v[1:2]
	v_add_nc_u32_e32 v9, v9, v27
	s_delay_alu instid0(VALU_DEP_1) | instskip(NEXT) | instid1(VALU_DEP_3)
	v_cmp_lt_u32_e64 s5, 31, v9
	v_mov_b32_e32 v1, v29
	s_delay_alu instid0(VALU_DEP_2) | instskip(NEXT) | instid1(VALU_DEP_2)
	v_cndmask_b32_e64 v24, 0, 0xffffffe0, s5
	v_mad_u64_u32 v[29:30], null, 0xdb629599, v25, v[1:2]
	s_delay_alu instid0(VALU_DEP_2) | instskip(NEXT) | instid1(VALU_DEP_2)
	v_add_nc_u32_e32 v9, v24, v9
	v_mov_b32_e32 v1, v30
	s_delay_alu instid0(VALU_DEP_2) | instskip(NEXT) | instid1(VALU_DEP_4)
	v_cmp_lt_u32_e64 s6, 31, v9
	v_cndmask_b32_e64 v8, v29, v8, s4
	s_delay_alu instid0(VALU_DEP_3) | instskip(NEXT) | instid1(VALU_DEP_1)
	v_mad_u64_u32 v[30:31], null, 0xf534ddc0, v25, v[1:2]
	v_mov_b32_e32 v1, v31
	s_delay_alu instid0(VALU_DEP_1) | instskip(NEXT) | instid1(VALU_DEP_1)
	v_mad_u64_u32 v[31:32], null, 0xfc2757d1, v25, v[1:2]
	v_mov_b32_e32 v1, v32
	s_delay_alu instid0(VALU_DEP_1) | instskip(NEXT) | instid1(VALU_DEP_1)
	v_mad_u64_u32 v[32:33], null, 0x4e441529, v25, v[1:2]
	v_mov_b32_e32 v1, v33
	s_delay_alu instid0(VALU_DEP_2) | instskip(NEXT) | instid1(VALU_DEP_2)
	v_cndmask_b32_e64 v24, v32, v30, s4
	v_mad_u64_u32 v[33:34], null, 0xa2f9836e, v25, v[1:2]
	v_cndmask_b32_e64 v1, 0, 0xffffffe0, s6
	s_delay_alu instid0(VALU_DEP_1) | instskip(NEXT) | instid1(VALU_DEP_3)
	v_add_nc_u32_e32 v1, v1, v9
	v_cndmask_b32_e64 v26, v33, v31, s4
	s_delay_alu instid0(VALU_DEP_4)
	v_cndmask_b32_e64 v32, v34, v32, s4
	v_cndmask_b32_e64 v31, v31, v29, s4
	;; [unrolled: 1-line block ×3, first 2 shown]
	v_sub_nc_u32_e32 v30, 32, v1
	v_cndmask_b32_e64 v28, v26, v24, s5
	v_cndmask_b32_e64 v26, v32, v26, s5
	;; [unrolled: 1-line block ×4, first 2 shown]
	v_cmp_eq_u32_e64 s7, 0, v1
	v_cndmask_b32_e64 v8, v9, v8, s5
	v_cndmask_b32_e64 v26, v26, v28, s6
	;; [unrolled: 1-line block ×4, first 2 shown]
	s_delay_alu instid0(VALU_DEP_4) | instskip(NEXT) | instid1(VALU_DEP_3)
	v_cndmask_b32_e64 v8, v31, v8, s6
	v_alignbit_b32 v32, v26, v28, v30
	s_delay_alu instid0(VALU_DEP_3) | instskip(NEXT) | instid1(VALU_DEP_3)
	v_alignbit_b32 v33, v28, v24, v30
	v_alignbit_b32 v30, v24, v8, v30
	s_delay_alu instid0(VALU_DEP_3) | instskip(NEXT) | instid1(VALU_DEP_3)
	v_cndmask_b32_e64 v1, v32, v26, s7
	v_cndmask_b32_e64 v26, v33, v28, s7
	s_delay_alu instid0(VALU_DEP_3) | instskip(NEXT) | instid1(VALU_DEP_3)
	v_cndmask_b32_e64 v24, v30, v24, s7
	v_bfe_u32 v28, v1, 29, 1
	s_delay_alu instid0(VALU_DEP_3) | instskip(NEXT) | instid1(VALU_DEP_3)
	v_alignbit_b32 v9, v1, v26, 30
	v_alignbit_b32 v26, v26, v24, 30
	;; [unrolled: 1-line block ×3, first 2 shown]
	s_delay_alu instid0(VALU_DEP_4) | instskip(NEXT) | instid1(VALU_DEP_1)
	v_sub_nc_u32_e32 v29, 0, v28
	v_xor_b32_e32 v31, v9, v29
	v_cmp_ne_u32_e64 s4, v9, v29
	v_xor_b32_e32 v24, v26, v29
	v_xor_b32_e32 v8, v8, v29
	s_delay_alu instid0(VALU_DEP_4) | instskip(NEXT) | instid1(VALU_DEP_1)
	v_clz_i32_u32_e32 v32, v31
	v_add_nc_u32_e32 v30, 1, v32
	s_delay_alu instid0(VALU_DEP_1) | instskip(NEXT) | instid1(VALU_DEP_1)
	v_cndmask_b32_e64 v9, 33, v30, s4
	v_sub_nc_u32_e32 v26, 32, v9
	s_delay_alu instid0(VALU_DEP_1) | instskip(SKIP_3) | instid1(VALU_DEP_3)
	v_alignbit_b32 v29, v31, v24, v26
	v_alignbit_b32 v8, v24, v8, v26
	v_lshrrev_b32_e32 v24, 29, v1
	v_lshrrev_b32_e32 v1, 30, v1
	v_alignbit_b32 v26, v29, v8, 9
	s_delay_alu instid0(VALU_DEP_3) | instskip(SKIP_1) | instid1(VALU_DEP_3)
	v_lshlrev_b32_e32 v24, 31, v24
	v_alignbit_b32 v29, v9, v29, 9
	v_clz_i32_u32_e32 v30, v26
	s_delay_alu instid0(VALU_DEP_2) | instskip(SKIP_1) | instid1(VALU_DEP_3)
	v_or_b32_e32 v29, v29, v24
	v_or_b32_e32 v24, 0x33800000, v24
	v_min_u32_e32 v30, 32, v30
	s_delay_alu instid0(VALU_DEP_3) | instskip(NEXT) | instid1(VALU_DEP_2)
	v_xor_b32_e32 v29, 1.0, v29
	v_sub_nc_u32_e32 v31, 31, v30
	v_add_lshl_u32 v9, v30, v9, 23
	s_delay_alu instid0(VALU_DEP_3) | instskip(NEXT) | instid1(VALU_DEP_3)
	v_mul_f32_e32 v30, 0x3fc90fda, v29
	v_alignbit_b32 v8, v26, v8, v31
	s_delay_alu instid0(VALU_DEP_3) | instskip(NEXT) | instid1(VALU_DEP_3)
	v_sub_nc_u32_e32 v9, v24, v9
	v_fma_f32 v24, 0x3fc90fda, v29, -v30
	s_delay_alu instid0(VALU_DEP_3) | instskip(NEXT) | instid1(VALU_DEP_2)
	v_lshrrev_b32_e32 v8, 9, v8
	v_fmac_f32_e32 v24, 0x33a22168, v29
	s_delay_alu instid0(VALU_DEP_2) | instskip(NEXT) | instid1(VALU_DEP_1)
	v_or_b32_e32 v8, v9, v8
	v_dual_fmac_f32 v24, 0x3fc90fda, v8 :: v_dual_add_nc_u32 v9, v28, v1
	s_delay_alu instid0(VALU_DEP_1)
	v_add_f32_e32 v8, v30, v24
.LBB351_101:                            ;   in Loop: Header=BB351_73 Depth=3
	s_or_saveexec_b32 s4, s38
	v_mul_f32_e64 v1, 0x3f22f983, |v22|
	s_delay_alu instid0(VALU_DEP_1)
	v_rndne_f32_e32 v1, v1
	s_xor_b32 exec_lo, exec_lo, s4
; %bb.102:                              ;   in Loop: Header=BB351_73 Depth=3
	s_delay_alu instid0(VALU_DEP_1) | instskip(SKIP_1) | instid1(VALU_DEP_2)
	v_fma_f32 v8, 0xbfc90fda, v1, |v22|
	v_cvt_i32_f32_e32 v9, v1
	v_fmac_f32_e32 v8, 0xb3a22168, v1
	s_delay_alu instid0(VALU_DEP_1)
	v_fmac_f32_e32 v8, 0xa7c234c4, v1
; %bb.103:                              ;   in Loop: Header=BB351_73 Depth=3
	s_or_b32 exec_lo, exec_lo, s4
                                        ; implicit-def: $vgpr26
                                        ; implicit-def: $vgpr24
	s_and_saveexec_b32 s4, s37
	s_delay_alu instid0(SALU_CYCLE_1)
	s_xor_b32 s37, exec_lo, s4
	s_cbranch_execz .LBB351_105
; %bb.104:                              ;   in Loop: Header=BB351_73 Depth=3
	v_mad_u64_u32 v[28:29], null, 0xfe5163ab, v25, 0
	v_cmp_lt_u32_e64 s4, 63, v27
	s_delay_alu instid0(VALU_DEP_1) | instskip(NEXT) | instid1(VALU_DEP_1)
	v_cndmask_b32_e64 v24, 0, 0xffffffc0, s4
	v_dual_mov_b32 v1, v29 :: v_dual_add_nc_u32 v24, v24, v27
	s_delay_alu instid0(VALU_DEP_1) | instskip(NEXT) | instid1(VALU_DEP_2)
	v_mad_u64_u32 v[29:30], null, 0x3c439041, v25, v[1:2]
	v_cmp_lt_u32_e64 s5, 31, v24
	s_delay_alu instid0(VALU_DEP_2) | instskip(NEXT) | instid1(VALU_DEP_1)
	v_mov_b32_e32 v1, v30
	v_mad_u64_u32 v[30:31], null, 0xdb629599, v25, v[1:2]
	s_delay_alu instid0(VALU_DEP_1) | instskip(NEXT) | instid1(VALU_DEP_1)
	v_mov_b32_e32 v1, v31
	v_mad_u64_u32 v[31:32], null, 0xf534ddc0, v25, v[1:2]
	s_delay_alu instid0(VALU_DEP_1) | instskip(NEXT) | instid1(VALU_DEP_1)
	v_mov_b32_e32 v1, v32
	v_mad_u64_u32 v[32:33], null, 0xfc2757d1, v25, v[1:2]
	s_delay_alu instid0(VALU_DEP_1) | instskip(SKIP_1) | instid1(VALU_DEP_2)
	v_mov_b32_e32 v1, v33
	v_cndmask_b32_e64 v33, 0, 0xffffffe0, s5
	v_mad_u64_u32 v[26:27], null, 0x4e441529, v25, v[1:2]
	s_delay_alu instid0(VALU_DEP_2) | instskip(NEXT) | instid1(VALU_DEP_1)
	v_add_nc_u32_e32 v24, v33, v24
	v_cmp_lt_u32_e64 s6, 31, v24
	s_delay_alu instid0(VALU_DEP_3) | instskip(NEXT) | instid1(VALU_DEP_1)
	v_mov_b32_e32 v1, v27
	v_mad_u64_u32 v[33:34], null, 0xa2f9836e, v25, v[1:2]
	s_delay_alu instid0(VALU_DEP_3) | instskip(SKIP_1) | instid1(VALU_DEP_2)
	v_cndmask_b32_e64 v1, 0, 0xffffffe0, s6
	v_cndmask_b32_e64 v25, v26, v31, s4
	v_add_nc_u32_e32 v1, v1, v24
	s_delay_alu instid0(VALU_DEP_4)
	v_cndmask_b32_e64 v27, v33, v32, s4
	v_cndmask_b32_e64 v26, v34, v26, s4
	;; [unrolled: 1-line block ×4, first 2 shown]
	v_cmp_eq_u32_e64 s7, 0, v1
	v_cndmask_b32_e64 v29, v27, v25, s5
	v_cndmask_b32_e64 v26, v26, v27, s5
	;; [unrolled: 1-line block ×3, first 2 shown]
	v_sub_nc_u32_e32 v27, 32, v1
	v_cndmask_b32_e64 v31, v32, v24, s5
	s_delay_alu instid0(VALU_DEP_4) | instskip(NEXT) | instid1(VALU_DEP_4)
	v_cndmask_b32_e64 v26, v26, v29, s6
	v_cndmask_b32_e64 v29, v29, v25, s6
	s_delay_alu instid0(VALU_DEP_3) | instskip(NEXT) | instid1(VALU_DEP_2)
	v_cndmask_b32_e64 v25, v25, v31, s6
	v_alignbit_b32 v32, v26, v29, v27
	s_delay_alu instid0(VALU_DEP_2) | instskip(NEXT) | instid1(VALU_DEP_2)
	v_alignbit_b32 v33, v29, v25, v27
	v_cndmask_b32_e64 v1, v32, v26, s7
	v_cndmask_b32_e64 v26, v30, v28, s4
	s_delay_alu instid0(VALU_DEP_3) | instskip(NEXT) | instid1(VALU_DEP_3)
	v_cndmask_b32_e64 v28, v33, v29, s7
	v_bfe_u32 v29, v1, 29, 1
	s_delay_alu instid0(VALU_DEP_3) | instskip(NEXT) | instid1(VALU_DEP_3)
	v_cndmask_b32_e64 v24, v24, v26, s5
	v_alignbit_b32 v26, v1, v28, 30
	s_delay_alu instid0(VALU_DEP_3) | instskip(NEXT) | instid1(VALU_DEP_3)
	v_sub_nc_u32_e32 v30, 0, v29
	v_cndmask_b32_e64 v24, v31, v24, s6
	s_delay_alu instid0(VALU_DEP_2) | instskip(NEXT) | instid1(VALU_DEP_2)
	v_xor_b32_e32 v31, v26, v30
	v_alignbit_b32 v27, v25, v24, v27
	v_cmp_ne_u32_e64 s4, v26, v30
	s_delay_alu instid0(VALU_DEP_3) | instskip(NEXT) | instid1(VALU_DEP_3)
	v_clz_i32_u32_e32 v32, v31
	v_cndmask_b32_e64 v25, v27, v25, s7
	s_delay_alu instid0(VALU_DEP_2) | instskip(NEXT) | instid1(VALU_DEP_2)
	v_add_nc_u32_e32 v27, 1, v32
	v_alignbit_b32 v28, v28, v25, 30
	v_alignbit_b32 v24, v25, v24, 30
	s_delay_alu instid0(VALU_DEP_3) | instskip(NEXT) | instid1(VALU_DEP_3)
	v_cndmask_b32_e64 v26, 33, v27, s4
	v_xor_b32_e32 v25, v28, v30
	s_delay_alu instid0(VALU_DEP_3) | instskip(NEXT) | instid1(VALU_DEP_3)
	v_xor_b32_e32 v24, v24, v30
	v_sub_nc_u32_e32 v27, 32, v26
	s_delay_alu instid0(VALU_DEP_1) | instskip(NEXT) | instid1(VALU_DEP_3)
	v_alignbit_b32 v28, v31, v25, v27
	v_alignbit_b32 v24, v25, v24, v27
	v_lshrrev_b32_e32 v25, 29, v1
	v_lshrrev_b32_e32 v1, 30, v1
	s_delay_alu instid0(VALU_DEP_3) | instskip(NEXT) | instid1(VALU_DEP_3)
	v_alignbit_b32 v27, v28, v24, 9
	v_lshlrev_b32_e32 v25, 31, v25
	v_alignbit_b32 v28, v26, v28, 9
	s_delay_alu instid0(VALU_DEP_3) | instskip(NEXT) | instid1(VALU_DEP_2)
	v_clz_i32_u32_e32 v30, v27
	v_or_b32_e32 v28, v28, v25
	v_or_b32_e32 v25, 0x33800000, v25
	s_delay_alu instid0(VALU_DEP_3) | instskip(NEXT) | instid1(VALU_DEP_3)
	v_min_u32_e32 v30, 32, v30
	v_xor_b32_e32 v28, 1.0, v28
	s_delay_alu instid0(VALU_DEP_2) | instskip(SKIP_1) | instid1(VALU_DEP_3)
	v_sub_nc_u32_e32 v31, 31, v30
	v_add_lshl_u32 v26, v30, v26, 23
	v_mul_f32_e32 v30, 0x3fc90fda, v28
	s_delay_alu instid0(VALU_DEP_3) | instskip(NEXT) | instid1(VALU_DEP_3)
	v_alignbit_b32 v24, v27, v24, v31
	v_sub_nc_u32_e32 v25, v25, v26
	s_delay_alu instid0(VALU_DEP_3) | instskip(NEXT) | instid1(VALU_DEP_3)
	v_fma_f32 v26, 0x3fc90fda, v28, -v30
	v_lshrrev_b32_e32 v24, 9, v24
	s_delay_alu instid0(VALU_DEP_2) | instskip(NEXT) | instid1(VALU_DEP_2)
	v_fmac_f32_e32 v26, 0x33a22168, v28
	v_or_b32_e32 v24, v25, v24
	s_delay_alu instid0(VALU_DEP_1) | instskip(NEXT) | instid1(VALU_DEP_1)
	v_fmac_f32_e32 v26, 0x3fc90fda, v24
	v_add_f32_e32 v24, v30, v26
	v_add_nc_u32_e32 v26, v29, v1
                                        ; implicit-def: $vgpr1
	s_and_not1_saveexec_b32 s4, s37
	s_cbranch_execnz .LBB351_106
	s_branch .LBB351_107
.LBB351_105:                            ;   in Loop: Header=BB351_73 Depth=3
	s_and_not1_saveexec_b32 s4, s37
.LBB351_106:                            ;   in Loop: Header=BB351_73 Depth=3
	v_fma_f32 v24, 0xbfc90fda, v1, |v22|
	v_cvt_i32_f32_e32 v26, v1
	s_delay_alu instid0(VALU_DEP_2) | instskip(NEXT) | instid1(VALU_DEP_1)
	v_fmac_f32_e32 v24, 0xb3a22168, v1
	v_fmac_f32_e32 v24, 0xa7c234c4, v1
.LBB351_107:                            ;   in Loop: Header=BB351_73 Depth=3
	s_or_b32 exec_lo, exec_lo, s4
	v_and_b32_e32 v25, 0x7fffffff, v7
	v_cmp_ngt_f32_e64 s37, 0x48000000, |v7|
                                        ; implicit-def: $vgpr28
                                        ; implicit-def: $vgpr27
	s_delay_alu instid0(VALU_DEP_2) | instskip(SKIP_1) | instid1(VALU_DEP_2)
	v_lshrrev_b32_e32 v1, 23, v25
	v_and_or_b32 v29, v25, s14, 0x800000
	v_add_nc_u32_e32 v30, 0xffffff88, v1
	s_delay_alu instid0(VALU_DEP_4) | instskip(NEXT) | instid1(SALU_CYCLE_1)
	s_and_saveexec_b32 s4, s37
	s_xor_b32 s38, exec_lo, s4
	s_cbranch_execz .LBB351_109
; %bb.108:                              ;   in Loop: Header=BB351_73 Depth=3
	v_mad_u64_u32 v[27:28], null, 0xfe5163ab, v29, 0
	v_cmp_lt_u32_e64 s4, 63, v30
	s_delay_alu instid0(VALU_DEP_2) | instskip(NEXT) | instid1(VALU_DEP_2)
	v_mov_b32_e32 v1, v28
	v_cndmask_b32_e64 v28, 0, 0xffffffc0, s4
	s_delay_alu instid0(VALU_DEP_1) | instskip(NEXT) | instid1(VALU_DEP_1)
	v_add_nc_u32_e32 v28, v28, v30
	v_cmp_lt_u32_e64 s5, 31, v28
	s_delay_alu instid0(VALU_DEP_1) | instskip(NEXT) | instid1(VALU_DEP_1)
	v_cndmask_b32_e64 v37, 0, 0xffffffe0, s5
	v_add_nc_u32_e32 v28, v37, v28
	v_mad_u64_u32 v[31:32], null, 0x3c439041, v29, v[1:2]
	s_delay_alu instid0(VALU_DEP_2) | instskip(NEXT) | instid1(VALU_DEP_2)
	v_cmp_lt_u32_e64 s6, 31, v28
	v_mov_b32_e32 v1, v32
	s_delay_alu instid0(VALU_DEP_1) | instskip(NEXT) | instid1(VALU_DEP_1)
	v_mad_u64_u32 v[32:33], null, 0xdb629599, v29, v[1:2]
	v_mov_b32_e32 v1, v33
	s_delay_alu instid0(VALU_DEP_2) | instskip(NEXT) | instid1(VALU_DEP_2)
	v_cndmask_b32_e64 v27, v32, v27, s4
	v_mad_u64_u32 v[33:34], null, 0xf534ddc0, v29, v[1:2]
	s_delay_alu instid0(VALU_DEP_1) | instskip(NEXT) | instid1(VALU_DEP_1)
	v_mov_b32_e32 v1, v34
	v_mad_u64_u32 v[34:35], null, 0xfc2757d1, v29, v[1:2]
	s_delay_alu instid0(VALU_DEP_1) | instskip(NEXT) | instid1(VALU_DEP_1)
	v_mov_b32_e32 v1, v35
	v_mad_u64_u32 v[35:36], null, 0x4e441529, v29, v[1:2]
	s_delay_alu instid0(VALU_DEP_1) | instskip(NEXT) | instid1(VALU_DEP_2)
	v_mov_b32_e32 v1, v36
	v_cndmask_b32_e64 v38, v35, v33, s4
	s_delay_alu instid0(VALU_DEP_2) | instskip(SKIP_1) | instid1(VALU_DEP_1)
	v_mad_u64_u32 v[36:37], null, 0xa2f9836e, v29, v[1:2]
	v_cndmask_b32_e64 v1, 0, 0xffffffe0, s6
	v_add_nc_u32_e32 v1, v1, v28
	s_delay_alu instid0(VALU_DEP_3) | instskip(NEXT) | instid1(VALU_DEP_4)
	v_cndmask_b32_e64 v36, v36, v34, s4
	v_cndmask_b32_e64 v35, v37, v35, s4
	;; [unrolled: 1-line block ×4, first 2 shown]
	v_cmp_eq_u32_e64 s7, 0, v1
	v_cndmask_b32_e64 v31, v36, v38, s5
	v_cndmask_b32_e64 v33, v35, v36, s5
	;; [unrolled: 1-line block ×3, first 2 shown]
	v_sub_nc_u32_e32 v36, 32, v1
	v_cndmask_b32_e64 v34, v34, v28, s5
	v_cndmask_b32_e64 v27, v28, v27, s5
	;; [unrolled: 1-line block ×4, first 2 shown]
	s_delay_alu instid0(VALU_DEP_4) | instskip(NEXT) | instid1(VALU_DEP_4)
	v_cndmask_b32_e64 v35, v35, v34, s6
	v_cndmask_b32_e64 v27, v34, v27, s6
	s_delay_alu instid0(VALU_DEP_3) | instskip(NEXT) | instid1(VALU_DEP_3)
	v_alignbit_b32 v37, v33, v31, v36
	v_alignbit_b32 v38, v31, v35, v36
	s_delay_alu instid0(VALU_DEP_3) | instskip(NEXT) | instid1(VALU_DEP_3)
	v_alignbit_b32 v36, v35, v27, v36
	v_cndmask_b32_e64 v1, v37, v33, s7
	s_delay_alu instid0(VALU_DEP_3) | instskip(NEXT) | instid1(VALU_DEP_3)
	v_cndmask_b32_e64 v31, v38, v31, s7
	v_cndmask_b32_e64 v35, v36, v35, s7
	s_delay_alu instid0(VALU_DEP_3) | instskip(NEXT) | instid1(VALU_DEP_3)
	v_bfe_u32 v32, v1, 29, 1
	v_alignbit_b32 v28, v1, v31, 30
	s_delay_alu instid0(VALU_DEP_3) | instskip(SKIP_1) | instid1(VALU_DEP_4)
	v_alignbit_b32 v31, v31, v35, 30
	v_alignbit_b32 v27, v35, v27, 30
	v_sub_nc_u32_e32 v33, 0, v32
	s_delay_alu instid0(VALU_DEP_1) | instskip(SKIP_3) | instid1(VALU_DEP_4)
	v_xor_b32_e32 v34, v28, v33
	v_cmp_ne_u32_e64 s4, v28, v33
	v_xor_b32_e32 v31, v31, v33
	v_xor_b32_e32 v27, v27, v33
	v_clz_i32_u32_e32 v37, v34
	s_delay_alu instid0(VALU_DEP_1) | instskip(NEXT) | instid1(VALU_DEP_1)
	v_add_nc_u32_e32 v36, 1, v37
	v_cndmask_b32_e64 v28, 33, v36, s4
	s_delay_alu instid0(VALU_DEP_1) | instskip(NEXT) | instid1(VALU_DEP_1)
	v_sub_nc_u32_e32 v35, 32, v28
	v_alignbit_b32 v33, v34, v31, v35
	v_alignbit_b32 v27, v31, v27, v35
	v_lshrrev_b32_e32 v31, 29, v1
	v_lshrrev_b32_e32 v1, 30, v1
	s_delay_alu instid0(VALU_DEP_3) | instskip(NEXT) | instid1(VALU_DEP_3)
	v_alignbit_b32 v34, v33, v27, 9
	v_lshlrev_b32_e32 v31, 31, v31
	v_alignbit_b32 v33, v28, v33, 9
	s_delay_alu instid0(VALU_DEP_3) | instskip(NEXT) | instid1(VALU_DEP_2)
	v_clz_i32_u32_e32 v35, v34
	v_or_b32_e32 v33, v33, v31
	v_or_b32_e32 v31, 0x33800000, v31
	s_delay_alu instid0(VALU_DEP_3) | instskip(NEXT) | instid1(VALU_DEP_3)
	v_min_u32_e32 v35, 32, v35
	v_xor_b32_e32 v33, 1.0, v33
	s_delay_alu instid0(VALU_DEP_2) | instskip(SKIP_1) | instid1(VALU_DEP_3)
	v_sub_nc_u32_e32 v36, 31, v35
	v_add_lshl_u32 v28, v35, v28, 23
	v_mul_f32_e32 v35, 0x3fc90fda, v33
	s_delay_alu instid0(VALU_DEP_3) | instskip(NEXT) | instid1(VALU_DEP_3)
	v_alignbit_b32 v27, v34, v27, v36
	v_sub_nc_u32_e32 v28, v31, v28
	s_delay_alu instid0(VALU_DEP_3) | instskip(NEXT) | instid1(VALU_DEP_3)
	v_fma_f32 v31, 0x3fc90fda, v33, -v35
	v_lshrrev_b32_e32 v27, 9, v27
	s_delay_alu instid0(VALU_DEP_2) | instskip(NEXT) | instid1(VALU_DEP_2)
	v_fmac_f32_e32 v31, 0x33a22168, v33
	v_or_b32_e32 v27, v28, v27
	s_delay_alu instid0(VALU_DEP_1) | instskip(NEXT) | instid1(VALU_DEP_1)
	v_dual_fmac_f32 v31, 0x3fc90fda, v27 :: v_dual_add_nc_u32 v28, v32, v1
	v_add_f32_e32 v27, v35, v31
.LBB351_109:                            ;   in Loop: Header=BB351_73 Depth=3
	s_or_saveexec_b32 s4, s38
	v_mul_f32_e64 v1, 0x3f22f983, |v7|
	s_delay_alu instid0(VALU_DEP_1)
	v_rndne_f32_e32 v32, v1
	s_xor_b32 exec_lo, exec_lo, s4
; %bb.110:                              ;   in Loop: Header=BB351_73 Depth=3
	s_delay_alu instid0(VALU_DEP_1) | instskip(SKIP_1) | instid1(VALU_DEP_2)
	v_fma_f32 v27, 0xbfc90fda, v32, |v7|
	v_cvt_i32_f32_e32 v28, v32
	v_fmac_f32_e32 v27, 0xb3a22168, v32
	s_delay_alu instid0(VALU_DEP_1)
	v_fmac_f32_e32 v27, 0xa7c234c4, v32
; %bb.111:                              ;   in Loop: Header=BB351_73 Depth=3
	s_or_b32 exec_lo, exec_lo, s4
                                        ; implicit-def: $vgpr31
                                        ; implicit-def: $vgpr1
	s_and_saveexec_b32 s4, s37
	s_delay_alu instid0(SALU_CYCLE_1)
	s_xor_b32 s37, exec_lo, s4
	s_cbranch_execz .LBB351_113
; %bb.112:                              ;   in Loop: Header=BB351_73 Depth=3
	v_mad_u64_u32 v[31:32], null, 0xfe5163ab, v29, 0
	v_cmp_lt_u32_e64 s4, 63, v30
	s_delay_alu instid0(VALU_DEP_1) | instskip(NEXT) | instid1(VALU_DEP_1)
	v_cndmask_b32_e64 v37, 0, 0xffffffc0, s4
	v_dual_mov_b32 v1, v32 :: v_dual_add_nc_u32 v30, v37, v30
	s_delay_alu instid0(VALU_DEP_1) | instskip(NEXT) | instid1(VALU_DEP_2)
	v_mad_u64_u32 v[32:33], null, 0x3c439041, v29, v[1:2]
	v_cmp_lt_u32_e64 s5, 31, v30
	s_delay_alu instid0(VALU_DEP_1) | instskip(NEXT) | instid1(VALU_DEP_1)
	v_cndmask_b32_e64 v38, 0, 0xffffffe0, s5
	v_dual_mov_b32 v1, v33 :: v_dual_add_nc_u32 v30, v38, v30
	s_delay_alu instid0(VALU_DEP_1) | instskip(NEXT) | instid1(VALU_DEP_2)
	v_mad_u64_u32 v[33:34], null, 0xdb629599, v29, v[1:2]
	v_cmp_lt_u32_e64 s6, 31, v30
	s_delay_alu instid0(VALU_DEP_2) | instskip(NEXT) | instid1(VALU_DEP_3)
	v_mov_b32_e32 v1, v34
	v_cndmask_b32_e64 v31, v33, v31, s4
	s_delay_alu instid0(VALU_DEP_2) | instskip(NEXT) | instid1(VALU_DEP_1)
	v_mad_u64_u32 v[34:35], null, 0xf534ddc0, v29, v[1:2]
	v_mov_b32_e32 v1, v35
	s_delay_alu instid0(VALU_DEP_1) | instskip(NEXT) | instid1(VALU_DEP_1)
	v_mad_u64_u32 v[35:36], null, 0xfc2757d1, v29, v[1:2]
	v_mov_b32_e32 v1, v36
	s_delay_alu instid0(VALU_DEP_1) | instskip(NEXT) | instid1(VALU_DEP_1)
	v_mad_u64_u32 v[36:37], null, 0x4e441529, v29, v[1:2]
	v_mov_b32_e32 v1, v37
	s_delay_alu instid0(VALU_DEP_1) | instskip(SKIP_1) | instid1(VALU_DEP_4)
	v_mad_u64_u32 v[37:38], null, 0xa2f9836e, v29, v[1:2]
	v_cndmask_b32_e64 v1, 0, 0xffffffe0, s6
	v_cndmask_b32_e64 v29, v36, v34, s4
	s_delay_alu instid0(VALU_DEP_2) | instskip(NEXT) | instid1(VALU_DEP_4)
	v_add_nc_u32_e32 v1, v1, v30
	v_cndmask_b32_e64 v37, v37, v35, s4
	v_cndmask_b32_e64 v36, v38, v36, s4
	v_cndmask_b32_e64 v35, v35, v33, s4
	v_cndmask_b32_e64 v30, v34, v32, s4
	v_cmp_eq_u32_e64 s7, 0, v1
	v_cndmask_b32_e64 v32, v37, v29, s5
	v_cndmask_b32_e64 v34, v36, v37, s5
	;; [unrolled: 1-line block ×3, first 2 shown]
	v_sub_nc_u32_e32 v36, 32, v1
	v_cndmask_b32_e64 v35, v35, v30, s5
	v_cndmask_b32_e64 v30, v30, v31, s5
	;; [unrolled: 1-line block ×4, first 2 shown]
	s_delay_alu instid0(VALU_DEP_4) | instskip(NEXT) | instid1(VALU_DEP_4)
	v_cndmask_b32_e64 v29, v29, v35, s6
	v_cndmask_b32_e64 v30, v35, v30, s6
	s_delay_alu instid0(VALU_DEP_3) | instskip(NEXT) | instid1(VALU_DEP_3)
	v_alignbit_b32 v37, v34, v32, v36
	v_alignbit_b32 v38, v32, v29, v36
	s_delay_alu instid0(VALU_DEP_3) | instskip(NEXT) | instid1(VALU_DEP_3)
	v_alignbit_b32 v36, v29, v30, v36
	v_cndmask_b32_e64 v1, v37, v34, s7
	s_delay_alu instid0(VALU_DEP_3) | instskip(NEXT) | instid1(VALU_DEP_3)
	v_cndmask_b32_e64 v32, v38, v32, s7
	v_cndmask_b32_e64 v29, v36, v29, s7
	s_delay_alu instid0(VALU_DEP_3) | instskip(NEXT) | instid1(VALU_DEP_3)
	v_bfe_u32 v33, v1, 29, 1
	v_alignbit_b32 v31, v1, v32, 30
	s_delay_alu instid0(VALU_DEP_3) | instskip(SKIP_1) | instid1(VALU_DEP_4)
	v_alignbit_b32 v32, v32, v29, 30
	v_alignbit_b32 v29, v29, v30, 30
	v_sub_nc_u32_e32 v34, 0, v33
	s_delay_alu instid0(VALU_DEP_1) | instskip(SKIP_3) | instid1(VALU_DEP_4)
	v_xor_b32_e32 v35, v31, v34
	v_cmp_ne_u32_e64 s4, v31, v34
	v_xor_b32_e32 v30, v32, v34
	v_xor_b32_e32 v29, v29, v34
	v_clz_i32_u32_e32 v37, v35
	s_delay_alu instid0(VALU_DEP_1) | instskip(NEXT) | instid1(VALU_DEP_1)
	v_add_nc_u32_e32 v36, 1, v37
	v_cndmask_b32_e64 v31, 33, v36, s4
	s_delay_alu instid0(VALU_DEP_1) | instskip(NEXT) | instid1(VALU_DEP_1)
	v_sub_nc_u32_e32 v32, 32, v31
	v_alignbit_b32 v34, v35, v30, v32
	v_alignbit_b32 v29, v30, v29, v32
	v_lshrrev_b32_e32 v30, 29, v1
	s_delay_alu instid0(VALU_DEP_2) | instskip(NEXT) | instid1(VALU_DEP_2)
	v_alignbit_b32 v32, v34, v29, 9
	v_lshlrev_b32_e32 v30, 31, v30
	v_alignbit_b32 v34, v31, v34, 9
	s_delay_alu instid0(VALU_DEP_3) | instskip(NEXT) | instid1(VALU_DEP_2)
	v_clz_i32_u32_e32 v35, v32
	v_or_b32_e32 v34, v34, v30
	v_or_b32_e32 v30, 0x33800000, v30
	s_delay_alu instid0(VALU_DEP_3) | instskip(NEXT) | instid1(VALU_DEP_3)
	v_min_u32_e32 v35, 32, v35
	v_xor_b32_e32 v34, 1.0, v34
	s_delay_alu instid0(VALU_DEP_2) | instskip(SKIP_1) | instid1(VALU_DEP_3)
	v_sub_nc_u32_e32 v36, 31, v35
	v_add_lshl_u32 v31, v35, v31, 23
	v_mul_f32_e32 v35, 0x3fc90fda, v34
	s_delay_alu instid0(VALU_DEP_3) | instskip(NEXT) | instid1(VALU_DEP_3)
	v_alignbit_b32 v29, v32, v29, v36
	v_sub_nc_u32_e32 v30, v30, v31
	s_delay_alu instid0(VALU_DEP_3) | instskip(NEXT) | instid1(VALU_DEP_3)
	v_fma_f32 v31, 0x3fc90fda, v34, -v35
                                        ; implicit-def: $vgpr32
	v_lshrrev_b32_e32 v29, 9, v29
	s_delay_alu instid0(VALU_DEP_2) | instskip(NEXT) | instid1(VALU_DEP_2)
	v_fmac_f32_e32 v31, 0x33a22168, v34
	v_or_b32_e32 v29, v30, v29
	s_delay_alu instid0(VALU_DEP_1) | instskip(SKIP_1) | instid1(VALU_DEP_2)
	v_fmac_f32_e32 v31, 0x3fc90fda, v29
	v_lshrrev_b32_e32 v29, 30, v1
	v_add_f32_e32 v1, v35, v31
	s_delay_alu instid0(VALU_DEP_2)
	v_add_nc_u32_e32 v31, v33, v29
	s_and_not1_saveexec_b32 s4, s37
	s_cbranch_execnz .LBB351_114
	s_branch .LBB351_115
.LBB351_113:                            ;   in Loop: Header=BB351_73 Depth=3
	s_and_not1_saveexec_b32 s4, s37
.LBB351_114:                            ;   in Loop: Header=BB351_73 Depth=3
	v_fma_f32 v1, 0xbfc90fda, v32, |v7|
	v_cvt_i32_f32_e32 v31, v32
	s_delay_alu instid0(VALU_DEP_2) | instskip(NEXT) | instid1(VALU_DEP_1)
	v_fmac_f32_e32 v1, 0xb3a22168, v32
	v_fmac_f32_e32 v1, 0xa7c234c4, v32
.LBB351_115:                            ;   in Loop: Header=BB351_73 Depth=3
	s_or_b32 exec_lo, exec_lo, s4
	v_dual_mul_f32 v29, v8, v8 :: v_dual_lshlrev_b32 v30, 30, v9
	v_dual_mul_f32 v32, v24, v24 :: v_dual_and_b32 v9, 1, v9
	v_xor_b32_e32 v6, v6, v23
	s_delay_alu instid0(VALU_DEP_3) | instskip(SKIP_1) | instid1(VALU_DEP_4)
	v_fmaak_f32 v34, s23, v29, 0xbab64f3b
	v_dual_fmaak_f32 v33, s24, v29, 0x3c0881c4 :: v_dual_and_b32 v36, 1, v26
	v_dual_fmaak_f32 v23, s24, v32, 0x3c0881c4 :: v_dual_lshlrev_b32 v26, 30, v26
	v_fmaak_f32 v35, s23, v32, 0xbab64f3b
	s_delay_alu instid0(VALU_DEP_4)
	v_fmaak_f32 v34, v29, v34, 0x3d2aabf7
	v_cmp_eq_u32_e64 s4, 0, v9
	v_mul_f32_e32 v9, v27, v27
	v_fmaak_f32 v23, v32, v23, 0xbe2aaa9d
	v_fmaak_f32 v35, v32, v35, 0x3d2aabf7
	;; [unrolled: 1-line block ×3, first 2 shown]
	v_xor_b32_e32 v25, v25, v7
	v_cmp_class_f32_e64 s5, v7, 0x1f8
	v_mul_f32_e32 v23, v32, v23
	v_fmaak_f32 v33, v29, v33, 0xbe2aaa9d
	v_and_b32_e32 v30, 0x80000000, v30
	s_delay_alu instid0(VALU_DEP_2) | instskip(SKIP_1) | instid1(VALU_DEP_2)
	v_dual_fmac_f32 v24, v24, v23 :: v_dual_mul_f32 v33, v29, v33
	v_fma_f32 v29, v29, v34, 1.0
	v_dual_fmac_f32 v8, v8, v33 :: v_dual_lshlrev_b32 v33, 30, v28
	v_and_b32_e32 v28, 1, v28
	s_delay_alu instid0(VALU_DEP_2) | instskip(SKIP_2) | instid1(VALU_DEP_3)
	v_cndmask_b32_e64 v8, v29, v8, s4
	v_mul_f32_e32 v29, v1, v1
	v_cmp_eq_u32_e64 s4, 0, v36
	v_xor3_b32 v6, v6, v30, v8
	v_and_b32_e32 v8, 0x80000000, v26
	v_fmaak_f32 v35, v32, v35, 0xbf000004
	v_fmaak_f32 v30, s24, v29, 0x3c0881c4
	s_delay_alu instid0(VALU_DEP_2) | instskip(NEXT) | instid1(VALU_DEP_2)
	v_fma_f32 v23, v32, v35, 1.0
	v_fmaak_f32 v30, v29, v30, 0xbe2aaa9d
	v_and_b32_e32 v33, 0x80000000, v33
	v_fmaak_f32 v32, s23, v29, 0xbab64f3b
	s_delay_alu instid0(VALU_DEP_4) | instskip(NEXT) | instid1(VALU_DEP_4)
	v_cndmask_b32_e64 v23, -v24, v23, s4
	v_mul_f32_e32 v30, v29, v30
	v_fmaak_f32 v24, s24, v9, 0x3c0881c4
	s_delay_alu instid0(VALU_DEP_4)
	v_fmaak_f32 v32, v29, v32, 0x3d2aabf7
	v_cmp_eq_u32_e64 s4, 0, v28
	v_xor_b32_e32 v8, v8, v23
	v_fmac_f32_e32 v1, v1, v30
	v_fmaak_f32 v24, v9, v24, 0xbe2aaa9d
	v_fmaak_f32 v32, v29, v32, 0xbf000004
	s_delay_alu instid0(VALU_DEP_2) | instskip(NEXT) | instid1(VALU_DEP_1)
	v_mul_f32_e32 v24, v9, v24
	v_dual_fmaak_f32 v26, s23, v9, 0xbab64f3b :: v_dual_fmac_f32 v27, v27, v24
	s_delay_alu instid0(VALU_DEP_1) | instskip(NEXT) | instid1(VALU_DEP_4)
	v_fmaak_f32 v26, v9, v26, 0x3d2aabf7
	v_fma_f32 v24, v29, v32, 1.0
	s_delay_alu instid0(VALU_DEP_2) | instskip(NEXT) | instid1(VALU_DEP_1)
	v_dual_fmaak_f32 v26, v9, v26, 0xbf000004 :: v_dual_lshlrev_b32 v29, 30, v31
	v_fma_f32 v9, v9, v26, 1.0
	v_and_b32_e32 v26, 1, v31
	s_delay_alu instid0(VALU_DEP_2) | instskip(NEXT) | instid1(VALU_DEP_2)
	v_cndmask_b32_e64 v9, v9, v27, s4
	v_cmp_eq_u32_e64 s4, 0, v26
	s_delay_alu instid0(VALU_DEP_2) | instskip(NEXT) | instid1(VALU_DEP_2)
	v_xor3_b32 v9, v25, v33, v9
	v_cndmask_b32_e64 v1, -v1, v24, s4
	v_and_b32_e32 v24, 0x80000000, v29
	v_cmp_class_f32_e64 s4, v22, 0x1f8
	s_delay_alu instid0(VALU_DEP_2) | instskip(NEXT) | instid1(VALU_DEP_2)
	v_xor_b32_e32 v1, v24, v1
	v_cndmask_b32_e64 v7, 0x7fc00000, v8, s4
	v_cndmask_b32_e64 v6, 0x7fc00000, v6, s4
	;; [unrolled: 1-line block ×3, first 2 shown]
	s_delay_alu instid0(VALU_DEP_4) | instskip(NEXT) | instid1(VALU_DEP_4)
	v_cndmask_b32_e64 v1, 0x7fc00000, v1, s5
	v_mul_f32_e32 v9, 0x7f800000, v7
	v_cmp_neq_f32_e64 s4, 0, v7
	s_delay_alu instid0(VALU_DEP_3) | instskip(NEXT) | instid1(VALU_DEP_2)
	v_mul_f32_e32 v22, 0x7f800000, v1
	v_cndmask_b32_e64 v7, 0, v9, s4
	v_cmp_neq_f32_e64 s4, 0, v1
	v_mul_f32_e32 v9, 0x7f800000, v6
	s_delay_alu instid0(VALU_DEP_2) | instskip(SKIP_1) | instid1(VALU_DEP_2)
	v_cndmask_b32_e64 v1, 0, v22, s4
	v_cmp_neq_f32_e64 s4, 0, v6
	v_add_f32_e32 v7, v7, v1
	v_mul_f32_e32 v23, 0x7f800000, v8
	s_delay_alu instid0(VALU_DEP_3) | instskip(SKIP_1) | instid1(VALU_DEP_4)
	v_cndmask_b32_e64 v6, 0, v9, s4
	v_cmp_neq_f32_e64 s4, 0, v8
	v_add_f32_e32 v24, -1.0, v7
	s_delay_alu instid0(VALU_DEP_2) | instskip(NEXT) | instid1(VALU_DEP_1)
	v_cndmask_b32_e64 v8, 0, v23, s4
	v_add_f32_e32 v1, v6, v8
	s_delay_alu instid0(VALU_DEP_1) | instskip(NEXT) | instid1(VALU_DEP_1)
	v_max_f32_e64 v8, |v24|, |v1|
	v_cvt_f64_f32_e32 v[6:7], v8
	v_cmp_eq_f32_e64 s4, 0x7f800000, v8
	s_delay_alu instid0(VALU_DEP_2) | instskip(NEXT) | instid1(VALU_DEP_1)
	v_frexp_exp_i32_f64_e32 v6, v[6:7]
	v_sub_nc_u32_e32 v7, 0, v6
	s_delay_alu instid0(VALU_DEP_1) | instskip(SKIP_1) | instid1(VALU_DEP_2)
	v_ldexp_f32 v9, |v1|, v7
	v_ldexp_f32 v7, |v24|, v7
	v_mul_f32_e32 v9, v9, v9
	s_delay_alu instid0(VALU_DEP_1) | instskip(NEXT) | instid1(VALU_DEP_1)
	v_fmac_f32_e32 v9, v7, v7
	v_sqrt_f32_e32 v7, v9
	s_waitcnt_depctr 0xfff
	v_ldexp_f32 v7, v7, v6
	v_add_f32_e32 v6, 1.0, v24
	s_delay_alu instid0(VALU_DEP_2) | instskip(NEXT) | instid1(VALU_DEP_2)
	v_cmp_ngt_f32_e64 s5, 0.5, v7
	v_max_f32_e64 v7, |v6|, |v1|
	s_delay_alu instid0(VALU_DEP_2) | instskip(NEXT) | instid1(SALU_CYCLE_1)
	s_or_b32 s4, s4, s5
	s_and_saveexec_b32 s5, s4
	s_delay_alu instid0(SALU_CYCLE_1)
	s_xor_b32 s6, exec_lo, s5
	s_cbranch_execz .LBB351_117
; %bb.116:                              ;   in Loop: Header=BB351_73 Depth=3
	v_cvt_f64_f32_e32 v[8:9], v7
	v_cmp_neq_f32_e64 s4, 0x7f800000, v7
	s_delay_alu instid0(VALU_DEP_2) | instskip(NEXT) | instid1(VALU_DEP_1)
	v_frexp_exp_i32_f64_e32 v8, v[8:9]
	v_sub_nc_u32_e32 v9, 0, v8
	s_delay_alu instid0(VALU_DEP_1) | instskip(SKIP_1) | instid1(VALU_DEP_2)
	v_ldexp_f32 v22, |v1|, v9
	v_ldexp_f32 v9, |v6|, v9
	v_mul_f32_e32 v22, v22, v22
	s_delay_alu instid0(VALU_DEP_1) | instskip(NEXT) | instid1(VALU_DEP_1)
	v_fmac_f32_e32 v22, v9, v9
	v_sqrt_f32_e32 v9, v22
	s_waitcnt_depctr 0xfff
	v_ldexp_f32 v8, v9, v8
	s_delay_alu instid0(VALU_DEP_1) | instskip(NEXT) | instid1(VALU_DEP_1)
	v_cndmask_b32_e64 v8, 0x7f800000, v8, s4
	v_cmp_gt_f32_e64 s4, 0x800000, v8
	s_delay_alu instid0(VALU_DEP_1) | instskip(NEXT) | instid1(VALU_DEP_1)
	v_cndmask_b32_e64 v9, 1.0, 0x4f800000, s4
	v_mul_f32_e32 v8, v8, v9
	s_delay_alu instid0(VALU_DEP_1) | instskip(SKIP_3) | instid1(VALU_DEP_2)
	v_log_f32_e32 v8, v8
	s_waitcnt_depctr 0xfff
	v_mul_f32_e32 v9, 0x3f317217, v8
	v_cmp_gt_f32_e64 s5, 0x7f800000, |v8|
	v_fma_f32 v22, 0x3f317217, v8, -v9
	s_delay_alu instid0(VALU_DEP_1) | instskip(NEXT) | instid1(VALU_DEP_1)
	v_fmac_f32_e32 v22, 0x3377d1cf, v8
	v_add_f32_e32 v9, v9, v22
	s_delay_alu instid0(VALU_DEP_1) | instskip(SKIP_1) | instid1(VALU_DEP_1)
	v_cndmask_b32_e64 v8, v8, v9, s5
	v_cndmask_b32_e64 v9, 0, 0x41b17218, s4
	v_sub_f32_e32 v24, v8, v9
.LBB351_117:                            ;   in Loop: Header=BB351_73 Depth=3
	s_and_not1_saveexec_b32 s5, s6
	s_cbranch_execz .LBB351_68
; %bb.118:                              ;   in Loop: Header=BB351_73 Depth=3
	s_delay_alu instid0(VALU_DEP_1) | instskip(SKIP_1) | instid1(VALU_DEP_1)
	v_add_f32_e32 v8, 2.0, v24
	s_mov_b32 s6, exec_lo
	v_mul_f32_e32 v8, v24, v8
	s_delay_alu instid0(VALU_DEP_1) | instskip(NEXT) | instid1(VALU_DEP_1)
	v_fmac_f32_e32 v8, v1, v1
	v_cmpx_neq_f32_e32 0, v8
	s_cbranch_execz .LBB351_67
; %bb.119:                              ;   in Loop: Header=BB351_73 Depth=3
	v_add_f32_e32 v9, 1.0, v8
	s_delay_alu instid0(VALU_DEP_1) | instskip(NEXT) | instid1(VALU_DEP_1)
	v_cvt_f64_f32_e32 v[22:23], v9
	v_frexp_exp_i32_f64_e32 v22, v[22:23]
	v_frexp_mant_f32_e32 v23, v9
	s_delay_alu instid0(VALU_DEP_1) | instskip(SKIP_1) | instid1(VALU_DEP_1)
	v_cmp_gt_f32_e64 s4, 0x3f2aaaab, v23
	v_add_f32_e32 v23, -1.0, v9
	v_sub_f32_e32 v25, v23, v9
	s_delay_alu instid0(VALU_DEP_1) | instskip(NEXT) | instid1(VALU_DEP_4)
	v_add_f32_e32 v25, 1.0, v25
	v_subrev_co_ci_u32_e64 v22, s4, 0, v22, s4
	v_cmp_eq_f32_e64 s4, 0x7f800000, v8
	s_delay_alu instid0(VALU_DEP_2) | instskip(SKIP_1) | instid1(VALU_DEP_2)
	v_sub_nc_u32_e32 v24, 0, v22
	v_cvt_f32_i32_e32 v22, v22
	v_ldexp_f32 v9, v9, v24
	s_delay_alu instid0(VALU_DEP_1) | instskip(NEXT) | instid1(VALU_DEP_1)
	v_dual_sub_f32 v23, v8, v23 :: v_dual_add_f32 v26, 1.0, v9
	v_add_f32_e32 v23, v23, v25
	s_delay_alu instid0(VALU_DEP_2) | instskip(NEXT) | instid1(VALU_DEP_2)
	v_add_f32_e32 v25, -1.0, v26
	v_ldexp_f32 v23, v23, v24
	v_add_f32_e32 v24, -1.0, v9
	s_delay_alu instid0(VALU_DEP_3) | instskip(NEXT) | instid1(VALU_DEP_2)
	v_sub_f32_e32 v25, v9, v25
	v_add_f32_e32 v27, 1.0, v24
	s_delay_alu instid0(VALU_DEP_2) | instskip(NEXT) | instid1(VALU_DEP_2)
	v_add_f32_e32 v25, v23, v25
	v_sub_f32_e32 v9, v9, v27
	s_delay_alu instid0(VALU_DEP_2) | instskip(NEXT) | instid1(VALU_DEP_2)
	v_add_f32_e32 v27, v26, v25
	v_add_f32_e32 v9, v23, v9
	s_delay_alu instid0(VALU_DEP_2) | instskip(SKIP_1) | instid1(VALU_DEP_1)
	v_rcp_f32_e32 v23, v27
	v_sub_f32_e32 v26, v27, v26
	v_dual_add_f32 v28, v24, v9 :: v_dual_sub_f32 v25, v25, v26
	s_delay_alu instid0(VALU_DEP_1) | instskip(SKIP_2) | instid1(VALU_DEP_1)
	v_sub_f32_e32 v24, v28, v24
	s_waitcnt_depctr 0xfff
	v_mul_f32_e32 v29, v28, v23
	v_dual_sub_f32 v9, v9, v24 :: v_dual_mul_f32 v30, v27, v29
	s_delay_alu instid0(VALU_DEP_1) | instskip(NEXT) | instid1(VALU_DEP_1)
	v_fma_f32 v26, v29, v27, -v30
	v_fmac_f32_e32 v26, v29, v25
	s_delay_alu instid0(VALU_DEP_1) | instskip(NEXT) | instid1(VALU_DEP_1)
	v_add_f32_e32 v31, v30, v26
	v_sub_f32_e32 v32, v28, v31
	v_sub_f32_e32 v24, v31, v30
	s_delay_alu instid0(VALU_DEP_2) | instskip(NEXT) | instid1(VALU_DEP_2)
	v_sub_f32_e32 v28, v28, v32
	v_sub_f32_e32 v24, v24, v26
	s_delay_alu instid0(VALU_DEP_2) | instskip(NEXT) | instid1(VALU_DEP_1)
	v_sub_f32_e32 v28, v28, v31
	v_add_f32_e32 v9, v9, v28
	s_delay_alu instid0(VALU_DEP_1) | instskip(NEXT) | instid1(VALU_DEP_1)
	v_add_f32_e32 v9, v24, v9
	v_add_f32_e32 v24, v32, v9
	s_delay_alu instid0(VALU_DEP_1) | instskip(NEXT) | instid1(VALU_DEP_1)
	v_mul_f32_e32 v26, v23, v24
	v_dual_sub_f32 v31, v32, v24 :: v_dual_mul_f32 v28, v27, v26
	s_delay_alu instid0(VALU_DEP_1) | instskip(NEXT) | instid1(VALU_DEP_1)
	v_fma_f32 v27, v26, v27, -v28
	v_fmac_f32_e32 v27, v26, v25
	s_delay_alu instid0(VALU_DEP_1) | instskip(NEXT) | instid1(VALU_DEP_1)
	v_add_f32_e32 v25, v28, v27
	v_sub_f32_e32 v30, v24, v25
	v_sub_f32_e32 v28, v25, v28
	s_delay_alu instid0(VALU_DEP_2) | instskip(NEXT) | instid1(VALU_DEP_1)
	v_dual_add_f32 v9, v9, v31 :: v_dual_sub_f32 v24, v24, v30
	v_sub_f32_e32 v24, v24, v25
	s_delay_alu instid0(VALU_DEP_1) | instskip(NEXT) | instid1(VALU_DEP_4)
	v_add_f32_e32 v9, v9, v24
	v_dual_add_f32 v24, v29, v26 :: v_dual_sub_f32 v25, v28, v27
	s_delay_alu instid0(VALU_DEP_1) | instskip(NEXT) | instid1(VALU_DEP_2)
	v_add_f32_e32 v9, v25, v9
	v_sub_f32_e32 v25, v24, v29
	s_delay_alu instid0(VALU_DEP_2) | instskip(NEXT) | instid1(VALU_DEP_2)
	v_add_f32_e32 v9, v30, v9
	v_sub_f32_e32 v25, v26, v25
	s_delay_alu instid0(VALU_DEP_2) | instskip(NEXT) | instid1(VALU_DEP_1)
	v_mul_f32_e32 v9, v23, v9
	v_add_f32_e32 v9, v25, v9
	s_delay_alu instid0(VALU_DEP_1) | instskip(NEXT) | instid1(VALU_DEP_1)
	v_add_f32_e32 v23, v24, v9
	v_mul_f32_e32 v25, v23, v23
	s_delay_alu instid0(VALU_DEP_1) | instskip(SKIP_1) | instid1(VALU_DEP_2)
	v_fmaak_f32 v26, s25, v25, 0x3ecc95a3
	v_mul_f32_e32 v27, v23, v25
	v_fmaak_f32 v25, v25, v26, 0x3f2aaada
	v_ldexp_f32 v26, v23, 1
	v_sub_f32_e32 v23, v23, v24
	s_delay_alu instid0(VALU_DEP_3) | instskip(SKIP_1) | instid1(VALU_DEP_2)
	v_mul_f32_e32 v25, v27, v25
	v_mul_f32_e32 v27, 0x3f317218, v22
	v_dual_sub_f32 v9, v9, v23 :: v_dual_add_f32 v24, v26, v25
	s_delay_alu instid0(VALU_DEP_1) | instskip(NEXT) | instid1(VALU_DEP_2)
	v_ldexp_f32 v9, v9, 1
	v_sub_f32_e32 v23, v24, v26
	s_delay_alu instid0(VALU_DEP_4) | instskip(NEXT) | instid1(VALU_DEP_1)
	v_fma_f32 v26, 0x3f317218, v22, -v27
	v_dual_sub_f32 v23, v25, v23 :: v_dual_fmac_f32 v26, 0xb102e308, v22
	s_delay_alu instid0(VALU_DEP_1) | instskip(NEXT) | instid1(VALU_DEP_1)
	v_dual_add_f32 v9, v9, v23 :: v_dual_add_f32 v22, v27, v26
	v_add_f32_e32 v23, v24, v9
	s_delay_alu instid0(VALU_DEP_2) | instskip(NEXT) | instid1(VALU_DEP_2)
	v_sub_f32_e32 v27, v22, v27
	v_dual_add_f32 v25, v22, v23 :: v_dual_sub_f32 v24, v23, v24
	s_delay_alu instid0(VALU_DEP_2) | instskip(NEXT) | instid1(VALU_DEP_2)
	v_sub_f32_e32 v26, v26, v27
	v_sub_f32_e32 v28, v25, v22
	s_delay_alu instid0(VALU_DEP_3) | instskip(NEXT) | instid1(VALU_DEP_1)
	v_sub_f32_e32 v9, v9, v24
	v_dual_sub_f32 v29, v25, v28 :: v_dual_add_f32 v24, v26, v9
	s_delay_alu instid0(VALU_DEP_1) | instskip(NEXT) | instid1(VALU_DEP_1)
	v_dual_sub_f32 v23, v23, v28 :: v_dual_sub_f32 v22, v22, v29
	v_add_f32_e32 v22, v23, v22
	s_delay_alu instid0(VALU_DEP_3) | instskip(NEXT) | instid1(VALU_DEP_2)
	v_sub_f32_e32 v23, v24, v26
	v_add_f32_e32 v22, v24, v22
	s_delay_alu instid0(VALU_DEP_2) | instskip(SKIP_1) | instid1(VALU_DEP_2)
	v_sub_f32_e32 v24, v24, v23
	v_sub_f32_e32 v9, v9, v23
	v_dual_add_f32 v27, v25, v22 :: v_dual_sub_f32 v24, v26, v24
	s_delay_alu instid0(VALU_DEP_1) | instskip(NEXT) | instid1(VALU_DEP_1)
	v_sub_f32_e32 v23, v27, v25
	v_dual_add_f32 v9, v9, v24 :: v_dual_sub_f32 v22, v22, v23
	s_delay_alu instid0(VALU_DEP_1) | instskip(NEXT) | instid1(VALU_DEP_1)
	v_add_f32_e32 v9, v9, v22
	v_add_f32_e32 v9, v27, v9
	s_delay_alu instid0(VALU_DEP_1) | instskip(SKIP_1) | instid1(VALU_DEP_1)
	v_cndmask_b32_e64 v9, v9, v8, s4
	v_cmp_ngt_f32_e64 s4, -1.0, v8
	v_cndmask_b32_e64 v9, 0x7fc00000, v9, s4
	v_cmp_neq_f32_e64 s4, -1.0, v8
	s_delay_alu instid0(VALU_DEP_1) | instskip(SKIP_1) | instid1(VALU_DEP_1)
	v_cndmask_b32_e64 v9, 0xff800000, v9, s4
	v_cmp_gt_f32_e64 s4, 0x33800000, |v8|
	v_cndmask_b32_e64 v8, v9, v8, s4
	s_delay_alu instid0(VALU_DEP_1)
	v_mul_f32_e32 v24, 0.5, v8
	s_branch .LBB351_67
.LBB351_120:                            ;   in Loop: Header=BB351_7 Depth=2
	s_or_b32 exec_lo, exec_lo, s31
	s_and_saveexec_b32 s5, vcc_lo
	s_cbranch_execz .LBB351_6
; %bb.121:                              ;   in Loop: Header=BB351_7 Depth=2
	s_mov_b32 s6, exec_lo
	v_cmpx_gt_u32_e64 s21, v5
	s_cbranch_execz .LBB351_123
; %bb.122:                              ;   in Loop: Header=BB351_7 Depth=2
	ds_load_b64 v[7:8], v15
	v_mov_b32_e32 v6, v2
	s_delay_alu instid0(VALU_DEP_1) | instskip(NEXT) | instid1(VALU_DEP_1)
	v_lshlrev_b64 v[4:5], 3, v[5:6]
	v_add_co_u32 v4, s4, v20, v4
	s_delay_alu instid0(VALU_DEP_1)
	v_add_co_ci_u32_e64 v5, s4, v21, v5, s4
	s_waitcnt lgkmcnt(0)
	global_store_b64 v[4:5], v[7:8], off
.LBB351_123:                            ;   in Loop: Header=BB351_7 Depth=2
	s_or_b32 exec_lo, exec_lo, s6
	v_cmp_gt_u32_e64 s4, s21, v3
	s_delay_alu instid0(VALU_DEP_1)
	s_and_b32 exec_lo, exec_lo, s4
	s_cbranch_execz .LBB351_6
; %bb.124:                              ;   in Loop: Header=BB351_7 Depth=2
	ds_load_b64 v[5:6], v17
	v_mov_b32_e32 v4, v2
	s_delay_alu instid0(VALU_DEP_1) | instskip(NEXT) | instid1(VALU_DEP_1)
	v_lshlrev_b64 v[3:4], 3, v[3:4]
	v_add_co_u32 v3, s4, v20, v3
	s_delay_alu instid0(VALU_DEP_1)
	v_add_co_ci_u32_e64 v4, s4, v21, v4, s4
	s_waitcnt lgkmcnt(0)
	global_store_b64 v[3:4], v[5:6], off
	s_branch .LBB351_6
.LBB351_125:
	s_mov_b32 s2, 0
.LBB351_126:
	s_delay_alu instid0(SALU_CYCLE_1)
	s_and_not1_b32 vcc_lo, exec_lo, s2
	s_cbranch_vccnz .LBB351_253
; %bb.127:
	s_load_b32 s2, s[0:1], 0x3c
	s_add_u32 s0, s0, 48
	s_addc_u32 s1, s1, 0
	s_mov_b32 s11, 0
	s_waitcnt lgkmcnt(0)
	s_lshr_b32 s2, s2, 16
	s_delay_alu instid0(SALU_CYCLE_1) | instskip(SKIP_1) | instid1(SALU_CYCLE_1)
	s_mul_hi_u32 s7, s2, s15
	s_mul_i32 s6, s2, s15
	v_cmp_ge_u64_e64 s3, s[6:7], s[10:11]
	s_delay_alu instid0(VALU_DEP_1)
	s_and_b32 vcc_lo, exec_lo, s3
	s_cbranch_vccnz .LBB351_253
; %bb.128:
	s_load_b32 s1, s[0:1], 0x0
	v_dual_mov_b32 v1, 0 :: v_dual_and_b32 v2, 0x3ff, v0
	s_lshl_b32 s12, 1, s22
	s_and_b32 s2, 0xffff, s2
	s_ashr_i32 s13, s12, 31
	s_cmp_lg_u32 s21, 0
	v_lshl_add_u32 v14, v2, 3, v13
	s_mov_b32 s14, s21
	s_cselect_b32 s25, -1, 0
	s_lshl_b64 s[20:21], s[12:13], 1
	v_mov_b32_e32 v3, v1
	s_lshl_b32 s3, s20, 3
	v_cmp_eq_u32_e64 s0, 0, v2
	v_add3_u32 v15, v13, s3, -8
	v_lshl_add_u32 v16, s12, 3, v14
	v_mov_b32_e32 v17, 0x4016cbe4
	s_mov_b32 s15, s11
	s_mov_b32 s24, 0x7fffff
	s_add_i32 s26, s22, 1
	s_waitcnt lgkmcnt(0)
	s_mul_i32 s27, s1, s2
	s_mov_b32 s28, 0x37d75334
	s_mov_b32 s29, 0xb94c1982
	;; [unrolled: 1-line block ×4, first 2 shown]
	s_branch .LBB351_130
.LBB351_129:                            ;   in Loop: Header=BB351_130 Depth=1
	s_add_u32 s6, s6, s27
	s_addc_u32 s7, s7, 0
	s_delay_alu instid0(SALU_CYCLE_1) | instskip(NEXT) | instid1(VALU_DEP_1)
	v_cmp_ge_u64_e64 s1, s[6:7], s[10:11]
	s_and_b32 vcc_lo, exec_lo, s1
	s_cbranch_vccnz .LBB351_253
.LBB351_130:                            ; =>This Loop Header: Depth=1
                                        ;     Child Loop BB351_133 Depth 2
                                        ;       Child Loop BB351_199 Depth 3
	s_and_not1_b32 vcc_lo, exec_lo, s25
	s_cbranch_vccnz .LBB351_129
; %bb.131:                              ;   in Loop: Header=BB351_130 Depth=1
	v_add_co_u32 v4, s1, s6, v12
	s_delay_alu instid0(VALU_DEP_1) | instskip(SKIP_1) | instid1(VALU_DEP_2)
	v_add_co_ci_u32_e64 v5, null, s7, 0, s1
	s_mov_b64 s[22:23], 0
	v_mad_u64_u32 v[6:7], null, v4, s14, 0
	s_delay_alu instid0(VALU_DEP_2) | instskip(SKIP_1) | instid1(VALU_DEP_3)
	v_cmp_gt_u64_e64 s1, s[10:11], v[4:5]
	v_cmp_le_u64_e64 s2, s[10:11], v[4:5]
	v_dual_mov_b32 v9, s9 :: v_dual_mov_b32 v0, v7
	s_delay_alu instid0(VALU_DEP_1) | instskip(SKIP_1) | instid1(VALU_DEP_2)
	v_mad_u64_u32 v[7:8], null, v5, s14, v[0:1]
	v_mov_b32_e32 v8, s8
	v_lshlrev_b64 v[6:7], 3, v[6:7]
	s_delay_alu instid0(VALU_DEP_1) | instskip(NEXT) | instid1(VALU_DEP_2)
	v_add_co_u32 v18, vcc_lo, s18, v6
	v_add_co_ci_u32_e32 v19, vcc_lo, s19, v7, vcc_lo
	v_add_co_u32 v20, vcc_lo, s16, v6
	v_add_co_ci_u32_e32 v21, vcc_lo, s17, v7, vcc_lo
	s_branch .LBB351_133
.LBB351_132:                            ;   in Loop: Header=BB351_133 Depth=2
	s_or_b32 exec_lo, exec_lo, s3
	ds_load_b64 v[8:9], v15
	s_add_u32 s22, s22, s20
	s_addc_u32 s23, s23, s21
	s_waitcnt lgkmcnt(0)
	s_waitcnt_vscnt null, 0x0
	v_cmp_ge_u64_e64 s3, s[22:23], s[14:15]
	s_barrier
	buffer_gl0_inv
	s_and_b32 vcc_lo, exec_lo, s3
	s_cbranch_vccnz .LBB351_129
.LBB351_133:                            ;   Parent Loop BB351_130 Depth=1
                                        ; =>  This Loop Header: Depth=2
                                        ;       Child Loop BB351_199 Depth 3
	v_add_co_u32 v6, s3, s22, v2
	s_delay_alu instid0(VALU_DEP_1) | instskip(NEXT) | instid1(VALU_DEP_2)
	v_add_co_ci_u32_e64 v7, null, s23, 0, s3
	v_add_co_u32 v4, vcc_lo, v6, s12
	s_delay_alu instid0(VALU_DEP_2)
	v_add_co_ci_u32_e32 v5, vcc_lo, s13, v7, vcc_lo
	s_and_saveexec_b32 s33, s1
	s_cbranch_execz .LBB351_192
; %bb.134:                              ;   in Loop: Header=BB351_133 Depth=2
	s_mov_b32 s3, exec_lo
	v_cmpx_le_u64_e64 s[14:15], v[6:7]
	s_xor_b32 s3, exec_lo, s3
	s_cbranch_execz .LBB351_136
; %bb.135:                              ;   in Loop: Header=BB351_133 Depth=2
	v_dual_mov_b32 v10, s8 :: v_dual_mov_b32 v11, s9
	ds_store_b64 v14, v[10:11]
.LBB351_136:                            ;   in Loop: Header=BB351_133 Depth=2
	s_and_not1_saveexec_b32 s3, s3
	s_cbranch_execz .LBB351_138
; %bb.137:                              ;   in Loop: Header=BB351_133 Depth=2
	v_lshlrev_b64 v[10:11], 3, v[6:7]
	s_delay_alu instid0(VALU_DEP_1) | instskip(NEXT) | instid1(VALU_DEP_2)
	v_add_co_u32 v10, vcc_lo, v18, v10
	v_add_co_ci_u32_e32 v11, vcc_lo, v19, v11, vcc_lo
	global_load_b64 v[10:11], v[10:11], off
	s_waitcnt vmcnt(0)
	ds_store_b64 v14, v[10:11]
.LBB351_138:                            ;   in Loop: Header=BB351_133 Depth=2
	s_or_b32 exec_lo, exec_lo, s3
	s_delay_alu instid0(SALU_CYCLE_1)
	s_mov_b32 s3, exec_lo
	v_cmpx_le_u64_e64 s[14:15], v[4:5]
	s_xor_b32 s3, exec_lo, s3
	s_cbranch_execz .LBB351_141
; %bb.139:                              ;   in Loop: Header=BB351_133 Depth=2
	v_dual_mov_b32 v10, s8 :: v_dual_mov_b32 v11, s9
	ds_store_b64 v16, v[10:11]
	s_and_not1_saveexec_b32 s3, s3
	s_cbranch_execnz .LBB351_142
.LBB351_140:                            ;   in Loop: Header=BB351_133 Depth=2
	s_or_b32 exec_lo, exec_lo, s3
	s_delay_alu instid0(SALU_CYCLE_1)
	s_and_b32 exec_lo, exec_lo, s0
	s_cbranch_execnz .LBB351_143
	s_branch .LBB351_192
.LBB351_141:                            ;   in Loop: Header=BB351_133 Depth=2
	s_and_not1_saveexec_b32 s3, s3
	s_cbranch_execz .LBB351_140
.LBB351_142:                            ;   in Loop: Header=BB351_133 Depth=2
	v_lshlrev_b64 v[10:11], 3, v[4:5]
	s_delay_alu instid0(VALU_DEP_1) | instskip(NEXT) | instid1(VALU_DEP_2)
	v_add_co_u32 v10, vcc_lo, v18, v10
	v_add_co_ci_u32_e32 v11, vcc_lo, v19, v11, vcc_lo
	global_load_b64 v[10:11], v[10:11], off
	s_waitcnt vmcnt(0)
	ds_store_b64 v16, v[10:11]
	s_or_b32 exec_lo, exec_lo, s3
	s_delay_alu instid0(SALU_CYCLE_1)
	s_and_b32 exec_lo, exec_lo, s0
	s_cbranch_execz .LBB351_192
.LBB351_143:                            ;   in Loop: Header=BB351_133 Depth=2
	ds_load_b64 v[10:11], v13
	v_cmp_o_f32_e32 vcc_lo, v8, v8
	v_cmp_o_f32_e64 s3, v9, v9
	v_mov_b32_e32 v22, v9
	v_dual_mov_b32 v24, v8 :: v_dual_mov_b32 v23, v9
	s_delay_alu instid0(VALU_DEP_3) | instskip(NEXT) | instid1(SALU_CYCLE_1)
	s_and_b32 s5, vcc_lo, s3
	s_and_saveexec_b32 s34, s5
	s_cbranch_execz .LBB351_145
; %bb.144:                              ;   in Loop: Header=BB351_133 Depth=2
	s_waitcnt lgkmcnt(0)
	v_cmp_u_f32_e32 vcc_lo, v10, v10
	v_cmp_u_f32_e64 s3, v11, v11
	v_cmp_lt_f32_e64 s4, v10, v8
	s_delay_alu instid0(VALU_DEP_2)
	s_or_b32 s3, vcc_lo, s3
	s_delay_alu instid0(VALU_DEP_1) | instid1(SALU_CYCLE_1)
	s_or_b32 vcc_lo, s4, s3
	v_cndmask_b32_e32 v22, v9, v11, vcc_lo
	s_delay_alu instid0(VALU_DEP_1)
	v_dual_cndmask_b32 v24, v8, v10 :: v_dual_mov_b32 v23, v22
.LBB351_145:                            ;   in Loop: Header=BB351_133 Depth=2
	s_or_b32 exec_lo, exec_lo, s34
	s_and_saveexec_b32 s34, s5
	s_cbranch_execz .LBB351_147
; %bb.146:                              ;   in Loop: Header=BB351_133 Depth=2
	s_waitcnt lgkmcnt(0)
	v_cmp_u_f32_e32 vcc_lo, v10, v10
	v_cmp_u_f32_e64 s3, v11, v11
	v_cmp_ge_f32_e64 s4, v10, v8
	s_delay_alu instid0(VALU_DEP_2)
	s_or_b32 s3, vcc_lo, s3
	s_delay_alu instid0(VALU_DEP_1) | instid1(SALU_CYCLE_1)
	s_or_b32 vcc_lo, s4, s3
	v_dual_cndmask_b32 v9, v9, v11 :: v_dual_cndmask_b32 v8, v8, v10
.LBB351_147:                            ;   in Loop: Header=BB351_133 Depth=2
	s_or_b32 exec_lo, exec_lo, s34
	v_cmp_o_f32_e32 vcc_lo, v24, v24
	v_cmp_o_f32_e64 s3, v22, v22
	s_waitcnt lgkmcnt(0)
	v_dual_mov_b32 v10, 0x7fc00000 :: v_dual_mov_b32 v11, 0x7fc00000
	s_delay_alu instid0(VALU_DEP_2) | instskip(NEXT) | instid1(SALU_CYCLE_1)
	s_and_b32 s3, vcc_lo, s3
	s_and_saveexec_b32 s34, s3
	s_cbranch_execz .LBB351_191
; %bb.148:                              ;   in Loop: Header=BB351_133 Depth=2
	v_cmp_class_f32_e64 s3, v24, 0x1f8
	v_cmp_neq_f32_e32 vcc_lo, v8, v24
	s_delay_alu instid0(VALU_DEP_2) | instskip(NEXT) | instid1(SALU_CYCLE_1)
	s_or_b32 s3, s3, vcc_lo
	s_and_saveexec_b32 s4, s3
	s_delay_alu instid0(SALU_CYCLE_1)
	s_xor_b32 s35, exec_lo, s4
	s_cbranch_execz .LBB351_164
; %bb.149:                              ;   in Loop: Header=BB351_133 Depth=2
	v_sub_f32_e32 v10, v22, v9
                                        ; implicit-def: $vgpr23
                                        ; implicit-def: $vgpr22
	s_delay_alu instid0(VALU_DEP_1) | instskip(SKIP_1) | instid1(VALU_DEP_2)
	v_and_b32_e32 v11, 0x7fffffff, v10
	v_cmp_ngt_f32_e64 s36, 0x48000000, |v10|
	v_lshrrev_b32_e32 v0, 23, v11
	v_and_or_b32 v25, v11, s24, 0x800000
	s_delay_alu instid0(VALU_DEP_2) | instskip(NEXT) | instid1(VALU_DEP_4)
	v_add_nc_u32_e32 v26, 0xffffff88, v0
	s_and_saveexec_b32 s3, s36
	s_delay_alu instid0(SALU_CYCLE_1)
	s_xor_b32 s37, exec_lo, s3
	s_cbranch_execz .LBB351_151
; %bb.150:                              ;   in Loop: Header=BB351_133 Depth=2
	v_mad_u64_u32 v[22:23], null, 0xfe5163ab, v25, 0
	v_cmp_lt_u32_e32 vcc_lo, 63, v26
	s_delay_alu instid0(VALU_DEP_2) | instskip(SKIP_1) | instid1(VALU_DEP_1)
	v_mov_b32_e32 v0, v23
	v_cndmask_b32_e64 v23, 0, 0xffffffc0, vcc_lo
	v_add_nc_u32_e32 v23, v23, v26
	s_delay_alu instid0(VALU_DEP_1) | instskip(NEXT) | instid1(VALU_DEP_1)
	v_cmp_lt_u32_e64 s3, 31, v23
	v_cndmask_b32_e64 v33, 0, 0xffffffe0, s3
	s_delay_alu instid0(VALU_DEP_1) | instskip(SKIP_1) | instid1(VALU_DEP_2)
	v_add_nc_u32_e32 v23, v33, v23
	v_mad_u64_u32 v[27:28], null, 0x3c439041, v25, v[0:1]
	v_cmp_lt_u32_e64 s4, 31, v23
	s_delay_alu instid0(VALU_DEP_2) | instskip(NEXT) | instid1(VALU_DEP_1)
	v_mov_b32_e32 v0, v28
	v_mad_u64_u32 v[28:29], null, 0xdb629599, v25, v[0:1]
	s_delay_alu instid0(VALU_DEP_1) | instskip(NEXT) | instid1(VALU_DEP_2)
	v_mov_b32_e32 v0, v29
	v_cndmask_b32_e32 v22, v28, v22, vcc_lo
	s_delay_alu instid0(VALU_DEP_2) | instskip(NEXT) | instid1(VALU_DEP_1)
	v_mad_u64_u32 v[29:30], null, 0xf534ddc0, v25, v[0:1]
	v_mov_b32_e32 v0, v30
	s_delay_alu instid0(VALU_DEP_1) | instskip(NEXT) | instid1(VALU_DEP_1)
	v_mad_u64_u32 v[30:31], null, 0xfc2757d1, v25, v[0:1]
	v_mov_b32_e32 v0, v31
	s_delay_alu instid0(VALU_DEP_1) | instskip(NEXT) | instid1(VALU_DEP_1)
	v_mad_u64_u32 v[31:32], null, 0x4e441529, v25, v[0:1]
	v_mov_b32_e32 v0, v32
	s_delay_alu instid0(VALU_DEP_2) | instskip(NEXT) | instid1(VALU_DEP_2)
	v_cndmask_b32_e32 v34, v31, v29, vcc_lo
	v_mad_u64_u32 v[32:33], null, 0xa2f9836e, v25, v[0:1]
	v_cndmask_b32_e64 v0, 0, 0xffffffe0, s4
	s_delay_alu instid0(VALU_DEP_1) | instskip(NEXT) | instid1(VALU_DEP_3)
	v_add_nc_u32_e32 v0, v0, v23
	v_dual_cndmask_b32 v32, v32, v30 :: v_dual_cndmask_b32 v31, v33, v31
	v_dual_cndmask_b32 v30, v30, v28 :: v_dual_cndmask_b32 v23, v29, v27
	s_delay_alu instid0(VALU_DEP_3) | instskip(NEXT) | instid1(VALU_DEP_3)
	v_cmp_eq_u32_e64 s5, 0, v0
	v_cndmask_b32_e64 v27, v32, v34, s3
	s_delay_alu instid0(VALU_DEP_4) | instskip(NEXT) | instid1(VALU_DEP_4)
	v_cndmask_b32_e64 v29, v31, v32, s3
	v_cndmask_b32_e64 v31, v34, v30, s3
	v_sub_nc_u32_e32 v32, 32, v0
	v_cndmask_b32_e64 v30, v30, v23, s3
	v_cndmask_b32_e64 v22, v23, v22, s3
	v_cndmask_b32_e64 v29, v29, v27, s4
	v_cndmask_b32_e64 v27, v27, v31, s4
	s_delay_alu instid0(VALU_DEP_4) | instskip(NEXT) | instid1(VALU_DEP_4)
	v_cndmask_b32_e64 v31, v31, v30, s4
	v_cndmask_b32_e64 v22, v30, v22, s4
	s_delay_alu instid0(VALU_DEP_3) | instskip(NEXT) | instid1(VALU_DEP_3)
	v_alignbit_b32 v33, v29, v27, v32
	v_alignbit_b32 v34, v27, v31, v32
	s_delay_alu instid0(VALU_DEP_3) | instskip(NEXT) | instid1(VALU_DEP_3)
	v_alignbit_b32 v32, v31, v22, v32
	v_cndmask_b32_e64 v0, v33, v29, s5
	s_delay_alu instid0(VALU_DEP_3) | instskip(NEXT) | instid1(VALU_DEP_3)
	v_cndmask_b32_e64 v27, v34, v27, s5
	v_cndmask_b32_e64 v31, v32, v31, s5
	s_delay_alu instid0(VALU_DEP_3) | instskip(NEXT) | instid1(VALU_DEP_3)
	v_bfe_u32 v28, v0, 29, 1
	v_alignbit_b32 v23, v0, v27, 30
	s_delay_alu instid0(VALU_DEP_3) | instskip(SKIP_1) | instid1(VALU_DEP_4)
	v_alignbit_b32 v27, v27, v31, 30
	v_alignbit_b32 v22, v31, v22, 30
	v_sub_nc_u32_e32 v29, 0, v28
	s_delay_alu instid0(VALU_DEP_1) | instskip(SKIP_3) | instid1(VALU_DEP_4)
	v_xor_b32_e32 v30, v23, v29
	v_cmp_ne_u32_e32 vcc_lo, v23, v29
	v_xor_b32_e32 v27, v27, v29
	v_xor_b32_e32 v22, v22, v29
	v_clz_i32_u32_e32 v33, v30
	s_delay_alu instid0(VALU_DEP_1) | instskip(NEXT) | instid1(VALU_DEP_1)
	v_add_nc_u32_e32 v32, 1, v33
	v_cndmask_b32_e32 v23, 33, v32, vcc_lo
	s_delay_alu instid0(VALU_DEP_1) | instskip(NEXT) | instid1(VALU_DEP_1)
	v_sub_nc_u32_e32 v31, 32, v23
	v_alignbit_b32 v29, v30, v27, v31
	v_alignbit_b32 v22, v27, v22, v31
	v_lshrrev_b32_e32 v27, 29, v0
	v_lshrrev_b32_e32 v0, 30, v0
	s_delay_alu instid0(VALU_DEP_3) | instskip(NEXT) | instid1(VALU_DEP_3)
	v_alignbit_b32 v30, v29, v22, 9
	v_lshlrev_b32_e32 v27, 31, v27
	v_alignbit_b32 v29, v23, v29, 9
	s_delay_alu instid0(VALU_DEP_3) | instskip(NEXT) | instid1(VALU_DEP_2)
	v_clz_i32_u32_e32 v31, v30
	v_or_b32_e32 v29, v29, v27
	v_or_b32_e32 v27, 0x33800000, v27
	s_delay_alu instid0(VALU_DEP_3) | instskip(NEXT) | instid1(VALU_DEP_3)
	v_min_u32_e32 v31, 32, v31
	v_xor_b32_e32 v29, 1.0, v29
	s_delay_alu instid0(VALU_DEP_2) | instskip(SKIP_1) | instid1(VALU_DEP_3)
	v_sub_nc_u32_e32 v32, 31, v31
	v_add_lshl_u32 v23, v31, v23, 23
	v_mul_f32_e32 v31, 0x3fc90fda, v29
	s_delay_alu instid0(VALU_DEP_3) | instskip(NEXT) | instid1(VALU_DEP_3)
	v_alignbit_b32 v22, v30, v22, v32
	v_sub_nc_u32_e32 v23, v27, v23
	s_delay_alu instid0(VALU_DEP_3) | instskip(NEXT) | instid1(VALU_DEP_3)
	v_fma_f32 v27, 0x3fc90fda, v29, -v31
	v_lshrrev_b32_e32 v22, 9, v22
	s_delay_alu instid0(VALU_DEP_2) | instskip(NEXT) | instid1(VALU_DEP_2)
	v_fmac_f32_e32 v27, 0x33a22168, v29
	v_or_b32_e32 v22, v23, v22
	v_add_nc_u32_e32 v23, v28, v0
	s_delay_alu instid0(VALU_DEP_2) | instskip(NEXT) | instid1(VALU_DEP_1)
	v_fmac_f32_e32 v27, 0x3fc90fda, v22
	v_add_f32_e32 v22, v31, v27
.LBB351_151:                            ;   in Loop: Header=BB351_133 Depth=2
	s_or_saveexec_b32 s3, s37
	v_mul_f32_e64 v0, 0x3f22f983, |v10|
	s_delay_alu instid0(VALU_DEP_1)
	v_rndne_f32_e32 v28, v0
	s_xor_b32 exec_lo, exec_lo, s3
; %bb.152:                              ;   in Loop: Header=BB351_133 Depth=2
	s_delay_alu instid0(VALU_DEP_1) | instskip(SKIP_1) | instid1(VALU_DEP_2)
	v_fma_f32 v22, 0xbfc90fda, v28, |v10|
	v_cvt_i32_f32_e32 v23, v28
	v_fmac_f32_e32 v22, 0xb3a22168, v28
	s_delay_alu instid0(VALU_DEP_1)
	v_fmac_f32_e32 v22, 0xa7c234c4, v28
; %bb.153:                              ;   in Loop: Header=BB351_133 Depth=2
	s_or_b32 exec_lo, exec_lo, s3
                                        ; implicit-def: $vgpr27
                                        ; implicit-def: $vgpr0
	s_and_saveexec_b32 s3, s36
	s_delay_alu instid0(SALU_CYCLE_1)
	s_xor_b32 s36, exec_lo, s3
	s_cbranch_execz .LBB351_155
; %bb.154:                              ;   in Loop: Header=BB351_133 Depth=2
	v_mad_u64_u32 v[27:28], null, 0xfe5163ab, v25, 0
	v_cmp_lt_u32_e32 vcc_lo, 63, v26
	v_cndmask_b32_e64 v33, 0, 0xffffffc0, vcc_lo
	s_delay_alu instid0(VALU_DEP_3) | instskip(NEXT) | instid1(VALU_DEP_2)
	v_mov_b32_e32 v0, v28
	v_add_nc_u32_e32 v26, v33, v26
	s_delay_alu instid0(VALU_DEP_2) | instskip(NEXT) | instid1(VALU_DEP_2)
	v_mad_u64_u32 v[28:29], null, 0x3c439041, v25, v[0:1]
	v_cmp_lt_u32_e64 s3, 31, v26
	s_delay_alu instid0(VALU_DEP_2) | instskip(NEXT) | instid1(VALU_DEP_2)
	v_mov_b32_e32 v0, v29
	v_cndmask_b32_e64 v34, 0, 0xffffffe0, s3
	s_delay_alu instid0(VALU_DEP_2) | instskip(NEXT) | instid1(VALU_DEP_2)
	v_mad_u64_u32 v[29:30], null, 0xdb629599, v25, v[0:1]
	v_add_nc_u32_e32 v26, v34, v26
	s_delay_alu instid0(VALU_DEP_1) | instskip(NEXT) | instid1(VALU_DEP_3)
	v_cmp_lt_u32_e64 s4, 31, v26
	v_dual_mov_b32 v0, v30 :: v_dual_cndmask_b32 v27, v29, v27
	s_delay_alu instid0(VALU_DEP_1) | instskip(NEXT) | instid1(VALU_DEP_1)
	v_mad_u64_u32 v[30:31], null, 0xf534ddc0, v25, v[0:1]
	v_mov_b32_e32 v0, v31
	s_delay_alu instid0(VALU_DEP_1) | instskip(NEXT) | instid1(VALU_DEP_1)
	v_mad_u64_u32 v[31:32], null, 0xfc2757d1, v25, v[0:1]
	v_mov_b32_e32 v0, v32
	;; [unrolled: 3-line block ×3, first 2 shown]
	s_delay_alu instid0(VALU_DEP_1) | instskip(SKIP_1) | instid1(VALU_DEP_4)
	v_mad_u64_u32 v[33:34], null, 0xa2f9836e, v25, v[0:1]
	v_cndmask_b32_e64 v0, 0, 0xffffffe0, s4
	v_cndmask_b32_e32 v25, v32, v30, vcc_lo
	s_delay_alu instid0(VALU_DEP_2) | instskip(NEXT) | instid1(VALU_DEP_4)
	v_dual_cndmask_b32 v33, v33, v31 :: v_dual_add_nc_u32 v0, v0, v26
	v_dual_cndmask_b32 v32, v34, v32 :: v_dual_cndmask_b32 v31, v31, v29
	v_cndmask_b32_e32 v26, v30, v28, vcc_lo
	s_delay_alu instid0(VALU_DEP_3) | instskip(NEXT) | instid1(VALU_DEP_4)
	v_cmp_eq_u32_e64 s5, 0, v0
	v_cndmask_b32_e64 v28, v33, v25, s3
	s_delay_alu instid0(VALU_DEP_4)
	v_cndmask_b32_e64 v30, v32, v33, s3
	v_cndmask_b32_e64 v25, v25, v31, s3
	v_sub_nc_u32_e32 v32, 32, v0
	v_cndmask_b32_e64 v31, v31, v26, s3
	v_cndmask_b32_e64 v26, v26, v27, s3
	;; [unrolled: 1-line block ×4, first 2 shown]
	s_delay_alu instid0(VALU_DEP_4) | instskip(NEXT) | instid1(VALU_DEP_4)
	v_cndmask_b32_e64 v25, v25, v31, s4
	v_cndmask_b32_e64 v26, v31, v26, s4
	s_delay_alu instid0(VALU_DEP_3) | instskip(NEXT) | instid1(VALU_DEP_3)
	v_alignbit_b32 v33, v30, v28, v32
	v_alignbit_b32 v34, v28, v25, v32
	s_delay_alu instid0(VALU_DEP_3) | instskip(NEXT) | instid1(VALU_DEP_3)
	v_alignbit_b32 v32, v25, v26, v32
	v_cndmask_b32_e64 v0, v33, v30, s5
	s_delay_alu instid0(VALU_DEP_3) | instskip(NEXT) | instid1(VALU_DEP_3)
	v_cndmask_b32_e64 v28, v34, v28, s5
	v_cndmask_b32_e64 v25, v32, v25, s5
	s_delay_alu instid0(VALU_DEP_3) | instskip(NEXT) | instid1(VALU_DEP_3)
	v_bfe_u32 v29, v0, 29, 1
	v_alignbit_b32 v27, v0, v28, 30
	s_delay_alu instid0(VALU_DEP_3) | instskip(SKIP_1) | instid1(VALU_DEP_4)
	v_alignbit_b32 v28, v28, v25, 30
	v_alignbit_b32 v25, v25, v26, 30
	v_sub_nc_u32_e32 v30, 0, v29
	s_delay_alu instid0(VALU_DEP_1) | instskip(SKIP_3) | instid1(VALU_DEP_4)
	v_xor_b32_e32 v31, v27, v30
	v_cmp_ne_u32_e32 vcc_lo, v27, v30
	v_xor_b32_e32 v26, v28, v30
	v_xor_b32_e32 v25, v25, v30
	v_clz_i32_u32_e32 v33, v31
	s_delay_alu instid0(VALU_DEP_1) | instskip(NEXT) | instid1(VALU_DEP_1)
	v_add_nc_u32_e32 v32, 1, v33
	v_cndmask_b32_e32 v27, 33, v32, vcc_lo
	s_delay_alu instid0(VALU_DEP_1) | instskip(NEXT) | instid1(VALU_DEP_1)
	v_sub_nc_u32_e32 v28, 32, v27
	v_alignbit_b32 v30, v31, v26, v28
	v_alignbit_b32 v25, v26, v25, v28
	v_lshrrev_b32_e32 v26, 29, v0
	s_delay_alu instid0(VALU_DEP_2) | instskip(NEXT) | instid1(VALU_DEP_2)
	v_alignbit_b32 v28, v30, v25, 9
	v_lshlrev_b32_e32 v26, 31, v26
	v_alignbit_b32 v30, v27, v30, 9
	s_delay_alu instid0(VALU_DEP_3) | instskip(NEXT) | instid1(VALU_DEP_2)
	v_clz_i32_u32_e32 v31, v28
	v_or_b32_e32 v30, v30, v26
	v_or_b32_e32 v26, 0x33800000, v26
	s_delay_alu instid0(VALU_DEP_3) | instskip(NEXT) | instid1(VALU_DEP_3)
	v_min_u32_e32 v31, 32, v31
	v_xor_b32_e32 v30, 1.0, v30
	s_delay_alu instid0(VALU_DEP_2) | instskip(SKIP_1) | instid1(VALU_DEP_3)
	v_sub_nc_u32_e32 v32, 31, v31
	v_add_lshl_u32 v27, v31, v27, 23
	v_mul_f32_e32 v31, 0x3fc90fda, v30
	s_delay_alu instid0(VALU_DEP_3) | instskip(NEXT) | instid1(VALU_DEP_3)
	v_alignbit_b32 v25, v28, v25, v32
	v_sub_nc_u32_e32 v26, v26, v27
	s_delay_alu instid0(VALU_DEP_3) | instskip(NEXT) | instid1(VALU_DEP_3)
	v_fma_f32 v27, 0x3fc90fda, v30, -v31
                                        ; implicit-def: $vgpr28
	v_lshrrev_b32_e32 v25, 9, v25
	s_delay_alu instid0(VALU_DEP_2) | instskip(NEXT) | instid1(VALU_DEP_2)
	v_fmac_f32_e32 v27, 0x33a22168, v30
	v_or_b32_e32 v25, v26, v25
	s_delay_alu instid0(VALU_DEP_1) | instskip(SKIP_1) | instid1(VALU_DEP_1)
	v_fmac_f32_e32 v27, 0x3fc90fda, v25
	v_lshrrev_b32_e32 v25, 30, v0
	v_dual_add_f32 v0, v31, v27 :: v_dual_add_nc_u32 v27, v29, v25
	s_and_not1_saveexec_b32 s3, s36
	s_cbranch_execnz .LBB351_156
	s_branch .LBB351_157
.LBB351_155:                            ;   in Loop: Header=BB351_133 Depth=2
	s_and_not1_saveexec_b32 s3, s36
.LBB351_156:                            ;   in Loop: Header=BB351_133 Depth=2
	v_fma_f32 v0, 0xbfc90fda, v28, |v10|
	v_cvt_i32_f32_e32 v27, v28
	s_delay_alu instid0(VALU_DEP_2) | instskip(NEXT) | instid1(VALU_DEP_1)
	v_fmac_f32_e32 v0, 0xb3a22168, v28
	v_fmac_f32_e32 v0, 0xa7c234c4, v28
.LBB351_157:                            ;   in Loop: Header=BB351_133 Depth=2
	s_or_b32 exec_lo, exec_lo, s3
	v_dual_sub_f32 v24, v24, v8 :: v_dual_lshlrev_b32 v25, 30, v23
	v_dual_mul_f32 v28, v22, v22 :: v_dual_and_b32 v23, 1, v23
	s_delay_alu instid0(VALU_DEP_3) | instskip(NEXT) | instid1(VALU_DEP_3)
	v_mul_f32_e32 v29, v0, v0
	v_mul_f32_e32 v26, 0x3fb8aa3b, v24
	v_and_b32_e32 v30, 1, v27
	s_delay_alu instid0(VALU_DEP_4)
	v_cmp_eq_u32_e32 vcc_lo, 0, v23
	v_fmaak_f32 v33, s28, v28, 0xbab64f3b
	v_dual_fmaak_f32 v34, s29, v28, 0x3c0881c4 :: v_dual_fmaak_f32 v35, s29, v29, 0x3c0881c4
	v_fma_f32 v31, 0x3fb8aa3b, v24, -v26
	v_rndne_f32_e32 v32, v26
	v_dual_fmaak_f32 v36, s28, v29, 0xbab64f3b :: v_dual_lshlrev_b32 v27, 30, v27
	v_xor_b32_e32 v11, v11, v10
	s_delay_alu instid0(VALU_DEP_4) | instskip(NEXT) | instid1(VALU_DEP_4)
	v_fmac_f32_e32 v31, 0x32a5705f, v24
	v_dual_sub_f32 v26, v26, v32 :: v_dual_and_b32 v25, 0x80000000, v25
	v_cvt_i32_f32_e32 v32, v32
	v_cmp_nlt_f32_e64 s3, 0x42b17218, v24
	s_delay_alu instid0(VALU_DEP_3) | instskip(SKIP_1) | instid1(VALU_DEP_2)
	v_dual_add_f32 v26, v26, v31 :: v_dual_fmaak_f32 v31, v28, v33, 0x3d2aabf7
	v_dual_fmaak_f32 v33, v28, v34, 0xbe2aaa9d :: v_dual_fmaak_f32 v34, v29, v35, 0xbe2aaa9d
	v_exp_f32_e32 v26, v26
	s_delay_alu instid0(VALU_DEP_2) | instskip(NEXT) | instid1(VALU_DEP_2)
	v_fmaak_f32 v31, v28, v31, 0xbf000004
	v_dual_mul_f32 v33, v28, v33 :: v_dual_mul_f32 v34, v29, v34
	v_fmaak_f32 v35, v29, v36, 0x3d2aabf7
	v_and_b32_e32 v27, 0x80000000, v27
	s_delay_alu instid0(VALU_DEP_4) | instskip(NEXT) | instid1(VALU_DEP_4)
	v_fma_f32 v28, v28, v31, 1.0
	v_fmac_f32_e32 v22, v22, v33
	s_delay_alu instid0(VALU_DEP_4) | instskip(NEXT) | instid1(TRANS32_DEP_1)
	v_dual_fmac_f32 v0, v0, v34 :: v_dual_fmaak_f32 v35, v29, v35, 0xbf000004
	v_ldexp_f32 v26, v26, v32
	s_delay_alu instid0(VALU_DEP_3) | instskip(SKIP_1) | instid1(VALU_DEP_4)
	v_cndmask_b32_e64 v22, -v22, v28, vcc_lo
	v_cmp_eq_u32_e32 vcc_lo, 0, v30
	v_fma_f32 v29, v29, v35, 1.0
	s_delay_alu instid0(VALU_DEP_3) | instskip(NEXT) | instid1(VALU_DEP_2)
	v_xor_b32_e32 v22, v25, v22
	v_cndmask_b32_e32 v0, v29, v0, vcc_lo
	v_cmp_ngt_f32_e32 vcc_lo, 0xc2ce8ed0, v24
	s_delay_alu instid0(VALU_DEP_2) | instskip(SKIP_2) | instid1(VALU_DEP_2)
	v_xor3_b32 v0, v11, v27, v0
	v_cndmask_b32_e32 v23, 0, v26, vcc_lo
	v_cmp_class_f32_e64 vcc_lo, v10, 0x1f8
	v_cndmask_b32_e64 v24, 0x7f800000, v23, s3
	v_cndmask_b32_e32 v22, 0x7fc00000, v22, vcc_lo
	s_delay_alu instid0(VALU_DEP_1) | instskip(NEXT) | instid1(VALU_DEP_1)
	v_dual_cndmask_b32 v0, 0x7fc00000, v0 :: v_dual_mul_f32 v23, v24, v22
	v_mul_f32_e32 v0, v24, v0
	s_delay_alu instid0(VALU_DEP_1) | instskip(NEXT) | instid1(VALU_DEP_1)
	v_max_f32_e64 v25, |v23|, |v0|
	v_cvt_f64_f32_e32 v[10:11], v25
	v_cmp_eq_f32_e32 vcc_lo, 0x7f800000, v25
	s_delay_alu instid0(VALU_DEP_2) | instskip(NEXT) | instid1(VALU_DEP_1)
	v_frexp_exp_i32_f64_e32 v10, v[10:11]
	v_sub_nc_u32_e32 v11, 0, v10
	s_delay_alu instid0(VALU_DEP_1) | instskip(SKIP_1) | instid1(VALU_DEP_2)
	v_ldexp_f32 v26, |v0|, v11
	v_ldexp_f32 v11, |v23|, v11
	v_mul_f32_e32 v26, v26, v26
	s_delay_alu instid0(VALU_DEP_1) | instskip(NEXT) | instid1(VALU_DEP_1)
	v_fmac_f32_e32 v26, v11, v11
	v_sqrt_f32_e32 v11, v26
	s_waitcnt_depctr 0xfff
	v_ldexp_f32 v11, v11, v10
	v_fma_f32 v10, v24, v22, 1.0
	s_delay_alu instid0(VALU_DEP_2) | instskip(NEXT) | instid1(VALU_DEP_2)
	v_cmp_ngt_f32_e64 s3, 0.5, v11
	v_max_f32_e64 v11, |v10|, |v0|
	s_delay_alu instid0(VALU_DEP_2) | instskip(NEXT) | instid1(SALU_CYCLE_1)
	s_or_b32 s3, vcc_lo, s3
	s_and_saveexec_b32 s4, s3
	s_delay_alu instid0(SALU_CYCLE_1)
	s_xor_b32 s4, exec_lo, s4
	s_cbranch_execz .LBB351_159
; %bb.158:                              ;   in Loop: Header=BB351_133 Depth=2
	v_cvt_f64_f32_e32 v[22:23], v11
	v_cmp_neq_f32_e32 vcc_lo, 0x7f800000, v11
	s_delay_alu instid0(VALU_DEP_2) | instskip(NEXT) | instid1(VALU_DEP_1)
	v_frexp_exp_i32_f64_e32 v22, v[22:23]
	v_sub_nc_u32_e32 v23, 0, v22
	s_delay_alu instid0(VALU_DEP_1) | instskip(SKIP_1) | instid1(VALU_DEP_2)
	v_ldexp_f32 v24, |v0|, v23
	v_ldexp_f32 v23, |v10|, v23
	v_mul_f32_e32 v24, v24, v24
	s_delay_alu instid0(VALU_DEP_1) | instskip(NEXT) | instid1(VALU_DEP_1)
	v_fmac_f32_e32 v24, v23, v23
	v_sqrt_f32_e32 v23, v24
	s_waitcnt_depctr 0xfff
	v_ldexp_f32 v22, v23, v22
	s_delay_alu instid0(VALU_DEP_1) | instskip(NEXT) | instid1(VALU_DEP_1)
	v_cndmask_b32_e32 v22, 0x7f800000, v22, vcc_lo
	v_cmp_gt_f32_e32 vcc_lo, 0x800000, v22
	v_cndmask_b32_e64 v23, 1.0, 0x4f800000, vcc_lo
	s_delay_alu instid0(VALU_DEP_1) | instskip(NEXT) | instid1(VALU_DEP_1)
	v_mul_f32_e32 v22, v22, v23
	v_log_f32_e32 v22, v22
	s_waitcnt_depctr 0xfff
	v_mul_f32_e32 v23, 0x3f317217, v22
	v_cmp_gt_f32_e64 s3, 0x7f800000, |v22|
	s_delay_alu instid0(VALU_DEP_2) | instskip(NEXT) | instid1(VALU_DEP_1)
	v_fma_f32 v24, 0x3f317217, v22, -v23
	v_fmac_f32_e32 v24, 0x3377d1cf, v22
	s_delay_alu instid0(VALU_DEP_1) | instskip(NEXT) | instid1(VALU_DEP_1)
	v_add_f32_e32 v23, v23, v24
	v_cndmask_b32_e64 v22, v22, v23, s3
	v_cndmask_b32_e64 v23, 0, 0x41b17218, vcc_lo
	s_delay_alu instid0(VALU_DEP_1)
	v_sub_f32_e32 v23, v22, v23
.LBB351_159:                            ;   in Loop: Header=BB351_133 Depth=2
	s_and_not1_saveexec_b32 s3, s4
	s_cbranch_execz .LBB351_163
; %bb.160:                              ;   in Loop: Header=BB351_133 Depth=2
	s_delay_alu instid0(VALU_DEP_1) | instskip(SKIP_2) | instid1(VALU_DEP_1)
	v_add_f32_e32 v24, 2.0, v23
	v_mul_f32_e32 v22, v0, v0
	s_mov_b32 s4, exec_lo
	v_fmac_f32_e32 v22, v23, v24
	s_delay_alu instid0(VALU_DEP_1)
	v_cmpx_neq_f32_e32 0, v22
	s_cbranch_execz .LBB351_162
; %bb.161:                              ;   in Loop: Header=BB351_133 Depth=2
	v_add_f32_e32 v25, 1.0, v22
	s_delay_alu instid0(VALU_DEP_1) | instskip(NEXT) | instid1(VALU_DEP_1)
	v_cvt_f64_f32_e32 v[23:24], v25
	v_frexp_exp_i32_f64_e32 v23, v[23:24]
	v_frexp_mant_f32_e32 v24, v25
	s_delay_alu instid0(VALU_DEP_1) | instskip(SKIP_1) | instid1(VALU_DEP_1)
	v_cmp_gt_f32_e32 vcc_lo, 0x3f2aaaab, v24
	v_add_f32_e32 v24, -1.0, v25
	v_sub_f32_e32 v27, v24, v25
	s_delay_alu instid0(VALU_DEP_1) | instskip(SKIP_2) | instid1(VALU_DEP_2)
	v_dual_add_f32 v27, 1.0, v27 :: v_dual_sub_f32 v24, v22, v24
	v_subrev_co_ci_u32_e32 v23, vcc_lo, 0, v23, vcc_lo
	v_cmp_eq_f32_e32 vcc_lo, 0x7f800000, v22
	v_sub_nc_u32_e32 v26, 0, v23
	v_cvt_f32_i32_e32 v23, v23
	s_delay_alu instid0(VALU_DEP_2) | instskip(NEXT) | instid1(VALU_DEP_1)
	v_ldexp_f32 v25, v25, v26
	v_add_f32_e32 v28, 1.0, v25
	s_delay_alu instid0(VALU_DEP_1) | instskip(NEXT) | instid1(VALU_DEP_1)
	v_dual_add_f32 v24, v24, v27 :: v_dual_add_f32 v27, -1.0, v28
	v_ldexp_f32 v24, v24, v26
	s_delay_alu instid0(VALU_DEP_2) | instskip(NEXT) | instid1(VALU_DEP_1)
	v_dual_sub_f32 v27, v25, v27 :: v_dual_add_f32 v26, -1.0, v25
	v_add_f32_e32 v27, v24, v27
	s_delay_alu instid0(VALU_DEP_2) | instskip(NEXT) | instid1(VALU_DEP_1)
	v_add_f32_e32 v29, 1.0, v26
	v_sub_f32_e32 v25, v25, v29
	s_delay_alu instid0(VALU_DEP_1) | instskip(NEXT) | instid1(VALU_DEP_1)
	v_add_f32_e32 v24, v24, v25
	v_dual_add_f32 v30, v26, v24 :: v_dual_add_f32 v29, v28, v27
	s_delay_alu instid0(VALU_DEP_1) | instskip(NEXT) | instid1(VALU_DEP_2)
	v_sub_f32_e32 v26, v30, v26
	v_rcp_f32_e32 v25, v29
	v_sub_f32_e32 v28, v29, v28
	s_delay_alu instid0(VALU_DEP_1) | instskip(SKIP_2) | instid1(VALU_DEP_1)
	v_dual_sub_f32 v24, v24, v26 :: v_dual_sub_f32 v27, v27, v28
	s_waitcnt_depctr 0xfff
	v_mul_f32_e32 v31, v30, v25
	v_mul_f32_e32 v32, v29, v31
	s_delay_alu instid0(VALU_DEP_1) | instskip(NEXT) | instid1(VALU_DEP_1)
	v_fma_f32 v28, v31, v29, -v32
	v_fmac_f32_e32 v28, v31, v27
	s_delay_alu instid0(VALU_DEP_1) | instskip(NEXT) | instid1(VALU_DEP_1)
	v_add_f32_e32 v33, v32, v28
	v_sub_f32_e32 v34, v30, v33
	v_sub_f32_e32 v26, v33, v32
	s_delay_alu instid0(VALU_DEP_2) | instskip(NEXT) | instid1(VALU_DEP_2)
	v_sub_f32_e32 v30, v30, v34
	v_sub_f32_e32 v26, v26, v28
	s_delay_alu instid0(VALU_DEP_2) | instskip(NEXT) | instid1(VALU_DEP_1)
	v_sub_f32_e32 v30, v30, v33
	v_add_f32_e32 v24, v24, v30
	s_delay_alu instid0(VALU_DEP_1) | instskip(NEXT) | instid1(VALU_DEP_1)
	v_add_f32_e32 v24, v26, v24
	v_add_f32_e32 v26, v34, v24
	s_delay_alu instid0(VALU_DEP_1) | instskip(NEXT) | instid1(VALU_DEP_1)
	v_mul_f32_e32 v28, v25, v26
	v_dual_sub_f32 v33, v34, v26 :: v_dual_mul_f32 v30, v29, v28
	s_delay_alu instid0(VALU_DEP_1) | instskip(NEXT) | instid1(VALU_DEP_2)
	v_add_f32_e32 v24, v24, v33
	v_fma_f32 v29, v28, v29, -v30
	s_delay_alu instid0(VALU_DEP_1) | instskip(NEXT) | instid1(VALU_DEP_1)
	v_fmac_f32_e32 v29, v28, v27
	v_add_f32_e32 v27, v30, v29
	s_delay_alu instid0(VALU_DEP_1) | instskip(SKIP_1) | instid1(VALU_DEP_2)
	v_sub_f32_e32 v32, v26, v27
	v_sub_f32_e32 v30, v27, v30
	v_sub_f32_e32 v26, v26, v32
	s_delay_alu instid0(VALU_DEP_1) | instskip(NEXT) | instid1(VALU_DEP_1)
	v_sub_f32_e32 v26, v26, v27
	v_dual_sub_f32 v27, v30, v29 :: v_dual_add_f32 v24, v24, v26
	v_add_f32_e32 v26, v31, v28
	s_delay_alu instid0(VALU_DEP_1) | instskip(NEXT) | instid1(VALU_DEP_1)
	v_dual_add_f32 v24, v27, v24 :: v_dual_sub_f32 v27, v26, v31
	v_add_f32_e32 v24, v32, v24
	s_delay_alu instid0(VALU_DEP_1) | instskip(NEXT) | instid1(VALU_DEP_1)
	v_dual_sub_f32 v27, v28, v27 :: v_dual_mul_f32 v24, v25, v24
	v_add_f32_e32 v24, v27, v24
	s_delay_alu instid0(VALU_DEP_1) | instskip(NEXT) | instid1(VALU_DEP_1)
	v_add_f32_e32 v25, v26, v24
	v_mul_f32_e32 v27, v25, v25
	s_delay_alu instid0(VALU_DEP_1) | instskip(SKIP_1) | instid1(VALU_DEP_2)
	v_fmaak_f32 v28, s30, v27, 0x3ecc95a3
	v_mul_f32_e32 v29, v25, v27
	v_fmaak_f32 v27, v27, v28, 0x3f2aaada
	v_ldexp_f32 v28, v25, 1
	v_sub_f32_e32 v25, v25, v26
	s_delay_alu instid0(VALU_DEP_3) | instskip(NEXT) | instid1(VALU_DEP_2)
	v_mul_f32_e32 v27, v29, v27
	v_dual_mul_f32 v29, 0x3f317218, v23 :: v_dual_sub_f32 v24, v24, v25
	s_delay_alu instid0(VALU_DEP_2) | instskip(NEXT) | instid1(VALU_DEP_2)
	v_add_f32_e32 v26, v28, v27
	v_ldexp_f32 v24, v24, 1
	s_delay_alu instid0(VALU_DEP_2) | instskip(NEXT) | instid1(VALU_DEP_4)
	v_sub_f32_e32 v25, v26, v28
	v_fma_f32 v28, 0x3f317218, v23, -v29
	s_delay_alu instid0(VALU_DEP_1) | instskip(NEXT) | instid1(VALU_DEP_1)
	v_dual_sub_f32 v25, v27, v25 :: v_dual_fmac_f32 v28, 0xb102e308, v23
	v_add_f32_e32 v23, v24, v25
	s_delay_alu instid0(VALU_DEP_1) | instskip(NEXT) | instid1(VALU_DEP_1)
	v_add_f32_e32 v25, v26, v23
	v_sub_f32_e32 v26, v25, v26
	s_delay_alu instid0(VALU_DEP_1) | instskip(NEXT) | instid1(VALU_DEP_1)
	v_dual_sub_f32 v23, v23, v26 :: v_dual_add_f32 v24, v29, v28
	v_add_f32_e32 v27, v24, v25
	s_delay_alu instid0(VALU_DEP_1) | instskip(NEXT) | instid1(VALU_DEP_1)
	v_dual_sub_f32 v29, v24, v29 :: v_dual_sub_f32 v30, v27, v24
	v_dual_sub_f32 v28, v28, v29 :: v_dual_sub_f32 v31, v27, v30
	s_delay_alu instid0(VALU_DEP_1) | instskip(NEXT) | instid1(VALU_DEP_2)
	v_dual_sub_f32 v25, v25, v30 :: v_dual_add_f32 v26, v28, v23
	v_sub_f32_e32 v24, v24, v31
	s_delay_alu instid0(VALU_DEP_1) | instskip(NEXT) | instid1(VALU_DEP_3)
	v_add_f32_e32 v24, v25, v24
	v_sub_f32_e32 v25, v26, v28
	s_delay_alu instid0(VALU_DEP_2) | instskip(NEXT) | instid1(VALU_DEP_2)
	v_add_f32_e32 v24, v26, v24
	v_sub_f32_e32 v26, v26, v25
	v_sub_f32_e32 v23, v23, v25
	s_delay_alu instid0(VALU_DEP_2) | instskip(NEXT) | instid1(VALU_DEP_1)
	v_dual_add_f32 v29, v27, v24 :: v_dual_sub_f32 v26, v28, v26
	v_sub_f32_e32 v25, v29, v27
	s_delay_alu instid0(VALU_DEP_1) | instskip(NEXT) | instid1(VALU_DEP_1)
	v_dual_add_f32 v23, v23, v26 :: v_dual_sub_f32 v24, v24, v25
	v_add_f32_e32 v23, v23, v24
	s_delay_alu instid0(VALU_DEP_1) | instskip(NEXT) | instid1(VALU_DEP_1)
	v_add_f32_e32 v23, v29, v23
	v_cndmask_b32_e32 v23, v23, v22, vcc_lo
	v_cmp_ngt_f32_e32 vcc_lo, -1.0, v22
	s_delay_alu instid0(VALU_DEP_2) | instskip(SKIP_1) | instid1(VALU_DEP_2)
	v_cndmask_b32_e32 v23, 0x7fc00000, v23, vcc_lo
	v_cmp_neq_f32_e32 vcc_lo, -1.0, v22
	v_cndmask_b32_e32 v23, 0xff800000, v23, vcc_lo
	v_cmp_gt_f32_e64 vcc_lo, 0x33800000, |v22|
	s_delay_alu instid0(VALU_DEP_2) | instskip(NEXT) | instid1(VALU_DEP_1)
	v_cndmask_b32_e32 v22, v23, v22, vcc_lo
	v_mul_f32_e32 v23, 0.5, v22
.LBB351_162:                            ;   in Loop: Header=BB351_133 Depth=2
	s_or_b32 exec_lo, exec_lo, s4
.LBB351_163:                            ;   in Loop: Header=BB351_133 Depth=2
	s_delay_alu instid0(SALU_CYCLE_1)
	s_or_b32 exec_lo, exec_lo, s3
	v_max_f32_e64 v22, |v0|, |v0|
	v_max_f32_e64 v24, |v10|, |v10|
	v_frexp_mant_f32_e32 v25, v11
	v_frexp_exp_i32_f32_e32 v11, v11
	v_cmp_gt_f32_e64 vcc_lo, |v0|, |v10|
	v_cmp_gt_i32_e64 s3, 0, v10
	v_min_f32_e32 v22, v24, v22
	v_rcp_f32_e32 v24, v25
	v_cmp_class_f32_e64 s4, v10, 0x204
	s_delay_alu instid0(VALU_DEP_2)
	v_frexp_mant_f32_e32 v25, v22
	v_frexp_exp_i32_f32_e32 v22, v22
	s_waitcnt_depctr 0xfff
	v_mul_f32_e32 v24, v25, v24
	v_sub_nc_u32_e32 v11, v22, v11
	v_cndmask_b32_e64 v25, 0, 0x40490fdb, s3
	v_cmp_class_f32_e64 s3, v0, 0x204
	s_delay_alu instid0(VALU_DEP_3) | instskip(NEXT) | instid1(VALU_DEP_1)
	v_ldexp_f32 v11, v24, v11
	v_mul_f32_e32 v22, v11, v11
	s_delay_alu instid0(VALU_DEP_1) | instskip(NEXT) | instid1(VALU_DEP_1)
	v_fmaak_f32 v24, s31, v22, 0xbc7a590c
	v_fmaak_f32 v24, v22, v24, 0x3d29fb3f
	s_delay_alu instid0(VALU_DEP_1) | instskip(NEXT) | instid1(VALU_DEP_1)
	v_fmaak_f32 v24, v22, v24, 0xbd97d4d7
	v_fmaak_f32 v24, v22, v24, 0x3dd931b2
	s_delay_alu instid0(VALU_DEP_1) | instskip(NEXT) | instid1(VALU_DEP_1)
	v_fmaak_f32 v24, v22, v24, 0xbe1160e6
	v_fmaak_f32 v24, v22, v24, 0x3e4cb8bf
	s_delay_alu instid0(VALU_DEP_1) | instskip(NEXT) | instid1(VALU_DEP_1)
	v_fmaak_f32 v24, v22, v24, 0xbeaaaa62
	v_mul_f32_e32 v22, v22, v24
	s_delay_alu instid0(VALU_DEP_1) | instskip(NEXT) | instid1(VALU_DEP_1)
	v_fmac_f32_e32 v11, v11, v22
	v_sub_f32_e32 v22, 0x3fc90fdb, v11
	s_delay_alu instid0(VALU_DEP_1) | instskip(SKIP_1) | instid1(VALU_DEP_2)
	v_cndmask_b32_e32 v11, v11, v22, vcc_lo
	v_cmp_gt_f32_e32 vcc_lo, 0, v10
	v_sub_f32_e32 v22, 0x40490fdb, v11
	v_cndmask_b32_e32 v24, 0x3f490fdb, v17, vcc_lo
	s_delay_alu instid0(VALU_DEP_2) | instskip(SKIP_1) | instid1(VALU_DEP_2)
	v_cndmask_b32_e32 v11, v11, v22, vcc_lo
	v_cmp_eq_f32_e32 vcc_lo, 0, v0
	v_cndmask_b32_e32 v11, v11, v25, vcc_lo
	s_and_b32 vcc_lo, s4, s3
	s_delay_alu instid0(VALU_DEP_1) | instskip(SKIP_2) | instid1(VALU_DEP_3)
	v_cndmask_b32_e32 v11, v11, v24, vcc_lo
	v_cmp_o_f32_e32 vcc_lo, v10, v0
	v_add_f32_e32 v24, v8, v23
                                        ; implicit-def: $vgpr23
	v_cndmask_b32_e32 v10, 0x7fc00000, v11, vcc_lo
	s_delay_alu instid0(VALU_DEP_1) | instskip(NEXT) | instid1(VALU_DEP_1)
	v_bfi_b32 v0, 0x7fffffff, v10, v0
	v_add_f32_e32 v22, v9, v0
                                        ; implicit-def: $vgpr9
.LBB351_164:                            ;   in Loop: Header=BB351_133 Depth=2
	s_and_not1_saveexec_b32 s35, s35
	s_cbranch_execz .LBB351_190
; %bb.165:                              ;   in Loop: Header=BB351_133 Depth=2
	s_mov_b32 s36, exec_lo
	v_cmpx_ngt_f32_e32 0, v24
	s_cbranch_execz .LBB351_189
; %bb.166:                              ;   in Loop: Header=BB351_133 Depth=2
	v_and_b32_e32 v8, 0x7fffffff, v22
	v_cmp_ngt_f32_e64 s37, 0x48000000, |v22|
                                        ; implicit-def: $vgpr11
                                        ; implicit-def: $vgpr10
	s_delay_alu instid0(VALU_DEP_2) | instskip(SKIP_1) | instid1(VALU_DEP_2)
	v_lshrrev_b32_e32 v0, 23, v8
	v_and_or_b32 v25, v8, s24, 0x800000
	v_add_nc_u32_e32 v27, 0xffffff88, v0
	s_delay_alu instid0(VALU_DEP_4) | instskip(NEXT) | instid1(SALU_CYCLE_1)
	s_and_saveexec_b32 s3, s37
	s_xor_b32 s38, exec_lo, s3
	s_cbranch_execz .LBB351_168
; %bb.167:                              ;   in Loop: Header=BB351_133 Depth=2
	v_mad_u64_u32 v[10:11], null, 0xfe5163ab, v25, 0
	v_cmp_lt_u32_e32 vcc_lo, 63, v27
	s_delay_alu instid0(VALU_DEP_2) | instskip(SKIP_1) | instid1(VALU_DEP_1)
	v_mov_b32_e32 v0, v11
	v_cndmask_b32_e64 v11, 0, 0xffffffc0, vcc_lo
	v_add_nc_u32_e32 v11, v11, v27
	s_delay_alu instid0(VALU_DEP_1) | instskip(NEXT) | instid1(VALU_DEP_1)
	v_cmp_lt_u32_e64 s3, 31, v11
	v_cndmask_b32_e64 v24, 0, 0xffffffe0, s3
	s_delay_alu instid0(VALU_DEP_1) | instskip(SKIP_1) | instid1(VALU_DEP_2)
	v_add_nc_u32_e32 v11, v24, v11
	v_mad_u64_u32 v[28:29], null, 0x3c439041, v25, v[0:1]
	v_cmp_lt_u32_e64 s4, 31, v11
	s_delay_alu instid0(VALU_DEP_2) | instskip(NEXT) | instid1(VALU_DEP_1)
	v_mov_b32_e32 v0, v29
	v_mad_u64_u32 v[29:30], null, 0xdb629599, v25, v[0:1]
	s_delay_alu instid0(VALU_DEP_1) | instskip(NEXT) | instid1(VALU_DEP_2)
	v_mov_b32_e32 v0, v30
	v_cndmask_b32_e32 v10, v29, v10, vcc_lo
	s_delay_alu instid0(VALU_DEP_2) | instskip(NEXT) | instid1(VALU_DEP_1)
	v_mad_u64_u32 v[30:31], null, 0xf534ddc0, v25, v[0:1]
	v_mov_b32_e32 v0, v31
	s_delay_alu instid0(VALU_DEP_1) | instskip(NEXT) | instid1(VALU_DEP_1)
	v_mad_u64_u32 v[31:32], null, 0xfc2757d1, v25, v[0:1]
	v_mov_b32_e32 v0, v32
	s_delay_alu instid0(VALU_DEP_1) | instskip(NEXT) | instid1(VALU_DEP_1)
	v_mad_u64_u32 v[32:33], null, 0x4e441529, v25, v[0:1]
	v_mov_b32_e32 v0, v33
	s_delay_alu instid0(VALU_DEP_2) | instskip(NEXT) | instid1(VALU_DEP_2)
	v_cndmask_b32_e32 v24, v32, v30, vcc_lo
	v_mad_u64_u32 v[33:34], null, 0xa2f9836e, v25, v[0:1]
	v_cndmask_b32_e64 v0, 0, 0xffffffe0, s4
	s_delay_alu instid0(VALU_DEP_1) | instskip(NEXT) | instid1(VALU_DEP_3)
	v_dual_cndmask_b32 v11, v30, v28 :: v_dual_add_nc_u32 v0, v0, v11
	v_cndmask_b32_e32 v26, v33, v31, vcc_lo
	s_delay_alu instid0(VALU_DEP_4) | instskip(NEXT) | instid1(VALU_DEP_3)
	v_dual_cndmask_b32 v32, v34, v32 :: v_dual_cndmask_b32 v31, v31, v29
	v_sub_nc_u32_e32 v30, 32, v0
	v_cmp_eq_u32_e64 s5, 0, v0
	s_delay_alu instid0(VALU_DEP_4) | instskip(NEXT) | instid1(VALU_DEP_4)
	v_cndmask_b32_e64 v28, v26, v24, s3
	v_cndmask_b32_e64 v26, v32, v26, s3
	v_cndmask_b32_e64 v24, v24, v31, s3
	v_cndmask_b32_e64 v31, v31, v11, s3
	v_cndmask_b32_e64 v10, v11, v10, s3
	s_delay_alu instid0(VALU_DEP_4) | instskip(NEXT) | instid1(VALU_DEP_4)
	v_cndmask_b32_e64 v26, v26, v28, s4
	v_cndmask_b32_e64 v28, v28, v24, s4
	s_delay_alu instid0(VALU_DEP_4) | instskip(NEXT) | instid1(VALU_DEP_4)
	v_cndmask_b32_e64 v24, v24, v31, s4
	v_cndmask_b32_e64 v10, v31, v10, s4
	s_delay_alu instid0(VALU_DEP_3) | instskip(NEXT) | instid1(VALU_DEP_3)
	v_alignbit_b32 v32, v26, v28, v30
	v_alignbit_b32 v33, v28, v24, v30
	s_delay_alu instid0(VALU_DEP_3) | instskip(NEXT) | instid1(VALU_DEP_3)
	v_alignbit_b32 v30, v24, v10, v30
	v_cndmask_b32_e64 v0, v32, v26, s5
	s_delay_alu instid0(VALU_DEP_3) | instskip(NEXT) | instid1(VALU_DEP_3)
	v_cndmask_b32_e64 v26, v33, v28, s5
	v_cndmask_b32_e64 v24, v30, v24, s5
	s_delay_alu instid0(VALU_DEP_3) | instskip(NEXT) | instid1(VALU_DEP_3)
	v_bfe_u32 v28, v0, 29, 1
	v_alignbit_b32 v11, v0, v26, 30
	s_delay_alu instid0(VALU_DEP_3) | instskip(SKIP_1) | instid1(VALU_DEP_4)
	v_alignbit_b32 v26, v26, v24, 30
	v_alignbit_b32 v10, v24, v10, 30
	v_sub_nc_u32_e32 v29, 0, v28
	s_delay_alu instid0(VALU_DEP_1) | instskip(SKIP_3) | instid1(VALU_DEP_4)
	v_xor_b32_e32 v31, v11, v29
	v_cmp_ne_u32_e32 vcc_lo, v11, v29
	v_xor_b32_e32 v24, v26, v29
	v_xor_b32_e32 v10, v10, v29
	v_clz_i32_u32_e32 v32, v31
	s_delay_alu instid0(VALU_DEP_1) | instskip(NEXT) | instid1(VALU_DEP_1)
	v_add_nc_u32_e32 v30, 1, v32
	v_cndmask_b32_e32 v11, 33, v30, vcc_lo
	s_delay_alu instid0(VALU_DEP_1) | instskip(NEXT) | instid1(VALU_DEP_1)
	v_sub_nc_u32_e32 v26, 32, v11
	v_alignbit_b32 v29, v31, v24, v26
	v_alignbit_b32 v10, v24, v10, v26
	v_lshrrev_b32_e32 v24, 29, v0
	v_lshrrev_b32_e32 v0, 30, v0
	s_delay_alu instid0(VALU_DEP_3) | instskip(NEXT) | instid1(VALU_DEP_3)
	v_alignbit_b32 v26, v29, v10, 9
	v_lshlrev_b32_e32 v24, 31, v24
	v_alignbit_b32 v29, v11, v29, 9
	s_delay_alu instid0(VALU_DEP_3) | instskip(NEXT) | instid1(VALU_DEP_2)
	v_clz_i32_u32_e32 v30, v26
	v_or_b32_e32 v29, v29, v24
	v_or_b32_e32 v24, 0x33800000, v24
	s_delay_alu instid0(VALU_DEP_3) | instskip(NEXT) | instid1(VALU_DEP_3)
	v_min_u32_e32 v30, 32, v30
	v_xor_b32_e32 v29, 1.0, v29
	s_delay_alu instid0(VALU_DEP_2) | instskip(SKIP_1) | instid1(VALU_DEP_3)
	v_sub_nc_u32_e32 v31, 31, v30
	v_add_lshl_u32 v11, v30, v11, 23
	v_mul_f32_e32 v30, 0x3fc90fda, v29
	s_delay_alu instid0(VALU_DEP_3) | instskip(NEXT) | instid1(VALU_DEP_3)
	v_alignbit_b32 v10, v26, v10, v31
	v_sub_nc_u32_e32 v11, v24, v11
	s_delay_alu instid0(VALU_DEP_3) | instskip(NEXT) | instid1(VALU_DEP_3)
	v_fma_f32 v24, 0x3fc90fda, v29, -v30
	v_lshrrev_b32_e32 v10, 9, v10
	s_delay_alu instid0(VALU_DEP_2) | instskip(NEXT) | instid1(VALU_DEP_2)
	v_fmac_f32_e32 v24, 0x33a22168, v29
	v_or_b32_e32 v10, v11, v10
	s_delay_alu instid0(VALU_DEP_1) | instskip(NEXT) | instid1(VALU_DEP_1)
	v_dual_fmac_f32 v24, 0x3fc90fda, v10 :: v_dual_add_nc_u32 v11, v28, v0
	v_add_f32_e32 v10, v30, v24
.LBB351_168:                            ;   in Loop: Header=BB351_133 Depth=2
	s_or_saveexec_b32 s3, s38
	v_mul_f32_e64 v0, 0x3f22f983, |v22|
	s_delay_alu instid0(VALU_DEP_1)
	v_rndne_f32_e32 v0, v0
	s_xor_b32 exec_lo, exec_lo, s3
; %bb.169:                              ;   in Loop: Header=BB351_133 Depth=2
	s_delay_alu instid0(VALU_DEP_1) | instskip(SKIP_1) | instid1(VALU_DEP_2)
	v_fma_f32 v10, 0xbfc90fda, v0, |v22|
	v_cvt_i32_f32_e32 v11, v0
	v_fmac_f32_e32 v10, 0xb3a22168, v0
	s_delay_alu instid0(VALU_DEP_1)
	v_fmac_f32_e32 v10, 0xa7c234c4, v0
; %bb.170:                              ;   in Loop: Header=BB351_133 Depth=2
	s_or_b32 exec_lo, exec_lo, s3
                                        ; implicit-def: $vgpr26
                                        ; implicit-def: $vgpr24
	s_and_saveexec_b32 s3, s37
	s_delay_alu instid0(SALU_CYCLE_1)
	s_xor_b32 s37, exec_lo, s3
	s_cbranch_execz .LBB351_172
; %bb.171:                              ;   in Loop: Header=BB351_133 Depth=2
	v_mad_u64_u32 v[28:29], null, 0xfe5163ab, v25, 0
	v_cmp_lt_u32_e32 vcc_lo, 63, v27
	v_cndmask_b32_e64 v24, 0, 0xffffffc0, vcc_lo
	s_delay_alu instid0(VALU_DEP_3) | instskip(NEXT) | instid1(VALU_DEP_2)
	v_mov_b32_e32 v0, v29
	v_add_nc_u32_e32 v24, v24, v27
	s_delay_alu instid0(VALU_DEP_2) | instskip(NEXT) | instid1(VALU_DEP_2)
	v_mad_u64_u32 v[29:30], null, 0x3c439041, v25, v[0:1]
	v_cmp_lt_u32_e64 s3, 31, v24
	s_delay_alu instid0(VALU_DEP_2) | instskip(NEXT) | instid1(VALU_DEP_1)
	v_mov_b32_e32 v0, v30
	v_mad_u64_u32 v[30:31], null, 0xdb629599, v25, v[0:1]
	s_delay_alu instid0(VALU_DEP_1) | instskip(NEXT) | instid1(VALU_DEP_1)
	v_mov_b32_e32 v0, v31
	v_mad_u64_u32 v[31:32], null, 0xf534ddc0, v25, v[0:1]
	s_delay_alu instid0(VALU_DEP_1) | instskip(NEXT) | instid1(VALU_DEP_1)
	v_mov_b32_e32 v0, v32
	v_mad_u64_u32 v[32:33], null, 0xfc2757d1, v25, v[0:1]
	s_delay_alu instid0(VALU_DEP_1) | instskip(SKIP_1) | instid1(VALU_DEP_2)
	v_mov_b32_e32 v0, v33
	v_cndmask_b32_e64 v33, 0, 0xffffffe0, s3
	v_mad_u64_u32 v[26:27], null, 0x4e441529, v25, v[0:1]
	s_delay_alu instid0(VALU_DEP_2) | instskip(NEXT) | instid1(VALU_DEP_1)
	v_add_nc_u32_e32 v24, v33, v24
	v_cmp_lt_u32_e64 s4, 31, v24
	s_delay_alu instid0(VALU_DEP_3) | instskip(NEXT) | instid1(VALU_DEP_1)
	v_mov_b32_e32 v0, v27
	v_mad_u64_u32 v[33:34], null, 0xa2f9836e, v25, v[0:1]
	s_delay_alu instid0(VALU_DEP_3) | instskip(NEXT) | instid1(VALU_DEP_1)
	v_cndmask_b32_e64 v0, 0, 0xffffffe0, s4
	v_dual_cndmask_b32 v25, v26, v31 :: v_dual_add_nc_u32 v0, v0, v24
	s_delay_alu instid0(VALU_DEP_3) | instskip(SKIP_2) | instid1(VALU_DEP_4)
	v_dual_cndmask_b32 v27, v33, v32 :: v_dual_cndmask_b32 v26, v34, v26
	v_cndmask_b32_e32 v32, v32, v30, vcc_lo
	v_cndmask_b32_e32 v24, v31, v29, vcc_lo
	v_cmp_eq_u32_e64 s5, 0, v0
	s_delay_alu instid0(VALU_DEP_4) | instskip(SKIP_4) | instid1(VALU_DEP_4)
	v_cndmask_b32_e64 v29, v27, v25, s3
	v_cndmask_b32_e64 v26, v26, v27, s3
	;; [unrolled: 1-line block ×3, first 2 shown]
	v_sub_nc_u32_e32 v27, 32, v0
	v_cndmask_b32_e64 v31, v32, v24, s3
	v_cndmask_b32_e64 v26, v26, v29, s4
	s_delay_alu instid0(VALU_DEP_4) | instskip(NEXT) | instid1(VALU_DEP_3)
	v_cndmask_b32_e64 v29, v29, v25, s4
	v_cndmask_b32_e64 v25, v25, v31, s4
	s_delay_alu instid0(VALU_DEP_2) | instskip(NEXT) | instid1(VALU_DEP_2)
	v_alignbit_b32 v32, v26, v29, v27
	v_alignbit_b32 v33, v29, v25, v27
	s_delay_alu instid0(VALU_DEP_2) | instskip(SKIP_1) | instid1(VALU_DEP_3)
	v_cndmask_b32_e64 v0, v32, v26, s5
	v_cndmask_b32_e32 v26, v30, v28, vcc_lo
	v_cndmask_b32_e64 v28, v33, v29, s5
	s_delay_alu instid0(VALU_DEP_3) | instskip(NEXT) | instid1(VALU_DEP_3)
	v_bfe_u32 v29, v0, 29, 1
	v_cndmask_b32_e64 v24, v24, v26, s3
	s_delay_alu instid0(VALU_DEP_3) | instskip(NEXT) | instid1(VALU_DEP_3)
	v_alignbit_b32 v26, v0, v28, 30
	v_sub_nc_u32_e32 v30, 0, v29
	s_delay_alu instid0(VALU_DEP_3) | instskip(NEXT) | instid1(VALU_DEP_2)
	v_cndmask_b32_e64 v24, v31, v24, s4
	v_xor_b32_e32 v31, v26, v30
	s_delay_alu instid0(VALU_DEP_2) | instskip(SKIP_1) | instid1(VALU_DEP_3)
	v_alignbit_b32 v27, v25, v24, v27
	v_cmp_ne_u32_e32 vcc_lo, v26, v30
	v_clz_i32_u32_e32 v32, v31
	s_delay_alu instid0(VALU_DEP_3) | instskip(NEXT) | instid1(VALU_DEP_2)
	v_cndmask_b32_e64 v25, v27, v25, s5
	v_add_nc_u32_e32 v27, 1, v32
	s_delay_alu instid0(VALU_DEP_2) | instskip(SKIP_1) | instid1(VALU_DEP_3)
	v_alignbit_b32 v28, v28, v25, 30
	v_alignbit_b32 v24, v25, v24, 30
	v_cndmask_b32_e32 v26, 33, v27, vcc_lo
	s_delay_alu instid0(VALU_DEP_3) | instskip(NEXT) | instid1(VALU_DEP_3)
	v_xor_b32_e32 v25, v28, v30
	v_xor_b32_e32 v24, v24, v30
	s_delay_alu instid0(VALU_DEP_3) | instskip(NEXT) | instid1(VALU_DEP_1)
	v_sub_nc_u32_e32 v27, 32, v26
	v_alignbit_b32 v28, v31, v25, v27
	s_delay_alu instid0(VALU_DEP_3) | instskip(SKIP_2) | instid1(VALU_DEP_3)
	v_alignbit_b32 v24, v25, v24, v27
	v_lshrrev_b32_e32 v25, 29, v0
	v_lshrrev_b32_e32 v0, 30, v0
	v_alignbit_b32 v27, v28, v24, 9
	s_delay_alu instid0(VALU_DEP_3) | instskip(SKIP_1) | instid1(VALU_DEP_3)
	v_lshlrev_b32_e32 v25, 31, v25
	v_alignbit_b32 v28, v26, v28, 9
	v_clz_i32_u32_e32 v30, v27
	s_delay_alu instid0(VALU_DEP_2) | instskip(SKIP_1) | instid1(VALU_DEP_3)
	v_or_b32_e32 v28, v28, v25
	v_or_b32_e32 v25, 0x33800000, v25
	v_min_u32_e32 v30, 32, v30
	s_delay_alu instid0(VALU_DEP_3) | instskip(NEXT) | instid1(VALU_DEP_2)
	v_xor_b32_e32 v28, 1.0, v28
	v_sub_nc_u32_e32 v31, 31, v30
	v_add_lshl_u32 v26, v30, v26, 23
	s_delay_alu instid0(VALU_DEP_3) | instskip(NEXT) | instid1(VALU_DEP_3)
	v_mul_f32_e32 v30, 0x3fc90fda, v28
	v_alignbit_b32 v24, v27, v24, v31
	s_delay_alu instid0(VALU_DEP_3) | instskip(NEXT) | instid1(VALU_DEP_3)
	v_sub_nc_u32_e32 v25, v25, v26
	v_fma_f32 v26, 0x3fc90fda, v28, -v30
	s_delay_alu instid0(VALU_DEP_3) | instskip(NEXT) | instid1(VALU_DEP_2)
	v_lshrrev_b32_e32 v24, 9, v24
	v_fmac_f32_e32 v26, 0x33a22168, v28
	s_delay_alu instid0(VALU_DEP_2) | instskip(NEXT) | instid1(VALU_DEP_1)
	v_or_b32_e32 v24, v25, v24
	v_fmac_f32_e32 v26, 0x3fc90fda, v24
	s_delay_alu instid0(VALU_DEP_1)
	v_add_f32_e32 v24, v30, v26
	v_add_nc_u32_e32 v26, v29, v0
                                        ; implicit-def: $vgpr0
	s_and_not1_saveexec_b32 s3, s37
	s_cbranch_execnz .LBB351_173
	s_branch .LBB351_174
.LBB351_172:                            ;   in Loop: Header=BB351_133 Depth=2
	s_and_not1_saveexec_b32 s3, s37
.LBB351_173:                            ;   in Loop: Header=BB351_133 Depth=2
	v_fma_f32 v24, 0xbfc90fda, v0, |v22|
	v_cvt_i32_f32_e32 v26, v0
	s_delay_alu instid0(VALU_DEP_2) | instskip(NEXT) | instid1(VALU_DEP_1)
	v_fmac_f32_e32 v24, 0xb3a22168, v0
	v_fmac_f32_e32 v24, 0xa7c234c4, v0
.LBB351_174:                            ;   in Loop: Header=BB351_133 Depth=2
	s_or_b32 exec_lo, exec_lo, s3
	v_and_b32_e32 v25, 0x7fffffff, v9
	v_cmp_ngt_f32_e64 s37, 0x48000000, |v9|
                                        ; implicit-def: $vgpr28
                                        ; implicit-def: $vgpr27
	s_delay_alu instid0(VALU_DEP_2) | instskip(SKIP_1) | instid1(VALU_DEP_2)
	v_lshrrev_b32_e32 v0, 23, v25
	v_and_or_b32 v29, v25, s24, 0x800000
	v_add_nc_u32_e32 v30, 0xffffff88, v0
	s_delay_alu instid0(VALU_DEP_4) | instskip(NEXT) | instid1(SALU_CYCLE_1)
	s_and_saveexec_b32 s3, s37
	s_xor_b32 s38, exec_lo, s3
	s_cbranch_execz .LBB351_176
; %bb.175:                              ;   in Loop: Header=BB351_133 Depth=2
	v_mad_u64_u32 v[27:28], null, 0xfe5163ab, v29, 0
	v_cmp_lt_u32_e32 vcc_lo, 63, v30
	s_delay_alu instid0(VALU_DEP_2) | instskip(SKIP_1) | instid1(VALU_DEP_2)
	v_mov_b32_e32 v0, v28
	v_cndmask_b32_e64 v28, 0, 0xffffffc0, vcc_lo
	v_mad_u64_u32 v[31:32], null, 0x3c439041, v29, v[0:1]
	s_delay_alu instid0(VALU_DEP_2) | instskip(NEXT) | instid1(VALU_DEP_1)
	v_add_nc_u32_e32 v28, v28, v30
	v_cmp_lt_u32_e64 s3, 31, v28
	s_delay_alu instid0(VALU_DEP_3) | instskip(NEXT) | instid1(VALU_DEP_2)
	v_mov_b32_e32 v0, v32
	v_cndmask_b32_e64 v37, 0, 0xffffffe0, s3
	s_delay_alu instid0(VALU_DEP_2) | instskip(NEXT) | instid1(VALU_DEP_2)
	v_mad_u64_u32 v[32:33], null, 0xdb629599, v29, v[0:1]
	v_add_nc_u32_e32 v28, v37, v28
	s_delay_alu instid0(VALU_DEP_2) | instskip(NEXT) | instid1(VALU_DEP_2)
	v_dual_mov_b32 v0, v33 :: v_dual_cndmask_b32 v27, v32, v27
	v_cmp_lt_u32_e64 s4, 31, v28
	s_delay_alu instid0(VALU_DEP_2) | instskip(NEXT) | instid1(VALU_DEP_1)
	v_mad_u64_u32 v[33:34], null, 0xf534ddc0, v29, v[0:1]
	v_mov_b32_e32 v0, v34
	s_delay_alu instid0(VALU_DEP_1) | instskip(NEXT) | instid1(VALU_DEP_1)
	v_mad_u64_u32 v[34:35], null, 0xfc2757d1, v29, v[0:1]
	v_mov_b32_e32 v0, v35
	s_delay_alu instid0(VALU_DEP_1) | instskip(NEXT) | instid1(VALU_DEP_1)
	v_mad_u64_u32 v[35:36], null, 0x4e441529, v29, v[0:1]
	v_mov_b32_e32 v0, v36
	s_delay_alu instid0(VALU_DEP_2) | instskip(NEXT) | instid1(VALU_DEP_2)
	v_cndmask_b32_e32 v38, v35, v33, vcc_lo
	v_mad_u64_u32 v[36:37], null, 0xa2f9836e, v29, v[0:1]
	v_cndmask_b32_e64 v0, 0, 0xffffffe0, s4
	s_delay_alu instid0(VALU_DEP_1) | instskip(NEXT) | instid1(VALU_DEP_3)
	v_add_nc_u32_e32 v0, v0, v28
	v_dual_cndmask_b32 v36, v36, v34 :: v_dual_cndmask_b32 v35, v37, v35
	v_cndmask_b32_e32 v34, v34, v32, vcc_lo
	v_cndmask_b32_e32 v28, v33, v31, vcc_lo
	s_delay_alu instid0(VALU_DEP_4) | instskip(NEXT) | instid1(VALU_DEP_4)
	v_cmp_eq_u32_e64 s5, 0, v0
	v_cndmask_b32_e64 v31, v36, v38, s3
	v_cndmask_b32_e64 v33, v35, v36, s3
	;; [unrolled: 1-line block ×3, first 2 shown]
	v_sub_nc_u32_e32 v36, 32, v0
	v_cndmask_b32_e64 v34, v34, v28, s3
	v_cndmask_b32_e64 v27, v28, v27, s3
	;; [unrolled: 1-line block ×4, first 2 shown]
	s_delay_alu instid0(VALU_DEP_4) | instskip(NEXT) | instid1(VALU_DEP_4)
	v_cndmask_b32_e64 v35, v35, v34, s4
	v_cndmask_b32_e64 v27, v34, v27, s4
	s_delay_alu instid0(VALU_DEP_3) | instskip(NEXT) | instid1(VALU_DEP_3)
	v_alignbit_b32 v37, v33, v31, v36
	v_alignbit_b32 v38, v31, v35, v36
	s_delay_alu instid0(VALU_DEP_3) | instskip(NEXT) | instid1(VALU_DEP_3)
	v_alignbit_b32 v36, v35, v27, v36
	v_cndmask_b32_e64 v0, v37, v33, s5
	s_delay_alu instid0(VALU_DEP_3) | instskip(NEXT) | instid1(VALU_DEP_3)
	v_cndmask_b32_e64 v31, v38, v31, s5
	v_cndmask_b32_e64 v35, v36, v35, s5
	s_delay_alu instid0(VALU_DEP_3) | instskip(NEXT) | instid1(VALU_DEP_3)
	v_bfe_u32 v32, v0, 29, 1
	v_alignbit_b32 v28, v0, v31, 30
	s_delay_alu instid0(VALU_DEP_3) | instskip(SKIP_1) | instid1(VALU_DEP_4)
	v_alignbit_b32 v31, v31, v35, 30
	v_alignbit_b32 v27, v35, v27, 30
	v_sub_nc_u32_e32 v33, 0, v32
	s_delay_alu instid0(VALU_DEP_1) | instskip(SKIP_3) | instid1(VALU_DEP_4)
	v_xor_b32_e32 v34, v28, v33
	v_cmp_ne_u32_e32 vcc_lo, v28, v33
	v_xor_b32_e32 v31, v31, v33
	v_xor_b32_e32 v27, v27, v33
	v_clz_i32_u32_e32 v37, v34
	s_delay_alu instid0(VALU_DEP_1) | instskip(NEXT) | instid1(VALU_DEP_1)
	v_add_nc_u32_e32 v36, 1, v37
	v_cndmask_b32_e32 v28, 33, v36, vcc_lo
	s_delay_alu instid0(VALU_DEP_1) | instskip(NEXT) | instid1(VALU_DEP_1)
	v_sub_nc_u32_e32 v35, 32, v28
	v_alignbit_b32 v33, v34, v31, v35
	v_alignbit_b32 v27, v31, v27, v35
	v_lshrrev_b32_e32 v31, 29, v0
	v_lshrrev_b32_e32 v0, 30, v0
	s_delay_alu instid0(VALU_DEP_3) | instskip(NEXT) | instid1(VALU_DEP_3)
	v_alignbit_b32 v34, v33, v27, 9
	v_lshlrev_b32_e32 v31, 31, v31
	v_alignbit_b32 v33, v28, v33, 9
	s_delay_alu instid0(VALU_DEP_3) | instskip(NEXT) | instid1(VALU_DEP_2)
	v_clz_i32_u32_e32 v35, v34
	v_or_b32_e32 v33, v33, v31
	v_or_b32_e32 v31, 0x33800000, v31
	s_delay_alu instid0(VALU_DEP_3) | instskip(NEXT) | instid1(VALU_DEP_3)
	v_min_u32_e32 v35, 32, v35
	v_xor_b32_e32 v33, 1.0, v33
	s_delay_alu instid0(VALU_DEP_2) | instskip(SKIP_1) | instid1(VALU_DEP_3)
	v_sub_nc_u32_e32 v36, 31, v35
	v_add_lshl_u32 v28, v35, v28, 23
	v_mul_f32_e32 v35, 0x3fc90fda, v33
	s_delay_alu instid0(VALU_DEP_3) | instskip(NEXT) | instid1(VALU_DEP_3)
	v_alignbit_b32 v27, v34, v27, v36
	v_sub_nc_u32_e32 v28, v31, v28
	s_delay_alu instid0(VALU_DEP_3) | instskip(NEXT) | instid1(VALU_DEP_3)
	v_fma_f32 v31, 0x3fc90fda, v33, -v35
	v_lshrrev_b32_e32 v27, 9, v27
	s_delay_alu instid0(VALU_DEP_2) | instskip(NEXT) | instid1(VALU_DEP_2)
	v_fmac_f32_e32 v31, 0x33a22168, v33
	v_or_b32_e32 v27, v28, v27
	s_delay_alu instid0(VALU_DEP_1) | instskip(NEXT) | instid1(VALU_DEP_1)
	v_dual_fmac_f32 v31, 0x3fc90fda, v27 :: v_dual_add_nc_u32 v28, v32, v0
	v_add_f32_e32 v27, v35, v31
.LBB351_176:                            ;   in Loop: Header=BB351_133 Depth=2
	s_or_saveexec_b32 s3, s38
	v_mul_f32_e64 v0, 0x3f22f983, |v9|
	s_delay_alu instid0(VALU_DEP_1)
	v_rndne_f32_e32 v32, v0
	s_xor_b32 exec_lo, exec_lo, s3
; %bb.177:                              ;   in Loop: Header=BB351_133 Depth=2
	s_delay_alu instid0(VALU_DEP_1) | instskip(SKIP_1) | instid1(VALU_DEP_2)
	v_fma_f32 v27, 0xbfc90fda, v32, |v9|
	v_cvt_i32_f32_e32 v28, v32
	v_fmac_f32_e32 v27, 0xb3a22168, v32
	s_delay_alu instid0(VALU_DEP_1)
	v_fmac_f32_e32 v27, 0xa7c234c4, v32
; %bb.178:                              ;   in Loop: Header=BB351_133 Depth=2
	s_or_b32 exec_lo, exec_lo, s3
                                        ; implicit-def: $vgpr31
                                        ; implicit-def: $vgpr0
	s_and_saveexec_b32 s3, s37
	s_delay_alu instid0(SALU_CYCLE_1)
	s_xor_b32 s37, exec_lo, s3
	s_cbranch_execz .LBB351_180
; %bb.179:                              ;   in Loop: Header=BB351_133 Depth=2
	v_mad_u64_u32 v[31:32], null, 0xfe5163ab, v29, 0
	v_cmp_lt_u32_e32 vcc_lo, 63, v30
	v_cndmask_b32_e64 v37, 0, 0xffffffc0, vcc_lo
	s_delay_alu instid0(VALU_DEP_3) | instskip(NEXT) | instid1(VALU_DEP_2)
	v_mov_b32_e32 v0, v32
	v_add_nc_u32_e32 v30, v37, v30
	s_delay_alu instid0(VALU_DEP_2) | instskip(NEXT) | instid1(VALU_DEP_2)
	v_mad_u64_u32 v[32:33], null, 0x3c439041, v29, v[0:1]
	v_cmp_lt_u32_e64 s3, 31, v30
	s_delay_alu instid0(VALU_DEP_2) | instskip(NEXT) | instid1(VALU_DEP_2)
	v_mov_b32_e32 v0, v33
	v_cndmask_b32_e64 v38, 0, 0xffffffe0, s3
	s_delay_alu instid0(VALU_DEP_2) | instskip(NEXT) | instid1(VALU_DEP_2)
	v_mad_u64_u32 v[33:34], null, 0xdb629599, v29, v[0:1]
	v_add_nc_u32_e32 v30, v38, v30
	s_delay_alu instid0(VALU_DEP_1) | instskip(NEXT) | instid1(VALU_DEP_3)
	v_cmp_lt_u32_e64 s4, 31, v30
	v_dual_mov_b32 v0, v34 :: v_dual_cndmask_b32 v31, v33, v31
	s_delay_alu instid0(VALU_DEP_1) | instskip(NEXT) | instid1(VALU_DEP_1)
	v_mad_u64_u32 v[34:35], null, 0xf534ddc0, v29, v[0:1]
	v_mov_b32_e32 v0, v35
	s_delay_alu instid0(VALU_DEP_1) | instskip(NEXT) | instid1(VALU_DEP_1)
	v_mad_u64_u32 v[35:36], null, 0xfc2757d1, v29, v[0:1]
	v_mov_b32_e32 v0, v36
	;; [unrolled: 3-line block ×3, first 2 shown]
	s_delay_alu instid0(VALU_DEP_1) | instskip(SKIP_1) | instid1(VALU_DEP_4)
	v_mad_u64_u32 v[37:38], null, 0xa2f9836e, v29, v[0:1]
	v_cndmask_b32_e64 v0, 0, 0xffffffe0, s4
	v_cndmask_b32_e32 v29, v36, v34, vcc_lo
	s_delay_alu instid0(VALU_DEP_2) | instskip(NEXT) | instid1(VALU_DEP_4)
	v_dual_cndmask_b32 v37, v37, v35 :: v_dual_add_nc_u32 v0, v0, v30
	v_dual_cndmask_b32 v36, v38, v36 :: v_dual_cndmask_b32 v35, v35, v33
	v_cndmask_b32_e32 v30, v34, v32, vcc_lo
	s_delay_alu instid0(VALU_DEP_3) | instskip(NEXT) | instid1(VALU_DEP_4)
	v_cmp_eq_u32_e64 s5, 0, v0
	v_cndmask_b32_e64 v32, v37, v29, s3
	s_delay_alu instid0(VALU_DEP_4)
	v_cndmask_b32_e64 v34, v36, v37, s3
	v_cndmask_b32_e64 v29, v29, v35, s3
	v_sub_nc_u32_e32 v36, 32, v0
	v_cndmask_b32_e64 v35, v35, v30, s3
	v_cndmask_b32_e64 v30, v30, v31, s3
	;; [unrolled: 1-line block ×4, first 2 shown]
	s_delay_alu instid0(VALU_DEP_4) | instskip(NEXT) | instid1(VALU_DEP_4)
	v_cndmask_b32_e64 v29, v29, v35, s4
	v_cndmask_b32_e64 v30, v35, v30, s4
	s_delay_alu instid0(VALU_DEP_3) | instskip(NEXT) | instid1(VALU_DEP_3)
	v_alignbit_b32 v37, v34, v32, v36
	v_alignbit_b32 v38, v32, v29, v36
	s_delay_alu instid0(VALU_DEP_3) | instskip(NEXT) | instid1(VALU_DEP_3)
	v_alignbit_b32 v36, v29, v30, v36
	v_cndmask_b32_e64 v0, v37, v34, s5
	s_delay_alu instid0(VALU_DEP_3) | instskip(NEXT) | instid1(VALU_DEP_3)
	v_cndmask_b32_e64 v32, v38, v32, s5
	v_cndmask_b32_e64 v29, v36, v29, s5
	s_delay_alu instid0(VALU_DEP_3) | instskip(NEXT) | instid1(VALU_DEP_3)
	v_bfe_u32 v33, v0, 29, 1
	v_alignbit_b32 v31, v0, v32, 30
	s_delay_alu instid0(VALU_DEP_3) | instskip(SKIP_1) | instid1(VALU_DEP_4)
	v_alignbit_b32 v32, v32, v29, 30
	v_alignbit_b32 v29, v29, v30, 30
	v_sub_nc_u32_e32 v34, 0, v33
	s_delay_alu instid0(VALU_DEP_1) | instskip(SKIP_3) | instid1(VALU_DEP_4)
	v_xor_b32_e32 v35, v31, v34
	v_cmp_ne_u32_e32 vcc_lo, v31, v34
	v_xor_b32_e32 v30, v32, v34
	v_xor_b32_e32 v29, v29, v34
	v_clz_i32_u32_e32 v37, v35
	s_delay_alu instid0(VALU_DEP_1) | instskip(NEXT) | instid1(VALU_DEP_1)
	v_add_nc_u32_e32 v36, 1, v37
	v_cndmask_b32_e32 v31, 33, v36, vcc_lo
	s_delay_alu instid0(VALU_DEP_1) | instskip(NEXT) | instid1(VALU_DEP_1)
	v_sub_nc_u32_e32 v32, 32, v31
	v_alignbit_b32 v34, v35, v30, v32
	v_alignbit_b32 v29, v30, v29, v32
	v_lshrrev_b32_e32 v30, 29, v0
	s_delay_alu instid0(VALU_DEP_2) | instskip(NEXT) | instid1(VALU_DEP_2)
	v_alignbit_b32 v32, v34, v29, 9
	v_lshlrev_b32_e32 v30, 31, v30
	v_alignbit_b32 v34, v31, v34, 9
	s_delay_alu instid0(VALU_DEP_3) | instskip(NEXT) | instid1(VALU_DEP_2)
	v_clz_i32_u32_e32 v35, v32
	v_or_b32_e32 v34, v34, v30
	v_or_b32_e32 v30, 0x33800000, v30
	s_delay_alu instid0(VALU_DEP_3) | instskip(NEXT) | instid1(VALU_DEP_3)
	v_min_u32_e32 v35, 32, v35
	v_xor_b32_e32 v34, 1.0, v34
	s_delay_alu instid0(VALU_DEP_2) | instskip(SKIP_1) | instid1(VALU_DEP_3)
	v_sub_nc_u32_e32 v36, 31, v35
	v_add_lshl_u32 v31, v35, v31, 23
	v_mul_f32_e32 v35, 0x3fc90fda, v34
	s_delay_alu instid0(VALU_DEP_3) | instskip(NEXT) | instid1(VALU_DEP_3)
	v_alignbit_b32 v29, v32, v29, v36
	v_sub_nc_u32_e32 v30, v30, v31
	s_delay_alu instid0(VALU_DEP_3) | instskip(NEXT) | instid1(VALU_DEP_3)
	v_fma_f32 v31, 0x3fc90fda, v34, -v35
                                        ; implicit-def: $vgpr32
	v_lshrrev_b32_e32 v29, 9, v29
	s_delay_alu instid0(VALU_DEP_2) | instskip(NEXT) | instid1(VALU_DEP_2)
	v_fmac_f32_e32 v31, 0x33a22168, v34
	v_or_b32_e32 v29, v30, v29
	s_delay_alu instid0(VALU_DEP_1) | instskip(SKIP_1) | instid1(VALU_DEP_1)
	v_fmac_f32_e32 v31, 0x3fc90fda, v29
	v_lshrrev_b32_e32 v29, 30, v0
	v_dual_add_f32 v0, v35, v31 :: v_dual_add_nc_u32 v31, v33, v29
	s_and_not1_saveexec_b32 s3, s37
	s_cbranch_execnz .LBB351_181
	s_branch .LBB351_182
.LBB351_180:                            ;   in Loop: Header=BB351_133 Depth=2
	s_and_not1_saveexec_b32 s3, s37
.LBB351_181:                            ;   in Loop: Header=BB351_133 Depth=2
	v_fma_f32 v0, 0xbfc90fda, v32, |v9|
	v_cvt_i32_f32_e32 v31, v32
	s_delay_alu instid0(VALU_DEP_2) | instskip(NEXT) | instid1(VALU_DEP_1)
	v_fmac_f32_e32 v0, 0xb3a22168, v32
	v_fmac_f32_e32 v0, 0xa7c234c4, v32
.LBB351_182:                            ;   in Loop: Header=BB351_133 Depth=2
	s_or_b32 exec_lo, exec_lo, s3
	v_dual_mul_f32 v29, v10, v10 :: v_dual_lshlrev_b32 v30, 30, v11
	v_dual_mul_f32 v32, v24, v24 :: v_dual_and_b32 v11, 1, v11
	v_xor_b32_e32 v8, v8, v23
	s_delay_alu instid0(VALU_DEP_3) | instskip(SKIP_1) | instid1(VALU_DEP_4)
	v_fmaak_f32 v34, s28, v29, 0xbab64f3b
	v_dual_fmaak_f32 v33, s29, v29, 0x3c0881c4 :: v_dual_and_b32 v36, 1, v26
	v_dual_fmaak_f32 v23, s29, v32, 0x3c0881c4 :: v_dual_lshlrev_b32 v26, 30, v26
	v_fmaak_f32 v35, s28, v32, 0xbab64f3b
	s_delay_alu instid0(VALU_DEP_4) | instskip(SKIP_1) | instid1(VALU_DEP_4)
	v_fmaak_f32 v34, v29, v34, 0x3d2aabf7
	v_cmp_eq_u32_e32 vcc_lo, 0, v11
	v_fmaak_f32 v23, v32, v23, 0xbe2aaa9d
	v_mul_f32_e32 v11, v27, v27
	v_fmaak_f32 v35, v32, v35, 0x3d2aabf7
	v_fmaak_f32 v34, v29, v34, 0xbf000004
	v_xor_b32_e32 v25, v25, v9
	v_mul_f32_e32 v23, v32, v23
	v_fmaak_f32 v33, v29, v33, 0xbe2aaa9d
	v_and_b32_e32 v30, 0x80000000, v30
	v_cmp_class_f32_e64 s3, v9, 0x1f8
	s_delay_alu instid0(VALU_DEP_3) | instskip(SKIP_1) | instid1(VALU_DEP_2)
	v_dual_fmac_f32 v24, v24, v23 :: v_dual_mul_f32 v33, v29, v33
	v_fma_f32 v29, v29, v34, 1.0
	v_dual_fmac_f32 v10, v10, v33 :: v_dual_fmaak_f32 v35, v32, v35, 0xbf000004
	s_delay_alu instid0(VALU_DEP_1) | instskip(NEXT) | instid1(VALU_DEP_2)
	v_dual_cndmask_b32 v10, v29, v10 :: v_dual_lshlrev_b32 v33, 30, v28
	v_fma_f32 v23, v32, v35, 1.0
	v_cmp_eq_u32_e32 vcc_lo, 0, v36
	s_delay_alu instid0(VALU_DEP_3) | instskip(SKIP_1) | instid1(VALU_DEP_4)
	v_xor3_b32 v8, v8, v30, v10
	v_dual_mul_f32 v29, v0, v0 :: v_dual_and_b32 v10, 0x80000000, v26
	v_cndmask_b32_e64 v23, -v24, v23, vcc_lo
	v_fmaak_f32 v24, s29, v11, 0x3c0881c4
	v_fmaak_f32 v26, s28, v11, 0xbab64f3b
	s_delay_alu instid0(VALU_DEP_4) | instskip(NEXT) | instid1(VALU_DEP_4)
	v_fmaak_f32 v32, s28, v29, 0xbab64f3b
	v_xor_b32_e32 v10, v10, v23
	s_delay_alu instid0(VALU_DEP_4) | instskip(NEXT) | instid1(VALU_DEP_4)
	v_fmaak_f32 v24, v11, v24, 0xbe2aaa9d
	v_fmaak_f32 v26, v11, v26, 0x3d2aabf7
	v_and_b32_e32 v33, 0x80000000, v33
	v_and_b32_e32 v28, 1, v28
	v_fmaak_f32 v32, v29, v32, 0x3d2aabf7
	v_mul_f32_e32 v24, v11, v24
	v_fmaak_f32 v30, s29, v29, 0x3c0881c4
	v_fmaak_f32 v26, v11, v26, 0xbf000004
	v_cmp_eq_u32_e32 vcc_lo, 0, v28
	v_fmaak_f32 v32, v29, v32, 0xbf000004
	v_fmac_f32_e32 v27, v27, v24
	s_delay_alu instid0(VALU_DEP_4) | instskip(SKIP_3) | instid1(VALU_DEP_3)
	v_fma_f32 v11, v11, v26, 1.0
	v_fmaak_f32 v30, v29, v30, 0xbe2aaa9d
	v_and_b32_e32 v26, 1, v31
	v_fma_f32 v24, v29, v32, 1.0
	v_dual_cndmask_b32 v11, v11, v27 :: v_dual_mul_f32 v30, v29, v30
	v_lshlrev_b32_e32 v29, 30, v31
	s_delay_alu instid0(VALU_DEP_4) | instskip(NEXT) | instid1(VALU_DEP_3)
	v_cmp_eq_u32_e32 vcc_lo, 0, v26
	v_xor3_b32 v11, v25, v33, v11
	s_delay_alu instid0(VALU_DEP_4) | instskip(NEXT) | instid1(VALU_DEP_1)
	v_fmac_f32_e32 v0, v0, v30
	v_cndmask_b32_e64 v0, -v0, v24, vcc_lo
	v_and_b32_e32 v24, 0x80000000, v29
	v_cmp_class_f32_e64 vcc_lo, v22, 0x1f8
	s_delay_alu instid0(VALU_DEP_2) | instskip(SKIP_3) | instid1(VALU_DEP_4)
	v_xor_b32_e32 v0, v24, v0
	v_cndmask_b32_e32 v9, 0x7fc00000, v10, vcc_lo
	v_cndmask_b32_e32 v8, 0x7fc00000, v8, vcc_lo
	v_cndmask_b32_e64 v10, 0x7fc00000, v11, s3
	v_cndmask_b32_e64 v0, 0x7fc00000, v0, s3
	s_delay_alu instid0(VALU_DEP_4) | instskip(SKIP_1) | instid1(VALU_DEP_3)
	v_mul_f32_e32 v11, 0x7f800000, v9
	v_cmp_neq_f32_e32 vcc_lo, 0, v9
	v_dual_mul_f32 v23, 0x7f800000, v10 :: v_dual_mul_f32 v22, 0x7f800000, v0
	s_delay_alu instid0(VALU_DEP_3) | instskip(SKIP_2) | instid1(VALU_DEP_4)
	v_cndmask_b32_e32 v9, 0, v11, vcc_lo
	v_mul_f32_e32 v11, 0x7f800000, v8
	v_cmp_neq_f32_e32 vcc_lo, 0, v0
	v_cndmask_b32_e32 v0, 0, v22, vcc_lo
	v_cmp_neq_f32_e32 vcc_lo, 0, v8
	s_delay_alu instid0(VALU_DEP_2) | instskip(SKIP_1) | instid1(VALU_DEP_2)
	v_dual_add_f32 v9, v9, v0 :: v_dual_cndmask_b32 v8, 0, v11
	v_cmp_neq_f32_e32 vcc_lo, 0, v10
	v_add_f32_e32 v24, -1.0, v9
	v_cndmask_b32_e32 v10, 0, v23, vcc_lo
	s_delay_alu instid0(VALU_DEP_1) | instskip(NEXT) | instid1(VALU_DEP_1)
	v_add_f32_e32 v0, v8, v10
	v_max_f32_e64 v10, |v24|, |v0|
	s_delay_alu instid0(VALU_DEP_1) | instskip(SKIP_1) | instid1(VALU_DEP_2)
	v_cvt_f64_f32_e32 v[8:9], v10
	v_cmp_eq_f32_e32 vcc_lo, 0x7f800000, v10
	v_frexp_exp_i32_f64_e32 v8, v[8:9]
	s_delay_alu instid0(VALU_DEP_1) | instskip(NEXT) | instid1(VALU_DEP_1)
	v_sub_nc_u32_e32 v9, 0, v8
	v_ldexp_f32 v11, |v0|, v9
	v_ldexp_f32 v9, |v24|, v9
	s_delay_alu instid0(VALU_DEP_2) | instskip(NEXT) | instid1(VALU_DEP_1)
	v_mul_f32_e32 v11, v11, v11
	v_fmac_f32_e32 v11, v9, v9
	s_delay_alu instid0(VALU_DEP_1) | instskip(SKIP_3) | instid1(VALU_DEP_2)
	v_sqrt_f32_e32 v9, v11
	s_waitcnt_depctr 0xfff
	v_ldexp_f32 v9, v9, v8
	v_add_f32_e32 v8, 1.0, v24
	v_cmp_ngt_f32_e64 s3, 0.5, v9
	s_delay_alu instid0(VALU_DEP_2) | instskip(NEXT) | instid1(VALU_DEP_2)
	v_max_f32_e64 v9, |v8|, |v0|
	s_or_b32 s3, vcc_lo, s3
	s_delay_alu instid0(SALU_CYCLE_1) | instskip(NEXT) | instid1(SALU_CYCLE_1)
	s_and_saveexec_b32 s4, s3
	s_xor_b32 s4, exec_lo, s4
	s_cbranch_execz .LBB351_184
; %bb.183:                              ;   in Loop: Header=BB351_133 Depth=2
	v_cvt_f64_f32_e32 v[10:11], v9
	v_cmp_neq_f32_e32 vcc_lo, 0x7f800000, v9
	s_delay_alu instid0(VALU_DEP_2) | instskip(NEXT) | instid1(VALU_DEP_1)
	v_frexp_exp_i32_f64_e32 v10, v[10:11]
	v_sub_nc_u32_e32 v11, 0, v10
	s_delay_alu instid0(VALU_DEP_1) | instskip(SKIP_1) | instid1(VALU_DEP_2)
	v_ldexp_f32 v22, |v0|, v11
	v_ldexp_f32 v11, |v8|, v11
	v_mul_f32_e32 v22, v22, v22
	s_delay_alu instid0(VALU_DEP_1) | instskip(NEXT) | instid1(VALU_DEP_1)
	v_fmac_f32_e32 v22, v11, v11
	v_sqrt_f32_e32 v11, v22
	s_waitcnt_depctr 0xfff
	v_ldexp_f32 v10, v11, v10
	s_delay_alu instid0(VALU_DEP_1) | instskip(NEXT) | instid1(VALU_DEP_1)
	v_cndmask_b32_e32 v10, 0x7f800000, v10, vcc_lo
	v_cmp_gt_f32_e32 vcc_lo, 0x800000, v10
	v_cndmask_b32_e64 v11, 1.0, 0x4f800000, vcc_lo
	s_delay_alu instid0(VALU_DEP_1) | instskip(NEXT) | instid1(VALU_DEP_1)
	v_mul_f32_e32 v10, v10, v11
	v_log_f32_e32 v10, v10
	s_waitcnt_depctr 0xfff
	v_mul_f32_e32 v11, 0x3f317217, v10
	v_cmp_gt_f32_e64 s3, 0x7f800000, |v10|
	s_delay_alu instid0(VALU_DEP_2) | instskip(NEXT) | instid1(VALU_DEP_1)
	v_fma_f32 v22, 0x3f317217, v10, -v11
	v_fmac_f32_e32 v22, 0x3377d1cf, v10
	s_delay_alu instid0(VALU_DEP_1) | instskip(NEXT) | instid1(VALU_DEP_1)
	v_add_f32_e32 v11, v11, v22
	v_cndmask_b32_e64 v10, v10, v11, s3
	v_cndmask_b32_e64 v11, 0, 0x41b17218, vcc_lo
	s_delay_alu instid0(VALU_DEP_1)
	v_sub_f32_e32 v24, v10, v11
.LBB351_184:                            ;   in Loop: Header=BB351_133 Depth=2
	s_and_not1_saveexec_b32 s3, s4
	s_cbranch_execz .LBB351_188
; %bb.185:                              ;   in Loop: Header=BB351_133 Depth=2
	s_delay_alu instid0(VALU_DEP_1) | instskip(SKIP_1) | instid1(VALU_DEP_1)
	v_add_f32_e32 v10, 2.0, v24
	s_mov_b32 s4, exec_lo
	v_mul_f32_e32 v10, v24, v10
	s_delay_alu instid0(VALU_DEP_1) | instskip(NEXT) | instid1(VALU_DEP_1)
	v_fmac_f32_e32 v10, v0, v0
	v_cmpx_neq_f32_e32 0, v10
	s_cbranch_execz .LBB351_187
; %bb.186:                              ;   in Loop: Header=BB351_133 Depth=2
	v_add_f32_e32 v11, 1.0, v10
	s_delay_alu instid0(VALU_DEP_1) | instskip(NEXT) | instid1(VALU_DEP_1)
	v_cvt_f64_f32_e32 v[22:23], v11
	v_frexp_exp_i32_f64_e32 v22, v[22:23]
	v_frexp_mant_f32_e32 v23, v11
	s_delay_alu instid0(VALU_DEP_1) | instskip(SKIP_1) | instid1(VALU_DEP_1)
	v_cmp_gt_f32_e32 vcc_lo, 0x3f2aaaab, v23
	v_add_f32_e32 v23, -1.0, v11
	v_sub_f32_e32 v25, v23, v11
	v_sub_f32_e32 v23, v10, v23
	v_subrev_co_ci_u32_e32 v22, vcc_lo, 0, v22, vcc_lo
	v_cmp_eq_f32_e32 vcc_lo, 0x7f800000, v10
	s_delay_alu instid0(VALU_DEP_2) | instskip(SKIP_1) | instid1(VALU_DEP_2)
	v_sub_nc_u32_e32 v24, 0, v22
	v_cvt_f32_i32_e32 v22, v22
	v_ldexp_f32 v11, v11, v24
	s_delay_alu instid0(VALU_DEP_1) | instskip(NEXT) | instid1(VALU_DEP_1)
	v_dual_add_f32 v25, 1.0, v25 :: v_dual_add_f32 v26, 1.0, v11
	v_add_f32_e32 v23, v23, v25
	s_delay_alu instid0(VALU_DEP_1) | instskip(NEXT) | instid1(VALU_DEP_3)
	v_ldexp_f32 v23, v23, v24
	v_dual_add_f32 v24, -1.0, v11 :: v_dual_add_f32 v25, -1.0, v26
	s_delay_alu instid0(VALU_DEP_1) | instskip(NEXT) | instid1(VALU_DEP_2)
	v_add_f32_e32 v27, 1.0, v24
	v_sub_f32_e32 v25, v11, v25
	s_delay_alu instid0(VALU_DEP_2) | instskip(NEXT) | instid1(VALU_DEP_1)
	v_sub_f32_e32 v11, v11, v27
	v_add_f32_e32 v11, v23, v11
	s_delay_alu instid0(VALU_DEP_1) | instskip(NEXT) | instid1(VALU_DEP_1)
	v_dual_add_f32 v28, v24, v11 :: v_dual_add_f32 v25, v23, v25
	v_dual_sub_f32 v24, v28, v24 :: v_dual_add_f32 v27, v26, v25
	s_delay_alu instid0(VALU_DEP_1) | instskip(NEXT) | instid1(VALU_DEP_2)
	v_sub_f32_e32 v11, v11, v24
	v_rcp_f32_e32 v23, v27
	v_sub_f32_e32 v26, v27, v26
	s_delay_alu instid0(VALU_DEP_1) | instskip(SKIP_2) | instid1(VALU_DEP_1)
	v_sub_f32_e32 v25, v25, v26
	s_waitcnt_depctr 0xfff
	v_mul_f32_e32 v29, v28, v23
	v_mul_f32_e32 v30, v27, v29
	s_delay_alu instid0(VALU_DEP_1) | instskip(NEXT) | instid1(VALU_DEP_1)
	v_fma_f32 v26, v29, v27, -v30
	v_fmac_f32_e32 v26, v29, v25
	s_delay_alu instid0(VALU_DEP_1) | instskip(NEXT) | instid1(VALU_DEP_1)
	v_add_f32_e32 v31, v30, v26
	v_sub_f32_e32 v32, v28, v31
	v_sub_f32_e32 v24, v31, v30
	s_delay_alu instid0(VALU_DEP_2) | instskip(NEXT) | instid1(VALU_DEP_2)
	v_sub_f32_e32 v28, v28, v32
	v_sub_f32_e32 v24, v24, v26
	s_delay_alu instid0(VALU_DEP_2) | instskip(NEXT) | instid1(VALU_DEP_1)
	v_sub_f32_e32 v28, v28, v31
	v_add_f32_e32 v11, v11, v28
	s_delay_alu instid0(VALU_DEP_1) | instskip(NEXT) | instid1(VALU_DEP_1)
	v_add_f32_e32 v11, v24, v11
	v_add_f32_e32 v24, v32, v11
	s_delay_alu instid0(VALU_DEP_1) | instskip(NEXT) | instid1(VALU_DEP_1)
	v_mul_f32_e32 v26, v23, v24
	v_dual_sub_f32 v31, v32, v24 :: v_dual_mul_f32 v28, v27, v26
	s_delay_alu instid0(VALU_DEP_1) | instskip(NEXT) | instid1(VALU_DEP_2)
	v_add_f32_e32 v11, v11, v31
	v_fma_f32 v27, v26, v27, -v28
	s_delay_alu instid0(VALU_DEP_1) | instskip(NEXT) | instid1(VALU_DEP_1)
	v_fmac_f32_e32 v27, v26, v25
	v_add_f32_e32 v25, v28, v27
	s_delay_alu instid0(VALU_DEP_1) | instskip(SKIP_1) | instid1(VALU_DEP_2)
	v_sub_f32_e32 v30, v24, v25
	v_sub_f32_e32 v28, v25, v28
	;; [unrolled: 1-line block ×3, first 2 shown]
	s_delay_alu instid0(VALU_DEP_1) | instskip(NEXT) | instid1(VALU_DEP_1)
	v_sub_f32_e32 v24, v24, v25
	v_dual_add_f32 v11, v11, v24 :: v_dual_add_f32 v24, v29, v26
	s_delay_alu instid0(VALU_DEP_4) | instskip(NEXT) | instid1(VALU_DEP_1)
	v_sub_f32_e32 v25, v28, v27
	v_add_f32_e32 v11, v25, v11
	s_delay_alu instid0(VALU_DEP_3) | instskip(NEXT) | instid1(VALU_DEP_2)
	v_sub_f32_e32 v25, v24, v29
	v_add_f32_e32 v11, v30, v11
	s_delay_alu instid0(VALU_DEP_2) | instskip(NEXT) | instid1(VALU_DEP_2)
	v_sub_f32_e32 v25, v26, v25
	v_mul_f32_e32 v11, v23, v11
	s_delay_alu instid0(VALU_DEP_1) | instskip(NEXT) | instid1(VALU_DEP_1)
	v_add_f32_e32 v11, v25, v11
	v_add_f32_e32 v23, v24, v11
	s_delay_alu instid0(VALU_DEP_1) | instskip(NEXT) | instid1(VALU_DEP_1)
	v_mul_f32_e32 v25, v23, v23
	v_fmaak_f32 v26, s30, v25, 0x3ecc95a3
	v_mul_f32_e32 v27, v23, v25
	s_delay_alu instid0(VALU_DEP_2) | instskip(SKIP_2) | instid1(VALU_DEP_3)
	v_fmaak_f32 v25, v25, v26, 0x3f2aaada
	v_ldexp_f32 v26, v23, 1
	v_sub_f32_e32 v23, v23, v24
	v_mul_f32_e32 v25, v27, v25
	v_mul_f32_e32 v27, 0x3f317218, v22
	s_delay_alu instid0(VALU_DEP_2) | instskip(NEXT) | instid1(VALU_DEP_1)
	v_dual_sub_f32 v11, v11, v23 :: v_dual_add_f32 v24, v26, v25
	v_ldexp_f32 v11, v11, 1
	s_delay_alu instid0(VALU_DEP_2) | instskip(NEXT) | instid1(VALU_DEP_4)
	v_sub_f32_e32 v23, v24, v26
	v_fma_f32 v26, 0x3f317218, v22, -v27
	s_delay_alu instid0(VALU_DEP_1) | instskip(NEXT) | instid1(VALU_DEP_1)
	v_dual_sub_f32 v23, v25, v23 :: v_dual_fmac_f32 v26, 0xb102e308, v22
	v_add_f32_e32 v11, v11, v23
	s_delay_alu instid0(VALU_DEP_1) | instskip(NEXT) | instid1(VALU_DEP_1)
	v_dual_add_f32 v22, v27, v26 :: v_dual_add_f32 v23, v24, v11
	v_sub_f32_e32 v27, v22, v27
	s_delay_alu instid0(VALU_DEP_2) | instskip(NEXT) | instid1(VALU_DEP_2)
	v_dual_add_f32 v25, v22, v23 :: v_dual_sub_f32 v24, v23, v24
	v_sub_f32_e32 v26, v26, v27
	s_delay_alu instid0(VALU_DEP_2) | instskip(NEXT) | instid1(VALU_DEP_1)
	v_dual_sub_f32 v28, v25, v22 :: v_dual_sub_f32 v11, v11, v24
	v_sub_f32_e32 v29, v25, v28
	s_delay_alu instid0(VALU_DEP_2) | instskip(NEXT) | instid1(VALU_DEP_2)
	v_dual_sub_f32 v23, v23, v28 :: v_dual_add_f32 v24, v26, v11
	v_sub_f32_e32 v22, v22, v29
	s_delay_alu instid0(VALU_DEP_1) | instskip(NEXT) | instid1(VALU_DEP_3)
	v_add_f32_e32 v22, v23, v22
	v_sub_f32_e32 v23, v24, v26
	s_delay_alu instid0(VALU_DEP_2) | instskip(NEXT) | instid1(VALU_DEP_2)
	v_add_f32_e32 v22, v24, v22
	v_sub_f32_e32 v24, v24, v23
	v_sub_f32_e32 v11, v11, v23
	s_delay_alu instid0(VALU_DEP_2) | instskip(NEXT) | instid1(VALU_DEP_1)
	v_dual_add_f32 v27, v25, v22 :: v_dual_sub_f32 v24, v26, v24
	v_sub_f32_e32 v23, v27, v25
	s_delay_alu instid0(VALU_DEP_1) | instskip(NEXT) | instid1(VALU_DEP_1)
	v_dual_add_f32 v11, v11, v24 :: v_dual_sub_f32 v22, v22, v23
	v_add_f32_e32 v11, v11, v22
	s_delay_alu instid0(VALU_DEP_1) | instskip(NEXT) | instid1(VALU_DEP_1)
	v_add_f32_e32 v11, v27, v11
	v_cndmask_b32_e32 v11, v11, v10, vcc_lo
	v_cmp_ngt_f32_e32 vcc_lo, -1.0, v10
	s_delay_alu instid0(VALU_DEP_2) | instskip(SKIP_1) | instid1(VALU_DEP_2)
	v_cndmask_b32_e32 v11, 0x7fc00000, v11, vcc_lo
	v_cmp_neq_f32_e32 vcc_lo, -1.0, v10
	v_cndmask_b32_e32 v11, 0xff800000, v11, vcc_lo
	v_cmp_gt_f32_e64 vcc_lo, 0x33800000, |v10|
	s_delay_alu instid0(VALU_DEP_2) | instskip(NEXT) | instid1(VALU_DEP_1)
	v_cndmask_b32_e32 v10, v11, v10, vcc_lo
	v_mul_f32_e32 v24, 0.5, v10
.LBB351_187:                            ;   in Loop: Header=BB351_133 Depth=2
	s_or_b32 exec_lo, exec_lo, s4
.LBB351_188:                            ;   in Loop: Header=BB351_133 Depth=2
	s_delay_alu instid0(SALU_CYCLE_1)
	s_or_b32 exec_lo, exec_lo, s3
	v_max_f32_e64 v10, |v0|, |v0|
	v_max_f32_e64 v11, |v8|, |v8|
	v_frexp_mant_f32_e32 v22, v9
	v_frexp_exp_i32_f32_e32 v9, v9
	v_cmp_gt_i32_e64 s3, 0, v8
	v_cmp_gt_f32_e64 vcc_lo, |v0|, |v8|
	v_min_f32_e32 v10, v11, v10
	v_rcp_f32_e32 v11, v22
	v_cmp_class_f32_e64 s4, v8, 0x204
	s_delay_alu instid0(VALU_DEP_2)
	v_frexp_mant_f32_e32 v22, v10
	s_waitcnt_depctr 0xfff
	v_mul_f32_e32 v11, v22, v11
	v_frexp_exp_i32_f32_e32 v10, v10
	v_cndmask_b32_e64 v22, 0, 0x40490fdb, s3
	v_cmp_class_f32_e64 s3, v0, 0x204
	s_delay_alu instid0(VALU_DEP_3) | instskip(NEXT) | instid1(VALU_DEP_1)
	v_sub_nc_u32_e32 v9, v10, v9
	v_ldexp_f32 v9, v11, v9
	s_delay_alu instid0(VALU_DEP_1) | instskip(NEXT) | instid1(VALU_DEP_1)
	v_mul_f32_e32 v10, v9, v9
	v_fmaak_f32 v11, s31, v10, 0xbc7a590c
	s_delay_alu instid0(VALU_DEP_1) | instskip(NEXT) | instid1(VALU_DEP_1)
	v_fmaak_f32 v11, v10, v11, 0x3d29fb3f
	v_fmaak_f32 v11, v10, v11, 0xbd97d4d7
	s_delay_alu instid0(VALU_DEP_1) | instskip(NEXT) | instid1(VALU_DEP_1)
	v_fmaak_f32 v11, v10, v11, 0x3dd931b2
	;; [unrolled: 3-line block ×3, first 2 shown]
	v_fmaak_f32 v11, v10, v11, 0xbeaaaa62
	s_delay_alu instid0(VALU_DEP_1) | instskip(NEXT) | instid1(VALU_DEP_1)
	v_mul_f32_e32 v10, v10, v11
	v_fmac_f32_e32 v9, v9, v10
	s_delay_alu instid0(VALU_DEP_1) | instskip(NEXT) | instid1(VALU_DEP_1)
	v_sub_f32_e32 v10, 0x3fc90fdb, v9
	v_cndmask_b32_e32 v9, v9, v10, vcc_lo
	v_cmp_gt_f32_e32 vcc_lo, 0, v8
	v_cndmask_b32_e32 v11, 0x3f490fdb, v17, vcc_lo
	s_delay_alu instid0(VALU_DEP_3) | instskip(NEXT) | instid1(VALU_DEP_1)
	v_sub_f32_e32 v10, 0x40490fdb, v9
	v_cndmask_b32_e32 v9, v9, v10, vcc_lo
	v_cmp_eq_f32_e32 vcc_lo, 0, v0
	s_delay_alu instid0(VALU_DEP_2) | instskip(SKIP_1) | instid1(VALU_DEP_1)
	v_cndmask_b32_e32 v9, v9, v22, vcc_lo
	s_and_b32 vcc_lo, s3, s4
	v_cndmask_b32_e32 v9, v9, v11, vcc_lo
	v_cmp_o_f32_e32 vcc_lo, v8, v0
	s_delay_alu instid0(VALU_DEP_2) | instskip(NEXT) | instid1(VALU_DEP_1)
	v_cndmask_b32_e32 v8, 0x7fc00000, v9, vcc_lo
	v_bfi_b32 v22, 0x7fffffff, v8, v0
.LBB351_189:                            ;   in Loop: Header=BB351_133 Depth=2
	s_or_b32 exec_lo, exec_lo, s36
.LBB351_190:                            ;   in Loop: Header=BB351_133 Depth=2
	s_delay_alu instid0(SALU_CYCLE_1) | instskip(NEXT) | instid1(VALU_DEP_1)
	s_or_b32 exec_lo, exec_lo, s35
	v_dual_mov_b32 v10, v24 :: v_dual_mov_b32 v11, v22
.LBB351_191:                            ;   in Loop: Header=BB351_133 Depth=2
	s_or_b32 exec_lo, exec_lo, s34
	ds_store_b64 v13, v[10:11]
.LBB351_192:                            ;   in Loop: Header=BB351_133 Depth=2
	s_or_b32 exec_lo, exec_lo, s33
	v_mov_b32_e32 v0, 0
	s_mov_b32 s33, 0
	s_waitcnt lgkmcnt(0)
	s_barrier
	buffer_gl0_inv
	s_branch .LBB351_199
.LBB351_193:                            ;   in Loop: Header=BB351_199 Depth=3
	s_or_b32 exec_lo, exec_lo, s4
.LBB351_194:                            ;   in Loop: Header=BB351_199 Depth=3
	s_delay_alu instid0(SALU_CYCLE_1)
	s_or_b32 exec_lo, exec_lo, s3
	v_max_f32_e64 v10, |v0|, |v0|
	v_max_f32_e64 v11, |v8|, |v8|
	v_frexp_mant_f32_e32 v24, v9
	v_frexp_exp_i32_f32_e32 v9, v9
	v_cmp_gt_i32_e64 s3, 0, v8
	v_cmp_gt_f32_e64 vcc_lo, |v0|, |v8|
	v_min_f32_e32 v10, v11, v10
	v_rcp_f32_e32 v11, v24
	v_cmp_class_f32_e64 s4, v8, 0x204
	s_delay_alu instid0(VALU_DEP_2)
	v_frexp_mant_f32_e32 v24, v10
	s_waitcnt_depctr 0xfff
	v_mul_f32_e32 v11, v24, v11
	v_frexp_exp_i32_f32_e32 v10, v10
	v_cndmask_b32_e64 v24, 0, 0x40490fdb, s3
	v_cmp_class_f32_e64 s3, v0, 0x204
	s_delay_alu instid0(VALU_DEP_3) | instskip(NEXT) | instid1(VALU_DEP_1)
	v_sub_nc_u32_e32 v9, v10, v9
	v_ldexp_f32 v9, v11, v9
	s_delay_alu instid0(VALU_DEP_1) | instskip(NEXT) | instid1(VALU_DEP_1)
	v_mul_f32_e32 v10, v9, v9
	v_fmaak_f32 v11, s31, v10, 0xbc7a590c
	s_delay_alu instid0(VALU_DEP_1) | instskip(NEXT) | instid1(VALU_DEP_1)
	v_fmaak_f32 v11, v10, v11, 0x3d29fb3f
	v_fmaak_f32 v11, v10, v11, 0xbd97d4d7
	s_delay_alu instid0(VALU_DEP_1) | instskip(NEXT) | instid1(VALU_DEP_1)
	v_fmaak_f32 v11, v10, v11, 0x3dd931b2
	;; [unrolled: 3-line block ×3, first 2 shown]
	v_fmaak_f32 v11, v10, v11, 0xbeaaaa62
	s_delay_alu instid0(VALU_DEP_1) | instskip(NEXT) | instid1(VALU_DEP_1)
	v_mul_f32_e32 v10, v10, v11
	v_fmac_f32_e32 v9, v9, v10
	s_delay_alu instid0(VALU_DEP_1) | instskip(NEXT) | instid1(VALU_DEP_1)
	v_sub_f32_e32 v10, 0x3fc90fdb, v9
	v_cndmask_b32_e32 v9, v9, v10, vcc_lo
	v_cmp_gt_f32_e32 vcc_lo, 0, v8
	v_cndmask_b32_e32 v11, 0x3f490fdb, v17, vcc_lo
	s_delay_alu instid0(VALU_DEP_3) | instskip(NEXT) | instid1(VALU_DEP_1)
	v_sub_f32_e32 v10, 0x40490fdb, v9
	v_cndmask_b32_e32 v9, v9, v10, vcc_lo
	v_cmp_eq_f32_e32 vcc_lo, 0, v0
	s_delay_alu instid0(VALU_DEP_2) | instskip(SKIP_1) | instid1(VALU_DEP_1)
	v_cndmask_b32_e32 v9, v9, v24, vcc_lo
	s_and_b32 vcc_lo, s3, s4
	v_cndmask_b32_e32 v9, v9, v11, vcc_lo
	v_cmp_o_f32_e32 vcc_lo, v8, v0
	s_delay_alu instid0(VALU_DEP_2) | instskip(NEXT) | instid1(VALU_DEP_1)
	v_cndmask_b32_e32 v8, 0x7fc00000, v9, vcc_lo
	v_bfi_b32 v24, 0x7fffffff, v8, v0
.LBB351_195:                            ;   in Loop: Header=BB351_199 Depth=3
	s_or_b32 exec_lo, exec_lo, s37
.LBB351_196:                            ;   in Loop: Header=BB351_199 Depth=3
	s_delay_alu instid0(SALU_CYCLE_1) | instskip(NEXT) | instid1(VALU_DEP_1)
	s_or_b32 exec_lo, exec_lo, s36
	v_dual_mov_b32 v10, v26 :: v_dual_mov_b32 v11, v24
.LBB351_197:                            ;   in Loop: Header=BB351_199 Depth=3
	s_or_b32 exec_lo, exec_lo, s35
	ds_store_b64 v23, v[10:11]
.LBB351_198:                            ;   in Loop: Header=BB351_199 Depth=3
	s_or_b32 exec_lo, exec_lo, s34
	s_delay_alu instid0(VALU_DEP_1)
	v_cmp_eq_u32_e32 vcc_lo, s26, v22
	v_mov_b32_e32 v0, v22
	s_waitcnt lgkmcnt(0)
	s_barrier
	buffer_gl0_inv
	s_or_b32 s33, vcc_lo, s33
	s_delay_alu instid0(SALU_CYCLE_1)
	s_and_not1_b32 exec_lo, exec_lo, s33
	s_cbranch_execz .LBB351_248
.LBB351_199:                            ;   Parent Loop BB351_130 Depth=1
                                        ;     Parent Loop BB351_133 Depth=2
                                        ; =>    This Inner Loop Header: Depth=3
	v_add_nc_u32_e32 v22, 1, v0
	s_and_saveexec_b32 s3, s2
	s_delay_alu instid0(SALU_CYCLE_1)
	s_xor_b32 s3, exec_lo, s3
; %bb.200:                              ;   in Loop: Header=BB351_199 Depth=3
	v_add_nc_u32_e32 v22, 1, v0
                                        ; implicit-def: $vgpr0
; %bb.201:                              ;   in Loop: Header=BB351_199 Depth=3
	s_and_not1_saveexec_b32 s34, s3
	s_cbranch_execz .LBB351_198
; %bb.202:                              ;   in Loop: Header=BB351_199 Depth=3
	v_lshlrev_b32_e64 v8, v0, 1
	v_dual_mov_b32 v11, v3 :: v_dual_mov_b32 v10, v2
	s_mov_b32 s3, exec_lo
	s_delay_alu instid0(VALU_DEP_2) | instskip(NEXT) | instid1(VALU_DEP_1)
	v_ashrrev_i32_e32 v9, 31, v8
	v_cmpx_ge_u64_e64 v[2:3], v[8:9]
	s_cbranch_execz .LBB351_204
; %bb.203:                              ;   in Loop: Header=BB351_199 Depth=3
	v_cvt_f32_u32_e32 v9, v8
	v_sub_nc_u32_e32 v10, 0, v8
	s_delay_alu instid0(VALU_DEP_2) | instskip(SKIP_2) | instid1(VALU_DEP_1)
	v_rcp_iflag_f32_e32 v9, v9
	s_waitcnt_depctr 0xfff
	v_mul_f32_e32 v9, 0x4f7ffffe, v9
	v_cvt_u32_f32_e32 v9, v9
	s_delay_alu instid0(VALU_DEP_1) | instskip(NEXT) | instid1(VALU_DEP_1)
	v_mul_lo_u32 v10, v10, v9
	v_mul_hi_u32 v10, v9, v10
	s_delay_alu instid0(VALU_DEP_1) | instskip(NEXT) | instid1(VALU_DEP_1)
	v_add_nc_u32_e32 v9, v9, v10
	v_mul_hi_u32 v9, v2, v9
	s_delay_alu instid0(VALU_DEP_1) | instskip(NEXT) | instid1(VALU_DEP_1)
	v_mul_lo_u32 v9, v9, v8
	v_sub_nc_u32_e32 v9, v2, v9
	s_delay_alu instid0(VALU_DEP_1) | instskip(SKIP_1) | instid1(VALU_DEP_2)
	v_sub_nc_u32_e32 v10, v9, v8
	v_cmp_ge_u32_e32 vcc_lo, v9, v8
	v_cndmask_b32_e32 v9, v9, v10, vcc_lo
	s_delay_alu instid0(VALU_DEP_1) | instskip(SKIP_1) | instid1(VALU_DEP_2)
	v_sub_nc_u32_e32 v10, v9, v8
	v_cmp_ge_u32_e32 vcc_lo, v9, v8
	v_cndmask_b32_e32 v10, v9, v10, vcc_lo
.LBB351_204:                            ;   in Loop: Header=BB351_199 Depth=3
	s_or_b32 exec_lo, exec_lo, s3
	v_lshrrev_b32_e32 v0, v0, v2
	s_delay_alu instid0(VALU_DEP_1) | instskip(NEXT) | instid1(VALU_DEP_1)
	v_lshl_or_b32 v0, v0, v22, v8
	v_lshl_add_u32 v0, v0, 3, v13
	s_delay_alu instid0(VALU_DEP_1)
	v_add_nc_u32_e32 v8, -8, v0
	v_lshl_add_u32 v23, v10, 3, v0
	ds_load_b64 v[8:9], v8
	ds_load_b64 v[10:11], v23
	s_waitcnt lgkmcnt(1)
	v_cmp_o_f32_e32 vcc_lo, v8, v8
	v_cmp_o_f32_e64 s3, v9, v9
	v_mov_b32_e32 v24, v9
	v_dual_mov_b32 v26, v8 :: v_dual_mov_b32 v25, v9
	s_delay_alu instid0(VALU_DEP_3) | instskip(NEXT) | instid1(SALU_CYCLE_1)
	s_and_b32 s5, vcc_lo, s3
	s_and_saveexec_b32 s35, s5
	s_cbranch_execz .LBB351_206
; %bb.205:                              ;   in Loop: Header=BB351_199 Depth=3
	s_waitcnt lgkmcnt(0)
	v_cmp_u_f32_e32 vcc_lo, v10, v10
	v_cmp_u_f32_e64 s3, v11, v11
	v_cmp_lt_f32_e64 s4, v10, v8
	s_delay_alu instid0(VALU_DEP_2)
	s_or_b32 s3, vcc_lo, s3
	s_delay_alu instid0(VALU_DEP_1) | instid1(SALU_CYCLE_1)
	s_or_b32 vcc_lo, s3, s4
	v_cndmask_b32_e32 v24, v9, v11, vcc_lo
	v_cndmask_b32_e32 v26, v8, v10, vcc_lo
	s_delay_alu instid0(VALU_DEP_2)
	v_mov_b32_e32 v25, v24
.LBB351_206:                            ;   in Loop: Header=BB351_199 Depth=3
	s_or_b32 exec_lo, exec_lo, s35
	s_and_saveexec_b32 s35, s5
	s_cbranch_execz .LBB351_208
; %bb.207:                              ;   in Loop: Header=BB351_199 Depth=3
	s_waitcnt lgkmcnt(0)
	v_cmp_u_f32_e32 vcc_lo, v10, v10
	v_cmp_u_f32_e64 s3, v11, v11
	v_cmp_ge_f32_e64 s4, v10, v8
	s_delay_alu instid0(VALU_DEP_2)
	s_or_b32 s3, vcc_lo, s3
	s_delay_alu instid0(VALU_DEP_1) | instid1(SALU_CYCLE_1)
	s_or_b32 vcc_lo, s3, s4
	v_dual_cndmask_b32 v9, v9, v11 :: v_dual_cndmask_b32 v8, v8, v10
.LBB351_208:                            ;   in Loop: Header=BB351_199 Depth=3
	s_or_b32 exec_lo, exec_lo, s35
	v_cmp_o_f32_e32 vcc_lo, v26, v26
	v_cmp_o_f32_e64 s3, v24, v24
	s_waitcnt lgkmcnt(0)
	v_dual_mov_b32 v10, 0x7fc00000 :: v_dual_mov_b32 v11, 0x7fc00000
	s_delay_alu instid0(VALU_DEP_2) | instskip(NEXT) | instid1(SALU_CYCLE_1)
	s_and_b32 s3, vcc_lo, s3
	s_and_saveexec_b32 s35, s3
	s_cbranch_execz .LBB351_197
; %bb.209:                              ;   in Loop: Header=BB351_199 Depth=3
	v_cmp_class_f32_e64 s3, v26, 0x1f8
	v_cmp_neq_f32_e32 vcc_lo, v8, v26
	s_delay_alu instid0(VALU_DEP_2) | instskip(NEXT) | instid1(SALU_CYCLE_1)
	s_or_b32 s3, s3, vcc_lo
	s_and_saveexec_b32 s4, s3
	s_delay_alu instid0(SALU_CYCLE_1)
	s_xor_b32 s36, exec_lo, s4
	s_cbranch_execz .LBB351_225
; %bb.210:                              ;   in Loop: Header=BB351_199 Depth=3
	v_sub_f32_e32 v10, v24, v9
                                        ; implicit-def: $vgpr25
                                        ; implicit-def: $vgpr24
	s_delay_alu instid0(VALU_DEP_1) | instskip(SKIP_1) | instid1(VALU_DEP_2)
	v_and_b32_e32 v11, 0x7fffffff, v10
	v_cmp_ngt_f32_e64 s37, 0x48000000, |v10|
	v_lshrrev_b32_e32 v0, 23, v11
	v_and_or_b32 v27, v11, s24, 0x800000
	s_delay_alu instid0(VALU_DEP_2) | instskip(NEXT) | instid1(VALU_DEP_4)
	v_add_nc_u32_e32 v28, 0xffffff88, v0
	s_and_saveexec_b32 s3, s37
	s_delay_alu instid0(SALU_CYCLE_1)
	s_xor_b32 s38, exec_lo, s3
	s_cbranch_execz .LBB351_212
; %bb.211:                              ;   in Loop: Header=BB351_199 Depth=3
	v_mad_u64_u32 v[24:25], null, 0xfe5163ab, v27, 0
	v_cmp_lt_u32_e32 vcc_lo, 63, v28
	s_delay_alu instid0(VALU_DEP_2) | instskip(SKIP_1) | instid1(VALU_DEP_1)
	v_mov_b32_e32 v0, v25
	v_cndmask_b32_e64 v25, 0, 0xffffffc0, vcc_lo
	v_add_nc_u32_e32 v25, v25, v28
	s_delay_alu instid0(VALU_DEP_1) | instskip(NEXT) | instid1(VALU_DEP_1)
	v_cmp_lt_u32_e64 s3, 31, v25
	v_cndmask_b32_e64 v35, 0, 0xffffffe0, s3
	s_delay_alu instid0(VALU_DEP_1) | instskip(SKIP_1) | instid1(VALU_DEP_2)
	v_add_nc_u32_e32 v25, v35, v25
	v_mad_u64_u32 v[29:30], null, 0x3c439041, v27, v[0:1]
	v_cmp_lt_u32_e64 s4, 31, v25
	s_delay_alu instid0(VALU_DEP_2) | instskip(NEXT) | instid1(VALU_DEP_1)
	v_mov_b32_e32 v0, v30
	v_mad_u64_u32 v[30:31], null, 0xdb629599, v27, v[0:1]
	s_delay_alu instid0(VALU_DEP_1) | instskip(NEXT) | instid1(VALU_DEP_2)
	v_mov_b32_e32 v0, v31
	v_cndmask_b32_e32 v24, v30, v24, vcc_lo
	s_delay_alu instid0(VALU_DEP_2) | instskip(NEXT) | instid1(VALU_DEP_1)
	v_mad_u64_u32 v[31:32], null, 0xf534ddc0, v27, v[0:1]
	v_mov_b32_e32 v0, v32
	s_delay_alu instid0(VALU_DEP_1) | instskip(NEXT) | instid1(VALU_DEP_1)
	v_mad_u64_u32 v[32:33], null, 0xfc2757d1, v27, v[0:1]
	v_mov_b32_e32 v0, v33
	s_delay_alu instid0(VALU_DEP_1) | instskip(NEXT) | instid1(VALU_DEP_1)
	v_mad_u64_u32 v[33:34], null, 0x4e441529, v27, v[0:1]
	v_mov_b32_e32 v0, v34
	s_delay_alu instid0(VALU_DEP_2) | instskip(NEXT) | instid1(VALU_DEP_2)
	v_cndmask_b32_e32 v36, v33, v31, vcc_lo
	v_mad_u64_u32 v[34:35], null, 0xa2f9836e, v27, v[0:1]
	v_cndmask_b32_e64 v0, 0, 0xffffffe0, s4
	s_delay_alu instid0(VALU_DEP_1) | instskip(NEXT) | instid1(VALU_DEP_3)
	v_add_nc_u32_e32 v0, v0, v25
	v_dual_cndmask_b32 v34, v34, v32 :: v_dual_cndmask_b32 v33, v35, v33
	v_dual_cndmask_b32 v32, v32, v30 :: v_dual_cndmask_b32 v25, v31, v29
	s_delay_alu instid0(VALU_DEP_3) | instskip(NEXT) | instid1(VALU_DEP_3)
	v_cmp_eq_u32_e64 s5, 0, v0
	v_cndmask_b32_e64 v29, v34, v36, s3
	s_delay_alu instid0(VALU_DEP_4) | instskip(NEXT) | instid1(VALU_DEP_4)
	v_cndmask_b32_e64 v31, v33, v34, s3
	v_cndmask_b32_e64 v33, v36, v32, s3
	v_sub_nc_u32_e32 v34, 32, v0
	v_cndmask_b32_e64 v32, v32, v25, s3
	v_cndmask_b32_e64 v24, v25, v24, s3
	;; [unrolled: 1-line block ×4, first 2 shown]
	s_delay_alu instid0(VALU_DEP_4) | instskip(NEXT) | instid1(VALU_DEP_4)
	v_cndmask_b32_e64 v33, v33, v32, s4
	v_cndmask_b32_e64 v24, v32, v24, s4
	s_delay_alu instid0(VALU_DEP_3) | instskip(NEXT) | instid1(VALU_DEP_3)
	v_alignbit_b32 v35, v31, v29, v34
	v_alignbit_b32 v36, v29, v33, v34
	s_delay_alu instid0(VALU_DEP_3) | instskip(NEXT) | instid1(VALU_DEP_3)
	v_alignbit_b32 v34, v33, v24, v34
	v_cndmask_b32_e64 v0, v35, v31, s5
	s_delay_alu instid0(VALU_DEP_3) | instskip(NEXT) | instid1(VALU_DEP_3)
	v_cndmask_b32_e64 v29, v36, v29, s5
	v_cndmask_b32_e64 v33, v34, v33, s5
	s_delay_alu instid0(VALU_DEP_3) | instskip(NEXT) | instid1(VALU_DEP_3)
	v_bfe_u32 v30, v0, 29, 1
	v_alignbit_b32 v25, v0, v29, 30
	s_delay_alu instid0(VALU_DEP_3) | instskip(SKIP_1) | instid1(VALU_DEP_4)
	v_alignbit_b32 v29, v29, v33, 30
	v_alignbit_b32 v24, v33, v24, 30
	v_sub_nc_u32_e32 v31, 0, v30
	s_delay_alu instid0(VALU_DEP_1) | instskip(SKIP_3) | instid1(VALU_DEP_4)
	v_xor_b32_e32 v32, v25, v31
	v_cmp_ne_u32_e32 vcc_lo, v25, v31
	v_xor_b32_e32 v29, v29, v31
	v_xor_b32_e32 v24, v24, v31
	v_clz_i32_u32_e32 v35, v32
	s_delay_alu instid0(VALU_DEP_1) | instskip(NEXT) | instid1(VALU_DEP_1)
	v_add_nc_u32_e32 v34, 1, v35
	v_cndmask_b32_e32 v25, 33, v34, vcc_lo
	s_delay_alu instid0(VALU_DEP_1) | instskip(NEXT) | instid1(VALU_DEP_1)
	v_sub_nc_u32_e32 v33, 32, v25
	v_alignbit_b32 v31, v32, v29, v33
	v_alignbit_b32 v24, v29, v24, v33
	v_lshrrev_b32_e32 v29, 29, v0
	v_lshrrev_b32_e32 v0, 30, v0
	s_delay_alu instid0(VALU_DEP_3) | instskip(NEXT) | instid1(VALU_DEP_3)
	v_alignbit_b32 v32, v31, v24, 9
	v_lshlrev_b32_e32 v29, 31, v29
	v_alignbit_b32 v31, v25, v31, 9
	s_delay_alu instid0(VALU_DEP_3) | instskip(NEXT) | instid1(VALU_DEP_2)
	v_clz_i32_u32_e32 v33, v32
	v_or_b32_e32 v31, v31, v29
	v_or_b32_e32 v29, 0x33800000, v29
	s_delay_alu instid0(VALU_DEP_3) | instskip(NEXT) | instid1(VALU_DEP_3)
	v_min_u32_e32 v33, 32, v33
	v_xor_b32_e32 v31, 1.0, v31
	s_delay_alu instid0(VALU_DEP_2) | instskip(SKIP_1) | instid1(VALU_DEP_3)
	v_sub_nc_u32_e32 v34, 31, v33
	v_add_lshl_u32 v25, v33, v25, 23
	v_mul_f32_e32 v33, 0x3fc90fda, v31
	s_delay_alu instid0(VALU_DEP_3) | instskip(NEXT) | instid1(VALU_DEP_3)
	v_alignbit_b32 v24, v32, v24, v34
	v_sub_nc_u32_e32 v25, v29, v25
	s_delay_alu instid0(VALU_DEP_3) | instskip(NEXT) | instid1(VALU_DEP_3)
	v_fma_f32 v29, 0x3fc90fda, v31, -v33
	v_lshrrev_b32_e32 v24, 9, v24
	s_delay_alu instid0(VALU_DEP_2) | instskip(NEXT) | instid1(VALU_DEP_2)
	v_fmac_f32_e32 v29, 0x33a22168, v31
	v_or_b32_e32 v24, v25, v24
	v_add_nc_u32_e32 v25, v30, v0
	s_delay_alu instid0(VALU_DEP_2) | instskip(NEXT) | instid1(VALU_DEP_1)
	v_fmac_f32_e32 v29, 0x3fc90fda, v24
	v_add_f32_e32 v24, v33, v29
.LBB351_212:                            ;   in Loop: Header=BB351_199 Depth=3
	s_or_saveexec_b32 s3, s38
	v_mul_f32_e64 v0, 0x3f22f983, |v10|
	s_delay_alu instid0(VALU_DEP_1)
	v_rndne_f32_e32 v30, v0
	s_xor_b32 exec_lo, exec_lo, s3
; %bb.213:                              ;   in Loop: Header=BB351_199 Depth=3
	s_delay_alu instid0(VALU_DEP_1) | instskip(SKIP_1) | instid1(VALU_DEP_2)
	v_fma_f32 v24, 0xbfc90fda, v30, |v10|
	v_cvt_i32_f32_e32 v25, v30
	v_fmac_f32_e32 v24, 0xb3a22168, v30
	s_delay_alu instid0(VALU_DEP_1)
	v_fmac_f32_e32 v24, 0xa7c234c4, v30
; %bb.214:                              ;   in Loop: Header=BB351_199 Depth=3
	s_or_b32 exec_lo, exec_lo, s3
                                        ; implicit-def: $vgpr29
                                        ; implicit-def: $vgpr0
	s_and_saveexec_b32 s3, s37
	s_delay_alu instid0(SALU_CYCLE_1)
	s_xor_b32 s37, exec_lo, s3
	s_cbranch_execz .LBB351_216
; %bb.215:                              ;   in Loop: Header=BB351_199 Depth=3
	v_mad_u64_u32 v[29:30], null, 0xfe5163ab, v27, 0
	v_cmp_lt_u32_e32 vcc_lo, 63, v28
	v_cndmask_b32_e64 v35, 0, 0xffffffc0, vcc_lo
	s_delay_alu instid0(VALU_DEP_3) | instskip(NEXT) | instid1(VALU_DEP_2)
	v_mov_b32_e32 v0, v30
	v_add_nc_u32_e32 v28, v35, v28
	s_delay_alu instid0(VALU_DEP_2) | instskip(NEXT) | instid1(VALU_DEP_2)
	v_mad_u64_u32 v[30:31], null, 0x3c439041, v27, v[0:1]
	v_cmp_lt_u32_e64 s3, 31, v28
	s_delay_alu instid0(VALU_DEP_2) | instskip(NEXT) | instid1(VALU_DEP_2)
	v_mov_b32_e32 v0, v31
	v_cndmask_b32_e64 v36, 0, 0xffffffe0, s3
	s_delay_alu instid0(VALU_DEP_2) | instskip(NEXT) | instid1(VALU_DEP_2)
	v_mad_u64_u32 v[31:32], null, 0xdb629599, v27, v[0:1]
	v_add_nc_u32_e32 v28, v36, v28
	s_delay_alu instid0(VALU_DEP_1) | instskip(NEXT) | instid1(VALU_DEP_3)
	v_cmp_lt_u32_e64 s4, 31, v28
	v_dual_mov_b32 v0, v32 :: v_dual_cndmask_b32 v29, v31, v29
	s_delay_alu instid0(VALU_DEP_1) | instskip(NEXT) | instid1(VALU_DEP_1)
	v_mad_u64_u32 v[32:33], null, 0xf534ddc0, v27, v[0:1]
	v_mov_b32_e32 v0, v33
	s_delay_alu instid0(VALU_DEP_1) | instskip(NEXT) | instid1(VALU_DEP_1)
	v_mad_u64_u32 v[33:34], null, 0xfc2757d1, v27, v[0:1]
	v_mov_b32_e32 v0, v34
	;; [unrolled: 3-line block ×3, first 2 shown]
	s_delay_alu instid0(VALU_DEP_1) | instskip(SKIP_1) | instid1(VALU_DEP_4)
	v_mad_u64_u32 v[35:36], null, 0xa2f9836e, v27, v[0:1]
	v_cndmask_b32_e64 v0, 0, 0xffffffe0, s4
	v_cndmask_b32_e32 v27, v34, v32, vcc_lo
	s_delay_alu instid0(VALU_DEP_2) | instskip(NEXT) | instid1(VALU_DEP_4)
	v_dual_cndmask_b32 v35, v35, v33 :: v_dual_add_nc_u32 v0, v0, v28
	v_dual_cndmask_b32 v34, v36, v34 :: v_dual_cndmask_b32 v33, v33, v31
	v_cndmask_b32_e32 v28, v32, v30, vcc_lo
	s_delay_alu instid0(VALU_DEP_3) | instskip(NEXT) | instid1(VALU_DEP_4)
	v_cmp_eq_u32_e64 s5, 0, v0
	v_cndmask_b32_e64 v30, v35, v27, s3
	s_delay_alu instid0(VALU_DEP_4)
	v_cndmask_b32_e64 v32, v34, v35, s3
	v_cndmask_b32_e64 v27, v27, v33, s3
	v_sub_nc_u32_e32 v34, 32, v0
	v_cndmask_b32_e64 v33, v33, v28, s3
	v_cndmask_b32_e64 v28, v28, v29, s3
	;; [unrolled: 1-line block ×4, first 2 shown]
	s_delay_alu instid0(VALU_DEP_4) | instskip(NEXT) | instid1(VALU_DEP_4)
	v_cndmask_b32_e64 v27, v27, v33, s4
	v_cndmask_b32_e64 v28, v33, v28, s4
	s_delay_alu instid0(VALU_DEP_3) | instskip(NEXT) | instid1(VALU_DEP_3)
	v_alignbit_b32 v35, v32, v30, v34
	v_alignbit_b32 v36, v30, v27, v34
	s_delay_alu instid0(VALU_DEP_3) | instskip(NEXT) | instid1(VALU_DEP_3)
	v_alignbit_b32 v34, v27, v28, v34
	v_cndmask_b32_e64 v0, v35, v32, s5
	s_delay_alu instid0(VALU_DEP_3) | instskip(NEXT) | instid1(VALU_DEP_3)
	v_cndmask_b32_e64 v30, v36, v30, s5
	v_cndmask_b32_e64 v27, v34, v27, s5
	s_delay_alu instid0(VALU_DEP_3) | instskip(NEXT) | instid1(VALU_DEP_3)
	v_bfe_u32 v31, v0, 29, 1
	v_alignbit_b32 v29, v0, v30, 30
	s_delay_alu instid0(VALU_DEP_3) | instskip(SKIP_1) | instid1(VALU_DEP_4)
	v_alignbit_b32 v30, v30, v27, 30
	v_alignbit_b32 v27, v27, v28, 30
	v_sub_nc_u32_e32 v32, 0, v31
	s_delay_alu instid0(VALU_DEP_1) | instskip(SKIP_3) | instid1(VALU_DEP_4)
	v_xor_b32_e32 v33, v29, v32
	v_cmp_ne_u32_e32 vcc_lo, v29, v32
	v_xor_b32_e32 v28, v30, v32
	v_xor_b32_e32 v27, v27, v32
	v_clz_i32_u32_e32 v35, v33
	s_delay_alu instid0(VALU_DEP_1) | instskip(NEXT) | instid1(VALU_DEP_1)
	v_add_nc_u32_e32 v34, 1, v35
	v_cndmask_b32_e32 v29, 33, v34, vcc_lo
	s_delay_alu instid0(VALU_DEP_1) | instskip(NEXT) | instid1(VALU_DEP_1)
	v_sub_nc_u32_e32 v30, 32, v29
	v_alignbit_b32 v32, v33, v28, v30
	v_alignbit_b32 v27, v28, v27, v30
	v_lshrrev_b32_e32 v28, 29, v0
	s_delay_alu instid0(VALU_DEP_2) | instskip(NEXT) | instid1(VALU_DEP_2)
	v_alignbit_b32 v30, v32, v27, 9
	v_lshlrev_b32_e32 v28, 31, v28
	v_alignbit_b32 v32, v29, v32, 9
	s_delay_alu instid0(VALU_DEP_3) | instskip(NEXT) | instid1(VALU_DEP_2)
	v_clz_i32_u32_e32 v33, v30
	v_or_b32_e32 v32, v32, v28
	v_or_b32_e32 v28, 0x33800000, v28
	s_delay_alu instid0(VALU_DEP_3) | instskip(NEXT) | instid1(VALU_DEP_3)
	v_min_u32_e32 v33, 32, v33
	v_xor_b32_e32 v32, 1.0, v32
	s_delay_alu instid0(VALU_DEP_2) | instskip(SKIP_1) | instid1(VALU_DEP_3)
	v_sub_nc_u32_e32 v34, 31, v33
	v_add_lshl_u32 v29, v33, v29, 23
	v_mul_f32_e32 v33, 0x3fc90fda, v32
	s_delay_alu instid0(VALU_DEP_3) | instskip(NEXT) | instid1(VALU_DEP_3)
	v_alignbit_b32 v27, v30, v27, v34
	v_sub_nc_u32_e32 v28, v28, v29
	s_delay_alu instid0(VALU_DEP_3) | instskip(NEXT) | instid1(VALU_DEP_3)
	v_fma_f32 v29, 0x3fc90fda, v32, -v33
                                        ; implicit-def: $vgpr30
	v_lshrrev_b32_e32 v27, 9, v27
	s_delay_alu instid0(VALU_DEP_2) | instskip(NEXT) | instid1(VALU_DEP_2)
	v_fmac_f32_e32 v29, 0x33a22168, v32
	v_or_b32_e32 v27, v28, v27
	s_delay_alu instid0(VALU_DEP_1) | instskip(SKIP_1) | instid1(VALU_DEP_1)
	v_fmac_f32_e32 v29, 0x3fc90fda, v27
	v_lshrrev_b32_e32 v27, 30, v0
	v_dual_add_f32 v0, v33, v29 :: v_dual_add_nc_u32 v29, v31, v27
	s_and_not1_saveexec_b32 s3, s37
	s_cbranch_execnz .LBB351_217
	s_branch .LBB351_218
.LBB351_216:                            ;   in Loop: Header=BB351_199 Depth=3
	s_and_not1_saveexec_b32 s3, s37
.LBB351_217:                            ;   in Loop: Header=BB351_199 Depth=3
	v_fma_f32 v0, 0xbfc90fda, v30, |v10|
	v_cvt_i32_f32_e32 v29, v30
	s_delay_alu instid0(VALU_DEP_2) | instskip(NEXT) | instid1(VALU_DEP_1)
	v_fmac_f32_e32 v0, 0xb3a22168, v30
	v_fmac_f32_e32 v0, 0xa7c234c4, v30
.LBB351_218:                            ;   in Loop: Header=BB351_199 Depth=3
	s_or_b32 exec_lo, exec_lo, s3
	v_dual_sub_f32 v26, v26, v8 :: v_dual_lshlrev_b32 v27, 30, v25
	v_dual_mul_f32 v30, v24, v24 :: v_dual_and_b32 v25, 1, v25
	s_delay_alu instid0(VALU_DEP_3) | instskip(NEXT) | instid1(VALU_DEP_3)
	v_dual_mul_f32 v31, v0, v0 :: v_dual_and_b32 v32, 1, v29
	v_dual_mul_f32 v28, 0x3fb8aa3b, v26 :: v_dual_lshlrev_b32 v29, 30, v29
	s_delay_alu instid0(VALU_DEP_2) | instskip(SKIP_1) | instid1(VALU_DEP_3)
	v_dual_fmaak_f32 v35, s28, v30, 0xbab64f3b :: v_dual_fmaak_f32 v38, s28, v31, 0xbab64f3b
	v_dual_fmaak_f32 v36, s29, v30, 0x3c0881c4 :: v_dual_fmaak_f32 v37, s29, v31, 0x3c0881c4
	v_fma_f32 v33, 0x3fb8aa3b, v26, -v28
	v_rndne_f32_e32 v34, v28
	v_and_b32_e32 v27, 0x80000000, v27
	v_cmp_eq_u32_e32 vcc_lo, 0, v25
	v_xor_b32_e32 v11, v11, v10
	v_fmac_f32_e32 v33, 0x32a5705f, v26
	v_sub_f32_e32 v28, v28, v34
	v_cvt_i32_f32_e32 v34, v34
	v_cmp_nlt_f32_e64 s3, 0x42b17218, v26
	s_delay_alu instid0(VALU_DEP_3) | instskip(SKIP_1) | instid1(VALU_DEP_2)
	v_dual_add_f32 v28, v28, v33 :: v_dual_fmaak_f32 v33, v30, v35, 0x3d2aabf7
	v_dual_fmaak_f32 v35, v30, v36, 0xbe2aaa9d :: v_dual_fmaak_f32 v36, v31, v37, 0xbe2aaa9d
	v_exp_f32_e32 v28, v28
	s_delay_alu instid0(VALU_DEP_1) | instskip(SKIP_1) | instid1(VALU_DEP_2)
	v_dual_mul_f32 v35, v30, v35 :: v_dual_mul_f32 v36, v31, v36
	v_fmaak_f32 v37, v31, v38, 0x3d2aabf7
	v_dual_fmac_f32 v24, v24, v35 :: v_dual_and_b32 v29, 0x80000000, v29
	s_delay_alu instid0(VALU_DEP_2) | instskip(SKIP_4) | instid1(VALU_DEP_1)
	v_dual_fmac_f32 v0, v0, v36 :: v_dual_fmaak_f32 v37, v31, v37, 0xbf000004
	s_waitcnt_depctr 0xfff
	v_ldexp_f32 v28, v28, v34
	v_fma_f32 v31, v31, v37, 1.0
	v_fmaak_f32 v33, v30, v33, 0xbf000004
	v_fma_f32 v30, v30, v33, 1.0
	s_delay_alu instid0(VALU_DEP_1) | instskip(SKIP_1) | instid1(VALU_DEP_2)
	v_cndmask_b32_e64 v24, -v24, v30, vcc_lo
	v_cmp_eq_u32_e32 vcc_lo, 0, v32
	v_xor_b32_e32 v24, v27, v24
	v_cndmask_b32_e32 v0, v31, v0, vcc_lo
	v_cmp_ngt_f32_e32 vcc_lo, 0xc2ce8ed0, v26
	s_delay_alu instid0(VALU_DEP_2) | instskip(SKIP_2) | instid1(VALU_DEP_2)
	v_xor3_b32 v0, v11, v29, v0
	v_cndmask_b32_e32 v25, 0, v28, vcc_lo
	v_cmp_class_f32_e64 vcc_lo, v10, 0x1f8
	v_cndmask_b32_e64 v26, 0x7f800000, v25, s3
	v_cndmask_b32_e32 v24, 0x7fc00000, v24, vcc_lo
	v_cndmask_b32_e32 v0, 0x7fc00000, v0, vcc_lo
	s_delay_alu instid0(VALU_DEP_2) | instskip(NEXT) | instid1(VALU_DEP_2)
	v_mul_f32_e32 v25, v26, v24
	v_mul_f32_e32 v0, v26, v0
	s_delay_alu instid0(VALU_DEP_1) | instskip(NEXT) | instid1(VALU_DEP_1)
	v_max_f32_e64 v27, |v25|, |v0|
	v_cvt_f64_f32_e32 v[10:11], v27
	v_cmp_eq_f32_e32 vcc_lo, 0x7f800000, v27
	s_delay_alu instid0(VALU_DEP_2) | instskip(NEXT) | instid1(VALU_DEP_1)
	v_frexp_exp_i32_f64_e32 v10, v[10:11]
	v_sub_nc_u32_e32 v11, 0, v10
	s_delay_alu instid0(VALU_DEP_1) | instskip(SKIP_1) | instid1(VALU_DEP_2)
	v_ldexp_f32 v28, |v0|, v11
	v_ldexp_f32 v11, |v25|, v11
	v_mul_f32_e32 v28, v28, v28
	s_delay_alu instid0(VALU_DEP_1) | instskip(NEXT) | instid1(VALU_DEP_1)
	v_fmac_f32_e32 v28, v11, v11
	v_sqrt_f32_e32 v11, v28
	s_waitcnt_depctr 0xfff
	v_ldexp_f32 v11, v11, v10
	v_fma_f32 v10, v26, v24, 1.0
	s_delay_alu instid0(VALU_DEP_2) | instskip(NEXT) | instid1(VALU_DEP_2)
	v_cmp_ngt_f32_e64 s3, 0.5, v11
	v_max_f32_e64 v11, |v10|, |v0|
	s_delay_alu instid0(VALU_DEP_2) | instskip(NEXT) | instid1(SALU_CYCLE_1)
	s_or_b32 s3, vcc_lo, s3
	s_and_saveexec_b32 s4, s3
	s_delay_alu instid0(SALU_CYCLE_1)
	s_xor_b32 s4, exec_lo, s4
	s_cbranch_execz .LBB351_220
; %bb.219:                              ;   in Loop: Header=BB351_199 Depth=3
	v_cvt_f64_f32_e32 v[24:25], v11
	v_cmp_neq_f32_e32 vcc_lo, 0x7f800000, v11
	s_delay_alu instid0(VALU_DEP_2) | instskip(NEXT) | instid1(VALU_DEP_1)
	v_frexp_exp_i32_f64_e32 v24, v[24:25]
	v_sub_nc_u32_e32 v25, 0, v24
	s_delay_alu instid0(VALU_DEP_1) | instskip(SKIP_1) | instid1(VALU_DEP_2)
	v_ldexp_f32 v26, |v0|, v25
	v_ldexp_f32 v25, |v10|, v25
	v_mul_f32_e32 v26, v26, v26
	s_delay_alu instid0(VALU_DEP_1) | instskip(NEXT) | instid1(VALU_DEP_1)
	v_fmac_f32_e32 v26, v25, v25
	v_sqrt_f32_e32 v25, v26
	s_waitcnt_depctr 0xfff
	v_ldexp_f32 v24, v25, v24
	s_delay_alu instid0(VALU_DEP_1) | instskip(NEXT) | instid1(VALU_DEP_1)
	v_cndmask_b32_e32 v24, 0x7f800000, v24, vcc_lo
	v_cmp_gt_f32_e32 vcc_lo, 0x800000, v24
	v_cndmask_b32_e64 v25, 1.0, 0x4f800000, vcc_lo
	s_delay_alu instid0(VALU_DEP_1) | instskip(NEXT) | instid1(VALU_DEP_1)
	v_mul_f32_e32 v24, v24, v25
	v_log_f32_e32 v24, v24
	s_waitcnt_depctr 0xfff
	v_mul_f32_e32 v25, 0x3f317217, v24
	v_cmp_gt_f32_e64 s3, 0x7f800000, |v24|
	s_delay_alu instid0(VALU_DEP_2) | instskip(NEXT) | instid1(VALU_DEP_1)
	v_fma_f32 v26, 0x3f317217, v24, -v25
	v_fmac_f32_e32 v26, 0x3377d1cf, v24
	s_delay_alu instid0(VALU_DEP_1) | instskip(NEXT) | instid1(VALU_DEP_1)
	v_add_f32_e32 v25, v25, v26
	v_cndmask_b32_e64 v24, v24, v25, s3
	v_cndmask_b32_e64 v25, 0, 0x41b17218, vcc_lo
	s_delay_alu instid0(VALU_DEP_1)
	v_sub_f32_e32 v25, v24, v25
.LBB351_220:                            ;   in Loop: Header=BB351_199 Depth=3
	s_and_not1_saveexec_b32 s3, s4
	s_cbranch_execz .LBB351_224
; %bb.221:                              ;   in Loop: Header=BB351_199 Depth=3
	s_delay_alu instid0(VALU_DEP_1) | instskip(SKIP_2) | instid1(VALU_DEP_1)
	v_add_f32_e32 v26, 2.0, v25
	v_mul_f32_e32 v24, v0, v0
	s_mov_b32 s4, exec_lo
	v_fmac_f32_e32 v24, v25, v26
	s_delay_alu instid0(VALU_DEP_1)
	v_cmpx_neq_f32_e32 0, v24
	s_cbranch_execz .LBB351_223
; %bb.222:                              ;   in Loop: Header=BB351_199 Depth=3
	v_add_f32_e32 v27, 1.0, v24
	s_delay_alu instid0(VALU_DEP_1) | instskip(NEXT) | instid1(VALU_DEP_1)
	v_cvt_f64_f32_e32 v[25:26], v27
	v_frexp_exp_i32_f64_e32 v25, v[25:26]
	v_frexp_mant_f32_e32 v26, v27
	s_delay_alu instid0(VALU_DEP_1) | instskip(SKIP_1) | instid1(VALU_DEP_1)
	v_cmp_gt_f32_e32 vcc_lo, 0x3f2aaaab, v26
	v_add_f32_e32 v26, -1.0, v27
	v_sub_f32_e32 v29, v26, v27
	s_delay_alu instid0(VALU_DEP_1) | instskip(SKIP_2) | instid1(VALU_DEP_2)
	v_dual_add_f32 v29, 1.0, v29 :: v_dual_sub_f32 v26, v24, v26
	v_subrev_co_ci_u32_e32 v25, vcc_lo, 0, v25, vcc_lo
	v_cmp_eq_f32_e32 vcc_lo, 0x7f800000, v24
	v_sub_nc_u32_e32 v28, 0, v25
	v_cvt_f32_i32_e32 v25, v25
	s_delay_alu instid0(VALU_DEP_2) | instskip(NEXT) | instid1(VALU_DEP_1)
	v_ldexp_f32 v27, v27, v28
	v_add_f32_e32 v30, 1.0, v27
	s_delay_alu instid0(VALU_DEP_1) | instskip(NEXT) | instid1(VALU_DEP_1)
	v_dual_add_f32 v26, v26, v29 :: v_dual_add_f32 v29, -1.0, v30
	v_ldexp_f32 v26, v26, v28
	s_delay_alu instid0(VALU_DEP_2) | instskip(NEXT) | instid1(VALU_DEP_1)
	v_dual_sub_f32 v29, v27, v29 :: v_dual_add_f32 v28, -1.0, v27
	v_add_f32_e32 v29, v26, v29
	s_delay_alu instid0(VALU_DEP_2) | instskip(NEXT) | instid1(VALU_DEP_1)
	v_add_f32_e32 v31, 1.0, v28
	v_sub_f32_e32 v27, v27, v31
	s_delay_alu instid0(VALU_DEP_1) | instskip(NEXT) | instid1(VALU_DEP_1)
	v_add_f32_e32 v26, v26, v27
	v_dual_add_f32 v32, v28, v26 :: v_dual_add_f32 v31, v30, v29
	s_delay_alu instid0(VALU_DEP_1) | instskip(NEXT) | instid1(VALU_DEP_2)
	v_sub_f32_e32 v28, v32, v28
	v_rcp_f32_e32 v27, v31
	v_sub_f32_e32 v30, v31, v30
	s_delay_alu instid0(VALU_DEP_1) | instskip(SKIP_2) | instid1(VALU_DEP_1)
	v_dual_sub_f32 v26, v26, v28 :: v_dual_sub_f32 v29, v29, v30
	s_waitcnt_depctr 0xfff
	v_mul_f32_e32 v33, v32, v27
	v_mul_f32_e32 v34, v31, v33
	s_delay_alu instid0(VALU_DEP_1) | instskip(NEXT) | instid1(VALU_DEP_1)
	v_fma_f32 v30, v33, v31, -v34
	v_fmac_f32_e32 v30, v33, v29
	s_delay_alu instid0(VALU_DEP_1) | instskip(NEXT) | instid1(VALU_DEP_1)
	v_add_f32_e32 v35, v34, v30
	v_sub_f32_e32 v36, v32, v35
	v_sub_f32_e32 v28, v35, v34
	s_delay_alu instid0(VALU_DEP_2) | instskip(NEXT) | instid1(VALU_DEP_2)
	v_sub_f32_e32 v32, v32, v36
	v_sub_f32_e32 v28, v28, v30
	s_delay_alu instid0(VALU_DEP_2) | instskip(NEXT) | instid1(VALU_DEP_1)
	v_sub_f32_e32 v32, v32, v35
	v_add_f32_e32 v26, v26, v32
	s_delay_alu instid0(VALU_DEP_1) | instskip(NEXT) | instid1(VALU_DEP_1)
	v_add_f32_e32 v26, v28, v26
	v_add_f32_e32 v28, v36, v26
	s_delay_alu instid0(VALU_DEP_1) | instskip(NEXT) | instid1(VALU_DEP_1)
	v_mul_f32_e32 v30, v27, v28
	v_dual_sub_f32 v35, v36, v28 :: v_dual_mul_f32 v32, v31, v30
	s_delay_alu instid0(VALU_DEP_1) | instskip(NEXT) | instid1(VALU_DEP_2)
	v_add_f32_e32 v26, v26, v35
	v_fma_f32 v31, v30, v31, -v32
	s_delay_alu instid0(VALU_DEP_1) | instskip(NEXT) | instid1(VALU_DEP_1)
	v_fmac_f32_e32 v31, v30, v29
	v_add_f32_e32 v29, v32, v31
	s_delay_alu instid0(VALU_DEP_1) | instskip(SKIP_1) | instid1(VALU_DEP_2)
	v_sub_f32_e32 v34, v28, v29
	v_sub_f32_e32 v32, v29, v32
	;; [unrolled: 1-line block ×3, first 2 shown]
	s_delay_alu instid0(VALU_DEP_1) | instskip(NEXT) | instid1(VALU_DEP_1)
	v_sub_f32_e32 v28, v28, v29
	v_dual_sub_f32 v29, v32, v31 :: v_dual_add_f32 v26, v26, v28
	v_add_f32_e32 v28, v33, v30
	s_delay_alu instid0(VALU_DEP_1) | instskip(NEXT) | instid1(VALU_DEP_1)
	v_dual_add_f32 v26, v29, v26 :: v_dual_sub_f32 v29, v28, v33
	v_add_f32_e32 v26, v34, v26
	s_delay_alu instid0(VALU_DEP_1) | instskip(NEXT) | instid1(VALU_DEP_1)
	v_dual_sub_f32 v29, v30, v29 :: v_dual_mul_f32 v26, v27, v26
	v_add_f32_e32 v26, v29, v26
	s_delay_alu instid0(VALU_DEP_1) | instskip(NEXT) | instid1(VALU_DEP_1)
	v_add_f32_e32 v27, v28, v26
	v_mul_f32_e32 v29, v27, v27
	s_delay_alu instid0(VALU_DEP_1) | instskip(SKIP_1) | instid1(VALU_DEP_2)
	v_fmaak_f32 v30, s30, v29, 0x3ecc95a3
	v_mul_f32_e32 v31, v27, v29
	v_fmaak_f32 v29, v29, v30, 0x3f2aaada
	v_ldexp_f32 v30, v27, 1
	v_sub_f32_e32 v27, v27, v28
	s_delay_alu instid0(VALU_DEP_3) | instskip(NEXT) | instid1(VALU_DEP_2)
	v_mul_f32_e32 v29, v31, v29
	v_dual_mul_f32 v31, 0x3f317218, v25 :: v_dual_sub_f32 v26, v26, v27
	s_delay_alu instid0(VALU_DEP_2) | instskip(NEXT) | instid1(VALU_DEP_2)
	v_add_f32_e32 v28, v30, v29
	v_ldexp_f32 v26, v26, 1
	s_delay_alu instid0(VALU_DEP_2) | instskip(NEXT) | instid1(VALU_DEP_4)
	v_sub_f32_e32 v27, v28, v30
	v_fma_f32 v30, 0x3f317218, v25, -v31
	s_delay_alu instid0(VALU_DEP_1) | instskip(NEXT) | instid1(VALU_DEP_1)
	v_dual_sub_f32 v27, v29, v27 :: v_dual_fmac_f32 v30, 0xb102e308, v25
	v_add_f32_e32 v25, v26, v27
	s_delay_alu instid0(VALU_DEP_1) | instskip(NEXT) | instid1(VALU_DEP_1)
	v_add_f32_e32 v27, v28, v25
	v_sub_f32_e32 v28, v27, v28
	s_delay_alu instid0(VALU_DEP_1) | instskip(NEXT) | instid1(VALU_DEP_1)
	v_dual_sub_f32 v25, v25, v28 :: v_dual_add_f32 v26, v31, v30
	v_add_f32_e32 v29, v26, v27
	s_delay_alu instid0(VALU_DEP_1) | instskip(NEXT) | instid1(VALU_DEP_1)
	v_dual_sub_f32 v31, v26, v31 :: v_dual_sub_f32 v32, v29, v26
	v_dual_sub_f32 v30, v30, v31 :: v_dual_sub_f32 v33, v29, v32
	s_delay_alu instid0(VALU_DEP_1) | instskip(NEXT) | instid1(VALU_DEP_2)
	v_dual_sub_f32 v27, v27, v32 :: v_dual_add_f32 v28, v30, v25
	v_sub_f32_e32 v26, v26, v33
	s_delay_alu instid0(VALU_DEP_1) | instskip(NEXT) | instid1(VALU_DEP_3)
	v_add_f32_e32 v26, v27, v26
	v_sub_f32_e32 v27, v28, v30
	s_delay_alu instid0(VALU_DEP_2) | instskip(NEXT) | instid1(VALU_DEP_2)
	v_add_f32_e32 v26, v28, v26
	v_sub_f32_e32 v28, v28, v27
	v_sub_f32_e32 v25, v25, v27
	s_delay_alu instid0(VALU_DEP_2) | instskip(NEXT) | instid1(VALU_DEP_1)
	v_dual_add_f32 v31, v29, v26 :: v_dual_sub_f32 v28, v30, v28
	v_sub_f32_e32 v27, v31, v29
	s_delay_alu instid0(VALU_DEP_1) | instskip(NEXT) | instid1(VALU_DEP_1)
	v_dual_add_f32 v25, v25, v28 :: v_dual_sub_f32 v26, v26, v27
	v_add_f32_e32 v25, v25, v26
	s_delay_alu instid0(VALU_DEP_1) | instskip(NEXT) | instid1(VALU_DEP_1)
	v_add_f32_e32 v25, v31, v25
	v_cndmask_b32_e32 v25, v25, v24, vcc_lo
	v_cmp_ngt_f32_e32 vcc_lo, -1.0, v24
	s_delay_alu instid0(VALU_DEP_2) | instskip(SKIP_1) | instid1(VALU_DEP_2)
	v_cndmask_b32_e32 v25, 0x7fc00000, v25, vcc_lo
	v_cmp_neq_f32_e32 vcc_lo, -1.0, v24
	v_cndmask_b32_e32 v25, 0xff800000, v25, vcc_lo
	v_cmp_gt_f32_e64 vcc_lo, 0x33800000, |v24|
	s_delay_alu instid0(VALU_DEP_2) | instskip(NEXT) | instid1(VALU_DEP_1)
	v_cndmask_b32_e32 v24, v25, v24, vcc_lo
	v_mul_f32_e32 v25, 0.5, v24
.LBB351_223:                            ;   in Loop: Header=BB351_199 Depth=3
	s_or_b32 exec_lo, exec_lo, s4
.LBB351_224:                            ;   in Loop: Header=BB351_199 Depth=3
	s_delay_alu instid0(SALU_CYCLE_1)
	s_or_b32 exec_lo, exec_lo, s3
	v_max_f32_e64 v24, |v0|, |v0|
	v_max_f32_e64 v26, |v10|, |v10|
	v_frexp_mant_f32_e32 v27, v11
	v_frexp_exp_i32_f32_e32 v11, v11
	v_cmp_gt_f32_e64 vcc_lo, |v0|, |v10|
	v_cmp_gt_i32_e64 s3, 0, v10
	v_min_f32_e32 v24, v26, v24
	v_rcp_f32_e32 v26, v27
	v_cmp_class_f32_e64 s4, v10, 0x204
	s_delay_alu instid0(VALU_DEP_2)
	v_frexp_mant_f32_e32 v27, v24
	v_frexp_exp_i32_f32_e32 v24, v24
	s_waitcnt_depctr 0xfff
	v_mul_f32_e32 v26, v27, v26
	v_sub_nc_u32_e32 v11, v24, v11
	v_cndmask_b32_e64 v27, 0, 0x40490fdb, s3
	v_cmp_class_f32_e64 s3, v0, 0x204
	s_delay_alu instid0(VALU_DEP_3) | instskip(NEXT) | instid1(VALU_DEP_1)
	v_ldexp_f32 v11, v26, v11
	v_mul_f32_e32 v24, v11, v11
	s_delay_alu instid0(VALU_DEP_1) | instskip(NEXT) | instid1(VALU_DEP_1)
	v_fmaak_f32 v26, s31, v24, 0xbc7a590c
	v_fmaak_f32 v26, v24, v26, 0x3d29fb3f
	s_delay_alu instid0(VALU_DEP_1) | instskip(NEXT) | instid1(VALU_DEP_1)
	v_fmaak_f32 v26, v24, v26, 0xbd97d4d7
	v_fmaak_f32 v26, v24, v26, 0x3dd931b2
	;; [unrolled: 3-line block ×3, first 2 shown]
	s_delay_alu instid0(VALU_DEP_1) | instskip(NEXT) | instid1(VALU_DEP_1)
	v_fmaak_f32 v26, v24, v26, 0xbeaaaa62
	v_mul_f32_e32 v24, v24, v26
	s_delay_alu instid0(VALU_DEP_1) | instskip(NEXT) | instid1(VALU_DEP_1)
	v_fmac_f32_e32 v11, v11, v24
	v_sub_f32_e32 v24, 0x3fc90fdb, v11
	s_delay_alu instid0(VALU_DEP_1) | instskip(SKIP_1) | instid1(VALU_DEP_2)
	v_cndmask_b32_e32 v11, v11, v24, vcc_lo
	v_cmp_gt_f32_e32 vcc_lo, 0, v10
	v_sub_f32_e32 v24, 0x40490fdb, v11
	v_cndmask_b32_e32 v26, 0x3f490fdb, v17, vcc_lo
	s_delay_alu instid0(VALU_DEP_2) | instskip(SKIP_1) | instid1(VALU_DEP_2)
	v_cndmask_b32_e32 v11, v11, v24, vcc_lo
	v_cmp_eq_f32_e32 vcc_lo, 0, v0
	v_cndmask_b32_e32 v11, v11, v27, vcc_lo
	s_and_b32 vcc_lo, s4, s3
	s_delay_alu instid0(VALU_DEP_1) | instskip(SKIP_2) | instid1(VALU_DEP_3)
	v_cndmask_b32_e32 v11, v11, v26, vcc_lo
	v_cmp_o_f32_e32 vcc_lo, v10, v0
	v_add_f32_e32 v26, v8, v25
                                        ; implicit-def: $vgpr25
	v_cndmask_b32_e32 v10, 0x7fc00000, v11, vcc_lo
	s_delay_alu instid0(VALU_DEP_1) | instskip(NEXT) | instid1(VALU_DEP_1)
	v_bfi_b32 v0, 0x7fffffff, v10, v0
	v_add_f32_e32 v24, v9, v0
                                        ; implicit-def: $vgpr9
.LBB351_225:                            ;   in Loop: Header=BB351_199 Depth=3
	s_and_not1_saveexec_b32 s36, s36
	s_cbranch_execz .LBB351_196
; %bb.226:                              ;   in Loop: Header=BB351_199 Depth=3
	s_mov_b32 s37, exec_lo
	v_cmpx_ngt_f32_e32 0, v26
	s_cbranch_execz .LBB351_195
; %bb.227:                              ;   in Loop: Header=BB351_199 Depth=3
	v_and_b32_e32 v8, 0x7fffffff, v24
	v_cmp_ngt_f32_e64 s38, 0x48000000, |v24|
                                        ; implicit-def: $vgpr11
                                        ; implicit-def: $vgpr10
	s_delay_alu instid0(VALU_DEP_2) | instskip(SKIP_1) | instid1(VALU_DEP_2)
	v_lshrrev_b32_e32 v0, 23, v8
	v_and_or_b32 v27, v8, s24, 0x800000
	v_add_nc_u32_e32 v29, 0xffffff88, v0
	s_delay_alu instid0(VALU_DEP_4) | instskip(NEXT) | instid1(SALU_CYCLE_1)
	s_and_saveexec_b32 s3, s38
	s_xor_b32 s39, exec_lo, s3
	s_cbranch_execz .LBB351_229
; %bb.228:                              ;   in Loop: Header=BB351_199 Depth=3
	v_mad_u64_u32 v[10:11], null, 0xfe5163ab, v27, 0
	v_cmp_lt_u32_e32 vcc_lo, 63, v29
	s_delay_alu instid0(VALU_DEP_2) | instskip(SKIP_1) | instid1(VALU_DEP_1)
	v_mov_b32_e32 v0, v11
	v_cndmask_b32_e64 v11, 0, 0xffffffc0, vcc_lo
	v_add_nc_u32_e32 v11, v11, v29
	s_delay_alu instid0(VALU_DEP_1) | instskip(NEXT) | instid1(VALU_DEP_1)
	v_cmp_lt_u32_e64 s3, 31, v11
	v_cndmask_b32_e64 v26, 0, 0xffffffe0, s3
	s_delay_alu instid0(VALU_DEP_1) | instskip(SKIP_1) | instid1(VALU_DEP_2)
	v_add_nc_u32_e32 v11, v26, v11
	v_mad_u64_u32 v[30:31], null, 0x3c439041, v27, v[0:1]
	v_cmp_lt_u32_e64 s4, 31, v11
	s_delay_alu instid0(VALU_DEP_2) | instskip(NEXT) | instid1(VALU_DEP_1)
	v_mov_b32_e32 v0, v31
	v_mad_u64_u32 v[31:32], null, 0xdb629599, v27, v[0:1]
	s_delay_alu instid0(VALU_DEP_1) | instskip(NEXT) | instid1(VALU_DEP_2)
	v_mov_b32_e32 v0, v32
	v_cndmask_b32_e32 v10, v31, v10, vcc_lo
	s_delay_alu instid0(VALU_DEP_2) | instskip(NEXT) | instid1(VALU_DEP_1)
	v_mad_u64_u32 v[32:33], null, 0xf534ddc0, v27, v[0:1]
	v_mov_b32_e32 v0, v33
	s_delay_alu instid0(VALU_DEP_1) | instskip(NEXT) | instid1(VALU_DEP_1)
	v_mad_u64_u32 v[33:34], null, 0xfc2757d1, v27, v[0:1]
	v_mov_b32_e32 v0, v34
	s_delay_alu instid0(VALU_DEP_1) | instskip(NEXT) | instid1(VALU_DEP_1)
	v_mad_u64_u32 v[34:35], null, 0x4e441529, v27, v[0:1]
	v_mov_b32_e32 v0, v35
	s_delay_alu instid0(VALU_DEP_2) | instskip(NEXT) | instid1(VALU_DEP_2)
	v_cndmask_b32_e32 v26, v34, v32, vcc_lo
	v_mad_u64_u32 v[35:36], null, 0xa2f9836e, v27, v[0:1]
	v_cndmask_b32_e64 v0, 0, 0xffffffe0, s4
	s_delay_alu instid0(VALU_DEP_1) | instskip(NEXT) | instid1(VALU_DEP_3)
	v_add_nc_u32_e32 v0, v0, v11
	v_dual_cndmask_b32 v11, v32, v30 :: v_dual_cndmask_b32 v28, v35, v33
	s_delay_alu instid0(VALU_DEP_4) | instskip(NEXT) | instid1(VALU_DEP_3)
	v_dual_cndmask_b32 v34, v36, v34 :: v_dual_cndmask_b32 v33, v33, v31
	v_sub_nc_u32_e32 v32, 32, v0
	v_cmp_eq_u32_e64 s5, 0, v0
	s_delay_alu instid0(VALU_DEP_4) | instskip(NEXT) | instid1(VALU_DEP_4)
	v_cndmask_b32_e64 v30, v28, v26, s3
	v_cndmask_b32_e64 v28, v34, v28, s3
	;; [unrolled: 1-line block ×5, first 2 shown]
	s_delay_alu instid0(VALU_DEP_4) | instskip(NEXT) | instid1(VALU_DEP_4)
	v_cndmask_b32_e64 v28, v28, v30, s4
	v_cndmask_b32_e64 v30, v30, v26, s4
	s_delay_alu instid0(VALU_DEP_4) | instskip(NEXT) | instid1(VALU_DEP_4)
	v_cndmask_b32_e64 v26, v26, v33, s4
	v_cndmask_b32_e64 v10, v33, v10, s4
	s_delay_alu instid0(VALU_DEP_3) | instskip(NEXT) | instid1(VALU_DEP_3)
	v_alignbit_b32 v34, v28, v30, v32
	v_alignbit_b32 v35, v30, v26, v32
	s_delay_alu instid0(VALU_DEP_3) | instskip(NEXT) | instid1(VALU_DEP_3)
	v_alignbit_b32 v32, v26, v10, v32
	v_cndmask_b32_e64 v0, v34, v28, s5
	s_delay_alu instid0(VALU_DEP_3) | instskip(NEXT) | instid1(VALU_DEP_3)
	v_cndmask_b32_e64 v28, v35, v30, s5
	v_cndmask_b32_e64 v26, v32, v26, s5
	s_delay_alu instid0(VALU_DEP_3) | instskip(NEXT) | instid1(VALU_DEP_3)
	v_bfe_u32 v30, v0, 29, 1
	v_alignbit_b32 v11, v0, v28, 30
	s_delay_alu instid0(VALU_DEP_3) | instskip(SKIP_1) | instid1(VALU_DEP_4)
	v_alignbit_b32 v28, v28, v26, 30
	v_alignbit_b32 v10, v26, v10, 30
	v_sub_nc_u32_e32 v31, 0, v30
	s_delay_alu instid0(VALU_DEP_1) | instskip(SKIP_3) | instid1(VALU_DEP_4)
	v_xor_b32_e32 v33, v11, v31
	v_cmp_ne_u32_e32 vcc_lo, v11, v31
	v_xor_b32_e32 v26, v28, v31
	v_xor_b32_e32 v10, v10, v31
	v_clz_i32_u32_e32 v34, v33
	s_delay_alu instid0(VALU_DEP_1) | instskip(NEXT) | instid1(VALU_DEP_1)
	v_add_nc_u32_e32 v32, 1, v34
	v_cndmask_b32_e32 v11, 33, v32, vcc_lo
	s_delay_alu instid0(VALU_DEP_1) | instskip(NEXT) | instid1(VALU_DEP_1)
	v_sub_nc_u32_e32 v28, 32, v11
	v_alignbit_b32 v31, v33, v26, v28
	v_alignbit_b32 v10, v26, v10, v28
	v_lshrrev_b32_e32 v26, 29, v0
	v_lshrrev_b32_e32 v0, 30, v0
	s_delay_alu instid0(VALU_DEP_3) | instskip(NEXT) | instid1(VALU_DEP_3)
	v_alignbit_b32 v28, v31, v10, 9
	v_lshlrev_b32_e32 v26, 31, v26
	v_alignbit_b32 v31, v11, v31, 9
	s_delay_alu instid0(VALU_DEP_3) | instskip(NEXT) | instid1(VALU_DEP_2)
	v_clz_i32_u32_e32 v32, v28
	v_or_b32_e32 v31, v31, v26
	v_or_b32_e32 v26, 0x33800000, v26
	s_delay_alu instid0(VALU_DEP_3) | instskip(NEXT) | instid1(VALU_DEP_3)
	v_min_u32_e32 v32, 32, v32
	v_xor_b32_e32 v31, 1.0, v31
	s_delay_alu instid0(VALU_DEP_2) | instskip(SKIP_1) | instid1(VALU_DEP_3)
	v_sub_nc_u32_e32 v33, 31, v32
	v_add_lshl_u32 v11, v32, v11, 23
	v_mul_f32_e32 v32, 0x3fc90fda, v31
	s_delay_alu instid0(VALU_DEP_3) | instskip(NEXT) | instid1(VALU_DEP_3)
	v_alignbit_b32 v10, v28, v10, v33
	v_sub_nc_u32_e32 v11, v26, v11
	s_delay_alu instid0(VALU_DEP_3) | instskip(NEXT) | instid1(VALU_DEP_3)
	v_fma_f32 v26, 0x3fc90fda, v31, -v32
	v_lshrrev_b32_e32 v10, 9, v10
	s_delay_alu instid0(VALU_DEP_2) | instskip(NEXT) | instid1(VALU_DEP_2)
	v_fmac_f32_e32 v26, 0x33a22168, v31
	v_or_b32_e32 v10, v11, v10
	s_delay_alu instid0(VALU_DEP_1) | instskip(NEXT) | instid1(VALU_DEP_1)
	v_dual_fmac_f32 v26, 0x3fc90fda, v10 :: v_dual_add_nc_u32 v11, v30, v0
	v_add_f32_e32 v10, v32, v26
.LBB351_229:                            ;   in Loop: Header=BB351_199 Depth=3
	s_or_saveexec_b32 s3, s39
	v_mul_f32_e64 v0, 0x3f22f983, |v24|
	s_delay_alu instid0(VALU_DEP_1)
	v_rndne_f32_e32 v0, v0
	s_xor_b32 exec_lo, exec_lo, s3
; %bb.230:                              ;   in Loop: Header=BB351_199 Depth=3
	s_delay_alu instid0(VALU_DEP_1) | instskip(SKIP_1) | instid1(VALU_DEP_2)
	v_fma_f32 v10, 0xbfc90fda, v0, |v24|
	v_cvt_i32_f32_e32 v11, v0
	v_fmac_f32_e32 v10, 0xb3a22168, v0
	s_delay_alu instid0(VALU_DEP_1)
	v_fmac_f32_e32 v10, 0xa7c234c4, v0
; %bb.231:                              ;   in Loop: Header=BB351_199 Depth=3
	s_or_b32 exec_lo, exec_lo, s3
                                        ; implicit-def: $vgpr28
                                        ; implicit-def: $vgpr26
	s_and_saveexec_b32 s3, s38
	s_delay_alu instid0(SALU_CYCLE_1)
	s_xor_b32 s38, exec_lo, s3
	s_cbranch_execz .LBB351_233
; %bb.232:                              ;   in Loop: Header=BB351_199 Depth=3
	v_mad_u64_u32 v[30:31], null, 0xfe5163ab, v27, 0
	v_cmp_lt_u32_e32 vcc_lo, 63, v29
	v_cndmask_b32_e64 v26, 0, 0xffffffc0, vcc_lo
	s_delay_alu instid0(VALU_DEP_3) | instskip(NEXT) | instid1(VALU_DEP_2)
	v_mov_b32_e32 v0, v31
	v_add_nc_u32_e32 v26, v26, v29
	s_delay_alu instid0(VALU_DEP_2) | instskip(NEXT) | instid1(VALU_DEP_2)
	v_mad_u64_u32 v[31:32], null, 0x3c439041, v27, v[0:1]
	v_cmp_lt_u32_e64 s3, 31, v26
	s_delay_alu instid0(VALU_DEP_2) | instskip(NEXT) | instid1(VALU_DEP_1)
	v_mov_b32_e32 v0, v32
	v_mad_u64_u32 v[32:33], null, 0xdb629599, v27, v[0:1]
	s_delay_alu instid0(VALU_DEP_1) | instskip(NEXT) | instid1(VALU_DEP_1)
	v_mov_b32_e32 v0, v33
	v_mad_u64_u32 v[33:34], null, 0xf534ddc0, v27, v[0:1]
	s_delay_alu instid0(VALU_DEP_1) | instskip(NEXT) | instid1(VALU_DEP_1)
	v_mov_b32_e32 v0, v34
	v_mad_u64_u32 v[34:35], null, 0xfc2757d1, v27, v[0:1]
	s_delay_alu instid0(VALU_DEP_1) | instskip(SKIP_1) | instid1(VALU_DEP_2)
	v_mov_b32_e32 v0, v35
	v_cndmask_b32_e64 v35, 0, 0xffffffe0, s3
	v_mad_u64_u32 v[28:29], null, 0x4e441529, v27, v[0:1]
	s_delay_alu instid0(VALU_DEP_2) | instskip(NEXT) | instid1(VALU_DEP_1)
	v_add_nc_u32_e32 v26, v35, v26
	v_cmp_lt_u32_e64 s4, 31, v26
	s_delay_alu instid0(VALU_DEP_3) | instskip(NEXT) | instid1(VALU_DEP_1)
	v_mov_b32_e32 v0, v29
	v_mad_u64_u32 v[35:36], null, 0xa2f9836e, v27, v[0:1]
	s_delay_alu instid0(VALU_DEP_3) | instskip(SKIP_1) | instid1(VALU_DEP_2)
	v_cndmask_b32_e64 v0, 0, 0xffffffe0, s4
	v_cndmask_b32_e32 v27, v28, v33, vcc_lo
	v_add_nc_u32_e32 v0, v0, v26
	s_delay_alu instid0(VALU_DEP_4) | instskip(SKIP_2) | instid1(VALU_DEP_4)
	v_dual_cndmask_b32 v29, v35, v34 :: v_dual_cndmask_b32 v28, v36, v28
	v_cndmask_b32_e32 v34, v34, v32, vcc_lo
	v_cndmask_b32_e32 v26, v33, v31, vcc_lo
	v_cmp_eq_u32_e64 s5, 0, v0
	s_delay_alu instid0(VALU_DEP_4) | instskip(SKIP_4) | instid1(VALU_DEP_4)
	v_cndmask_b32_e64 v31, v29, v27, s3
	v_cndmask_b32_e64 v28, v28, v29, s3
	;; [unrolled: 1-line block ×3, first 2 shown]
	v_sub_nc_u32_e32 v29, 32, v0
	v_cndmask_b32_e64 v33, v34, v26, s3
	v_cndmask_b32_e64 v28, v28, v31, s4
	s_delay_alu instid0(VALU_DEP_4) | instskip(NEXT) | instid1(VALU_DEP_3)
	v_cndmask_b32_e64 v31, v31, v27, s4
	v_cndmask_b32_e64 v27, v27, v33, s4
	s_delay_alu instid0(VALU_DEP_2) | instskip(NEXT) | instid1(VALU_DEP_2)
	v_alignbit_b32 v34, v28, v31, v29
	v_alignbit_b32 v35, v31, v27, v29
	s_delay_alu instid0(VALU_DEP_2) | instskip(SKIP_1) | instid1(VALU_DEP_3)
	v_cndmask_b32_e64 v0, v34, v28, s5
	v_cndmask_b32_e32 v28, v32, v30, vcc_lo
	v_cndmask_b32_e64 v30, v35, v31, s5
	s_delay_alu instid0(VALU_DEP_3) | instskip(NEXT) | instid1(VALU_DEP_3)
	v_bfe_u32 v31, v0, 29, 1
	v_cndmask_b32_e64 v26, v26, v28, s3
	s_delay_alu instid0(VALU_DEP_3) | instskip(NEXT) | instid1(VALU_DEP_3)
	v_alignbit_b32 v28, v0, v30, 30
	v_sub_nc_u32_e32 v32, 0, v31
	s_delay_alu instid0(VALU_DEP_3) | instskip(NEXT) | instid1(VALU_DEP_2)
	v_cndmask_b32_e64 v26, v33, v26, s4
	v_xor_b32_e32 v33, v28, v32
	s_delay_alu instid0(VALU_DEP_2) | instskip(SKIP_1) | instid1(VALU_DEP_3)
	v_alignbit_b32 v29, v27, v26, v29
	v_cmp_ne_u32_e32 vcc_lo, v28, v32
	v_clz_i32_u32_e32 v34, v33
	s_delay_alu instid0(VALU_DEP_3) | instskip(NEXT) | instid1(VALU_DEP_2)
	v_cndmask_b32_e64 v27, v29, v27, s5
	v_add_nc_u32_e32 v29, 1, v34
	s_delay_alu instid0(VALU_DEP_2) | instskip(SKIP_1) | instid1(VALU_DEP_3)
	v_alignbit_b32 v30, v30, v27, 30
	v_alignbit_b32 v26, v27, v26, 30
	v_cndmask_b32_e32 v28, 33, v29, vcc_lo
	s_delay_alu instid0(VALU_DEP_3) | instskip(NEXT) | instid1(VALU_DEP_3)
	v_xor_b32_e32 v27, v30, v32
	v_xor_b32_e32 v26, v26, v32
	s_delay_alu instid0(VALU_DEP_3) | instskip(NEXT) | instid1(VALU_DEP_1)
	v_sub_nc_u32_e32 v29, 32, v28
	v_alignbit_b32 v30, v33, v27, v29
	s_delay_alu instid0(VALU_DEP_3) | instskip(SKIP_2) | instid1(VALU_DEP_3)
	v_alignbit_b32 v26, v27, v26, v29
	v_lshrrev_b32_e32 v27, 29, v0
	v_lshrrev_b32_e32 v0, 30, v0
	v_alignbit_b32 v29, v30, v26, 9
	s_delay_alu instid0(VALU_DEP_3) | instskip(SKIP_1) | instid1(VALU_DEP_3)
	v_lshlrev_b32_e32 v27, 31, v27
	v_alignbit_b32 v30, v28, v30, 9
	v_clz_i32_u32_e32 v32, v29
	s_delay_alu instid0(VALU_DEP_2) | instskip(SKIP_1) | instid1(VALU_DEP_3)
	v_or_b32_e32 v30, v30, v27
	v_or_b32_e32 v27, 0x33800000, v27
	v_min_u32_e32 v32, 32, v32
	s_delay_alu instid0(VALU_DEP_3) | instskip(NEXT) | instid1(VALU_DEP_2)
	v_xor_b32_e32 v30, 1.0, v30
	v_sub_nc_u32_e32 v33, 31, v32
	v_add_lshl_u32 v28, v32, v28, 23
	s_delay_alu instid0(VALU_DEP_3) | instskip(NEXT) | instid1(VALU_DEP_3)
	v_mul_f32_e32 v32, 0x3fc90fda, v30
	v_alignbit_b32 v26, v29, v26, v33
	s_delay_alu instid0(VALU_DEP_3) | instskip(NEXT) | instid1(VALU_DEP_3)
	v_sub_nc_u32_e32 v27, v27, v28
	v_fma_f32 v28, 0x3fc90fda, v30, -v32
	s_delay_alu instid0(VALU_DEP_3) | instskip(NEXT) | instid1(VALU_DEP_2)
	v_lshrrev_b32_e32 v26, 9, v26
	v_fmac_f32_e32 v28, 0x33a22168, v30
	s_delay_alu instid0(VALU_DEP_2) | instskip(NEXT) | instid1(VALU_DEP_1)
	v_or_b32_e32 v26, v27, v26
	v_fmac_f32_e32 v28, 0x3fc90fda, v26
	s_delay_alu instid0(VALU_DEP_1)
	v_add_f32_e32 v26, v32, v28
	v_add_nc_u32_e32 v28, v31, v0
                                        ; implicit-def: $vgpr0
	s_and_not1_saveexec_b32 s3, s38
	s_cbranch_execnz .LBB351_234
	s_branch .LBB351_235
.LBB351_233:                            ;   in Loop: Header=BB351_199 Depth=3
	s_and_not1_saveexec_b32 s3, s38
.LBB351_234:                            ;   in Loop: Header=BB351_199 Depth=3
	v_fma_f32 v26, 0xbfc90fda, v0, |v24|
	v_cvt_i32_f32_e32 v28, v0
	s_delay_alu instid0(VALU_DEP_2) | instskip(NEXT) | instid1(VALU_DEP_1)
	v_fmac_f32_e32 v26, 0xb3a22168, v0
	v_fmac_f32_e32 v26, 0xa7c234c4, v0
.LBB351_235:                            ;   in Loop: Header=BB351_199 Depth=3
	s_or_b32 exec_lo, exec_lo, s3
	v_and_b32_e32 v27, 0x7fffffff, v9
	v_cmp_ngt_f32_e64 s38, 0x48000000, |v9|
                                        ; implicit-def: $vgpr30
                                        ; implicit-def: $vgpr29
	s_delay_alu instid0(VALU_DEP_2) | instskip(SKIP_1) | instid1(VALU_DEP_2)
	v_lshrrev_b32_e32 v0, 23, v27
	v_and_or_b32 v31, v27, s24, 0x800000
	v_add_nc_u32_e32 v32, 0xffffff88, v0
	s_delay_alu instid0(VALU_DEP_4) | instskip(NEXT) | instid1(SALU_CYCLE_1)
	s_and_saveexec_b32 s3, s38
	s_xor_b32 s39, exec_lo, s3
	s_cbranch_execz .LBB351_237
; %bb.236:                              ;   in Loop: Header=BB351_199 Depth=3
	v_mad_u64_u32 v[29:30], null, 0xfe5163ab, v31, 0
	v_cmp_lt_u32_e32 vcc_lo, 63, v32
	s_delay_alu instid0(VALU_DEP_2) | instskip(SKIP_1) | instid1(VALU_DEP_2)
	v_mov_b32_e32 v0, v30
	v_cndmask_b32_e64 v30, 0, 0xffffffc0, vcc_lo
	v_mad_u64_u32 v[33:34], null, 0x3c439041, v31, v[0:1]
	s_delay_alu instid0(VALU_DEP_2) | instskip(NEXT) | instid1(VALU_DEP_1)
	v_add_nc_u32_e32 v30, v30, v32
	v_cmp_lt_u32_e64 s3, 31, v30
	s_delay_alu instid0(VALU_DEP_3) | instskip(NEXT) | instid1(VALU_DEP_2)
	v_mov_b32_e32 v0, v34
	v_cndmask_b32_e64 v39, 0, 0xffffffe0, s3
	s_delay_alu instid0(VALU_DEP_2) | instskip(NEXT) | instid1(VALU_DEP_2)
	v_mad_u64_u32 v[34:35], null, 0xdb629599, v31, v[0:1]
	v_add_nc_u32_e32 v30, v39, v30
	s_delay_alu instid0(VALU_DEP_2) | instskip(NEXT) | instid1(VALU_DEP_2)
	v_dual_mov_b32 v0, v35 :: v_dual_cndmask_b32 v29, v34, v29
	v_cmp_lt_u32_e64 s4, 31, v30
	s_delay_alu instid0(VALU_DEP_2) | instskip(NEXT) | instid1(VALU_DEP_1)
	v_mad_u64_u32 v[35:36], null, 0xf534ddc0, v31, v[0:1]
	v_mov_b32_e32 v0, v36
	s_delay_alu instid0(VALU_DEP_1) | instskip(NEXT) | instid1(VALU_DEP_1)
	v_mad_u64_u32 v[36:37], null, 0xfc2757d1, v31, v[0:1]
	v_mov_b32_e32 v0, v37
	s_delay_alu instid0(VALU_DEP_1) | instskip(NEXT) | instid1(VALU_DEP_1)
	v_mad_u64_u32 v[37:38], null, 0x4e441529, v31, v[0:1]
	v_mov_b32_e32 v0, v38
	s_delay_alu instid0(VALU_DEP_2) | instskip(NEXT) | instid1(VALU_DEP_2)
	v_cndmask_b32_e32 v40, v37, v35, vcc_lo
	v_mad_u64_u32 v[38:39], null, 0xa2f9836e, v31, v[0:1]
	v_cndmask_b32_e64 v0, 0, 0xffffffe0, s4
	s_delay_alu instid0(VALU_DEP_1) | instskip(NEXT) | instid1(VALU_DEP_3)
	v_add_nc_u32_e32 v0, v0, v30
	v_dual_cndmask_b32 v38, v38, v36 :: v_dual_cndmask_b32 v37, v39, v37
	v_cndmask_b32_e32 v36, v36, v34, vcc_lo
	v_cndmask_b32_e32 v30, v35, v33, vcc_lo
	s_delay_alu instid0(VALU_DEP_4) | instskip(NEXT) | instid1(VALU_DEP_4)
	v_cmp_eq_u32_e64 s5, 0, v0
	v_cndmask_b32_e64 v33, v38, v40, s3
	v_cndmask_b32_e64 v35, v37, v38, s3
	;; [unrolled: 1-line block ×3, first 2 shown]
	v_sub_nc_u32_e32 v38, 32, v0
	v_cndmask_b32_e64 v36, v36, v30, s3
	v_cndmask_b32_e64 v29, v30, v29, s3
	;; [unrolled: 1-line block ×4, first 2 shown]
	s_delay_alu instid0(VALU_DEP_4) | instskip(NEXT) | instid1(VALU_DEP_4)
	v_cndmask_b32_e64 v37, v37, v36, s4
	v_cndmask_b32_e64 v29, v36, v29, s4
	s_delay_alu instid0(VALU_DEP_3) | instskip(NEXT) | instid1(VALU_DEP_3)
	v_alignbit_b32 v39, v35, v33, v38
	v_alignbit_b32 v40, v33, v37, v38
	s_delay_alu instid0(VALU_DEP_3) | instskip(NEXT) | instid1(VALU_DEP_3)
	v_alignbit_b32 v38, v37, v29, v38
	v_cndmask_b32_e64 v0, v39, v35, s5
	s_delay_alu instid0(VALU_DEP_3) | instskip(NEXT) | instid1(VALU_DEP_3)
	v_cndmask_b32_e64 v33, v40, v33, s5
	v_cndmask_b32_e64 v37, v38, v37, s5
	s_delay_alu instid0(VALU_DEP_3) | instskip(NEXT) | instid1(VALU_DEP_3)
	v_bfe_u32 v34, v0, 29, 1
	v_alignbit_b32 v30, v0, v33, 30
	s_delay_alu instid0(VALU_DEP_3) | instskip(SKIP_1) | instid1(VALU_DEP_4)
	v_alignbit_b32 v33, v33, v37, 30
	v_alignbit_b32 v29, v37, v29, 30
	v_sub_nc_u32_e32 v35, 0, v34
	s_delay_alu instid0(VALU_DEP_1) | instskip(SKIP_3) | instid1(VALU_DEP_4)
	v_xor_b32_e32 v36, v30, v35
	v_cmp_ne_u32_e32 vcc_lo, v30, v35
	v_xor_b32_e32 v33, v33, v35
	v_xor_b32_e32 v29, v29, v35
	v_clz_i32_u32_e32 v39, v36
	s_delay_alu instid0(VALU_DEP_1) | instskip(NEXT) | instid1(VALU_DEP_1)
	v_add_nc_u32_e32 v38, 1, v39
	v_cndmask_b32_e32 v30, 33, v38, vcc_lo
	s_delay_alu instid0(VALU_DEP_1) | instskip(NEXT) | instid1(VALU_DEP_1)
	v_sub_nc_u32_e32 v37, 32, v30
	v_alignbit_b32 v35, v36, v33, v37
	v_alignbit_b32 v29, v33, v29, v37
	v_lshrrev_b32_e32 v33, 29, v0
	v_lshrrev_b32_e32 v0, 30, v0
	s_delay_alu instid0(VALU_DEP_3) | instskip(NEXT) | instid1(VALU_DEP_3)
	v_alignbit_b32 v36, v35, v29, 9
	v_lshlrev_b32_e32 v33, 31, v33
	v_alignbit_b32 v35, v30, v35, 9
	s_delay_alu instid0(VALU_DEP_3) | instskip(NEXT) | instid1(VALU_DEP_2)
	v_clz_i32_u32_e32 v37, v36
	v_or_b32_e32 v35, v35, v33
	v_or_b32_e32 v33, 0x33800000, v33
	s_delay_alu instid0(VALU_DEP_3) | instskip(NEXT) | instid1(VALU_DEP_3)
	v_min_u32_e32 v37, 32, v37
	v_xor_b32_e32 v35, 1.0, v35
	s_delay_alu instid0(VALU_DEP_2) | instskip(SKIP_1) | instid1(VALU_DEP_3)
	v_sub_nc_u32_e32 v38, 31, v37
	v_add_lshl_u32 v30, v37, v30, 23
	v_mul_f32_e32 v37, 0x3fc90fda, v35
	s_delay_alu instid0(VALU_DEP_3) | instskip(NEXT) | instid1(VALU_DEP_3)
	v_alignbit_b32 v29, v36, v29, v38
	v_sub_nc_u32_e32 v30, v33, v30
	s_delay_alu instid0(VALU_DEP_3) | instskip(NEXT) | instid1(VALU_DEP_3)
	v_fma_f32 v33, 0x3fc90fda, v35, -v37
	v_lshrrev_b32_e32 v29, 9, v29
	s_delay_alu instid0(VALU_DEP_2) | instskip(NEXT) | instid1(VALU_DEP_2)
	v_fmac_f32_e32 v33, 0x33a22168, v35
	v_or_b32_e32 v29, v30, v29
	s_delay_alu instid0(VALU_DEP_1) | instskip(NEXT) | instid1(VALU_DEP_1)
	v_dual_fmac_f32 v33, 0x3fc90fda, v29 :: v_dual_add_nc_u32 v30, v34, v0
	v_add_f32_e32 v29, v37, v33
.LBB351_237:                            ;   in Loop: Header=BB351_199 Depth=3
	s_or_saveexec_b32 s3, s39
	v_mul_f32_e64 v0, 0x3f22f983, |v9|
	s_delay_alu instid0(VALU_DEP_1)
	v_rndne_f32_e32 v34, v0
	s_xor_b32 exec_lo, exec_lo, s3
; %bb.238:                              ;   in Loop: Header=BB351_199 Depth=3
	s_delay_alu instid0(VALU_DEP_1) | instskip(SKIP_1) | instid1(VALU_DEP_2)
	v_fma_f32 v29, 0xbfc90fda, v34, |v9|
	v_cvt_i32_f32_e32 v30, v34
	v_fmac_f32_e32 v29, 0xb3a22168, v34
	s_delay_alu instid0(VALU_DEP_1)
	v_fmac_f32_e32 v29, 0xa7c234c4, v34
; %bb.239:                              ;   in Loop: Header=BB351_199 Depth=3
	s_or_b32 exec_lo, exec_lo, s3
                                        ; implicit-def: $vgpr33
                                        ; implicit-def: $vgpr0
	s_and_saveexec_b32 s3, s38
	s_delay_alu instid0(SALU_CYCLE_1)
	s_xor_b32 s38, exec_lo, s3
	s_cbranch_execz .LBB351_241
; %bb.240:                              ;   in Loop: Header=BB351_199 Depth=3
	v_mad_u64_u32 v[33:34], null, 0xfe5163ab, v31, 0
	v_cmp_lt_u32_e32 vcc_lo, 63, v32
	v_cndmask_b32_e64 v39, 0, 0xffffffc0, vcc_lo
	s_delay_alu instid0(VALU_DEP_3) | instskip(NEXT) | instid1(VALU_DEP_2)
	v_mov_b32_e32 v0, v34
	v_add_nc_u32_e32 v32, v39, v32
	s_delay_alu instid0(VALU_DEP_2) | instskip(NEXT) | instid1(VALU_DEP_2)
	v_mad_u64_u32 v[34:35], null, 0x3c439041, v31, v[0:1]
	v_cmp_lt_u32_e64 s3, 31, v32
	s_delay_alu instid0(VALU_DEP_2) | instskip(NEXT) | instid1(VALU_DEP_2)
	v_mov_b32_e32 v0, v35
	v_cndmask_b32_e64 v40, 0, 0xffffffe0, s3
	s_delay_alu instid0(VALU_DEP_2) | instskip(NEXT) | instid1(VALU_DEP_2)
	v_mad_u64_u32 v[35:36], null, 0xdb629599, v31, v[0:1]
	v_add_nc_u32_e32 v32, v40, v32
	s_delay_alu instid0(VALU_DEP_1) | instskip(NEXT) | instid1(VALU_DEP_3)
	v_cmp_lt_u32_e64 s4, 31, v32
	v_dual_mov_b32 v0, v36 :: v_dual_cndmask_b32 v33, v35, v33
	s_delay_alu instid0(VALU_DEP_1) | instskip(NEXT) | instid1(VALU_DEP_1)
	v_mad_u64_u32 v[36:37], null, 0xf534ddc0, v31, v[0:1]
	v_mov_b32_e32 v0, v37
	s_delay_alu instid0(VALU_DEP_1) | instskip(NEXT) | instid1(VALU_DEP_1)
	v_mad_u64_u32 v[37:38], null, 0xfc2757d1, v31, v[0:1]
	v_mov_b32_e32 v0, v38
	s_delay_alu instid0(VALU_DEP_1) | instskip(NEXT) | instid1(VALU_DEP_1)
	v_mad_u64_u32 v[38:39], null, 0x4e441529, v31, v[0:1]
	v_mov_b32_e32 v0, v39
	s_delay_alu instid0(VALU_DEP_1) | instskip(SKIP_1) | instid1(VALU_DEP_4)
	v_mad_u64_u32 v[39:40], null, 0xa2f9836e, v31, v[0:1]
	v_cndmask_b32_e64 v0, 0, 0xffffffe0, s4
	v_cndmask_b32_e32 v31, v38, v36, vcc_lo
	s_delay_alu instid0(VALU_DEP_2) | instskip(NEXT) | instid1(VALU_DEP_4)
	v_dual_cndmask_b32 v39, v39, v37 :: v_dual_add_nc_u32 v0, v0, v32
	v_dual_cndmask_b32 v38, v40, v38 :: v_dual_cndmask_b32 v37, v37, v35
	v_cndmask_b32_e32 v32, v36, v34, vcc_lo
	s_delay_alu instid0(VALU_DEP_3) | instskip(NEXT) | instid1(VALU_DEP_4)
	v_cmp_eq_u32_e64 s5, 0, v0
	v_cndmask_b32_e64 v34, v39, v31, s3
	s_delay_alu instid0(VALU_DEP_4)
	v_cndmask_b32_e64 v36, v38, v39, s3
	v_cndmask_b32_e64 v31, v31, v37, s3
	v_sub_nc_u32_e32 v38, 32, v0
	v_cndmask_b32_e64 v37, v37, v32, s3
	v_cndmask_b32_e64 v32, v32, v33, s3
	;; [unrolled: 1-line block ×4, first 2 shown]
	s_delay_alu instid0(VALU_DEP_4) | instskip(NEXT) | instid1(VALU_DEP_4)
	v_cndmask_b32_e64 v31, v31, v37, s4
	v_cndmask_b32_e64 v32, v37, v32, s4
	s_delay_alu instid0(VALU_DEP_3) | instskip(NEXT) | instid1(VALU_DEP_3)
	v_alignbit_b32 v39, v36, v34, v38
	v_alignbit_b32 v40, v34, v31, v38
	s_delay_alu instid0(VALU_DEP_3) | instskip(NEXT) | instid1(VALU_DEP_3)
	v_alignbit_b32 v38, v31, v32, v38
	v_cndmask_b32_e64 v0, v39, v36, s5
	s_delay_alu instid0(VALU_DEP_3) | instskip(NEXT) | instid1(VALU_DEP_3)
	v_cndmask_b32_e64 v34, v40, v34, s5
	v_cndmask_b32_e64 v31, v38, v31, s5
	s_delay_alu instid0(VALU_DEP_3) | instskip(NEXT) | instid1(VALU_DEP_3)
	v_bfe_u32 v35, v0, 29, 1
	v_alignbit_b32 v33, v0, v34, 30
	s_delay_alu instid0(VALU_DEP_3) | instskip(SKIP_1) | instid1(VALU_DEP_4)
	v_alignbit_b32 v34, v34, v31, 30
	v_alignbit_b32 v31, v31, v32, 30
	v_sub_nc_u32_e32 v36, 0, v35
	s_delay_alu instid0(VALU_DEP_1) | instskip(SKIP_3) | instid1(VALU_DEP_4)
	v_xor_b32_e32 v37, v33, v36
	v_cmp_ne_u32_e32 vcc_lo, v33, v36
	v_xor_b32_e32 v32, v34, v36
	v_xor_b32_e32 v31, v31, v36
	v_clz_i32_u32_e32 v39, v37
	s_delay_alu instid0(VALU_DEP_1) | instskip(NEXT) | instid1(VALU_DEP_1)
	v_add_nc_u32_e32 v38, 1, v39
	v_cndmask_b32_e32 v33, 33, v38, vcc_lo
	s_delay_alu instid0(VALU_DEP_1) | instskip(NEXT) | instid1(VALU_DEP_1)
	v_sub_nc_u32_e32 v34, 32, v33
	v_alignbit_b32 v36, v37, v32, v34
	v_alignbit_b32 v31, v32, v31, v34
	v_lshrrev_b32_e32 v32, 29, v0
	s_delay_alu instid0(VALU_DEP_2) | instskip(NEXT) | instid1(VALU_DEP_2)
	v_alignbit_b32 v34, v36, v31, 9
	v_lshlrev_b32_e32 v32, 31, v32
	v_alignbit_b32 v36, v33, v36, 9
	s_delay_alu instid0(VALU_DEP_3) | instskip(NEXT) | instid1(VALU_DEP_2)
	v_clz_i32_u32_e32 v37, v34
	v_or_b32_e32 v36, v36, v32
	v_or_b32_e32 v32, 0x33800000, v32
	s_delay_alu instid0(VALU_DEP_3) | instskip(NEXT) | instid1(VALU_DEP_3)
	v_min_u32_e32 v37, 32, v37
	v_xor_b32_e32 v36, 1.0, v36
	s_delay_alu instid0(VALU_DEP_2) | instskip(SKIP_1) | instid1(VALU_DEP_3)
	v_sub_nc_u32_e32 v38, 31, v37
	v_add_lshl_u32 v33, v37, v33, 23
	v_mul_f32_e32 v37, 0x3fc90fda, v36
	s_delay_alu instid0(VALU_DEP_3) | instskip(NEXT) | instid1(VALU_DEP_3)
	v_alignbit_b32 v31, v34, v31, v38
	v_sub_nc_u32_e32 v32, v32, v33
	s_delay_alu instid0(VALU_DEP_3) | instskip(NEXT) | instid1(VALU_DEP_3)
	v_fma_f32 v33, 0x3fc90fda, v36, -v37
                                        ; implicit-def: $vgpr34
	v_lshrrev_b32_e32 v31, 9, v31
	s_delay_alu instid0(VALU_DEP_2) | instskip(NEXT) | instid1(VALU_DEP_2)
	v_fmac_f32_e32 v33, 0x33a22168, v36
	v_or_b32_e32 v31, v32, v31
	s_delay_alu instid0(VALU_DEP_1) | instskip(SKIP_1) | instid1(VALU_DEP_1)
	v_fmac_f32_e32 v33, 0x3fc90fda, v31
	v_lshrrev_b32_e32 v31, 30, v0
	v_dual_add_f32 v0, v37, v33 :: v_dual_add_nc_u32 v33, v35, v31
	s_and_not1_saveexec_b32 s3, s38
	s_cbranch_execnz .LBB351_242
	s_branch .LBB351_243
.LBB351_241:                            ;   in Loop: Header=BB351_199 Depth=3
	s_and_not1_saveexec_b32 s3, s38
.LBB351_242:                            ;   in Loop: Header=BB351_199 Depth=3
	v_fma_f32 v0, 0xbfc90fda, v34, |v9|
	v_cvt_i32_f32_e32 v33, v34
	s_delay_alu instid0(VALU_DEP_2) | instskip(NEXT) | instid1(VALU_DEP_1)
	v_fmac_f32_e32 v0, 0xb3a22168, v34
	v_fmac_f32_e32 v0, 0xa7c234c4, v34
.LBB351_243:                            ;   in Loop: Header=BB351_199 Depth=3
	s_or_b32 exec_lo, exec_lo, s3
	v_dual_mul_f32 v31, v10, v10 :: v_dual_lshlrev_b32 v32, 30, v11
	v_dual_mul_f32 v34, v26, v26 :: v_dual_and_b32 v11, 1, v11
	v_xor_b32_e32 v8, v8, v25
	s_delay_alu instid0(VALU_DEP_3) | instskip(SKIP_1) | instid1(VALU_DEP_4)
	v_fmaak_f32 v36, s28, v31, 0xbab64f3b
	v_dual_fmaak_f32 v35, s29, v31, 0x3c0881c4 :: v_dual_and_b32 v38, 1, v28
	v_dual_fmaak_f32 v25, s29, v34, 0x3c0881c4 :: v_dual_lshlrev_b32 v28, 30, v28
	v_fmaak_f32 v37, s28, v34, 0xbab64f3b
	s_delay_alu instid0(VALU_DEP_4) | instskip(SKIP_1) | instid1(VALU_DEP_4)
	v_fmaak_f32 v36, v31, v36, 0x3d2aabf7
	v_cmp_eq_u32_e32 vcc_lo, 0, v11
	v_fmaak_f32 v25, v34, v25, 0xbe2aaa9d
	v_xor_b32_e32 v27, v27, v9
	v_fmaak_f32 v37, v34, v37, 0x3d2aabf7
	v_fmaak_f32 v36, v31, v36, 0xbf000004
	v_cmp_class_f32_e64 s3, v9, 0x1f8
	v_mul_f32_e32 v25, v34, v25
	v_fmaak_f32 v35, v31, v35, 0xbe2aaa9d
	v_dual_mul_f32 v11, v29, v29 :: v_dual_and_b32 v32, 0x80000000, v32
	v_fmaak_f32 v37, v34, v37, 0xbf000004
	s_delay_alu instid0(VALU_DEP_3) | instskip(SKIP_1) | instid1(VALU_DEP_3)
	v_dual_fmac_f32 v26, v26, v25 :: v_dual_mul_f32 v35, v31, v35
	v_fma_f32 v31, v31, v36, 1.0
	v_fma_f32 v25, v34, v37, 1.0
	s_delay_alu instid0(VALU_DEP_3) | instskip(NEXT) | instid1(VALU_DEP_1)
	v_dual_fmac_f32 v10, v10, v35 :: v_dual_lshlrev_b32 v35, 30, v30
	v_cndmask_b32_e32 v10, v31, v10, vcc_lo
	v_cmp_eq_u32_e32 vcc_lo, 0, v38
	v_mul_f32_e32 v31, v0, v0
	s_delay_alu instid0(VALU_DEP_3) | instskip(SKIP_2) | instid1(VALU_DEP_4)
	v_xor3_b32 v8, v8, v32, v10
	v_cndmask_b32_e64 v25, -v26, v25, vcc_lo
	v_fmaak_f32 v26, s29, v11, 0x3c0881c4
	v_fmaak_f32 v32, s29, v31, 0x3c0881c4
	;; [unrolled: 1-line block ×3, first 2 shown]
	s_delay_alu instid0(VALU_DEP_3) | instskip(NEXT) | instid1(VALU_DEP_3)
	v_fmaak_f32 v26, v11, v26, 0xbe2aaa9d
	v_fmaak_f32 v32, v31, v32, 0xbe2aaa9d
	s_delay_alu instid0(VALU_DEP_3) | instskip(NEXT) | instid1(VALU_DEP_3)
	v_fmaak_f32 v34, v31, v34, 0x3d2aabf7
	v_dual_mul_f32 v26, v11, v26 :: v_dual_and_b32 v35, 0x80000000, v35
	s_delay_alu instid0(VALU_DEP_3) | instskip(SKIP_4) | instid1(VALU_DEP_4)
	v_mul_f32_e32 v32, v31, v32
	v_and_b32_e32 v10, 0x80000000, v28
	v_fmaak_f32 v28, s28, v11, 0xbab64f3b
	v_fmaak_f32 v34, v31, v34, 0xbf000004
	v_fmac_f32_e32 v29, v29, v26
	v_xor_b32_e32 v10, v10, v25
	s_delay_alu instid0(VALU_DEP_4) | instskip(SKIP_2) | instid1(VALU_DEP_3)
	v_fmaak_f32 v28, v11, v28, 0x3d2aabf7
	v_fmac_f32_e32 v0, v0, v32
	v_fma_f32 v26, v31, v34, 1.0
	v_dual_fmaak_f32 v28, v11, v28, 0xbf000004 :: v_dual_lshlrev_b32 v31, 30, v33
	s_delay_alu instid0(VALU_DEP_1) | instskip(SKIP_2) | instid1(VALU_DEP_2)
	v_fma_f32 v11, v11, v28, 1.0
	v_and_b32_e32 v30, 1, v30
	v_and_b32_e32 v28, 1, v33
	v_cmp_eq_u32_e32 vcc_lo, 0, v30
	s_delay_alu instid0(VALU_DEP_4) | instskip(NEXT) | instid1(VALU_DEP_3)
	v_cndmask_b32_e32 v11, v11, v29, vcc_lo
	v_cmp_eq_u32_e32 vcc_lo, 0, v28
	s_delay_alu instid0(VALU_DEP_2) | instskip(SKIP_3) | instid1(VALU_DEP_2)
	v_xor3_b32 v11, v27, v35, v11
	v_cndmask_b32_e64 v0, -v0, v26, vcc_lo
	v_and_b32_e32 v26, 0x80000000, v31
	v_cmp_class_f32_e64 vcc_lo, v24, 0x1f8
	v_xor_b32_e32 v0, v26, v0
	v_cndmask_b32_e32 v9, 0x7fc00000, v10, vcc_lo
	v_cndmask_b32_e32 v8, 0x7fc00000, v8, vcc_lo
	v_cndmask_b32_e64 v10, 0x7fc00000, v11, s3
	s_delay_alu instid0(VALU_DEP_4) | instskip(NEXT) | instid1(VALU_DEP_4)
	v_cndmask_b32_e64 v0, 0x7fc00000, v0, s3
	v_mul_f32_e32 v11, 0x7f800000, v9
	v_cmp_neq_f32_e32 vcc_lo, 0, v9
	s_delay_alu instid0(VALU_DEP_2) | instskip(SKIP_2) | instid1(VALU_DEP_3)
	v_dual_mul_f32 v24, 0x7f800000, v0 :: v_dual_cndmask_b32 v9, 0, v11
	v_cmp_neq_f32_e32 vcc_lo, 0, v0
	v_mul_f32_e32 v11, 0x7f800000, v8
	v_dual_mul_f32 v25, 0x7f800000, v10 :: v_dual_cndmask_b32 v0, 0, v24
	v_cmp_neq_f32_e32 vcc_lo, 0, v8
	s_delay_alu instid0(VALU_DEP_2) | instskip(SKIP_1) | instid1(VALU_DEP_2)
	v_dual_add_f32 v9, v9, v0 :: v_dual_cndmask_b32 v8, 0, v11
	v_cmp_neq_f32_e32 vcc_lo, 0, v10
	v_add_f32_e32 v26, -1.0, v9
	v_cndmask_b32_e32 v10, 0, v25, vcc_lo
	s_delay_alu instid0(VALU_DEP_1) | instskip(NEXT) | instid1(VALU_DEP_1)
	v_add_f32_e32 v0, v8, v10
	v_max_f32_e64 v10, |v26|, |v0|
	s_delay_alu instid0(VALU_DEP_1) | instskip(SKIP_1) | instid1(VALU_DEP_2)
	v_cvt_f64_f32_e32 v[8:9], v10
	v_cmp_eq_f32_e32 vcc_lo, 0x7f800000, v10
	v_frexp_exp_i32_f64_e32 v8, v[8:9]
	s_delay_alu instid0(VALU_DEP_1) | instskip(NEXT) | instid1(VALU_DEP_1)
	v_sub_nc_u32_e32 v9, 0, v8
	v_ldexp_f32 v11, |v0|, v9
	v_ldexp_f32 v9, |v26|, v9
	s_delay_alu instid0(VALU_DEP_2) | instskip(NEXT) | instid1(VALU_DEP_1)
	v_mul_f32_e32 v11, v11, v11
	v_fmac_f32_e32 v11, v9, v9
	s_delay_alu instid0(VALU_DEP_1) | instskip(SKIP_3) | instid1(VALU_DEP_2)
	v_sqrt_f32_e32 v9, v11
	s_waitcnt_depctr 0xfff
	v_ldexp_f32 v9, v9, v8
	v_add_f32_e32 v8, 1.0, v26
	v_cmp_ngt_f32_e64 s3, 0.5, v9
	s_delay_alu instid0(VALU_DEP_2) | instskip(NEXT) | instid1(VALU_DEP_2)
	v_max_f32_e64 v9, |v8|, |v0|
	s_or_b32 s3, vcc_lo, s3
	s_delay_alu instid0(SALU_CYCLE_1) | instskip(NEXT) | instid1(SALU_CYCLE_1)
	s_and_saveexec_b32 s4, s3
	s_xor_b32 s4, exec_lo, s4
	s_cbranch_execz .LBB351_245
; %bb.244:                              ;   in Loop: Header=BB351_199 Depth=3
	v_cvt_f64_f32_e32 v[10:11], v9
	v_cmp_neq_f32_e32 vcc_lo, 0x7f800000, v9
	s_delay_alu instid0(VALU_DEP_2) | instskip(NEXT) | instid1(VALU_DEP_1)
	v_frexp_exp_i32_f64_e32 v10, v[10:11]
	v_sub_nc_u32_e32 v11, 0, v10
	s_delay_alu instid0(VALU_DEP_1) | instskip(SKIP_1) | instid1(VALU_DEP_2)
	v_ldexp_f32 v24, |v0|, v11
	v_ldexp_f32 v11, |v8|, v11
	v_mul_f32_e32 v24, v24, v24
	s_delay_alu instid0(VALU_DEP_1) | instskip(NEXT) | instid1(VALU_DEP_1)
	v_fmac_f32_e32 v24, v11, v11
	v_sqrt_f32_e32 v11, v24
	s_waitcnt_depctr 0xfff
	v_ldexp_f32 v10, v11, v10
	s_delay_alu instid0(VALU_DEP_1) | instskip(NEXT) | instid1(VALU_DEP_1)
	v_cndmask_b32_e32 v10, 0x7f800000, v10, vcc_lo
	v_cmp_gt_f32_e32 vcc_lo, 0x800000, v10
	v_cndmask_b32_e64 v11, 1.0, 0x4f800000, vcc_lo
	s_delay_alu instid0(VALU_DEP_1) | instskip(NEXT) | instid1(VALU_DEP_1)
	v_mul_f32_e32 v10, v10, v11
	v_log_f32_e32 v10, v10
	s_waitcnt_depctr 0xfff
	v_mul_f32_e32 v11, 0x3f317217, v10
	v_cmp_gt_f32_e64 s3, 0x7f800000, |v10|
	s_delay_alu instid0(VALU_DEP_2) | instskip(NEXT) | instid1(VALU_DEP_1)
	v_fma_f32 v24, 0x3f317217, v10, -v11
	v_fmac_f32_e32 v24, 0x3377d1cf, v10
	s_delay_alu instid0(VALU_DEP_1) | instskip(NEXT) | instid1(VALU_DEP_1)
	v_add_f32_e32 v11, v11, v24
	v_cndmask_b32_e64 v10, v10, v11, s3
	v_cndmask_b32_e64 v11, 0, 0x41b17218, vcc_lo
	s_delay_alu instid0(VALU_DEP_1)
	v_sub_f32_e32 v26, v10, v11
.LBB351_245:                            ;   in Loop: Header=BB351_199 Depth=3
	s_and_not1_saveexec_b32 s3, s4
	s_cbranch_execz .LBB351_194
; %bb.246:                              ;   in Loop: Header=BB351_199 Depth=3
	s_delay_alu instid0(VALU_DEP_1) | instskip(SKIP_1) | instid1(VALU_DEP_1)
	v_add_f32_e32 v10, 2.0, v26
	s_mov_b32 s4, exec_lo
	v_mul_f32_e32 v10, v26, v10
	s_delay_alu instid0(VALU_DEP_1) | instskip(NEXT) | instid1(VALU_DEP_1)
	v_fmac_f32_e32 v10, v0, v0
	v_cmpx_neq_f32_e32 0, v10
	s_cbranch_execz .LBB351_193
; %bb.247:                              ;   in Loop: Header=BB351_199 Depth=3
	v_add_f32_e32 v11, 1.0, v10
	s_delay_alu instid0(VALU_DEP_1) | instskip(NEXT) | instid1(VALU_DEP_1)
	v_cvt_f64_f32_e32 v[24:25], v11
	v_frexp_exp_i32_f64_e32 v24, v[24:25]
	v_frexp_mant_f32_e32 v25, v11
	s_delay_alu instid0(VALU_DEP_1) | instskip(SKIP_1) | instid1(VALU_DEP_1)
	v_cmp_gt_f32_e32 vcc_lo, 0x3f2aaaab, v25
	v_add_f32_e32 v25, -1.0, v11
	v_sub_f32_e32 v27, v25, v11
	s_delay_alu instid0(VALU_DEP_1) | instskip(SKIP_2) | instid1(VALU_DEP_2)
	v_add_f32_e32 v27, 1.0, v27
	v_subrev_co_ci_u32_e32 v24, vcc_lo, 0, v24, vcc_lo
	v_cmp_eq_f32_e32 vcc_lo, 0x7f800000, v10
	v_sub_nc_u32_e32 v26, 0, v24
	v_cvt_f32_i32_e32 v24, v24
	s_delay_alu instid0(VALU_DEP_2) | instskip(NEXT) | instid1(VALU_DEP_1)
	v_ldexp_f32 v11, v11, v26
	v_dual_sub_f32 v25, v10, v25 :: v_dual_add_f32 v28, 1.0, v11
	s_delay_alu instid0(VALU_DEP_1) | instskip(NEXT) | instid1(VALU_DEP_2)
	v_add_f32_e32 v25, v25, v27
	v_add_f32_e32 v27, -1.0, v28
	s_delay_alu instid0(VALU_DEP_2) | instskip(SKIP_1) | instid1(VALU_DEP_3)
	v_ldexp_f32 v25, v25, v26
	v_add_f32_e32 v26, -1.0, v11
	v_sub_f32_e32 v27, v11, v27
	s_delay_alu instid0(VALU_DEP_2) | instskip(NEXT) | instid1(VALU_DEP_2)
	v_add_f32_e32 v29, 1.0, v26
	v_add_f32_e32 v27, v25, v27
	s_delay_alu instid0(VALU_DEP_2) | instskip(NEXT) | instid1(VALU_DEP_2)
	v_sub_f32_e32 v11, v11, v29
	v_add_f32_e32 v29, v28, v27
	s_delay_alu instid0(VALU_DEP_2) | instskip(NEXT) | instid1(VALU_DEP_2)
	v_add_f32_e32 v11, v25, v11
	v_rcp_f32_e32 v25, v29
	v_sub_f32_e32 v28, v29, v28
	s_delay_alu instid0(VALU_DEP_1) | instskip(NEXT) | instid1(VALU_DEP_1)
	v_dual_add_f32 v30, v26, v11 :: v_dual_sub_f32 v27, v27, v28
	v_sub_f32_e32 v26, v30, v26
	s_waitcnt_depctr 0xfff
	v_mul_f32_e32 v31, v30, v25
	s_delay_alu instid0(VALU_DEP_1) | instskip(NEXT) | instid1(VALU_DEP_1)
	v_dual_sub_f32 v11, v11, v26 :: v_dual_mul_f32 v32, v29, v31
	v_fma_f32 v28, v31, v29, -v32
	s_delay_alu instid0(VALU_DEP_1) | instskip(NEXT) | instid1(VALU_DEP_1)
	v_fmac_f32_e32 v28, v31, v27
	v_add_f32_e32 v33, v32, v28
	s_delay_alu instid0(VALU_DEP_1) | instskip(SKIP_1) | instid1(VALU_DEP_2)
	v_sub_f32_e32 v34, v30, v33
	v_sub_f32_e32 v26, v33, v32
	;; [unrolled: 1-line block ×3, first 2 shown]
	s_delay_alu instid0(VALU_DEP_2) | instskip(NEXT) | instid1(VALU_DEP_2)
	v_sub_f32_e32 v26, v26, v28
	v_sub_f32_e32 v30, v30, v33
	s_delay_alu instid0(VALU_DEP_1) | instskip(NEXT) | instid1(VALU_DEP_1)
	v_add_f32_e32 v11, v11, v30
	v_add_f32_e32 v11, v26, v11
	s_delay_alu instid0(VALU_DEP_1) | instskip(NEXT) | instid1(VALU_DEP_1)
	v_add_f32_e32 v26, v34, v11
	v_mul_f32_e32 v28, v25, v26
	s_delay_alu instid0(VALU_DEP_1) | instskip(NEXT) | instid1(VALU_DEP_1)
	v_dual_sub_f32 v33, v34, v26 :: v_dual_mul_f32 v30, v29, v28
	v_fma_f32 v29, v28, v29, -v30
	s_delay_alu instid0(VALU_DEP_1) | instskip(NEXT) | instid1(VALU_DEP_1)
	v_fmac_f32_e32 v29, v28, v27
	v_add_f32_e32 v27, v30, v29
	s_delay_alu instid0(VALU_DEP_1) | instskip(SKIP_1) | instid1(VALU_DEP_2)
	v_sub_f32_e32 v32, v26, v27
	v_sub_f32_e32 v30, v27, v30
	v_dual_add_f32 v11, v11, v33 :: v_dual_sub_f32 v26, v26, v32
	s_delay_alu instid0(VALU_DEP_1) | instskip(NEXT) | instid1(VALU_DEP_1)
	v_sub_f32_e32 v26, v26, v27
	v_add_f32_e32 v11, v11, v26
	s_delay_alu instid0(VALU_DEP_4) | instskip(NEXT) | instid1(VALU_DEP_1)
	v_dual_add_f32 v26, v31, v28 :: v_dual_sub_f32 v27, v30, v29
	v_add_f32_e32 v11, v27, v11
	s_delay_alu instid0(VALU_DEP_2) | instskip(NEXT) | instid1(VALU_DEP_2)
	v_sub_f32_e32 v27, v26, v31
	v_add_f32_e32 v11, v32, v11
	s_delay_alu instid0(VALU_DEP_2) | instskip(NEXT) | instid1(VALU_DEP_2)
	v_sub_f32_e32 v27, v28, v27
	v_mul_f32_e32 v11, v25, v11
	s_delay_alu instid0(VALU_DEP_1) | instskip(NEXT) | instid1(VALU_DEP_1)
	v_add_f32_e32 v11, v27, v11
	v_add_f32_e32 v25, v26, v11
	s_delay_alu instid0(VALU_DEP_1) | instskip(NEXT) | instid1(VALU_DEP_1)
	v_mul_f32_e32 v27, v25, v25
	v_fmaak_f32 v28, s30, v27, 0x3ecc95a3
	v_mul_f32_e32 v29, v25, v27
	s_delay_alu instid0(VALU_DEP_2) | instskip(SKIP_2) | instid1(VALU_DEP_3)
	v_fmaak_f32 v27, v27, v28, 0x3f2aaada
	v_ldexp_f32 v28, v25, 1
	v_sub_f32_e32 v25, v25, v26
	v_mul_f32_e32 v27, v29, v27
	v_mul_f32_e32 v29, 0x3f317218, v24
	s_delay_alu instid0(VALU_DEP_2) | instskip(NEXT) | instid1(VALU_DEP_1)
	v_dual_sub_f32 v11, v11, v25 :: v_dual_add_f32 v26, v28, v27
	v_ldexp_f32 v11, v11, 1
	s_delay_alu instid0(VALU_DEP_2) | instskip(NEXT) | instid1(VALU_DEP_4)
	v_sub_f32_e32 v25, v26, v28
	v_fma_f32 v28, 0x3f317218, v24, -v29
	s_delay_alu instid0(VALU_DEP_1) | instskip(NEXT) | instid1(VALU_DEP_1)
	v_dual_sub_f32 v25, v27, v25 :: v_dual_fmac_f32 v28, 0xb102e308, v24
	v_dual_add_f32 v11, v11, v25 :: v_dual_add_f32 v24, v29, v28
	s_delay_alu instid0(VALU_DEP_1) | instskip(NEXT) | instid1(VALU_DEP_2)
	v_add_f32_e32 v25, v26, v11
	v_sub_f32_e32 v29, v24, v29
	s_delay_alu instid0(VALU_DEP_2) | instskip(NEXT) | instid1(VALU_DEP_2)
	v_dual_add_f32 v27, v24, v25 :: v_dual_sub_f32 v26, v25, v26
	v_sub_f32_e32 v28, v28, v29
	s_delay_alu instid0(VALU_DEP_2) | instskip(NEXT) | instid1(VALU_DEP_3)
	v_sub_f32_e32 v30, v27, v24
	v_sub_f32_e32 v11, v11, v26
	s_delay_alu instid0(VALU_DEP_2) | instskip(NEXT) | instid1(VALU_DEP_2)
	v_sub_f32_e32 v31, v27, v30
	v_dual_sub_f32 v25, v25, v30 :: v_dual_add_f32 v26, v28, v11
	s_delay_alu instid0(VALU_DEP_2) | instskip(NEXT) | instid1(VALU_DEP_1)
	v_sub_f32_e32 v24, v24, v31
	v_add_f32_e32 v24, v25, v24
	s_delay_alu instid0(VALU_DEP_3) | instskip(NEXT) | instid1(VALU_DEP_2)
	v_sub_f32_e32 v25, v26, v28
	v_add_f32_e32 v24, v26, v24
	s_delay_alu instid0(VALU_DEP_2) | instskip(SKIP_1) | instid1(VALU_DEP_2)
	v_sub_f32_e32 v26, v26, v25
	v_sub_f32_e32 v11, v11, v25
	v_dual_add_f32 v29, v27, v24 :: v_dual_sub_f32 v26, v28, v26
	s_delay_alu instid0(VALU_DEP_1) | instskip(NEXT) | instid1(VALU_DEP_1)
	v_sub_f32_e32 v25, v29, v27
	v_dual_add_f32 v11, v11, v26 :: v_dual_sub_f32 v24, v24, v25
	s_delay_alu instid0(VALU_DEP_1) | instskip(NEXT) | instid1(VALU_DEP_1)
	v_add_f32_e32 v11, v11, v24
	v_add_f32_e32 v11, v29, v11
	s_delay_alu instid0(VALU_DEP_1) | instskip(SKIP_1) | instid1(VALU_DEP_2)
	v_cndmask_b32_e32 v11, v11, v10, vcc_lo
	v_cmp_ngt_f32_e32 vcc_lo, -1.0, v10
	v_cndmask_b32_e32 v11, 0x7fc00000, v11, vcc_lo
	v_cmp_neq_f32_e32 vcc_lo, -1.0, v10
	s_delay_alu instid0(VALU_DEP_2) | instskip(SKIP_1) | instid1(VALU_DEP_2)
	v_cndmask_b32_e32 v11, 0xff800000, v11, vcc_lo
	v_cmp_gt_f32_e64 vcc_lo, 0x33800000, |v10|
	v_cndmask_b32_e32 v10, v11, v10, vcc_lo
	s_delay_alu instid0(VALU_DEP_1)
	v_mul_f32_e32 v26, 0.5, v10
	s_branch .LBB351_193
.LBB351_248:                            ;   in Loop: Header=BB351_133 Depth=2
	s_or_b32 exec_lo, exec_lo, s33
	s_and_saveexec_b32 s3, s1
	s_cbranch_execz .LBB351_132
; %bb.249:                              ;   in Loop: Header=BB351_133 Depth=2
	s_mov_b32 s4, exec_lo
	v_cmpx_gt_u64_e64 s[14:15], v[6:7]
	s_cbranch_execz .LBB351_251
; %bb.250:                              ;   in Loop: Header=BB351_133 Depth=2
	ds_load_b64 v[8:9], v14
	v_lshlrev_b64 v[6:7], 3, v[6:7]
	s_delay_alu instid0(VALU_DEP_1) | instskip(NEXT) | instid1(VALU_DEP_2)
	v_add_co_u32 v6, vcc_lo, v20, v6
	v_add_co_ci_u32_e32 v7, vcc_lo, v21, v7, vcc_lo
	s_waitcnt lgkmcnt(0)
	global_store_b64 v[6:7], v[8:9], off
.LBB351_251:                            ;   in Loop: Header=BB351_133 Depth=2
	s_or_b32 exec_lo, exec_lo, s4
	v_cmp_gt_u64_e32 vcc_lo, s[14:15], v[4:5]
	s_and_b32 exec_lo, exec_lo, vcc_lo
	s_cbranch_execz .LBB351_132
; %bb.252:                              ;   in Loop: Header=BB351_133 Depth=2
	ds_load_b64 v[6:7], v16
	v_lshlrev_b64 v[4:5], 3, v[4:5]
	s_delay_alu instid0(VALU_DEP_1) | instskip(NEXT) | instid1(VALU_DEP_2)
	v_add_co_u32 v4, vcc_lo, v20, v4
	v_add_co_ci_u32_e32 v5, vcc_lo, v21, v5, vcc_lo
	s_waitcnt lgkmcnt(0)
	global_store_b64 v[4:5], v[6:7], off
	s_branch .LBB351_132
.LBB351_253:
	s_endpgm
	.section	.rodata,"a",@progbits
	.p2align	6, 0x0
	.amdhsa_kernel _ZN2at6native32tensor_kernel_scan_innermost_dimIN3c107complexIfEEZZZNS0_31launch_logcumsumexp_cuda_kernelERKNS_10TensorBaseES7_lENKUlvE_clEvENKUlvE2_clEvEUlS4_S4_E_EEvPT_PKSB_jjjSB_T0_
		.amdhsa_group_segment_fixed_size 0
		.amdhsa_private_segment_fixed_size 0
		.amdhsa_kernarg_size 304
		.amdhsa_user_sgpr_count 15
		.amdhsa_user_sgpr_dispatch_ptr 0
		.amdhsa_user_sgpr_queue_ptr 0
		.amdhsa_user_sgpr_kernarg_segment_ptr 1
		.amdhsa_user_sgpr_dispatch_id 0
		.amdhsa_user_sgpr_private_segment_size 0
		.amdhsa_wavefront_size32 1
		.amdhsa_uses_dynamic_stack 0
		.amdhsa_enable_private_segment 0
		.amdhsa_system_sgpr_workgroup_id_x 1
		.amdhsa_system_sgpr_workgroup_id_y 0
		.amdhsa_system_sgpr_workgroup_id_z 0
		.amdhsa_system_sgpr_workgroup_info 0
		.amdhsa_system_vgpr_workitem_id 1
		.amdhsa_next_free_vgpr 41
		.amdhsa_next_free_sgpr 40
		.amdhsa_reserve_vcc 1
		.amdhsa_float_round_mode_32 0
		.amdhsa_float_round_mode_16_64 0
		.amdhsa_float_denorm_mode_32 3
		.amdhsa_float_denorm_mode_16_64 3
		.amdhsa_dx10_clamp 1
		.amdhsa_ieee_mode 1
		.amdhsa_fp16_overflow 0
		.amdhsa_workgroup_processor_mode 1
		.amdhsa_memory_ordered 1
		.amdhsa_forward_progress 0
		.amdhsa_shared_vgpr_count 0
		.amdhsa_exception_fp_ieee_invalid_op 0
		.amdhsa_exception_fp_denorm_src 0
		.amdhsa_exception_fp_ieee_div_zero 0
		.amdhsa_exception_fp_ieee_overflow 0
		.amdhsa_exception_fp_ieee_underflow 0
		.amdhsa_exception_fp_ieee_inexact 0
		.amdhsa_exception_int_div_zero 0
	.end_amdhsa_kernel
	.section	.text._ZN2at6native32tensor_kernel_scan_innermost_dimIN3c107complexIfEEZZZNS0_31launch_logcumsumexp_cuda_kernelERKNS_10TensorBaseES7_lENKUlvE_clEvENKUlvE2_clEvEUlS4_S4_E_EEvPT_PKSB_jjjSB_T0_,"axG",@progbits,_ZN2at6native32tensor_kernel_scan_innermost_dimIN3c107complexIfEEZZZNS0_31launch_logcumsumexp_cuda_kernelERKNS_10TensorBaseES7_lENKUlvE_clEvENKUlvE2_clEvEUlS4_S4_E_EEvPT_PKSB_jjjSB_T0_,comdat
.Lfunc_end351:
	.size	_ZN2at6native32tensor_kernel_scan_innermost_dimIN3c107complexIfEEZZZNS0_31launch_logcumsumexp_cuda_kernelERKNS_10TensorBaseES7_lENKUlvE_clEvENKUlvE2_clEvEUlS4_S4_E_EEvPT_PKSB_jjjSB_T0_, .Lfunc_end351-_ZN2at6native32tensor_kernel_scan_innermost_dimIN3c107complexIfEEZZZNS0_31launch_logcumsumexp_cuda_kernelERKNS_10TensorBaseES7_lENKUlvE_clEvENKUlvE2_clEvEUlS4_S4_E_EEvPT_PKSB_jjjSB_T0_
                                        ; -- End function
	.section	.AMDGPU.csdata,"",@progbits
; Kernel info:
; codeLenInByte = 37644
; NumSgprs: 42
; NumVgprs: 41
; ScratchSize: 0
; MemoryBound: 0
; FloatMode: 240
; IeeeMode: 1
; LDSByteSize: 0 bytes/workgroup (compile time only)
; SGPRBlocks: 5
; VGPRBlocks: 5
; NumSGPRsForWavesPerEU: 42
; NumVGPRsForWavesPerEU: 41
; Occupancy: 16
; WaveLimiterHint : 0
; COMPUTE_PGM_RSRC2:SCRATCH_EN: 0
; COMPUTE_PGM_RSRC2:USER_SGPR: 15
; COMPUTE_PGM_RSRC2:TRAP_HANDLER: 0
; COMPUTE_PGM_RSRC2:TGID_X_EN: 1
; COMPUTE_PGM_RSRC2:TGID_Y_EN: 0
; COMPUTE_PGM_RSRC2:TGID_Z_EN: 0
; COMPUTE_PGM_RSRC2:TIDIG_COMP_CNT: 1
	.section	.text._ZN2at6native28tensor_kernel_scan_outer_dimIN3c107complexIfEEjZZZNS0_31launch_logcumsumexp_cuda_kernelERKNS_10TensorBaseES7_lENKUlvE_clEvENKUlvE2_clEvEUlS4_S4_E_EEvPT_PKSB_jjjSB_T1_,"axG",@progbits,_ZN2at6native28tensor_kernel_scan_outer_dimIN3c107complexIfEEjZZZNS0_31launch_logcumsumexp_cuda_kernelERKNS_10TensorBaseES7_lENKUlvE_clEvENKUlvE2_clEvEUlS4_S4_E_EEvPT_PKSB_jjjSB_T1_,comdat
	.globl	_ZN2at6native28tensor_kernel_scan_outer_dimIN3c107complexIfEEjZZZNS0_31launch_logcumsumexp_cuda_kernelERKNS_10TensorBaseES7_lENKUlvE_clEvENKUlvE2_clEvEUlS4_S4_E_EEvPT_PKSB_jjjSB_T1_ ; -- Begin function _ZN2at6native28tensor_kernel_scan_outer_dimIN3c107complexIfEEjZZZNS0_31launch_logcumsumexp_cuda_kernelERKNS_10TensorBaseES7_lENKUlvE_clEvENKUlvE2_clEvEUlS4_S4_E_EEvPT_PKSB_jjjSB_T1_
	.p2align	8
	.type	_ZN2at6native28tensor_kernel_scan_outer_dimIN3c107complexIfEEjZZZNS0_31launch_logcumsumexp_cuda_kernelERKNS_10TensorBaseES7_lENKUlvE_clEvENKUlvE2_clEvEUlS4_S4_E_EEvPT_PKSB_jjjSB_T1_,@function
_ZN2at6native28tensor_kernel_scan_outer_dimIN3c107complexIfEEjZZZNS0_31launch_logcumsumexp_cuda_kernelERKNS_10TensorBaseES7_lENKUlvE_clEvENKUlvE2_clEvEUlS4_S4_E_EEvPT_PKSB_jjjSB_T1_: ; @_ZN2at6native28tensor_kernel_scan_outer_dimIN3c107complexIfEEjZZZNS0_31launch_logcumsumexp_cuda_kernelERKNS_10TensorBaseES7_lENKUlvE_clEvENKUlvE2_clEvEUlS4_S4_E_EEvPT_PKSB_jjjSB_T1_
; %bb.0:
	s_load_b128 s[4:7], s[0:1], 0x10
	s_waitcnt lgkmcnt(0)
	s_cmp_ge_u32 s14, s4
	s_cbranch_scc1 .LBB352_57
; %bb.1:
	s_clause 0x3
	s_load_b32 s2, s[0:1], 0x3c
	s_load_b32 s7, s[0:1], 0x30
	s_load_b128 s[8:11], s[0:1], 0x0
	s_load_b64 s[12:13], s[0:1], 0x20
	v_dual_mov_b32 v1, 0 :: v_dual_mov_b32 v8, 0x4016cbe4
	s_add_u32 s16, s0, 48
	s_addc_u32 s17, s1, 0
	s_mul_i32 s0, s14, s6
	s_mov_b32 s19, 0
	s_mul_i32 s1, s0, s5
	s_mov_b32 s18, s5
	s_mov_b32 s24, 0x7fffff
	;; [unrolled: 1-line block ×6, first 2 shown]
	s_waitcnt lgkmcnt(0)
	s_and_b32 s27, s2, 0xffff
	s_cmp_lg_u32 s6, 0
	v_mad_u64_u32 v[2:3], null, s15, s27, v[0:1]
	s_mul_i32 s15, s7, s6
	s_cselect_b32 s28, -1, 0
	s_mul_i32 s15, s15, s5
	s_lshl_b64 s[20:21], s[18:19], 3
	s_mov_b32 s18, s1
	s_delay_alu instid0(VALU_DEP_1)
	v_cmp_gt_u32_e64 s0, s5, v2
	s_branch .LBB352_3
.LBB352_2:                              ;   in Loop: Header=BB352_3 Depth=1
	s_or_b32 exec_lo, exec_lo, s31
	s_add_i32 s14, s7, s14
	s_add_i32 s18, s18, s15
	s_cmp_ge_u32 s14, s4
	s_cbranch_scc1 .LBB352_57
.LBB352_3:                              ; =>This Loop Header: Depth=1
                                        ;     Child Loop BB352_6 Depth 2
                                        ;       Child Loop BB352_13 Depth 3
	s_delay_alu instid0(VALU_DEP_1)
	s_and_saveexec_b32 s31, s0
	s_cbranch_execz .LBB352_2
; %bb.4:                                ;   in Loop: Header=BB352_3 Depth=1
	s_load_b32 s33, s[16:17], 0x4
	v_mov_b32_e32 v3, v2
	s_lshl_b64 s[22:23], s[18:19], 3
	s_mov_b32 s34, 0
	s_waitcnt lgkmcnt(0)
	s_mul_i32 s33, s33, s27
	s_branch .LBB352_6
.LBB352_5:                              ;   in Loop: Header=BB352_6 Depth=2
	v_add_nc_u32_e32 v3, s33, v3
	s_delay_alu instid0(VALU_DEP_1) | instskip(SKIP_1) | instid1(SALU_CYCLE_1)
	v_cmp_le_u32_e32 vcc_lo, s5, v3
	s_or_b32 s34, vcc_lo, s34
	s_and_not1_b32 exec_lo, exec_lo, s34
	s_cbranch_execz .LBB352_2
.LBB352_6:                              ;   Parent Loop BB352_3 Depth=1
                                        ; =>  This Loop Header: Depth=2
                                        ;       Child Loop BB352_13 Depth 3
	s_and_not1_b32 vcc_lo, exec_lo, s28
	s_cbranch_vccnz .LBB352_5
; %bb.7:                                ;   in Loop: Header=BB352_6 Depth=2
	v_dual_mov_b32 v4, v1 :: v_dual_mov_b32 v7, s13
	v_mov_b32_e32 v6, s12
	s_mov_b32 s35, s6
	s_delay_alu instid0(VALU_DEP_2) | instskip(NEXT) | instid1(VALU_DEP_1)
	v_lshlrev_b64 v[4:5], 3, v[3:4]
	v_add_co_u32 v9, vcc_lo, s22, v4
	s_delay_alu instid0(VALU_DEP_2)
	v_add_co_ci_u32_e32 v10, vcc_lo, s23, v5, vcc_lo
	s_branch .LBB352_13
.LBB352_8:                              ;   in Loop: Header=BB352_13 Depth=3
	s_or_b32 exec_lo, exec_lo, s2
.LBB352_9:                              ;   in Loop: Header=BB352_13 Depth=3
	s_delay_alu instid0(SALU_CYCLE_1)
	s_or_b32 exec_lo, exec_lo, s1
	v_max_f32_e64 v6, |v0|, |v0|
	v_max_f32_e64 v7, |v4|, |v4|
	v_frexp_mant_f32_e32 v11, v5
	v_frexp_exp_i32_f32_e32 v5, v5
	v_cmp_gt_i32_e64 s1, 0, v4
	v_cmp_gt_f32_e64 vcc_lo, |v0|, |v4|
	v_min_f32_e32 v6, v7, v6
	v_rcp_f32_e32 v7, v11
	v_cmp_class_f32_e64 s2, v4, 0x204
	s_delay_alu instid0(VALU_DEP_2)
	v_frexp_mant_f32_e32 v11, v6
	v_frexp_exp_i32_f32_e32 v6, v6
	s_waitcnt_depctr 0xfff
	v_mul_f32_e32 v7, v11, v7
	v_sub_nc_u32_e32 v5, v6, v5
	v_cndmask_b32_e64 v11, 0, 0x40490fdb, s1
	v_cmp_class_f32_e64 s1, v0, 0x204
	s_delay_alu instid0(VALU_DEP_3) | instskip(NEXT) | instid1(VALU_DEP_1)
	v_ldexp_f32 v5, v7, v5
	v_mul_f32_e32 v6, v5, v5
	s_delay_alu instid0(VALU_DEP_1) | instskip(NEXT) | instid1(VALU_DEP_1)
	v_fmaak_f32 v7, s30, v6, 0xbc7a590c
	v_fmaak_f32 v7, v6, v7, 0x3d29fb3f
	s_delay_alu instid0(VALU_DEP_1) | instskip(NEXT) | instid1(VALU_DEP_1)
	v_fmaak_f32 v7, v6, v7, 0xbd97d4d7
	v_fmaak_f32 v7, v6, v7, 0x3dd931b2
	s_delay_alu instid0(VALU_DEP_1) | instskip(NEXT) | instid1(VALU_DEP_1)
	v_fmaak_f32 v7, v6, v7, 0xbe1160e6
	v_fmaak_f32 v7, v6, v7, 0x3e4cb8bf
	s_delay_alu instid0(VALU_DEP_1) | instskip(NEXT) | instid1(VALU_DEP_1)
	v_fmaak_f32 v7, v6, v7, 0xbeaaaa62
	v_mul_f32_e32 v6, v6, v7
	s_delay_alu instid0(VALU_DEP_1) | instskip(NEXT) | instid1(VALU_DEP_1)
	v_fmac_f32_e32 v5, v5, v6
	v_sub_f32_e32 v6, 0x3fc90fdb, v5
	s_delay_alu instid0(VALU_DEP_1) | instskip(SKIP_2) | instid1(VALU_DEP_3)
	v_cndmask_b32_e32 v5, v5, v6, vcc_lo
	v_cmp_gt_f32_e32 vcc_lo, 0, v4
	v_cndmask_b32_e32 v7, 0x3f490fdb, v8, vcc_lo
	v_sub_f32_e32 v6, 0x40490fdb, v5
	s_delay_alu instid0(VALU_DEP_1) | instskip(SKIP_1) | instid1(VALU_DEP_2)
	v_cndmask_b32_e32 v5, v5, v6, vcc_lo
	v_cmp_eq_f32_e32 vcc_lo, 0, v0
	v_cndmask_b32_e32 v5, v5, v11, vcc_lo
	s_and_b32 vcc_lo, s1, s2
	s_delay_alu instid0(VALU_DEP_1) | instskip(SKIP_1) | instid1(VALU_DEP_2)
	v_cndmask_b32_e32 v5, v5, v7, vcc_lo
	v_cmp_o_f32_e32 vcc_lo, v4, v0
	v_cndmask_b32_e32 v4, 0x7fc00000, v5, vcc_lo
	s_delay_alu instid0(VALU_DEP_1)
	v_bfi_b32 v11, 0x7fffffff, v4, v0
.LBB352_10:                             ;   in Loop: Header=BB352_13 Depth=3
	s_or_b32 exec_lo, exec_lo, s38
.LBB352_11:                             ;   in Loop: Header=BB352_13 Depth=3
	s_delay_alu instid0(SALU_CYCLE_1) | instskip(NEXT) | instid1(VALU_DEP_1)
	s_or_b32 exec_lo, exec_lo, s37
	v_dual_mov_b32 v6, v13 :: v_dual_mov_b32 v7, v11
.LBB352_12:                             ;   in Loop: Header=BB352_13 Depth=3
	s_or_b32 exec_lo, exec_lo, s36
	v_add_co_u32 v4, vcc_lo, s8, v9
	v_add_co_ci_u32_e32 v5, vcc_lo, s9, v10, vcc_lo
	v_add_co_u32 v9, vcc_lo, v9, s20
	v_add_co_ci_u32_e32 v10, vcc_lo, s21, v10, vcc_lo
	s_add_i32 s35, s35, -1
	global_store_b64 v[4:5], v[6:7], off
	s_cmp_eq_u32 s35, 0
	s_cbranch_scc1 .LBB352_5
.LBB352_13:                             ;   Parent Loop BB352_3 Depth=1
                                        ;     Parent Loop BB352_6 Depth=2
                                        ; =>    This Inner Loop Header: Depth=3
	s_delay_alu instid0(VALU_DEP_2) | instskip(NEXT) | instid1(VALU_DEP_2)
	v_add_co_u32 v4, vcc_lo, s10, v9
	v_add_co_ci_u32_e32 v5, vcc_lo, s11, v10, vcc_lo
	global_load_b64 v[4:5], v[4:5], off
	s_waitcnt vmcnt(0)
	v_cmp_o_f32_e32 vcc_lo, v4, v4
	v_cmp_o_f32_e64 s1, v5, v5
	v_mov_b32_e32 v11, v5
	v_dual_mov_b32 v13, v4 :: v_dual_mov_b32 v12, v5
	s_delay_alu instid0(VALU_DEP_3) | instskip(NEXT) | instid1(SALU_CYCLE_1)
	s_and_b32 s3, vcc_lo, s1
	s_and_saveexec_b32 s36, s3
; %bb.14:                               ;   in Loop: Header=BB352_13 Depth=3
	v_cmp_u_f32_e32 vcc_lo, v6, v6
	v_cmp_u_f32_e64 s1, v7, v7
	v_cmp_lt_f32_e64 s2, v6, v4
	s_delay_alu instid0(VALU_DEP_2)
	s_or_b32 s1, vcc_lo, s1
	s_delay_alu instid0(VALU_DEP_1) | instid1(SALU_CYCLE_1)
	s_or_b32 vcc_lo, s1, s2
	v_cndmask_b32_e32 v11, v5, v7, vcc_lo
	s_delay_alu instid0(VALU_DEP_1)
	v_dual_cndmask_b32 v13, v4, v6 :: v_dual_mov_b32 v12, v11
; %bb.15:                               ;   in Loop: Header=BB352_13 Depth=3
	s_or_b32 exec_lo, exec_lo, s36
	s_and_saveexec_b32 s36, s3
; %bb.16:                               ;   in Loop: Header=BB352_13 Depth=3
	v_cmp_u_f32_e32 vcc_lo, v6, v6
	v_cmp_u_f32_e64 s1, v7, v7
	v_cmp_ge_f32_e64 s2, v6, v4
	s_delay_alu instid0(VALU_DEP_2)
	s_or_b32 s1, vcc_lo, s1
	s_delay_alu instid0(VALU_DEP_1) | instid1(SALU_CYCLE_1)
	s_or_b32 vcc_lo, s1, s2
	v_dual_cndmask_b32 v5, v5, v7 :: v_dual_cndmask_b32 v4, v4, v6
; %bb.17:                               ;   in Loop: Header=BB352_13 Depth=3
	s_or_b32 exec_lo, exec_lo, s36
	v_cmp_o_f32_e32 vcc_lo, v13, v13
	v_cmp_o_f32_e64 s1, v11, v11
	v_dual_mov_b32 v6, 0x7fc00000 :: v_dual_mov_b32 v7, 0x7fc00000
	s_delay_alu instid0(VALU_DEP_2) | instskip(NEXT) | instid1(SALU_CYCLE_1)
	s_and_b32 s1, vcc_lo, s1
	s_and_saveexec_b32 s36, s1
	s_cbranch_execz .LBB352_12
; %bb.18:                               ;   in Loop: Header=BB352_13 Depth=3
	v_cmp_class_f32_e64 s1, v13, 0x1f8
	v_cmp_neq_f32_e32 vcc_lo, v4, v13
	s_delay_alu instid0(VALU_DEP_2) | instskip(NEXT) | instid1(SALU_CYCLE_1)
	s_or_b32 s1, s1, vcc_lo
	s_and_saveexec_b32 s2, s1
	s_delay_alu instid0(SALU_CYCLE_1)
	s_xor_b32 s37, exec_lo, s2
	s_cbranch_execz .LBB352_34
; %bb.19:                               ;   in Loop: Header=BB352_13 Depth=3
	v_sub_f32_e32 v6, v11, v5
                                        ; implicit-def: $vgpr12
                                        ; implicit-def: $vgpr11
	s_delay_alu instid0(VALU_DEP_1) | instskip(NEXT) | instid1(VALU_DEP_1)
	v_and_b32_e32 v7, 0x7fffffff, v6
	v_lshrrev_b32_e32 v0, 23, v7
	v_and_or_b32 v14, v7, s24, 0x800000
	s_delay_alu instid0(VALU_DEP_2) | instskip(SKIP_1) | instid1(VALU_DEP_1)
	v_add_nc_u32_e32 v15, 0xffffff88, v0
	v_cmp_ngt_f32_e64 s38, 0x48000000, |v6|
	s_and_saveexec_b32 s1, s38
	s_delay_alu instid0(SALU_CYCLE_1)
	s_xor_b32 s39, exec_lo, s1
	s_cbranch_execz .LBB352_21
; %bb.20:                               ;   in Loop: Header=BB352_13 Depth=3
	v_mad_u64_u32 v[11:12], null, 0xfe5163ab, v14, 0
	v_cmp_lt_u32_e32 vcc_lo, 63, v15
	s_delay_alu instid0(VALU_DEP_2) | instskip(SKIP_1) | instid1(VALU_DEP_2)
	v_mov_b32_e32 v0, v12
	v_cndmask_b32_e64 v12, 0, 0xffffffc0, vcc_lo
	v_mad_u64_u32 v[16:17], null, 0x3c439041, v14, v[0:1]
	s_delay_alu instid0(VALU_DEP_2) | instskip(NEXT) | instid1(VALU_DEP_1)
	v_add_nc_u32_e32 v12, v12, v15
	v_cmp_lt_u32_e64 s1, 31, v12
	s_delay_alu instid0(VALU_DEP_3) | instskip(NEXT) | instid1(VALU_DEP_2)
	v_mov_b32_e32 v0, v17
	v_cndmask_b32_e64 v22, 0, 0xffffffe0, s1
	s_delay_alu instid0(VALU_DEP_2) | instskip(NEXT) | instid1(VALU_DEP_2)
	v_mad_u64_u32 v[17:18], null, 0xdb629599, v14, v[0:1]
	v_add_nc_u32_e32 v12, v22, v12
	s_delay_alu instid0(VALU_DEP_2) | instskip(NEXT) | instid1(VALU_DEP_2)
	v_mov_b32_e32 v0, v18
	v_cmp_lt_u32_e64 s2, 31, v12
	s_delay_alu instid0(VALU_DEP_4) | instskip(NEXT) | instid1(VALU_DEP_3)
	v_cndmask_b32_e32 v11, v17, v11, vcc_lo
	v_mad_u64_u32 v[18:19], null, 0xf534ddc0, v14, v[0:1]
	s_delay_alu instid0(VALU_DEP_1) | instskip(NEXT) | instid1(VALU_DEP_1)
	v_mov_b32_e32 v0, v19
	v_mad_u64_u32 v[19:20], null, 0xfc2757d1, v14, v[0:1]
	s_delay_alu instid0(VALU_DEP_1) | instskip(NEXT) | instid1(VALU_DEP_1)
	v_mov_b32_e32 v0, v20
	v_mad_u64_u32 v[20:21], null, 0x4e441529, v14, v[0:1]
	s_delay_alu instid0(VALU_DEP_1) | instskip(NEXT) | instid1(VALU_DEP_1)
	v_dual_mov_b32 v0, v21 :: v_dual_cndmask_b32 v23, v20, v18
	v_mad_u64_u32 v[21:22], null, 0xa2f9836e, v14, v[0:1]
	v_cndmask_b32_e64 v0, 0, 0xffffffe0, s2
	s_delay_alu instid0(VALU_DEP_1) | instskip(NEXT) | instid1(VALU_DEP_3)
	v_dual_cndmask_b32 v21, v21, v19 :: v_dual_add_nc_u32 v0, v0, v12
	v_dual_cndmask_b32 v20, v22, v20 :: v_dual_cndmask_b32 v19, v19, v17
	v_cndmask_b32_e32 v12, v18, v16, vcc_lo
	s_delay_alu instid0(VALU_DEP_3) | instskip(NEXT) | instid1(VALU_DEP_4)
	v_cmp_eq_u32_e64 s3, 0, v0
	v_cndmask_b32_e64 v16, v21, v23, s1
	s_delay_alu instid0(VALU_DEP_4)
	v_cndmask_b32_e64 v18, v20, v21, s1
	v_cndmask_b32_e64 v20, v23, v19, s1
	v_sub_nc_u32_e32 v21, 32, v0
	v_cndmask_b32_e64 v19, v19, v12, s1
	v_cndmask_b32_e64 v11, v12, v11, s1
	;; [unrolled: 1-line block ×4, first 2 shown]
	s_delay_alu instid0(VALU_DEP_4) | instskip(NEXT) | instid1(VALU_DEP_4)
	v_cndmask_b32_e64 v20, v20, v19, s2
	v_cndmask_b32_e64 v11, v19, v11, s2
	s_delay_alu instid0(VALU_DEP_3) | instskip(NEXT) | instid1(VALU_DEP_3)
	v_alignbit_b32 v22, v18, v16, v21
	v_alignbit_b32 v23, v16, v20, v21
	s_delay_alu instid0(VALU_DEP_3) | instskip(NEXT) | instid1(VALU_DEP_3)
	v_alignbit_b32 v21, v20, v11, v21
	v_cndmask_b32_e64 v0, v22, v18, s3
	s_delay_alu instid0(VALU_DEP_3) | instskip(NEXT) | instid1(VALU_DEP_3)
	v_cndmask_b32_e64 v16, v23, v16, s3
	v_cndmask_b32_e64 v20, v21, v20, s3
	s_delay_alu instid0(VALU_DEP_3) | instskip(NEXT) | instid1(VALU_DEP_3)
	v_bfe_u32 v17, v0, 29, 1
	v_alignbit_b32 v12, v0, v16, 30
	s_delay_alu instid0(VALU_DEP_3) | instskip(SKIP_1) | instid1(VALU_DEP_4)
	v_alignbit_b32 v16, v16, v20, 30
	v_alignbit_b32 v11, v20, v11, 30
	v_sub_nc_u32_e32 v18, 0, v17
	s_delay_alu instid0(VALU_DEP_1) | instskip(SKIP_3) | instid1(VALU_DEP_4)
	v_xor_b32_e32 v19, v12, v18
	v_cmp_ne_u32_e32 vcc_lo, v12, v18
	v_xor_b32_e32 v16, v16, v18
	v_xor_b32_e32 v11, v11, v18
	v_clz_i32_u32_e32 v22, v19
	s_delay_alu instid0(VALU_DEP_1) | instskip(NEXT) | instid1(VALU_DEP_1)
	v_add_nc_u32_e32 v21, 1, v22
	v_cndmask_b32_e32 v12, 33, v21, vcc_lo
	s_delay_alu instid0(VALU_DEP_1) | instskip(NEXT) | instid1(VALU_DEP_1)
	v_sub_nc_u32_e32 v20, 32, v12
	v_alignbit_b32 v18, v19, v16, v20
	v_alignbit_b32 v11, v16, v11, v20
	v_lshrrev_b32_e32 v16, 29, v0
	v_lshrrev_b32_e32 v0, 30, v0
	s_delay_alu instid0(VALU_DEP_3) | instskip(NEXT) | instid1(VALU_DEP_3)
	v_alignbit_b32 v19, v18, v11, 9
	v_lshlrev_b32_e32 v16, 31, v16
	v_alignbit_b32 v18, v12, v18, 9
	s_delay_alu instid0(VALU_DEP_3) | instskip(NEXT) | instid1(VALU_DEP_2)
	v_clz_i32_u32_e32 v20, v19
	v_or_b32_e32 v18, v18, v16
	v_or_b32_e32 v16, 0x33800000, v16
	s_delay_alu instid0(VALU_DEP_3) | instskip(NEXT) | instid1(VALU_DEP_3)
	v_min_u32_e32 v20, 32, v20
	v_xor_b32_e32 v18, 1.0, v18
	s_delay_alu instid0(VALU_DEP_2) | instskip(SKIP_1) | instid1(VALU_DEP_3)
	v_sub_nc_u32_e32 v21, 31, v20
	v_add_lshl_u32 v12, v20, v12, 23
	v_mul_f32_e32 v20, 0x3fc90fda, v18
	s_delay_alu instid0(VALU_DEP_3) | instskip(NEXT) | instid1(VALU_DEP_3)
	v_alignbit_b32 v11, v19, v11, v21
	v_sub_nc_u32_e32 v12, v16, v12
	s_delay_alu instid0(VALU_DEP_3) | instskip(NEXT) | instid1(VALU_DEP_3)
	v_fma_f32 v16, 0x3fc90fda, v18, -v20
	v_lshrrev_b32_e32 v11, 9, v11
	s_delay_alu instid0(VALU_DEP_2) | instskip(NEXT) | instid1(VALU_DEP_2)
	v_fmac_f32_e32 v16, 0x33a22168, v18
	v_or_b32_e32 v11, v12, v11
	v_add_nc_u32_e32 v12, v17, v0
	s_delay_alu instid0(VALU_DEP_2) | instskip(NEXT) | instid1(VALU_DEP_1)
	v_fmac_f32_e32 v16, 0x3fc90fda, v11
	v_add_f32_e32 v11, v20, v16
.LBB352_21:                             ;   in Loop: Header=BB352_13 Depth=3
	s_or_saveexec_b32 s1, s39
	v_mul_f32_e64 v0, 0x3f22f983, |v6|
	s_delay_alu instid0(VALU_DEP_1)
	v_rndne_f32_e32 v17, v0
	s_xor_b32 exec_lo, exec_lo, s1
; %bb.22:                               ;   in Loop: Header=BB352_13 Depth=3
	s_delay_alu instid0(VALU_DEP_1) | instskip(SKIP_1) | instid1(VALU_DEP_2)
	v_fma_f32 v11, 0xbfc90fda, v17, |v6|
	v_cvt_i32_f32_e32 v12, v17
	v_fmac_f32_e32 v11, 0xb3a22168, v17
	s_delay_alu instid0(VALU_DEP_1)
	v_fmac_f32_e32 v11, 0xa7c234c4, v17
; %bb.23:                               ;   in Loop: Header=BB352_13 Depth=3
	s_or_b32 exec_lo, exec_lo, s1
                                        ; implicit-def: $vgpr16
                                        ; implicit-def: $vgpr0
	s_and_saveexec_b32 s1, s38
	s_delay_alu instid0(SALU_CYCLE_1)
	s_xor_b32 s38, exec_lo, s1
	s_cbranch_execz .LBB352_25
; %bb.24:                               ;   in Loop: Header=BB352_13 Depth=3
	v_mad_u64_u32 v[16:17], null, 0xfe5163ab, v14, 0
	v_cmp_lt_u32_e32 vcc_lo, 63, v15
	v_cndmask_b32_e64 v22, 0, 0xffffffc0, vcc_lo
	s_delay_alu instid0(VALU_DEP_1) | instskip(NEXT) | instid1(VALU_DEP_1)
	v_dual_mov_b32 v0, v17 :: v_dual_add_nc_u32 v15, v22, v15
	v_mad_u64_u32 v[17:18], null, 0x3c439041, v14, v[0:1]
	s_delay_alu instid0(VALU_DEP_2) | instskip(NEXT) | instid1(VALU_DEP_1)
	v_cmp_lt_u32_e64 s1, 31, v15
	v_cndmask_b32_e64 v23, 0, 0xffffffe0, s1
	s_delay_alu instid0(VALU_DEP_1) | instskip(NEXT) | instid1(VALU_DEP_1)
	v_dual_mov_b32 v0, v18 :: v_dual_add_nc_u32 v15, v23, v15
	v_mad_u64_u32 v[18:19], null, 0xdb629599, v14, v[0:1]
	s_delay_alu instid0(VALU_DEP_2) | instskip(NEXT) | instid1(VALU_DEP_2)
	v_cmp_lt_u32_e64 s2, 31, v15
	v_mov_b32_e32 v0, v19
	s_delay_alu instid0(VALU_DEP_3) | instskip(NEXT) | instid1(VALU_DEP_2)
	v_cndmask_b32_e32 v16, v18, v16, vcc_lo
	v_mad_u64_u32 v[19:20], null, 0xf534ddc0, v14, v[0:1]
	s_delay_alu instid0(VALU_DEP_1) | instskip(NEXT) | instid1(VALU_DEP_1)
	v_mov_b32_e32 v0, v20
	v_mad_u64_u32 v[20:21], null, 0xfc2757d1, v14, v[0:1]
	s_delay_alu instid0(VALU_DEP_1) | instskip(NEXT) | instid1(VALU_DEP_1)
	v_mov_b32_e32 v0, v21
	;; [unrolled: 3-line block ×3, first 2 shown]
	v_mad_u64_u32 v[22:23], null, 0xa2f9836e, v14, v[0:1]
	v_cndmask_b32_e64 v0, 0, 0xffffffe0, s2
	s_delay_alu instid0(VALU_DEP_4) | instskip(NEXT) | instid1(VALU_DEP_2)
	v_cndmask_b32_e32 v14, v21, v19, vcc_lo
	v_add_nc_u32_e32 v0, v0, v15
	s_delay_alu instid0(VALU_DEP_4) | instskip(SKIP_1) | instid1(VALU_DEP_3)
	v_dual_cndmask_b32 v22, v22, v20 :: v_dual_cndmask_b32 v21, v23, v21
	v_dual_cndmask_b32 v20, v20, v18 :: v_dual_cndmask_b32 v15, v19, v17
	v_cmp_eq_u32_e64 s3, 0, v0
	s_delay_alu instid0(VALU_DEP_3) | instskip(NEXT) | instid1(VALU_DEP_4)
	v_cndmask_b32_e64 v17, v22, v14, s1
	v_cndmask_b32_e64 v19, v21, v22, s1
	s_delay_alu instid0(VALU_DEP_4)
	v_cndmask_b32_e64 v14, v14, v20, s1
	v_sub_nc_u32_e32 v21, 32, v0
	v_cndmask_b32_e64 v20, v20, v15, s1
	v_cndmask_b32_e64 v15, v15, v16, s1
	;; [unrolled: 1-line block ×4, first 2 shown]
	s_delay_alu instid0(VALU_DEP_4) | instskip(NEXT) | instid1(VALU_DEP_4)
	v_cndmask_b32_e64 v14, v14, v20, s2
	v_cndmask_b32_e64 v15, v20, v15, s2
	s_delay_alu instid0(VALU_DEP_3) | instskip(NEXT) | instid1(VALU_DEP_3)
	v_alignbit_b32 v22, v19, v17, v21
	v_alignbit_b32 v23, v17, v14, v21
	s_delay_alu instid0(VALU_DEP_3) | instskip(NEXT) | instid1(VALU_DEP_3)
	v_alignbit_b32 v21, v14, v15, v21
	v_cndmask_b32_e64 v0, v22, v19, s3
	s_delay_alu instid0(VALU_DEP_3) | instskip(NEXT) | instid1(VALU_DEP_3)
	v_cndmask_b32_e64 v17, v23, v17, s3
	v_cndmask_b32_e64 v14, v21, v14, s3
	s_delay_alu instid0(VALU_DEP_3) | instskip(NEXT) | instid1(VALU_DEP_3)
	v_bfe_u32 v18, v0, 29, 1
	v_alignbit_b32 v16, v0, v17, 30
	s_delay_alu instid0(VALU_DEP_3) | instskip(SKIP_1) | instid1(VALU_DEP_4)
	v_alignbit_b32 v17, v17, v14, 30
	v_alignbit_b32 v14, v14, v15, 30
	v_sub_nc_u32_e32 v19, 0, v18
	s_delay_alu instid0(VALU_DEP_1) | instskip(SKIP_3) | instid1(VALU_DEP_4)
	v_xor_b32_e32 v20, v16, v19
	v_cmp_ne_u32_e32 vcc_lo, v16, v19
	v_xor_b32_e32 v15, v17, v19
	v_xor_b32_e32 v14, v14, v19
	v_clz_i32_u32_e32 v22, v20
	s_delay_alu instid0(VALU_DEP_1) | instskip(NEXT) | instid1(VALU_DEP_1)
	v_add_nc_u32_e32 v21, 1, v22
	v_cndmask_b32_e32 v16, 33, v21, vcc_lo
	s_delay_alu instid0(VALU_DEP_1) | instskip(NEXT) | instid1(VALU_DEP_1)
	v_sub_nc_u32_e32 v17, 32, v16
	v_alignbit_b32 v19, v20, v15, v17
	v_alignbit_b32 v14, v15, v14, v17
	v_lshrrev_b32_e32 v15, 29, v0
	s_delay_alu instid0(VALU_DEP_2) | instskip(NEXT) | instid1(VALU_DEP_2)
	v_alignbit_b32 v17, v19, v14, 9
	v_lshlrev_b32_e32 v15, 31, v15
	v_alignbit_b32 v19, v16, v19, 9
	s_delay_alu instid0(VALU_DEP_3) | instskip(NEXT) | instid1(VALU_DEP_2)
	v_clz_i32_u32_e32 v20, v17
	v_or_b32_e32 v19, v19, v15
	v_or_b32_e32 v15, 0x33800000, v15
	s_delay_alu instid0(VALU_DEP_3) | instskip(NEXT) | instid1(VALU_DEP_3)
	v_min_u32_e32 v20, 32, v20
	v_xor_b32_e32 v19, 1.0, v19
	s_delay_alu instid0(VALU_DEP_2) | instskip(SKIP_1) | instid1(VALU_DEP_3)
	v_sub_nc_u32_e32 v21, 31, v20
	v_add_lshl_u32 v16, v20, v16, 23
	v_mul_f32_e32 v20, 0x3fc90fda, v19
	s_delay_alu instid0(VALU_DEP_3) | instskip(NEXT) | instid1(VALU_DEP_3)
	v_alignbit_b32 v14, v17, v14, v21
	v_sub_nc_u32_e32 v15, v15, v16
	s_delay_alu instid0(VALU_DEP_3) | instskip(NEXT) | instid1(VALU_DEP_3)
	v_fma_f32 v16, 0x3fc90fda, v19, -v20
                                        ; implicit-def: $vgpr17
	v_lshrrev_b32_e32 v14, 9, v14
	s_delay_alu instid0(VALU_DEP_2) | instskip(NEXT) | instid1(VALU_DEP_2)
	v_fmac_f32_e32 v16, 0x33a22168, v19
	v_or_b32_e32 v14, v15, v14
	s_delay_alu instid0(VALU_DEP_1) | instskip(SKIP_1) | instid1(VALU_DEP_2)
	v_fmac_f32_e32 v16, 0x3fc90fda, v14
	v_lshrrev_b32_e32 v14, 30, v0
	v_add_f32_e32 v0, v20, v16
	s_delay_alu instid0(VALU_DEP_2)
	v_add_nc_u32_e32 v16, v18, v14
	s_and_not1_saveexec_b32 s1, s38
	s_cbranch_execnz .LBB352_26
	s_branch .LBB352_27
.LBB352_25:                             ;   in Loop: Header=BB352_13 Depth=3
	s_and_not1_saveexec_b32 s1, s38
.LBB352_26:                             ;   in Loop: Header=BB352_13 Depth=3
	v_fma_f32 v0, 0xbfc90fda, v17, |v6|
	v_cvt_i32_f32_e32 v16, v17
	s_delay_alu instid0(VALU_DEP_2) | instskip(NEXT) | instid1(VALU_DEP_1)
	v_fmac_f32_e32 v0, 0xb3a22168, v17
	v_fmac_f32_e32 v0, 0xa7c234c4, v17
.LBB352_27:                             ;   in Loop: Header=BB352_13 Depth=3
	s_or_b32 exec_lo, exec_lo, s1
	v_lshlrev_b32_e32 v14, 30, v12
	v_sub_f32_e32 v13, v13, v4
	v_dual_mul_f32 v17, v11, v11 :: v_dual_and_b32 v12, 1, v12
	v_and_b32_e32 v19, 1, v16
	s_delay_alu instid0(VALU_DEP_4) | instskip(NEXT) | instid1(VALU_DEP_4)
	v_and_b32_e32 v14, 0x80000000, v14
	v_dual_mul_f32 v15, 0x3fb8aa3b, v13 :: v_dual_lshlrev_b32 v16, 30, v16
	s_delay_alu instid0(VALU_DEP_4) | instskip(SKIP_2) | instid1(VALU_DEP_4)
	v_fmaak_f32 v23, s26, v17, 0x3c0881c4
	v_fmaak_f32 v22, s25, v17, 0xbab64f3b
	v_cmp_eq_u32_e32 vcc_lo, 0, v12
	v_fma_f32 v20, 0x3fb8aa3b, v13, -v15
	v_rndne_f32_e32 v21, v15
	v_mul_f32_e32 v18, v0, v0
	v_xor_b32_e32 v7, v7, v6
	v_cmp_nlt_f32_e64 s1, 0x42b17218, v13
	s_delay_alu instid0(VALU_DEP_4) | instskip(SKIP_3) | instid1(VALU_DEP_3)
	v_sub_f32_e32 v15, v15, v21
	v_fmac_f32_e32 v20, 0x32a5705f, v13
	v_fmaak_f32 v24, s26, v18, 0x3c0881c4
	v_cvt_i32_f32_e32 v21, v21
	v_dual_add_f32 v15, v15, v20 :: v_dual_fmaak_f32 v20, v17, v22, 0x3d2aabf7
	s_delay_alu instid0(VALU_DEP_3) | instskip(NEXT) | instid1(VALU_DEP_2)
	v_dual_fmaak_f32 v22, v17, v23, 0xbe2aaa9d :: v_dual_fmaak_f32 v23, v18, v24, 0xbe2aaa9d
	v_exp_f32_e32 v15, v15
	s_delay_alu instid0(VALU_DEP_2) | instskip(NEXT) | instid1(VALU_DEP_2)
	v_fmaak_f32 v20, v17, v20, 0xbf000004
	v_dual_mul_f32 v22, v17, v22 :: v_dual_mul_f32 v23, v18, v23
	v_fmaak_f32 v25, s25, v18, 0xbab64f3b
	v_and_b32_e32 v16, 0x80000000, v16
	s_delay_alu instid0(VALU_DEP_4) | instskip(NEXT) | instid1(VALU_DEP_4)
	v_fma_f32 v17, v17, v20, 1.0
	v_dual_fmac_f32 v11, v11, v22 :: v_dual_fmac_f32 v0, v0, v23
	s_delay_alu instid0(VALU_DEP_4) | instskip(NEXT) | instid1(TRANS32_DEP_1)
	v_fmaak_f32 v24, v18, v25, 0x3d2aabf7
	v_ldexp_f32 v15, v15, v21
	s_delay_alu instid0(VALU_DEP_3) | instskip(SKIP_1) | instid1(VALU_DEP_4)
	v_cndmask_b32_e64 v11, -v11, v17, vcc_lo
	v_cmp_eq_u32_e32 vcc_lo, 0, v19
	v_fmaak_f32 v24, v18, v24, 0xbf000004
	s_delay_alu instid0(VALU_DEP_3) | instskip(NEXT) | instid1(VALU_DEP_2)
	v_xor_b32_e32 v11, v14, v11
	v_fma_f32 v18, v18, v24, 1.0
	s_delay_alu instid0(VALU_DEP_1) | instskip(SKIP_1) | instid1(VALU_DEP_2)
	v_cndmask_b32_e32 v0, v18, v0, vcc_lo
	v_cmp_ngt_f32_e32 vcc_lo, 0xc2ce8ed0, v13
	v_xor3_b32 v0, v7, v16, v0
	v_cndmask_b32_e32 v12, 0, v15, vcc_lo
	v_cmp_class_f32_e64 vcc_lo, v6, 0x1f8
	s_delay_alu instid0(VALU_DEP_2) | instskip(SKIP_2) | instid1(VALU_DEP_2)
	v_cndmask_b32_e64 v13, 0x7f800000, v12, s1
	v_cndmask_b32_e32 v11, 0x7fc00000, v11, vcc_lo
	v_cndmask_b32_e32 v0, 0x7fc00000, v0, vcc_lo
	v_mul_f32_e32 v12, v13, v11
	s_delay_alu instid0(VALU_DEP_2) | instskip(NEXT) | instid1(VALU_DEP_1)
	v_mul_f32_e32 v0, v13, v0
	v_max_f32_e64 v14, |v12|, |v0|
	s_delay_alu instid0(VALU_DEP_1) | instskip(SKIP_1) | instid1(VALU_DEP_2)
	v_cvt_f64_f32_e32 v[6:7], v14
	v_cmp_eq_f32_e32 vcc_lo, 0x7f800000, v14
	v_frexp_exp_i32_f64_e32 v6, v[6:7]
	s_delay_alu instid0(VALU_DEP_1) | instskip(NEXT) | instid1(VALU_DEP_1)
	v_sub_nc_u32_e32 v7, 0, v6
	v_ldexp_f32 v15, |v0|, v7
	v_ldexp_f32 v7, |v12|, v7
	s_delay_alu instid0(VALU_DEP_2) | instskip(NEXT) | instid1(VALU_DEP_1)
	v_mul_f32_e32 v15, v15, v15
	v_fmac_f32_e32 v15, v7, v7
	s_delay_alu instid0(VALU_DEP_1) | instskip(SKIP_3) | instid1(VALU_DEP_2)
	v_sqrt_f32_e32 v7, v15
	s_waitcnt_depctr 0xfff
	v_ldexp_f32 v7, v7, v6
	v_fma_f32 v6, v13, v11, 1.0
	v_cmp_ngt_f32_e64 s1, 0.5, v7
	s_delay_alu instid0(VALU_DEP_2) | instskip(NEXT) | instid1(VALU_DEP_2)
	v_max_f32_e64 v7, |v6|, |v0|
	s_or_b32 s1, vcc_lo, s1
	s_delay_alu instid0(SALU_CYCLE_1) | instskip(NEXT) | instid1(SALU_CYCLE_1)
	s_and_saveexec_b32 s2, s1
	s_xor_b32 s2, exec_lo, s2
	s_cbranch_execz .LBB352_29
; %bb.28:                               ;   in Loop: Header=BB352_13 Depth=3
	v_cvt_f64_f32_e32 v[11:12], v7
	v_cmp_neq_f32_e32 vcc_lo, 0x7f800000, v7
	s_delay_alu instid0(VALU_DEP_2) | instskip(NEXT) | instid1(VALU_DEP_1)
	v_frexp_exp_i32_f64_e32 v11, v[11:12]
	v_sub_nc_u32_e32 v12, 0, v11
	s_delay_alu instid0(VALU_DEP_1) | instskip(SKIP_1) | instid1(VALU_DEP_2)
	v_ldexp_f32 v13, |v0|, v12
	v_ldexp_f32 v12, |v6|, v12
	v_mul_f32_e32 v13, v13, v13
	s_delay_alu instid0(VALU_DEP_1) | instskip(NEXT) | instid1(VALU_DEP_1)
	v_fmac_f32_e32 v13, v12, v12
	v_sqrt_f32_e32 v12, v13
	s_waitcnt_depctr 0xfff
	v_ldexp_f32 v11, v12, v11
	s_delay_alu instid0(VALU_DEP_1) | instskip(NEXT) | instid1(VALU_DEP_1)
	v_cndmask_b32_e32 v11, 0x7f800000, v11, vcc_lo
	v_cmp_gt_f32_e32 vcc_lo, 0x800000, v11
	v_cndmask_b32_e64 v12, 1.0, 0x4f800000, vcc_lo
	s_delay_alu instid0(VALU_DEP_1) | instskip(NEXT) | instid1(VALU_DEP_1)
	v_mul_f32_e32 v11, v11, v12
	v_log_f32_e32 v11, v11
	s_waitcnt_depctr 0xfff
	v_mul_f32_e32 v12, 0x3f317217, v11
	v_cmp_gt_f32_e64 s1, 0x7f800000, |v11|
	s_delay_alu instid0(VALU_DEP_2) | instskip(NEXT) | instid1(VALU_DEP_1)
	v_fma_f32 v13, 0x3f317217, v11, -v12
	v_fmac_f32_e32 v13, 0x3377d1cf, v11
	s_delay_alu instid0(VALU_DEP_1) | instskip(NEXT) | instid1(VALU_DEP_1)
	v_add_f32_e32 v12, v12, v13
	v_cndmask_b32_e64 v11, v11, v12, s1
	v_cndmask_b32_e64 v12, 0, 0x41b17218, vcc_lo
	s_delay_alu instid0(VALU_DEP_1)
	v_sub_f32_e32 v12, v11, v12
.LBB352_29:                             ;   in Loop: Header=BB352_13 Depth=3
	s_and_not1_saveexec_b32 s1, s2
	s_cbranch_execz .LBB352_33
; %bb.30:                               ;   in Loop: Header=BB352_13 Depth=3
	s_delay_alu instid0(VALU_DEP_1) | instskip(SKIP_2) | instid1(VALU_DEP_1)
	v_add_f32_e32 v13, 2.0, v12
	v_mul_f32_e32 v11, v0, v0
	s_mov_b32 s2, exec_lo
	v_fmac_f32_e32 v11, v12, v13
	s_delay_alu instid0(VALU_DEP_1)
	v_cmpx_neq_f32_e32 0, v11
	s_cbranch_execz .LBB352_32
; %bb.31:                               ;   in Loop: Header=BB352_13 Depth=3
	v_add_f32_e32 v14, 1.0, v11
	s_delay_alu instid0(VALU_DEP_1) | instskip(NEXT) | instid1(VALU_DEP_1)
	v_cvt_f64_f32_e32 v[12:13], v14
	v_frexp_exp_i32_f64_e32 v12, v[12:13]
	v_frexp_mant_f32_e32 v13, v14
	s_delay_alu instid0(VALU_DEP_1) | instskip(SKIP_1) | instid1(VALU_DEP_1)
	v_cmp_gt_f32_e32 vcc_lo, 0x3f2aaaab, v13
	v_add_f32_e32 v13, -1.0, v14
	v_sub_f32_e32 v16, v13, v14
	s_delay_alu instid0(VALU_DEP_1) | instskip(SKIP_2) | instid1(VALU_DEP_2)
	v_dual_add_f32 v16, 1.0, v16 :: v_dual_sub_f32 v13, v11, v13
	v_subrev_co_ci_u32_e32 v12, vcc_lo, 0, v12, vcc_lo
	v_cmp_eq_f32_e32 vcc_lo, 0x7f800000, v11
	v_sub_nc_u32_e32 v15, 0, v12
	v_cvt_f32_i32_e32 v12, v12
	s_delay_alu instid0(VALU_DEP_2) | instskip(NEXT) | instid1(VALU_DEP_1)
	v_ldexp_f32 v14, v14, v15
	v_add_f32_e32 v17, 1.0, v14
	s_delay_alu instid0(VALU_DEP_1) | instskip(NEXT) | instid1(VALU_DEP_1)
	v_dual_add_f32 v13, v13, v16 :: v_dual_add_f32 v16, -1.0, v17
	v_ldexp_f32 v13, v13, v15
	s_delay_alu instid0(VALU_DEP_2) | instskip(NEXT) | instid1(VALU_DEP_1)
	v_dual_sub_f32 v16, v14, v16 :: v_dual_add_f32 v15, -1.0, v14
	v_add_f32_e32 v16, v13, v16
	s_delay_alu instid0(VALU_DEP_2) | instskip(NEXT) | instid1(VALU_DEP_1)
	v_add_f32_e32 v18, 1.0, v15
	v_sub_f32_e32 v14, v14, v18
	s_delay_alu instid0(VALU_DEP_1) | instskip(NEXT) | instid1(VALU_DEP_1)
	v_add_f32_e32 v13, v13, v14
	v_dual_add_f32 v19, v15, v13 :: v_dual_add_f32 v18, v17, v16
	s_delay_alu instid0(VALU_DEP_1) | instskip(NEXT) | instid1(VALU_DEP_2)
	v_sub_f32_e32 v15, v19, v15
	v_rcp_f32_e32 v14, v18
	v_sub_f32_e32 v17, v18, v17
	s_delay_alu instid0(VALU_DEP_1) | instskip(SKIP_2) | instid1(VALU_DEP_1)
	v_dual_sub_f32 v13, v13, v15 :: v_dual_sub_f32 v16, v16, v17
	s_waitcnt_depctr 0xfff
	v_mul_f32_e32 v20, v19, v14
	v_mul_f32_e32 v21, v18, v20
	s_delay_alu instid0(VALU_DEP_1) | instskip(NEXT) | instid1(VALU_DEP_1)
	v_fma_f32 v17, v20, v18, -v21
	v_fmac_f32_e32 v17, v20, v16
	s_delay_alu instid0(VALU_DEP_1) | instskip(NEXT) | instid1(VALU_DEP_1)
	v_add_f32_e32 v22, v21, v17
	v_sub_f32_e32 v23, v19, v22
	v_sub_f32_e32 v15, v22, v21
	s_delay_alu instid0(VALU_DEP_2) | instskip(NEXT) | instid1(VALU_DEP_2)
	v_sub_f32_e32 v19, v19, v23
	v_sub_f32_e32 v15, v15, v17
	s_delay_alu instid0(VALU_DEP_2) | instskip(NEXT) | instid1(VALU_DEP_1)
	v_sub_f32_e32 v19, v19, v22
	v_add_f32_e32 v13, v13, v19
	s_delay_alu instid0(VALU_DEP_1) | instskip(NEXT) | instid1(VALU_DEP_1)
	v_add_f32_e32 v13, v15, v13
	v_add_f32_e32 v15, v23, v13
	s_delay_alu instid0(VALU_DEP_1) | instskip(NEXT) | instid1(VALU_DEP_1)
	v_mul_f32_e32 v17, v14, v15
	v_dual_sub_f32 v22, v23, v15 :: v_dual_mul_f32 v19, v18, v17
	s_delay_alu instid0(VALU_DEP_1) | instskip(NEXT) | instid1(VALU_DEP_2)
	v_add_f32_e32 v13, v13, v22
	v_fma_f32 v18, v17, v18, -v19
	s_delay_alu instid0(VALU_DEP_1) | instskip(NEXT) | instid1(VALU_DEP_1)
	v_fmac_f32_e32 v18, v17, v16
	v_add_f32_e32 v16, v19, v18
	s_delay_alu instid0(VALU_DEP_1) | instskip(SKIP_1) | instid1(VALU_DEP_2)
	v_sub_f32_e32 v21, v15, v16
	v_sub_f32_e32 v19, v16, v19
	;; [unrolled: 1-line block ×3, first 2 shown]
	s_delay_alu instid0(VALU_DEP_1) | instskip(NEXT) | instid1(VALU_DEP_1)
	v_sub_f32_e32 v15, v15, v16
	v_dual_sub_f32 v16, v19, v18 :: v_dual_add_f32 v13, v13, v15
	v_add_f32_e32 v15, v20, v17
	s_delay_alu instid0(VALU_DEP_1) | instskip(NEXT) | instid1(VALU_DEP_1)
	v_dual_add_f32 v13, v16, v13 :: v_dual_sub_f32 v16, v15, v20
	v_add_f32_e32 v13, v21, v13
	s_delay_alu instid0(VALU_DEP_1) | instskip(NEXT) | instid1(VALU_DEP_1)
	v_dual_sub_f32 v16, v17, v16 :: v_dual_mul_f32 v13, v14, v13
	v_add_f32_e32 v13, v16, v13
	s_delay_alu instid0(VALU_DEP_1) | instskip(NEXT) | instid1(VALU_DEP_1)
	v_add_f32_e32 v14, v15, v13
	v_mul_f32_e32 v16, v14, v14
	s_delay_alu instid0(VALU_DEP_1) | instskip(SKIP_1) | instid1(VALU_DEP_2)
	v_fmaak_f32 v17, s29, v16, 0x3ecc95a3
	v_mul_f32_e32 v18, v14, v16
	v_fmaak_f32 v16, v16, v17, 0x3f2aaada
	v_ldexp_f32 v17, v14, 1
	v_sub_f32_e32 v14, v14, v15
	s_delay_alu instid0(VALU_DEP_3) | instskip(NEXT) | instid1(VALU_DEP_2)
	v_mul_f32_e32 v16, v18, v16
	v_dual_mul_f32 v18, 0x3f317218, v12 :: v_dual_sub_f32 v13, v13, v14
	s_delay_alu instid0(VALU_DEP_2) | instskip(NEXT) | instid1(VALU_DEP_2)
	v_add_f32_e32 v15, v17, v16
	v_ldexp_f32 v13, v13, 1
	s_delay_alu instid0(VALU_DEP_2) | instskip(NEXT) | instid1(VALU_DEP_4)
	v_sub_f32_e32 v14, v15, v17
	v_fma_f32 v17, 0x3f317218, v12, -v18
	s_delay_alu instid0(VALU_DEP_1) | instskip(NEXT) | instid1(VALU_DEP_1)
	v_dual_sub_f32 v14, v16, v14 :: v_dual_fmac_f32 v17, 0xb102e308, v12
	v_add_f32_e32 v12, v13, v14
	s_delay_alu instid0(VALU_DEP_1) | instskip(NEXT) | instid1(VALU_DEP_1)
	v_add_f32_e32 v14, v15, v12
	v_sub_f32_e32 v15, v14, v15
	s_delay_alu instid0(VALU_DEP_1) | instskip(NEXT) | instid1(VALU_DEP_1)
	v_dual_sub_f32 v12, v12, v15 :: v_dual_add_f32 v13, v18, v17
	v_add_f32_e32 v16, v13, v14
	s_delay_alu instid0(VALU_DEP_1) | instskip(NEXT) | instid1(VALU_DEP_1)
	v_dual_sub_f32 v18, v13, v18 :: v_dual_sub_f32 v19, v16, v13
	v_dual_sub_f32 v17, v17, v18 :: v_dual_sub_f32 v20, v16, v19
	s_delay_alu instid0(VALU_DEP_1) | instskip(NEXT) | instid1(VALU_DEP_2)
	v_dual_sub_f32 v14, v14, v19 :: v_dual_add_f32 v15, v17, v12
	v_sub_f32_e32 v13, v13, v20
	s_delay_alu instid0(VALU_DEP_1) | instskip(NEXT) | instid1(VALU_DEP_3)
	v_add_f32_e32 v13, v14, v13
	v_sub_f32_e32 v14, v15, v17
	s_delay_alu instid0(VALU_DEP_2) | instskip(NEXT) | instid1(VALU_DEP_2)
	v_add_f32_e32 v13, v15, v13
	v_sub_f32_e32 v15, v15, v14
	v_sub_f32_e32 v12, v12, v14
	s_delay_alu instid0(VALU_DEP_2) | instskip(NEXT) | instid1(VALU_DEP_1)
	v_dual_add_f32 v18, v16, v13 :: v_dual_sub_f32 v15, v17, v15
	v_sub_f32_e32 v14, v18, v16
	s_delay_alu instid0(VALU_DEP_1) | instskip(NEXT) | instid1(VALU_DEP_1)
	v_dual_add_f32 v12, v12, v15 :: v_dual_sub_f32 v13, v13, v14
	v_add_f32_e32 v12, v12, v13
	s_delay_alu instid0(VALU_DEP_1) | instskip(NEXT) | instid1(VALU_DEP_1)
	v_add_f32_e32 v12, v18, v12
	v_cndmask_b32_e32 v12, v12, v11, vcc_lo
	v_cmp_ngt_f32_e32 vcc_lo, -1.0, v11
	s_delay_alu instid0(VALU_DEP_2) | instskip(SKIP_1) | instid1(VALU_DEP_2)
	v_cndmask_b32_e32 v12, 0x7fc00000, v12, vcc_lo
	v_cmp_neq_f32_e32 vcc_lo, -1.0, v11
	v_cndmask_b32_e32 v12, 0xff800000, v12, vcc_lo
	v_cmp_gt_f32_e64 vcc_lo, 0x33800000, |v11|
	s_delay_alu instid0(VALU_DEP_2) | instskip(NEXT) | instid1(VALU_DEP_1)
	v_cndmask_b32_e32 v11, v12, v11, vcc_lo
	v_mul_f32_e32 v12, 0.5, v11
.LBB352_32:                             ;   in Loop: Header=BB352_13 Depth=3
	s_or_b32 exec_lo, exec_lo, s2
.LBB352_33:                             ;   in Loop: Header=BB352_13 Depth=3
	s_delay_alu instid0(SALU_CYCLE_1)
	s_or_b32 exec_lo, exec_lo, s1
	v_max_f32_e64 v11, |v0|, |v0|
	v_max_f32_e64 v13, |v6|, |v6|
	v_frexp_mant_f32_e32 v14, v7
	v_frexp_exp_i32_f32_e32 v7, v7
	v_cmp_gt_f32_e64 vcc_lo, |v0|, |v6|
	v_cmp_gt_i32_e64 s1, 0, v6
	v_min_f32_e32 v11, v13, v11
	v_rcp_f32_e32 v13, v14
	v_cmp_class_f32_e64 s2, v6, 0x204
	s_delay_alu instid0(VALU_DEP_2)
	v_frexp_mant_f32_e32 v14, v11
	v_frexp_exp_i32_f32_e32 v11, v11
	s_waitcnt_depctr 0xfff
	v_mul_f32_e32 v13, v14, v13
	v_sub_nc_u32_e32 v7, v11, v7
	v_cndmask_b32_e64 v14, 0, 0x40490fdb, s1
	v_cmp_class_f32_e64 s1, v0, 0x204
	s_delay_alu instid0(VALU_DEP_3) | instskip(NEXT) | instid1(VALU_DEP_1)
	v_ldexp_f32 v7, v13, v7
	v_mul_f32_e32 v11, v7, v7
	s_delay_alu instid0(VALU_DEP_1) | instskip(NEXT) | instid1(VALU_DEP_1)
	v_fmaak_f32 v13, s30, v11, 0xbc7a590c
	v_fmaak_f32 v13, v11, v13, 0x3d29fb3f
	s_delay_alu instid0(VALU_DEP_1) | instskip(NEXT) | instid1(VALU_DEP_1)
	v_fmaak_f32 v13, v11, v13, 0xbd97d4d7
	v_fmaak_f32 v13, v11, v13, 0x3dd931b2
	;; [unrolled: 3-line block ×3, first 2 shown]
	s_delay_alu instid0(VALU_DEP_1) | instskip(NEXT) | instid1(VALU_DEP_1)
	v_fmaak_f32 v13, v11, v13, 0xbeaaaa62
	v_mul_f32_e32 v11, v11, v13
	s_delay_alu instid0(VALU_DEP_1) | instskip(NEXT) | instid1(VALU_DEP_1)
	v_fmac_f32_e32 v7, v7, v11
	v_sub_f32_e32 v11, 0x3fc90fdb, v7
	s_delay_alu instid0(VALU_DEP_1) | instskip(SKIP_1) | instid1(VALU_DEP_2)
	v_cndmask_b32_e32 v7, v7, v11, vcc_lo
	v_cmp_gt_f32_e32 vcc_lo, 0, v6
	v_sub_f32_e32 v11, 0x40490fdb, v7
	v_cndmask_b32_e32 v13, 0x3f490fdb, v8, vcc_lo
	s_delay_alu instid0(VALU_DEP_2) | instskip(SKIP_1) | instid1(VALU_DEP_2)
	v_cndmask_b32_e32 v7, v7, v11, vcc_lo
	v_cmp_eq_f32_e32 vcc_lo, 0, v0
	v_cndmask_b32_e32 v7, v7, v14, vcc_lo
	s_and_b32 vcc_lo, s2, s1
	s_delay_alu instid0(VALU_DEP_1) | instskip(SKIP_2) | instid1(VALU_DEP_3)
	v_cndmask_b32_e32 v7, v7, v13, vcc_lo
	v_cmp_o_f32_e32 vcc_lo, v6, v0
	v_add_f32_e32 v13, v4, v12
                                        ; implicit-def: $vgpr12
	v_cndmask_b32_e32 v6, 0x7fc00000, v7, vcc_lo
	s_delay_alu instid0(VALU_DEP_1) | instskip(NEXT) | instid1(VALU_DEP_1)
	v_bfi_b32 v0, 0x7fffffff, v6, v0
	v_add_f32_e32 v11, v5, v0
                                        ; implicit-def: $vgpr5
.LBB352_34:                             ;   in Loop: Header=BB352_13 Depth=3
	s_and_not1_saveexec_b32 s37, s37
	s_cbranch_execz .LBB352_11
; %bb.35:                               ;   in Loop: Header=BB352_13 Depth=3
	s_mov_b32 s38, exec_lo
	v_cmpx_ngt_f32_e32 0, v13
	s_cbranch_execz .LBB352_10
; %bb.36:                               ;   in Loop: Header=BB352_13 Depth=3
	v_and_b32_e32 v4, 0x7fffffff, v11
	v_cmp_ngt_f32_e64 s39, 0x48000000, |v11|
                                        ; implicit-def: $vgpr7
                                        ; implicit-def: $vgpr6
	s_delay_alu instid0(VALU_DEP_2) | instskip(SKIP_1) | instid1(VALU_DEP_2)
	v_lshrrev_b32_e32 v0, 23, v4
	v_and_or_b32 v14, v4, s24, 0x800000
	v_add_nc_u32_e32 v16, 0xffffff88, v0
	s_delay_alu instid0(VALU_DEP_4) | instskip(NEXT) | instid1(SALU_CYCLE_1)
	s_and_saveexec_b32 s1, s39
	s_xor_b32 s40, exec_lo, s1
	s_cbranch_execz .LBB352_38
; %bb.37:                               ;   in Loop: Header=BB352_13 Depth=3
	v_mad_u64_u32 v[6:7], null, 0xfe5163ab, v14, 0
	v_cmp_lt_u32_e32 vcc_lo, 63, v16
	s_delay_alu instid0(VALU_DEP_2) | instskip(SKIP_1) | instid1(VALU_DEP_1)
	v_mov_b32_e32 v0, v7
	v_cndmask_b32_e64 v7, 0, 0xffffffc0, vcc_lo
	v_add_nc_u32_e32 v7, v7, v16
	s_delay_alu instid0(VALU_DEP_1) | instskip(NEXT) | instid1(VALU_DEP_1)
	v_cmp_lt_u32_e64 s1, 31, v7
	v_cndmask_b32_e64 v13, 0, 0xffffffe0, s1
	s_delay_alu instid0(VALU_DEP_1) | instskip(SKIP_1) | instid1(VALU_DEP_2)
	v_add_nc_u32_e32 v7, v13, v7
	v_mad_u64_u32 v[17:18], null, 0x3c439041, v14, v[0:1]
	v_cmp_lt_u32_e64 s2, 31, v7
	s_delay_alu instid0(VALU_DEP_2) | instskip(NEXT) | instid1(VALU_DEP_1)
	v_mov_b32_e32 v0, v18
	v_mad_u64_u32 v[18:19], null, 0xdb629599, v14, v[0:1]
	s_delay_alu instid0(VALU_DEP_1) | instskip(NEXT) | instid1(VALU_DEP_2)
	v_mov_b32_e32 v0, v19
	v_cndmask_b32_e32 v6, v18, v6, vcc_lo
	s_delay_alu instid0(VALU_DEP_2) | instskip(NEXT) | instid1(VALU_DEP_1)
	v_mad_u64_u32 v[19:20], null, 0xf534ddc0, v14, v[0:1]
	v_mov_b32_e32 v0, v20
	s_delay_alu instid0(VALU_DEP_1) | instskip(NEXT) | instid1(VALU_DEP_1)
	v_mad_u64_u32 v[20:21], null, 0xfc2757d1, v14, v[0:1]
	v_mov_b32_e32 v0, v21
	s_delay_alu instid0(VALU_DEP_1) | instskip(NEXT) | instid1(VALU_DEP_1)
	v_mad_u64_u32 v[21:22], null, 0x4e441529, v14, v[0:1]
	v_dual_mov_b32 v0, v22 :: v_dual_cndmask_b32 v13, v21, v19
	s_delay_alu instid0(VALU_DEP_1) | instskip(SKIP_1) | instid1(VALU_DEP_1)
	v_mad_u64_u32 v[22:23], null, 0xa2f9836e, v14, v[0:1]
	v_cndmask_b32_e64 v0, 0, 0xffffffe0, s2
	v_dual_cndmask_b32 v15, v22, v20 :: v_dual_add_nc_u32 v0, v0, v7
	s_delay_alu instid0(VALU_DEP_3) | instskip(SKIP_1) | instid1(VALU_DEP_3)
	v_dual_cndmask_b32 v21, v23, v21 :: v_dual_cndmask_b32 v20, v20, v18
	v_cndmask_b32_e32 v7, v19, v17, vcc_lo
	v_sub_nc_u32_e32 v19, 32, v0
	s_delay_alu instid0(VALU_DEP_4) | instskip(NEXT) | instid1(VALU_DEP_4)
	v_cndmask_b32_e64 v17, v15, v13, s1
	v_cndmask_b32_e64 v15, v21, v15, s1
	;; [unrolled: 1-line block ×4, first 2 shown]
	v_cmp_eq_u32_e64 s3, 0, v0
	v_cndmask_b32_e64 v6, v7, v6, s1
	v_cndmask_b32_e64 v15, v15, v17, s2
	;; [unrolled: 1-line block ×4, first 2 shown]
	s_delay_alu instid0(VALU_DEP_4) | instskip(NEXT) | instid1(VALU_DEP_3)
	v_cndmask_b32_e64 v6, v20, v6, s2
	v_alignbit_b32 v21, v15, v17, v19
	s_delay_alu instid0(VALU_DEP_3) | instskip(NEXT) | instid1(VALU_DEP_3)
	v_alignbit_b32 v22, v17, v13, v19
	v_alignbit_b32 v19, v13, v6, v19
	s_delay_alu instid0(VALU_DEP_3) | instskip(NEXT) | instid1(VALU_DEP_3)
	v_cndmask_b32_e64 v0, v21, v15, s3
	v_cndmask_b32_e64 v15, v22, v17, s3
	s_delay_alu instid0(VALU_DEP_3) | instskip(NEXT) | instid1(VALU_DEP_3)
	v_cndmask_b32_e64 v13, v19, v13, s3
	v_bfe_u32 v17, v0, 29, 1
	s_delay_alu instid0(VALU_DEP_3) | instskip(NEXT) | instid1(VALU_DEP_3)
	v_alignbit_b32 v7, v0, v15, 30
	v_alignbit_b32 v15, v15, v13, 30
	;; [unrolled: 1-line block ×3, first 2 shown]
	s_delay_alu instid0(VALU_DEP_4) | instskip(NEXT) | instid1(VALU_DEP_1)
	v_sub_nc_u32_e32 v18, 0, v17
	v_xor_b32_e32 v20, v7, v18
	v_cmp_ne_u32_e32 vcc_lo, v7, v18
	v_xor_b32_e32 v13, v15, v18
	v_xor_b32_e32 v6, v6, v18
	s_delay_alu instid0(VALU_DEP_4) | instskip(NEXT) | instid1(VALU_DEP_1)
	v_clz_i32_u32_e32 v21, v20
	v_add_nc_u32_e32 v19, 1, v21
	s_delay_alu instid0(VALU_DEP_1) | instskip(NEXT) | instid1(VALU_DEP_1)
	v_cndmask_b32_e32 v7, 33, v19, vcc_lo
	v_sub_nc_u32_e32 v15, 32, v7
	s_delay_alu instid0(VALU_DEP_1) | instskip(SKIP_3) | instid1(VALU_DEP_3)
	v_alignbit_b32 v18, v20, v13, v15
	v_alignbit_b32 v6, v13, v6, v15
	v_lshrrev_b32_e32 v13, 29, v0
	v_lshrrev_b32_e32 v0, 30, v0
	v_alignbit_b32 v15, v18, v6, 9
	s_delay_alu instid0(VALU_DEP_3) | instskip(SKIP_1) | instid1(VALU_DEP_3)
	v_lshlrev_b32_e32 v13, 31, v13
	v_alignbit_b32 v18, v7, v18, 9
	v_clz_i32_u32_e32 v19, v15
	s_delay_alu instid0(VALU_DEP_2) | instskip(SKIP_1) | instid1(VALU_DEP_3)
	v_or_b32_e32 v18, v18, v13
	v_or_b32_e32 v13, 0x33800000, v13
	v_min_u32_e32 v19, 32, v19
	s_delay_alu instid0(VALU_DEP_3) | instskip(NEXT) | instid1(VALU_DEP_2)
	v_xor_b32_e32 v18, 1.0, v18
	v_sub_nc_u32_e32 v20, 31, v19
	v_add_lshl_u32 v7, v19, v7, 23
	s_delay_alu instid0(VALU_DEP_3) | instskip(NEXT) | instid1(VALU_DEP_3)
	v_mul_f32_e32 v19, 0x3fc90fda, v18
	v_alignbit_b32 v6, v15, v6, v20
	s_delay_alu instid0(VALU_DEP_3) | instskip(NEXT) | instid1(VALU_DEP_3)
	v_sub_nc_u32_e32 v7, v13, v7
	v_fma_f32 v13, 0x3fc90fda, v18, -v19
	s_delay_alu instid0(VALU_DEP_3) | instskip(NEXT) | instid1(VALU_DEP_2)
	v_lshrrev_b32_e32 v6, 9, v6
	v_fmac_f32_e32 v13, 0x33a22168, v18
	s_delay_alu instid0(VALU_DEP_2) | instskip(SKIP_1) | instid1(VALU_DEP_2)
	v_or_b32_e32 v6, v7, v6
	v_add_nc_u32_e32 v7, v17, v0
	v_fmac_f32_e32 v13, 0x3fc90fda, v6
	s_delay_alu instid0(VALU_DEP_1)
	v_add_f32_e32 v6, v19, v13
.LBB352_38:                             ;   in Loop: Header=BB352_13 Depth=3
	s_or_saveexec_b32 s1, s40
	v_mul_f32_e64 v0, 0x3f22f983, |v11|
	s_delay_alu instid0(VALU_DEP_1)
	v_rndne_f32_e32 v0, v0
	s_xor_b32 exec_lo, exec_lo, s1
; %bb.39:                               ;   in Loop: Header=BB352_13 Depth=3
	s_delay_alu instid0(VALU_DEP_1) | instskip(SKIP_1) | instid1(VALU_DEP_2)
	v_fma_f32 v6, 0xbfc90fda, v0, |v11|
	v_cvt_i32_f32_e32 v7, v0
	v_fmac_f32_e32 v6, 0xb3a22168, v0
	s_delay_alu instid0(VALU_DEP_1)
	v_fmac_f32_e32 v6, 0xa7c234c4, v0
; %bb.40:                               ;   in Loop: Header=BB352_13 Depth=3
	s_or_b32 exec_lo, exec_lo, s1
                                        ; implicit-def: $vgpr15
                                        ; implicit-def: $vgpr13
	s_and_saveexec_b32 s1, s39
	s_delay_alu instid0(SALU_CYCLE_1)
	s_xor_b32 s39, exec_lo, s1
	s_cbranch_execz .LBB352_42
; %bb.41:                               ;   in Loop: Header=BB352_13 Depth=3
	v_mad_u64_u32 v[17:18], null, 0xfe5163ab, v14, 0
	v_cmp_lt_u32_e32 vcc_lo, 63, v16
	v_cndmask_b32_e64 v13, 0, 0xffffffc0, vcc_lo
	s_delay_alu instid0(VALU_DEP_1) | instskip(NEXT) | instid1(VALU_DEP_1)
	v_dual_mov_b32 v0, v18 :: v_dual_add_nc_u32 v13, v13, v16
	v_mad_u64_u32 v[18:19], null, 0x3c439041, v14, v[0:1]
	s_delay_alu instid0(VALU_DEP_2) | instskip(NEXT) | instid1(VALU_DEP_2)
	v_cmp_lt_u32_e64 s1, 31, v13
	v_mov_b32_e32 v0, v19
	s_delay_alu instid0(VALU_DEP_1) | instskip(NEXT) | instid1(VALU_DEP_1)
	v_mad_u64_u32 v[19:20], null, 0xdb629599, v14, v[0:1]
	v_mov_b32_e32 v0, v20
	s_delay_alu instid0(VALU_DEP_1) | instskip(NEXT) | instid1(VALU_DEP_1)
	v_mad_u64_u32 v[20:21], null, 0xf534ddc0, v14, v[0:1]
	;; [unrolled: 3-line block ×3, first 2 shown]
	v_mov_b32_e32 v0, v22
	v_cndmask_b32_e64 v22, 0, 0xffffffe0, s1
	s_delay_alu instid0(VALU_DEP_2) | instskip(NEXT) | instid1(VALU_DEP_2)
	v_mad_u64_u32 v[15:16], null, 0x4e441529, v14, v[0:1]
	v_add_nc_u32_e32 v13, v22, v13
	s_delay_alu instid0(VALU_DEP_1) | instskip(NEXT) | instid1(VALU_DEP_3)
	v_cmp_lt_u32_e64 s2, 31, v13
	v_mov_b32_e32 v0, v16
	s_delay_alu instid0(VALU_DEP_1) | instskip(NEXT) | instid1(VALU_DEP_3)
	v_mad_u64_u32 v[22:23], null, 0xa2f9836e, v14, v[0:1]
	v_cndmask_b32_e64 v0, 0, 0xffffffe0, s2
	v_cndmask_b32_e32 v14, v15, v20, vcc_lo
	s_delay_alu instid0(VALU_DEP_2) | instskip(NEXT) | instid1(VALU_DEP_4)
	v_add_nc_u32_e32 v0, v0, v13
	v_dual_cndmask_b32 v16, v22, v21 :: v_dual_cndmask_b32 v15, v23, v15
	v_cndmask_b32_e32 v21, v21, v19, vcc_lo
	v_cndmask_b32_e32 v13, v20, v18, vcc_lo
	s_delay_alu instid0(VALU_DEP_4) | instskip(NEXT) | instid1(VALU_DEP_4)
	v_cmp_eq_u32_e64 s3, 0, v0
	v_cndmask_b32_e64 v18, v16, v14, s1
	v_cndmask_b32_e64 v15, v15, v16, s1
	;; [unrolled: 1-line block ×3, first 2 shown]
	v_sub_nc_u32_e32 v16, 32, v0
	v_cndmask_b32_e64 v20, v21, v13, s1
	s_delay_alu instid0(VALU_DEP_4) | instskip(NEXT) | instid1(VALU_DEP_4)
	v_cndmask_b32_e64 v15, v15, v18, s2
	v_cndmask_b32_e64 v18, v18, v14, s2
	s_delay_alu instid0(VALU_DEP_3) | instskip(NEXT) | instid1(VALU_DEP_2)
	v_cndmask_b32_e64 v14, v14, v20, s2
	v_alignbit_b32 v21, v15, v18, v16
	s_delay_alu instid0(VALU_DEP_2) | instskip(NEXT) | instid1(VALU_DEP_2)
	v_alignbit_b32 v22, v18, v14, v16
	v_cndmask_b32_e64 v0, v21, v15, s3
	v_cndmask_b32_e32 v15, v19, v17, vcc_lo
	s_delay_alu instid0(VALU_DEP_3) | instskip(NEXT) | instid1(VALU_DEP_3)
	v_cndmask_b32_e64 v17, v22, v18, s3
	v_bfe_u32 v18, v0, 29, 1
	s_delay_alu instid0(VALU_DEP_3) | instskip(NEXT) | instid1(VALU_DEP_3)
	v_cndmask_b32_e64 v13, v13, v15, s1
	v_alignbit_b32 v15, v0, v17, 30
	s_delay_alu instid0(VALU_DEP_3) | instskip(NEXT) | instid1(VALU_DEP_3)
	v_sub_nc_u32_e32 v19, 0, v18
	v_cndmask_b32_e64 v13, v20, v13, s2
	s_delay_alu instid0(VALU_DEP_2) | instskip(NEXT) | instid1(VALU_DEP_2)
	v_xor_b32_e32 v20, v15, v19
	v_alignbit_b32 v16, v14, v13, v16
	v_cmp_ne_u32_e32 vcc_lo, v15, v19
	s_delay_alu instid0(VALU_DEP_3) | instskip(NEXT) | instid1(VALU_DEP_3)
	v_clz_i32_u32_e32 v21, v20
	v_cndmask_b32_e64 v14, v16, v14, s3
	s_delay_alu instid0(VALU_DEP_2) | instskip(NEXT) | instid1(VALU_DEP_2)
	v_add_nc_u32_e32 v16, 1, v21
	v_alignbit_b32 v17, v17, v14, 30
	v_alignbit_b32 v13, v14, v13, 30
	s_delay_alu instid0(VALU_DEP_3) | instskip(NEXT) | instid1(VALU_DEP_3)
	v_cndmask_b32_e32 v15, 33, v16, vcc_lo
	v_xor_b32_e32 v14, v17, v19
	s_delay_alu instid0(VALU_DEP_3) | instskip(NEXT) | instid1(VALU_DEP_3)
	v_xor_b32_e32 v13, v13, v19
	v_sub_nc_u32_e32 v16, 32, v15
	s_delay_alu instid0(VALU_DEP_1) | instskip(NEXT) | instid1(VALU_DEP_3)
	v_alignbit_b32 v17, v20, v14, v16
	v_alignbit_b32 v13, v14, v13, v16
	v_lshrrev_b32_e32 v14, 29, v0
	v_lshrrev_b32_e32 v0, 30, v0
	s_delay_alu instid0(VALU_DEP_3) | instskip(NEXT) | instid1(VALU_DEP_3)
	v_alignbit_b32 v16, v17, v13, 9
	v_lshlrev_b32_e32 v14, 31, v14
	v_alignbit_b32 v17, v15, v17, 9
	s_delay_alu instid0(VALU_DEP_3) | instskip(NEXT) | instid1(VALU_DEP_2)
	v_clz_i32_u32_e32 v19, v16
	v_or_b32_e32 v17, v17, v14
	v_or_b32_e32 v14, 0x33800000, v14
	s_delay_alu instid0(VALU_DEP_3) | instskip(NEXT) | instid1(VALU_DEP_3)
	v_min_u32_e32 v19, 32, v19
	v_xor_b32_e32 v17, 1.0, v17
	s_delay_alu instid0(VALU_DEP_2) | instskip(SKIP_1) | instid1(VALU_DEP_3)
	v_sub_nc_u32_e32 v20, 31, v19
	v_add_lshl_u32 v15, v19, v15, 23
	v_mul_f32_e32 v19, 0x3fc90fda, v17
	s_delay_alu instid0(VALU_DEP_3) | instskip(NEXT) | instid1(VALU_DEP_3)
	v_alignbit_b32 v13, v16, v13, v20
	v_sub_nc_u32_e32 v14, v14, v15
	s_delay_alu instid0(VALU_DEP_3) | instskip(NEXT) | instid1(VALU_DEP_3)
	v_fma_f32 v15, 0x3fc90fda, v17, -v19
	v_lshrrev_b32_e32 v13, 9, v13
	s_delay_alu instid0(VALU_DEP_2) | instskip(NEXT) | instid1(VALU_DEP_2)
	v_fmac_f32_e32 v15, 0x33a22168, v17
	v_or_b32_e32 v13, v14, v13
	s_delay_alu instid0(VALU_DEP_1) | instskip(NEXT) | instid1(VALU_DEP_1)
	v_fmac_f32_e32 v15, 0x3fc90fda, v13
	v_add_f32_e32 v13, v19, v15
	v_add_nc_u32_e32 v15, v18, v0
                                        ; implicit-def: $vgpr0
	s_and_not1_saveexec_b32 s1, s39
	s_cbranch_execnz .LBB352_43
	s_branch .LBB352_44
.LBB352_42:                             ;   in Loop: Header=BB352_13 Depth=3
	s_and_not1_saveexec_b32 s1, s39
.LBB352_43:                             ;   in Loop: Header=BB352_13 Depth=3
	v_fma_f32 v13, 0xbfc90fda, v0, |v11|
	v_cvt_i32_f32_e32 v15, v0
	s_delay_alu instid0(VALU_DEP_2) | instskip(NEXT) | instid1(VALU_DEP_1)
	v_fmac_f32_e32 v13, 0xb3a22168, v0
	v_fmac_f32_e32 v13, 0xa7c234c4, v0
.LBB352_44:                             ;   in Loop: Header=BB352_13 Depth=3
	s_or_b32 exec_lo, exec_lo, s1
	v_and_b32_e32 v14, 0x7fffffff, v5
	v_cmp_ngt_f32_e64 s39, 0x48000000, |v5|
                                        ; implicit-def: $vgpr17
                                        ; implicit-def: $vgpr16
	s_delay_alu instid0(VALU_DEP_2) | instskip(SKIP_1) | instid1(VALU_DEP_2)
	v_lshrrev_b32_e32 v0, 23, v14
	v_and_or_b32 v18, v14, s24, 0x800000
	v_add_nc_u32_e32 v19, 0xffffff88, v0
	s_delay_alu instid0(VALU_DEP_4) | instskip(NEXT) | instid1(SALU_CYCLE_1)
	s_and_saveexec_b32 s1, s39
	s_xor_b32 s40, exec_lo, s1
	s_cbranch_execz .LBB352_46
; %bb.45:                               ;   in Loop: Header=BB352_13 Depth=3
	v_mad_u64_u32 v[16:17], null, 0xfe5163ab, v18, 0
	v_cmp_lt_u32_e32 vcc_lo, 63, v19
	s_delay_alu instid0(VALU_DEP_2) | instskip(SKIP_1) | instid1(VALU_DEP_1)
	v_mov_b32_e32 v0, v17
	v_cndmask_b32_e64 v17, 0, 0xffffffc0, vcc_lo
	v_add_nc_u32_e32 v17, v17, v19
	s_delay_alu instid0(VALU_DEP_1) | instskip(NEXT) | instid1(VALU_DEP_1)
	v_cmp_lt_u32_e64 s1, 31, v17
	v_cndmask_b32_e64 v26, 0, 0xffffffe0, s1
	s_delay_alu instid0(VALU_DEP_1) | instskip(SKIP_1) | instid1(VALU_DEP_2)
	v_add_nc_u32_e32 v17, v26, v17
	v_mad_u64_u32 v[20:21], null, 0x3c439041, v18, v[0:1]
	v_cmp_lt_u32_e64 s2, 31, v17
	s_delay_alu instid0(VALU_DEP_2) | instskip(NEXT) | instid1(VALU_DEP_1)
	v_mov_b32_e32 v0, v21
	v_mad_u64_u32 v[21:22], null, 0xdb629599, v18, v[0:1]
	s_delay_alu instid0(VALU_DEP_1) | instskip(NEXT) | instid1(VALU_DEP_2)
	v_mov_b32_e32 v0, v22
	v_cndmask_b32_e32 v16, v21, v16, vcc_lo
	s_delay_alu instid0(VALU_DEP_2) | instskip(NEXT) | instid1(VALU_DEP_1)
	v_mad_u64_u32 v[22:23], null, 0xf534ddc0, v18, v[0:1]
	v_mov_b32_e32 v0, v23
	s_delay_alu instid0(VALU_DEP_1) | instskip(NEXT) | instid1(VALU_DEP_1)
	v_mad_u64_u32 v[23:24], null, 0xfc2757d1, v18, v[0:1]
	v_mov_b32_e32 v0, v24
	s_delay_alu instid0(VALU_DEP_1) | instskip(NEXT) | instid1(VALU_DEP_1)
	v_mad_u64_u32 v[24:25], null, 0x4e441529, v18, v[0:1]
	v_dual_mov_b32 v0, v25 :: v_dual_cndmask_b32 v27, v24, v22
	s_delay_alu instid0(VALU_DEP_1) | instskip(SKIP_1) | instid1(VALU_DEP_1)
	v_mad_u64_u32 v[25:26], null, 0xa2f9836e, v18, v[0:1]
	v_cndmask_b32_e64 v0, 0, 0xffffffe0, s2
	v_dual_cndmask_b32 v25, v25, v23 :: v_dual_add_nc_u32 v0, v0, v17
	s_delay_alu instid0(VALU_DEP_3) | instskip(SKIP_1) | instid1(VALU_DEP_3)
	v_dual_cndmask_b32 v24, v26, v24 :: v_dual_cndmask_b32 v23, v23, v21
	v_cndmask_b32_e32 v17, v22, v20, vcc_lo
	v_cmp_eq_u32_e64 s3, 0, v0
	s_delay_alu instid0(VALU_DEP_4) | instskip(NEXT) | instid1(VALU_DEP_4)
	v_cndmask_b32_e64 v20, v25, v27, s1
	v_cndmask_b32_e64 v22, v24, v25, s1
	;; [unrolled: 1-line block ×3, first 2 shown]
	v_sub_nc_u32_e32 v25, 32, v0
	v_cndmask_b32_e64 v23, v23, v17, s1
	v_cndmask_b32_e64 v16, v17, v16, s1
	;; [unrolled: 1-line block ×4, first 2 shown]
	s_delay_alu instid0(VALU_DEP_4) | instskip(NEXT) | instid1(VALU_DEP_4)
	v_cndmask_b32_e64 v24, v24, v23, s2
	v_cndmask_b32_e64 v16, v23, v16, s2
	s_delay_alu instid0(VALU_DEP_3) | instskip(NEXT) | instid1(VALU_DEP_3)
	v_alignbit_b32 v26, v22, v20, v25
	v_alignbit_b32 v27, v20, v24, v25
	s_delay_alu instid0(VALU_DEP_3) | instskip(NEXT) | instid1(VALU_DEP_3)
	v_alignbit_b32 v25, v24, v16, v25
	v_cndmask_b32_e64 v0, v26, v22, s3
	s_delay_alu instid0(VALU_DEP_3) | instskip(NEXT) | instid1(VALU_DEP_3)
	v_cndmask_b32_e64 v20, v27, v20, s3
	v_cndmask_b32_e64 v24, v25, v24, s3
	s_delay_alu instid0(VALU_DEP_3) | instskip(NEXT) | instid1(VALU_DEP_3)
	v_bfe_u32 v21, v0, 29, 1
	v_alignbit_b32 v17, v0, v20, 30
	s_delay_alu instid0(VALU_DEP_3) | instskip(SKIP_1) | instid1(VALU_DEP_4)
	v_alignbit_b32 v20, v20, v24, 30
	v_alignbit_b32 v16, v24, v16, 30
	v_sub_nc_u32_e32 v22, 0, v21
	s_delay_alu instid0(VALU_DEP_1) | instskip(SKIP_3) | instid1(VALU_DEP_4)
	v_xor_b32_e32 v23, v17, v22
	v_cmp_ne_u32_e32 vcc_lo, v17, v22
	v_xor_b32_e32 v20, v20, v22
	v_xor_b32_e32 v16, v16, v22
	v_clz_i32_u32_e32 v26, v23
	s_delay_alu instid0(VALU_DEP_1) | instskip(NEXT) | instid1(VALU_DEP_1)
	v_add_nc_u32_e32 v25, 1, v26
	v_cndmask_b32_e32 v17, 33, v25, vcc_lo
	s_delay_alu instid0(VALU_DEP_1) | instskip(NEXT) | instid1(VALU_DEP_1)
	v_sub_nc_u32_e32 v24, 32, v17
	v_alignbit_b32 v22, v23, v20, v24
	v_alignbit_b32 v16, v20, v16, v24
	v_lshrrev_b32_e32 v20, 29, v0
	v_lshrrev_b32_e32 v0, 30, v0
	s_delay_alu instid0(VALU_DEP_3) | instskip(NEXT) | instid1(VALU_DEP_3)
	v_alignbit_b32 v23, v22, v16, 9
	v_lshlrev_b32_e32 v20, 31, v20
	v_alignbit_b32 v22, v17, v22, 9
	s_delay_alu instid0(VALU_DEP_3) | instskip(NEXT) | instid1(VALU_DEP_2)
	v_clz_i32_u32_e32 v24, v23
	v_or_b32_e32 v22, v22, v20
	v_or_b32_e32 v20, 0x33800000, v20
	s_delay_alu instid0(VALU_DEP_3) | instskip(NEXT) | instid1(VALU_DEP_3)
	v_min_u32_e32 v24, 32, v24
	v_xor_b32_e32 v22, 1.0, v22
	s_delay_alu instid0(VALU_DEP_2) | instskip(SKIP_1) | instid1(VALU_DEP_3)
	v_sub_nc_u32_e32 v25, 31, v24
	v_add_lshl_u32 v17, v24, v17, 23
	v_mul_f32_e32 v24, 0x3fc90fda, v22
	s_delay_alu instid0(VALU_DEP_3) | instskip(NEXT) | instid1(VALU_DEP_3)
	v_alignbit_b32 v16, v23, v16, v25
	v_sub_nc_u32_e32 v17, v20, v17
	s_delay_alu instid0(VALU_DEP_2) | instskip(NEXT) | instid1(VALU_DEP_1)
	v_lshrrev_b32_e32 v16, 9, v16
	v_or_b32_e32 v16, v17, v16
	v_add_nc_u32_e32 v17, v21, v0
	v_fma_f32 v20, 0x3fc90fda, v22, -v24
	s_delay_alu instid0(VALU_DEP_1) | instskip(NEXT) | instid1(VALU_DEP_1)
	v_fmac_f32_e32 v20, 0x33a22168, v22
	v_fmac_f32_e32 v20, 0x3fc90fda, v16
	s_delay_alu instid0(VALU_DEP_1)
	v_add_f32_e32 v16, v24, v20
.LBB352_46:                             ;   in Loop: Header=BB352_13 Depth=3
	s_or_saveexec_b32 s1, s40
	v_mul_f32_e64 v0, 0x3f22f983, |v5|
	s_delay_alu instid0(VALU_DEP_1)
	v_rndne_f32_e32 v21, v0
	s_xor_b32 exec_lo, exec_lo, s1
; %bb.47:                               ;   in Loop: Header=BB352_13 Depth=3
	s_delay_alu instid0(VALU_DEP_1) | instskip(SKIP_1) | instid1(VALU_DEP_2)
	v_fma_f32 v16, 0xbfc90fda, v21, |v5|
	v_cvt_i32_f32_e32 v17, v21
	v_fmac_f32_e32 v16, 0xb3a22168, v21
	s_delay_alu instid0(VALU_DEP_1)
	v_fmac_f32_e32 v16, 0xa7c234c4, v21
; %bb.48:                               ;   in Loop: Header=BB352_13 Depth=3
	s_or_b32 exec_lo, exec_lo, s1
                                        ; implicit-def: $vgpr20
                                        ; implicit-def: $vgpr0
	s_and_saveexec_b32 s1, s39
	s_delay_alu instid0(SALU_CYCLE_1)
	s_xor_b32 s39, exec_lo, s1
	s_cbranch_execz .LBB352_50
; %bb.49:                               ;   in Loop: Header=BB352_13 Depth=3
	v_mad_u64_u32 v[20:21], null, 0xfe5163ab, v18, 0
	v_cmp_lt_u32_e32 vcc_lo, 63, v19
	v_cndmask_b32_e64 v26, 0, 0xffffffc0, vcc_lo
	s_delay_alu instid0(VALU_DEP_1) | instskip(NEXT) | instid1(VALU_DEP_1)
	v_dual_mov_b32 v0, v21 :: v_dual_add_nc_u32 v19, v26, v19
	v_mad_u64_u32 v[21:22], null, 0x3c439041, v18, v[0:1]
	s_delay_alu instid0(VALU_DEP_2) | instskip(NEXT) | instid1(VALU_DEP_1)
	v_cmp_lt_u32_e64 s1, 31, v19
	v_cndmask_b32_e64 v27, 0, 0xffffffe0, s1
	s_delay_alu instid0(VALU_DEP_1) | instskip(NEXT) | instid1(VALU_DEP_1)
	v_dual_mov_b32 v0, v22 :: v_dual_add_nc_u32 v19, v27, v19
	v_mad_u64_u32 v[22:23], null, 0xdb629599, v18, v[0:1]
	s_delay_alu instid0(VALU_DEP_2) | instskip(NEXT) | instid1(VALU_DEP_2)
	v_cmp_lt_u32_e64 s2, 31, v19
	v_mov_b32_e32 v0, v23
	s_delay_alu instid0(VALU_DEP_3) | instskip(NEXT) | instid1(VALU_DEP_2)
	v_cndmask_b32_e32 v20, v22, v20, vcc_lo
	v_mad_u64_u32 v[23:24], null, 0xf534ddc0, v18, v[0:1]
	s_delay_alu instid0(VALU_DEP_1) | instskip(NEXT) | instid1(VALU_DEP_1)
	v_mov_b32_e32 v0, v24
	v_mad_u64_u32 v[24:25], null, 0xfc2757d1, v18, v[0:1]
	s_delay_alu instid0(VALU_DEP_1) | instskip(NEXT) | instid1(VALU_DEP_1)
	v_mov_b32_e32 v0, v25
	v_mad_u64_u32 v[25:26], null, 0x4e441529, v18, v[0:1]
	s_delay_alu instid0(VALU_DEP_1) | instskip(NEXT) | instid1(VALU_DEP_1)
	v_mov_b32_e32 v0, v26
	v_mad_u64_u32 v[26:27], null, 0xa2f9836e, v18, v[0:1]
	v_cndmask_b32_e64 v0, 0, 0xffffffe0, s2
	s_delay_alu instid0(VALU_DEP_4) | instskip(NEXT) | instid1(VALU_DEP_2)
	v_cndmask_b32_e32 v18, v25, v23, vcc_lo
	v_add_nc_u32_e32 v0, v0, v19
	s_delay_alu instid0(VALU_DEP_4) | instskip(SKIP_1) | instid1(VALU_DEP_3)
	v_dual_cndmask_b32 v26, v26, v24 :: v_dual_cndmask_b32 v25, v27, v25
	v_dual_cndmask_b32 v24, v24, v22 :: v_dual_cndmask_b32 v19, v23, v21
	v_cmp_eq_u32_e64 s3, 0, v0
	s_delay_alu instid0(VALU_DEP_3) | instskip(NEXT) | instid1(VALU_DEP_4)
	v_cndmask_b32_e64 v21, v26, v18, s1
	v_cndmask_b32_e64 v23, v25, v26, s1
	s_delay_alu instid0(VALU_DEP_4)
	v_cndmask_b32_e64 v18, v18, v24, s1
	v_sub_nc_u32_e32 v25, 32, v0
	v_cndmask_b32_e64 v24, v24, v19, s1
	v_cndmask_b32_e64 v19, v19, v20, s1
	;; [unrolled: 1-line block ×4, first 2 shown]
	s_delay_alu instid0(VALU_DEP_4) | instskip(NEXT) | instid1(VALU_DEP_4)
	v_cndmask_b32_e64 v18, v18, v24, s2
	v_cndmask_b32_e64 v19, v24, v19, s2
	s_delay_alu instid0(VALU_DEP_3) | instskip(NEXT) | instid1(VALU_DEP_3)
	v_alignbit_b32 v26, v23, v21, v25
	v_alignbit_b32 v27, v21, v18, v25
	s_delay_alu instid0(VALU_DEP_3) | instskip(NEXT) | instid1(VALU_DEP_3)
	v_alignbit_b32 v25, v18, v19, v25
	v_cndmask_b32_e64 v0, v26, v23, s3
	s_delay_alu instid0(VALU_DEP_3) | instskip(NEXT) | instid1(VALU_DEP_3)
	v_cndmask_b32_e64 v21, v27, v21, s3
	v_cndmask_b32_e64 v18, v25, v18, s3
	s_delay_alu instid0(VALU_DEP_3) | instskip(NEXT) | instid1(VALU_DEP_3)
	v_bfe_u32 v22, v0, 29, 1
	v_alignbit_b32 v20, v0, v21, 30
	s_delay_alu instid0(VALU_DEP_3) | instskip(SKIP_1) | instid1(VALU_DEP_4)
	v_alignbit_b32 v21, v21, v18, 30
	v_alignbit_b32 v18, v18, v19, 30
	v_sub_nc_u32_e32 v23, 0, v22
	s_delay_alu instid0(VALU_DEP_1) | instskip(SKIP_3) | instid1(VALU_DEP_4)
	v_xor_b32_e32 v24, v20, v23
	v_cmp_ne_u32_e32 vcc_lo, v20, v23
	v_xor_b32_e32 v19, v21, v23
	v_xor_b32_e32 v18, v18, v23
	v_clz_i32_u32_e32 v26, v24
	s_delay_alu instid0(VALU_DEP_1) | instskip(NEXT) | instid1(VALU_DEP_1)
	v_add_nc_u32_e32 v25, 1, v26
	v_cndmask_b32_e32 v20, 33, v25, vcc_lo
	s_delay_alu instid0(VALU_DEP_1) | instskip(NEXT) | instid1(VALU_DEP_1)
	v_sub_nc_u32_e32 v21, 32, v20
	v_alignbit_b32 v23, v24, v19, v21
	v_alignbit_b32 v18, v19, v18, v21
	v_lshrrev_b32_e32 v19, 29, v0
	s_delay_alu instid0(VALU_DEP_2) | instskip(NEXT) | instid1(VALU_DEP_2)
	v_alignbit_b32 v21, v23, v18, 9
	v_lshlrev_b32_e32 v19, 31, v19
	v_alignbit_b32 v23, v20, v23, 9
	s_delay_alu instid0(VALU_DEP_3) | instskip(NEXT) | instid1(VALU_DEP_2)
	v_clz_i32_u32_e32 v24, v21
	v_or_b32_e32 v23, v23, v19
	v_or_b32_e32 v19, 0x33800000, v19
	s_delay_alu instid0(VALU_DEP_3) | instskip(NEXT) | instid1(VALU_DEP_3)
	v_min_u32_e32 v24, 32, v24
	v_xor_b32_e32 v23, 1.0, v23
	s_delay_alu instid0(VALU_DEP_2) | instskip(SKIP_1) | instid1(VALU_DEP_3)
	v_sub_nc_u32_e32 v25, 31, v24
	v_add_lshl_u32 v20, v24, v20, 23
	v_mul_f32_e32 v24, 0x3fc90fda, v23
	s_delay_alu instid0(VALU_DEP_3) | instskip(NEXT) | instid1(VALU_DEP_3)
	v_alignbit_b32 v18, v21, v18, v25
	v_sub_nc_u32_e32 v19, v19, v20
	s_delay_alu instid0(VALU_DEP_3) | instskip(NEXT) | instid1(VALU_DEP_3)
	v_fma_f32 v20, 0x3fc90fda, v23, -v24
                                        ; implicit-def: $vgpr21
	v_lshrrev_b32_e32 v18, 9, v18
	s_delay_alu instid0(VALU_DEP_2) | instskip(NEXT) | instid1(VALU_DEP_2)
	v_fmac_f32_e32 v20, 0x33a22168, v23
	v_or_b32_e32 v18, v19, v18
	s_delay_alu instid0(VALU_DEP_1) | instskip(SKIP_1) | instid1(VALU_DEP_2)
	v_fmac_f32_e32 v20, 0x3fc90fda, v18
	v_lshrrev_b32_e32 v18, 30, v0
	v_add_f32_e32 v0, v24, v20
	s_delay_alu instid0(VALU_DEP_2)
	v_add_nc_u32_e32 v20, v22, v18
	s_and_not1_saveexec_b32 s1, s39
	s_cbranch_execnz .LBB352_51
	s_branch .LBB352_52
.LBB352_50:                             ;   in Loop: Header=BB352_13 Depth=3
	s_and_not1_saveexec_b32 s1, s39
.LBB352_51:                             ;   in Loop: Header=BB352_13 Depth=3
	v_fma_f32 v0, 0xbfc90fda, v21, |v5|
	v_cvt_i32_f32_e32 v20, v21
	s_delay_alu instid0(VALU_DEP_2) | instskip(NEXT) | instid1(VALU_DEP_1)
	v_fmac_f32_e32 v0, 0xb3a22168, v21
	v_fmac_f32_e32 v0, 0xa7c234c4, v21
.LBB352_52:                             ;   in Loop: Header=BB352_13 Depth=3
	s_or_b32 exec_lo, exec_lo, s1
	v_dual_mul_f32 v18, v6, v6 :: v_dual_lshlrev_b32 v19, 30, v7
	v_mul_f32_e32 v21, v13, v13
	v_xor_b32_e32 v4, v4, v12
	v_xor_b32_e32 v14, v14, v5
	s_delay_alu instid0(VALU_DEP_4) | instskip(NEXT) | instid1(VALU_DEP_4)
	v_fmaak_f32 v22, s26, v18, 0x3c0881c4
	v_dual_fmaak_f32 v23, s25, v18, 0xbab64f3b :: v_dual_fmaak_f32 v24, s25, v21, 0xbab64f3b
	v_dual_fmaak_f32 v12, s26, v21, 0x3c0881c4 :: v_dual_and_b32 v7, 1, v7
	s_delay_alu instid0(VALU_DEP_3) | instskip(NEXT) | instid1(VALU_DEP_3)
	v_dual_fmaak_f32 v22, v18, v22, 0xbe2aaa9d :: v_dual_and_b32 v25, 1, v15
	v_dual_fmaak_f32 v23, v18, v23, 0x3d2aabf7 :: v_dual_fmaak_f32 v24, v21, v24, 0x3d2aabf7
	s_delay_alu instid0(VALU_DEP_3) | instskip(NEXT) | instid1(VALU_DEP_3)
	v_dual_fmaak_f32 v12, v21, v12, 0xbe2aaa9d :: v_dual_lshlrev_b32 v15, 30, v15
	v_dual_mul_f32 v22, v18, v22 :: v_dual_and_b32 v19, 0x80000000, v19
	s_delay_alu instid0(VALU_DEP_2) | instskip(SKIP_1) | instid1(VALU_DEP_3)
	v_dual_fmaak_f32 v23, v18, v23, 0xbf000004 :: v_dual_mul_f32 v12, v21, v12
	v_cmp_eq_u32_e32 vcc_lo, 0, v7
	v_fmac_f32_e32 v6, v6, v22
	v_cmp_class_f32_e64 s1, v5, 0x1f8
	s_delay_alu instid0(VALU_DEP_4)
	v_fma_f32 v18, v18, v23, 1.0
	v_fmac_f32_e32 v13, v13, v12
	v_mul_f32_e32 v7, v16, v16
	v_fmaak_f32 v24, v21, v24, 0xbf000004
	v_lshlrev_b32_e32 v22, 30, v17
	v_cndmask_b32_e32 v6, v18, v6, vcc_lo
	v_mul_f32_e32 v18, v0, v0
	v_cmp_eq_u32_e32 vcc_lo, 0, v25
	v_fma_f32 v12, v21, v24, 1.0
	s_delay_alu instid0(VALU_DEP_4) | instskip(SKIP_1) | instid1(VALU_DEP_3)
	v_xor3_b32 v4, v4, v19, v6
	v_and_b32_e32 v17, 1, v17
	v_cndmask_b32_e64 v12, -v13, v12, vcc_lo
	v_fmaak_f32 v13, s26, v7, 0x3c0881c4
	v_fmaak_f32 v19, s26, v18, 0x3c0881c4
	s_delay_alu instid0(VALU_DEP_4) | instskip(NEXT) | instid1(VALU_DEP_2)
	v_cmp_eq_u32_e32 vcc_lo, 0, v17
	v_fmaak_f32 v19, v18, v19, 0xbe2aaa9d
	s_delay_alu instid0(VALU_DEP_1) | instskip(NEXT) | instid1(VALU_DEP_1)
	v_dual_mul_f32 v19, v18, v19 :: v_dual_and_b32 v22, 0x80000000, v22
	v_dual_fmaak_f32 v13, v7, v13, 0xbe2aaa9d :: v_dual_fmac_f32 v0, v0, v19
	s_delay_alu instid0(VALU_DEP_1) | instskip(NEXT) | instid1(VALU_DEP_1)
	v_mul_f32_e32 v13, v7, v13
	v_dual_fmaak_f32 v21, s25, v18, 0xbab64f3b :: v_dual_fmac_f32 v16, v16, v13
	s_delay_alu instid0(VALU_DEP_1) | instskip(SKIP_2) | instid1(VALU_DEP_3)
	v_fmaak_f32 v21, v18, v21, 0x3d2aabf7
	v_and_b32_e32 v6, 0x80000000, v15
	v_fmaak_f32 v15, s25, v7, 0xbab64f3b
	v_fmaak_f32 v21, v18, v21, 0xbf000004
	s_delay_alu instid0(VALU_DEP_1) | instskip(NEXT) | instid1(VALU_DEP_3)
	v_fma_f32 v13, v18, v21, 1.0
	v_dual_fmaak_f32 v15, v7, v15, 0x3d2aabf7 :: v_dual_lshlrev_b32 v18, 30, v20
	s_delay_alu instid0(VALU_DEP_1) | instskip(NEXT) | instid1(VALU_DEP_1)
	v_fmaak_f32 v15, v7, v15, 0xbf000004
	v_fma_f32 v7, v7, v15, 1.0
	v_and_b32_e32 v15, 1, v20
	s_delay_alu instid0(VALU_DEP_2) | instskip(NEXT) | instid1(VALU_DEP_2)
	v_cndmask_b32_e32 v7, v7, v16, vcc_lo
	v_cmp_eq_u32_e32 vcc_lo, 0, v15
	v_xor_b32_e32 v6, v6, v12
	s_delay_alu instid0(VALU_DEP_3) | instskip(SKIP_3) | instid1(VALU_DEP_2)
	v_xor3_b32 v7, v14, v22, v7
	v_cndmask_b32_e64 v0, -v0, v13, vcc_lo
	v_and_b32_e32 v13, 0x80000000, v18
	v_cmp_class_f32_e64 vcc_lo, v11, 0x1f8
	v_xor_b32_e32 v0, v13, v0
	v_cndmask_b32_e32 v5, 0x7fc00000, v6, vcc_lo
	v_cndmask_b32_e32 v4, 0x7fc00000, v4, vcc_lo
	v_cndmask_b32_e64 v6, 0x7fc00000, v7, s1
	s_delay_alu instid0(VALU_DEP_4) | instskip(NEXT) | instid1(VALU_DEP_4)
	v_cndmask_b32_e64 v0, 0x7fc00000, v0, s1
	v_mul_f32_e32 v7, 0x7f800000, v5
	v_cmp_neq_f32_e32 vcc_lo, 0, v5
	s_delay_alu instid0(VALU_DEP_3) | instskip(NEXT) | instid1(VALU_DEP_3)
	v_dual_mul_f32 v12, 0x7f800000, v6 :: v_dual_mul_f32 v11, 0x7f800000, v0
	v_cndmask_b32_e32 v5, 0, v7, vcc_lo
	v_cmp_neq_f32_e32 vcc_lo, 0, v0
	s_delay_alu instid0(VALU_DEP_3) | instskip(SKIP_1) | instid1(VALU_DEP_2)
	v_dual_mul_f32 v7, 0x7f800000, v4 :: v_dual_cndmask_b32 v0, 0, v11
	v_cmp_neq_f32_e32 vcc_lo, 0, v4
	v_dual_add_f32 v5, v5, v0 :: v_dual_cndmask_b32 v4, 0, v7
	v_cmp_neq_f32_e32 vcc_lo, 0, v6
	s_delay_alu instid0(VALU_DEP_2) | instskip(NEXT) | instid1(VALU_DEP_1)
	v_dual_add_f32 v13, -1.0, v5 :: v_dual_cndmask_b32 v6, 0, v12
	v_add_f32_e32 v0, v4, v6
	s_delay_alu instid0(VALU_DEP_1) | instskip(NEXT) | instid1(VALU_DEP_1)
	v_max_f32_e64 v6, |v13|, |v0|
	v_cvt_f64_f32_e32 v[4:5], v6
	v_cmp_eq_f32_e32 vcc_lo, 0x7f800000, v6
	s_delay_alu instid0(VALU_DEP_2) | instskip(NEXT) | instid1(VALU_DEP_1)
	v_frexp_exp_i32_f64_e32 v4, v[4:5]
	v_sub_nc_u32_e32 v5, 0, v4
	s_delay_alu instid0(VALU_DEP_1) | instskip(SKIP_1) | instid1(VALU_DEP_2)
	v_ldexp_f32 v7, |v0|, v5
	v_ldexp_f32 v5, |v13|, v5
	v_mul_f32_e32 v7, v7, v7
	s_delay_alu instid0(VALU_DEP_1) | instskip(NEXT) | instid1(VALU_DEP_1)
	v_fmac_f32_e32 v7, v5, v5
	v_sqrt_f32_e32 v5, v7
	s_waitcnt_depctr 0xfff
	v_ldexp_f32 v5, v5, v4
	v_add_f32_e32 v4, 1.0, v13
	s_delay_alu instid0(VALU_DEP_2) | instskip(NEXT) | instid1(VALU_DEP_2)
	v_cmp_ngt_f32_e64 s1, 0.5, v5
	v_max_f32_e64 v5, |v4|, |v0|
	s_delay_alu instid0(VALU_DEP_2) | instskip(NEXT) | instid1(SALU_CYCLE_1)
	s_or_b32 s1, vcc_lo, s1
	s_and_saveexec_b32 s2, s1
	s_delay_alu instid0(SALU_CYCLE_1)
	s_xor_b32 s2, exec_lo, s2
	s_cbranch_execz .LBB352_54
; %bb.53:                               ;   in Loop: Header=BB352_13 Depth=3
	v_cvt_f64_f32_e32 v[6:7], v5
	v_cmp_neq_f32_e32 vcc_lo, 0x7f800000, v5
	s_delay_alu instid0(VALU_DEP_2) | instskip(NEXT) | instid1(VALU_DEP_1)
	v_frexp_exp_i32_f64_e32 v6, v[6:7]
	v_sub_nc_u32_e32 v7, 0, v6
	s_delay_alu instid0(VALU_DEP_1) | instskip(SKIP_1) | instid1(VALU_DEP_2)
	v_ldexp_f32 v11, |v0|, v7
	v_ldexp_f32 v7, |v4|, v7
	v_mul_f32_e32 v11, v11, v11
	s_delay_alu instid0(VALU_DEP_1) | instskip(NEXT) | instid1(VALU_DEP_1)
	v_fmac_f32_e32 v11, v7, v7
	v_sqrt_f32_e32 v7, v11
	s_waitcnt_depctr 0xfff
	v_ldexp_f32 v6, v7, v6
	s_delay_alu instid0(VALU_DEP_1) | instskip(NEXT) | instid1(VALU_DEP_1)
	v_cndmask_b32_e32 v6, 0x7f800000, v6, vcc_lo
	v_cmp_gt_f32_e32 vcc_lo, 0x800000, v6
	v_cndmask_b32_e64 v7, 1.0, 0x4f800000, vcc_lo
	s_delay_alu instid0(VALU_DEP_1) | instskip(NEXT) | instid1(VALU_DEP_1)
	v_mul_f32_e32 v6, v6, v7
	v_log_f32_e32 v6, v6
	s_waitcnt_depctr 0xfff
	v_mul_f32_e32 v7, 0x3f317217, v6
	v_cmp_gt_f32_e64 s1, 0x7f800000, |v6|
	s_delay_alu instid0(VALU_DEP_2) | instskip(NEXT) | instid1(VALU_DEP_1)
	v_fma_f32 v11, 0x3f317217, v6, -v7
	v_fmac_f32_e32 v11, 0x3377d1cf, v6
	s_delay_alu instid0(VALU_DEP_1) | instskip(NEXT) | instid1(VALU_DEP_1)
	v_add_f32_e32 v7, v7, v11
	v_cndmask_b32_e64 v6, v6, v7, s1
	v_cndmask_b32_e64 v7, 0, 0x41b17218, vcc_lo
	s_delay_alu instid0(VALU_DEP_1)
	v_sub_f32_e32 v13, v6, v7
.LBB352_54:                             ;   in Loop: Header=BB352_13 Depth=3
	s_and_not1_saveexec_b32 s1, s2
	s_cbranch_execz .LBB352_9
; %bb.55:                               ;   in Loop: Header=BB352_13 Depth=3
	s_delay_alu instid0(VALU_DEP_1) | instskip(SKIP_1) | instid1(VALU_DEP_1)
	v_add_f32_e32 v6, 2.0, v13
	s_mov_b32 s2, exec_lo
	v_mul_f32_e32 v6, v13, v6
	s_delay_alu instid0(VALU_DEP_1) | instskip(NEXT) | instid1(VALU_DEP_1)
	v_fmac_f32_e32 v6, v0, v0
	v_cmpx_neq_f32_e32 0, v6
	s_cbranch_execz .LBB352_8
; %bb.56:                               ;   in Loop: Header=BB352_13 Depth=3
	v_add_f32_e32 v7, 1.0, v6
	s_delay_alu instid0(VALU_DEP_1) | instskip(NEXT) | instid1(VALU_DEP_1)
	v_cvt_f64_f32_e32 v[11:12], v7
	v_frexp_exp_i32_f64_e32 v11, v[11:12]
	v_frexp_mant_f32_e32 v12, v7
	s_delay_alu instid0(VALU_DEP_1) | instskip(SKIP_1) | instid1(VALU_DEP_1)
	v_cmp_gt_f32_e32 vcc_lo, 0x3f2aaaab, v12
	v_add_f32_e32 v12, -1.0, v7
	v_sub_f32_e32 v14, v12, v7
	v_sub_f32_e32 v12, v6, v12
	v_subrev_co_ci_u32_e32 v11, vcc_lo, 0, v11, vcc_lo
	v_cmp_eq_f32_e32 vcc_lo, 0x7f800000, v6
	s_delay_alu instid0(VALU_DEP_2) | instskip(SKIP_1) | instid1(VALU_DEP_2)
	v_sub_nc_u32_e32 v13, 0, v11
	v_cvt_f32_i32_e32 v11, v11
	v_ldexp_f32 v7, v7, v13
	s_delay_alu instid0(VALU_DEP_1) | instskip(NEXT) | instid1(VALU_DEP_1)
	v_dual_add_f32 v14, 1.0, v14 :: v_dual_add_f32 v15, 1.0, v7
	v_add_f32_e32 v12, v12, v14
	s_delay_alu instid0(VALU_DEP_2) | instskip(NEXT) | instid1(VALU_DEP_2)
	v_add_f32_e32 v14, -1.0, v15
	v_ldexp_f32 v12, v12, v13
	s_delay_alu instid0(VALU_DEP_2) | instskip(NEXT) | instid1(VALU_DEP_1)
	v_dual_add_f32 v13, -1.0, v7 :: v_dual_sub_f32 v14, v7, v14
	v_add_f32_e32 v16, 1.0, v13
	s_delay_alu instid0(VALU_DEP_1) | instskip(NEXT) | instid1(VALU_DEP_1)
	v_sub_f32_e32 v7, v7, v16
	v_add_f32_e32 v7, v12, v7
	s_delay_alu instid0(VALU_DEP_1) | instskip(NEXT) | instid1(VALU_DEP_1)
	v_dual_add_f32 v17, v13, v7 :: v_dual_add_f32 v14, v12, v14
	v_dual_sub_f32 v13, v17, v13 :: v_dual_add_f32 v16, v15, v14
	s_delay_alu instid0(VALU_DEP_1) | instskip(NEXT) | instid1(VALU_DEP_2)
	v_sub_f32_e32 v7, v7, v13
	v_rcp_f32_e32 v12, v16
	v_sub_f32_e32 v15, v16, v15
	s_delay_alu instid0(VALU_DEP_1) | instskip(SKIP_2) | instid1(VALU_DEP_1)
	v_sub_f32_e32 v14, v14, v15
	s_waitcnt_depctr 0xfff
	v_mul_f32_e32 v18, v17, v12
	v_mul_f32_e32 v19, v16, v18
	s_delay_alu instid0(VALU_DEP_1) | instskip(NEXT) | instid1(VALU_DEP_1)
	v_fma_f32 v15, v18, v16, -v19
	v_fmac_f32_e32 v15, v18, v14
	s_delay_alu instid0(VALU_DEP_1) | instskip(NEXT) | instid1(VALU_DEP_1)
	v_add_f32_e32 v20, v19, v15
	v_sub_f32_e32 v21, v17, v20
	v_sub_f32_e32 v13, v20, v19
	s_delay_alu instid0(VALU_DEP_2) | instskip(NEXT) | instid1(VALU_DEP_2)
	v_sub_f32_e32 v17, v17, v21
	v_sub_f32_e32 v13, v13, v15
	s_delay_alu instid0(VALU_DEP_2) | instskip(NEXT) | instid1(VALU_DEP_1)
	v_sub_f32_e32 v17, v17, v20
	v_add_f32_e32 v7, v7, v17
	s_delay_alu instid0(VALU_DEP_1) | instskip(NEXT) | instid1(VALU_DEP_1)
	v_add_f32_e32 v7, v13, v7
	v_add_f32_e32 v13, v21, v7
	s_delay_alu instid0(VALU_DEP_1) | instskip(NEXT) | instid1(VALU_DEP_1)
	v_mul_f32_e32 v15, v12, v13
	v_dual_sub_f32 v20, v21, v13 :: v_dual_mul_f32 v17, v16, v15
	s_delay_alu instid0(VALU_DEP_1) | instskip(NEXT) | instid1(VALU_DEP_2)
	v_add_f32_e32 v7, v7, v20
	v_fma_f32 v16, v15, v16, -v17
	s_delay_alu instid0(VALU_DEP_1) | instskip(NEXT) | instid1(VALU_DEP_1)
	v_fmac_f32_e32 v16, v15, v14
	v_add_f32_e32 v14, v17, v16
	s_delay_alu instid0(VALU_DEP_1) | instskip(NEXT) | instid1(VALU_DEP_1)
	v_sub_f32_e32 v19, v13, v14
	v_sub_f32_e32 v13, v13, v19
	s_delay_alu instid0(VALU_DEP_1) | instskip(NEXT) | instid1(VALU_DEP_1)
	v_sub_f32_e32 v13, v13, v14
	v_add_f32_e32 v7, v7, v13
	v_add_f32_e32 v13, v18, v15
	v_sub_f32_e32 v17, v14, v17
	s_delay_alu instid0(VALU_DEP_1) | instskip(NEXT) | instid1(VALU_DEP_1)
	v_sub_f32_e32 v14, v17, v16
	v_dual_add_f32 v7, v14, v7 :: v_dual_sub_f32 v14, v13, v18
	s_delay_alu instid0(VALU_DEP_1) | instskip(NEXT) | instid1(VALU_DEP_1)
	v_add_f32_e32 v7, v19, v7
	v_dual_sub_f32 v14, v15, v14 :: v_dual_mul_f32 v7, v12, v7
	s_delay_alu instid0(VALU_DEP_1) | instskip(NEXT) | instid1(VALU_DEP_1)
	v_add_f32_e32 v7, v14, v7
	v_add_f32_e32 v12, v13, v7
	s_delay_alu instid0(VALU_DEP_1) | instskip(NEXT) | instid1(VALU_DEP_1)
	v_mul_f32_e32 v14, v12, v12
	v_fmaak_f32 v15, s29, v14, 0x3ecc95a3
	v_mul_f32_e32 v16, v12, v14
	s_delay_alu instid0(VALU_DEP_2) | instskip(SKIP_2) | instid1(VALU_DEP_3)
	v_fmaak_f32 v14, v14, v15, 0x3f2aaada
	v_ldexp_f32 v15, v12, 1
	v_sub_f32_e32 v12, v12, v13
	v_mul_f32_e32 v14, v16, v14
	s_delay_alu instid0(VALU_DEP_2) | instskip(NEXT) | instid1(VALU_DEP_2)
	v_dual_mul_f32 v16, 0x3f317218, v11 :: v_dual_sub_f32 v7, v7, v12
	v_add_f32_e32 v13, v15, v14
	s_delay_alu instid0(VALU_DEP_2) | instskip(NEXT) | instid1(VALU_DEP_2)
	v_ldexp_f32 v7, v7, 1
	v_sub_f32_e32 v12, v13, v15
	s_delay_alu instid0(VALU_DEP_4) | instskip(NEXT) | instid1(VALU_DEP_1)
	v_fma_f32 v15, 0x3f317218, v11, -v16
	v_dual_sub_f32 v12, v14, v12 :: v_dual_fmac_f32 v15, 0xb102e308, v11
	s_delay_alu instid0(VALU_DEP_1) | instskip(NEXT) | instid1(VALU_DEP_2)
	v_add_f32_e32 v7, v7, v12
	v_add_f32_e32 v11, v16, v15
	s_delay_alu instid0(VALU_DEP_2) | instskip(NEXT) | instid1(VALU_DEP_2)
	v_add_f32_e32 v12, v13, v7
	v_sub_f32_e32 v16, v11, v16
	s_delay_alu instid0(VALU_DEP_2) | instskip(NEXT) | instid1(VALU_DEP_2)
	v_dual_add_f32 v14, v11, v12 :: v_dual_sub_f32 v13, v12, v13
	v_sub_f32_e32 v15, v15, v16
	s_delay_alu instid0(VALU_DEP_2) | instskip(NEXT) | instid1(VALU_DEP_3)
	v_sub_f32_e32 v17, v14, v11
	v_sub_f32_e32 v7, v7, v13
	s_delay_alu instid0(VALU_DEP_2) | instskip(NEXT) | instid1(VALU_DEP_2)
	v_sub_f32_e32 v18, v14, v17
	v_dual_sub_f32 v12, v12, v17 :: v_dual_add_f32 v13, v15, v7
	s_delay_alu instid0(VALU_DEP_2) | instskip(NEXT) | instid1(VALU_DEP_1)
	v_sub_f32_e32 v11, v11, v18
	v_add_f32_e32 v11, v12, v11
	s_delay_alu instid0(VALU_DEP_3) | instskip(NEXT) | instid1(VALU_DEP_2)
	v_sub_f32_e32 v12, v13, v15
	v_add_f32_e32 v11, v13, v11
	s_delay_alu instid0(VALU_DEP_2) | instskip(NEXT) | instid1(VALU_DEP_2)
	v_sub_f32_e32 v13, v13, v12
	v_dual_sub_f32 v7, v7, v12 :: v_dual_add_f32 v16, v14, v11
	s_delay_alu instid0(VALU_DEP_1) | instskip(NEXT) | instid1(VALU_DEP_1)
	v_dual_sub_f32 v13, v15, v13 :: v_dual_sub_f32 v12, v16, v14
	v_add_f32_e32 v7, v7, v13
	s_delay_alu instid0(VALU_DEP_2) | instskip(NEXT) | instid1(VALU_DEP_1)
	v_sub_f32_e32 v11, v11, v12
	v_add_f32_e32 v7, v7, v11
	s_delay_alu instid0(VALU_DEP_1) | instskip(NEXT) | instid1(VALU_DEP_1)
	v_add_f32_e32 v7, v16, v7
	v_cndmask_b32_e32 v7, v7, v6, vcc_lo
	v_cmp_ngt_f32_e32 vcc_lo, -1.0, v6
	s_delay_alu instid0(VALU_DEP_2) | instskip(SKIP_1) | instid1(VALU_DEP_2)
	v_cndmask_b32_e32 v7, 0x7fc00000, v7, vcc_lo
	v_cmp_neq_f32_e32 vcc_lo, -1.0, v6
	v_cndmask_b32_e32 v7, 0xff800000, v7, vcc_lo
	v_cmp_gt_f32_e64 vcc_lo, 0x33800000, |v6|
	s_delay_alu instid0(VALU_DEP_2) | instskip(NEXT) | instid1(VALU_DEP_1)
	v_cndmask_b32_e32 v6, v7, v6, vcc_lo
	v_mul_f32_e32 v13, 0.5, v6
	s_branch .LBB352_8
.LBB352_57:
	s_nop 0
	s_sendmsg sendmsg(MSG_DEALLOC_VGPRS)
	s_endpgm
	.section	.rodata,"a",@progbits
	.p2align	6, 0x0
	.amdhsa_kernel _ZN2at6native28tensor_kernel_scan_outer_dimIN3c107complexIfEEjZZZNS0_31launch_logcumsumexp_cuda_kernelERKNS_10TensorBaseES7_lENKUlvE_clEvENKUlvE2_clEvEUlS4_S4_E_EEvPT_PKSB_jjjSB_T1_
		.amdhsa_group_segment_fixed_size 0
		.amdhsa_private_segment_fixed_size 0
		.amdhsa_kernarg_size 304
		.amdhsa_user_sgpr_count 14
		.amdhsa_user_sgpr_dispatch_ptr 0
		.amdhsa_user_sgpr_queue_ptr 0
		.amdhsa_user_sgpr_kernarg_segment_ptr 1
		.amdhsa_user_sgpr_dispatch_id 0
		.amdhsa_user_sgpr_private_segment_size 0
		.amdhsa_wavefront_size32 1
		.amdhsa_uses_dynamic_stack 0
		.amdhsa_enable_private_segment 0
		.amdhsa_system_sgpr_workgroup_id_x 1
		.amdhsa_system_sgpr_workgroup_id_y 1
		.amdhsa_system_sgpr_workgroup_id_z 0
		.amdhsa_system_sgpr_workgroup_info 0
		.amdhsa_system_vgpr_workitem_id 0
		.amdhsa_next_free_vgpr 28
		.amdhsa_next_free_sgpr 41
		.amdhsa_reserve_vcc 1
		.amdhsa_float_round_mode_32 0
		.amdhsa_float_round_mode_16_64 0
		.amdhsa_float_denorm_mode_32 3
		.amdhsa_float_denorm_mode_16_64 3
		.amdhsa_dx10_clamp 1
		.amdhsa_ieee_mode 1
		.amdhsa_fp16_overflow 0
		.amdhsa_workgroup_processor_mode 1
		.amdhsa_memory_ordered 1
		.amdhsa_forward_progress 0
		.amdhsa_shared_vgpr_count 0
		.amdhsa_exception_fp_ieee_invalid_op 0
		.amdhsa_exception_fp_denorm_src 0
		.amdhsa_exception_fp_ieee_div_zero 0
		.amdhsa_exception_fp_ieee_overflow 0
		.amdhsa_exception_fp_ieee_underflow 0
		.amdhsa_exception_fp_ieee_inexact 0
		.amdhsa_exception_int_div_zero 0
	.end_amdhsa_kernel
	.section	.text._ZN2at6native28tensor_kernel_scan_outer_dimIN3c107complexIfEEjZZZNS0_31launch_logcumsumexp_cuda_kernelERKNS_10TensorBaseES7_lENKUlvE_clEvENKUlvE2_clEvEUlS4_S4_E_EEvPT_PKSB_jjjSB_T1_,"axG",@progbits,_ZN2at6native28tensor_kernel_scan_outer_dimIN3c107complexIfEEjZZZNS0_31launch_logcumsumexp_cuda_kernelERKNS_10TensorBaseES7_lENKUlvE_clEvENKUlvE2_clEvEUlS4_S4_E_EEvPT_PKSB_jjjSB_T1_,comdat
.Lfunc_end352:
	.size	_ZN2at6native28tensor_kernel_scan_outer_dimIN3c107complexIfEEjZZZNS0_31launch_logcumsumexp_cuda_kernelERKNS_10TensorBaseES7_lENKUlvE_clEvENKUlvE2_clEvEUlS4_S4_E_EEvPT_PKSB_jjjSB_T1_, .Lfunc_end352-_ZN2at6native28tensor_kernel_scan_outer_dimIN3c107complexIfEEjZZZNS0_31launch_logcumsumexp_cuda_kernelERKNS_10TensorBaseES7_lENKUlvE_clEvENKUlvE2_clEvEUlS4_S4_E_EEvPT_PKSB_jjjSB_T1_
                                        ; -- End function
	.section	.AMDGPU.csdata,"",@progbits
; Kernel info:
; codeLenInByte = 8980
; NumSgprs: 43
; NumVgprs: 28
; ScratchSize: 0
; MemoryBound: 0
; FloatMode: 240
; IeeeMode: 1
; LDSByteSize: 0 bytes/workgroup (compile time only)
; SGPRBlocks: 5
; VGPRBlocks: 3
; NumSGPRsForWavesPerEU: 43
; NumVGPRsForWavesPerEU: 28
; Occupancy: 16
; WaveLimiterHint : 0
; COMPUTE_PGM_RSRC2:SCRATCH_EN: 0
; COMPUTE_PGM_RSRC2:USER_SGPR: 14
; COMPUTE_PGM_RSRC2:TRAP_HANDLER: 0
; COMPUTE_PGM_RSRC2:TGID_X_EN: 1
; COMPUTE_PGM_RSRC2:TGID_Y_EN: 1
; COMPUTE_PGM_RSRC2:TGID_Z_EN: 0
; COMPUTE_PGM_RSRC2:TIDIG_COMP_CNT: 0
	.section	.text._ZN2at6native28tensor_kernel_scan_outer_dimIN3c107complexIfEEmZZZNS0_31launch_logcumsumexp_cuda_kernelERKNS_10TensorBaseES7_lENKUlvE_clEvENKUlvE2_clEvEUlS4_S4_E_EEvPT_PKSB_jjjSB_T1_,"axG",@progbits,_ZN2at6native28tensor_kernel_scan_outer_dimIN3c107complexIfEEmZZZNS0_31launch_logcumsumexp_cuda_kernelERKNS_10TensorBaseES7_lENKUlvE_clEvENKUlvE2_clEvEUlS4_S4_E_EEvPT_PKSB_jjjSB_T1_,comdat
	.globl	_ZN2at6native28tensor_kernel_scan_outer_dimIN3c107complexIfEEmZZZNS0_31launch_logcumsumexp_cuda_kernelERKNS_10TensorBaseES7_lENKUlvE_clEvENKUlvE2_clEvEUlS4_S4_E_EEvPT_PKSB_jjjSB_T1_ ; -- Begin function _ZN2at6native28tensor_kernel_scan_outer_dimIN3c107complexIfEEmZZZNS0_31launch_logcumsumexp_cuda_kernelERKNS_10TensorBaseES7_lENKUlvE_clEvENKUlvE2_clEvEUlS4_S4_E_EEvPT_PKSB_jjjSB_T1_
	.p2align	8
	.type	_ZN2at6native28tensor_kernel_scan_outer_dimIN3c107complexIfEEmZZZNS0_31launch_logcumsumexp_cuda_kernelERKNS_10TensorBaseES7_lENKUlvE_clEvENKUlvE2_clEvEUlS4_S4_E_EEvPT_PKSB_jjjSB_T1_,@function
_ZN2at6native28tensor_kernel_scan_outer_dimIN3c107complexIfEEmZZZNS0_31launch_logcumsumexp_cuda_kernelERKNS_10TensorBaseES7_lENKUlvE_clEvENKUlvE2_clEvEUlS4_S4_E_EEvPT_PKSB_jjjSB_T1_: ; @_ZN2at6native28tensor_kernel_scan_outer_dimIN3c107complexIfEEmZZZNS0_31launch_logcumsumexp_cuda_kernelERKNS_10TensorBaseES7_lENKUlvE_clEvENKUlvE2_clEvEUlS4_S4_E_EEvPT_PKSB_jjjSB_T1_
; %bb.0:
	s_load_b128 s[4:7], s[0:1], 0x10
	s_waitcnt lgkmcnt(0)
	s_cmp_ge_u32 s14, s4
	s_cbranch_scc1 .LBB353_57
; %bb.1:
	s_clause 0x3
	s_load_b32 s20, s[0:1], 0x3c
	s_load_b32 s7, s[0:1], 0x30
	s_load_b128 s[8:11], s[0:1], 0x0
	s_load_b64 s[12:13], s[0:1], 0x20
	v_dual_mov_b32 v1, 0 :: v_dual_mov_b32 v8, 0x4016cbe4
	s_add_u32 s16, s0, 48
	s_addc_u32 s17, s1, 0
	s_mov_b32 s3, 0
	s_mov_b32 s2, s5
	s_mul_hi_u32 s19, s6, s5
	s_mul_i32 s18, s6, s5
	s_mov_b32 s23, 0x37d75334
	s_mov_b32 s25, 0xb94c1982
	;; [unrolled: 1-line block ×4, first 2 shown]
	s_waitcnt lgkmcnt(0)
	s_and_b32 s22, s20, 0xffff
	s_cmp_lg_u32 s6, 0
	v_mad_u64_u32 v[2:3], null, s15, s22, v[0:1]
	s_mov_b32 s15, 0x7fffff
	s_cselect_b32 s24, -1, 0
	s_lshl_b64 s[18:19], s[18:19], 3
	s_lshl_b64 s[20:21], s[2:3], 3
	s_delay_alu instid0(VALU_DEP_1)
	v_cmp_gt_u32_e64 s0, s5, v2
	s_branch .LBB353_3
.LBB353_2:                              ;   in Loop: Header=BB353_3 Depth=1
	s_or_b32 exec_lo, exec_lo, s28
	s_add_i32 s14, s14, s7
	s_delay_alu instid0(SALU_CYCLE_1)
	s_cmp_ge_u32 s14, s4
	s_cbranch_scc1 .LBB353_57
.LBB353_3:                              ; =>This Loop Header: Depth=1
                                        ;     Child Loop BB353_6 Depth 2
                                        ;       Child Loop BB353_13 Depth 3
	s_delay_alu instid0(VALU_DEP_1)
	s_and_saveexec_b32 s28, s0
	s_cbranch_execz .LBB353_2
; %bb.4:                                ;   in Loop: Header=BB353_3 Depth=1
	s_load_b32 s31, s[16:17], 0x4
	v_mov_b32_e32 v3, v2
	s_mul_i32 s1, s19, s14
	s_mul_hi_u32 s2, s18, s14
	s_mul_i32 s29, s18, s14
	s_add_i32 s30, s2, s1
	s_mov_b32 s33, 0
	s_waitcnt lgkmcnt(0)
	s_mul_i32 s31, s31, s22
	s_branch .LBB353_6
.LBB353_5:                              ;   in Loop: Header=BB353_6 Depth=2
	v_add_nc_u32_e32 v3, s31, v3
	s_delay_alu instid0(VALU_DEP_1) | instskip(SKIP_1) | instid1(SALU_CYCLE_1)
	v_cmp_le_u32_e32 vcc_lo, s5, v3
	s_or_b32 s33, vcc_lo, s33
	s_and_not1_b32 exec_lo, exec_lo, s33
	s_cbranch_execz .LBB353_2
.LBB353_6:                              ;   Parent Loop BB353_3 Depth=1
                                        ; =>  This Loop Header: Depth=2
                                        ;       Child Loop BB353_13 Depth 3
	s_and_not1_b32 vcc_lo, exec_lo, s24
	s_cbranch_vccnz .LBB353_5
; %bb.7:                                ;   in Loop: Header=BB353_6 Depth=2
	v_dual_mov_b32 v4, v1 :: v_dual_mov_b32 v7, s13
	v_mov_b32_e32 v6, s12
	s_mov_b32 s34, s6
	s_delay_alu instid0(VALU_DEP_2) | instskip(NEXT) | instid1(VALU_DEP_1)
	v_lshlrev_b64 v[4:5], 3, v[3:4]
	v_add_co_u32 v9, vcc_lo, s29, v4
	s_delay_alu instid0(VALU_DEP_2)
	v_add_co_ci_u32_e32 v10, vcc_lo, s30, v5, vcc_lo
	s_branch .LBB353_13
.LBB353_8:                              ;   in Loop: Header=BB353_13 Depth=3
	s_or_b32 exec_lo, exec_lo, s2
.LBB353_9:                              ;   in Loop: Header=BB353_13 Depth=3
	s_delay_alu instid0(SALU_CYCLE_1)
	s_or_b32 exec_lo, exec_lo, s1
	v_max_f32_e64 v6, |v0|, |v0|
	v_max_f32_e64 v7, |v4|, |v4|
	v_frexp_mant_f32_e32 v11, v5
	v_frexp_exp_i32_f32_e32 v5, v5
	v_cmp_gt_i32_e64 s1, 0, v4
	v_cmp_gt_f32_e64 vcc_lo, |v0|, |v4|
	v_min_f32_e32 v6, v7, v6
	v_rcp_f32_e32 v7, v11
	v_cmp_class_f32_e64 s2, v4, 0x204
	s_delay_alu instid0(VALU_DEP_2)
	v_frexp_mant_f32_e32 v11, v6
	v_frexp_exp_i32_f32_e32 v6, v6
	s_waitcnt_depctr 0xfff
	v_mul_f32_e32 v7, v11, v7
	v_sub_nc_u32_e32 v5, v6, v5
	v_cndmask_b32_e64 v11, 0, 0x40490fdb, s1
	v_cmp_class_f32_e64 s1, v0, 0x204
	s_delay_alu instid0(VALU_DEP_3) | instskip(NEXT) | instid1(VALU_DEP_1)
	v_ldexp_f32 v5, v7, v5
	v_mul_f32_e32 v6, v5, v5
	s_delay_alu instid0(VALU_DEP_1) | instskip(NEXT) | instid1(VALU_DEP_1)
	v_fmaak_f32 v7, s27, v6, 0xbc7a590c
	v_fmaak_f32 v7, v6, v7, 0x3d29fb3f
	s_delay_alu instid0(VALU_DEP_1) | instskip(NEXT) | instid1(VALU_DEP_1)
	v_fmaak_f32 v7, v6, v7, 0xbd97d4d7
	v_fmaak_f32 v7, v6, v7, 0x3dd931b2
	;; [unrolled: 3-line block ×3, first 2 shown]
	s_delay_alu instid0(VALU_DEP_1) | instskip(NEXT) | instid1(VALU_DEP_1)
	v_fmaak_f32 v7, v6, v7, 0xbeaaaa62
	v_mul_f32_e32 v6, v6, v7
	s_delay_alu instid0(VALU_DEP_1) | instskip(NEXT) | instid1(VALU_DEP_1)
	v_fmac_f32_e32 v5, v5, v6
	v_sub_f32_e32 v6, 0x3fc90fdb, v5
	s_delay_alu instid0(VALU_DEP_1) | instskip(SKIP_2) | instid1(VALU_DEP_3)
	v_cndmask_b32_e32 v5, v5, v6, vcc_lo
	v_cmp_gt_f32_e32 vcc_lo, 0, v4
	v_cndmask_b32_e32 v7, 0x3f490fdb, v8, vcc_lo
	v_sub_f32_e32 v6, 0x40490fdb, v5
	s_delay_alu instid0(VALU_DEP_1) | instskip(SKIP_1) | instid1(VALU_DEP_2)
	v_cndmask_b32_e32 v5, v5, v6, vcc_lo
	v_cmp_eq_f32_e32 vcc_lo, 0, v0
	v_cndmask_b32_e32 v5, v5, v11, vcc_lo
	s_and_b32 vcc_lo, s1, s2
	s_delay_alu instid0(VALU_DEP_1) | instskip(SKIP_1) | instid1(VALU_DEP_2)
	v_cndmask_b32_e32 v5, v5, v7, vcc_lo
	v_cmp_o_f32_e32 vcc_lo, v4, v0
	v_cndmask_b32_e32 v4, 0x7fc00000, v5, vcc_lo
	s_delay_alu instid0(VALU_DEP_1)
	v_bfi_b32 v11, 0x7fffffff, v4, v0
.LBB353_10:                             ;   in Loop: Header=BB353_13 Depth=3
	s_or_b32 exec_lo, exec_lo, s37
.LBB353_11:                             ;   in Loop: Header=BB353_13 Depth=3
	s_delay_alu instid0(SALU_CYCLE_1) | instskip(NEXT) | instid1(VALU_DEP_1)
	s_or_b32 exec_lo, exec_lo, s36
	v_dual_mov_b32 v6, v13 :: v_dual_mov_b32 v7, v11
.LBB353_12:                             ;   in Loop: Header=BB353_13 Depth=3
	s_or_b32 exec_lo, exec_lo, s35
	v_add_co_u32 v4, vcc_lo, s8, v9
	v_add_co_ci_u32_e32 v5, vcc_lo, s9, v10, vcc_lo
	v_add_co_u32 v9, vcc_lo, v9, s20
	v_add_co_ci_u32_e32 v10, vcc_lo, s21, v10, vcc_lo
	s_add_i32 s34, s34, -1
	global_store_b64 v[4:5], v[6:7], off
	s_cmp_eq_u32 s34, 0
	s_cbranch_scc1 .LBB353_5
.LBB353_13:                             ;   Parent Loop BB353_3 Depth=1
                                        ;     Parent Loop BB353_6 Depth=2
                                        ; =>    This Inner Loop Header: Depth=3
	s_delay_alu instid0(VALU_DEP_2) | instskip(NEXT) | instid1(VALU_DEP_2)
	v_add_co_u32 v4, vcc_lo, s10, v9
	v_add_co_ci_u32_e32 v5, vcc_lo, s11, v10, vcc_lo
	global_load_b64 v[4:5], v[4:5], off
	s_waitcnt vmcnt(0)
	v_cmp_o_f32_e32 vcc_lo, v4, v4
	v_cmp_o_f32_e64 s1, v5, v5
	v_mov_b32_e32 v11, v5
	v_dual_mov_b32 v13, v4 :: v_dual_mov_b32 v12, v5
	s_delay_alu instid0(VALU_DEP_3) | instskip(NEXT) | instid1(SALU_CYCLE_1)
	s_and_b32 s3, vcc_lo, s1
	s_and_saveexec_b32 s35, s3
; %bb.14:                               ;   in Loop: Header=BB353_13 Depth=3
	v_cmp_u_f32_e32 vcc_lo, v6, v6
	v_cmp_u_f32_e64 s1, v7, v7
	v_cmp_lt_f32_e64 s2, v6, v4
	s_delay_alu instid0(VALU_DEP_2)
	s_or_b32 s1, vcc_lo, s1
	s_delay_alu instid0(VALU_DEP_1) | instid1(SALU_CYCLE_1)
	s_or_b32 vcc_lo, s1, s2
	v_cndmask_b32_e32 v11, v5, v7, vcc_lo
	s_delay_alu instid0(VALU_DEP_1)
	v_dual_cndmask_b32 v13, v4, v6 :: v_dual_mov_b32 v12, v11
; %bb.15:                               ;   in Loop: Header=BB353_13 Depth=3
	s_or_b32 exec_lo, exec_lo, s35
	s_and_saveexec_b32 s35, s3
; %bb.16:                               ;   in Loop: Header=BB353_13 Depth=3
	v_cmp_u_f32_e32 vcc_lo, v6, v6
	v_cmp_u_f32_e64 s1, v7, v7
	v_cmp_ge_f32_e64 s2, v6, v4
	s_delay_alu instid0(VALU_DEP_2)
	s_or_b32 s1, vcc_lo, s1
	s_delay_alu instid0(VALU_DEP_1) | instid1(SALU_CYCLE_1)
	s_or_b32 vcc_lo, s1, s2
	v_dual_cndmask_b32 v5, v5, v7 :: v_dual_cndmask_b32 v4, v4, v6
; %bb.17:                               ;   in Loop: Header=BB353_13 Depth=3
	s_or_b32 exec_lo, exec_lo, s35
	v_cmp_o_f32_e32 vcc_lo, v13, v13
	v_cmp_o_f32_e64 s1, v11, v11
	v_dual_mov_b32 v6, 0x7fc00000 :: v_dual_mov_b32 v7, 0x7fc00000
	s_delay_alu instid0(VALU_DEP_2) | instskip(NEXT) | instid1(SALU_CYCLE_1)
	s_and_b32 s1, vcc_lo, s1
	s_and_saveexec_b32 s35, s1
	s_cbranch_execz .LBB353_12
; %bb.18:                               ;   in Loop: Header=BB353_13 Depth=3
	v_cmp_class_f32_e64 s1, v13, 0x1f8
	v_cmp_neq_f32_e32 vcc_lo, v4, v13
	s_delay_alu instid0(VALU_DEP_2) | instskip(NEXT) | instid1(SALU_CYCLE_1)
	s_or_b32 s1, s1, vcc_lo
	s_and_saveexec_b32 s2, s1
	s_delay_alu instid0(SALU_CYCLE_1)
	s_xor_b32 s36, exec_lo, s2
	s_cbranch_execz .LBB353_34
; %bb.19:                               ;   in Loop: Header=BB353_13 Depth=3
	v_sub_f32_e32 v6, v11, v5
                                        ; implicit-def: $vgpr12
                                        ; implicit-def: $vgpr11
	s_delay_alu instid0(VALU_DEP_1) | instskip(NEXT) | instid1(VALU_DEP_1)
	v_and_b32_e32 v7, 0x7fffffff, v6
	v_lshrrev_b32_e32 v0, 23, v7
	v_and_or_b32 v14, v7, s15, 0x800000
	s_delay_alu instid0(VALU_DEP_2) | instskip(SKIP_1) | instid1(VALU_DEP_1)
	v_add_nc_u32_e32 v15, 0xffffff88, v0
	v_cmp_ngt_f32_e64 s37, 0x48000000, |v6|
	s_and_saveexec_b32 s1, s37
	s_delay_alu instid0(SALU_CYCLE_1)
	s_xor_b32 s38, exec_lo, s1
	s_cbranch_execz .LBB353_21
; %bb.20:                               ;   in Loop: Header=BB353_13 Depth=3
	v_mad_u64_u32 v[11:12], null, 0xfe5163ab, v14, 0
	v_cmp_lt_u32_e32 vcc_lo, 63, v15
	s_delay_alu instid0(VALU_DEP_2) | instskip(SKIP_1) | instid1(VALU_DEP_2)
	v_mov_b32_e32 v0, v12
	v_cndmask_b32_e64 v12, 0, 0xffffffc0, vcc_lo
	v_mad_u64_u32 v[16:17], null, 0x3c439041, v14, v[0:1]
	s_delay_alu instid0(VALU_DEP_2) | instskip(NEXT) | instid1(VALU_DEP_1)
	v_add_nc_u32_e32 v12, v12, v15
	v_cmp_lt_u32_e64 s1, 31, v12
	s_delay_alu instid0(VALU_DEP_3) | instskip(NEXT) | instid1(VALU_DEP_2)
	v_mov_b32_e32 v0, v17
	v_cndmask_b32_e64 v22, 0, 0xffffffe0, s1
	s_delay_alu instid0(VALU_DEP_2) | instskip(NEXT) | instid1(VALU_DEP_2)
	v_mad_u64_u32 v[17:18], null, 0xdb629599, v14, v[0:1]
	v_add_nc_u32_e32 v12, v22, v12
	s_delay_alu instid0(VALU_DEP_2) | instskip(NEXT) | instid1(VALU_DEP_2)
	v_mov_b32_e32 v0, v18
	v_cmp_lt_u32_e64 s2, 31, v12
	s_delay_alu instid0(VALU_DEP_4) | instskip(NEXT) | instid1(VALU_DEP_3)
	v_cndmask_b32_e32 v11, v17, v11, vcc_lo
	v_mad_u64_u32 v[18:19], null, 0xf534ddc0, v14, v[0:1]
	s_delay_alu instid0(VALU_DEP_1) | instskip(NEXT) | instid1(VALU_DEP_1)
	v_mov_b32_e32 v0, v19
	v_mad_u64_u32 v[19:20], null, 0xfc2757d1, v14, v[0:1]
	s_delay_alu instid0(VALU_DEP_1) | instskip(NEXT) | instid1(VALU_DEP_1)
	v_mov_b32_e32 v0, v20
	v_mad_u64_u32 v[20:21], null, 0x4e441529, v14, v[0:1]
	s_delay_alu instid0(VALU_DEP_1) | instskip(NEXT) | instid1(VALU_DEP_1)
	v_dual_mov_b32 v0, v21 :: v_dual_cndmask_b32 v23, v20, v18
	v_mad_u64_u32 v[21:22], null, 0xa2f9836e, v14, v[0:1]
	v_cndmask_b32_e64 v0, 0, 0xffffffe0, s2
	s_delay_alu instid0(VALU_DEP_1) | instskip(NEXT) | instid1(VALU_DEP_3)
	v_dual_cndmask_b32 v21, v21, v19 :: v_dual_add_nc_u32 v0, v0, v12
	v_dual_cndmask_b32 v20, v22, v20 :: v_dual_cndmask_b32 v19, v19, v17
	v_cndmask_b32_e32 v12, v18, v16, vcc_lo
	s_delay_alu instid0(VALU_DEP_3) | instskip(NEXT) | instid1(VALU_DEP_4)
	v_cmp_eq_u32_e64 s3, 0, v0
	v_cndmask_b32_e64 v16, v21, v23, s1
	s_delay_alu instid0(VALU_DEP_4)
	v_cndmask_b32_e64 v18, v20, v21, s1
	v_cndmask_b32_e64 v20, v23, v19, s1
	v_sub_nc_u32_e32 v21, 32, v0
	v_cndmask_b32_e64 v19, v19, v12, s1
	v_cndmask_b32_e64 v11, v12, v11, s1
	;; [unrolled: 1-line block ×4, first 2 shown]
	s_delay_alu instid0(VALU_DEP_4) | instskip(NEXT) | instid1(VALU_DEP_4)
	v_cndmask_b32_e64 v20, v20, v19, s2
	v_cndmask_b32_e64 v11, v19, v11, s2
	s_delay_alu instid0(VALU_DEP_3) | instskip(NEXT) | instid1(VALU_DEP_3)
	v_alignbit_b32 v22, v18, v16, v21
	v_alignbit_b32 v23, v16, v20, v21
	s_delay_alu instid0(VALU_DEP_3) | instskip(NEXT) | instid1(VALU_DEP_3)
	v_alignbit_b32 v21, v20, v11, v21
	v_cndmask_b32_e64 v0, v22, v18, s3
	s_delay_alu instid0(VALU_DEP_3) | instskip(NEXT) | instid1(VALU_DEP_3)
	v_cndmask_b32_e64 v16, v23, v16, s3
	v_cndmask_b32_e64 v20, v21, v20, s3
	s_delay_alu instid0(VALU_DEP_3) | instskip(NEXT) | instid1(VALU_DEP_3)
	v_bfe_u32 v17, v0, 29, 1
	v_alignbit_b32 v12, v0, v16, 30
	s_delay_alu instid0(VALU_DEP_3) | instskip(SKIP_1) | instid1(VALU_DEP_4)
	v_alignbit_b32 v16, v16, v20, 30
	v_alignbit_b32 v11, v20, v11, 30
	v_sub_nc_u32_e32 v18, 0, v17
	s_delay_alu instid0(VALU_DEP_1) | instskip(SKIP_3) | instid1(VALU_DEP_4)
	v_xor_b32_e32 v19, v12, v18
	v_cmp_ne_u32_e32 vcc_lo, v12, v18
	v_xor_b32_e32 v16, v16, v18
	v_xor_b32_e32 v11, v11, v18
	v_clz_i32_u32_e32 v22, v19
	s_delay_alu instid0(VALU_DEP_1) | instskip(NEXT) | instid1(VALU_DEP_1)
	v_add_nc_u32_e32 v21, 1, v22
	v_cndmask_b32_e32 v12, 33, v21, vcc_lo
	s_delay_alu instid0(VALU_DEP_1) | instskip(NEXT) | instid1(VALU_DEP_1)
	v_sub_nc_u32_e32 v20, 32, v12
	v_alignbit_b32 v18, v19, v16, v20
	v_alignbit_b32 v11, v16, v11, v20
	v_lshrrev_b32_e32 v16, 29, v0
	v_lshrrev_b32_e32 v0, 30, v0
	s_delay_alu instid0(VALU_DEP_3) | instskip(NEXT) | instid1(VALU_DEP_3)
	v_alignbit_b32 v19, v18, v11, 9
	v_lshlrev_b32_e32 v16, 31, v16
	v_alignbit_b32 v18, v12, v18, 9
	s_delay_alu instid0(VALU_DEP_3) | instskip(NEXT) | instid1(VALU_DEP_2)
	v_clz_i32_u32_e32 v20, v19
	v_or_b32_e32 v18, v18, v16
	v_or_b32_e32 v16, 0x33800000, v16
	s_delay_alu instid0(VALU_DEP_3) | instskip(NEXT) | instid1(VALU_DEP_3)
	v_min_u32_e32 v20, 32, v20
	v_xor_b32_e32 v18, 1.0, v18
	s_delay_alu instid0(VALU_DEP_2) | instskip(SKIP_1) | instid1(VALU_DEP_3)
	v_sub_nc_u32_e32 v21, 31, v20
	v_add_lshl_u32 v12, v20, v12, 23
	v_mul_f32_e32 v20, 0x3fc90fda, v18
	s_delay_alu instid0(VALU_DEP_3) | instskip(NEXT) | instid1(VALU_DEP_3)
	v_alignbit_b32 v11, v19, v11, v21
	v_sub_nc_u32_e32 v12, v16, v12
	s_delay_alu instid0(VALU_DEP_3) | instskip(NEXT) | instid1(VALU_DEP_3)
	v_fma_f32 v16, 0x3fc90fda, v18, -v20
	v_lshrrev_b32_e32 v11, 9, v11
	s_delay_alu instid0(VALU_DEP_2) | instskip(NEXT) | instid1(VALU_DEP_2)
	v_fmac_f32_e32 v16, 0x33a22168, v18
	v_or_b32_e32 v11, v12, v11
	v_add_nc_u32_e32 v12, v17, v0
	s_delay_alu instid0(VALU_DEP_2) | instskip(NEXT) | instid1(VALU_DEP_1)
	v_fmac_f32_e32 v16, 0x3fc90fda, v11
	v_add_f32_e32 v11, v20, v16
.LBB353_21:                             ;   in Loop: Header=BB353_13 Depth=3
	s_or_saveexec_b32 s1, s38
	v_mul_f32_e64 v0, 0x3f22f983, |v6|
	s_delay_alu instid0(VALU_DEP_1)
	v_rndne_f32_e32 v17, v0
	s_xor_b32 exec_lo, exec_lo, s1
; %bb.22:                               ;   in Loop: Header=BB353_13 Depth=3
	s_delay_alu instid0(VALU_DEP_1) | instskip(SKIP_1) | instid1(VALU_DEP_2)
	v_fma_f32 v11, 0xbfc90fda, v17, |v6|
	v_cvt_i32_f32_e32 v12, v17
	v_fmac_f32_e32 v11, 0xb3a22168, v17
	s_delay_alu instid0(VALU_DEP_1)
	v_fmac_f32_e32 v11, 0xa7c234c4, v17
; %bb.23:                               ;   in Loop: Header=BB353_13 Depth=3
	s_or_b32 exec_lo, exec_lo, s1
                                        ; implicit-def: $vgpr16
                                        ; implicit-def: $vgpr0
	s_and_saveexec_b32 s1, s37
	s_delay_alu instid0(SALU_CYCLE_1)
	s_xor_b32 s37, exec_lo, s1
	s_cbranch_execz .LBB353_25
; %bb.24:                               ;   in Loop: Header=BB353_13 Depth=3
	v_mad_u64_u32 v[16:17], null, 0xfe5163ab, v14, 0
	v_cmp_lt_u32_e32 vcc_lo, 63, v15
	v_cndmask_b32_e64 v22, 0, 0xffffffc0, vcc_lo
	s_delay_alu instid0(VALU_DEP_1) | instskip(NEXT) | instid1(VALU_DEP_1)
	v_dual_mov_b32 v0, v17 :: v_dual_add_nc_u32 v15, v22, v15
	v_mad_u64_u32 v[17:18], null, 0x3c439041, v14, v[0:1]
	s_delay_alu instid0(VALU_DEP_2) | instskip(NEXT) | instid1(VALU_DEP_1)
	v_cmp_lt_u32_e64 s1, 31, v15
	v_cndmask_b32_e64 v23, 0, 0xffffffe0, s1
	s_delay_alu instid0(VALU_DEP_1) | instskip(NEXT) | instid1(VALU_DEP_1)
	v_dual_mov_b32 v0, v18 :: v_dual_add_nc_u32 v15, v23, v15
	v_mad_u64_u32 v[18:19], null, 0xdb629599, v14, v[0:1]
	s_delay_alu instid0(VALU_DEP_2) | instskip(NEXT) | instid1(VALU_DEP_2)
	v_cmp_lt_u32_e64 s2, 31, v15
	v_mov_b32_e32 v0, v19
	s_delay_alu instid0(VALU_DEP_3) | instskip(NEXT) | instid1(VALU_DEP_2)
	v_cndmask_b32_e32 v16, v18, v16, vcc_lo
	v_mad_u64_u32 v[19:20], null, 0xf534ddc0, v14, v[0:1]
	s_delay_alu instid0(VALU_DEP_1) | instskip(NEXT) | instid1(VALU_DEP_1)
	v_mov_b32_e32 v0, v20
	v_mad_u64_u32 v[20:21], null, 0xfc2757d1, v14, v[0:1]
	s_delay_alu instid0(VALU_DEP_1) | instskip(NEXT) | instid1(VALU_DEP_1)
	v_mov_b32_e32 v0, v21
	v_mad_u64_u32 v[21:22], null, 0x4e441529, v14, v[0:1]
	s_delay_alu instid0(VALU_DEP_1) | instskip(NEXT) | instid1(VALU_DEP_1)
	v_mov_b32_e32 v0, v22
	v_mad_u64_u32 v[22:23], null, 0xa2f9836e, v14, v[0:1]
	v_cndmask_b32_e64 v0, 0, 0xffffffe0, s2
	s_delay_alu instid0(VALU_DEP_4) | instskip(NEXT) | instid1(VALU_DEP_2)
	v_cndmask_b32_e32 v14, v21, v19, vcc_lo
	v_add_nc_u32_e32 v0, v0, v15
	s_delay_alu instid0(VALU_DEP_4) | instskip(SKIP_1) | instid1(VALU_DEP_3)
	v_dual_cndmask_b32 v22, v22, v20 :: v_dual_cndmask_b32 v21, v23, v21
	v_dual_cndmask_b32 v20, v20, v18 :: v_dual_cndmask_b32 v15, v19, v17
	v_cmp_eq_u32_e64 s3, 0, v0
	s_delay_alu instid0(VALU_DEP_3) | instskip(NEXT) | instid1(VALU_DEP_4)
	v_cndmask_b32_e64 v17, v22, v14, s1
	v_cndmask_b32_e64 v19, v21, v22, s1
	s_delay_alu instid0(VALU_DEP_4)
	v_cndmask_b32_e64 v14, v14, v20, s1
	v_sub_nc_u32_e32 v21, 32, v0
	v_cndmask_b32_e64 v20, v20, v15, s1
	v_cndmask_b32_e64 v15, v15, v16, s1
	;; [unrolled: 1-line block ×4, first 2 shown]
	s_delay_alu instid0(VALU_DEP_4) | instskip(NEXT) | instid1(VALU_DEP_4)
	v_cndmask_b32_e64 v14, v14, v20, s2
	v_cndmask_b32_e64 v15, v20, v15, s2
	s_delay_alu instid0(VALU_DEP_3) | instskip(NEXT) | instid1(VALU_DEP_3)
	v_alignbit_b32 v22, v19, v17, v21
	v_alignbit_b32 v23, v17, v14, v21
	s_delay_alu instid0(VALU_DEP_3) | instskip(NEXT) | instid1(VALU_DEP_3)
	v_alignbit_b32 v21, v14, v15, v21
	v_cndmask_b32_e64 v0, v22, v19, s3
	s_delay_alu instid0(VALU_DEP_3) | instskip(NEXT) | instid1(VALU_DEP_3)
	v_cndmask_b32_e64 v17, v23, v17, s3
	v_cndmask_b32_e64 v14, v21, v14, s3
	s_delay_alu instid0(VALU_DEP_3) | instskip(NEXT) | instid1(VALU_DEP_3)
	v_bfe_u32 v18, v0, 29, 1
	v_alignbit_b32 v16, v0, v17, 30
	s_delay_alu instid0(VALU_DEP_3) | instskip(SKIP_1) | instid1(VALU_DEP_4)
	v_alignbit_b32 v17, v17, v14, 30
	v_alignbit_b32 v14, v14, v15, 30
	v_sub_nc_u32_e32 v19, 0, v18
	s_delay_alu instid0(VALU_DEP_1) | instskip(SKIP_3) | instid1(VALU_DEP_4)
	v_xor_b32_e32 v20, v16, v19
	v_cmp_ne_u32_e32 vcc_lo, v16, v19
	v_xor_b32_e32 v15, v17, v19
	v_xor_b32_e32 v14, v14, v19
	v_clz_i32_u32_e32 v22, v20
	s_delay_alu instid0(VALU_DEP_1) | instskip(NEXT) | instid1(VALU_DEP_1)
	v_add_nc_u32_e32 v21, 1, v22
	v_cndmask_b32_e32 v16, 33, v21, vcc_lo
	s_delay_alu instid0(VALU_DEP_1) | instskip(NEXT) | instid1(VALU_DEP_1)
	v_sub_nc_u32_e32 v17, 32, v16
	v_alignbit_b32 v19, v20, v15, v17
	v_alignbit_b32 v14, v15, v14, v17
	v_lshrrev_b32_e32 v15, 29, v0
	s_delay_alu instid0(VALU_DEP_2) | instskip(NEXT) | instid1(VALU_DEP_2)
	v_alignbit_b32 v17, v19, v14, 9
	v_lshlrev_b32_e32 v15, 31, v15
	v_alignbit_b32 v19, v16, v19, 9
	s_delay_alu instid0(VALU_DEP_3) | instskip(NEXT) | instid1(VALU_DEP_2)
	v_clz_i32_u32_e32 v20, v17
	v_or_b32_e32 v19, v19, v15
	v_or_b32_e32 v15, 0x33800000, v15
	s_delay_alu instid0(VALU_DEP_3) | instskip(NEXT) | instid1(VALU_DEP_3)
	v_min_u32_e32 v20, 32, v20
	v_xor_b32_e32 v19, 1.0, v19
	s_delay_alu instid0(VALU_DEP_2) | instskip(SKIP_1) | instid1(VALU_DEP_3)
	v_sub_nc_u32_e32 v21, 31, v20
	v_add_lshl_u32 v16, v20, v16, 23
	v_mul_f32_e32 v20, 0x3fc90fda, v19
	s_delay_alu instid0(VALU_DEP_3) | instskip(NEXT) | instid1(VALU_DEP_3)
	v_alignbit_b32 v14, v17, v14, v21
	v_sub_nc_u32_e32 v15, v15, v16
	s_delay_alu instid0(VALU_DEP_3) | instskip(NEXT) | instid1(VALU_DEP_3)
	v_fma_f32 v16, 0x3fc90fda, v19, -v20
                                        ; implicit-def: $vgpr17
	v_lshrrev_b32_e32 v14, 9, v14
	s_delay_alu instid0(VALU_DEP_2) | instskip(NEXT) | instid1(VALU_DEP_2)
	v_fmac_f32_e32 v16, 0x33a22168, v19
	v_or_b32_e32 v14, v15, v14
	s_delay_alu instid0(VALU_DEP_1) | instskip(SKIP_1) | instid1(VALU_DEP_2)
	v_fmac_f32_e32 v16, 0x3fc90fda, v14
	v_lshrrev_b32_e32 v14, 30, v0
	v_add_f32_e32 v0, v20, v16
	s_delay_alu instid0(VALU_DEP_2)
	v_add_nc_u32_e32 v16, v18, v14
	s_and_not1_saveexec_b32 s1, s37
	s_cbranch_execnz .LBB353_26
	s_branch .LBB353_27
.LBB353_25:                             ;   in Loop: Header=BB353_13 Depth=3
	s_and_not1_saveexec_b32 s1, s37
.LBB353_26:                             ;   in Loop: Header=BB353_13 Depth=3
	v_fma_f32 v0, 0xbfc90fda, v17, |v6|
	v_cvt_i32_f32_e32 v16, v17
	s_delay_alu instid0(VALU_DEP_2) | instskip(NEXT) | instid1(VALU_DEP_1)
	v_fmac_f32_e32 v0, 0xb3a22168, v17
	v_fmac_f32_e32 v0, 0xa7c234c4, v17
.LBB353_27:                             ;   in Loop: Header=BB353_13 Depth=3
	s_or_b32 exec_lo, exec_lo, s1
	v_lshlrev_b32_e32 v14, 30, v12
	v_sub_f32_e32 v13, v13, v4
	v_dual_mul_f32 v17, v11, v11 :: v_dual_and_b32 v12, 1, v12
	v_and_b32_e32 v19, 1, v16
	s_delay_alu instid0(VALU_DEP_4) | instskip(NEXT) | instid1(VALU_DEP_4)
	v_and_b32_e32 v14, 0x80000000, v14
	v_dual_mul_f32 v15, 0x3fb8aa3b, v13 :: v_dual_lshlrev_b32 v16, 30, v16
	s_delay_alu instid0(VALU_DEP_4) | instskip(SKIP_2) | instid1(VALU_DEP_4)
	v_fmaak_f32 v23, s25, v17, 0x3c0881c4
	v_fmaak_f32 v22, s23, v17, 0xbab64f3b
	v_cmp_eq_u32_e32 vcc_lo, 0, v12
	v_fma_f32 v20, 0x3fb8aa3b, v13, -v15
	v_rndne_f32_e32 v21, v15
	v_mul_f32_e32 v18, v0, v0
	v_xor_b32_e32 v7, v7, v6
	v_cmp_nlt_f32_e64 s1, 0x42b17218, v13
	s_delay_alu instid0(VALU_DEP_4) | instskip(SKIP_3) | instid1(VALU_DEP_3)
	v_sub_f32_e32 v15, v15, v21
	v_fmac_f32_e32 v20, 0x32a5705f, v13
	v_fmaak_f32 v24, s25, v18, 0x3c0881c4
	v_cvt_i32_f32_e32 v21, v21
	v_dual_add_f32 v15, v15, v20 :: v_dual_fmaak_f32 v20, v17, v22, 0x3d2aabf7
	s_delay_alu instid0(VALU_DEP_3) | instskip(NEXT) | instid1(VALU_DEP_2)
	v_dual_fmaak_f32 v22, v17, v23, 0xbe2aaa9d :: v_dual_fmaak_f32 v23, v18, v24, 0xbe2aaa9d
	v_exp_f32_e32 v15, v15
	s_delay_alu instid0(VALU_DEP_2) | instskip(NEXT) | instid1(VALU_DEP_2)
	v_fmaak_f32 v20, v17, v20, 0xbf000004
	v_dual_mul_f32 v22, v17, v22 :: v_dual_mul_f32 v23, v18, v23
	v_fmaak_f32 v25, s23, v18, 0xbab64f3b
	v_and_b32_e32 v16, 0x80000000, v16
	s_delay_alu instid0(VALU_DEP_4) | instskip(NEXT) | instid1(VALU_DEP_4)
	v_fma_f32 v17, v17, v20, 1.0
	v_dual_fmac_f32 v11, v11, v22 :: v_dual_fmac_f32 v0, v0, v23
	s_delay_alu instid0(VALU_DEP_4) | instskip(NEXT) | instid1(TRANS32_DEP_1)
	v_fmaak_f32 v24, v18, v25, 0x3d2aabf7
	v_ldexp_f32 v15, v15, v21
	s_delay_alu instid0(VALU_DEP_3) | instskip(SKIP_1) | instid1(VALU_DEP_4)
	v_cndmask_b32_e64 v11, -v11, v17, vcc_lo
	v_cmp_eq_u32_e32 vcc_lo, 0, v19
	v_fmaak_f32 v24, v18, v24, 0xbf000004
	s_delay_alu instid0(VALU_DEP_3) | instskip(NEXT) | instid1(VALU_DEP_2)
	v_xor_b32_e32 v11, v14, v11
	v_fma_f32 v18, v18, v24, 1.0
	s_delay_alu instid0(VALU_DEP_1) | instskip(SKIP_1) | instid1(VALU_DEP_2)
	v_cndmask_b32_e32 v0, v18, v0, vcc_lo
	v_cmp_ngt_f32_e32 vcc_lo, 0xc2ce8ed0, v13
	v_xor3_b32 v0, v7, v16, v0
	v_cndmask_b32_e32 v12, 0, v15, vcc_lo
	v_cmp_class_f32_e64 vcc_lo, v6, 0x1f8
	s_delay_alu instid0(VALU_DEP_2) | instskip(SKIP_2) | instid1(VALU_DEP_2)
	v_cndmask_b32_e64 v13, 0x7f800000, v12, s1
	v_cndmask_b32_e32 v11, 0x7fc00000, v11, vcc_lo
	v_cndmask_b32_e32 v0, 0x7fc00000, v0, vcc_lo
	v_mul_f32_e32 v12, v13, v11
	s_delay_alu instid0(VALU_DEP_2) | instskip(NEXT) | instid1(VALU_DEP_1)
	v_mul_f32_e32 v0, v13, v0
	v_max_f32_e64 v14, |v12|, |v0|
	s_delay_alu instid0(VALU_DEP_1) | instskip(SKIP_1) | instid1(VALU_DEP_2)
	v_cvt_f64_f32_e32 v[6:7], v14
	v_cmp_eq_f32_e32 vcc_lo, 0x7f800000, v14
	v_frexp_exp_i32_f64_e32 v6, v[6:7]
	s_delay_alu instid0(VALU_DEP_1) | instskip(NEXT) | instid1(VALU_DEP_1)
	v_sub_nc_u32_e32 v7, 0, v6
	v_ldexp_f32 v15, |v0|, v7
	v_ldexp_f32 v7, |v12|, v7
	s_delay_alu instid0(VALU_DEP_2) | instskip(NEXT) | instid1(VALU_DEP_1)
	v_mul_f32_e32 v15, v15, v15
	v_fmac_f32_e32 v15, v7, v7
	s_delay_alu instid0(VALU_DEP_1) | instskip(SKIP_3) | instid1(VALU_DEP_2)
	v_sqrt_f32_e32 v7, v15
	s_waitcnt_depctr 0xfff
	v_ldexp_f32 v7, v7, v6
	v_fma_f32 v6, v13, v11, 1.0
	v_cmp_ngt_f32_e64 s1, 0.5, v7
	s_delay_alu instid0(VALU_DEP_2) | instskip(NEXT) | instid1(VALU_DEP_2)
	v_max_f32_e64 v7, |v6|, |v0|
	s_or_b32 s1, vcc_lo, s1
	s_delay_alu instid0(SALU_CYCLE_1) | instskip(NEXT) | instid1(SALU_CYCLE_1)
	s_and_saveexec_b32 s2, s1
	s_xor_b32 s2, exec_lo, s2
	s_cbranch_execz .LBB353_29
; %bb.28:                               ;   in Loop: Header=BB353_13 Depth=3
	v_cvt_f64_f32_e32 v[11:12], v7
	v_cmp_neq_f32_e32 vcc_lo, 0x7f800000, v7
	s_delay_alu instid0(VALU_DEP_2) | instskip(NEXT) | instid1(VALU_DEP_1)
	v_frexp_exp_i32_f64_e32 v11, v[11:12]
	v_sub_nc_u32_e32 v12, 0, v11
	s_delay_alu instid0(VALU_DEP_1) | instskip(SKIP_1) | instid1(VALU_DEP_2)
	v_ldexp_f32 v13, |v0|, v12
	v_ldexp_f32 v12, |v6|, v12
	v_mul_f32_e32 v13, v13, v13
	s_delay_alu instid0(VALU_DEP_1) | instskip(NEXT) | instid1(VALU_DEP_1)
	v_fmac_f32_e32 v13, v12, v12
	v_sqrt_f32_e32 v12, v13
	s_waitcnt_depctr 0xfff
	v_ldexp_f32 v11, v12, v11
	s_delay_alu instid0(VALU_DEP_1) | instskip(NEXT) | instid1(VALU_DEP_1)
	v_cndmask_b32_e32 v11, 0x7f800000, v11, vcc_lo
	v_cmp_gt_f32_e32 vcc_lo, 0x800000, v11
	v_cndmask_b32_e64 v12, 1.0, 0x4f800000, vcc_lo
	s_delay_alu instid0(VALU_DEP_1) | instskip(NEXT) | instid1(VALU_DEP_1)
	v_mul_f32_e32 v11, v11, v12
	v_log_f32_e32 v11, v11
	s_waitcnt_depctr 0xfff
	v_mul_f32_e32 v12, 0x3f317217, v11
	v_cmp_gt_f32_e64 s1, 0x7f800000, |v11|
	s_delay_alu instid0(VALU_DEP_2) | instskip(NEXT) | instid1(VALU_DEP_1)
	v_fma_f32 v13, 0x3f317217, v11, -v12
	v_fmac_f32_e32 v13, 0x3377d1cf, v11
	s_delay_alu instid0(VALU_DEP_1) | instskip(NEXT) | instid1(VALU_DEP_1)
	v_add_f32_e32 v12, v12, v13
	v_cndmask_b32_e64 v11, v11, v12, s1
	v_cndmask_b32_e64 v12, 0, 0x41b17218, vcc_lo
	s_delay_alu instid0(VALU_DEP_1)
	v_sub_f32_e32 v12, v11, v12
.LBB353_29:                             ;   in Loop: Header=BB353_13 Depth=3
	s_and_not1_saveexec_b32 s1, s2
	s_cbranch_execz .LBB353_33
; %bb.30:                               ;   in Loop: Header=BB353_13 Depth=3
	s_delay_alu instid0(VALU_DEP_1) | instskip(SKIP_2) | instid1(VALU_DEP_1)
	v_add_f32_e32 v13, 2.0, v12
	v_mul_f32_e32 v11, v0, v0
	s_mov_b32 s2, exec_lo
	v_fmac_f32_e32 v11, v12, v13
	s_delay_alu instid0(VALU_DEP_1)
	v_cmpx_neq_f32_e32 0, v11
	s_cbranch_execz .LBB353_32
; %bb.31:                               ;   in Loop: Header=BB353_13 Depth=3
	v_add_f32_e32 v14, 1.0, v11
	s_delay_alu instid0(VALU_DEP_1) | instskip(NEXT) | instid1(VALU_DEP_1)
	v_cvt_f64_f32_e32 v[12:13], v14
	v_frexp_exp_i32_f64_e32 v12, v[12:13]
	v_frexp_mant_f32_e32 v13, v14
	s_delay_alu instid0(VALU_DEP_1) | instskip(SKIP_1) | instid1(VALU_DEP_1)
	v_cmp_gt_f32_e32 vcc_lo, 0x3f2aaaab, v13
	v_add_f32_e32 v13, -1.0, v14
	v_sub_f32_e32 v16, v13, v14
	s_delay_alu instid0(VALU_DEP_1) | instskip(SKIP_2) | instid1(VALU_DEP_2)
	v_dual_add_f32 v16, 1.0, v16 :: v_dual_sub_f32 v13, v11, v13
	v_subrev_co_ci_u32_e32 v12, vcc_lo, 0, v12, vcc_lo
	v_cmp_eq_f32_e32 vcc_lo, 0x7f800000, v11
	v_sub_nc_u32_e32 v15, 0, v12
	v_cvt_f32_i32_e32 v12, v12
	s_delay_alu instid0(VALU_DEP_2) | instskip(NEXT) | instid1(VALU_DEP_1)
	v_ldexp_f32 v14, v14, v15
	v_add_f32_e32 v17, 1.0, v14
	s_delay_alu instid0(VALU_DEP_1) | instskip(NEXT) | instid1(VALU_DEP_1)
	v_dual_add_f32 v13, v13, v16 :: v_dual_add_f32 v16, -1.0, v17
	v_ldexp_f32 v13, v13, v15
	s_delay_alu instid0(VALU_DEP_2) | instskip(NEXT) | instid1(VALU_DEP_1)
	v_dual_sub_f32 v16, v14, v16 :: v_dual_add_f32 v15, -1.0, v14
	v_add_f32_e32 v16, v13, v16
	s_delay_alu instid0(VALU_DEP_2) | instskip(NEXT) | instid1(VALU_DEP_1)
	v_add_f32_e32 v18, 1.0, v15
	v_sub_f32_e32 v14, v14, v18
	s_delay_alu instid0(VALU_DEP_1) | instskip(NEXT) | instid1(VALU_DEP_1)
	v_add_f32_e32 v13, v13, v14
	v_dual_add_f32 v19, v15, v13 :: v_dual_add_f32 v18, v17, v16
	s_delay_alu instid0(VALU_DEP_1) | instskip(NEXT) | instid1(VALU_DEP_2)
	v_sub_f32_e32 v15, v19, v15
	v_rcp_f32_e32 v14, v18
	v_sub_f32_e32 v17, v18, v17
	s_delay_alu instid0(VALU_DEP_1) | instskip(SKIP_2) | instid1(VALU_DEP_1)
	v_dual_sub_f32 v13, v13, v15 :: v_dual_sub_f32 v16, v16, v17
	s_waitcnt_depctr 0xfff
	v_mul_f32_e32 v20, v19, v14
	v_mul_f32_e32 v21, v18, v20
	s_delay_alu instid0(VALU_DEP_1) | instskip(NEXT) | instid1(VALU_DEP_1)
	v_fma_f32 v17, v20, v18, -v21
	v_fmac_f32_e32 v17, v20, v16
	s_delay_alu instid0(VALU_DEP_1) | instskip(NEXT) | instid1(VALU_DEP_1)
	v_add_f32_e32 v22, v21, v17
	v_sub_f32_e32 v23, v19, v22
	v_sub_f32_e32 v15, v22, v21
	s_delay_alu instid0(VALU_DEP_2) | instskip(NEXT) | instid1(VALU_DEP_2)
	v_sub_f32_e32 v19, v19, v23
	v_sub_f32_e32 v15, v15, v17
	s_delay_alu instid0(VALU_DEP_2) | instskip(NEXT) | instid1(VALU_DEP_1)
	v_sub_f32_e32 v19, v19, v22
	v_add_f32_e32 v13, v13, v19
	s_delay_alu instid0(VALU_DEP_1) | instskip(NEXT) | instid1(VALU_DEP_1)
	v_add_f32_e32 v13, v15, v13
	v_add_f32_e32 v15, v23, v13
	s_delay_alu instid0(VALU_DEP_1) | instskip(NEXT) | instid1(VALU_DEP_1)
	v_mul_f32_e32 v17, v14, v15
	v_dual_sub_f32 v22, v23, v15 :: v_dual_mul_f32 v19, v18, v17
	s_delay_alu instid0(VALU_DEP_1) | instskip(NEXT) | instid1(VALU_DEP_2)
	v_add_f32_e32 v13, v13, v22
	v_fma_f32 v18, v17, v18, -v19
	s_delay_alu instid0(VALU_DEP_1) | instskip(NEXT) | instid1(VALU_DEP_1)
	v_fmac_f32_e32 v18, v17, v16
	v_add_f32_e32 v16, v19, v18
	s_delay_alu instid0(VALU_DEP_1) | instskip(SKIP_1) | instid1(VALU_DEP_2)
	v_sub_f32_e32 v21, v15, v16
	v_sub_f32_e32 v19, v16, v19
	;; [unrolled: 1-line block ×3, first 2 shown]
	s_delay_alu instid0(VALU_DEP_1) | instskip(NEXT) | instid1(VALU_DEP_1)
	v_sub_f32_e32 v15, v15, v16
	v_dual_sub_f32 v16, v19, v18 :: v_dual_add_f32 v13, v13, v15
	v_add_f32_e32 v15, v20, v17
	s_delay_alu instid0(VALU_DEP_1) | instskip(NEXT) | instid1(VALU_DEP_1)
	v_dual_add_f32 v13, v16, v13 :: v_dual_sub_f32 v16, v15, v20
	v_add_f32_e32 v13, v21, v13
	s_delay_alu instid0(VALU_DEP_1) | instskip(NEXT) | instid1(VALU_DEP_1)
	v_dual_sub_f32 v16, v17, v16 :: v_dual_mul_f32 v13, v14, v13
	v_add_f32_e32 v13, v16, v13
	s_delay_alu instid0(VALU_DEP_1) | instskip(NEXT) | instid1(VALU_DEP_1)
	v_add_f32_e32 v14, v15, v13
	v_mul_f32_e32 v16, v14, v14
	s_delay_alu instid0(VALU_DEP_1) | instskip(SKIP_1) | instid1(VALU_DEP_2)
	v_fmaak_f32 v17, s26, v16, 0x3ecc95a3
	v_mul_f32_e32 v18, v14, v16
	v_fmaak_f32 v16, v16, v17, 0x3f2aaada
	v_ldexp_f32 v17, v14, 1
	v_sub_f32_e32 v14, v14, v15
	s_delay_alu instid0(VALU_DEP_3) | instskip(NEXT) | instid1(VALU_DEP_2)
	v_mul_f32_e32 v16, v18, v16
	v_dual_mul_f32 v18, 0x3f317218, v12 :: v_dual_sub_f32 v13, v13, v14
	s_delay_alu instid0(VALU_DEP_2) | instskip(NEXT) | instid1(VALU_DEP_2)
	v_add_f32_e32 v15, v17, v16
	v_ldexp_f32 v13, v13, 1
	s_delay_alu instid0(VALU_DEP_2) | instskip(NEXT) | instid1(VALU_DEP_4)
	v_sub_f32_e32 v14, v15, v17
	v_fma_f32 v17, 0x3f317218, v12, -v18
	s_delay_alu instid0(VALU_DEP_1) | instskip(NEXT) | instid1(VALU_DEP_1)
	v_dual_sub_f32 v14, v16, v14 :: v_dual_fmac_f32 v17, 0xb102e308, v12
	v_add_f32_e32 v12, v13, v14
	s_delay_alu instid0(VALU_DEP_1) | instskip(NEXT) | instid1(VALU_DEP_1)
	v_add_f32_e32 v14, v15, v12
	v_sub_f32_e32 v15, v14, v15
	s_delay_alu instid0(VALU_DEP_1) | instskip(NEXT) | instid1(VALU_DEP_1)
	v_dual_sub_f32 v12, v12, v15 :: v_dual_add_f32 v13, v18, v17
	v_add_f32_e32 v16, v13, v14
	s_delay_alu instid0(VALU_DEP_1) | instskip(NEXT) | instid1(VALU_DEP_1)
	v_dual_sub_f32 v18, v13, v18 :: v_dual_sub_f32 v19, v16, v13
	v_dual_sub_f32 v17, v17, v18 :: v_dual_sub_f32 v20, v16, v19
	s_delay_alu instid0(VALU_DEP_1) | instskip(NEXT) | instid1(VALU_DEP_2)
	v_dual_sub_f32 v14, v14, v19 :: v_dual_add_f32 v15, v17, v12
	v_sub_f32_e32 v13, v13, v20
	s_delay_alu instid0(VALU_DEP_1) | instskip(NEXT) | instid1(VALU_DEP_3)
	v_add_f32_e32 v13, v14, v13
	v_sub_f32_e32 v14, v15, v17
	s_delay_alu instid0(VALU_DEP_2) | instskip(NEXT) | instid1(VALU_DEP_2)
	v_add_f32_e32 v13, v15, v13
	v_sub_f32_e32 v15, v15, v14
	v_sub_f32_e32 v12, v12, v14
	s_delay_alu instid0(VALU_DEP_2) | instskip(NEXT) | instid1(VALU_DEP_1)
	v_dual_add_f32 v18, v16, v13 :: v_dual_sub_f32 v15, v17, v15
	v_sub_f32_e32 v14, v18, v16
	s_delay_alu instid0(VALU_DEP_1) | instskip(NEXT) | instid1(VALU_DEP_1)
	v_dual_add_f32 v12, v12, v15 :: v_dual_sub_f32 v13, v13, v14
	v_add_f32_e32 v12, v12, v13
	s_delay_alu instid0(VALU_DEP_1) | instskip(NEXT) | instid1(VALU_DEP_1)
	v_add_f32_e32 v12, v18, v12
	v_cndmask_b32_e32 v12, v12, v11, vcc_lo
	v_cmp_ngt_f32_e32 vcc_lo, -1.0, v11
	s_delay_alu instid0(VALU_DEP_2) | instskip(SKIP_1) | instid1(VALU_DEP_2)
	v_cndmask_b32_e32 v12, 0x7fc00000, v12, vcc_lo
	v_cmp_neq_f32_e32 vcc_lo, -1.0, v11
	v_cndmask_b32_e32 v12, 0xff800000, v12, vcc_lo
	v_cmp_gt_f32_e64 vcc_lo, 0x33800000, |v11|
	s_delay_alu instid0(VALU_DEP_2) | instskip(NEXT) | instid1(VALU_DEP_1)
	v_cndmask_b32_e32 v11, v12, v11, vcc_lo
	v_mul_f32_e32 v12, 0.5, v11
.LBB353_32:                             ;   in Loop: Header=BB353_13 Depth=3
	s_or_b32 exec_lo, exec_lo, s2
.LBB353_33:                             ;   in Loop: Header=BB353_13 Depth=3
	s_delay_alu instid0(SALU_CYCLE_1)
	s_or_b32 exec_lo, exec_lo, s1
	v_max_f32_e64 v11, |v0|, |v0|
	v_max_f32_e64 v13, |v6|, |v6|
	v_frexp_mant_f32_e32 v14, v7
	v_frexp_exp_i32_f32_e32 v7, v7
	v_cmp_gt_f32_e64 vcc_lo, |v0|, |v6|
	v_cmp_gt_i32_e64 s1, 0, v6
	v_min_f32_e32 v11, v13, v11
	v_rcp_f32_e32 v13, v14
	v_cmp_class_f32_e64 s2, v6, 0x204
	s_delay_alu instid0(VALU_DEP_2)
	v_frexp_mant_f32_e32 v14, v11
	v_frexp_exp_i32_f32_e32 v11, v11
	s_waitcnt_depctr 0xfff
	v_mul_f32_e32 v13, v14, v13
	v_sub_nc_u32_e32 v7, v11, v7
	v_cndmask_b32_e64 v14, 0, 0x40490fdb, s1
	v_cmp_class_f32_e64 s1, v0, 0x204
	s_delay_alu instid0(VALU_DEP_3) | instskip(NEXT) | instid1(VALU_DEP_1)
	v_ldexp_f32 v7, v13, v7
	v_mul_f32_e32 v11, v7, v7
	s_delay_alu instid0(VALU_DEP_1) | instskip(NEXT) | instid1(VALU_DEP_1)
	v_fmaak_f32 v13, s27, v11, 0xbc7a590c
	v_fmaak_f32 v13, v11, v13, 0x3d29fb3f
	s_delay_alu instid0(VALU_DEP_1) | instskip(NEXT) | instid1(VALU_DEP_1)
	v_fmaak_f32 v13, v11, v13, 0xbd97d4d7
	v_fmaak_f32 v13, v11, v13, 0x3dd931b2
	;; [unrolled: 3-line block ×3, first 2 shown]
	s_delay_alu instid0(VALU_DEP_1) | instskip(NEXT) | instid1(VALU_DEP_1)
	v_fmaak_f32 v13, v11, v13, 0xbeaaaa62
	v_mul_f32_e32 v11, v11, v13
	s_delay_alu instid0(VALU_DEP_1) | instskip(NEXT) | instid1(VALU_DEP_1)
	v_fmac_f32_e32 v7, v7, v11
	v_sub_f32_e32 v11, 0x3fc90fdb, v7
	s_delay_alu instid0(VALU_DEP_1) | instskip(SKIP_1) | instid1(VALU_DEP_2)
	v_cndmask_b32_e32 v7, v7, v11, vcc_lo
	v_cmp_gt_f32_e32 vcc_lo, 0, v6
	v_sub_f32_e32 v11, 0x40490fdb, v7
	v_cndmask_b32_e32 v13, 0x3f490fdb, v8, vcc_lo
	s_delay_alu instid0(VALU_DEP_2) | instskip(SKIP_1) | instid1(VALU_DEP_2)
	v_cndmask_b32_e32 v7, v7, v11, vcc_lo
	v_cmp_eq_f32_e32 vcc_lo, 0, v0
	v_cndmask_b32_e32 v7, v7, v14, vcc_lo
	s_and_b32 vcc_lo, s2, s1
	s_delay_alu instid0(VALU_DEP_1) | instskip(SKIP_2) | instid1(VALU_DEP_3)
	v_cndmask_b32_e32 v7, v7, v13, vcc_lo
	v_cmp_o_f32_e32 vcc_lo, v6, v0
	v_add_f32_e32 v13, v4, v12
                                        ; implicit-def: $vgpr12
	v_cndmask_b32_e32 v6, 0x7fc00000, v7, vcc_lo
	s_delay_alu instid0(VALU_DEP_1) | instskip(NEXT) | instid1(VALU_DEP_1)
	v_bfi_b32 v0, 0x7fffffff, v6, v0
	v_add_f32_e32 v11, v5, v0
                                        ; implicit-def: $vgpr5
.LBB353_34:                             ;   in Loop: Header=BB353_13 Depth=3
	s_and_not1_saveexec_b32 s36, s36
	s_cbranch_execz .LBB353_11
; %bb.35:                               ;   in Loop: Header=BB353_13 Depth=3
	s_mov_b32 s37, exec_lo
	v_cmpx_ngt_f32_e32 0, v13
	s_cbranch_execz .LBB353_10
; %bb.36:                               ;   in Loop: Header=BB353_13 Depth=3
	v_and_b32_e32 v4, 0x7fffffff, v11
	v_cmp_ngt_f32_e64 s38, 0x48000000, |v11|
                                        ; implicit-def: $vgpr7
                                        ; implicit-def: $vgpr6
	s_delay_alu instid0(VALU_DEP_2) | instskip(SKIP_1) | instid1(VALU_DEP_2)
	v_lshrrev_b32_e32 v0, 23, v4
	v_and_or_b32 v14, v4, s15, 0x800000
	v_add_nc_u32_e32 v16, 0xffffff88, v0
	s_delay_alu instid0(VALU_DEP_4) | instskip(NEXT) | instid1(SALU_CYCLE_1)
	s_and_saveexec_b32 s1, s38
	s_xor_b32 s39, exec_lo, s1
	s_cbranch_execz .LBB353_38
; %bb.37:                               ;   in Loop: Header=BB353_13 Depth=3
	v_mad_u64_u32 v[6:7], null, 0xfe5163ab, v14, 0
	v_cmp_lt_u32_e32 vcc_lo, 63, v16
	s_delay_alu instid0(VALU_DEP_2) | instskip(SKIP_1) | instid1(VALU_DEP_1)
	v_mov_b32_e32 v0, v7
	v_cndmask_b32_e64 v7, 0, 0xffffffc0, vcc_lo
	v_add_nc_u32_e32 v7, v7, v16
	s_delay_alu instid0(VALU_DEP_1) | instskip(NEXT) | instid1(VALU_DEP_1)
	v_cmp_lt_u32_e64 s1, 31, v7
	v_cndmask_b32_e64 v13, 0, 0xffffffe0, s1
	s_delay_alu instid0(VALU_DEP_1) | instskip(SKIP_1) | instid1(VALU_DEP_2)
	v_add_nc_u32_e32 v7, v13, v7
	v_mad_u64_u32 v[17:18], null, 0x3c439041, v14, v[0:1]
	v_cmp_lt_u32_e64 s2, 31, v7
	s_delay_alu instid0(VALU_DEP_2) | instskip(NEXT) | instid1(VALU_DEP_1)
	v_mov_b32_e32 v0, v18
	v_mad_u64_u32 v[18:19], null, 0xdb629599, v14, v[0:1]
	s_delay_alu instid0(VALU_DEP_1) | instskip(NEXT) | instid1(VALU_DEP_2)
	v_mov_b32_e32 v0, v19
	v_cndmask_b32_e32 v6, v18, v6, vcc_lo
	s_delay_alu instid0(VALU_DEP_2) | instskip(NEXT) | instid1(VALU_DEP_1)
	v_mad_u64_u32 v[19:20], null, 0xf534ddc0, v14, v[0:1]
	v_mov_b32_e32 v0, v20
	s_delay_alu instid0(VALU_DEP_1) | instskip(NEXT) | instid1(VALU_DEP_1)
	v_mad_u64_u32 v[20:21], null, 0xfc2757d1, v14, v[0:1]
	v_mov_b32_e32 v0, v21
	s_delay_alu instid0(VALU_DEP_1) | instskip(NEXT) | instid1(VALU_DEP_1)
	v_mad_u64_u32 v[21:22], null, 0x4e441529, v14, v[0:1]
	v_dual_mov_b32 v0, v22 :: v_dual_cndmask_b32 v13, v21, v19
	s_delay_alu instid0(VALU_DEP_1) | instskip(SKIP_1) | instid1(VALU_DEP_1)
	v_mad_u64_u32 v[22:23], null, 0xa2f9836e, v14, v[0:1]
	v_cndmask_b32_e64 v0, 0, 0xffffffe0, s2
	v_dual_cndmask_b32 v15, v22, v20 :: v_dual_add_nc_u32 v0, v0, v7
	s_delay_alu instid0(VALU_DEP_3) | instskip(SKIP_1) | instid1(VALU_DEP_3)
	v_dual_cndmask_b32 v21, v23, v21 :: v_dual_cndmask_b32 v20, v20, v18
	v_cndmask_b32_e32 v7, v19, v17, vcc_lo
	v_sub_nc_u32_e32 v19, 32, v0
	s_delay_alu instid0(VALU_DEP_4) | instskip(NEXT) | instid1(VALU_DEP_4)
	v_cndmask_b32_e64 v17, v15, v13, s1
	v_cndmask_b32_e64 v15, v21, v15, s1
	;; [unrolled: 1-line block ×4, first 2 shown]
	v_cmp_eq_u32_e64 s3, 0, v0
	v_cndmask_b32_e64 v6, v7, v6, s1
	v_cndmask_b32_e64 v15, v15, v17, s2
	;; [unrolled: 1-line block ×4, first 2 shown]
	s_delay_alu instid0(VALU_DEP_4) | instskip(NEXT) | instid1(VALU_DEP_3)
	v_cndmask_b32_e64 v6, v20, v6, s2
	v_alignbit_b32 v21, v15, v17, v19
	s_delay_alu instid0(VALU_DEP_3) | instskip(NEXT) | instid1(VALU_DEP_3)
	v_alignbit_b32 v22, v17, v13, v19
	v_alignbit_b32 v19, v13, v6, v19
	s_delay_alu instid0(VALU_DEP_3) | instskip(NEXT) | instid1(VALU_DEP_3)
	v_cndmask_b32_e64 v0, v21, v15, s3
	v_cndmask_b32_e64 v15, v22, v17, s3
	s_delay_alu instid0(VALU_DEP_3) | instskip(NEXT) | instid1(VALU_DEP_3)
	v_cndmask_b32_e64 v13, v19, v13, s3
	v_bfe_u32 v17, v0, 29, 1
	s_delay_alu instid0(VALU_DEP_3) | instskip(NEXT) | instid1(VALU_DEP_3)
	v_alignbit_b32 v7, v0, v15, 30
	v_alignbit_b32 v15, v15, v13, 30
	;; [unrolled: 1-line block ×3, first 2 shown]
	s_delay_alu instid0(VALU_DEP_4) | instskip(NEXT) | instid1(VALU_DEP_1)
	v_sub_nc_u32_e32 v18, 0, v17
	v_xor_b32_e32 v20, v7, v18
	v_cmp_ne_u32_e32 vcc_lo, v7, v18
	v_xor_b32_e32 v13, v15, v18
	v_xor_b32_e32 v6, v6, v18
	s_delay_alu instid0(VALU_DEP_4) | instskip(NEXT) | instid1(VALU_DEP_1)
	v_clz_i32_u32_e32 v21, v20
	v_add_nc_u32_e32 v19, 1, v21
	s_delay_alu instid0(VALU_DEP_1) | instskip(NEXT) | instid1(VALU_DEP_1)
	v_cndmask_b32_e32 v7, 33, v19, vcc_lo
	v_sub_nc_u32_e32 v15, 32, v7
	s_delay_alu instid0(VALU_DEP_1) | instskip(SKIP_3) | instid1(VALU_DEP_3)
	v_alignbit_b32 v18, v20, v13, v15
	v_alignbit_b32 v6, v13, v6, v15
	v_lshrrev_b32_e32 v13, 29, v0
	v_lshrrev_b32_e32 v0, 30, v0
	v_alignbit_b32 v15, v18, v6, 9
	s_delay_alu instid0(VALU_DEP_3) | instskip(SKIP_1) | instid1(VALU_DEP_3)
	v_lshlrev_b32_e32 v13, 31, v13
	v_alignbit_b32 v18, v7, v18, 9
	v_clz_i32_u32_e32 v19, v15
	s_delay_alu instid0(VALU_DEP_2) | instskip(SKIP_1) | instid1(VALU_DEP_3)
	v_or_b32_e32 v18, v18, v13
	v_or_b32_e32 v13, 0x33800000, v13
	v_min_u32_e32 v19, 32, v19
	s_delay_alu instid0(VALU_DEP_3) | instskip(NEXT) | instid1(VALU_DEP_2)
	v_xor_b32_e32 v18, 1.0, v18
	v_sub_nc_u32_e32 v20, 31, v19
	v_add_lshl_u32 v7, v19, v7, 23
	s_delay_alu instid0(VALU_DEP_3) | instskip(NEXT) | instid1(VALU_DEP_3)
	v_mul_f32_e32 v19, 0x3fc90fda, v18
	v_alignbit_b32 v6, v15, v6, v20
	s_delay_alu instid0(VALU_DEP_3) | instskip(NEXT) | instid1(VALU_DEP_3)
	v_sub_nc_u32_e32 v7, v13, v7
	v_fma_f32 v13, 0x3fc90fda, v18, -v19
	s_delay_alu instid0(VALU_DEP_3) | instskip(NEXT) | instid1(VALU_DEP_2)
	v_lshrrev_b32_e32 v6, 9, v6
	v_fmac_f32_e32 v13, 0x33a22168, v18
	s_delay_alu instid0(VALU_DEP_2) | instskip(SKIP_1) | instid1(VALU_DEP_2)
	v_or_b32_e32 v6, v7, v6
	v_add_nc_u32_e32 v7, v17, v0
	v_fmac_f32_e32 v13, 0x3fc90fda, v6
	s_delay_alu instid0(VALU_DEP_1)
	v_add_f32_e32 v6, v19, v13
.LBB353_38:                             ;   in Loop: Header=BB353_13 Depth=3
	s_or_saveexec_b32 s1, s39
	v_mul_f32_e64 v0, 0x3f22f983, |v11|
	s_delay_alu instid0(VALU_DEP_1)
	v_rndne_f32_e32 v0, v0
	s_xor_b32 exec_lo, exec_lo, s1
; %bb.39:                               ;   in Loop: Header=BB353_13 Depth=3
	s_delay_alu instid0(VALU_DEP_1) | instskip(SKIP_1) | instid1(VALU_DEP_2)
	v_fma_f32 v6, 0xbfc90fda, v0, |v11|
	v_cvt_i32_f32_e32 v7, v0
	v_fmac_f32_e32 v6, 0xb3a22168, v0
	s_delay_alu instid0(VALU_DEP_1)
	v_fmac_f32_e32 v6, 0xa7c234c4, v0
; %bb.40:                               ;   in Loop: Header=BB353_13 Depth=3
	s_or_b32 exec_lo, exec_lo, s1
                                        ; implicit-def: $vgpr15
                                        ; implicit-def: $vgpr13
	s_and_saveexec_b32 s1, s38
	s_delay_alu instid0(SALU_CYCLE_1)
	s_xor_b32 s38, exec_lo, s1
	s_cbranch_execz .LBB353_42
; %bb.41:                               ;   in Loop: Header=BB353_13 Depth=3
	v_mad_u64_u32 v[17:18], null, 0xfe5163ab, v14, 0
	v_cmp_lt_u32_e32 vcc_lo, 63, v16
	v_cndmask_b32_e64 v13, 0, 0xffffffc0, vcc_lo
	s_delay_alu instid0(VALU_DEP_1) | instskip(NEXT) | instid1(VALU_DEP_1)
	v_dual_mov_b32 v0, v18 :: v_dual_add_nc_u32 v13, v13, v16
	v_mad_u64_u32 v[18:19], null, 0x3c439041, v14, v[0:1]
	s_delay_alu instid0(VALU_DEP_2) | instskip(NEXT) | instid1(VALU_DEP_2)
	v_cmp_lt_u32_e64 s1, 31, v13
	v_mov_b32_e32 v0, v19
	s_delay_alu instid0(VALU_DEP_1) | instskip(NEXT) | instid1(VALU_DEP_1)
	v_mad_u64_u32 v[19:20], null, 0xdb629599, v14, v[0:1]
	v_mov_b32_e32 v0, v20
	s_delay_alu instid0(VALU_DEP_1) | instskip(NEXT) | instid1(VALU_DEP_1)
	v_mad_u64_u32 v[20:21], null, 0xf534ddc0, v14, v[0:1]
	;; [unrolled: 3-line block ×3, first 2 shown]
	v_mov_b32_e32 v0, v22
	v_cndmask_b32_e64 v22, 0, 0xffffffe0, s1
	s_delay_alu instid0(VALU_DEP_2) | instskip(NEXT) | instid1(VALU_DEP_2)
	v_mad_u64_u32 v[15:16], null, 0x4e441529, v14, v[0:1]
	v_add_nc_u32_e32 v13, v22, v13
	s_delay_alu instid0(VALU_DEP_1) | instskip(NEXT) | instid1(VALU_DEP_3)
	v_cmp_lt_u32_e64 s2, 31, v13
	v_mov_b32_e32 v0, v16
	s_delay_alu instid0(VALU_DEP_1) | instskip(NEXT) | instid1(VALU_DEP_3)
	v_mad_u64_u32 v[22:23], null, 0xa2f9836e, v14, v[0:1]
	v_cndmask_b32_e64 v0, 0, 0xffffffe0, s2
	v_cndmask_b32_e32 v14, v15, v20, vcc_lo
	s_delay_alu instid0(VALU_DEP_2) | instskip(NEXT) | instid1(VALU_DEP_4)
	v_add_nc_u32_e32 v0, v0, v13
	v_dual_cndmask_b32 v16, v22, v21 :: v_dual_cndmask_b32 v15, v23, v15
	v_cndmask_b32_e32 v21, v21, v19, vcc_lo
	v_cndmask_b32_e32 v13, v20, v18, vcc_lo
	s_delay_alu instid0(VALU_DEP_4) | instskip(NEXT) | instid1(VALU_DEP_4)
	v_cmp_eq_u32_e64 s3, 0, v0
	v_cndmask_b32_e64 v18, v16, v14, s1
	v_cndmask_b32_e64 v15, v15, v16, s1
	;; [unrolled: 1-line block ×3, first 2 shown]
	v_sub_nc_u32_e32 v16, 32, v0
	v_cndmask_b32_e64 v20, v21, v13, s1
	s_delay_alu instid0(VALU_DEP_4) | instskip(NEXT) | instid1(VALU_DEP_4)
	v_cndmask_b32_e64 v15, v15, v18, s2
	v_cndmask_b32_e64 v18, v18, v14, s2
	s_delay_alu instid0(VALU_DEP_3) | instskip(NEXT) | instid1(VALU_DEP_2)
	v_cndmask_b32_e64 v14, v14, v20, s2
	v_alignbit_b32 v21, v15, v18, v16
	s_delay_alu instid0(VALU_DEP_2) | instskip(NEXT) | instid1(VALU_DEP_2)
	v_alignbit_b32 v22, v18, v14, v16
	v_cndmask_b32_e64 v0, v21, v15, s3
	v_cndmask_b32_e32 v15, v19, v17, vcc_lo
	s_delay_alu instid0(VALU_DEP_3) | instskip(NEXT) | instid1(VALU_DEP_3)
	v_cndmask_b32_e64 v17, v22, v18, s3
	v_bfe_u32 v18, v0, 29, 1
	s_delay_alu instid0(VALU_DEP_3) | instskip(NEXT) | instid1(VALU_DEP_3)
	v_cndmask_b32_e64 v13, v13, v15, s1
	v_alignbit_b32 v15, v0, v17, 30
	s_delay_alu instid0(VALU_DEP_3) | instskip(NEXT) | instid1(VALU_DEP_3)
	v_sub_nc_u32_e32 v19, 0, v18
	v_cndmask_b32_e64 v13, v20, v13, s2
	s_delay_alu instid0(VALU_DEP_2) | instskip(NEXT) | instid1(VALU_DEP_2)
	v_xor_b32_e32 v20, v15, v19
	v_alignbit_b32 v16, v14, v13, v16
	v_cmp_ne_u32_e32 vcc_lo, v15, v19
	s_delay_alu instid0(VALU_DEP_3) | instskip(NEXT) | instid1(VALU_DEP_3)
	v_clz_i32_u32_e32 v21, v20
	v_cndmask_b32_e64 v14, v16, v14, s3
	s_delay_alu instid0(VALU_DEP_2) | instskip(NEXT) | instid1(VALU_DEP_2)
	v_add_nc_u32_e32 v16, 1, v21
	v_alignbit_b32 v17, v17, v14, 30
	v_alignbit_b32 v13, v14, v13, 30
	s_delay_alu instid0(VALU_DEP_3) | instskip(NEXT) | instid1(VALU_DEP_3)
	v_cndmask_b32_e32 v15, 33, v16, vcc_lo
	v_xor_b32_e32 v14, v17, v19
	s_delay_alu instid0(VALU_DEP_3) | instskip(NEXT) | instid1(VALU_DEP_3)
	v_xor_b32_e32 v13, v13, v19
	v_sub_nc_u32_e32 v16, 32, v15
	s_delay_alu instid0(VALU_DEP_1) | instskip(NEXT) | instid1(VALU_DEP_3)
	v_alignbit_b32 v17, v20, v14, v16
	v_alignbit_b32 v13, v14, v13, v16
	v_lshrrev_b32_e32 v14, 29, v0
	v_lshrrev_b32_e32 v0, 30, v0
	s_delay_alu instid0(VALU_DEP_3) | instskip(NEXT) | instid1(VALU_DEP_3)
	v_alignbit_b32 v16, v17, v13, 9
	v_lshlrev_b32_e32 v14, 31, v14
	v_alignbit_b32 v17, v15, v17, 9
	s_delay_alu instid0(VALU_DEP_3) | instskip(NEXT) | instid1(VALU_DEP_2)
	v_clz_i32_u32_e32 v19, v16
	v_or_b32_e32 v17, v17, v14
	v_or_b32_e32 v14, 0x33800000, v14
	s_delay_alu instid0(VALU_DEP_3) | instskip(NEXT) | instid1(VALU_DEP_3)
	v_min_u32_e32 v19, 32, v19
	v_xor_b32_e32 v17, 1.0, v17
	s_delay_alu instid0(VALU_DEP_2) | instskip(SKIP_1) | instid1(VALU_DEP_3)
	v_sub_nc_u32_e32 v20, 31, v19
	v_add_lshl_u32 v15, v19, v15, 23
	v_mul_f32_e32 v19, 0x3fc90fda, v17
	s_delay_alu instid0(VALU_DEP_3) | instskip(NEXT) | instid1(VALU_DEP_3)
	v_alignbit_b32 v13, v16, v13, v20
	v_sub_nc_u32_e32 v14, v14, v15
	s_delay_alu instid0(VALU_DEP_3) | instskip(NEXT) | instid1(VALU_DEP_3)
	v_fma_f32 v15, 0x3fc90fda, v17, -v19
	v_lshrrev_b32_e32 v13, 9, v13
	s_delay_alu instid0(VALU_DEP_2) | instskip(NEXT) | instid1(VALU_DEP_2)
	v_fmac_f32_e32 v15, 0x33a22168, v17
	v_or_b32_e32 v13, v14, v13
	s_delay_alu instid0(VALU_DEP_1) | instskip(NEXT) | instid1(VALU_DEP_1)
	v_fmac_f32_e32 v15, 0x3fc90fda, v13
	v_add_f32_e32 v13, v19, v15
	v_add_nc_u32_e32 v15, v18, v0
                                        ; implicit-def: $vgpr0
	s_and_not1_saveexec_b32 s1, s38
	s_cbranch_execnz .LBB353_43
	s_branch .LBB353_44
.LBB353_42:                             ;   in Loop: Header=BB353_13 Depth=3
	s_and_not1_saveexec_b32 s1, s38
.LBB353_43:                             ;   in Loop: Header=BB353_13 Depth=3
	v_fma_f32 v13, 0xbfc90fda, v0, |v11|
	v_cvt_i32_f32_e32 v15, v0
	s_delay_alu instid0(VALU_DEP_2) | instskip(NEXT) | instid1(VALU_DEP_1)
	v_fmac_f32_e32 v13, 0xb3a22168, v0
	v_fmac_f32_e32 v13, 0xa7c234c4, v0
.LBB353_44:                             ;   in Loop: Header=BB353_13 Depth=3
	s_or_b32 exec_lo, exec_lo, s1
	v_and_b32_e32 v14, 0x7fffffff, v5
	v_cmp_ngt_f32_e64 s38, 0x48000000, |v5|
                                        ; implicit-def: $vgpr17
                                        ; implicit-def: $vgpr16
	s_delay_alu instid0(VALU_DEP_2) | instskip(SKIP_1) | instid1(VALU_DEP_2)
	v_lshrrev_b32_e32 v0, 23, v14
	v_and_or_b32 v18, v14, s15, 0x800000
	v_add_nc_u32_e32 v19, 0xffffff88, v0
	s_delay_alu instid0(VALU_DEP_4) | instskip(NEXT) | instid1(SALU_CYCLE_1)
	s_and_saveexec_b32 s1, s38
	s_xor_b32 s39, exec_lo, s1
	s_cbranch_execz .LBB353_46
; %bb.45:                               ;   in Loop: Header=BB353_13 Depth=3
	v_mad_u64_u32 v[16:17], null, 0xfe5163ab, v18, 0
	v_cmp_lt_u32_e32 vcc_lo, 63, v19
	s_delay_alu instid0(VALU_DEP_2) | instskip(SKIP_1) | instid1(VALU_DEP_1)
	v_mov_b32_e32 v0, v17
	v_cndmask_b32_e64 v17, 0, 0xffffffc0, vcc_lo
	v_add_nc_u32_e32 v17, v17, v19
	s_delay_alu instid0(VALU_DEP_1) | instskip(NEXT) | instid1(VALU_DEP_1)
	v_cmp_lt_u32_e64 s1, 31, v17
	v_cndmask_b32_e64 v26, 0, 0xffffffe0, s1
	s_delay_alu instid0(VALU_DEP_1) | instskip(SKIP_1) | instid1(VALU_DEP_2)
	v_add_nc_u32_e32 v17, v26, v17
	v_mad_u64_u32 v[20:21], null, 0x3c439041, v18, v[0:1]
	v_cmp_lt_u32_e64 s2, 31, v17
	s_delay_alu instid0(VALU_DEP_2) | instskip(NEXT) | instid1(VALU_DEP_1)
	v_mov_b32_e32 v0, v21
	v_mad_u64_u32 v[21:22], null, 0xdb629599, v18, v[0:1]
	s_delay_alu instid0(VALU_DEP_1) | instskip(NEXT) | instid1(VALU_DEP_2)
	v_mov_b32_e32 v0, v22
	v_cndmask_b32_e32 v16, v21, v16, vcc_lo
	s_delay_alu instid0(VALU_DEP_2) | instskip(NEXT) | instid1(VALU_DEP_1)
	v_mad_u64_u32 v[22:23], null, 0xf534ddc0, v18, v[0:1]
	v_mov_b32_e32 v0, v23
	s_delay_alu instid0(VALU_DEP_1) | instskip(NEXT) | instid1(VALU_DEP_1)
	v_mad_u64_u32 v[23:24], null, 0xfc2757d1, v18, v[0:1]
	v_mov_b32_e32 v0, v24
	s_delay_alu instid0(VALU_DEP_1) | instskip(NEXT) | instid1(VALU_DEP_1)
	v_mad_u64_u32 v[24:25], null, 0x4e441529, v18, v[0:1]
	v_dual_mov_b32 v0, v25 :: v_dual_cndmask_b32 v27, v24, v22
	s_delay_alu instid0(VALU_DEP_1) | instskip(SKIP_1) | instid1(VALU_DEP_1)
	v_mad_u64_u32 v[25:26], null, 0xa2f9836e, v18, v[0:1]
	v_cndmask_b32_e64 v0, 0, 0xffffffe0, s2
	v_dual_cndmask_b32 v25, v25, v23 :: v_dual_add_nc_u32 v0, v0, v17
	s_delay_alu instid0(VALU_DEP_3) | instskip(SKIP_1) | instid1(VALU_DEP_3)
	v_dual_cndmask_b32 v24, v26, v24 :: v_dual_cndmask_b32 v23, v23, v21
	v_cndmask_b32_e32 v17, v22, v20, vcc_lo
	v_cmp_eq_u32_e64 s3, 0, v0
	s_delay_alu instid0(VALU_DEP_4) | instskip(NEXT) | instid1(VALU_DEP_4)
	v_cndmask_b32_e64 v20, v25, v27, s1
	v_cndmask_b32_e64 v22, v24, v25, s1
	;; [unrolled: 1-line block ×3, first 2 shown]
	v_sub_nc_u32_e32 v25, 32, v0
	v_cndmask_b32_e64 v23, v23, v17, s1
	v_cndmask_b32_e64 v16, v17, v16, s1
	;; [unrolled: 1-line block ×4, first 2 shown]
	s_delay_alu instid0(VALU_DEP_4) | instskip(NEXT) | instid1(VALU_DEP_4)
	v_cndmask_b32_e64 v24, v24, v23, s2
	v_cndmask_b32_e64 v16, v23, v16, s2
	s_delay_alu instid0(VALU_DEP_3) | instskip(NEXT) | instid1(VALU_DEP_3)
	v_alignbit_b32 v26, v22, v20, v25
	v_alignbit_b32 v27, v20, v24, v25
	s_delay_alu instid0(VALU_DEP_3) | instskip(NEXT) | instid1(VALU_DEP_3)
	v_alignbit_b32 v25, v24, v16, v25
	v_cndmask_b32_e64 v0, v26, v22, s3
	s_delay_alu instid0(VALU_DEP_3) | instskip(NEXT) | instid1(VALU_DEP_3)
	v_cndmask_b32_e64 v20, v27, v20, s3
	v_cndmask_b32_e64 v24, v25, v24, s3
	s_delay_alu instid0(VALU_DEP_3) | instskip(NEXT) | instid1(VALU_DEP_3)
	v_bfe_u32 v21, v0, 29, 1
	v_alignbit_b32 v17, v0, v20, 30
	s_delay_alu instid0(VALU_DEP_3) | instskip(SKIP_1) | instid1(VALU_DEP_4)
	v_alignbit_b32 v20, v20, v24, 30
	v_alignbit_b32 v16, v24, v16, 30
	v_sub_nc_u32_e32 v22, 0, v21
	s_delay_alu instid0(VALU_DEP_1) | instskip(SKIP_3) | instid1(VALU_DEP_4)
	v_xor_b32_e32 v23, v17, v22
	v_cmp_ne_u32_e32 vcc_lo, v17, v22
	v_xor_b32_e32 v20, v20, v22
	v_xor_b32_e32 v16, v16, v22
	v_clz_i32_u32_e32 v26, v23
	s_delay_alu instid0(VALU_DEP_1) | instskip(NEXT) | instid1(VALU_DEP_1)
	v_add_nc_u32_e32 v25, 1, v26
	v_cndmask_b32_e32 v17, 33, v25, vcc_lo
	s_delay_alu instid0(VALU_DEP_1) | instskip(NEXT) | instid1(VALU_DEP_1)
	v_sub_nc_u32_e32 v24, 32, v17
	v_alignbit_b32 v22, v23, v20, v24
	v_alignbit_b32 v16, v20, v16, v24
	v_lshrrev_b32_e32 v20, 29, v0
	v_lshrrev_b32_e32 v0, 30, v0
	s_delay_alu instid0(VALU_DEP_3) | instskip(NEXT) | instid1(VALU_DEP_3)
	v_alignbit_b32 v23, v22, v16, 9
	v_lshlrev_b32_e32 v20, 31, v20
	v_alignbit_b32 v22, v17, v22, 9
	s_delay_alu instid0(VALU_DEP_3) | instskip(NEXT) | instid1(VALU_DEP_2)
	v_clz_i32_u32_e32 v24, v23
	v_or_b32_e32 v22, v22, v20
	v_or_b32_e32 v20, 0x33800000, v20
	s_delay_alu instid0(VALU_DEP_3) | instskip(NEXT) | instid1(VALU_DEP_3)
	v_min_u32_e32 v24, 32, v24
	v_xor_b32_e32 v22, 1.0, v22
	s_delay_alu instid0(VALU_DEP_2) | instskip(SKIP_1) | instid1(VALU_DEP_3)
	v_sub_nc_u32_e32 v25, 31, v24
	v_add_lshl_u32 v17, v24, v17, 23
	v_mul_f32_e32 v24, 0x3fc90fda, v22
	s_delay_alu instid0(VALU_DEP_3) | instskip(NEXT) | instid1(VALU_DEP_3)
	v_alignbit_b32 v16, v23, v16, v25
	v_sub_nc_u32_e32 v17, v20, v17
	s_delay_alu instid0(VALU_DEP_2) | instskip(NEXT) | instid1(VALU_DEP_1)
	v_lshrrev_b32_e32 v16, 9, v16
	v_or_b32_e32 v16, v17, v16
	v_add_nc_u32_e32 v17, v21, v0
	v_fma_f32 v20, 0x3fc90fda, v22, -v24
	s_delay_alu instid0(VALU_DEP_1) | instskip(NEXT) | instid1(VALU_DEP_1)
	v_fmac_f32_e32 v20, 0x33a22168, v22
	v_fmac_f32_e32 v20, 0x3fc90fda, v16
	s_delay_alu instid0(VALU_DEP_1)
	v_add_f32_e32 v16, v24, v20
.LBB353_46:                             ;   in Loop: Header=BB353_13 Depth=3
	s_or_saveexec_b32 s1, s39
	v_mul_f32_e64 v0, 0x3f22f983, |v5|
	s_delay_alu instid0(VALU_DEP_1)
	v_rndne_f32_e32 v21, v0
	s_xor_b32 exec_lo, exec_lo, s1
; %bb.47:                               ;   in Loop: Header=BB353_13 Depth=3
	s_delay_alu instid0(VALU_DEP_1) | instskip(SKIP_1) | instid1(VALU_DEP_2)
	v_fma_f32 v16, 0xbfc90fda, v21, |v5|
	v_cvt_i32_f32_e32 v17, v21
	v_fmac_f32_e32 v16, 0xb3a22168, v21
	s_delay_alu instid0(VALU_DEP_1)
	v_fmac_f32_e32 v16, 0xa7c234c4, v21
; %bb.48:                               ;   in Loop: Header=BB353_13 Depth=3
	s_or_b32 exec_lo, exec_lo, s1
                                        ; implicit-def: $vgpr20
                                        ; implicit-def: $vgpr0
	s_and_saveexec_b32 s1, s38
	s_delay_alu instid0(SALU_CYCLE_1)
	s_xor_b32 s38, exec_lo, s1
	s_cbranch_execz .LBB353_50
; %bb.49:                               ;   in Loop: Header=BB353_13 Depth=3
	v_mad_u64_u32 v[20:21], null, 0xfe5163ab, v18, 0
	v_cmp_lt_u32_e32 vcc_lo, 63, v19
	v_cndmask_b32_e64 v26, 0, 0xffffffc0, vcc_lo
	s_delay_alu instid0(VALU_DEP_1) | instskip(NEXT) | instid1(VALU_DEP_1)
	v_dual_mov_b32 v0, v21 :: v_dual_add_nc_u32 v19, v26, v19
	v_mad_u64_u32 v[21:22], null, 0x3c439041, v18, v[0:1]
	s_delay_alu instid0(VALU_DEP_2) | instskip(NEXT) | instid1(VALU_DEP_1)
	v_cmp_lt_u32_e64 s1, 31, v19
	v_cndmask_b32_e64 v27, 0, 0xffffffe0, s1
	s_delay_alu instid0(VALU_DEP_1) | instskip(NEXT) | instid1(VALU_DEP_1)
	v_dual_mov_b32 v0, v22 :: v_dual_add_nc_u32 v19, v27, v19
	v_mad_u64_u32 v[22:23], null, 0xdb629599, v18, v[0:1]
	s_delay_alu instid0(VALU_DEP_2) | instskip(NEXT) | instid1(VALU_DEP_2)
	v_cmp_lt_u32_e64 s2, 31, v19
	v_mov_b32_e32 v0, v23
	s_delay_alu instid0(VALU_DEP_3) | instskip(NEXT) | instid1(VALU_DEP_2)
	v_cndmask_b32_e32 v20, v22, v20, vcc_lo
	v_mad_u64_u32 v[23:24], null, 0xf534ddc0, v18, v[0:1]
	s_delay_alu instid0(VALU_DEP_1) | instskip(NEXT) | instid1(VALU_DEP_1)
	v_mov_b32_e32 v0, v24
	v_mad_u64_u32 v[24:25], null, 0xfc2757d1, v18, v[0:1]
	s_delay_alu instid0(VALU_DEP_1) | instskip(NEXT) | instid1(VALU_DEP_1)
	v_mov_b32_e32 v0, v25
	v_mad_u64_u32 v[25:26], null, 0x4e441529, v18, v[0:1]
	s_delay_alu instid0(VALU_DEP_1) | instskip(NEXT) | instid1(VALU_DEP_1)
	v_mov_b32_e32 v0, v26
	v_mad_u64_u32 v[26:27], null, 0xa2f9836e, v18, v[0:1]
	v_cndmask_b32_e64 v0, 0, 0xffffffe0, s2
	s_delay_alu instid0(VALU_DEP_4) | instskip(NEXT) | instid1(VALU_DEP_2)
	v_cndmask_b32_e32 v18, v25, v23, vcc_lo
	v_add_nc_u32_e32 v0, v0, v19
	s_delay_alu instid0(VALU_DEP_4) | instskip(SKIP_1) | instid1(VALU_DEP_3)
	v_dual_cndmask_b32 v26, v26, v24 :: v_dual_cndmask_b32 v25, v27, v25
	v_dual_cndmask_b32 v24, v24, v22 :: v_dual_cndmask_b32 v19, v23, v21
	v_cmp_eq_u32_e64 s3, 0, v0
	s_delay_alu instid0(VALU_DEP_3) | instskip(NEXT) | instid1(VALU_DEP_4)
	v_cndmask_b32_e64 v21, v26, v18, s1
	v_cndmask_b32_e64 v23, v25, v26, s1
	s_delay_alu instid0(VALU_DEP_4)
	v_cndmask_b32_e64 v18, v18, v24, s1
	v_sub_nc_u32_e32 v25, 32, v0
	v_cndmask_b32_e64 v24, v24, v19, s1
	v_cndmask_b32_e64 v19, v19, v20, s1
	;; [unrolled: 1-line block ×4, first 2 shown]
	s_delay_alu instid0(VALU_DEP_4) | instskip(NEXT) | instid1(VALU_DEP_4)
	v_cndmask_b32_e64 v18, v18, v24, s2
	v_cndmask_b32_e64 v19, v24, v19, s2
	s_delay_alu instid0(VALU_DEP_3) | instskip(NEXT) | instid1(VALU_DEP_3)
	v_alignbit_b32 v26, v23, v21, v25
	v_alignbit_b32 v27, v21, v18, v25
	s_delay_alu instid0(VALU_DEP_3) | instskip(NEXT) | instid1(VALU_DEP_3)
	v_alignbit_b32 v25, v18, v19, v25
	v_cndmask_b32_e64 v0, v26, v23, s3
	s_delay_alu instid0(VALU_DEP_3) | instskip(NEXT) | instid1(VALU_DEP_3)
	v_cndmask_b32_e64 v21, v27, v21, s3
	v_cndmask_b32_e64 v18, v25, v18, s3
	s_delay_alu instid0(VALU_DEP_3) | instskip(NEXT) | instid1(VALU_DEP_3)
	v_bfe_u32 v22, v0, 29, 1
	v_alignbit_b32 v20, v0, v21, 30
	s_delay_alu instid0(VALU_DEP_3) | instskip(SKIP_1) | instid1(VALU_DEP_4)
	v_alignbit_b32 v21, v21, v18, 30
	v_alignbit_b32 v18, v18, v19, 30
	v_sub_nc_u32_e32 v23, 0, v22
	s_delay_alu instid0(VALU_DEP_1) | instskip(SKIP_3) | instid1(VALU_DEP_4)
	v_xor_b32_e32 v24, v20, v23
	v_cmp_ne_u32_e32 vcc_lo, v20, v23
	v_xor_b32_e32 v19, v21, v23
	v_xor_b32_e32 v18, v18, v23
	v_clz_i32_u32_e32 v26, v24
	s_delay_alu instid0(VALU_DEP_1) | instskip(NEXT) | instid1(VALU_DEP_1)
	v_add_nc_u32_e32 v25, 1, v26
	v_cndmask_b32_e32 v20, 33, v25, vcc_lo
	s_delay_alu instid0(VALU_DEP_1) | instskip(NEXT) | instid1(VALU_DEP_1)
	v_sub_nc_u32_e32 v21, 32, v20
	v_alignbit_b32 v23, v24, v19, v21
	v_alignbit_b32 v18, v19, v18, v21
	v_lshrrev_b32_e32 v19, 29, v0
	s_delay_alu instid0(VALU_DEP_2) | instskip(NEXT) | instid1(VALU_DEP_2)
	v_alignbit_b32 v21, v23, v18, 9
	v_lshlrev_b32_e32 v19, 31, v19
	v_alignbit_b32 v23, v20, v23, 9
	s_delay_alu instid0(VALU_DEP_3) | instskip(NEXT) | instid1(VALU_DEP_2)
	v_clz_i32_u32_e32 v24, v21
	v_or_b32_e32 v23, v23, v19
	v_or_b32_e32 v19, 0x33800000, v19
	s_delay_alu instid0(VALU_DEP_3) | instskip(NEXT) | instid1(VALU_DEP_3)
	v_min_u32_e32 v24, 32, v24
	v_xor_b32_e32 v23, 1.0, v23
	s_delay_alu instid0(VALU_DEP_2) | instskip(SKIP_1) | instid1(VALU_DEP_3)
	v_sub_nc_u32_e32 v25, 31, v24
	v_add_lshl_u32 v20, v24, v20, 23
	v_mul_f32_e32 v24, 0x3fc90fda, v23
	s_delay_alu instid0(VALU_DEP_3) | instskip(NEXT) | instid1(VALU_DEP_3)
	v_alignbit_b32 v18, v21, v18, v25
	v_sub_nc_u32_e32 v19, v19, v20
	s_delay_alu instid0(VALU_DEP_3) | instskip(NEXT) | instid1(VALU_DEP_3)
	v_fma_f32 v20, 0x3fc90fda, v23, -v24
                                        ; implicit-def: $vgpr21
	v_lshrrev_b32_e32 v18, 9, v18
	s_delay_alu instid0(VALU_DEP_2) | instskip(NEXT) | instid1(VALU_DEP_2)
	v_fmac_f32_e32 v20, 0x33a22168, v23
	v_or_b32_e32 v18, v19, v18
	s_delay_alu instid0(VALU_DEP_1) | instskip(SKIP_1) | instid1(VALU_DEP_2)
	v_fmac_f32_e32 v20, 0x3fc90fda, v18
	v_lshrrev_b32_e32 v18, 30, v0
	v_add_f32_e32 v0, v24, v20
	s_delay_alu instid0(VALU_DEP_2)
	v_add_nc_u32_e32 v20, v22, v18
	s_and_not1_saveexec_b32 s1, s38
	s_cbranch_execnz .LBB353_51
	s_branch .LBB353_52
.LBB353_50:                             ;   in Loop: Header=BB353_13 Depth=3
	s_and_not1_saveexec_b32 s1, s38
.LBB353_51:                             ;   in Loop: Header=BB353_13 Depth=3
	v_fma_f32 v0, 0xbfc90fda, v21, |v5|
	v_cvt_i32_f32_e32 v20, v21
	s_delay_alu instid0(VALU_DEP_2) | instskip(NEXT) | instid1(VALU_DEP_1)
	v_fmac_f32_e32 v0, 0xb3a22168, v21
	v_fmac_f32_e32 v0, 0xa7c234c4, v21
.LBB353_52:                             ;   in Loop: Header=BB353_13 Depth=3
	s_or_b32 exec_lo, exec_lo, s1
	v_dual_mul_f32 v18, v6, v6 :: v_dual_lshlrev_b32 v19, 30, v7
	v_mul_f32_e32 v21, v13, v13
	v_xor_b32_e32 v4, v4, v12
	v_xor_b32_e32 v14, v14, v5
	s_delay_alu instid0(VALU_DEP_4) | instskip(NEXT) | instid1(VALU_DEP_4)
	v_fmaak_f32 v22, s25, v18, 0x3c0881c4
	v_dual_fmaak_f32 v23, s23, v18, 0xbab64f3b :: v_dual_fmaak_f32 v24, s23, v21, 0xbab64f3b
	v_dual_fmaak_f32 v12, s25, v21, 0x3c0881c4 :: v_dual_and_b32 v7, 1, v7
	s_delay_alu instid0(VALU_DEP_3) | instskip(NEXT) | instid1(VALU_DEP_3)
	v_dual_fmaak_f32 v22, v18, v22, 0xbe2aaa9d :: v_dual_and_b32 v25, 1, v15
	v_dual_fmaak_f32 v23, v18, v23, 0x3d2aabf7 :: v_dual_fmaak_f32 v24, v21, v24, 0x3d2aabf7
	s_delay_alu instid0(VALU_DEP_3) | instskip(NEXT) | instid1(VALU_DEP_3)
	v_dual_fmaak_f32 v12, v21, v12, 0xbe2aaa9d :: v_dual_lshlrev_b32 v15, 30, v15
	v_dual_mul_f32 v22, v18, v22 :: v_dual_and_b32 v19, 0x80000000, v19
	s_delay_alu instid0(VALU_DEP_2) | instskip(SKIP_1) | instid1(VALU_DEP_3)
	v_dual_fmaak_f32 v23, v18, v23, 0xbf000004 :: v_dual_mul_f32 v12, v21, v12
	v_cmp_eq_u32_e32 vcc_lo, 0, v7
	v_fmac_f32_e32 v6, v6, v22
	v_cmp_class_f32_e64 s1, v5, 0x1f8
	s_delay_alu instid0(VALU_DEP_4)
	v_fma_f32 v18, v18, v23, 1.0
	v_fmac_f32_e32 v13, v13, v12
	v_mul_f32_e32 v7, v16, v16
	v_fmaak_f32 v24, v21, v24, 0xbf000004
	v_lshlrev_b32_e32 v22, 30, v17
	v_cndmask_b32_e32 v6, v18, v6, vcc_lo
	v_mul_f32_e32 v18, v0, v0
	v_cmp_eq_u32_e32 vcc_lo, 0, v25
	v_fma_f32 v12, v21, v24, 1.0
	s_delay_alu instid0(VALU_DEP_4) | instskip(SKIP_1) | instid1(VALU_DEP_3)
	v_xor3_b32 v4, v4, v19, v6
	v_and_b32_e32 v17, 1, v17
	v_cndmask_b32_e64 v12, -v13, v12, vcc_lo
	v_fmaak_f32 v13, s25, v7, 0x3c0881c4
	v_fmaak_f32 v19, s25, v18, 0x3c0881c4
	s_delay_alu instid0(VALU_DEP_4) | instskip(NEXT) | instid1(VALU_DEP_2)
	v_cmp_eq_u32_e32 vcc_lo, 0, v17
	v_fmaak_f32 v19, v18, v19, 0xbe2aaa9d
	s_delay_alu instid0(VALU_DEP_1) | instskip(NEXT) | instid1(VALU_DEP_1)
	v_dual_mul_f32 v19, v18, v19 :: v_dual_and_b32 v22, 0x80000000, v22
	v_dual_fmaak_f32 v13, v7, v13, 0xbe2aaa9d :: v_dual_fmac_f32 v0, v0, v19
	s_delay_alu instid0(VALU_DEP_1) | instskip(NEXT) | instid1(VALU_DEP_1)
	v_mul_f32_e32 v13, v7, v13
	v_dual_fmaak_f32 v21, s23, v18, 0xbab64f3b :: v_dual_fmac_f32 v16, v16, v13
	s_delay_alu instid0(VALU_DEP_1) | instskip(SKIP_2) | instid1(VALU_DEP_3)
	v_fmaak_f32 v21, v18, v21, 0x3d2aabf7
	v_and_b32_e32 v6, 0x80000000, v15
	v_fmaak_f32 v15, s23, v7, 0xbab64f3b
	v_fmaak_f32 v21, v18, v21, 0xbf000004
	s_delay_alu instid0(VALU_DEP_1) | instskip(NEXT) | instid1(VALU_DEP_3)
	v_fma_f32 v13, v18, v21, 1.0
	v_dual_fmaak_f32 v15, v7, v15, 0x3d2aabf7 :: v_dual_lshlrev_b32 v18, 30, v20
	s_delay_alu instid0(VALU_DEP_1) | instskip(NEXT) | instid1(VALU_DEP_1)
	v_fmaak_f32 v15, v7, v15, 0xbf000004
	v_fma_f32 v7, v7, v15, 1.0
	v_and_b32_e32 v15, 1, v20
	s_delay_alu instid0(VALU_DEP_2) | instskip(NEXT) | instid1(VALU_DEP_2)
	v_cndmask_b32_e32 v7, v7, v16, vcc_lo
	v_cmp_eq_u32_e32 vcc_lo, 0, v15
	v_xor_b32_e32 v6, v6, v12
	s_delay_alu instid0(VALU_DEP_3) | instskip(SKIP_3) | instid1(VALU_DEP_2)
	v_xor3_b32 v7, v14, v22, v7
	v_cndmask_b32_e64 v0, -v0, v13, vcc_lo
	v_and_b32_e32 v13, 0x80000000, v18
	v_cmp_class_f32_e64 vcc_lo, v11, 0x1f8
	v_xor_b32_e32 v0, v13, v0
	v_cndmask_b32_e32 v5, 0x7fc00000, v6, vcc_lo
	v_cndmask_b32_e32 v4, 0x7fc00000, v4, vcc_lo
	v_cndmask_b32_e64 v6, 0x7fc00000, v7, s1
	s_delay_alu instid0(VALU_DEP_4) | instskip(NEXT) | instid1(VALU_DEP_4)
	v_cndmask_b32_e64 v0, 0x7fc00000, v0, s1
	v_mul_f32_e32 v7, 0x7f800000, v5
	v_cmp_neq_f32_e32 vcc_lo, 0, v5
	s_delay_alu instid0(VALU_DEP_3) | instskip(NEXT) | instid1(VALU_DEP_3)
	v_dual_mul_f32 v12, 0x7f800000, v6 :: v_dual_mul_f32 v11, 0x7f800000, v0
	v_cndmask_b32_e32 v5, 0, v7, vcc_lo
	v_cmp_neq_f32_e32 vcc_lo, 0, v0
	s_delay_alu instid0(VALU_DEP_3) | instskip(SKIP_1) | instid1(VALU_DEP_2)
	v_dual_mul_f32 v7, 0x7f800000, v4 :: v_dual_cndmask_b32 v0, 0, v11
	v_cmp_neq_f32_e32 vcc_lo, 0, v4
	v_dual_add_f32 v5, v5, v0 :: v_dual_cndmask_b32 v4, 0, v7
	v_cmp_neq_f32_e32 vcc_lo, 0, v6
	s_delay_alu instid0(VALU_DEP_2) | instskip(NEXT) | instid1(VALU_DEP_1)
	v_dual_add_f32 v13, -1.0, v5 :: v_dual_cndmask_b32 v6, 0, v12
	v_add_f32_e32 v0, v4, v6
	s_delay_alu instid0(VALU_DEP_1) | instskip(NEXT) | instid1(VALU_DEP_1)
	v_max_f32_e64 v6, |v13|, |v0|
	v_cvt_f64_f32_e32 v[4:5], v6
	v_cmp_eq_f32_e32 vcc_lo, 0x7f800000, v6
	s_delay_alu instid0(VALU_DEP_2) | instskip(NEXT) | instid1(VALU_DEP_1)
	v_frexp_exp_i32_f64_e32 v4, v[4:5]
	v_sub_nc_u32_e32 v5, 0, v4
	s_delay_alu instid0(VALU_DEP_1) | instskip(SKIP_1) | instid1(VALU_DEP_2)
	v_ldexp_f32 v7, |v0|, v5
	v_ldexp_f32 v5, |v13|, v5
	v_mul_f32_e32 v7, v7, v7
	s_delay_alu instid0(VALU_DEP_1) | instskip(NEXT) | instid1(VALU_DEP_1)
	v_fmac_f32_e32 v7, v5, v5
	v_sqrt_f32_e32 v5, v7
	s_waitcnt_depctr 0xfff
	v_ldexp_f32 v5, v5, v4
	v_add_f32_e32 v4, 1.0, v13
	s_delay_alu instid0(VALU_DEP_2) | instskip(NEXT) | instid1(VALU_DEP_2)
	v_cmp_ngt_f32_e64 s1, 0.5, v5
	v_max_f32_e64 v5, |v4|, |v0|
	s_delay_alu instid0(VALU_DEP_2) | instskip(NEXT) | instid1(SALU_CYCLE_1)
	s_or_b32 s1, vcc_lo, s1
	s_and_saveexec_b32 s2, s1
	s_delay_alu instid0(SALU_CYCLE_1)
	s_xor_b32 s2, exec_lo, s2
	s_cbranch_execz .LBB353_54
; %bb.53:                               ;   in Loop: Header=BB353_13 Depth=3
	v_cvt_f64_f32_e32 v[6:7], v5
	v_cmp_neq_f32_e32 vcc_lo, 0x7f800000, v5
	s_delay_alu instid0(VALU_DEP_2) | instskip(NEXT) | instid1(VALU_DEP_1)
	v_frexp_exp_i32_f64_e32 v6, v[6:7]
	v_sub_nc_u32_e32 v7, 0, v6
	s_delay_alu instid0(VALU_DEP_1) | instskip(SKIP_1) | instid1(VALU_DEP_2)
	v_ldexp_f32 v11, |v0|, v7
	v_ldexp_f32 v7, |v4|, v7
	v_mul_f32_e32 v11, v11, v11
	s_delay_alu instid0(VALU_DEP_1) | instskip(NEXT) | instid1(VALU_DEP_1)
	v_fmac_f32_e32 v11, v7, v7
	v_sqrt_f32_e32 v7, v11
	s_waitcnt_depctr 0xfff
	v_ldexp_f32 v6, v7, v6
	s_delay_alu instid0(VALU_DEP_1) | instskip(NEXT) | instid1(VALU_DEP_1)
	v_cndmask_b32_e32 v6, 0x7f800000, v6, vcc_lo
	v_cmp_gt_f32_e32 vcc_lo, 0x800000, v6
	v_cndmask_b32_e64 v7, 1.0, 0x4f800000, vcc_lo
	s_delay_alu instid0(VALU_DEP_1) | instskip(NEXT) | instid1(VALU_DEP_1)
	v_mul_f32_e32 v6, v6, v7
	v_log_f32_e32 v6, v6
	s_waitcnt_depctr 0xfff
	v_mul_f32_e32 v7, 0x3f317217, v6
	v_cmp_gt_f32_e64 s1, 0x7f800000, |v6|
	s_delay_alu instid0(VALU_DEP_2) | instskip(NEXT) | instid1(VALU_DEP_1)
	v_fma_f32 v11, 0x3f317217, v6, -v7
	v_fmac_f32_e32 v11, 0x3377d1cf, v6
	s_delay_alu instid0(VALU_DEP_1) | instskip(NEXT) | instid1(VALU_DEP_1)
	v_add_f32_e32 v7, v7, v11
	v_cndmask_b32_e64 v6, v6, v7, s1
	v_cndmask_b32_e64 v7, 0, 0x41b17218, vcc_lo
	s_delay_alu instid0(VALU_DEP_1)
	v_sub_f32_e32 v13, v6, v7
.LBB353_54:                             ;   in Loop: Header=BB353_13 Depth=3
	s_and_not1_saveexec_b32 s1, s2
	s_cbranch_execz .LBB353_9
; %bb.55:                               ;   in Loop: Header=BB353_13 Depth=3
	s_delay_alu instid0(VALU_DEP_1) | instskip(SKIP_1) | instid1(VALU_DEP_1)
	v_add_f32_e32 v6, 2.0, v13
	s_mov_b32 s2, exec_lo
	v_mul_f32_e32 v6, v13, v6
	s_delay_alu instid0(VALU_DEP_1) | instskip(NEXT) | instid1(VALU_DEP_1)
	v_fmac_f32_e32 v6, v0, v0
	v_cmpx_neq_f32_e32 0, v6
	s_cbranch_execz .LBB353_8
; %bb.56:                               ;   in Loop: Header=BB353_13 Depth=3
	v_add_f32_e32 v7, 1.0, v6
	s_delay_alu instid0(VALU_DEP_1) | instskip(NEXT) | instid1(VALU_DEP_1)
	v_cvt_f64_f32_e32 v[11:12], v7
	v_frexp_exp_i32_f64_e32 v11, v[11:12]
	v_frexp_mant_f32_e32 v12, v7
	s_delay_alu instid0(VALU_DEP_1) | instskip(SKIP_1) | instid1(VALU_DEP_1)
	v_cmp_gt_f32_e32 vcc_lo, 0x3f2aaaab, v12
	v_add_f32_e32 v12, -1.0, v7
	v_sub_f32_e32 v14, v12, v7
	v_sub_f32_e32 v12, v6, v12
	v_subrev_co_ci_u32_e32 v11, vcc_lo, 0, v11, vcc_lo
	v_cmp_eq_f32_e32 vcc_lo, 0x7f800000, v6
	s_delay_alu instid0(VALU_DEP_2) | instskip(SKIP_1) | instid1(VALU_DEP_2)
	v_sub_nc_u32_e32 v13, 0, v11
	v_cvt_f32_i32_e32 v11, v11
	v_ldexp_f32 v7, v7, v13
	s_delay_alu instid0(VALU_DEP_1) | instskip(NEXT) | instid1(VALU_DEP_1)
	v_dual_add_f32 v14, 1.0, v14 :: v_dual_add_f32 v15, 1.0, v7
	v_add_f32_e32 v12, v12, v14
	s_delay_alu instid0(VALU_DEP_2) | instskip(NEXT) | instid1(VALU_DEP_2)
	v_add_f32_e32 v14, -1.0, v15
	v_ldexp_f32 v12, v12, v13
	s_delay_alu instid0(VALU_DEP_2) | instskip(NEXT) | instid1(VALU_DEP_1)
	v_dual_add_f32 v13, -1.0, v7 :: v_dual_sub_f32 v14, v7, v14
	v_add_f32_e32 v16, 1.0, v13
	s_delay_alu instid0(VALU_DEP_1) | instskip(NEXT) | instid1(VALU_DEP_1)
	v_sub_f32_e32 v7, v7, v16
	v_add_f32_e32 v7, v12, v7
	s_delay_alu instid0(VALU_DEP_1) | instskip(NEXT) | instid1(VALU_DEP_1)
	v_dual_add_f32 v17, v13, v7 :: v_dual_add_f32 v14, v12, v14
	v_dual_sub_f32 v13, v17, v13 :: v_dual_add_f32 v16, v15, v14
	s_delay_alu instid0(VALU_DEP_1) | instskip(NEXT) | instid1(VALU_DEP_2)
	v_sub_f32_e32 v7, v7, v13
	v_rcp_f32_e32 v12, v16
	v_sub_f32_e32 v15, v16, v15
	s_delay_alu instid0(VALU_DEP_1) | instskip(SKIP_2) | instid1(VALU_DEP_1)
	v_sub_f32_e32 v14, v14, v15
	s_waitcnt_depctr 0xfff
	v_mul_f32_e32 v18, v17, v12
	v_mul_f32_e32 v19, v16, v18
	s_delay_alu instid0(VALU_DEP_1) | instskip(NEXT) | instid1(VALU_DEP_1)
	v_fma_f32 v15, v18, v16, -v19
	v_fmac_f32_e32 v15, v18, v14
	s_delay_alu instid0(VALU_DEP_1) | instskip(NEXT) | instid1(VALU_DEP_1)
	v_add_f32_e32 v20, v19, v15
	v_sub_f32_e32 v21, v17, v20
	v_sub_f32_e32 v13, v20, v19
	s_delay_alu instid0(VALU_DEP_2) | instskip(NEXT) | instid1(VALU_DEP_2)
	v_sub_f32_e32 v17, v17, v21
	v_sub_f32_e32 v13, v13, v15
	s_delay_alu instid0(VALU_DEP_2) | instskip(NEXT) | instid1(VALU_DEP_1)
	v_sub_f32_e32 v17, v17, v20
	v_add_f32_e32 v7, v7, v17
	s_delay_alu instid0(VALU_DEP_1) | instskip(NEXT) | instid1(VALU_DEP_1)
	v_add_f32_e32 v7, v13, v7
	v_add_f32_e32 v13, v21, v7
	s_delay_alu instid0(VALU_DEP_1) | instskip(NEXT) | instid1(VALU_DEP_1)
	v_mul_f32_e32 v15, v12, v13
	v_dual_sub_f32 v20, v21, v13 :: v_dual_mul_f32 v17, v16, v15
	s_delay_alu instid0(VALU_DEP_1) | instskip(NEXT) | instid1(VALU_DEP_2)
	v_add_f32_e32 v7, v7, v20
	v_fma_f32 v16, v15, v16, -v17
	s_delay_alu instid0(VALU_DEP_1) | instskip(NEXT) | instid1(VALU_DEP_1)
	v_fmac_f32_e32 v16, v15, v14
	v_add_f32_e32 v14, v17, v16
	s_delay_alu instid0(VALU_DEP_1) | instskip(NEXT) | instid1(VALU_DEP_1)
	v_sub_f32_e32 v19, v13, v14
	v_sub_f32_e32 v13, v13, v19
	s_delay_alu instid0(VALU_DEP_1) | instskip(NEXT) | instid1(VALU_DEP_1)
	v_sub_f32_e32 v13, v13, v14
	v_add_f32_e32 v7, v7, v13
	v_add_f32_e32 v13, v18, v15
	v_sub_f32_e32 v17, v14, v17
	s_delay_alu instid0(VALU_DEP_1) | instskip(NEXT) | instid1(VALU_DEP_1)
	v_sub_f32_e32 v14, v17, v16
	v_dual_add_f32 v7, v14, v7 :: v_dual_sub_f32 v14, v13, v18
	s_delay_alu instid0(VALU_DEP_1) | instskip(NEXT) | instid1(VALU_DEP_1)
	v_add_f32_e32 v7, v19, v7
	v_dual_sub_f32 v14, v15, v14 :: v_dual_mul_f32 v7, v12, v7
	s_delay_alu instid0(VALU_DEP_1) | instskip(NEXT) | instid1(VALU_DEP_1)
	v_add_f32_e32 v7, v14, v7
	v_add_f32_e32 v12, v13, v7
	s_delay_alu instid0(VALU_DEP_1) | instskip(NEXT) | instid1(VALU_DEP_1)
	v_mul_f32_e32 v14, v12, v12
	v_fmaak_f32 v15, s26, v14, 0x3ecc95a3
	v_mul_f32_e32 v16, v12, v14
	s_delay_alu instid0(VALU_DEP_2) | instskip(SKIP_2) | instid1(VALU_DEP_3)
	v_fmaak_f32 v14, v14, v15, 0x3f2aaada
	v_ldexp_f32 v15, v12, 1
	v_sub_f32_e32 v12, v12, v13
	v_mul_f32_e32 v14, v16, v14
	s_delay_alu instid0(VALU_DEP_2) | instskip(NEXT) | instid1(VALU_DEP_2)
	v_dual_mul_f32 v16, 0x3f317218, v11 :: v_dual_sub_f32 v7, v7, v12
	v_add_f32_e32 v13, v15, v14
	s_delay_alu instid0(VALU_DEP_2) | instskip(NEXT) | instid1(VALU_DEP_2)
	v_ldexp_f32 v7, v7, 1
	v_sub_f32_e32 v12, v13, v15
	s_delay_alu instid0(VALU_DEP_4) | instskip(NEXT) | instid1(VALU_DEP_1)
	v_fma_f32 v15, 0x3f317218, v11, -v16
	v_dual_sub_f32 v12, v14, v12 :: v_dual_fmac_f32 v15, 0xb102e308, v11
	s_delay_alu instid0(VALU_DEP_1) | instskip(NEXT) | instid1(VALU_DEP_2)
	v_add_f32_e32 v7, v7, v12
	v_add_f32_e32 v11, v16, v15
	s_delay_alu instid0(VALU_DEP_2) | instskip(NEXT) | instid1(VALU_DEP_2)
	v_add_f32_e32 v12, v13, v7
	v_sub_f32_e32 v16, v11, v16
	s_delay_alu instid0(VALU_DEP_2) | instskip(NEXT) | instid1(VALU_DEP_2)
	v_dual_add_f32 v14, v11, v12 :: v_dual_sub_f32 v13, v12, v13
	v_sub_f32_e32 v15, v15, v16
	s_delay_alu instid0(VALU_DEP_2) | instskip(NEXT) | instid1(VALU_DEP_3)
	v_sub_f32_e32 v17, v14, v11
	v_sub_f32_e32 v7, v7, v13
	s_delay_alu instid0(VALU_DEP_2) | instskip(NEXT) | instid1(VALU_DEP_2)
	v_sub_f32_e32 v18, v14, v17
	v_dual_sub_f32 v12, v12, v17 :: v_dual_add_f32 v13, v15, v7
	s_delay_alu instid0(VALU_DEP_2) | instskip(NEXT) | instid1(VALU_DEP_1)
	v_sub_f32_e32 v11, v11, v18
	v_add_f32_e32 v11, v12, v11
	s_delay_alu instid0(VALU_DEP_3) | instskip(NEXT) | instid1(VALU_DEP_2)
	v_sub_f32_e32 v12, v13, v15
	v_add_f32_e32 v11, v13, v11
	s_delay_alu instid0(VALU_DEP_2) | instskip(NEXT) | instid1(VALU_DEP_2)
	v_sub_f32_e32 v13, v13, v12
	v_dual_sub_f32 v7, v7, v12 :: v_dual_add_f32 v16, v14, v11
	s_delay_alu instid0(VALU_DEP_1) | instskip(NEXT) | instid1(VALU_DEP_1)
	v_dual_sub_f32 v13, v15, v13 :: v_dual_sub_f32 v12, v16, v14
	v_add_f32_e32 v7, v7, v13
	s_delay_alu instid0(VALU_DEP_2) | instskip(NEXT) | instid1(VALU_DEP_1)
	v_sub_f32_e32 v11, v11, v12
	v_add_f32_e32 v7, v7, v11
	s_delay_alu instid0(VALU_DEP_1) | instskip(NEXT) | instid1(VALU_DEP_1)
	v_add_f32_e32 v7, v16, v7
	v_cndmask_b32_e32 v7, v7, v6, vcc_lo
	v_cmp_ngt_f32_e32 vcc_lo, -1.0, v6
	s_delay_alu instid0(VALU_DEP_2) | instskip(SKIP_1) | instid1(VALU_DEP_2)
	v_cndmask_b32_e32 v7, 0x7fc00000, v7, vcc_lo
	v_cmp_neq_f32_e32 vcc_lo, -1.0, v6
	v_cndmask_b32_e32 v7, 0xff800000, v7, vcc_lo
	v_cmp_gt_f32_e64 vcc_lo, 0x33800000, |v6|
	s_delay_alu instid0(VALU_DEP_2) | instskip(NEXT) | instid1(VALU_DEP_1)
	v_cndmask_b32_e32 v6, v7, v6, vcc_lo
	v_mul_f32_e32 v13, 0.5, v6
	s_branch .LBB353_8
.LBB353_57:
	s_nop 0
	s_sendmsg sendmsg(MSG_DEALLOC_VGPRS)
	s_endpgm
	.section	.rodata,"a",@progbits
	.p2align	6, 0x0
	.amdhsa_kernel _ZN2at6native28tensor_kernel_scan_outer_dimIN3c107complexIfEEmZZZNS0_31launch_logcumsumexp_cuda_kernelERKNS_10TensorBaseES7_lENKUlvE_clEvENKUlvE2_clEvEUlS4_S4_E_EEvPT_PKSB_jjjSB_T1_
		.amdhsa_group_segment_fixed_size 0
		.amdhsa_private_segment_fixed_size 0
		.amdhsa_kernarg_size 304
		.amdhsa_user_sgpr_count 14
		.amdhsa_user_sgpr_dispatch_ptr 0
		.amdhsa_user_sgpr_queue_ptr 0
		.amdhsa_user_sgpr_kernarg_segment_ptr 1
		.amdhsa_user_sgpr_dispatch_id 0
		.amdhsa_user_sgpr_private_segment_size 0
		.amdhsa_wavefront_size32 1
		.amdhsa_uses_dynamic_stack 0
		.amdhsa_enable_private_segment 0
		.amdhsa_system_sgpr_workgroup_id_x 1
		.amdhsa_system_sgpr_workgroup_id_y 1
		.amdhsa_system_sgpr_workgroup_id_z 0
		.amdhsa_system_sgpr_workgroup_info 0
		.amdhsa_system_vgpr_workitem_id 0
		.amdhsa_next_free_vgpr 28
		.amdhsa_next_free_sgpr 40
		.amdhsa_reserve_vcc 1
		.amdhsa_float_round_mode_32 0
		.amdhsa_float_round_mode_16_64 0
		.amdhsa_float_denorm_mode_32 3
		.amdhsa_float_denorm_mode_16_64 3
		.amdhsa_dx10_clamp 1
		.amdhsa_ieee_mode 1
		.amdhsa_fp16_overflow 0
		.amdhsa_workgroup_processor_mode 1
		.amdhsa_memory_ordered 1
		.amdhsa_forward_progress 0
		.amdhsa_shared_vgpr_count 0
		.amdhsa_exception_fp_ieee_invalid_op 0
		.amdhsa_exception_fp_denorm_src 0
		.amdhsa_exception_fp_ieee_div_zero 0
		.amdhsa_exception_fp_ieee_overflow 0
		.amdhsa_exception_fp_ieee_underflow 0
		.amdhsa_exception_fp_ieee_inexact 0
		.amdhsa_exception_int_div_zero 0
	.end_amdhsa_kernel
	.section	.text._ZN2at6native28tensor_kernel_scan_outer_dimIN3c107complexIfEEmZZZNS0_31launch_logcumsumexp_cuda_kernelERKNS_10TensorBaseES7_lENKUlvE_clEvENKUlvE2_clEvEUlS4_S4_E_EEvPT_PKSB_jjjSB_T1_,"axG",@progbits,_ZN2at6native28tensor_kernel_scan_outer_dimIN3c107complexIfEEmZZZNS0_31launch_logcumsumexp_cuda_kernelERKNS_10TensorBaseES7_lENKUlvE_clEvENKUlvE2_clEvEUlS4_S4_E_EEvPT_PKSB_jjjSB_T1_,comdat
.Lfunc_end353:
	.size	_ZN2at6native28tensor_kernel_scan_outer_dimIN3c107complexIfEEmZZZNS0_31launch_logcumsumexp_cuda_kernelERKNS_10TensorBaseES7_lENKUlvE_clEvENKUlvE2_clEvEUlS4_S4_E_EEvPT_PKSB_jjjSB_T1_, .Lfunc_end353-_ZN2at6native28tensor_kernel_scan_outer_dimIN3c107complexIfEEmZZZNS0_31launch_logcumsumexp_cuda_kernelERKNS_10TensorBaseES7_lENKUlvE_clEvENKUlvE2_clEvEUlS4_S4_E_EEvPT_PKSB_jjjSB_T1_
                                        ; -- End function
	.section	.AMDGPU.csdata,"",@progbits
; Kernel info:
; codeLenInByte = 8984
; NumSgprs: 42
; NumVgprs: 28
; ScratchSize: 0
; MemoryBound: 0
; FloatMode: 240
; IeeeMode: 1
; LDSByteSize: 0 bytes/workgroup (compile time only)
; SGPRBlocks: 5
; VGPRBlocks: 3
; NumSGPRsForWavesPerEU: 42
; NumVGPRsForWavesPerEU: 28
; Occupancy: 16
; WaveLimiterHint : 0
; COMPUTE_PGM_RSRC2:SCRATCH_EN: 0
; COMPUTE_PGM_RSRC2:USER_SGPR: 14
; COMPUTE_PGM_RSRC2:TRAP_HANDLER: 0
; COMPUTE_PGM_RSRC2:TGID_X_EN: 1
; COMPUTE_PGM_RSRC2:TGID_Y_EN: 1
; COMPUTE_PGM_RSRC2:TGID_Z_EN: 0
; COMPUTE_PGM_RSRC2:TIDIG_COMP_CNT: 0
	.section	.text._ZN7rocprim17ROCPRIM_400000_NS6detail31init_lookback_scan_state_kernelINS1_19lookback_scan_stateIN3c104HalfELb0ELb1EEENS1_16block_id_wrapperIjLb0EEEEEvT_jT0_jPNS9_10value_typeE,"axG",@progbits,_ZN7rocprim17ROCPRIM_400000_NS6detail31init_lookback_scan_state_kernelINS1_19lookback_scan_stateIN3c104HalfELb0ELb1EEENS1_16block_id_wrapperIjLb0EEEEEvT_jT0_jPNS9_10value_typeE,comdat
	.protected	_ZN7rocprim17ROCPRIM_400000_NS6detail31init_lookback_scan_state_kernelINS1_19lookback_scan_stateIN3c104HalfELb0ELb1EEENS1_16block_id_wrapperIjLb0EEEEEvT_jT0_jPNS9_10value_typeE ; -- Begin function _ZN7rocprim17ROCPRIM_400000_NS6detail31init_lookback_scan_state_kernelINS1_19lookback_scan_stateIN3c104HalfELb0ELb1EEENS1_16block_id_wrapperIjLb0EEEEEvT_jT0_jPNS9_10value_typeE
	.globl	_ZN7rocprim17ROCPRIM_400000_NS6detail31init_lookback_scan_state_kernelINS1_19lookback_scan_stateIN3c104HalfELb0ELb1EEENS1_16block_id_wrapperIjLb0EEEEEvT_jT0_jPNS9_10value_typeE
	.p2align	8
	.type	_ZN7rocprim17ROCPRIM_400000_NS6detail31init_lookback_scan_state_kernelINS1_19lookback_scan_stateIN3c104HalfELb0ELb1EEENS1_16block_id_wrapperIjLb0EEEEEvT_jT0_jPNS9_10value_typeE,@function
_ZN7rocprim17ROCPRIM_400000_NS6detail31init_lookback_scan_state_kernelINS1_19lookback_scan_stateIN3c104HalfELb0ELb1EEENS1_16block_id_wrapperIjLb0EEEEEvT_jT0_jPNS9_10value_typeE: ; @_ZN7rocprim17ROCPRIM_400000_NS6detail31init_lookback_scan_state_kernelINS1_19lookback_scan_stateIN3c104HalfELb0ELb1EEENS1_16block_id_wrapperIjLb0EEEEEvT_jT0_jPNS9_10value_typeE
; %bb.0:
	s_clause 0x3
	s_load_b32 s7, s[0:1], 0x2c
	s_load_b64 s[4:5], s[0:1], 0x18
	s_load_b64 s[2:3], s[0:1], 0x0
	s_load_b32 s6, s[0:1], 0x8
	s_waitcnt lgkmcnt(0)
	s_and_b32 s7, s7, 0xffff
	s_cmp_eq_u64 s[4:5], 0
	v_mad_u64_u32 v[1:2], null, s15, s7, v[0:1]
	s_cbranch_scc1 .LBB354_6
; %bb.1:
	s_load_b32 s0, s[0:1], 0x10
	s_waitcnt lgkmcnt(0)
	s_cmp_lt_u32 s0, s6
	s_cselect_b32 s1, s0, 0
	s_delay_alu instid0(VALU_DEP_1) | instid1(SALU_CYCLE_1)
	v_cmp_eq_u32_e32 vcc_lo, s1, v1
	s_mov_b32 s1, 0
	s_and_saveexec_b32 s7, vcc_lo
	s_cbranch_execz .LBB354_5
; %bb.2:
	s_add_i32 s0, s0, 32
	v_mov_b32_e32 v2, 0
	s_lshl_b64 s[0:1], s[0:1], 2
	s_delay_alu instid0(SALU_CYCLE_1) | instskip(SKIP_4) | instid1(VALU_DEP_1)
	s_add_u32 s0, s2, s0
	s_addc_u32 s1, s3, s1
	global_load_b32 v0, v2, s[0:1] glc
	s_waitcnt vmcnt(0)
	v_and_b32_e32 v3, 0xff0000, v0
	v_cmp_ne_u32_e32 vcc_lo, 0, v3
	s_cbranch_vccnz .LBB354_4
.LBB354_3:                              ; =>This Inner Loop Header: Depth=1
	global_load_b32 v0, v2, s[0:1] glc
	s_waitcnt vmcnt(0)
	v_and_b32_e32 v3, 0xff0000, v0
	s_delay_alu instid0(VALU_DEP_1)
	v_cmp_eq_u32_e32 vcc_lo, 0, v3
	s_cbranch_vccnz .LBB354_3
.LBB354_4:
	v_mov_b32_e32 v2, 0
	global_store_b16 v2, v0, s[4:5]
.LBB354_5:
	s_or_b32 exec_lo, exec_lo, s7
.LBB354_6:
	s_delay_alu instid0(SALU_CYCLE_1) | instskip(NEXT) | instid1(VALU_DEP_1)
	s_mov_b32 s0, exec_lo
	v_cmpx_gt_u32_e64 s6, v1
	s_cbranch_execz .LBB354_8
; %bb.7:
	v_dual_mov_b32 v3, 0 :: v_dual_add_nc_u32 v2, 32, v1
	s_delay_alu instid0(VALU_DEP_1) | instskip(NEXT) | instid1(VALU_DEP_1)
	v_lshlrev_b64 v[4:5], 2, v[2:3]
	v_add_co_u32 v4, vcc_lo, s2, v4
	s_delay_alu instid0(VALU_DEP_2)
	v_add_co_ci_u32_e32 v5, vcc_lo, s3, v5, vcc_lo
	global_store_b32 v[4:5], v3, off
.LBB354_8:
	s_or_b32 exec_lo, exec_lo, s0
	s_delay_alu instid0(SALU_CYCLE_1)
	s_mov_b32 s0, exec_lo
	v_cmpx_gt_u32_e32 32, v1
	s_cbranch_execz .LBB354_10
; %bb.9:
	v_mov_b32_e32 v2, 0
	s_delay_alu instid0(VALU_DEP_1) | instskip(SKIP_1) | instid1(VALU_DEP_2)
	v_lshlrev_b64 v[0:1], 2, v[1:2]
	v_mov_b32_e32 v2, 0xff0000
	v_add_co_u32 v0, vcc_lo, s2, v0
	s_delay_alu instid0(VALU_DEP_3)
	v_add_co_ci_u32_e32 v1, vcc_lo, s3, v1, vcc_lo
	global_store_b32 v[0:1], v2, off
.LBB354_10:
	s_nop 0
	s_sendmsg sendmsg(MSG_DEALLOC_VGPRS)
	s_endpgm
	.section	.rodata,"a",@progbits
	.p2align	6, 0x0
	.amdhsa_kernel _ZN7rocprim17ROCPRIM_400000_NS6detail31init_lookback_scan_state_kernelINS1_19lookback_scan_stateIN3c104HalfELb0ELb1EEENS1_16block_id_wrapperIjLb0EEEEEvT_jT0_jPNS9_10value_typeE
		.amdhsa_group_segment_fixed_size 0
		.amdhsa_private_segment_fixed_size 0
		.amdhsa_kernarg_size 288
		.amdhsa_user_sgpr_count 15
		.amdhsa_user_sgpr_dispatch_ptr 0
		.amdhsa_user_sgpr_queue_ptr 0
		.amdhsa_user_sgpr_kernarg_segment_ptr 1
		.amdhsa_user_sgpr_dispatch_id 0
		.amdhsa_user_sgpr_private_segment_size 0
		.amdhsa_wavefront_size32 1
		.amdhsa_uses_dynamic_stack 0
		.amdhsa_enable_private_segment 0
		.amdhsa_system_sgpr_workgroup_id_x 1
		.amdhsa_system_sgpr_workgroup_id_y 0
		.amdhsa_system_sgpr_workgroup_id_z 0
		.amdhsa_system_sgpr_workgroup_info 0
		.amdhsa_system_vgpr_workitem_id 0
		.amdhsa_next_free_vgpr 6
		.amdhsa_next_free_sgpr 16
		.amdhsa_reserve_vcc 1
		.amdhsa_float_round_mode_32 0
		.amdhsa_float_round_mode_16_64 0
		.amdhsa_float_denorm_mode_32 3
		.amdhsa_float_denorm_mode_16_64 3
		.amdhsa_dx10_clamp 1
		.amdhsa_ieee_mode 1
		.amdhsa_fp16_overflow 0
		.amdhsa_workgroup_processor_mode 1
		.amdhsa_memory_ordered 1
		.amdhsa_forward_progress 0
		.amdhsa_shared_vgpr_count 0
		.amdhsa_exception_fp_ieee_invalid_op 0
		.amdhsa_exception_fp_denorm_src 0
		.amdhsa_exception_fp_ieee_div_zero 0
		.amdhsa_exception_fp_ieee_overflow 0
		.amdhsa_exception_fp_ieee_underflow 0
		.amdhsa_exception_fp_ieee_inexact 0
		.amdhsa_exception_int_div_zero 0
	.end_amdhsa_kernel
	.section	.text._ZN7rocprim17ROCPRIM_400000_NS6detail31init_lookback_scan_state_kernelINS1_19lookback_scan_stateIN3c104HalfELb0ELb1EEENS1_16block_id_wrapperIjLb0EEEEEvT_jT0_jPNS9_10value_typeE,"axG",@progbits,_ZN7rocprim17ROCPRIM_400000_NS6detail31init_lookback_scan_state_kernelINS1_19lookback_scan_stateIN3c104HalfELb0ELb1EEENS1_16block_id_wrapperIjLb0EEEEEvT_jT0_jPNS9_10value_typeE,comdat
.Lfunc_end354:
	.size	_ZN7rocprim17ROCPRIM_400000_NS6detail31init_lookback_scan_state_kernelINS1_19lookback_scan_stateIN3c104HalfELb0ELb1EEENS1_16block_id_wrapperIjLb0EEEEEvT_jT0_jPNS9_10value_typeE, .Lfunc_end354-_ZN7rocprim17ROCPRIM_400000_NS6detail31init_lookback_scan_state_kernelINS1_19lookback_scan_stateIN3c104HalfELb0ELb1EEENS1_16block_id_wrapperIjLb0EEEEEvT_jT0_jPNS9_10value_typeE
                                        ; -- End function
	.section	.AMDGPU.csdata,"",@progbits
; Kernel info:
; codeLenInByte = 348
; NumSgprs: 18
; NumVgprs: 6
; ScratchSize: 0
; MemoryBound: 0
; FloatMode: 240
; IeeeMode: 1
; LDSByteSize: 0 bytes/workgroup (compile time only)
; SGPRBlocks: 2
; VGPRBlocks: 0
; NumSGPRsForWavesPerEU: 18
; NumVGPRsForWavesPerEU: 6
; Occupancy: 16
; WaveLimiterHint : 0
; COMPUTE_PGM_RSRC2:SCRATCH_EN: 0
; COMPUTE_PGM_RSRC2:USER_SGPR: 15
; COMPUTE_PGM_RSRC2:TRAP_HANDLER: 0
; COMPUTE_PGM_RSRC2:TGID_X_EN: 1
; COMPUTE_PGM_RSRC2:TGID_Y_EN: 0
; COMPUTE_PGM_RSRC2:TGID_Z_EN: 0
; COMPUTE_PGM_RSRC2:TIDIG_COMP_CNT: 0
	.section	.text._ZN7rocprim17ROCPRIM_400000_NS6detail17trampoline_kernelINS0_14default_configENS1_20scan_config_selectorIN3c104HalfEEEZZNS1_9scan_implILNS1_25lookback_scan_determinismE0ELb0ELb0ES3_PKS6_PS6_S6_ZZZN2at6native31launch_logcumsumexp_cuda_kernelERKNSD_10TensorBaseESH_lENKUlvE_clEvENKUlvE3_clEvEUlS6_S6_E_S6_EEDaPvRmT3_T4_T5_mT6_P12ihipStream_tbENKUlT_T0_E_clISt17integral_constantIbLb0EESY_EEDaST_SU_EUlST_E_NS1_11comp_targetILNS1_3genE0ELNS1_11target_archE4294967295ELNS1_3gpuE0ELNS1_3repE0EEENS1_30default_config_static_selectorELNS0_4arch9wavefront6targetE0EEEvT1_,"axG",@progbits,_ZN7rocprim17ROCPRIM_400000_NS6detail17trampoline_kernelINS0_14default_configENS1_20scan_config_selectorIN3c104HalfEEEZZNS1_9scan_implILNS1_25lookback_scan_determinismE0ELb0ELb0ES3_PKS6_PS6_S6_ZZZN2at6native31launch_logcumsumexp_cuda_kernelERKNSD_10TensorBaseESH_lENKUlvE_clEvENKUlvE3_clEvEUlS6_S6_E_S6_EEDaPvRmT3_T4_T5_mT6_P12ihipStream_tbENKUlT_T0_E_clISt17integral_constantIbLb0EESY_EEDaST_SU_EUlST_E_NS1_11comp_targetILNS1_3genE0ELNS1_11target_archE4294967295ELNS1_3gpuE0ELNS1_3repE0EEENS1_30default_config_static_selectorELNS0_4arch9wavefront6targetE0EEEvT1_,comdat
	.globl	_ZN7rocprim17ROCPRIM_400000_NS6detail17trampoline_kernelINS0_14default_configENS1_20scan_config_selectorIN3c104HalfEEEZZNS1_9scan_implILNS1_25lookback_scan_determinismE0ELb0ELb0ES3_PKS6_PS6_S6_ZZZN2at6native31launch_logcumsumexp_cuda_kernelERKNSD_10TensorBaseESH_lENKUlvE_clEvENKUlvE3_clEvEUlS6_S6_E_S6_EEDaPvRmT3_T4_T5_mT6_P12ihipStream_tbENKUlT_T0_E_clISt17integral_constantIbLb0EESY_EEDaST_SU_EUlST_E_NS1_11comp_targetILNS1_3genE0ELNS1_11target_archE4294967295ELNS1_3gpuE0ELNS1_3repE0EEENS1_30default_config_static_selectorELNS0_4arch9wavefront6targetE0EEEvT1_ ; -- Begin function _ZN7rocprim17ROCPRIM_400000_NS6detail17trampoline_kernelINS0_14default_configENS1_20scan_config_selectorIN3c104HalfEEEZZNS1_9scan_implILNS1_25lookback_scan_determinismE0ELb0ELb0ES3_PKS6_PS6_S6_ZZZN2at6native31launch_logcumsumexp_cuda_kernelERKNSD_10TensorBaseESH_lENKUlvE_clEvENKUlvE3_clEvEUlS6_S6_E_S6_EEDaPvRmT3_T4_T5_mT6_P12ihipStream_tbENKUlT_T0_E_clISt17integral_constantIbLb0EESY_EEDaST_SU_EUlST_E_NS1_11comp_targetILNS1_3genE0ELNS1_11target_archE4294967295ELNS1_3gpuE0ELNS1_3repE0EEENS1_30default_config_static_selectorELNS0_4arch9wavefront6targetE0EEEvT1_
	.p2align	8
	.type	_ZN7rocprim17ROCPRIM_400000_NS6detail17trampoline_kernelINS0_14default_configENS1_20scan_config_selectorIN3c104HalfEEEZZNS1_9scan_implILNS1_25lookback_scan_determinismE0ELb0ELb0ES3_PKS6_PS6_S6_ZZZN2at6native31launch_logcumsumexp_cuda_kernelERKNSD_10TensorBaseESH_lENKUlvE_clEvENKUlvE3_clEvEUlS6_S6_E_S6_EEDaPvRmT3_T4_T5_mT6_P12ihipStream_tbENKUlT_T0_E_clISt17integral_constantIbLb0EESY_EEDaST_SU_EUlST_E_NS1_11comp_targetILNS1_3genE0ELNS1_11target_archE4294967295ELNS1_3gpuE0ELNS1_3repE0EEENS1_30default_config_static_selectorELNS0_4arch9wavefront6targetE0EEEvT1_,@function
_ZN7rocprim17ROCPRIM_400000_NS6detail17trampoline_kernelINS0_14default_configENS1_20scan_config_selectorIN3c104HalfEEEZZNS1_9scan_implILNS1_25lookback_scan_determinismE0ELb0ELb0ES3_PKS6_PS6_S6_ZZZN2at6native31launch_logcumsumexp_cuda_kernelERKNSD_10TensorBaseESH_lENKUlvE_clEvENKUlvE3_clEvEUlS6_S6_E_S6_EEDaPvRmT3_T4_T5_mT6_P12ihipStream_tbENKUlT_T0_E_clISt17integral_constantIbLb0EESY_EEDaST_SU_EUlST_E_NS1_11comp_targetILNS1_3genE0ELNS1_11target_archE4294967295ELNS1_3gpuE0ELNS1_3repE0EEENS1_30default_config_static_selectorELNS0_4arch9wavefront6targetE0EEEvT1_: ; @_ZN7rocprim17ROCPRIM_400000_NS6detail17trampoline_kernelINS0_14default_configENS1_20scan_config_selectorIN3c104HalfEEEZZNS1_9scan_implILNS1_25lookback_scan_determinismE0ELb0ELb0ES3_PKS6_PS6_S6_ZZZN2at6native31launch_logcumsumexp_cuda_kernelERKNSD_10TensorBaseESH_lENKUlvE_clEvENKUlvE3_clEvEUlS6_S6_E_S6_EEDaPvRmT3_T4_T5_mT6_P12ihipStream_tbENKUlT_T0_E_clISt17integral_constantIbLb0EESY_EEDaST_SU_EUlST_E_NS1_11comp_targetILNS1_3genE0ELNS1_11target_archE4294967295ELNS1_3gpuE0ELNS1_3repE0EEENS1_30default_config_static_selectorELNS0_4arch9wavefront6targetE0EEEvT1_
; %bb.0:
	.section	.rodata,"a",@progbits
	.p2align	6, 0x0
	.amdhsa_kernel _ZN7rocprim17ROCPRIM_400000_NS6detail17trampoline_kernelINS0_14default_configENS1_20scan_config_selectorIN3c104HalfEEEZZNS1_9scan_implILNS1_25lookback_scan_determinismE0ELb0ELb0ES3_PKS6_PS6_S6_ZZZN2at6native31launch_logcumsumexp_cuda_kernelERKNSD_10TensorBaseESH_lENKUlvE_clEvENKUlvE3_clEvEUlS6_S6_E_S6_EEDaPvRmT3_T4_T5_mT6_P12ihipStream_tbENKUlT_T0_E_clISt17integral_constantIbLb0EESY_EEDaST_SU_EUlST_E_NS1_11comp_targetILNS1_3genE0ELNS1_11target_archE4294967295ELNS1_3gpuE0ELNS1_3repE0EEENS1_30default_config_static_selectorELNS0_4arch9wavefront6targetE0EEEvT1_
		.amdhsa_group_segment_fixed_size 0
		.amdhsa_private_segment_fixed_size 0
		.amdhsa_kernarg_size 96
		.amdhsa_user_sgpr_count 15
		.amdhsa_user_sgpr_dispatch_ptr 0
		.amdhsa_user_sgpr_queue_ptr 0
		.amdhsa_user_sgpr_kernarg_segment_ptr 1
		.amdhsa_user_sgpr_dispatch_id 0
		.amdhsa_user_sgpr_private_segment_size 0
		.amdhsa_wavefront_size32 1
		.amdhsa_uses_dynamic_stack 0
		.amdhsa_enable_private_segment 0
		.amdhsa_system_sgpr_workgroup_id_x 1
		.amdhsa_system_sgpr_workgroup_id_y 0
		.amdhsa_system_sgpr_workgroup_id_z 0
		.amdhsa_system_sgpr_workgroup_info 0
		.amdhsa_system_vgpr_workitem_id 0
		.amdhsa_next_free_vgpr 1
		.amdhsa_next_free_sgpr 1
		.amdhsa_reserve_vcc 0
		.amdhsa_float_round_mode_32 0
		.amdhsa_float_round_mode_16_64 0
		.amdhsa_float_denorm_mode_32 3
		.amdhsa_float_denorm_mode_16_64 3
		.amdhsa_dx10_clamp 1
		.amdhsa_ieee_mode 1
		.amdhsa_fp16_overflow 0
		.amdhsa_workgroup_processor_mode 1
		.amdhsa_memory_ordered 1
		.amdhsa_forward_progress 0
		.amdhsa_shared_vgpr_count 0
		.amdhsa_exception_fp_ieee_invalid_op 0
		.amdhsa_exception_fp_denorm_src 0
		.amdhsa_exception_fp_ieee_div_zero 0
		.amdhsa_exception_fp_ieee_overflow 0
		.amdhsa_exception_fp_ieee_underflow 0
		.amdhsa_exception_fp_ieee_inexact 0
		.amdhsa_exception_int_div_zero 0
	.end_amdhsa_kernel
	.section	.text._ZN7rocprim17ROCPRIM_400000_NS6detail17trampoline_kernelINS0_14default_configENS1_20scan_config_selectorIN3c104HalfEEEZZNS1_9scan_implILNS1_25lookback_scan_determinismE0ELb0ELb0ES3_PKS6_PS6_S6_ZZZN2at6native31launch_logcumsumexp_cuda_kernelERKNSD_10TensorBaseESH_lENKUlvE_clEvENKUlvE3_clEvEUlS6_S6_E_S6_EEDaPvRmT3_T4_T5_mT6_P12ihipStream_tbENKUlT_T0_E_clISt17integral_constantIbLb0EESY_EEDaST_SU_EUlST_E_NS1_11comp_targetILNS1_3genE0ELNS1_11target_archE4294967295ELNS1_3gpuE0ELNS1_3repE0EEENS1_30default_config_static_selectorELNS0_4arch9wavefront6targetE0EEEvT1_,"axG",@progbits,_ZN7rocprim17ROCPRIM_400000_NS6detail17trampoline_kernelINS0_14default_configENS1_20scan_config_selectorIN3c104HalfEEEZZNS1_9scan_implILNS1_25lookback_scan_determinismE0ELb0ELb0ES3_PKS6_PS6_S6_ZZZN2at6native31launch_logcumsumexp_cuda_kernelERKNSD_10TensorBaseESH_lENKUlvE_clEvENKUlvE3_clEvEUlS6_S6_E_S6_EEDaPvRmT3_T4_T5_mT6_P12ihipStream_tbENKUlT_T0_E_clISt17integral_constantIbLb0EESY_EEDaST_SU_EUlST_E_NS1_11comp_targetILNS1_3genE0ELNS1_11target_archE4294967295ELNS1_3gpuE0ELNS1_3repE0EEENS1_30default_config_static_selectorELNS0_4arch9wavefront6targetE0EEEvT1_,comdat
.Lfunc_end355:
	.size	_ZN7rocprim17ROCPRIM_400000_NS6detail17trampoline_kernelINS0_14default_configENS1_20scan_config_selectorIN3c104HalfEEEZZNS1_9scan_implILNS1_25lookback_scan_determinismE0ELb0ELb0ES3_PKS6_PS6_S6_ZZZN2at6native31launch_logcumsumexp_cuda_kernelERKNSD_10TensorBaseESH_lENKUlvE_clEvENKUlvE3_clEvEUlS6_S6_E_S6_EEDaPvRmT3_T4_T5_mT6_P12ihipStream_tbENKUlT_T0_E_clISt17integral_constantIbLb0EESY_EEDaST_SU_EUlST_E_NS1_11comp_targetILNS1_3genE0ELNS1_11target_archE4294967295ELNS1_3gpuE0ELNS1_3repE0EEENS1_30default_config_static_selectorELNS0_4arch9wavefront6targetE0EEEvT1_, .Lfunc_end355-_ZN7rocprim17ROCPRIM_400000_NS6detail17trampoline_kernelINS0_14default_configENS1_20scan_config_selectorIN3c104HalfEEEZZNS1_9scan_implILNS1_25lookback_scan_determinismE0ELb0ELb0ES3_PKS6_PS6_S6_ZZZN2at6native31launch_logcumsumexp_cuda_kernelERKNSD_10TensorBaseESH_lENKUlvE_clEvENKUlvE3_clEvEUlS6_S6_E_S6_EEDaPvRmT3_T4_T5_mT6_P12ihipStream_tbENKUlT_T0_E_clISt17integral_constantIbLb0EESY_EEDaST_SU_EUlST_E_NS1_11comp_targetILNS1_3genE0ELNS1_11target_archE4294967295ELNS1_3gpuE0ELNS1_3repE0EEENS1_30default_config_static_selectorELNS0_4arch9wavefront6targetE0EEEvT1_
                                        ; -- End function
	.section	.AMDGPU.csdata,"",@progbits
; Kernel info:
; codeLenInByte = 0
; NumSgprs: 0
; NumVgprs: 0
; ScratchSize: 0
; MemoryBound: 0
; FloatMode: 240
; IeeeMode: 1
; LDSByteSize: 0 bytes/workgroup (compile time only)
; SGPRBlocks: 0
; VGPRBlocks: 0
; NumSGPRsForWavesPerEU: 1
; NumVGPRsForWavesPerEU: 1
; Occupancy: 16
; WaveLimiterHint : 0
; COMPUTE_PGM_RSRC2:SCRATCH_EN: 0
; COMPUTE_PGM_RSRC2:USER_SGPR: 15
; COMPUTE_PGM_RSRC2:TRAP_HANDLER: 0
; COMPUTE_PGM_RSRC2:TGID_X_EN: 1
; COMPUTE_PGM_RSRC2:TGID_Y_EN: 0
; COMPUTE_PGM_RSRC2:TGID_Z_EN: 0
; COMPUTE_PGM_RSRC2:TIDIG_COMP_CNT: 0
	.section	.text._ZN7rocprim17ROCPRIM_400000_NS6detail17trampoline_kernelINS0_14default_configENS1_20scan_config_selectorIN3c104HalfEEEZZNS1_9scan_implILNS1_25lookback_scan_determinismE0ELb0ELb0ES3_PKS6_PS6_S6_ZZZN2at6native31launch_logcumsumexp_cuda_kernelERKNSD_10TensorBaseESH_lENKUlvE_clEvENKUlvE3_clEvEUlS6_S6_E_S6_EEDaPvRmT3_T4_T5_mT6_P12ihipStream_tbENKUlT_T0_E_clISt17integral_constantIbLb0EESY_EEDaST_SU_EUlST_E_NS1_11comp_targetILNS1_3genE5ELNS1_11target_archE942ELNS1_3gpuE9ELNS1_3repE0EEENS1_30default_config_static_selectorELNS0_4arch9wavefront6targetE0EEEvT1_,"axG",@progbits,_ZN7rocprim17ROCPRIM_400000_NS6detail17trampoline_kernelINS0_14default_configENS1_20scan_config_selectorIN3c104HalfEEEZZNS1_9scan_implILNS1_25lookback_scan_determinismE0ELb0ELb0ES3_PKS6_PS6_S6_ZZZN2at6native31launch_logcumsumexp_cuda_kernelERKNSD_10TensorBaseESH_lENKUlvE_clEvENKUlvE3_clEvEUlS6_S6_E_S6_EEDaPvRmT3_T4_T5_mT6_P12ihipStream_tbENKUlT_T0_E_clISt17integral_constantIbLb0EESY_EEDaST_SU_EUlST_E_NS1_11comp_targetILNS1_3genE5ELNS1_11target_archE942ELNS1_3gpuE9ELNS1_3repE0EEENS1_30default_config_static_selectorELNS0_4arch9wavefront6targetE0EEEvT1_,comdat
	.globl	_ZN7rocprim17ROCPRIM_400000_NS6detail17trampoline_kernelINS0_14default_configENS1_20scan_config_selectorIN3c104HalfEEEZZNS1_9scan_implILNS1_25lookback_scan_determinismE0ELb0ELb0ES3_PKS6_PS6_S6_ZZZN2at6native31launch_logcumsumexp_cuda_kernelERKNSD_10TensorBaseESH_lENKUlvE_clEvENKUlvE3_clEvEUlS6_S6_E_S6_EEDaPvRmT3_T4_T5_mT6_P12ihipStream_tbENKUlT_T0_E_clISt17integral_constantIbLb0EESY_EEDaST_SU_EUlST_E_NS1_11comp_targetILNS1_3genE5ELNS1_11target_archE942ELNS1_3gpuE9ELNS1_3repE0EEENS1_30default_config_static_selectorELNS0_4arch9wavefront6targetE0EEEvT1_ ; -- Begin function _ZN7rocprim17ROCPRIM_400000_NS6detail17trampoline_kernelINS0_14default_configENS1_20scan_config_selectorIN3c104HalfEEEZZNS1_9scan_implILNS1_25lookback_scan_determinismE0ELb0ELb0ES3_PKS6_PS6_S6_ZZZN2at6native31launch_logcumsumexp_cuda_kernelERKNSD_10TensorBaseESH_lENKUlvE_clEvENKUlvE3_clEvEUlS6_S6_E_S6_EEDaPvRmT3_T4_T5_mT6_P12ihipStream_tbENKUlT_T0_E_clISt17integral_constantIbLb0EESY_EEDaST_SU_EUlST_E_NS1_11comp_targetILNS1_3genE5ELNS1_11target_archE942ELNS1_3gpuE9ELNS1_3repE0EEENS1_30default_config_static_selectorELNS0_4arch9wavefront6targetE0EEEvT1_
	.p2align	8
	.type	_ZN7rocprim17ROCPRIM_400000_NS6detail17trampoline_kernelINS0_14default_configENS1_20scan_config_selectorIN3c104HalfEEEZZNS1_9scan_implILNS1_25lookback_scan_determinismE0ELb0ELb0ES3_PKS6_PS6_S6_ZZZN2at6native31launch_logcumsumexp_cuda_kernelERKNSD_10TensorBaseESH_lENKUlvE_clEvENKUlvE3_clEvEUlS6_S6_E_S6_EEDaPvRmT3_T4_T5_mT6_P12ihipStream_tbENKUlT_T0_E_clISt17integral_constantIbLb0EESY_EEDaST_SU_EUlST_E_NS1_11comp_targetILNS1_3genE5ELNS1_11target_archE942ELNS1_3gpuE9ELNS1_3repE0EEENS1_30default_config_static_selectorELNS0_4arch9wavefront6targetE0EEEvT1_,@function
_ZN7rocprim17ROCPRIM_400000_NS6detail17trampoline_kernelINS0_14default_configENS1_20scan_config_selectorIN3c104HalfEEEZZNS1_9scan_implILNS1_25lookback_scan_determinismE0ELb0ELb0ES3_PKS6_PS6_S6_ZZZN2at6native31launch_logcumsumexp_cuda_kernelERKNSD_10TensorBaseESH_lENKUlvE_clEvENKUlvE3_clEvEUlS6_S6_E_S6_EEDaPvRmT3_T4_T5_mT6_P12ihipStream_tbENKUlT_T0_E_clISt17integral_constantIbLb0EESY_EEDaST_SU_EUlST_E_NS1_11comp_targetILNS1_3genE5ELNS1_11target_archE942ELNS1_3gpuE9ELNS1_3repE0EEENS1_30default_config_static_selectorELNS0_4arch9wavefront6targetE0EEEvT1_: ; @_ZN7rocprim17ROCPRIM_400000_NS6detail17trampoline_kernelINS0_14default_configENS1_20scan_config_selectorIN3c104HalfEEEZZNS1_9scan_implILNS1_25lookback_scan_determinismE0ELb0ELb0ES3_PKS6_PS6_S6_ZZZN2at6native31launch_logcumsumexp_cuda_kernelERKNSD_10TensorBaseESH_lENKUlvE_clEvENKUlvE3_clEvEUlS6_S6_E_S6_EEDaPvRmT3_T4_T5_mT6_P12ihipStream_tbENKUlT_T0_E_clISt17integral_constantIbLb0EESY_EEDaST_SU_EUlST_E_NS1_11comp_targetILNS1_3genE5ELNS1_11target_archE942ELNS1_3gpuE9ELNS1_3repE0EEENS1_30default_config_static_selectorELNS0_4arch9wavefront6targetE0EEEvT1_
; %bb.0:
	.section	.rodata,"a",@progbits
	.p2align	6, 0x0
	.amdhsa_kernel _ZN7rocprim17ROCPRIM_400000_NS6detail17trampoline_kernelINS0_14default_configENS1_20scan_config_selectorIN3c104HalfEEEZZNS1_9scan_implILNS1_25lookback_scan_determinismE0ELb0ELb0ES3_PKS6_PS6_S6_ZZZN2at6native31launch_logcumsumexp_cuda_kernelERKNSD_10TensorBaseESH_lENKUlvE_clEvENKUlvE3_clEvEUlS6_S6_E_S6_EEDaPvRmT3_T4_T5_mT6_P12ihipStream_tbENKUlT_T0_E_clISt17integral_constantIbLb0EESY_EEDaST_SU_EUlST_E_NS1_11comp_targetILNS1_3genE5ELNS1_11target_archE942ELNS1_3gpuE9ELNS1_3repE0EEENS1_30default_config_static_selectorELNS0_4arch9wavefront6targetE0EEEvT1_
		.amdhsa_group_segment_fixed_size 0
		.amdhsa_private_segment_fixed_size 0
		.amdhsa_kernarg_size 96
		.amdhsa_user_sgpr_count 15
		.amdhsa_user_sgpr_dispatch_ptr 0
		.amdhsa_user_sgpr_queue_ptr 0
		.amdhsa_user_sgpr_kernarg_segment_ptr 1
		.amdhsa_user_sgpr_dispatch_id 0
		.amdhsa_user_sgpr_private_segment_size 0
		.amdhsa_wavefront_size32 1
		.amdhsa_uses_dynamic_stack 0
		.amdhsa_enable_private_segment 0
		.amdhsa_system_sgpr_workgroup_id_x 1
		.amdhsa_system_sgpr_workgroup_id_y 0
		.amdhsa_system_sgpr_workgroup_id_z 0
		.amdhsa_system_sgpr_workgroup_info 0
		.amdhsa_system_vgpr_workitem_id 0
		.amdhsa_next_free_vgpr 1
		.amdhsa_next_free_sgpr 1
		.amdhsa_reserve_vcc 0
		.amdhsa_float_round_mode_32 0
		.amdhsa_float_round_mode_16_64 0
		.amdhsa_float_denorm_mode_32 3
		.amdhsa_float_denorm_mode_16_64 3
		.amdhsa_dx10_clamp 1
		.amdhsa_ieee_mode 1
		.amdhsa_fp16_overflow 0
		.amdhsa_workgroup_processor_mode 1
		.amdhsa_memory_ordered 1
		.amdhsa_forward_progress 0
		.amdhsa_shared_vgpr_count 0
		.amdhsa_exception_fp_ieee_invalid_op 0
		.amdhsa_exception_fp_denorm_src 0
		.amdhsa_exception_fp_ieee_div_zero 0
		.amdhsa_exception_fp_ieee_overflow 0
		.amdhsa_exception_fp_ieee_underflow 0
		.amdhsa_exception_fp_ieee_inexact 0
		.amdhsa_exception_int_div_zero 0
	.end_amdhsa_kernel
	.section	.text._ZN7rocprim17ROCPRIM_400000_NS6detail17trampoline_kernelINS0_14default_configENS1_20scan_config_selectorIN3c104HalfEEEZZNS1_9scan_implILNS1_25lookback_scan_determinismE0ELb0ELb0ES3_PKS6_PS6_S6_ZZZN2at6native31launch_logcumsumexp_cuda_kernelERKNSD_10TensorBaseESH_lENKUlvE_clEvENKUlvE3_clEvEUlS6_S6_E_S6_EEDaPvRmT3_T4_T5_mT6_P12ihipStream_tbENKUlT_T0_E_clISt17integral_constantIbLb0EESY_EEDaST_SU_EUlST_E_NS1_11comp_targetILNS1_3genE5ELNS1_11target_archE942ELNS1_3gpuE9ELNS1_3repE0EEENS1_30default_config_static_selectorELNS0_4arch9wavefront6targetE0EEEvT1_,"axG",@progbits,_ZN7rocprim17ROCPRIM_400000_NS6detail17trampoline_kernelINS0_14default_configENS1_20scan_config_selectorIN3c104HalfEEEZZNS1_9scan_implILNS1_25lookback_scan_determinismE0ELb0ELb0ES3_PKS6_PS6_S6_ZZZN2at6native31launch_logcumsumexp_cuda_kernelERKNSD_10TensorBaseESH_lENKUlvE_clEvENKUlvE3_clEvEUlS6_S6_E_S6_EEDaPvRmT3_T4_T5_mT6_P12ihipStream_tbENKUlT_T0_E_clISt17integral_constantIbLb0EESY_EEDaST_SU_EUlST_E_NS1_11comp_targetILNS1_3genE5ELNS1_11target_archE942ELNS1_3gpuE9ELNS1_3repE0EEENS1_30default_config_static_selectorELNS0_4arch9wavefront6targetE0EEEvT1_,comdat
.Lfunc_end356:
	.size	_ZN7rocprim17ROCPRIM_400000_NS6detail17trampoline_kernelINS0_14default_configENS1_20scan_config_selectorIN3c104HalfEEEZZNS1_9scan_implILNS1_25lookback_scan_determinismE0ELb0ELb0ES3_PKS6_PS6_S6_ZZZN2at6native31launch_logcumsumexp_cuda_kernelERKNSD_10TensorBaseESH_lENKUlvE_clEvENKUlvE3_clEvEUlS6_S6_E_S6_EEDaPvRmT3_T4_T5_mT6_P12ihipStream_tbENKUlT_T0_E_clISt17integral_constantIbLb0EESY_EEDaST_SU_EUlST_E_NS1_11comp_targetILNS1_3genE5ELNS1_11target_archE942ELNS1_3gpuE9ELNS1_3repE0EEENS1_30default_config_static_selectorELNS0_4arch9wavefront6targetE0EEEvT1_, .Lfunc_end356-_ZN7rocprim17ROCPRIM_400000_NS6detail17trampoline_kernelINS0_14default_configENS1_20scan_config_selectorIN3c104HalfEEEZZNS1_9scan_implILNS1_25lookback_scan_determinismE0ELb0ELb0ES3_PKS6_PS6_S6_ZZZN2at6native31launch_logcumsumexp_cuda_kernelERKNSD_10TensorBaseESH_lENKUlvE_clEvENKUlvE3_clEvEUlS6_S6_E_S6_EEDaPvRmT3_T4_T5_mT6_P12ihipStream_tbENKUlT_T0_E_clISt17integral_constantIbLb0EESY_EEDaST_SU_EUlST_E_NS1_11comp_targetILNS1_3genE5ELNS1_11target_archE942ELNS1_3gpuE9ELNS1_3repE0EEENS1_30default_config_static_selectorELNS0_4arch9wavefront6targetE0EEEvT1_
                                        ; -- End function
	.section	.AMDGPU.csdata,"",@progbits
; Kernel info:
; codeLenInByte = 0
; NumSgprs: 0
; NumVgprs: 0
; ScratchSize: 0
; MemoryBound: 0
; FloatMode: 240
; IeeeMode: 1
; LDSByteSize: 0 bytes/workgroup (compile time only)
; SGPRBlocks: 0
; VGPRBlocks: 0
; NumSGPRsForWavesPerEU: 1
; NumVGPRsForWavesPerEU: 1
; Occupancy: 16
; WaveLimiterHint : 0
; COMPUTE_PGM_RSRC2:SCRATCH_EN: 0
; COMPUTE_PGM_RSRC2:USER_SGPR: 15
; COMPUTE_PGM_RSRC2:TRAP_HANDLER: 0
; COMPUTE_PGM_RSRC2:TGID_X_EN: 1
; COMPUTE_PGM_RSRC2:TGID_Y_EN: 0
; COMPUTE_PGM_RSRC2:TGID_Z_EN: 0
; COMPUTE_PGM_RSRC2:TIDIG_COMP_CNT: 0
	.section	.text._ZN7rocprim17ROCPRIM_400000_NS6detail17trampoline_kernelINS0_14default_configENS1_20scan_config_selectorIN3c104HalfEEEZZNS1_9scan_implILNS1_25lookback_scan_determinismE0ELb0ELb0ES3_PKS6_PS6_S6_ZZZN2at6native31launch_logcumsumexp_cuda_kernelERKNSD_10TensorBaseESH_lENKUlvE_clEvENKUlvE3_clEvEUlS6_S6_E_S6_EEDaPvRmT3_T4_T5_mT6_P12ihipStream_tbENKUlT_T0_E_clISt17integral_constantIbLb0EESY_EEDaST_SU_EUlST_E_NS1_11comp_targetILNS1_3genE4ELNS1_11target_archE910ELNS1_3gpuE8ELNS1_3repE0EEENS1_30default_config_static_selectorELNS0_4arch9wavefront6targetE0EEEvT1_,"axG",@progbits,_ZN7rocprim17ROCPRIM_400000_NS6detail17trampoline_kernelINS0_14default_configENS1_20scan_config_selectorIN3c104HalfEEEZZNS1_9scan_implILNS1_25lookback_scan_determinismE0ELb0ELb0ES3_PKS6_PS6_S6_ZZZN2at6native31launch_logcumsumexp_cuda_kernelERKNSD_10TensorBaseESH_lENKUlvE_clEvENKUlvE3_clEvEUlS6_S6_E_S6_EEDaPvRmT3_T4_T5_mT6_P12ihipStream_tbENKUlT_T0_E_clISt17integral_constantIbLb0EESY_EEDaST_SU_EUlST_E_NS1_11comp_targetILNS1_3genE4ELNS1_11target_archE910ELNS1_3gpuE8ELNS1_3repE0EEENS1_30default_config_static_selectorELNS0_4arch9wavefront6targetE0EEEvT1_,comdat
	.globl	_ZN7rocprim17ROCPRIM_400000_NS6detail17trampoline_kernelINS0_14default_configENS1_20scan_config_selectorIN3c104HalfEEEZZNS1_9scan_implILNS1_25lookback_scan_determinismE0ELb0ELb0ES3_PKS6_PS6_S6_ZZZN2at6native31launch_logcumsumexp_cuda_kernelERKNSD_10TensorBaseESH_lENKUlvE_clEvENKUlvE3_clEvEUlS6_S6_E_S6_EEDaPvRmT3_T4_T5_mT6_P12ihipStream_tbENKUlT_T0_E_clISt17integral_constantIbLb0EESY_EEDaST_SU_EUlST_E_NS1_11comp_targetILNS1_3genE4ELNS1_11target_archE910ELNS1_3gpuE8ELNS1_3repE0EEENS1_30default_config_static_selectorELNS0_4arch9wavefront6targetE0EEEvT1_ ; -- Begin function _ZN7rocprim17ROCPRIM_400000_NS6detail17trampoline_kernelINS0_14default_configENS1_20scan_config_selectorIN3c104HalfEEEZZNS1_9scan_implILNS1_25lookback_scan_determinismE0ELb0ELb0ES3_PKS6_PS6_S6_ZZZN2at6native31launch_logcumsumexp_cuda_kernelERKNSD_10TensorBaseESH_lENKUlvE_clEvENKUlvE3_clEvEUlS6_S6_E_S6_EEDaPvRmT3_T4_T5_mT6_P12ihipStream_tbENKUlT_T0_E_clISt17integral_constantIbLb0EESY_EEDaST_SU_EUlST_E_NS1_11comp_targetILNS1_3genE4ELNS1_11target_archE910ELNS1_3gpuE8ELNS1_3repE0EEENS1_30default_config_static_selectorELNS0_4arch9wavefront6targetE0EEEvT1_
	.p2align	8
	.type	_ZN7rocprim17ROCPRIM_400000_NS6detail17trampoline_kernelINS0_14default_configENS1_20scan_config_selectorIN3c104HalfEEEZZNS1_9scan_implILNS1_25lookback_scan_determinismE0ELb0ELb0ES3_PKS6_PS6_S6_ZZZN2at6native31launch_logcumsumexp_cuda_kernelERKNSD_10TensorBaseESH_lENKUlvE_clEvENKUlvE3_clEvEUlS6_S6_E_S6_EEDaPvRmT3_T4_T5_mT6_P12ihipStream_tbENKUlT_T0_E_clISt17integral_constantIbLb0EESY_EEDaST_SU_EUlST_E_NS1_11comp_targetILNS1_3genE4ELNS1_11target_archE910ELNS1_3gpuE8ELNS1_3repE0EEENS1_30default_config_static_selectorELNS0_4arch9wavefront6targetE0EEEvT1_,@function
_ZN7rocprim17ROCPRIM_400000_NS6detail17trampoline_kernelINS0_14default_configENS1_20scan_config_selectorIN3c104HalfEEEZZNS1_9scan_implILNS1_25lookback_scan_determinismE0ELb0ELb0ES3_PKS6_PS6_S6_ZZZN2at6native31launch_logcumsumexp_cuda_kernelERKNSD_10TensorBaseESH_lENKUlvE_clEvENKUlvE3_clEvEUlS6_S6_E_S6_EEDaPvRmT3_T4_T5_mT6_P12ihipStream_tbENKUlT_T0_E_clISt17integral_constantIbLb0EESY_EEDaST_SU_EUlST_E_NS1_11comp_targetILNS1_3genE4ELNS1_11target_archE910ELNS1_3gpuE8ELNS1_3repE0EEENS1_30default_config_static_selectorELNS0_4arch9wavefront6targetE0EEEvT1_: ; @_ZN7rocprim17ROCPRIM_400000_NS6detail17trampoline_kernelINS0_14default_configENS1_20scan_config_selectorIN3c104HalfEEEZZNS1_9scan_implILNS1_25lookback_scan_determinismE0ELb0ELb0ES3_PKS6_PS6_S6_ZZZN2at6native31launch_logcumsumexp_cuda_kernelERKNSD_10TensorBaseESH_lENKUlvE_clEvENKUlvE3_clEvEUlS6_S6_E_S6_EEDaPvRmT3_T4_T5_mT6_P12ihipStream_tbENKUlT_T0_E_clISt17integral_constantIbLb0EESY_EEDaST_SU_EUlST_E_NS1_11comp_targetILNS1_3genE4ELNS1_11target_archE910ELNS1_3gpuE8ELNS1_3repE0EEENS1_30default_config_static_selectorELNS0_4arch9wavefront6targetE0EEEvT1_
; %bb.0:
	.section	.rodata,"a",@progbits
	.p2align	6, 0x0
	.amdhsa_kernel _ZN7rocprim17ROCPRIM_400000_NS6detail17trampoline_kernelINS0_14default_configENS1_20scan_config_selectorIN3c104HalfEEEZZNS1_9scan_implILNS1_25lookback_scan_determinismE0ELb0ELb0ES3_PKS6_PS6_S6_ZZZN2at6native31launch_logcumsumexp_cuda_kernelERKNSD_10TensorBaseESH_lENKUlvE_clEvENKUlvE3_clEvEUlS6_S6_E_S6_EEDaPvRmT3_T4_T5_mT6_P12ihipStream_tbENKUlT_T0_E_clISt17integral_constantIbLb0EESY_EEDaST_SU_EUlST_E_NS1_11comp_targetILNS1_3genE4ELNS1_11target_archE910ELNS1_3gpuE8ELNS1_3repE0EEENS1_30default_config_static_selectorELNS0_4arch9wavefront6targetE0EEEvT1_
		.amdhsa_group_segment_fixed_size 0
		.amdhsa_private_segment_fixed_size 0
		.amdhsa_kernarg_size 96
		.amdhsa_user_sgpr_count 15
		.amdhsa_user_sgpr_dispatch_ptr 0
		.amdhsa_user_sgpr_queue_ptr 0
		.amdhsa_user_sgpr_kernarg_segment_ptr 1
		.amdhsa_user_sgpr_dispatch_id 0
		.amdhsa_user_sgpr_private_segment_size 0
		.amdhsa_wavefront_size32 1
		.amdhsa_uses_dynamic_stack 0
		.amdhsa_enable_private_segment 0
		.amdhsa_system_sgpr_workgroup_id_x 1
		.amdhsa_system_sgpr_workgroup_id_y 0
		.amdhsa_system_sgpr_workgroup_id_z 0
		.amdhsa_system_sgpr_workgroup_info 0
		.amdhsa_system_vgpr_workitem_id 0
		.amdhsa_next_free_vgpr 1
		.amdhsa_next_free_sgpr 1
		.amdhsa_reserve_vcc 0
		.amdhsa_float_round_mode_32 0
		.amdhsa_float_round_mode_16_64 0
		.amdhsa_float_denorm_mode_32 3
		.amdhsa_float_denorm_mode_16_64 3
		.amdhsa_dx10_clamp 1
		.amdhsa_ieee_mode 1
		.amdhsa_fp16_overflow 0
		.amdhsa_workgroup_processor_mode 1
		.amdhsa_memory_ordered 1
		.amdhsa_forward_progress 0
		.amdhsa_shared_vgpr_count 0
		.amdhsa_exception_fp_ieee_invalid_op 0
		.amdhsa_exception_fp_denorm_src 0
		.amdhsa_exception_fp_ieee_div_zero 0
		.amdhsa_exception_fp_ieee_overflow 0
		.amdhsa_exception_fp_ieee_underflow 0
		.amdhsa_exception_fp_ieee_inexact 0
		.amdhsa_exception_int_div_zero 0
	.end_amdhsa_kernel
	.section	.text._ZN7rocprim17ROCPRIM_400000_NS6detail17trampoline_kernelINS0_14default_configENS1_20scan_config_selectorIN3c104HalfEEEZZNS1_9scan_implILNS1_25lookback_scan_determinismE0ELb0ELb0ES3_PKS6_PS6_S6_ZZZN2at6native31launch_logcumsumexp_cuda_kernelERKNSD_10TensorBaseESH_lENKUlvE_clEvENKUlvE3_clEvEUlS6_S6_E_S6_EEDaPvRmT3_T4_T5_mT6_P12ihipStream_tbENKUlT_T0_E_clISt17integral_constantIbLb0EESY_EEDaST_SU_EUlST_E_NS1_11comp_targetILNS1_3genE4ELNS1_11target_archE910ELNS1_3gpuE8ELNS1_3repE0EEENS1_30default_config_static_selectorELNS0_4arch9wavefront6targetE0EEEvT1_,"axG",@progbits,_ZN7rocprim17ROCPRIM_400000_NS6detail17trampoline_kernelINS0_14default_configENS1_20scan_config_selectorIN3c104HalfEEEZZNS1_9scan_implILNS1_25lookback_scan_determinismE0ELb0ELb0ES3_PKS6_PS6_S6_ZZZN2at6native31launch_logcumsumexp_cuda_kernelERKNSD_10TensorBaseESH_lENKUlvE_clEvENKUlvE3_clEvEUlS6_S6_E_S6_EEDaPvRmT3_T4_T5_mT6_P12ihipStream_tbENKUlT_T0_E_clISt17integral_constantIbLb0EESY_EEDaST_SU_EUlST_E_NS1_11comp_targetILNS1_3genE4ELNS1_11target_archE910ELNS1_3gpuE8ELNS1_3repE0EEENS1_30default_config_static_selectorELNS0_4arch9wavefront6targetE0EEEvT1_,comdat
.Lfunc_end357:
	.size	_ZN7rocprim17ROCPRIM_400000_NS6detail17trampoline_kernelINS0_14default_configENS1_20scan_config_selectorIN3c104HalfEEEZZNS1_9scan_implILNS1_25lookback_scan_determinismE0ELb0ELb0ES3_PKS6_PS6_S6_ZZZN2at6native31launch_logcumsumexp_cuda_kernelERKNSD_10TensorBaseESH_lENKUlvE_clEvENKUlvE3_clEvEUlS6_S6_E_S6_EEDaPvRmT3_T4_T5_mT6_P12ihipStream_tbENKUlT_T0_E_clISt17integral_constantIbLb0EESY_EEDaST_SU_EUlST_E_NS1_11comp_targetILNS1_3genE4ELNS1_11target_archE910ELNS1_3gpuE8ELNS1_3repE0EEENS1_30default_config_static_selectorELNS0_4arch9wavefront6targetE0EEEvT1_, .Lfunc_end357-_ZN7rocprim17ROCPRIM_400000_NS6detail17trampoline_kernelINS0_14default_configENS1_20scan_config_selectorIN3c104HalfEEEZZNS1_9scan_implILNS1_25lookback_scan_determinismE0ELb0ELb0ES3_PKS6_PS6_S6_ZZZN2at6native31launch_logcumsumexp_cuda_kernelERKNSD_10TensorBaseESH_lENKUlvE_clEvENKUlvE3_clEvEUlS6_S6_E_S6_EEDaPvRmT3_T4_T5_mT6_P12ihipStream_tbENKUlT_T0_E_clISt17integral_constantIbLb0EESY_EEDaST_SU_EUlST_E_NS1_11comp_targetILNS1_3genE4ELNS1_11target_archE910ELNS1_3gpuE8ELNS1_3repE0EEENS1_30default_config_static_selectorELNS0_4arch9wavefront6targetE0EEEvT1_
                                        ; -- End function
	.section	.AMDGPU.csdata,"",@progbits
; Kernel info:
; codeLenInByte = 0
; NumSgprs: 0
; NumVgprs: 0
; ScratchSize: 0
; MemoryBound: 0
; FloatMode: 240
; IeeeMode: 1
; LDSByteSize: 0 bytes/workgroup (compile time only)
; SGPRBlocks: 0
; VGPRBlocks: 0
; NumSGPRsForWavesPerEU: 1
; NumVGPRsForWavesPerEU: 1
; Occupancy: 16
; WaveLimiterHint : 0
; COMPUTE_PGM_RSRC2:SCRATCH_EN: 0
; COMPUTE_PGM_RSRC2:USER_SGPR: 15
; COMPUTE_PGM_RSRC2:TRAP_HANDLER: 0
; COMPUTE_PGM_RSRC2:TGID_X_EN: 1
; COMPUTE_PGM_RSRC2:TGID_Y_EN: 0
; COMPUTE_PGM_RSRC2:TGID_Z_EN: 0
; COMPUTE_PGM_RSRC2:TIDIG_COMP_CNT: 0
	.section	.text._ZN7rocprim17ROCPRIM_400000_NS6detail17trampoline_kernelINS0_14default_configENS1_20scan_config_selectorIN3c104HalfEEEZZNS1_9scan_implILNS1_25lookback_scan_determinismE0ELb0ELb0ES3_PKS6_PS6_S6_ZZZN2at6native31launch_logcumsumexp_cuda_kernelERKNSD_10TensorBaseESH_lENKUlvE_clEvENKUlvE3_clEvEUlS6_S6_E_S6_EEDaPvRmT3_T4_T5_mT6_P12ihipStream_tbENKUlT_T0_E_clISt17integral_constantIbLb0EESY_EEDaST_SU_EUlST_E_NS1_11comp_targetILNS1_3genE3ELNS1_11target_archE908ELNS1_3gpuE7ELNS1_3repE0EEENS1_30default_config_static_selectorELNS0_4arch9wavefront6targetE0EEEvT1_,"axG",@progbits,_ZN7rocprim17ROCPRIM_400000_NS6detail17trampoline_kernelINS0_14default_configENS1_20scan_config_selectorIN3c104HalfEEEZZNS1_9scan_implILNS1_25lookback_scan_determinismE0ELb0ELb0ES3_PKS6_PS6_S6_ZZZN2at6native31launch_logcumsumexp_cuda_kernelERKNSD_10TensorBaseESH_lENKUlvE_clEvENKUlvE3_clEvEUlS6_S6_E_S6_EEDaPvRmT3_T4_T5_mT6_P12ihipStream_tbENKUlT_T0_E_clISt17integral_constantIbLb0EESY_EEDaST_SU_EUlST_E_NS1_11comp_targetILNS1_3genE3ELNS1_11target_archE908ELNS1_3gpuE7ELNS1_3repE0EEENS1_30default_config_static_selectorELNS0_4arch9wavefront6targetE0EEEvT1_,comdat
	.globl	_ZN7rocprim17ROCPRIM_400000_NS6detail17trampoline_kernelINS0_14default_configENS1_20scan_config_selectorIN3c104HalfEEEZZNS1_9scan_implILNS1_25lookback_scan_determinismE0ELb0ELb0ES3_PKS6_PS6_S6_ZZZN2at6native31launch_logcumsumexp_cuda_kernelERKNSD_10TensorBaseESH_lENKUlvE_clEvENKUlvE3_clEvEUlS6_S6_E_S6_EEDaPvRmT3_T4_T5_mT6_P12ihipStream_tbENKUlT_T0_E_clISt17integral_constantIbLb0EESY_EEDaST_SU_EUlST_E_NS1_11comp_targetILNS1_3genE3ELNS1_11target_archE908ELNS1_3gpuE7ELNS1_3repE0EEENS1_30default_config_static_selectorELNS0_4arch9wavefront6targetE0EEEvT1_ ; -- Begin function _ZN7rocprim17ROCPRIM_400000_NS6detail17trampoline_kernelINS0_14default_configENS1_20scan_config_selectorIN3c104HalfEEEZZNS1_9scan_implILNS1_25lookback_scan_determinismE0ELb0ELb0ES3_PKS6_PS6_S6_ZZZN2at6native31launch_logcumsumexp_cuda_kernelERKNSD_10TensorBaseESH_lENKUlvE_clEvENKUlvE3_clEvEUlS6_S6_E_S6_EEDaPvRmT3_T4_T5_mT6_P12ihipStream_tbENKUlT_T0_E_clISt17integral_constantIbLb0EESY_EEDaST_SU_EUlST_E_NS1_11comp_targetILNS1_3genE3ELNS1_11target_archE908ELNS1_3gpuE7ELNS1_3repE0EEENS1_30default_config_static_selectorELNS0_4arch9wavefront6targetE0EEEvT1_
	.p2align	8
	.type	_ZN7rocprim17ROCPRIM_400000_NS6detail17trampoline_kernelINS0_14default_configENS1_20scan_config_selectorIN3c104HalfEEEZZNS1_9scan_implILNS1_25lookback_scan_determinismE0ELb0ELb0ES3_PKS6_PS6_S6_ZZZN2at6native31launch_logcumsumexp_cuda_kernelERKNSD_10TensorBaseESH_lENKUlvE_clEvENKUlvE3_clEvEUlS6_S6_E_S6_EEDaPvRmT3_T4_T5_mT6_P12ihipStream_tbENKUlT_T0_E_clISt17integral_constantIbLb0EESY_EEDaST_SU_EUlST_E_NS1_11comp_targetILNS1_3genE3ELNS1_11target_archE908ELNS1_3gpuE7ELNS1_3repE0EEENS1_30default_config_static_selectorELNS0_4arch9wavefront6targetE0EEEvT1_,@function
_ZN7rocprim17ROCPRIM_400000_NS6detail17trampoline_kernelINS0_14default_configENS1_20scan_config_selectorIN3c104HalfEEEZZNS1_9scan_implILNS1_25lookback_scan_determinismE0ELb0ELb0ES3_PKS6_PS6_S6_ZZZN2at6native31launch_logcumsumexp_cuda_kernelERKNSD_10TensorBaseESH_lENKUlvE_clEvENKUlvE3_clEvEUlS6_S6_E_S6_EEDaPvRmT3_T4_T5_mT6_P12ihipStream_tbENKUlT_T0_E_clISt17integral_constantIbLb0EESY_EEDaST_SU_EUlST_E_NS1_11comp_targetILNS1_3genE3ELNS1_11target_archE908ELNS1_3gpuE7ELNS1_3repE0EEENS1_30default_config_static_selectorELNS0_4arch9wavefront6targetE0EEEvT1_: ; @_ZN7rocprim17ROCPRIM_400000_NS6detail17trampoline_kernelINS0_14default_configENS1_20scan_config_selectorIN3c104HalfEEEZZNS1_9scan_implILNS1_25lookback_scan_determinismE0ELb0ELb0ES3_PKS6_PS6_S6_ZZZN2at6native31launch_logcumsumexp_cuda_kernelERKNSD_10TensorBaseESH_lENKUlvE_clEvENKUlvE3_clEvEUlS6_S6_E_S6_EEDaPvRmT3_T4_T5_mT6_P12ihipStream_tbENKUlT_T0_E_clISt17integral_constantIbLb0EESY_EEDaST_SU_EUlST_E_NS1_11comp_targetILNS1_3genE3ELNS1_11target_archE908ELNS1_3gpuE7ELNS1_3repE0EEENS1_30default_config_static_selectorELNS0_4arch9wavefront6targetE0EEEvT1_
; %bb.0:
	.section	.rodata,"a",@progbits
	.p2align	6, 0x0
	.amdhsa_kernel _ZN7rocprim17ROCPRIM_400000_NS6detail17trampoline_kernelINS0_14default_configENS1_20scan_config_selectorIN3c104HalfEEEZZNS1_9scan_implILNS1_25lookback_scan_determinismE0ELb0ELb0ES3_PKS6_PS6_S6_ZZZN2at6native31launch_logcumsumexp_cuda_kernelERKNSD_10TensorBaseESH_lENKUlvE_clEvENKUlvE3_clEvEUlS6_S6_E_S6_EEDaPvRmT3_T4_T5_mT6_P12ihipStream_tbENKUlT_T0_E_clISt17integral_constantIbLb0EESY_EEDaST_SU_EUlST_E_NS1_11comp_targetILNS1_3genE3ELNS1_11target_archE908ELNS1_3gpuE7ELNS1_3repE0EEENS1_30default_config_static_selectorELNS0_4arch9wavefront6targetE0EEEvT1_
		.amdhsa_group_segment_fixed_size 0
		.amdhsa_private_segment_fixed_size 0
		.amdhsa_kernarg_size 96
		.amdhsa_user_sgpr_count 15
		.amdhsa_user_sgpr_dispatch_ptr 0
		.amdhsa_user_sgpr_queue_ptr 0
		.amdhsa_user_sgpr_kernarg_segment_ptr 1
		.amdhsa_user_sgpr_dispatch_id 0
		.amdhsa_user_sgpr_private_segment_size 0
		.amdhsa_wavefront_size32 1
		.amdhsa_uses_dynamic_stack 0
		.amdhsa_enable_private_segment 0
		.amdhsa_system_sgpr_workgroup_id_x 1
		.amdhsa_system_sgpr_workgroup_id_y 0
		.amdhsa_system_sgpr_workgroup_id_z 0
		.amdhsa_system_sgpr_workgroup_info 0
		.amdhsa_system_vgpr_workitem_id 0
		.amdhsa_next_free_vgpr 1
		.amdhsa_next_free_sgpr 1
		.amdhsa_reserve_vcc 0
		.amdhsa_float_round_mode_32 0
		.amdhsa_float_round_mode_16_64 0
		.amdhsa_float_denorm_mode_32 3
		.amdhsa_float_denorm_mode_16_64 3
		.amdhsa_dx10_clamp 1
		.amdhsa_ieee_mode 1
		.amdhsa_fp16_overflow 0
		.amdhsa_workgroup_processor_mode 1
		.amdhsa_memory_ordered 1
		.amdhsa_forward_progress 0
		.amdhsa_shared_vgpr_count 0
		.amdhsa_exception_fp_ieee_invalid_op 0
		.amdhsa_exception_fp_denorm_src 0
		.amdhsa_exception_fp_ieee_div_zero 0
		.amdhsa_exception_fp_ieee_overflow 0
		.amdhsa_exception_fp_ieee_underflow 0
		.amdhsa_exception_fp_ieee_inexact 0
		.amdhsa_exception_int_div_zero 0
	.end_amdhsa_kernel
	.section	.text._ZN7rocprim17ROCPRIM_400000_NS6detail17trampoline_kernelINS0_14default_configENS1_20scan_config_selectorIN3c104HalfEEEZZNS1_9scan_implILNS1_25lookback_scan_determinismE0ELb0ELb0ES3_PKS6_PS6_S6_ZZZN2at6native31launch_logcumsumexp_cuda_kernelERKNSD_10TensorBaseESH_lENKUlvE_clEvENKUlvE3_clEvEUlS6_S6_E_S6_EEDaPvRmT3_T4_T5_mT6_P12ihipStream_tbENKUlT_T0_E_clISt17integral_constantIbLb0EESY_EEDaST_SU_EUlST_E_NS1_11comp_targetILNS1_3genE3ELNS1_11target_archE908ELNS1_3gpuE7ELNS1_3repE0EEENS1_30default_config_static_selectorELNS0_4arch9wavefront6targetE0EEEvT1_,"axG",@progbits,_ZN7rocprim17ROCPRIM_400000_NS6detail17trampoline_kernelINS0_14default_configENS1_20scan_config_selectorIN3c104HalfEEEZZNS1_9scan_implILNS1_25lookback_scan_determinismE0ELb0ELb0ES3_PKS6_PS6_S6_ZZZN2at6native31launch_logcumsumexp_cuda_kernelERKNSD_10TensorBaseESH_lENKUlvE_clEvENKUlvE3_clEvEUlS6_S6_E_S6_EEDaPvRmT3_T4_T5_mT6_P12ihipStream_tbENKUlT_T0_E_clISt17integral_constantIbLb0EESY_EEDaST_SU_EUlST_E_NS1_11comp_targetILNS1_3genE3ELNS1_11target_archE908ELNS1_3gpuE7ELNS1_3repE0EEENS1_30default_config_static_selectorELNS0_4arch9wavefront6targetE0EEEvT1_,comdat
.Lfunc_end358:
	.size	_ZN7rocprim17ROCPRIM_400000_NS6detail17trampoline_kernelINS0_14default_configENS1_20scan_config_selectorIN3c104HalfEEEZZNS1_9scan_implILNS1_25lookback_scan_determinismE0ELb0ELb0ES3_PKS6_PS6_S6_ZZZN2at6native31launch_logcumsumexp_cuda_kernelERKNSD_10TensorBaseESH_lENKUlvE_clEvENKUlvE3_clEvEUlS6_S6_E_S6_EEDaPvRmT3_T4_T5_mT6_P12ihipStream_tbENKUlT_T0_E_clISt17integral_constantIbLb0EESY_EEDaST_SU_EUlST_E_NS1_11comp_targetILNS1_3genE3ELNS1_11target_archE908ELNS1_3gpuE7ELNS1_3repE0EEENS1_30default_config_static_selectorELNS0_4arch9wavefront6targetE0EEEvT1_, .Lfunc_end358-_ZN7rocprim17ROCPRIM_400000_NS6detail17trampoline_kernelINS0_14default_configENS1_20scan_config_selectorIN3c104HalfEEEZZNS1_9scan_implILNS1_25lookback_scan_determinismE0ELb0ELb0ES3_PKS6_PS6_S6_ZZZN2at6native31launch_logcumsumexp_cuda_kernelERKNSD_10TensorBaseESH_lENKUlvE_clEvENKUlvE3_clEvEUlS6_S6_E_S6_EEDaPvRmT3_T4_T5_mT6_P12ihipStream_tbENKUlT_T0_E_clISt17integral_constantIbLb0EESY_EEDaST_SU_EUlST_E_NS1_11comp_targetILNS1_3genE3ELNS1_11target_archE908ELNS1_3gpuE7ELNS1_3repE0EEENS1_30default_config_static_selectorELNS0_4arch9wavefront6targetE0EEEvT1_
                                        ; -- End function
	.section	.AMDGPU.csdata,"",@progbits
; Kernel info:
; codeLenInByte = 0
; NumSgprs: 0
; NumVgprs: 0
; ScratchSize: 0
; MemoryBound: 0
; FloatMode: 240
; IeeeMode: 1
; LDSByteSize: 0 bytes/workgroup (compile time only)
; SGPRBlocks: 0
; VGPRBlocks: 0
; NumSGPRsForWavesPerEU: 1
; NumVGPRsForWavesPerEU: 1
; Occupancy: 16
; WaveLimiterHint : 0
; COMPUTE_PGM_RSRC2:SCRATCH_EN: 0
; COMPUTE_PGM_RSRC2:USER_SGPR: 15
; COMPUTE_PGM_RSRC2:TRAP_HANDLER: 0
; COMPUTE_PGM_RSRC2:TGID_X_EN: 1
; COMPUTE_PGM_RSRC2:TGID_Y_EN: 0
; COMPUTE_PGM_RSRC2:TGID_Z_EN: 0
; COMPUTE_PGM_RSRC2:TIDIG_COMP_CNT: 0
	.section	.text._ZN7rocprim17ROCPRIM_400000_NS6detail17trampoline_kernelINS0_14default_configENS1_20scan_config_selectorIN3c104HalfEEEZZNS1_9scan_implILNS1_25lookback_scan_determinismE0ELb0ELb0ES3_PKS6_PS6_S6_ZZZN2at6native31launch_logcumsumexp_cuda_kernelERKNSD_10TensorBaseESH_lENKUlvE_clEvENKUlvE3_clEvEUlS6_S6_E_S6_EEDaPvRmT3_T4_T5_mT6_P12ihipStream_tbENKUlT_T0_E_clISt17integral_constantIbLb0EESY_EEDaST_SU_EUlST_E_NS1_11comp_targetILNS1_3genE2ELNS1_11target_archE906ELNS1_3gpuE6ELNS1_3repE0EEENS1_30default_config_static_selectorELNS0_4arch9wavefront6targetE0EEEvT1_,"axG",@progbits,_ZN7rocprim17ROCPRIM_400000_NS6detail17trampoline_kernelINS0_14default_configENS1_20scan_config_selectorIN3c104HalfEEEZZNS1_9scan_implILNS1_25lookback_scan_determinismE0ELb0ELb0ES3_PKS6_PS6_S6_ZZZN2at6native31launch_logcumsumexp_cuda_kernelERKNSD_10TensorBaseESH_lENKUlvE_clEvENKUlvE3_clEvEUlS6_S6_E_S6_EEDaPvRmT3_T4_T5_mT6_P12ihipStream_tbENKUlT_T0_E_clISt17integral_constantIbLb0EESY_EEDaST_SU_EUlST_E_NS1_11comp_targetILNS1_3genE2ELNS1_11target_archE906ELNS1_3gpuE6ELNS1_3repE0EEENS1_30default_config_static_selectorELNS0_4arch9wavefront6targetE0EEEvT1_,comdat
	.globl	_ZN7rocprim17ROCPRIM_400000_NS6detail17trampoline_kernelINS0_14default_configENS1_20scan_config_selectorIN3c104HalfEEEZZNS1_9scan_implILNS1_25lookback_scan_determinismE0ELb0ELb0ES3_PKS6_PS6_S6_ZZZN2at6native31launch_logcumsumexp_cuda_kernelERKNSD_10TensorBaseESH_lENKUlvE_clEvENKUlvE3_clEvEUlS6_S6_E_S6_EEDaPvRmT3_T4_T5_mT6_P12ihipStream_tbENKUlT_T0_E_clISt17integral_constantIbLb0EESY_EEDaST_SU_EUlST_E_NS1_11comp_targetILNS1_3genE2ELNS1_11target_archE906ELNS1_3gpuE6ELNS1_3repE0EEENS1_30default_config_static_selectorELNS0_4arch9wavefront6targetE0EEEvT1_ ; -- Begin function _ZN7rocprim17ROCPRIM_400000_NS6detail17trampoline_kernelINS0_14default_configENS1_20scan_config_selectorIN3c104HalfEEEZZNS1_9scan_implILNS1_25lookback_scan_determinismE0ELb0ELb0ES3_PKS6_PS6_S6_ZZZN2at6native31launch_logcumsumexp_cuda_kernelERKNSD_10TensorBaseESH_lENKUlvE_clEvENKUlvE3_clEvEUlS6_S6_E_S6_EEDaPvRmT3_T4_T5_mT6_P12ihipStream_tbENKUlT_T0_E_clISt17integral_constantIbLb0EESY_EEDaST_SU_EUlST_E_NS1_11comp_targetILNS1_3genE2ELNS1_11target_archE906ELNS1_3gpuE6ELNS1_3repE0EEENS1_30default_config_static_selectorELNS0_4arch9wavefront6targetE0EEEvT1_
	.p2align	8
	.type	_ZN7rocprim17ROCPRIM_400000_NS6detail17trampoline_kernelINS0_14default_configENS1_20scan_config_selectorIN3c104HalfEEEZZNS1_9scan_implILNS1_25lookback_scan_determinismE0ELb0ELb0ES3_PKS6_PS6_S6_ZZZN2at6native31launch_logcumsumexp_cuda_kernelERKNSD_10TensorBaseESH_lENKUlvE_clEvENKUlvE3_clEvEUlS6_S6_E_S6_EEDaPvRmT3_T4_T5_mT6_P12ihipStream_tbENKUlT_T0_E_clISt17integral_constantIbLb0EESY_EEDaST_SU_EUlST_E_NS1_11comp_targetILNS1_3genE2ELNS1_11target_archE906ELNS1_3gpuE6ELNS1_3repE0EEENS1_30default_config_static_selectorELNS0_4arch9wavefront6targetE0EEEvT1_,@function
_ZN7rocprim17ROCPRIM_400000_NS6detail17trampoline_kernelINS0_14default_configENS1_20scan_config_selectorIN3c104HalfEEEZZNS1_9scan_implILNS1_25lookback_scan_determinismE0ELb0ELb0ES3_PKS6_PS6_S6_ZZZN2at6native31launch_logcumsumexp_cuda_kernelERKNSD_10TensorBaseESH_lENKUlvE_clEvENKUlvE3_clEvEUlS6_S6_E_S6_EEDaPvRmT3_T4_T5_mT6_P12ihipStream_tbENKUlT_T0_E_clISt17integral_constantIbLb0EESY_EEDaST_SU_EUlST_E_NS1_11comp_targetILNS1_3genE2ELNS1_11target_archE906ELNS1_3gpuE6ELNS1_3repE0EEENS1_30default_config_static_selectorELNS0_4arch9wavefront6targetE0EEEvT1_: ; @_ZN7rocprim17ROCPRIM_400000_NS6detail17trampoline_kernelINS0_14default_configENS1_20scan_config_selectorIN3c104HalfEEEZZNS1_9scan_implILNS1_25lookback_scan_determinismE0ELb0ELb0ES3_PKS6_PS6_S6_ZZZN2at6native31launch_logcumsumexp_cuda_kernelERKNSD_10TensorBaseESH_lENKUlvE_clEvENKUlvE3_clEvEUlS6_S6_E_S6_EEDaPvRmT3_T4_T5_mT6_P12ihipStream_tbENKUlT_T0_E_clISt17integral_constantIbLb0EESY_EEDaST_SU_EUlST_E_NS1_11comp_targetILNS1_3genE2ELNS1_11target_archE906ELNS1_3gpuE6ELNS1_3repE0EEENS1_30default_config_static_selectorELNS0_4arch9wavefront6targetE0EEEvT1_
; %bb.0:
	.section	.rodata,"a",@progbits
	.p2align	6, 0x0
	.amdhsa_kernel _ZN7rocprim17ROCPRIM_400000_NS6detail17trampoline_kernelINS0_14default_configENS1_20scan_config_selectorIN3c104HalfEEEZZNS1_9scan_implILNS1_25lookback_scan_determinismE0ELb0ELb0ES3_PKS6_PS6_S6_ZZZN2at6native31launch_logcumsumexp_cuda_kernelERKNSD_10TensorBaseESH_lENKUlvE_clEvENKUlvE3_clEvEUlS6_S6_E_S6_EEDaPvRmT3_T4_T5_mT6_P12ihipStream_tbENKUlT_T0_E_clISt17integral_constantIbLb0EESY_EEDaST_SU_EUlST_E_NS1_11comp_targetILNS1_3genE2ELNS1_11target_archE906ELNS1_3gpuE6ELNS1_3repE0EEENS1_30default_config_static_selectorELNS0_4arch9wavefront6targetE0EEEvT1_
		.amdhsa_group_segment_fixed_size 0
		.amdhsa_private_segment_fixed_size 0
		.amdhsa_kernarg_size 96
		.amdhsa_user_sgpr_count 15
		.amdhsa_user_sgpr_dispatch_ptr 0
		.amdhsa_user_sgpr_queue_ptr 0
		.amdhsa_user_sgpr_kernarg_segment_ptr 1
		.amdhsa_user_sgpr_dispatch_id 0
		.amdhsa_user_sgpr_private_segment_size 0
		.amdhsa_wavefront_size32 1
		.amdhsa_uses_dynamic_stack 0
		.amdhsa_enable_private_segment 0
		.amdhsa_system_sgpr_workgroup_id_x 1
		.amdhsa_system_sgpr_workgroup_id_y 0
		.amdhsa_system_sgpr_workgroup_id_z 0
		.amdhsa_system_sgpr_workgroup_info 0
		.amdhsa_system_vgpr_workitem_id 0
		.amdhsa_next_free_vgpr 1
		.amdhsa_next_free_sgpr 1
		.amdhsa_reserve_vcc 0
		.amdhsa_float_round_mode_32 0
		.amdhsa_float_round_mode_16_64 0
		.amdhsa_float_denorm_mode_32 3
		.amdhsa_float_denorm_mode_16_64 3
		.amdhsa_dx10_clamp 1
		.amdhsa_ieee_mode 1
		.amdhsa_fp16_overflow 0
		.amdhsa_workgroup_processor_mode 1
		.amdhsa_memory_ordered 1
		.amdhsa_forward_progress 0
		.amdhsa_shared_vgpr_count 0
		.amdhsa_exception_fp_ieee_invalid_op 0
		.amdhsa_exception_fp_denorm_src 0
		.amdhsa_exception_fp_ieee_div_zero 0
		.amdhsa_exception_fp_ieee_overflow 0
		.amdhsa_exception_fp_ieee_underflow 0
		.amdhsa_exception_fp_ieee_inexact 0
		.amdhsa_exception_int_div_zero 0
	.end_amdhsa_kernel
	.section	.text._ZN7rocprim17ROCPRIM_400000_NS6detail17trampoline_kernelINS0_14default_configENS1_20scan_config_selectorIN3c104HalfEEEZZNS1_9scan_implILNS1_25lookback_scan_determinismE0ELb0ELb0ES3_PKS6_PS6_S6_ZZZN2at6native31launch_logcumsumexp_cuda_kernelERKNSD_10TensorBaseESH_lENKUlvE_clEvENKUlvE3_clEvEUlS6_S6_E_S6_EEDaPvRmT3_T4_T5_mT6_P12ihipStream_tbENKUlT_T0_E_clISt17integral_constantIbLb0EESY_EEDaST_SU_EUlST_E_NS1_11comp_targetILNS1_3genE2ELNS1_11target_archE906ELNS1_3gpuE6ELNS1_3repE0EEENS1_30default_config_static_selectorELNS0_4arch9wavefront6targetE0EEEvT1_,"axG",@progbits,_ZN7rocprim17ROCPRIM_400000_NS6detail17trampoline_kernelINS0_14default_configENS1_20scan_config_selectorIN3c104HalfEEEZZNS1_9scan_implILNS1_25lookback_scan_determinismE0ELb0ELb0ES3_PKS6_PS6_S6_ZZZN2at6native31launch_logcumsumexp_cuda_kernelERKNSD_10TensorBaseESH_lENKUlvE_clEvENKUlvE3_clEvEUlS6_S6_E_S6_EEDaPvRmT3_T4_T5_mT6_P12ihipStream_tbENKUlT_T0_E_clISt17integral_constantIbLb0EESY_EEDaST_SU_EUlST_E_NS1_11comp_targetILNS1_3genE2ELNS1_11target_archE906ELNS1_3gpuE6ELNS1_3repE0EEENS1_30default_config_static_selectorELNS0_4arch9wavefront6targetE0EEEvT1_,comdat
.Lfunc_end359:
	.size	_ZN7rocprim17ROCPRIM_400000_NS6detail17trampoline_kernelINS0_14default_configENS1_20scan_config_selectorIN3c104HalfEEEZZNS1_9scan_implILNS1_25lookback_scan_determinismE0ELb0ELb0ES3_PKS6_PS6_S6_ZZZN2at6native31launch_logcumsumexp_cuda_kernelERKNSD_10TensorBaseESH_lENKUlvE_clEvENKUlvE3_clEvEUlS6_S6_E_S6_EEDaPvRmT3_T4_T5_mT6_P12ihipStream_tbENKUlT_T0_E_clISt17integral_constantIbLb0EESY_EEDaST_SU_EUlST_E_NS1_11comp_targetILNS1_3genE2ELNS1_11target_archE906ELNS1_3gpuE6ELNS1_3repE0EEENS1_30default_config_static_selectorELNS0_4arch9wavefront6targetE0EEEvT1_, .Lfunc_end359-_ZN7rocprim17ROCPRIM_400000_NS6detail17trampoline_kernelINS0_14default_configENS1_20scan_config_selectorIN3c104HalfEEEZZNS1_9scan_implILNS1_25lookback_scan_determinismE0ELb0ELb0ES3_PKS6_PS6_S6_ZZZN2at6native31launch_logcumsumexp_cuda_kernelERKNSD_10TensorBaseESH_lENKUlvE_clEvENKUlvE3_clEvEUlS6_S6_E_S6_EEDaPvRmT3_T4_T5_mT6_P12ihipStream_tbENKUlT_T0_E_clISt17integral_constantIbLb0EESY_EEDaST_SU_EUlST_E_NS1_11comp_targetILNS1_3genE2ELNS1_11target_archE906ELNS1_3gpuE6ELNS1_3repE0EEENS1_30default_config_static_selectorELNS0_4arch9wavefront6targetE0EEEvT1_
                                        ; -- End function
	.section	.AMDGPU.csdata,"",@progbits
; Kernel info:
; codeLenInByte = 0
; NumSgprs: 0
; NumVgprs: 0
; ScratchSize: 0
; MemoryBound: 0
; FloatMode: 240
; IeeeMode: 1
; LDSByteSize: 0 bytes/workgroup (compile time only)
; SGPRBlocks: 0
; VGPRBlocks: 0
; NumSGPRsForWavesPerEU: 1
; NumVGPRsForWavesPerEU: 1
; Occupancy: 16
; WaveLimiterHint : 0
; COMPUTE_PGM_RSRC2:SCRATCH_EN: 0
; COMPUTE_PGM_RSRC2:USER_SGPR: 15
; COMPUTE_PGM_RSRC2:TRAP_HANDLER: 0
; COMPUTE_PGM_RSRC2:TGID_X_EN: 1
; COMPUTE_PGM_RSRC2:TGID_Y_EN: 0
; COMPUTE_PGM_RSRC2:TGID_Z_EN: 0
; COMPUTE_PGM_RSRC2:TIDIG_COMP_CNT: 0
	.section	.text._ZN7rocprim17ROCPRIM_400000_NS6detail17trampoline_kernelINS0_14default_configENS1_20scan_config_selectorIN3c104HalfEEEZZNS1_9scan_implILNS1_25lookback_scan_determinismE0ELb0ELb0ES3_PKS6_PS6_S6_ZZZN2at6native31launch_logcumsumexp_cuda_kernelERKNSD_10TensorBaseESH_lENKUlvE_clEvENKUlvE3_clEvEUlS6_S6_E_S6_EEDaPvRmT3_T4_T5_mT6_P12ihipStream_tbENKUlT_T0_E_clISt17integral_constantIbLb0EESY_EEDaST_SU_EUlST_E_NS1_11comp_targetILNS1_3genE10ELNS1_11target_archE1201ELNS1_3gpuE5ELNS1_3repE0EEENS1_30default_config_static_selectorELNS0_4arch9wavefront6targetE0EEEvT1_,"axG",@progbits,_ZN7rocprim17ROCPRIM_400000_NS6detail17trampoline_kernelINS0_14default_configENS1_20scan_config_selectorIN3c104HalfEEEZZNS1_9scan_implILNS1_25lookback_scan_determinismE0ELb0ELb0ES3_PKS6_PS6_S6_ZZZN2at6native31launch_logcumsumexp_cuda_kernelERKNSD_10TensorBaseESH_lENKUlvE_clEvENKUlvE3_clEvEUlS6_S6_E_S6_EEDaPvRmT3_T4_T5_mT6_P12ihipStream_tbENKUlT_T0_E_clISt17integral_constantIbLb0EESY_EEDaST_SU_EUlST_E_NS1_11comp_targetILNS1_3genE10ELNS1_11target_archE1201ELNS1_3gpuE5ELNS1_3repE0EEENS1_30default_config_static_selectorELNS0_4arch9wavefront6targetE0EEEvT1_,comdat
	.globl	_ZN7rocprim17ROCPRIM_400000_NS6detail17trampoline_kernelINS0_14default_configENS1_20scan_config_selectorIN3c104HalfEEEZZNS1_9scan_implILNS1_25lookback_scan_determinismE0ELb0ELb0ES3_PKS6_PS6_S6_ZZZN2at6native31launch_logcumsumexp_cuda_kernelERKNSD_10TensorBaseESH_lENKUlvE_clEvENKUlvE3_clEvEUlS6_S6_E_S6_EEDaPvRmT3_T4_T5_mT6_P12ihipStream_tbENKUlT_T0_E_clISt17integral_constantIbLb0EESY_EEDaST_SU_EUlST_E_NS1_11comp_targetILNS1_3genE10ELNS1_11target_archE1201ELNS1_3gpuE5ELNS1_3repE0EEENS1_30default_config_static_selectorELNS0_4arch9wavefront6targetE0EEEvT1_ ; -- Begin function _ZN7rocprim17ROCPRIM_400000_NS6detail17trampoline_kernelINS0_14default_configENS1_20scan_config_selectorIN3c104HalfEEEZZNS1_9scan_implILNS1_25lookback_scan_determinismE0ELb0ELb0ES3_PKS6_PS6_S6_ZZZN2at6native31launch_logcumsumexp_cuda_kernelERKNSD_10TensorBaseESH_lENKUlvE_clEvENKUlvE3_clEvEUlS6_S6_E_S6_EEDaPvRmT3_T4_T5_mT6_P12ihipStream_tbENKUlT_T0_E_clISt17integral_constantIbLb0EESY_EEDaST_SU_EUlST_E_NS1_11comp_targetILNS1_3genE10ELNS1_11target_archE1201ELNS1_3gpuE5ELNS1_3repE0EEENS1_30default_config_static_selectorELNS0_4arch9wavefront6targetE0EEEvT1_
	.p2align	8
	.type	_ZN7rocprim17ROCPRIM_400000_NS6detail17trampoline_kernelINS0_14default_configENS1_20scan_config_selectorIN3c104HalfEEEZZNS1_9scan_implILNS1_25lookback_scan_determinismE0ELb0ELb0ES3_PKS6_PS6_S6_ZZZN2at6native31launch_logcumsumexp_cuda_kernelERKNSD_10TensorBaseESH_lENKUlvE_clEvENKUlvE3_clEvEUlS6_S6_E_S6_EEDaPvRmT3_T4_T5_mT6_P12ihipStream_tbENKUlT_T0_E_clISt17integral_constantIbLb0EESY_EEDaST_SU_EUlST_E_NS1_11comp_targetILNS1_3genE10ELNS1_11target_archE1201ELNS1_3gpuE5ELNS1_3repE0EEENS1_30default_config_static_selectorELNS0_4arch9wavefront6targetE0EEEvT1_,@function
_ZN7rocprim17ROCPRIM_400000_NS6detail17trampoline_kernelINS0_14default_configENS1_20scan_config_selectorIN3c104HalfEEEZZNS1_9scan_implILNS1_25lookback_scan_determinismE0ELb0ELb0ES3_PKS6_PS6_S6_ZZZN2at6native31launch_logcumsumexp_cuda_kernelERKNSD_10TensorBaseESH_lENKUlvE_clEvENKUlvE3_clEvEUlS6_S6_E_S6_EEDaPvRmT3_T4_T5_mT6_P12ihipStream_tbENKUlT_T0_E_clISt17integral_constantIbLb0EESY_EEDaST_SU_EUlST_E_NS1_11comp_targetILNS1_3genE10ELNS1_11target_archE1201ELNS1_3gpuE5ELNS1_3repE0EEENS1_30default_config_static_selectorELNS0_4arch9wavefront6targetE0EEEvT1_: ; @_ZN7rocprim17ROCPRIM_400000_NS6detail17trampoline_kernelINS0_14default_configENS1_20scan_config_selectorIN3c104HalfEEEZZNS1_9scan_implILNS1_25lookback_scan_determinismE0ELb0ELb0ES3_PKS6_PS6_S6_ZZZN2at6native31launch_logcumsumexp_cuda_kernelERKNSD_10TensorBaseESH_lENKUlvE_clEvENKUlvE3_clEvEUlS6_S6_E_S6_EEDaPvRmT3_T4_T5_mT6_P12ihipStream_tbENKUlT_T0_E_clISt17integral_constantIbLb0EESY_EEDaST_SU_EUlST_E_NS1_11comp_targetILNS1_3genE10ELNS1_11target_archE1201ELNS1_3gpuE5ELNS1_3repE0EEENS1_30default_config_static_selectorELNS0_4arch9wavefront6targetE0EEEvT1_
; %bb.0:
	.section	.rodata,"a",@progbits
	.p2align	6, 0x0
	.amdhsa_kernel _ZN7rocprim17ROCPRIM_400000_NS6detail17trampoline_kernelINS0_14default_configENS1_20scan_config_selectorIN3c104HalfEEEZZNS1_9scan_implILNS1_25lookback_scan_determinismE0ELb0ELb0ES3_PKS6_PS6_S6_ZZZN2at6native31launch_logcumsumexp_cuda_kernelERKNSD_10TensorBaseESH_lENKUlvE_clEvENKUlvE3_clEvEUlS6_S6_E_S6_EEDaPvRmT3_T4_T5_mT6_P12ihipStream_tbENKUlT_T0_E_clISt17integral_constantIbLb0EESY_EEDaST_SU_EUlST_E_NS1_11comp_targetILNS1_3genE10ELNS1_11target_archE1201ELNS1_3gpuE5ELNS1_3repE0EEENS1_30default_config_static_selectorELNS0_4arch9wavefront6targetE0EEEvT1_
		.amdhsa_group_segment_fixed_size 0
		.amdhsa_private_segment_fixed_size 0
		.amdhsa_kernarg_size 96
		.amdhsa_user_sgpr_count 15
		.amdhsa_user_sgpr_dispatch_ptr 0
		.amdhsa_user_sgpr_queue_ptr 0
		.amdhsa_user_sgpr_kernarg_segment_ptr 1
		.amdhsa_user_sgpr_dispatch_id 0
		.amdhsa_user_sgpr_private_segment_size 0
		.amdhsa_wavefront_size32 1
		.amdhsa_uses_dynamic_stack 0
		.amdhsa_enable_private_segment 0
		.amdhsa_system_sgpr_workgroup_id_x 1
		.amdhsa_system_sgpr_workgroup_id_y 0
		.amdhsa_system_sgpr_workgroup_id_z 0
		.amdhsa_system_sgpr_workgroup_info 0
		.amdhsa_system_vgpr_workitem_id 0
		.amdhsa_next_free_vgpr 1
		.amdhsa_next_free_sgpr 1
		.amdhsa_reserve_vcc 0
		.amdhsa_float_round_mode_32 0
		.amdhsa_float_round_mode_16_64 0
		.amdhsa_float_denorm_mode_32 3
		.amdhsa_float_denorm_mode_16_64 3
		.amdhsa_dx10_clamp 1
		.amdhsa_ieee_mode 1
		.amdhsa_fp16_overflow 0
		.amdhsa_workgroup_processor_mode 1
		.amdhsa_memory_ordered 1
		.amdhsa_forward_progress 0
		.amdhsa_shared_vgpr_count 0
		.amdhsa_exception_fp_ieee_invalid_op 0
		.amdhsa_exception_fp_denorm_src 0
		.amdhsa_exception_fp_ieee_div_zero 0
		.amdhsa_exception_fp_ieee_overflow 0
		.amdhsa_exception_fp_ieee_underflow 0
		.amdhsa_exception_fp_ieee_inexact 0
		.amdhsa_exception_int_div_zero 0
	.end_amdhsa_kernel
	.section	.text._ZN7rocprim17ROCPRIM_400000_NS6detail17trampoline_kernelINS0_14default_configENS1_20scan_config_selectorIN3c104HalfEEEZZNS1_9scan_implILNS1_25lookback_scan_determinismE0ELb0ELb0ES3_PKS6_PS6_S6_ZZZN2at6native31launch_logcumsumexp_cuda_kernelERKNSD_10TensorBaseESH_lENKUlvE_clEvENKUlvE3_clEvEUlS6_S6_E_S6_EEDaPvRmT3_T4_T5_mT6_P12ihipStream_tbENKUlT_T0_E_clISt17integral_constantIbLb0EESY_EEDaST_SU_EUlST_E_NS1_11comp_targetILNS1_3genE10ELNS1_11target_archE1201ELNS1_3gpuE5ELNS1_3repE0EEENS1_30default_config_static_selectorELNS0_4arch9wavefront6targetE0EEEvT1_,"axG",@progbits,_ZN7rocprim17ROCPRIM_400000_NS6detail17trampoline_kernelINS0_14default_configENS1_20scan_config_selectorIN3c104HalfEEEZZNS1_9scan_implILNS1_25lookback_scan_determinismE0ELb0ELb0ES3_PKS6_PS6_S6_ZZZN2at6native31launch_logcumsumexp_cuda_kernelERKNSD_10TensorBaseESH_lENKUlvE_clEvENKUlvE3_clEvEUlS6_S6_E_S6_EEDaPvRmT3_T4_T5_mT6_P12ihipStream_tbENKUlT_T0_E_clISt17integral_constantIbLb0EESY_EEDaST_SU_EUlST_E_NS1_11comp_targetILNS1_3genE10ELNS1_11target_archE1201ELNS1_3gpuE5ELNS1_3repE0EEENS1_30default_config_static_selectorELNS0_4arch9wavefront6targetE0EEEvT1_,comdat
.Lfunc_end360:
	.size	_ZN7rocprim17ROCPRIM_400000_NS6detail17trampoline_kernelINS0_14default_configENS1_20scan_config_selectorIN3c104HalfEEEZZNS1_9scan_implILNS1_25lookback_scan_determinismE0ELb0ELb0ES3_PKS6_PS6_S6_ZZZN2at6native31launch_logcumsumexp_cuda_kernelERKNSD_10TensorBaseESH_lENKUlvE_clEvENKUlvE3_clEvEUlS6_S6_E_S6_EEDaPvRmT3_T4_T5_mT6_P12ihipStream_tbENKUlT_T0_E_clISt17integral_constantIbLb0EESY_EEDaST_SU_EUlST_E_NS1_11comp_targetILNS1_3genE10ELNS1_11target_archE1201ELNS1_3gpuE5ELNS1_3repE0EEENS1_30default_config_static_selectorELNS0_4arch9wavefront6targetE0EEEvT1_, .Lfunc_end360-_ZN7rocprim17ROCPRIM_400000_NS6detail17trampoline_kernelINS0_14default_configENS1_20scan_config_selectorIN3c104HalfEEEZZNS1_9scan_implILNS1_25lookback_scan_determinismE0ELb0ELb0ES3_PKS6_PS6_S6_ZZZN2at6native31launch_logcumsumexp_cuda_kernelERKNSD_10TensorBaseESH_lENKUlvE_clEvENKUlvE3_clEvEUlS6_S6_E_S6_EEDaPvRmT3_T4_T5_mT6_P12ihipStream_tbENKUlT_T0_E_clISt17integral_constantIbLb0EESY_EEDaST_SU_EUlST_E_NS1_11comp_targetILNS1_3genE10ELNS1_11target_archE1201ELNS1_3gpuE5ELNS1_3repE0EEENS1_30default_config_static_selectorELNS0_4arch9wavefront6targetE0EEEvT1_
                                        ; -- End function
	.section	.AMDGPU.csdata,"",@progbits
; Kernel info:
; codeLenInByte = 0
; NumSgprs: 0
; NumVgprs: 0
; ScratchSize: 0
; MemoryBound: 0
; FloatMode: 240
; IeeeMode: 1
; LDSByteSize: 0 bytes/workgroup (compile time only)
; SGPRBlocks: 0
; VGPRBlocks: 0
; NumSGPRsForWavesPerEU: 1
; NumVGPRsForWavesPerEU: 1
; Occupancy: 16
; WaveLimiterHint : 0
; COMPUTE_PGM_RSRC2:SCRATCH_EN: 0
; COMPUTE_PGM_RSRC2:USER_SGPR: 15
; COMPUTE_PGM_RSRC2:TRAP_HANDLER: 0
; COMPUTE_PGM_RSRC2:TGID_X_EN: 1
; COMPUTE_PGM_RSRC2:TGID_Y_EN: 0
; COMPUTE_PGM_RSRC2:TGID_Z_EN: 0
; COMPUTE_PGM_RSRC2:TIDIG_COMP_CNT: 0
	.section	.text._ZN7rocprim17ROCPRIM_400000_NS6detail17trampoline_kernelINS0_14default_configENS1_20scan_config_selectorIN3c104HalfEEEZZNS1_9scan_implILNS1_25lookback_scan_determinismE0ELb0ELb0ES3_PKS6_PS6_S6_ZZZN2at6native31launch_logcumsumexp_cuda_kernelERKNSD_10TensorBaseESH_lENKUlvE_clEvENKUlvE3_clEvEUlS6_S6_E_S6_EEDaPvRmT3_T4_T5_mT6_P12ihipStream_tbENKUlT_T0_E_clISt17integral_constantIbLb0EESY_EEDaST_SU_EUlST_E_NS1_11comp_targetILNS1_3genE10ELNS1_11target_archE1200ELNS1_3gpuE4ELNS1_3repE0EEENS1_30default_config_static_selectorELNS0_4arch9wavefront6targetE0EEEvT1_,"axG",@progbits,_ZN7rocprim17ROCPRIM_400000_NS6detail17trampoline_kernelINS0_14default_configENS1_20scan_config_selectorIN3c104HalfEEEZZNS1_9scan_implILNS1_25lookback_scan_determinismE0ELb0ELb0ES3_PKS6_PS6_S6_ZZZN2at6native31launch_logcumsumexp_cuda_kernelERKNSD_10TensorBaseESH_lENKUlvE_clEvENKUlvE3_clEvEUlS6_S6_E_S6_EEDaPvRmT3_T4_T5_mT6_P12ihipStream_tbENKUlT_T0_E_clISt17integral_constantIbLb0EESY_EEDaST_SU_EUlST_E_NS1_11comp_targetILNS1_3genE10ELNS1_11target_archE1200ELNS1_3gpuE4ELNS1_3repE0EEENS1_30default_config_static_selectorELNS0_4arch9wavefront6targetE0EEEvT1_,comdat
	.globl	_ZN7rocprim17ROCPRIM_400000_NS6detail17trampoline_kernelINS0_14default_configENS1_20scan_config_selectorIN3c104HalfEEEZZNS1_9scan_implILNS1_25lookback_scan_determinismE0ELb0ELb0ES3_PKS6_PS6_S6_ZZZN2at6native31launch_logcumsumexp_cuda_kernelERKNSD_10TensorBaseESH_lENKUlvE_clEvENKUlvE3_clEvEUlS6_S6_E_S6_EEDaPvRmT3_T4_T5_mT6_P12ihipStream_tbENKUlT_T0_E_clISt17integral_constantIbLb0EESY_EEDaST_SU_EUlST_E_NS1_11comp_targetILNS1_3genE10ELNS1_11target_archE1200ELNS1_3gpuE4ELNS1_3repE0EEENS1_30default_config_static_selectorELNS0_4arch9wavefront6targetE0EEEvT1_ ; -- Begin function _ZN7rocprim17ROCPRIM_400000_NS6detail17trampoline_kernelINS0_14default_configENS1_20scan_config_selectorIN3c104HalfEEEZZNS1_9scan_implILNS1_25lookback_scan_determinismE0ELb0ELb0ES3_PKS6_PS6_S6_ZZZN2at6native31launch_logcumsumexp_cuda_kernelERKNSD_10TensorBaseESH_lENKUlvE_clEvENKUlvE3_clEvEUlS6_S6_E_S6_EEDaPvRmT3_T4_T5_mT6_P12ihipStream_tbENKUlT_T0_E_clISt17integral_constantIbLb0EESY_EEDaST_SU_EUlST_E_NS1_11comp_targetILNS1_3genE10ELNS1_11target_archE1200ELNS1_3gpuE4ELNS1_3repE0EEENS1_30default_config_static_selectorELNS0_4arch9wavefront6targetE0EEEvT1_
	.p2align	8
	.type	_ZN7rocprim17ROCPRIM_400000_NS6detail17trampoline_kernelINS0_14default_configENS1_20scan_config_selectorIN3c104HalfEEEZZNS1_9scan_implILNS1_25lookback_scan_determinismE0ELb0ELb0ES3_PKS6_PS6_S6_ZZZN2at6native31launch_logcumsumexp_cuda_kernelERKNSD_10TensorBaseESH_lENKUlvE_clEvENKUlvE3_clEvEUlS6_S6_E_S6_EEDaPvRmT3_T4_T5_mT6_P12ihipStream_tbENKUlT_T0_E_clISt17integral_constantIbLb0EESY_EEDaST_SU_EUlST_E_NS1_11comp_targetILNS1_3genE10ELNS1_11target_archE1200ELNS1_3gpuE4ELNS1_3repE0EEENS1_30default_config_static_selectorELNS0_4arch9wavefront6targetE0EEEvT1_,@function
_ZN7rocprim17ROCPRIM_400000_NS6detail17trampoline_kernelINS0_14default_configENS1_20scan_config_selectorIN3c104HalfEEEZZNS1_9scan_implILNS1_25lookback_scan_determinismE0ELb0ELb0ES3_PKS6_PS6_S6_ZZZN2at6native31launch_logcumsumexp_cuda_kernelERKNSD_10TensorBaseESH_lENKUlvE_clEvENKUlvE3_clEvEUlS6_S6_E_S6_EEDaPvRmT3_T4_T5_mT6_P12ihipStream_tbENKUlT_T0_E_clISt17integral_constantIbLb0EESY_EEDaST_SU_EUlST_E_NS1_11comp_targetILNS1_3genE10ELNS1_11target_archE1200ELNS1_3gpuE4ELNS1_3repE0EEENS1_30default_config_static_selectorELNS0_4arch9wavefront6targetE0EEEvT1_: ; @_ZN7rocprim17ROCPRIM_400000_NS6detail17trampoline_kernelINS0_14default_configENS1_20scan_config_selectorIN3c104HalfEEEZZNS1_9scan_implILNS1_25lookback_scan_determinismE0ELb0ELb0ES3_PKS6_PS6_S6_ZZZN2at6native31launch_logcumsumexp_cuda_kernelERKNSD_10TensorBaseESH_lENKUlvE_clEvENKUlvE3_clEvEUlS6_S6_E_S6_EEDaPvRmT3_T4_T5_mT6_P12ihipStream_tbENKUlT_T0_E_clISt17integral_constantIbLb0EESY_EEDaST_SU_EUlST_E_NS1_11comp_targetILNS1_3genE10ELNS1_11target_archE1200ELNS1_3gpuE4ELNS1_3repE0EEENS1_30default_config_static_selectorELNS0_4arch9wavefront6targetE0EEEvT1_
; %bb.0:
	.section	.rodata,"a",@progbits
	.p2align	6, 0x0
	.amdhsa_kernel _ZN7rocprim17ROCPRIM_400000_NS6detail17trampoline_kernelINS0_14default_configENS1_20scan_config_selectorIN3c104HalfEEEZZNS1_9scan_implILNS1_25lookback_scan_determinismE0ELb0ELb0ES3_PKS6_PS6_S6_ZZZN2at6native31launch_logcumsumexp_cuda_kernelERKNSD_10TensorBaseESH_lENKUlvE_clEvENKUlvE3_clEvEUlS6_S6_E_S6_EEDaPvRmT3_T4_T5_mT6_P12ihipStream_tbENKUlT_T0_E_clISt17integral_constantIbLb0EESY_EEDaST_SU_EUlST_E_NS1_11comp_targetILNS1_3genE10ELNS1_11target_archE1200ELNS1_3gpuE4ELNS1_3repE0EEENS1_30default_config_static_selectorELNS0_4arch9wavefront6targetE0EEEvT1_
		.amdhsa_group_segment_fixed_size 0
		.amdhsa_private_segment_fixed_size 0
		.amdhsa_kernarg_size 96
		.amdhsa_user_sgpr_count 15
		.amdhsa_user_sgpr_dispatch_ptr 0
		.amdhsa_user_sgpr_queue_ptr 0
		.amdhsa_user_sgpr_kernarg_segment_ptr 1
		.amdhsa_user_sgpr_dispatch_id 0
		.amdhsa_user_sgpr_private_segment_size 0
		.amdhsa_wavefront_size32 1
		.amdhsa_uses_dynamic_stack 0
		.amdhsa_enable_private_segment 0
		.amdhsa_system_sgpr_workgroup_id_x 1
		.amdhsa_system_sgpr_workgroup_id_y 0
		.amdhsa_system_sgpr_workgroup_id_z 0
		.amdhsa_system_sgpr_workgroup_info 0
		.amdhsa_system_vgpr_workitem_id 0
		.amdhsa_next_free_vgpr 1
		.amdhsa_next_free_sgpr 1
		.amdhsa_reserve_vcc 0
		.amdhsa_float_round_mode_32 0
		.amdhsa_float_round_mode_16_64 0
		.amdhsa_float_denorm_mode_32 3
		.amdhsa_float_denorm_mode_16_64 3
		.amdhsa_dx10_clamp 1
		.amdhsa_ieee_mode 1
		.amdhsa_fp16_overflow 0
		.amdhsa_workgroup_processor_mode 1
		.amdhsa_memory_ordered 1
		.amdhsa_forward_progress 0
		.amdhsa_shared_vgpr_count 0
		.amdhsa_exception_fp_ieee_invalid_op 0
		.amdhsa_exception_fp_denorm_src 0
		.amdhsa_exception_fp_ieee_div_zero 0
		.amdhsa_exception_fp_ieee_overflow 0
		.amdhsa_exception_fp_ieee_underflow 0
		.amdhsa_exception_fp_ieee_inexact 0
		.amdhsa_exception_int_div_zero 0
	.end_amdhsa_kernel
	.section	.text._ZN7rocprim17ROCPRIM_400000_NS6detail17trampoline_kernelINS0_14default_configENS1_20scan_config_selectorIN3c104HalfEEEZZNS1_9scan_implILNS1_25lookback_scan_determinismE0ELb0ELb0ES3_PKS6_PS6_S6_ZZZN2at6native31launch_logcumsumexp_cuda_kernelERKNSD_10TensorBaseESH_lENKUlvE_clEvENKUlvE3_clEvEUlS6_S6_E_S6_EEDaPvRmT3_T4_T5_mT6_P12ihipStream_tbENKUlT_T0_E_clISt17integral_constantIbLb0EESY_EEDaST_SU_EUlST_E_NS1_11comp_targetILNS1_3genE10ELNS1_11target_archE1200ELNS1_3gpuE4ELNS1_3repE0EEENS1_30default_config_static_selectorELNS0_4arch9wavefront6targetE0EEEvT1_,"axG",@progbits,_ZN7rocprim17ROCPRIM_400000_NS6detail17trampoline_kernelINS0_14default_configENS1_20scan_config_selectorIN3c104HalfEEEZZNS1_9scan_implILNS1_25lookback_scan_determinismE0ELb0ELb0ES3_PKS6_PS6_S6_ZZZN2at6native31launch_logcumsumexp_cuda_kernelERKNSD_10TensorBaseESH_lENKUlvE_clEvENKUlvE3_clEvEUlS6_S6_E_S6_EEDaPvRmT3_T4_T5_mT6_P12ihipStream_tbENKUlT_T0_E_clISt17integral_constantIbLb0EESY_EEDaST_SU_EUlST_E_NS1_11comp_targetILNS1_3genE10ELNS1_11target_archE1200ELNS1_3gpuE4ELNS1_3repE0EEENS1_30default_config_static_selectorELNS0_4arch9wavefront6targetE0EEEvT1_,comdat
.Lfunc_end361:
	.size	_ZN7rocprim17ROCPRIM_400000_NS6detail17trampoline_kernelINS0_14default_configENS1_20scan_config_selectorIN3c104HalfEEEZZNS1_9scan_implILNS1_25lookback_scan_determinismE0ELb0ELb0ES3_PKS6_PS6_S6_ZZZN2at6native31launch_logcumsumexp_cuda_kernelERKNSD_10TensorBaseESH_lENKUlvE_clEvENKUlvE3_clEvEUlS6_S6_E_S6_EEDaPvRmT3_T4_T5_mT6_P12ihipStream_tbENKUlT_T0_E_clISt17integral_constantIbLb0EESY_EEDaST_SU_EUlST_E_NS1_11comp_targetILNS1_3genE10ELNS1_11target_archE1200ELNS1_3gpuE4ELNS1_3repE0EEENS1_30default_config_static_selectorELNS0_4arch9wavefront6targetE0EEEvT1_, .Lfunc_end361-_ZN7rocprim17ROCPRIM_400000_NS6detail17trampoline_kernelINS0_14default_configENS1_20scan_config_selectorIN3c104HalfEEEZZNS1_9scan_implILNS1_25lookback_scan_determinismE0ELb0ELb0ES3_PKS6_PS6_S6_ZZZN2at6native31launch_logcumsumexp_cuda_kernelERKNSD_10TensorBaseESH_lENKUlvE_clEvENKUlvE3_clEvEUlS6_S6_E_S6_EEDaPvRmT3_T4_T5_mT6_P12ihipStream_tbENKUlT_T0_E_clISt17integral_constantIbLb0EESY_EEDaST_SU_EUlST_E_NS1_11comp_targetILNS1_3genE10ELNS1_11target_archE1200ELNS1_3gpuE4ELNS1_3repE0EEENS1_30default_config_static_selectorELNS0_4arch9wavefront6targetE0EEEvT1_
                                        ; -- End function
	.section	.AMDGPU.csdata,"",@progbits
; Kernel info:
; codeLenInByte = 0
; NumSgprs: 0
; NumVgprs: 0
; ScratchSize: 0
; MemoryBound: 0
; FloatMode: 240
; IeeeMode: 1
; LDSByteSize: 0 bytes/workgroup (compile time only)
; SGPRBlocks: 0
; VGPRBlocks: 0
; NumSGPRsForWavesPerEU: 1
; NumVGPRsForWavesPerEU: 1
; Occupancy: 16
; WaveLimiterHint : 0
; COMPUTE_PGM_RSRC2:SCRATCH_EN: 0
; COMPUTE_PGM_RSRC2:USER_SGPR: 15
; COMPUTE_PGM_RSRC2:TRAP_HANDLER: 0
; COMPUTE_PGM_RSRC2:TGID_X_EN: 1
; COMPUTE_PGM_RSRC2:TGID_Y_EN: 0
; COMPUTE_PGM_RSRC2:TGID_Z_EN: 0
; COMPUTE_PGM_RSRC2:TIDIG_COMP_CNT: 0
	.text
	.p2align	2                               ; -- Begin function _ZZZN7rocprim17ROCPRIM_400000_NS6detail9scan_implILNS1_25lookback_scan_determinismE0ELb0ELb0ENS0_14default_configEPKN3c104HalfEPS6_S6_ZZZN2at6native31launch_logcumsumexp_cuda_kernelERKNSA_10TensorBaseESE_lENKUlvE_clEvENKUlvE3_clEvEUlS6_S6_E_S6_EEDaPvRmT3_T4_T5_mT6_P12ihipStream_tbENKUlT_T0_E_clISt17integral_constantIbLb0EESV_EEDaSQ_SR_ENKUlSQ_E_clINS1_13target_configIS4_NS1_20scan_config_selectorIS6_EENS1_11comp_targetILNS1_3genE9ELNS1_11target_archE1100ELNS1_3gpuE3ELNS1_3repE0EEELNS0_4arch9wavefront6targetE0EEEEEDaSQ_
	.type	_ZZZN7rocprim17ROCPRIM_400000_NS6detail9scan_implILNS1_25lookback_scan_determinismE0ELb0ELb0ENS0_14default_configEPKN3c104HalfEPS6_S6_ZZZN2at6native31launch_logcumsumexp_cuda_kernelERKNSA_10TensorBaseESE_lENKUlvE_clEvENKUlvE3_clEvEUlS6_S6_E_S6_EEDaPvRmT3_T4_T5_mT6_P12ihipStream_tbENKUlT_T0_E_clISt17integral_constantIbLb0EESV_EEDaSQ_SR_ENKUlSQ_E_clINS1_13target_configIS4_NS1_20scan_config_selectorIS6_EENS1_11comp_targetILNS1_3genE9ELNS1_11target_archE1100ELNS1_3gpuE3ELNS1_3repE0EEELNS0_4arch9wavefront6targetE0EEEEEDaSQ_,@function
_ZZZN7rocprim17ROCPRIM_400000_NS6detail9scan_implILNS1_25lookback_scan_determinismE0ELb0ELb0ENS0_14default_configEPKN3c104HalfEPS6_S6_ZZZN2at6native31launch_logcumsumexp_cuda_kernelERKNSA_10TensorBaseESE_lENKUlvE_clEvENKUlvE3_clEvEUlS6_S6_E_S6_EEDaPvRmT3_T4_T5_mT6_P12ihipStream_tbENKUlT_T0_E_clISt17integral_constantIbLb0EESV_EEDaSQ_SR_ENKUlSQ_E_clINS1_13target_configIS4_NS1_20scan_config_selectorIS6_EENS1_11comp_targetILNS1_3genE9ELNS1_11target_archE1100ELNS1_3gpuE3ELNS1_3repE0EEELNS0_4arch9wavefront6targetE0EEEEEDaSQ_: ; @_ZZZN7rocprim17ROCPRIM_400000_NS6detail9scan_implILNS1_25lookback_scan_determinismE0ELb0ELb0ENS0_14default_configEPKN3c104HalfEPS6_S6_ZZZN2at6native31launch_logcumsumexp_cuda_kernelERKNSA_10TensorBaseESE_lENKUlvE_clEvENKUlvE3_clEvEUlS6_S6_E_S6_EEDaPvRmT3_T4_T5_mT6_P12ihipStream_tbENKUlT_T0_E_clISt17integral_constantIbLb0EESV_EEDaSQ_SR_ENKUlSQ_E_clINS1_13target_configIS4_NS1_20scan_config_selectorIS6_EENS1_11comp_targetILNS1_3genE9ELNS1_11target_archE1100ELNS1_3gpuE3ELNS1_3repE0EEELNS0_4arch9wavefront6targetE0EEEEEDaSQ_
; %bb.0:
	s_waitcnt vmcnt(0) expcnt(0) lgkmcnt(0)
	s_or_saveexec_b32 s0, -1
	scratch_store_b32 off, v40, s32         ; 4-byte Folded Spill
	s_mov_b32 exec_lo, s0
	v_writelane_b32 v40, s30, 0
	v_writelane_b32 v40, s31, 1
	s_clause 0x4
	flat_load_b96 v[14:16], v[0:1] offset:40
	flat_load_b128 v[18:21], v[0:1]
	flat_load_b128 v[10:13], v[0:1] offset:16
	flat_load_b128 v[2:5], v[0:1] offset:56
	;; [unrolled: 1-line block ×3, first 2 shown]
	s_mov_b32 s1, 0
	s_mul_i32 s0, s12, 0x580
	v_and_b32_e32 v0, 0x3ff, v31
	s_lshl_b64 s[28:29], s[0:1], 1
	s_delay_alu instid0(VALU_DEP_1) | instskip(SKIP_4) | instid1(VALU_DEP_2)
	v_lshlrev_b32_e32 v32, 1, v0
	s_waitcnt vmcnt(4) lgkmcnt(4)
	v_add_nc_u32_e32 v1, -1, v16
	s_waitcnt vmcnt(3) lgkmcnt(3)
	v_lshlrev_b64 v[16:17], 1, v[20:21]
	v_mul_lo_u32 v20, 0x580, v1
	v_cmp_ne_u32_e64 s0, s12, v1
	s_delay_alu instid0(VALU_DEP_3) | instskip(NEXT) | instid1(VALU_DEP_4)
	v_add_co_u32 v18, vcc_lo, v18, v16
	v_add_co_ci_u32_e32 v19, vcc_lo, v19, v17, vcc_lo
	s_delay_alu instid0(VALU_DEP_2) | instskip(NEXT) | instid1(VALU_DEP_2)
	v_add_co_u32 v18, vcc_lo, v18, s28
	v_add_co_ci_u32_e32 v19, vcc_lo, s29, v19, vcc_lo
	s_waitcnt vmcnt(2) lgkmcnt(2)
	v_sub_co_u32 v30, vcc_lo, v12, v20
	v_subrev_co_ci_u32_e32 v31, vcc_lo, 0, v13, vcc_lo
	s_and_saveexec_b32 s1, s0
	s_delay_alu instid0(SALU_CYCLE_1)
	s_xor_b32 s1, exec_lo, s1
	s_cbranch_execz .LBB362_2
; %bb.1:
	v_add_co_u32 v12, vcc_lo, v18, v32
	v_add_co_ci_u32_e32 v13, vcc_lo, 0, v19, vcc_lo
	s_clause 0x15
	flat_load_u16 v1, v[12:13]
	flat_load_u16 v18, v[12:13] offset:128
	flat_load_u16 v19, v[12:13] offset:256
	;; [unrolled: 1-line block ×21, first 2 shown]
	s_waitcnt vmcnt(21) lgkmcnt(21)
	ds_store_b16 v32, v1
	s_waitcnt vmcnt(20) lgkmcnt(21)
	ds_store_b16 v32, v18 offset:128
	s_waitcnt vmcnt(19) lgkmcnt(21)
	ds_store_b16 v32, v19 offset:256
	;; [unrolled: 2-line block ×21, first 2 shown]
	s_waitcnt lgkmcnt(0)
	s_waitcnt_vscnt null, 0x0
	s_barrier
                                        ; implicit-def: $vgpr18
.LBB362_2:
	s_and_not1_saveexec_b32 s1, s1
	s_cbranch_execz .LBB362_48
; %bb.3:
	flat_load_u16 v1, v[18:19]
	s_mov_b32 s2, exec_lo
	s_waitcnt vmcnt(0) lgkmcnt(0)
	v_mov_b32_e32 v12, v1
	v_cmpx_lt_u32_e64 v0, v30
	s_cbranch_execz .LBB362_5
; %bb.4:
	v_add_co_u32 v12, vcc_lo, v18, v32
	v_add_co_ci_u32_e32 v13, vcc_lo, 0, v19, vcc_lo
	flat_load_u16 v12, v[12:13]
.LBB362_5:
	s_or_b32 exec_lo, exec_lo, s2
	v_add_nc_u32_e32 v13, 64, v0
	s_delay_alu instid0(VALU_DEP_1)
	v_cmp_lt_u32_e32 vcc_lo, v13, v30
	v_mov_b32_e32 v13, v1
	s_and_saveexec_b32 s2, vcc_lo
	s_cbranch_execz .LBB362_7
; %bb.6:
	v_add_co_u32 v20, vcc_lo, v18, v32
	v_add_co_ci_u32_e32 v21, vcc_lo, 0, v19, vcc_lo
	flat_load_u16 v13, v[20:21] offset:128
.LBB362_7:
	s_or_b32 exec_lo, exec_lo, s2
	v_add_nc_u32_e32 v20, 0x80, v0
	s_delay_alu instid0(VALU_DEP_1)
	v_cmp_lt_u32_e32 vcc_lo, v20, v30
	v_mov_b32_e32 v20, v1
	s_and_saveexec_b32 s2, vcc_lo
	s_cbranch_execz .LBB362_9
; %bb.8:
	v_add_co_u32 v20, vcc_lo, v18, v32
	v_add_co_ci_u32_e32 v21, vcc_lo, 0, v19, vcc_lo
	flat_load_u16 v20, v[20:21] offset:256
.LBB362_9:
	;; [unrolled: 12-line block ×15, first 2 shown]
	s_or_b32 exec_lo, exec_lo, s2
	v_or_b32_e32 v37, 0x400, v0
	s_delay_alu instid0(VALU_DEP_1)
	v_cmp_lt_u32_e32 vcc_lo, v37, v30
	v_mov_b32_e32 v37, v1
	s_and_saveexec_b32 s2, vcc_lo
	s_cbranch_execz .LBB362_37
; %bb.36:
	v_add_co_u32 v37, vcc_lo, v18, v32
	v_add_co_ci_u32_e32 v38, vcc_lo, 0, v19, vcc_lo
	flat_load_u16 v37, v[37:38] offset:2048
.LBB362_37:
	s_or_b32 exec_lo, exec_lo, s2
	v_add_nc_u32_e32 v38, 0x440, v0
	s_delay_alu instid0(VALU_DEP_1)
	v_cmp_lt_u32_e32 vcc_lo, v38, v30
	v_mov_b32_e32 v38, v1
	s_and_saveexec_b32 s2, vcc_lo
	s_cbranch_execz .LBB362_39
; %bb.38:
	v_add_co_u32 v38, vcc_lo, v18, v32
	v_add_co_ci_u32_e32 v39, vcc_lo, 0, v19, vcc_lo
	flat_load_u16 v38, v[38:39] offset:2176
.LBB362_39:
	s_or_b32 exec_lo, exec_lo, s2
	v_add_nc_u32_e32 v39, 0x480, v0
	;; [unrolled: 12-line block ×5, first 2 shown]
	s_mov_b32 s2, exec_lo
	s_delay_alu instid0(VALU_DEP_1)
	v_cmpx_lt_u32_e64 v50, v30
	s_cbranch_execz .LBB362_47
; %bb.46:
	v_add_co_u32 v18, vcc_lo, v18, v32
	v_add_co_ci_u32_e32 v19, vcc_lo, 0, v19, vcc_lo
	flat_load_u16 v1, v[18:19] offset:2688
.LBB362_47:
	s_or_b32 exec_lo, exec_lo, s2
	s_waitcnt vmcnt(0) lgkmcnt(0)
	ds_store_b16 v32, v12
	ds_store_b16 v32, v13 offset:128
	ds_store_b16 v32, v20 offset:256
	;; [unrolled: 1-line block ×21, first 2 shown]
	s_waitcnt lgkmcnt(0)
	s_waitcnt_vscnt null, 0x0
	s_barrier
.LBB362_48:
	s_or_b32 exec_lo, exec_lo, s1
	v_mul_u32_u24_e32 v33, 22, v0
	s_waitcnt vmcnt(0) lgkmcnt(0)
	s_waitcnt_vscnt null, 0x0
	buffer_gl0_inv
	s_cmp_lg_u32 s12, 0
	v_lshlrev_b32_e32 v1, 1, v33
	ds_load_2addr_b32 v[12:13], v1 offset1:1
	ds_load_2addr_b32 v[24:25], v1 offset0:2 offset1:3
	ds_load_2addr_b32 v[22:23], v1 offset0:4 offset1:5
	;; [unrolled: 1-line block ×4, first 2 shown]
	ds_load_b32 v36, v1 offset:40
	s_waitcnt lgkmcnt(0)
	s_barrier
	buffer_gl0_inv
	v_lshrrev_b32_e32 v54, 16, v12
	v_lshrrev_b32_e32 v53, 16, v13
	;; [unrolled: 1-line block ×11, first 2 shown]
	v_cvt_f32_f16_e32 v34, v54
	v_cmp_u_f16_e64 s1, v54, v54
	s_cbranch_scc0 .LBB362_233
; %bb.49:
	v_cvt_f32_f16_e32 v99, v12
	v_cmp_u_f16_e64 s23, v12, v12
	v_mov_b32_e32 v100, v12
	s_delay_alu instid0(VALU_DEP_3) | instskip(SKIP_1) | instid1(VALU_DEP_2)
	v_min_f32_e32 v26, v99, v34
	v_max_f32_e32 v27, v99, v34
	v_cndmask_b32_e64 v26, v26, v99, s23
	s_delay_alu instid0(VALU_DEP_1) | instskip(SKIP_1) | instid1(VALU_DEP_4)
	v_cndmask_b32_e64 v29, v26, v34, s1
	v_mov_b32_e32 v26, v12
	v_cndmask_b32_e64 v27, v27, v99, s23
	s_delay_alu instid0(VALU_DEP_3) | instskip(NEXT) | instid1(VALU_DEP_2)
	v_cmp_class_f32_e64 s2, v29, 0x1f8
	v_cndmask_b32_e64 v28, v27, v34, s1
	v_mov_b32_e32 v27, v99
	s_delay_alu instid0(VALU_DEP_2) | instskip(NEXT) | instid1(VALU_DEP_4)
	v_cmp_neq_f32_e32 vcc_lo, v29, v28
	s_or_b32 s3, vcc_lo, s2
	s_delay_alu instid0(SALU_CYCLE_1)
	s_and_saveexec_b32 s2, s3
	s_cbranch_execz .LBB362_51
; %bb.50:
	v_sub_f32_e32 v26, v29, v28
	s_mov_b32 s3, 0x3e9b6dac
	s_delay_alu instid0(VALU_DEP_1) | instskip(NEXT) | instid1(VALU_DEP_1)
	v_mul_f32_e32 v27, 0x3fb8aa3b, v26
	v_fma_f32 v29, 0x3fb8aa3b, v26, -v27
	v_rndne_f32_e32 v55, v27
	s_delay_alu instid0(VALU_DEP_1) | instskip(NEXT) | instid1(VALU_DEP_3)
	v_sub_f32_e32 v27, v27, v55
	v_fmamk_f32 v29, v26, 0x32a5705f, v29
	v_cmp_ngt_f32_e32 vcc_lo, 0xc2ce8ed0, v26
	s_delay_alu instid0(VALU_DEP_2) | instskip(SKIP_1) | instid1(VALU_DEP_2)
	v_add_f32_e32 v27, v27, v29
	v_cvt_i32_f32_e32 v29, v55
	v_exp_f32_e32 v27, v27
	s_waitcnt_depctr 0xfff
	v_ldexp_f32 v27, v27, v29
	s_delay_alu instid0(VALU_DEP_1) | instskip(SKIP_1) | instid1(VALU_DEP_2)
	v_cndmask_b32_e32 v27, 0, v27, vcc_lo
	v_cmp_nlt_f32_e32 vcc_lo, 0x42b17218, v26
	v_cndmask_b32_e32 v29, 0x7f800000, v27, vcc_lo
	s_delay_alu instid0(VALU_DEP_1) | instskip(NEXT) | instid1(VALU_DEP_1)
	v_add_f32_e32 v55, 1.0, v29
	v_cvt_f64_f32_e32 v[26:27], v55
	s_delay_alu instid0(VALU_DEP_1) | instskip(SKIP_1) | instid1(VALU_DEP_1)
	v_frexp_exp_i32_f64_e32 v26, v[26:27]
	v_frexp_mant_f32_e32 v27, v55
	v_cmp_gt_f32_e32 vcc_lo, 0x3f2aaaab, v27
	v_add_f32_e32 v27, -1.0, v55
	s_delay_alu instid0(VALU_DEP_1) | instskip(SKIP_1) | instid1(VALU_DEP_2)
	v_sub_f32_e32 v65, v27, v55
	v_sub_f32_e32 v27, v29, v27
	v_add_f32_e32 v65, 1.0, v65
	s_delay_alu instid0(VALU_DEP_1) | instskip(SKIP_1) | instid1(VALU_DEP_1)
	v_add_f32_e32 v27, v27, v65
	v_subrev_co_ci_u32_e32 v26, vcc_lo, 0, v26, vcc_lo
	v_sub_nc_u32_e32 v64, 0, v26
	v_cvt_f32_i32_e32 v26, v26
	s_delay_alu instid0(VALU_DEP_2) | instskip(SKIP_1) | instid1(VALU_DEP_2)
	v_ldexp_f32 v55, v55, v64
	v_ldexp_f32 v27, v27, v64
	v_add_f32_e32 v66, 1.0, v55
	s_delay_alu instid0(VALU_DEP_1) | instskip(NEXT) | instid1(VALU_DEP_1)
	v_dual_add_f32 v64, -1.0, v55 :: v_dual_add_f32 v65, -1.0, v66
	v_add_f32_e32 v67, 1.0, v64
	s_delay_alu instid0(VALU_DEP_2) | instskip(NEXT) | instid1(VALU_DEP_2)
	v_sub_f32_e32 v65, v55, v65
	v_sub_f32_e32 v55, v55, v67
	s_delay_alu instid0(VALU_DEP_2) | instskip(NEXT) | instid1(VALU_DEP_2)
	v_add_f32_e32 v65, v27, v65
	v_add_f32_e32 v27, v27, v55
	s_delay_alu instid0(VALU_DEP_1) | instskip(NEXT) | instid1(VALU_DEP_1)
	v_dual_add_f32 v67, v66, v65 :: v_dual_add_f32 v68, v64, v27
	v_rcp_f32_e32 v55, v67
	v_sub_f32_e32 v66, v66, v67
	s_delay_alu instid0(VALU_DEP_1) | instskip(SKIP_3) | instid1(VALU_DEP_2)
	v_dual_sub_f32 v64, v64, v68 :: v_dual_add_f32 v65, v65, v66
	s_waitcnt_depctr 0xfff
	v_mul_f32_e32 v69, v68, v55
	v_add_f32_e32 v27, v27, v64
	v_mul_f32_e32 v70, v67, v69
	s_delay_alu instid0(VALU_DEP_1) | instskip(NEXT) | instid1(VALU_DEP_1)
	v_fma_f32 v66, v69, v67, -v70
	v_fmac_f32_e32 v66, v69, v65
	v_cmp_eq_f32_e32 vcc_lo, 0x7f800000, v29
	s_delay_alu instid0(VALU_DEP_2) | instskip(NEXT) | instid1(VALU_DEP_1)
	v_add_f32_e32 v71, v70, v66
	v_sub_f32_e32 v80, v68, v71
	v_sub_f32_e32 v64, v71, v70
	s_delay_alu instid0(VALU_DEP_2) | instskip(NEXT) | instid1(VALU_DEP_2)
	v_sub_f32_e32 v68, v68, v80
	v_sub_f32_e32 v64, v64, v66
	s_delay_alu instid0(VALU_DEP_2) | instskip(NEXT) | instid1(VALU_DEP_1)
	v_sub_f32_e32 v68, v68, v71
	v_add_f32_e32 v27, v27, v68
	s_delay_alu instid0(VALU_DEP_1) | instskip(NEXT) | instid1(VALU_DEP_1)
	v_add_f32_e32 v27, v64, v27
	v_add_f32_e32 v64, v80, v27
	s_delay_alu instid0(VALU_DEP_1) | instskip(NEXT) | instid1(VALU_DEP_1)
	v_mul_f32_e32 v66, v55, v64
	v_dual_sub_f32 v71, v80, v64 :: v_dual_mul_f32 v68, v67, v66
	s_delay_alu instid0(VALU_DEP_1) | instskip(NEXT) | instid1(VALU_DEP_2)
	v_add_f32_e32 v27, v27, v71
	v_fma_f32 v67, v66, v67, -v68
	s_delay_alu instid0(VALU_DEP_1) | instskip(NEXT) | instid1(VALU_DEP_1)
	v_fmac_f32_e32 v67, v66, v65
	v_add_f32_e32 v65, v68, v67
	s_delay_alu instid0(VALU_DEP_1) | instskip(SKIP_1) | instid1(VALU_DEP_2)
	v_sub_f32_e32 v70, v64, v65
	v_sub_f32_e32 v68, v65, v68
	;; [unrolled: 1-line block ×3, first 2 shown]
	s_delay_alu instid0(VALU_DEP_1) | instskip(NEXT) | instid1(VALU_DEP_3)
	v_sub_f32_e32 v64, v64, v65
	v_sub_f32_e32 v65, v68, v67
	s_delay_alu instid0(VALU_DEP_2) | instskip(NEXT) | instid1(VALU_DEP_1)
	v_dual_add_f32 v27, v27, v64 :: v_dual_add_f32 v64, v69, v66
	v_add_f32_e32 v27, v65, v27
	s_delay_alu instid0(VALU_DEP_2) | instskip(NEXT) | instid1(VALU_DEP_2)
	v_sub_f32_e32 v65, v64, v69
	v_add_f32_e32 v27, v70, v27
	s_delay_alu instid0(VALU_DEP_2) | instskip(NEXT) | instid1(VALU_DEP_2)
	v_sub_f32_e32 v65, v66, v65
	v_mul_f32_e32 v27, v55, v27
	s_delay_alu instid0(VALU_DEP_1) | instskip(NEXT) | instid1(VALU_DEP_1)
	v_add_f32_e32 v27, v65, v27
	v_add_f32_e32 v55, v64, v27
	s_delay_alu instid0(VALU_DEP_1) | instskip(NEXT) | instid1(VALU_DEP_1)
	v_mul_f32_e32 v65, v55, v55
	v_fmaak_f32 v66, s3, v65, 0x3ecc95a3
	v_mul_f32_e32 v67, v55, v65
	v_cmp_gt_f32_e64 s3, 0x33800000, |v29|
	s_delay_alu instid0(VALU_DEP_3) | instskip(SKIP_2) | instid1(VALU_DEP_4)
	v_fmaak_f32 v65, v65, v66, 0x3f2aaada
	v_ldexp_f32 v66, v55, 1
	v_sub_f32_e32 v55, v55, v64
	s_or_b32 vcc_lo, vcc_lo, s3
	s_delay_alu instid0(VALU_DEP_3) | instskip(SKIP_1) | instid1(VALU_DEP_2)
	v_mul_f32_e32 v65, v67, v65
	v_mul_f32_e32 v67, 0x3f317218, v26
	v_dual_sub_f32 v27, v27, v55 :: v_dual_add_f32 v64, v66, v65
	s_delay_alu instid0(VALU_DEP_1) | instskip(NEXT) | instid1(VALU_DEP_2)
	v_ldexp_f32 v27, v27, 1
	v_sub_f32_e32 v55, v64, v66
	s_delay_alu instid0(VALU_DEP_4) | instskip(NEXT) | instid1(VALU_DEP_1)
	v_fma_f32 v66, 0x3f317218, v26, -v67
	v_dual_sub_f32 v55, v65, v55 :: v_dual_fmamk_f32 v26, v26, 0xb102e308, v66
	s_delay_alu instid0(VALU_DEP_1) | instskip(NEXT) | instid1(VALU_DEP_2)
	v_add_f32_e32 v27, v27, v55
	v_add_f32_e32 v55, v67, v26
	s_delay_alu instid0(VALU_DEP_2) | instskip(NEXT) | instid1(VALU_DEP_2)
	v_add_f32_e32 v65, v64, v27
	v_sub_f32_e32 v67, v55, v67
	s_delay_alu instid0(VALU_DEP_2) | instskip(SKIP_1) | instid1(VALU_DEP_3)
	v_add_f32_e32 v66, v55, v65
	v_sub_f32_e32 v64, v65, v64
	v_sub_f32_e32 v26, v26, v67
	s_delay_alu instid0(VALU_DEP_2) | instskip(NEXT) | instid1(VALU_DEP_1)
	v_dual_sub_f32 v68, v66, v55 :: v_dual_sub_f32 v27, v27, v64
	v_sub_f32_e32 v69, v66, v68
	s_delay_alu instid0(VALU_DEP_2) | instskip(NEXT) | instid1(VALU_DEP_2)
	v_dual_sub_f32 v64, v65, v68 :: v_dual_add_f32 v65, v26, v27
	v_sub_f32_e32 v55, v55, v69
	s_delay_alu instid0(VALU_DEP_1) | instskip(NEXT) | instid1(VALU_DEP_1)
	v_dual_add_f32 v55, v64, v55 :: v_dual_sub_f32 v64, v65, v26
	v_add_f32_e32 v55, v65, v55
	s_delay_alu instid0(VALU_DEP_2) | instskip(SKIP_1) | instid1(VALU_DEP_3)
	v_sub_f32_e32 v65, v65, v64
	v_sub_f32_e32 v27, v27, v64
	v_add_f32_e32 v67, v66, v55
	s_delay_alu instid0(VALU_DEP_3) | instskip(NEXT) | instid1(VALU_DEP_2)
	v_sub_f32_e32 v26, v26, v65
	v_sub_f32_e32 v64, v67, v66
	s_delay_alu instid0(VALU_DEP_2) | instskip(NEXT) | instid1(VALU_DEP_2)
	v_add_f32_e32 v26, v27, v26
	v_sub_f32_e32 v27, v55, v64
	s_delay_alu instid0(VALU_DEP_1) | instskip(NEXT) | instid1(VALU_DEP_1)
	v_add_f32_e32 v26, v26, v27
	v_add_f32_e32 v26, v67, v26
	s_delay_alu instid0(VALU_DEP_1) | instskip(NEXT) | instid1(VALU_DEP_1)
	v_cndmask_b32_e32 v26, v26, v29, vcc_lo
	v_add_f32_e32 v26, v28, v26
	s_delay_alu instid0(VALU_DEP_1) | instskip(NEXT) | instid1(VALU_DEP_1)
	v_cvt_f16_f32_e32 v26, v26
	v_mov_b32_e32 v100, v26
	v_cvt_f32_f16_e32 v27, v26
.LBB362_51:
	s_or_b32 exec_lo, exec_lo, s2
	v_cvt_f32_f16_e32 v55, v13
	s_delay_alu instid0(VALU_DEP_2) | instskip(SKIP_2) | instid1(VALU_DEP_3)
	v_max_f32_e32 v28, v27, v27
	v_cmp_u_f16_e32 vcc_lo, v26, v26
	v_cmp_u_f16_e64 s2, v13, v13
	v_min_f32_e32 v29, v28, v55
	v_max_f32_e32 v28, v28, v55
	s_delay_alu instid0(VALU_DEP_2) | instskip(NEXT) | instid1(VALU_DEP_2)
	v_cndmask_b32_e32 v29, v29, v27, vcc_lo
	v_cndmask_b32_e32 v28, v28, v27, vcc_lo
	s_delay_alu instid0(VALU_DEP_2) | instskip(NEXT) | instid1(VALU_DEP_2)
	v_cndmask_b32_e64 v29, v29, v55, s2
	v_cndmask_b32_e64 v28, v28, v55, s2
	s_delay_alu instid0(VALU_DEP_2) | instskip(NEXT) | instid1(VALU_DEP_2)
	v_cmp_class_f32_e64 s3, v29, 0x1f8
	v_cmp_neq_f32_e32 vcc_lo, v29, v28
	s_delay_alu instid0(VALU_DEP_2) | instskip(NEXT) | instid1(SALU_CYCLE_1)
	s_or_b32 s4, vcc_lo, s3
	s_and_saveexec_b32 s3, s4
	s_cbranch_execz .LBB362_53
; %bb.52:
	v_sub_f32_e32 v26, v29, v28
	s_mov_b32 s4, 0x3e9b6dac
	s_delay_alu instid0(VALU_DEP_1) | instskip(NEXT) | instid1(VALU_DEP_1)
	v_mul_f32_e32 v27, 0x3fb8aa3b, v26
	v_fma_f32 v29, 0x3fb8aa3b, v26, -v27
	v_rndne_f32_e32 v64, v27
	s_delay_alu instid0(VALU_DEP_2) | instskip(NEXT) | instid1(VALU_DEP_2)
	v_fmamk_f32 v29, v26, 0x32a5705f, v29
	v_sub_f32_e32 v27, v27, v64
	s_delay_alu instid0(VALU_DEP_1) | instskip(SKIP_2) | instid1(VALU_DEP_3)
	v_add_f32_e32 v27, v27, v29
	v_cvt_i32_f32_e32 v29, v64
	v_cmp_ngt_f32_e32 vcc_lo, 0xc2ce8ed0, v26
	v_exp_f32_e32 v27, v27
	s_waitcnt_depctr 0xfff
	v_ldexp_f32 v27, v27, v29
	s_delay_alu instid0(VALU_DEP_1) | instskip(SKIP_1) | instid1(VALU_DEP_2)
	v_cndmask_b32_e32 v27, 0, v27, vcc_lo
	v_cmp_nlt_f32_e32 vcc_lo, 0x42b17218, v26
	v_cndmask_b32_e32 v29, 0x7f800000, v27, vcc_lo
	s_delay_alu instid0(VALU_DEP_1) | instskip(NEXT) | instid1(VALU_DEP_1)
	v_add_f32_e32 v64, 1.0, v29
	v_cvt_f64_f32_e32 v[26:27], v64
	s_delay_alu instid0(VALU_DEP_1) | instskip(SKIP_1) | instid1(VALU_DEP_1)
	v_frexp_exp_i32_f64_e32 v26, v[26:27]
	v_frexp_mant_f32_e32 v27, v64
	v_cmp_gt_f32_e32 vcc_lo, 0x3f2aaaab, v27
	v_add_f32_e32 v27, -1.0, v64
	s_delay_alu instid0(VALU_DEP_1) | instskip(NEXT) | instid1(VALU_DEP_1)
	v_sub_f32_e32 v66, v27, v64
	v_add_f32_e32 v66, 1.0, v66
	v_subrev_co_ci_u32_e32 v26, vcc_lo, 0, v26, vcc_lo
	s_delay_alu instid0(VALU_DEP_1) | instskip(SKIP_1) | instid1(VALU_DEP_2)
	v_sub_nc_u32_e32 v65, 0, v26
	v_cvt_f32_i32_e32 v26, v26
	v_ldexp_f32 v64, v64, v65
	v_sub_f32_e32 v27, v29, v27
	s_delay_alu instid0(VALU_DEP_1) | instskip(NEXT) | instid1(VALU_DEP_1)
	v_add_f32_e32 v27, v27, v66
	v_ldexp_f32 v27, v27, v65
	s_delay_alu instid0(VALU_DEP_4) | instskip(NEXT) | instid1(VALU_DEP_1)
	v_add_f32_e32 v67, 1.0, v64
	v_add_f32_e32 v66, -1.0, v67
	s_delay_alu instid0(VALU_DEP_1) | instskip(NEXT) | instid1(VALU_DEP_1)
	v_sub_f32_e32 v66, v64, v66
	v_dual_add_f32 v66, v27, v66 :: v_dual_add_f32 v65, -1.0, v64
	s_delay_alu instid0(VALU_DEP_1) | instskip(SKIP_1) | instid1(VALU_DEP_2)
	v_add_f32_e32 v68, 1.0, v65
	v_cmp_eq_f32_e32 vcc_lo, 0x7f800000, v29
	v_sub_f32_e32 v64, v64, v68
	s_delay_alu instid0(VALU_DEP_4) | instskip(NEXT) | instid1(VALU_DEP_1)
	v_add_f32_e32 v68, v67, v66
	v_sub_f32_e32 v67, v67, v68
	s_delay_alu instid0(VALU_DEP_3) | instskip(SKIP_1) | instid1(VALU_DEP_2)
	v_add_f32_e32 v27, v27, v64
	v_rcp_f32_e32 v64, v68
	v_add_f32_e32 v66, v66, v67
	s_delay_alu instid0(VALU_DEP_2) | instskip(NEXT) | instid1(VALU_DEP_1)
	v_add_f32_e32 v69, v65, v27
	v_sub_f32_e32 v65, v65, v69
	s_waitcnt_depctr 0xfff
	v_dual_mul_f32 v70, v69, v64 :: v_dual_add_f32 v27, v27, v65
	s_delay_alu instid0(VALU_DEP_1) | instskip(NEXT) | instid1(VALU_DEP_1)
	v_mul_f32_e32 v71, v68, v70
	v_fma_f32 v67, v70, v68, -v71
	s_delay_alu instid0(VALU_DEP_1) | instskip(NEXT) | instid1(VALU_DEP_1)
	v_fmac_f32_e32 v67, v70, v66
	v_add_f32_e32 v80, v71, v67
	s_delay_alu instid0(VALU_DEP_1) | instskip(SKIP_1) | instid1(VALU_DEP_2)
	v_sub_f32_e32 v81, v69, v80
	v_sub_f32_e32 v65, v80, v71
	;; [unrolled: 1-line block ×3, first 2 shown]
	s_delay_alu instid0(VALU_DEP_2) | instskip(NEXT) | instid1(VALU_DEP_2)
	v_sub_f32_e32 v65, v65, v67
	v_sub_f32_e32 v69, v69, v80
	s_delay_alu instid0(VALU_DEP_1) | instskip(NEXT) | instid1(VALU_DEP_1)
	v_add_f32_e32 v27, v27, v69
	v_add_f32_e32 v27, v65, v27
	s_delay_alu instid0(VALU_DEP_1) | instskip(NEXT) | instid1(VALU_DEP_1)
	v_add_f32_e32 v65, v81, v27
	v_mul_f32_e32 v67, v64, v65
	s_delay_alu instid0(VALU_DEP_1) | instskip(NEXT) | instid1(VALU_DEP_1)
	v_dual_sub_f32 v80, v81, v65 :: v_dual_mul_f32 v69, v68, v67
	v_add_f32_e32 v27, v27, v80
	s_delay_alu instid0(VALU_DEP_2) | instskip(NEXT) | instid1(VALU_DEP_1)
	v_fma_f32 v68, v67, v68, -v69
	v_fmac_f32_e32 v68, v67, v66
	s_delay_alu instid0(VALU_DEP_1) | instskip(NEXT) | instid1(VALU_DEP_1)
	v_add_f32_e32 v66, v69, v68
	v_sub_f32_e32 v71, v65, v66
	v_sub_f32_e32 v69, v66, v69
	s_delay_alu instid0(VALU_DEP_2) | instskip(NEXT) | instid1(VALU_DEP_1)
	v_sub_f32_e32 v65, v65, v71
	v_sub_f32_e32 v65, v65, v66
	s_delay_alu instid0(VALU_DEP_1) | instskip(SKIP_1) | instid1(VALU_DEP_1)
	v_dual_sub_f32 v66, v69, v68 :: v_dual_add_f32 v27, v27, v65
	v_add_f32_e32 v65, v70, v67
	v_dual_add_f32 v27, v66, v27 :: v_dual_sub_f32 v66, v65, v70
	s_delay_alu instid0(VALU_DEP_1) | instskip(NEXT) | instid1(VALU_DEP_1)
	v_add_f32_e32 v27, v71, v27
	v_dual_sub_f32 v66, v67, v66 :: v_dual_mul_f32 v27, v64, v27
	s_delay_alu instid0(VALU_DEP_1) | instskip(NEXT) | instid1(VALU_DEP_1)
	v_add_f32_e32 v27, v66, v27
	v_add_f32_e32 v64, v65, v27
	s_delay_alu instid0(VALU_DEP_1) | instskip(NEXT) | instid1(VALU_DEP_1)
	v_mul_f32_e32 v66, v64, v64
	v_fmaak_f32 v67, s4, v66, 0x3ecc95a3
	v_mul_f32_e32 v68, v64, v66
	v_cmp_gt_f32_e64 s4, 0x33800000, |v29|
	s_delay_alu instid0(VALU_DEP_3) | instskip(SKIP_2) | instid1(VALU_DEP_4)
	v_fmaak_f32 v66, v66, v67, 0x3f2aaada
	v_ldexp_f32 v67, v64, 1
	v_sub_f32_e32 v64, v64, v65
	s_or_b32 vcc_lo, vcc_lo, s4
	s_delay_alu instid0(VALU_DEP_3) | instskip(NEXT) | instid1(VALU_DEP_2)
	v_mul_f32_e32 v66, v68, v66
	v_dual_mul_f32 v68, 0x3f317218, v26 :: v_dual_sub_f32 v27, v27, v64
	s_delay_alu instid0(VALU_DEP_2) | instskip(NEXT) | instid1(VALU_DEP_2)
	v_add_f32_e32 v65, v67, v66
	v_ldexp_f32 v27, v27, 1
	s_delay_alu instid0(VALU_DEP_2) | instskip(NEXT) | instid1(VALU_DEP_4)
	v_sub_f32_e32 v64, v65, v67
	v_fma_f32 v67, 0x3f317218, v26, -v68
	s_delay_alu instid0(VALU_DEP_2) | instskip(NEXT) | instid1(VALU_DEP_1)
	v_sub_f32_e32 v64, v66, v64
	v_dual_fmamk_f32 v26, v26, 0xb102e308, v67 :: v_dual_add_f32 v27, v27, v64
	s_delay_alu instid0(VALU_DEP_1) | instskip(NEXT) | instid1(VALU_DEP_2)
	v_add_f32_e32 v64, v68, v26
	v_add_f32_e32 v66, v65, v27
	s_delay_alu instid0(VALU_DEP_2) | instskip(NEXT) | instid1(VALU_DEP_2)
	v_sub_f32_e32 v68, v64, v68
	v_add_f32_e32 v67, v64, v66
	v_sub_f32_e32 v65, v66, v65
	s_delay_alu instid0(VALU_DEP_3) | instskip(NEXT) | instid1(VALU_DEP_3)
	v_sub_f32_e32 v26, v26, v68
	v_sub_f32_e32 v69, v67, v64
	s_delay_alu instid0(VALU_DEP_3) | instskip(NEXT) | instid1(VALU_DEP_2)
	v_sub_f32_e32 v27, v27, v65
	v_sub_f32_e32 v70, v67, v69
	;; [unrolled: 1-line block ×3, first 2 shown]
	s_delay_alu instid0(VALU_DEP_3) | instskip(NEXT) | instid1(VALU_DEP_3)
	v_add_f32_e32 v66, v26, v27
	v_sub_f32_e32 v64, v64, v70
	s_delay_alu instid0(VALU_DEP_1) | instskip(NEXT) | instid1(VALU_DEP_1)
	v_dual_add_f32 v64, v65, v64 :: v_dual_sub_f32 v65, v66, v26
	v_add_f32_e32 v64, v66, v64
	s_delay_alu instid0(VALU_DEP_2) | instskip(SKIP_1) | instid1(VALU_DEP_3)
	v_sub_f32_e32 v66, v66, v65
	v_sub_f32_e32 v27, v27, v65
	v_add_f32_e32 v68, v67, v64
	s_delay_alu instid0(VALU_DEP_1) | instskip(NEXT) | instid1(VALU_DEP_1)
	v_dual_sub_f32 v26, v26, v66 :: v_dual_sub_f32 v65, v68, v67
	v_dual_add_f32 v26, v27, v26 :: v_dual_sub_f32 v27, v64, v65
	s_delay_alu instid0(VALU_DEP_1) | instskip(NEXT) | instid1(VALU_DEP_1)
	v_add_f32_e32 v26, v26, v27
	v_add_f32_e32 v26, v68, v26
	s_delay_alu instid0(VALU_DEP_1) | instskip(NEXT) | instid1(VALU_DEP_1)
	v_cndmask_b32_e32 v26, v26, v29, vcc_lo
	v_add_f32_e32 v26, v28, v26
	s_delay_alu instid0(VALU_DEP_1) | instskip(NEXT) | instid1(VALU_DEP_1)
	v_cvt_f16_f32_e32 v26, v26
	v_mov_b32_e32 v100, v26
	v_cvt_f32_f16_e32 v27, v26
.LBB362_53:
	s_or_b32 exec_lo, exec_lo, s3
	v_cvt_f32_f16_e32 v64, v53
	s_delay_alu instid0(VALU_DEP_2) | instskip(SKIP_2) | instid1(VALU_DEP_3)
	v_max_f32_e32 v28, v27, v27
	v_cmp_u_f16_e32 vcc_lo, v26, v26
	v_cmp_u_f16_e64 s3, v53, v53
	v_min_f32_e32 v29, v28, v64
	s_delay_alu instid0(VALU_DEP_1) | instskip(NEXT) | instid1(VALU_DEP_1)
	v_dual_max_f32 v28, v28, v64 :: v_dual_cndmask_b32 v29, v29, v27
	v_cndmask_b32_e32 v28, v28, v27, vcc_lo
	s_delay_alu instid0(VALU_DEP_2) | instskip(NEXT) | instid1(VALU_DEP_2)
	v_cndmask_b32_e64 v29, v29, v64, s3
	v_cndmask_b32_e64 v28, v28, v64, s3
	s_delay_alu instid0(VALU_DEP_2) | instskip(NEXT) | instid1(VALU_DEP_2)
	v_cmp_class_f32_e64 s4, v29, 0x1f8
	v_cmp_neq_f32_e32 vcc_lo, v29, v28
	s_delay_alu instid0(VALU_DEP_2) | instskip(NEXT) | instid1(SALU_CYCLE_1)
	s_or_b32 s5, vcc_lo, s4
	s_and_saveexec_b32 s4, s5
	s_cbranch_execz .LBB362_55
; %bb.54:
	v_sub_f32_e32 v26, v29, v28
	s_mov_b32 s5, 0x3e9b6dac
	s_delay_alu instid0(VALU_DEP_1) | instskip(NEXT) | instid1(VALU_DEP_1)
	v_mul_f32_e32 v27, 0x3fb8aa3b, v26
	v_fma_f32 v29, 0x3fb8aa3b, v26, -v27
	v_rndne_f32_e32 v65, v27
	s_delay_alu instid0(VALU_DEP_1) | instskip(NEXT) | instid1(VALU_DEP_3)
	v_sub_f32_e32 v27, v27, v65
	v_fmamk_f32 v29, v26, 0x32a5705f, v29
	v_cmp_ngt_f32_e32 vcc_lo, 0xc2ce8ed0, v26
	s_delay_alu instid0(VALU_DEP_2) | instskip(SKIP_1) | instid1(VALU_DEP_2)
	v_add_f32_e32 v27, v27, v29
	v_cvt_i32_f32_e32 v29, v65
	v_exp_f32_e32 v27, v27
	s_waitcnt_depctr 0xfff
	v_ldexp_f32 v27, v27, v29
	s_delay_alu instid0(VALU_DEP_1) | instskip(SKIP_1) | instid1(VALU_DEP_2)
	v_cndmask_b32_e32 v27, 0, v27, vcc_lo
	v_cmp_nlt_f32_e32 vcc_lo, 0x42b17218, v26
	v_cndmask_b32_e32 v29, 0x7f800000, v27, vcc_lo
	s_delay_alu instid0(VALU_DEP_1) | instskip(NEXT) | instid1(VALU_DEP_1)
	v_add_f32_e32 v65, 1.0, v29
	v_cvt_f64_f32_e32 v[26:27], v65
	s_delay_alu instid0(VALU_DEP_1) | instskip(SKIP_1) | instid1(VALU_DEP_1)
	v_frexp_exp_i32_f64_e32 v26, v[26:27]
	v_frexp_mant_f32_e32 v27, v65
	v_cmp_gt_f32_e32 vcc_lo, 0x3f2aaaab, v27
	v_add_f32_e32 v27, -1.0, v65
	s_delay_alu instid0(VALU_DEP_1) | instskip(SKIP_1) | instid1(VALU_DEP_2)
	v_sub_f32_e32 v67, v27, v65
	v_sub_f32_e32 v27, v29, v27
	v_add_f32_e32 v67, 1.0, v67
	s_delay_alu instid0(VALU_DEP_1) | instskip(SKIP_1) | instid1(VALU_DEP_1)
	v_add_f32_e32 v27, v27, v67
	v_subrev_co_ci_u32_e32 v26, vcc_lo, 0, v26, vcc_lo
	v_sub_nc_u32_e32 v66, 0, v26
	v_cvt_f32_i32_e32 v26, v26
	s_delay_alu instid0(VALU_DEP_2) | instskip(SKIP_1) | instid1(VALU_DEP_2)
	v_ldexp_f32 v65, v65, v66
	v_ldexp_f32 v27, v27, v66
	v_add_f32_e32 v68, 1.0, v65
	s_delay_alu instid0(VALU_DEP_1) | instskip(NEXT) | instid1(VALU_DEP_1)
	v_dual_add_f32 v66, -1.0, v65 :: v_dual_add_f32 v67, -1.0, v68
	v_add_f32_e32 v69, 1.0, v66
	s_delay_alu instid0(VALU_DEP_2) | instskip(NEXT) | instid1(VALU_DEP_2)
	v_sub_f32_e32 v67, v65, v67
	v_sub_f32_e32 v65, v65, v69
	s_delay_alu instid0(VALU_DEP_2) | instskip(NEXT) | instid1(VALU_DEP_1)
	v_add_f32_e32 v67, v27, v67
	v_add_f32_e32 v69, v68, v67
	s_delay_alu instid0(VALU_DEP_3) | instskip(NEXT) | instid1(VALU_DEP_2)
	v_add_f32_e32 v27, v27, v65
	v_rcp_f32_e32 v65, v69
	s_delay_alu instid0(VALU_DEP_1) | instskip(SKIP_1) | instid1(VALU_DEP_1)
	v_add_f32_e32 v70, v66, v27
	v_sub_f32_e32 v68, v68, v69
	v_dual_sub_f32 v66, v66, v70 :: v_dual_add_f32 v67, v67, v68
	s_waitcnt_depctr 0xfff
	v_mul_f32_e32 v71, v70, v65
	s_delay_alu instid0(VALU_DEP_1) | instskip(NEXT) | instid1(VALU_DEP_1)
	v_dual_add_f32 v27, v27, v66 :: v_dual_mul_f32 v80, v69, v71
	v_fma_f32 v68, v71, v69, -v80
	s_delay_alu instid0(VALU_DEP_1) | instskip(NEXT) | instid1(VALU_DEP_1)
	v_fmac_f32_e32 v68, v71, v67
	v_add_f32_e32 v81, v80, v68
	s_delay_alu instid0(VALU_DEP_1) | instskip(SKIP_2) | instid1(VALU_DEP_3)
	v_sub_f32_e32 v82, v70, v81
	v_sub_f32_e32 v66, v81, v80
	v_cmp_eq_f32_e32 vcc_lo, 0x7f800000, v29
	v_sub_f32_e32 v70, v70, v82
	s_delay_alu instid0(VALU_DEP_3) | instskip(NEXT) | instid1(VALU_DEP_2)
	v_sub_f32_e32 v66, v66, v68
	v_sub_f32_e32 v70, v70, v81
	s_delay_alu instid0(VALU_DEP_1) | instskip(NEXT) | instid1(VALU_DEP_1)
	v_add_f32_e32 v27, v27, v70
	v_add_f32_e32 v27, v66, v27
	s_delay_alu instid0(VALU_DEP_1) | instskip(NEXT) | instid1(VALU_DEP_1)
	v_add_f32_e32 v66, v82, v27
	v_mul_f32_e32 v68, v65, v66
	s_delay_alu instid0(VALU_DEP_1) | instskip(NEXT) | instid1(VALU_DEP_1)
	v_dual_sub_f32 v81, v82, v66 :: v_dual_mul_f32 v70, v69, v68
	v_add_f32_e32 v27, v27, v81
	s_delay_alu instid0(VALU_DEP_2) | instskip(NEXT) | instid1(VALU_DEP_1)
	v_fma_f32 v69, v68, v69, -v70
	v_fmac_f32_e32 v69, v68, v67
	s_delay_alu instid0(VALU_DEP_1) | instskip(NEXT) | instid1(VALU_DEP_1)
	v_add_f32_e32 v67, v70, v69
	v_sub_f32_e32 v80, v66, v67
	v_sub_f32_e32 v70, v67, v70
	s_delay_alu instid0(VALU_DEP_2) | instskip(NEXT) | instid1(VALU_DEP_1)
	v_sub_f32_e32 v66, v66, v80
	v_sub_f32_e32 v66, v66, v67
	s_delay_alu instid0(VALU_DEP_3) | instskip(NEXT) | instid1(VALU_DEP_2)
	v_sub_f32_e32 v67, v70, v69
	v_add_f32_e32 v27, v27, v66
	v_add_f32_e32 v66, v71, v68
	s_delay_alu instid0(VALU_DEP_2) | instskip(NEXT) | instid1(VALU_DEP_2)
	v_add_f32_e32 v27, v67, v27
	v_sub_f32_e32 v67, v66, v71
	s_delay_alu instid0(VALU_DEP_2) | instskip(NEXT) | instid1(VALU_DEP_2)
	v_add_f32_e32 v27, v80, v27
	v_sub_f32_e32 v67, v68, v67
	s_delay_alu instid0(VALU_DEP_2) | instskip(NEXT) | instid1(VALU_DEP_1)
	v_mul_f32_e32 v27, v65, v27
	v_add_f32_e32 v27, v67, v27
	s_delay_alu instid0(VALU_DEP_1) | instskip(NEXT) | instid1(VALU_DEP_1)
	v_add_f32_e32 v65, v66, v27
	v_mul_f32_e32 v67, v65, v65
	s_delay_alu instid0(VALU_DEP_1) | instskip(SKIP_2) | instid1(VALU_DEP_3)
	v_fmaak_f32 v68, s5, v67, 0x3ecc95a3
	v_mul_f32_e32 v69, v65, v67
	v_cmp_gt_f32_e64 s5, 0x33800000, |v29|
	v_fmaak_f32 v67, v67, v68, 0x3f2aaada
	v_ldexp_f32 v68, v65, 1
	v_sub_f32_e32 v65, v65, v66
	s_delay_alu instid0(VALU_DEP_4) | instskip(NEXT) | instid1(VALU_DEP_3)
	s_or_b32 vcc_lo, vcc_lo, s5
	v_mul_f32_e32 v67, v69, v67
	v_mul_f32_e32 v69, 0x3f317218, v26
	s_delay_alu instid0(VALU_DEP_2) | instskip(NEXT) | instid1(VALU_DEP_1)
	v_dual_sub_f32 v27, v27, v65 :: v_dual_add_f32 v66, v68, v67
	v_ldexp_f32 v27, v27, 1
	s_delay_alu instid0(VALU_DEP_2) | instskip(NEXT) | instid1(VALU_DEP_4)
	v_sub_f32_e32 v65, v66, v68
	v_fma_f32 v68, 0x3f317218, v26, -v69
	s_delay_alu instid0(VALU_DEP_1) | instskip(NEXT) | instid1(VALU_DEP_1)
	v_dual_sub_f32 v65, v67, v65 :: v_dual_fmamk_f32 v26, v26, 0xb102e308, v68
	v_add_f32_e32 v27, v27, v65
	s_delay_alu instid0(VALU_DEP_2) | instskip(NEXT) | instid1(VALU_DEP_2)
	v_add_f32_e32 v65, v69, v26
	v_add_f32_e32 v67, v66, v27
	s_delay_alu instid0(VALU_DEP_2) | instskip(NEXT) | instid1(VALU_DEP_2)
	v_sub_f32_e32 v69, v65, v69
	v_add_f32_e32 v68, v65, v67
	v_sub_f32_e32 v66, v67, v66
	s_delay_alu instid0(VALU_DEP_3) | instskip(NEXT) | instid1(VALU_DEP_2)
	v_sub_f32_e32 v26, v26, v69
	v_dual_sub_f32 v70, v68, v65 :: v_dual_sub_f32 v27, v27, v66
	s_delay_alu instid0(VALU_DEP_1) | instskip(NEXT) | instid1(VALU_DEP_2)
	v_sub_f32_e32 v71, v68, v70
	v_dual_sub_f32 v66, v67, v70 :: v_dual_add_f32 v67, v26, v27
	s_delay_alu instid0(VALU_DEP_2) | instskip(NEXT) | instid1(VALU_DEP_1)
	v_sub_f32_e32 v65, v65, v71
	v_dual_add_f32 v65, v66, v65 :: v_dual_sub_f32 v66, v67, v26
	s_delay_alu instid0(VALU_DEP_1) | instskip(NEXT) | instid1(VALU_DEP_2)
	v_add_f32_e32 v65, v67, v65
	v_sub_f32_e32 v67, v67, v66
	v_sub_f32_e32 v27, v27, v66
	s_delay_alu instid0(VALU_DEP_2) | instskip(NEXT) | instid1(VALU_DEP_1)
	v_dual_add_f32 v69, v68, v65 :: v_dual_sub_f32 v26, v26, v67
	v_sub_f32_e32 v66, v69, v68
	s_delay_alu instid0(VALU_DEP_2) | instskip(NEXT) | instid1(VALU_DEP_2)
	v_add_f32_e32 v26, v27, v26
	v_sub_f32_e32 v27, v65, v66
	s_delay_alu instid0(VALU_DEP_1) | instskip(NEXT) | instid1(VALU_DEP_1)
	v_add_f32_e32 v26, v26, v27
	v_add_f32_e32 v26, v69, v26
	s_delay_alu instid0(VALU_DEP_1) | instskip(NEXT) | instid1(VALU_DEP_1)
	v_cndmask_b32_e32 v26, v26, v29, vcc_lo
	v_add_f32_e32 v26, v28, v26
	s_delay_alu instid0(VALU_DEP_1) | instskip(NEXT) | instid1(VALU_DEP_1)
	v_cvt_f16_f32_e32 v26, v26
	v_cvt_f32_f16_e32 v27, v26
	v_mov_b32_e32 v100, v26
.LBB362_55:
	s_or_b32 exec_lo, exec_lo, s4
	v_cvt_f32_f16_e32 v65, v24
	s_delay_alu instid0(VALU_DEP_3) | instskip(SKIP_2) | instid1(VALU_DEP_3)
	v_max_f32_e32 v28, v27, v27
	v_cmp_u_f16_e32 vcc_lo, v26, v26
	v_cmp_u_f16_e64 s4, v24, v24
	v_min_f32_e32 v29, v28, v65
	s_delay_alu instid0(VALU_DEP_1) | instskip(NEXT) | instid1(VALU_DEP_1)
	v_dual_max_f32 v28, v28, v65 :: v_dual_cndmask_b32 v29, v29, v27
	v_cndmask_b32_e32 v28, v28, v27, vcc_lo
	s_delay_alu instid0(VALU_DEP_2) | instskip(NEXT) | instid1(VALU_DEP_2)
	v_cndmask_b32_e64 v29, v29, v65, s4
	v_cndmask_b32_e64 v28, v28, v65, s4
	s_delay_alu instid0(VALU_DEP_2) | instskip(NEXT) | instid1(VALU_DEP_2)
	v_cmp_class_f32_e64 s5, v29, 0x1f8
	v_cmp_neq_f32_e32 vcc_lo, v29, v28
	s_delay_alu instid0(VALU_DEP_2) | instskip(NEXT) | instid1(SALU_CYCLE_1)
	s_or_b32 s6, vcc_lo, s5
	s_and_saveexec_b32 s5, s6
	s_cbranch_execz .LBB362_57
; %bb.56:
	v_sub_f32_e32 v26, v29, v28
	s_mov_b32 s6, 0x3e9b6dac
	s_delay_alu instid0(VALU_DEP_1) | instskip(NEXT) | instid1(VALU_DEP_1)
	v_mul_f32_e32 v27, 0x3fb8aa3b, v26
	v_fma_f32 v29, 0x3fb8aa3b, v26, -v27
	v_rndne_f32_e32 v66, v27
	s_delay_alu instid0(VALU_DEP_1) | instskip(NEXT) | instid1(VALU_DEP_3)
	v_sub_f32_e32 v27, v27, v66
	v_fmamk_f32 v29, v26, 0x32a5705f, v29
	v_cmp_ngt_f32_e32 vcc_lo, 0xc2ce8ed0, v26
	s_delay_alu instid0(VALU_DEP_2) | instskip(SKIP_1) | instid1(VALU_DEP_2)
	v_add_f32_e32 v27, v27, v29
	v_cvt_i32_f32_e32 v29, v66
	v_exp_f32_e32 v27, v27
	s_waitcnt_depctr 0xfff
	v_ldexp_f32 v27, v27, v29
	s_delay_alu instid0(VALU_DEP_1) | instskip(SKIP_1) | instid1(VALU_DEP_2)
	v_cndmask_b32_e32 v27, 0, v27, vcc_lo
	v_cmp_nlt_f32_e32 vcc_lo, 0x42b17218, v26
	v_cndmask_b32_e32 v29, 0x7f800000, v27, vcc_lo
	s_delay_alu instid0(VALU_DEP_1) | instskip(NEXT) | instid1(VALU_DEP_1)
	v_add_f32_e32 v66, 1.0, v29
	v_cvt_f64_f32_e32 v[26:27], v66
	s_delay_alu instid0(VALU_DEP_1) | instskip(SKIP_1) | instid1(VALU_DEP_1)
	v_frexp_exp_i32_f64_e32 v26, v[26:27]
	v_frexp_mant_f32_e32 v27, v66
	v_cmp_gt_f32_e32 vcc_lo, 0x3f2aaaab, v27
	v_add_f32_e32 v27, -1.0, v66
	s_delay_alu instid0(VALU_DEP_1) | instskip(NEXT) | instid1(VALU_DEP_1)
	v_sub_f32_e32 v68, v27, v66
	v_add_f32_e32 v68, 1.0, v68
	v_subrev_co_ci_u32_e32 v26, vcc_lo, 0, v26, vcc_lo
	s_delay_alu instid0(VALU_DEP_1) | instskip(SKIP_1) | instid1(VALU_DEP_2)
	v_sub_nc_u32_e32 v67, 0, v26
	v_cvt_f32_i32_e32 v26, v26
	v_ldexp_f32 v66, v66, v67
	v_sub_f32_e32 v27, v29, v27
	s_delay_alu instid0(VALU_DEP_1) | instskip(NEXT) | instid1(VALU_DEP_1)
	v_add_f32_e32 v27, v27, v68
	v_ldexp_f32 v27, v27, v67
	s_delay_alu instid0(VALU_DEP_4) | instskip(NEXT) | instid1(VALU_DEP_1)
	v_add_f32_e32 v69, 1.0, v66
	v_add_f32_e32 v68, -1.0, v69
	s_delay_alu instid0(VALU_DEP_1) | instskip(SKIP_1) | instid1(VALU_DEP_2)
	v_sub_f32_e32 v68, v66, v68
	v_cmp_eq_f32_e32 vcc_lo, 0x7f800000, v29
	v_dual_add_f32 v68, v27, v68 :: v_dual_add_f32 v67, -1.0, v66
	s_delay_alu instid0(VALU_DEP_1) | instskip(NEXT) | instid1(VALU_DEP_1)
	v_add_f32_e32 v70, 1.0, v67
	v_sub_f32_e32 v66, v66, v70
	s_delay_alu instid0(VALU_DEP_1) | instskip(NEXT) | instid1(VALU_DEP_1)
	v_dual_add_f32 v70, v69, v68 :: v_dual_add_f32 v27, v27, v66
	v_rcp_f32_e32 v66, v70
	v_sub_f32_e32 v69, v69, v70
	s_delay_alu instid0(VALU_DEP_1) | instskip(SKIP_3) | instid1(VALU_DEP_2)
	v_dual_add_f32 v68, v68, v69 :: v_dual_add_f32 v71, v67, v27
	s_waitcnt_depctr 0xfff
	v_mul_f32_e32 v80, v71, v66
	v_sub_f32_e32 v67, v67, v71
	v_mul_f32_e32 v81, v70, v80
	s_delay_alu instid0(VALU_DEP_1) | instskip(NEXT) | instid1(VALU_DEP_1)
	v_fma_f32 v69, v80, v70, -v81
	v_fmac_f32_e32 v69, v80, v68
	s_delay_alu instid0(VALU_DEP_1) | instskip(NEXT) | instid1(VALU_DEP_1)
	v_dual_add_f32 v82, v81, v69 :: v_dual_add_f32 v27, v27, v67
	v_sub_f32_e32 v83, v71, v82
	v_sub_f32_e32 v67, v82, v81
	s_delay_alu instid0(VALU_DEP_2) | instskip(NEXT) | instid1(VALU_DEP_2)
	v_sub_f32_e32 v71, v71, v83
	v_sub_f32_e32 v67, v67, v69
	s_delay_alu instid0(VALU_DEP_2) | instskip(NEXT) | instid1(VALU_DEP_1)
	v_sub_f32_e32 v71, v71, v82
	v_add_f32_e32 v27, v27, v71
	s_delay_alu instid0(VALU_DEP_1) | instskip(NEXT) | instid1(VALU_DEP_1)
	v_add_f32_e32 v27, v67, v27
	v_add_f32_e32 v67, v83, v27
	s_delay_alu instid0(VALU_DEP_1) | instskip(NEXT) | instid1(VALU_DEP_1)
	v_mul_f32_e32 v69, v66, v67
	v_dual_sub_f32 v82, v83, v67 :: v_dual_mul_f32 v71, v70, v69
	s_delay_alu instid0(VALU_DEP_1) | instskip(NEXT) | instid1(VALU_DEP_2)
	v_add_f32_e32 v27, v27, v82
	v_fma_f32 v70, v69, v70, -v71
	s_delay_alu instid0(VALU_DEP_1) | instskip(NEXT) | instid1(VALU_DEP_1)
	v_fmac_f32_e32 v70, v69, v68
	v_add_f32_e32 v68, v71, v70
	s_delay_alu instid0(VALU_DEP_1) | instskip(SKIP_1) | instid1(VALU_DEP_2)
	v_sub_f32_e32 v81, v67, v68
	v_sub_f32_e32 v71, v68, v71
	;; [unrolled: 1-line block ×3, first 2 shown]
	s_delay_alu instid0(VALU_DEP_1) | instskip(NEXT) | instid1(VALU_DEP_3)
	v_sub_f32_e32 v67, v67, v68
	v_sub_f32_e32 v68, v71, v70
	s_delay_alu instid0(VALU_DEP_2) | instskip(SKIP_1) | instid1(VALU_DEP_1)
	v_add_f32_e32 v27, v27, v67
	v_add_f32_e32 v67, v80, v69
	v_dual_add_f32 v27, v68, v27 :: v_dual_sub_f32 v68, v67, v80
	s_delay_alu instid0(VALU_DEP_1) | instskip(NEXT) | instid1(VALU_DEP_1)
	v_add_f32_e32 v27, v81, v27
	v_dual_sub_f32 v68, v69, v68 :: v_dual_mul_f32 v27, v66, v27
	s_delay_alu instid0(VALU_DEP_1) | instskip(NEXT) | instid1(VALU_DEP_1)
	v_add_f32_e32 v27, v68, v27
	v_add_f32_e32 v66, v67, v27
	s_delay_alu instid0(VALU_DEP_1) | instskip(NEXT) | instid1(VALU_DEP_1)
	v_mul_f32_e32 v68, v66, v66
	v_fmaak_f32 v69, s6, v68, 0x3ecc95a3
	v_mul_f32_e32 v70, v66, v68
	v_cmp_gt_f32_e64 s6, 0x33800000, |v29|
	s_delay_alu instid0(VALU_DEP_3) | instskip(SKIP_2) | instid1(VALU_DEP_4)
	v_fmaak_f32 v68, v68, v69, 0x3f2aaada
	v_ldexp_f32 v69, v66, 1
	v_sub_f32_e32 v66, v66, v67
	s_or_b32 vcc_lo, vcc_lo, s6
	s_delay_alu instid0(VALU_DEP_3) | instskip(SKIP_1) | instid1(VALU_DEP_3)
	v_mul_f32_e32 v68, v70, v68
	v_mul_f32_e32 v70, 0x3f317218, v26
	v_sub_f32_e32 v27, v27, v66
	s_delay_alu instid0(VALU_DEP_3) | instskip(NEXT) | instid1(VALU_DEP_2)
	v_add_f32_e32 v67, v69, v68
	v_ldexp_f32 v27, v27, 1
	s_delay_alu instid0(VALU_DEP_2) | instskip(SKIP_1) | instid1(VALU_DEP_2)
	v_sub_f32_e32 v66, v67, v69
	v_fma_f32 v69, 0x3f317218, v26, -v70
	v_sub_f32_e32 v66, v68, v66
	s_delay_alu instid0(VALU_DEP_1) | instskip(NEXT) | instid1(VALU_DEP_1)
	v_dual_fmamk_f32 v26, v26, 0xb102e308, v69 :: v_dual_add_f32 v27, v27, v66
	v_add_f32_e32 v66, v70, v26
	s_delay_alu instid0(VALU_DEP_2) | instskip(NEXT) | instid1(VALU_DEP_2)
	v_add_f32_e32 v68, v67, v27
	v_sub_f32_e32 v70, v66, v70
	s_delay_alu instid0(VALU_DEP_2) | instskip(NEXT) | instid1(VALU_DEP_2)
	v_add_f32_e32 v69, v66, v68
	v_dual_sub_f32 v67, v68, v67 :: v_dual_sub_f32 v26, v26, v70
	s_delay_alu instid0(VALU_DEP_2) | instskip(NEXT) | instid1(VALU_DEP_2)
	v_sub_f32_e32 v71, v69, v66
	v_sub_f32_e32 v27, v27, v67
	s_delay_alu instid0(VALU_DEP_2) | instskip(SKIP_1) | instid1(VALU_DEP_3)
	v_sub_f32_e32 v80, v69, v71
	v_sub_f32_e32 v67, v68, v71
	v_add_f32_e32 v68, v26, v27
	s_delay_alu instid0(VALU_DEP_3) | instskip(NEXT) | instid1(VALU_DEP_1)
	v_sub_f32_e32 v66, v66, v80
	v_add_f32_e32 v66, v67, v66
	s_delay_alu instid0(VALU_DEP_3) | instskip(NEXT) | instid1(VALU_DEP_2)
	v_sub_f32_e32 v67, v68, v26
	v_add_f32_e32 v66, v68, v66
	s_delay_alu instid0(VALU_DEP_2) | instskip(NEXT) | instid1(VALU_DEP_2)
	v_sub_f32_e32 v68, v68, v67
	v_dual_sub_f32 v27, v27, v67 :: v_dual_add_f32 v70, v69, v66
	s_delay_alu instid0(VALU_DEP_2) | instskip(NEXT) | instid1(VALU_DEP_1)
	v_sub_f32_e32 v26, v26, v68
	v_dual_sub_f32 v67, v70, v69 :: v_dual_add_f32 v26, v27, v26
	s_delay_alu instid0(VALU_DEP_1) | instskip(NEXT) | instid1(VALU_DEP_1)
	v_sub_f32_e32 v27, v66, v67
	v_add_f32_e32 v26, v26, v27
	s_delay_alu instid0(VALU_DEP_1) | instskip(NEXT) | instid1(VALU_DEP_1)
	v_add_f32_e32 v26, v70, v26
	v_cndmask_b32_e32 v26, v26, v29, vcc_lo
	s_delay_alu instid0(VALU_DEP_1) | instskip(NEXT) | instid1(VALU_DEP_1)
	v_add_f32_e32 v26, v28, v26
	v_cvt_f16_f32_e32 v26, v26
	s_delay_alu instid0(VALU_DEP_1)
	v_mov_b32_e32 v100, v26
	v_cvt_f32_f16_e32 v27, v26
.LBB362_57:
	s_or_b32 exec_lo, exec_lo, s5
	v_cvt_f32_f16_e32 v66, v52
	s_delay_alu instid0(VALU_DEP_2) | instskip(SKIP_2) | instid1(VALU_DEP_3)
	v_max_f32_e32 v28, v27, v27
	v_cmp_u_f16_e32 vcc_lo, v26, v26
	v_cmp_u_f16_e64 s5, v52, v52
	v_min_f32_e32 v29, v28, v66
	s_delay_alu instid0(VALU_DEP_1) | instskip(NEXT) | instid1(VALU_DEP_1)
	v_dual_max_f32 v28, v28, v66 :: v_dual_cndmask_b32 v29, v29, v27
	v_cndmask_b32_e32 v28, v28, v27, vcc_lo
	s_delay_alu instid0(VALU_DEP_2) | instskip(NEXT) | instid1(VALU_DEP_2)
	v_cndmask_b32_e64 v29, v29, v66, s5
	v_cndmask_b32_e64 v28, v28, v66, s5
	s_delay_alu instid0(VALU_DEP_2) | instskip(NEXT) | instid1(VALU_DEP_2)
	v_cmp_class_f32_e64 s6, v29, 0x1f8
	v_cmp_neq_f32_e32 vcc_lo, v29, v28
	s_delay_alu instid0(VALU_DEP_2) | instskip(NEXT) | instid1(SALU_CYCLE_1)
	s_or_b32 s7, vcc_lo, s6
	s_and_saveexec_b32 s6, s7
	s_cbranch_execz .LBB362_59
; %bb.58:
	v_sub_f32_e32 v26, v29, v28
	s_mov_b32 s7, 0x3e9b6dac
	s_delay_alu instid0(VALU_DEP_1) | instskip(NEXT) | instid1(VALU_DEP_1)
	v_mul_f32_e32 v27, 0x3fb8aa3b, v26
	v_fma_f32 v29, 0x3fb8aa3b, v26, -v27
	v_rndne_f32_e32 v67, v27
	s_delay_alu instid0(VALU_DEP_1) | instskip(NEXT) | instid1(VALU_DEP_3)
	v_sub_f32_e32 v27, v27, v67
	v_fmamk_f32 v29, v26, 0x32a5705f, v29
	v_cmp_ngt_f32_e32 vcc_lo, 0xc2ce8ed0, v26
	s_delay_alu instid0(VALU_DEP_2) | instskip(SKIP_1) | instid1(VALU_DEP_2)
	v_add_f32_e32 v27, v27, v29
	v_cvt_i32_f32_e32 v29, v67
	v_exp_f32_e32 v27, v27
	s_waitcnt_depctr 0xfff
	v_ldexp_f32 v27, v27, v29
	s_delay_alu instid0(VALU_DEP_1) | instskip(SKIP_1) | instid1(VALU_DEP_2)
	v_cndmask_b32_e32 v27, 0, v27, vcc_lo
	v_cmp_nlt_f32_e32 vcc_lo, 0x42b17218, v26
	v_cndmask_b32_e32 v29, 0x7f800000, v27, vcc_lo
	s_delay_alu instid0(VALU_DEP_1) | instskip(NEXT) | instid1(VALU_DEP_1)
	v_add_f32_e32 v67, 1.0, v29
	v_cvt_f64_f32_e32 v[26:27], v67
	s_delay_alu instid0(VALU_DEP_1) | instskip(SKIP_1) | instid1(VALU_DEP_1)
	v_frexp_exp_i32_f64_e32 v26, v[26:27]
	v_frexp_mant_f32_e32 v27, v67
	v_cmp_gt_f32_e32 vcc_lo, 0x3f2aaaab, v27
	v_add_f32_e32 v27, -1.0, v67
	s_delay_alu instid0(VALU_DEP_1) | instskip(SKIP_1) | instid1(VALU_DEP_2)
	v_sub_f32_e32 v69, v27, v67
	v_sub_f32_e32 v27, v29, v27
	v_add_f32_e32 v69, 1.0, v69
	s_delay_alu instid0(VALU_DEP_1) | instskip(SKIP_1) | instid1(VALU_DEP_1)
	v_add_f32_e32 v27, v27, v69
	v_subrev_co_ci_u32_e32 v26, vcc_lo, 0, v26, vcc_lo
	v_sub_nc_u32_e32 v68, 0, v26
	v_cvt_f32_i32_e32 v26, v26
	s_delay_alu instid0(VALU_DEP_2) | instskip(SKIP_1) | instid1(VALU_DEP_2)
	v_ldexp_f32 v67, v67, v68
	v_ldexp_f32 v27, v27, v68
	v_add_f32_e32 v70, 1.0, v67
	s_delay_alu instid0(VALU_DEP_1) | instskip(NEXT) | instid1(VALU_DEP_1)
	v_dual_add_f32 v68, -1.0, v67 :: v_dual_add_f32 v69, -1.0, v70
	v_add_f32_e32 v71, 1.0, v68
	s_delay_alu instid0(VALU_DEP_2) | instskip(NEXT) | instid1(VALU_DEP_2)
	v_sub_f32_e32 v69, v67, v69
	v_sub_f32_e32 v67, v67, v71
	s_delay_alu instid0(VALU_DEP_2) | instskip(NEXT) | instid1(VALU_DEP_2)
	v_add_f32_e32 v69, v27, v69
	v_add_f32_e32 v27, v27, v67
	s_delay_alu instid0(VALU_DEP_1) | instskip(NEXT) | instid1(VALU_DEP_1)
	v_dual_add_f32 v71, v70, v69 :: v_dual_add_f32 v80, v68, v27
	v_rcp_f32_e32 v67, v71
	v_sub_f32_e32 v70, v70, v71
	s_delay_alu instid0(VALU_DEP_1) | instskip(SKIP_3) | instid1(VALU_DEP_2)
	v_dual_sub_f32 v68, v68, v80 :: v_dual_add_f32 v69, v69, v70
	s_waitcnt_depctr 0xfff
	v_mul_f32_e32 v81, v80, v67
	v_add_f32_e32 v27, v27, v68
	v_mul_f32_e32 v82, v71, v81
	s_delay_alu instid0(VALU_DEP_1) | instskip(NEXT) | instid1(VALU_DEP_1)
	v_fma_f32 v70, v81, v71, -v82
	v_fmac_f32_e32 v70, v81, v69
	v_cmp_eq_f32_e32 vcc_lo, 0x7f800000, v29
	s_delay_alu instid0(VALU_DEP_2) | instskip(NEXT) | instid1(VALU_DEP_1)
	v_add_f32_e32 v83, v82, v70
	v_sub_f32_e32 v84, v80, v83
	v_sub_f32_e32 v68, v83, v82
	s_delay_alu instid0(VALU_DEP_2) | instskip(NEXT) | instid1(VALU_DEP_2)
	v_sub_f32_e32 v80, v80, v84
	v_sub_f32_e32 v68, v68, v70
	s_delay_alu instid0(VALU_DEP_2) | instskip(NEXT) | instid1(VALU_DEP_1)
	v_sub_f32_e32 v80, v80, v83
	v_add_f32_e32 v27, v27, v80
	s_delay_alu instid0(VALU_DEP_1) | instskip(NEXT) | instid1(VALU_DEP_1)
	v_add_f32_e32 v27, v68, v27
	v_add_f32_e32 v68, v84, v27
	s_delay_alu instid0(VALU_DEP_1) | instskip(NEXT) | instid1(VALU_DEP_1)
	v_mul_f32_e32 v70, v67, v68
	v_dual_sub_f32 v83, v84, v68 :: v_dual_mul_f32 v80, v71, v70
	s_delay_alu instid0(VALU_DEP_1) | instskip(NEXT) | instid1(VALU_DEP_2)
	v_add_f32_e32 v27, v27, v83
	v_fma_f32 v71, v70, v71, -v80
	s_delay_alu instid0(VALU_DEP_1) | instskip(NEXT) | instid1(VALU_DEP_1)
	v_fmac_f32_e32 v71, v70, v69
	v_add_f32_e32 v69, v80, v71
	s_delay_alu instid0(VALU_DEP_1) | instskip(SKIP_1) | instid1(VALU_DEP_2)
	v_sub_f32_e32 v82, v68, v69
	v_sub_f32_e32 v80, v69, v80
	;; [unrolled: 1-line block ×3, first 2 shown]
	s_delay_alu instid0(VALU_DEP_1) | instskip(NEXT) | instid1(VALU_DEP_3)
	v_sub_f32_e32 v68, v68, v69
	v_sub_f32_e32 v69, v80, v71
	s_delay_alu instid0(VALU_DEP_2) | instskip(NEXT) | instid1(VALU_DEP_1)
	v_dual_add_f32 v27, v27, v68 :: v_dual_add_f32 v68, v81, v70
	v_add_f32_e32 v27, v69, v27
	s_delay_alu instid0(VALU_DEP_2) | instskip(NEXT) | instid1(VALU_DEP_2)
	v_sub_f32_e32 v69, v68, v81
	v_add_f32_e32 v27, v82, v27
	s_delay_alu instid0(VALU_DEP_2) | instskip(NEXT) | instid1(VALU_DEP_2)
	v_sub_f32_e32 v69, v70, v69
	v_mul_f32_e32 v27, v67, v27
	s_delay_alu instid0(VALU_DEP_1) | instskip(NEXT) | instid1(VALU_DEP_1)
	v_add_f32_e32 v27, v69, v27
	v_add_f32_e32 v67, v68, v27
	s_delay_alu instid0(VALU_DEP_1) | instskip(NEXT) | instid1(VALU_DEP_1)
	v_mul_f32_e32 v69, v67, v67
	v_fmaak_f32 v70, s7, v69, 0x3ecc95a3
	v_mul_f32_e32 v71, v67, v69
	v_cmp_gt_f32_e64 s7, 0x33800000, |v29|
	s_delay_alu instid0(VALU_DEP_3) | instskip(SKIP_2) | instid1(VALU_DEP_4)
	v_fmaak_f32 v69, v69, v70, 0x3f2aaada
	v_ldexp_f32 v70, v67, 1
	v_sub_f32_e32 v67, v67, v68
	s_or_b32 vcc_lo, vcc_lo, s7
	s_delay_alu instid0(VALU_DEP_3) | instskip(SKIP_1) | instid1(VALU_DEP_2)
	v_mul_f32_e32 v69, v71, v69
	v_mul_f32_e32 v71, 0x3f317218, v26
	v_dual_sub_f32 v27, v27, v67 :: v_dual_add_f32 v68, v70, v69
	s_delay_alu instid0(VALU_DEP_1) | instskip(NEXT) | instid1(VALU_DEP_2)
	v_ldexp_f32 v27, v27, 1
	v_sub_f32_e32 v67, v68, v70
	s_delay_alu instid0(VALU_DEP_4) | instskip(NEXT) | instid1(VALU_DEP_1)
	v_fma_f32 v70, 0x3f317218, v26, -v71
	v_dual_sub_f32 v67, v69, v67 :: v_dual_fmamk_f32 v26, v26, 0xb102e308, v70
	s_delay_alu instid0(VALU_DEP_1) | instskip(NEXT) | instid1(VALU_DEP_2)
	v_add_f32_e32 v27, v27, v67
	v_add_f32_e32 v67, v71, v26
	s_delay_alu instid0(VALU_DEP_2) | instskip(NEXT) | instid1(VALU_DEP_2)
	v_add_f32_e32 v69, v68, v27
	v_sub_f32_e32 v71, v67, v71
	s_delay_alu instid0(VALU_DEP_2) | instskip(SKIP_1) | instid1(VALU_DEP_3)
	v_add_f32_e32 v70, v67, v69
	v_sub_f32_e32 v68, v69, v68
	v_sub_f32_e32 v26, v26, v71
	s_delay_alu instid0(VALU_DEP_2) | instskip(NEXT) | instid1(VALU_DEP_1)
	v_dual_sub_f32 v80, v70, v67 :: v_dual_sub_f32 v27, v27, v68
	v_sub_f32_e32 v81, v70, v80
	s_delay_alu instid0(VALU_DEP_2) | instskip(NEXT) | instid1(VALU_DEP_2)
	v_dual_sub_f32 v68, v69, v80 :: v_dual_add_f32 v69, v26, v27
	v_sub_f32_e32 v67, v67, v81
	s_delay_alu instid0(VALU_DEP_1) | instskip(NEXT) | instid1(VALU_DEP_1)
	v_dual_add_f32 v67, v68, v67 :: v_dual_sub_f32 v68, v69, v26
	v_add_f32_e32 v67, v69, v67
	s_delay_alu instid0(VALU_DEP_2) | instskip(SKIP_1) | instid1(VALU_DEP_3)
	v_sub_f32_e32 v69, v69, v68
	v_sub_f32_e32 v27, v27, v68
	v_add_f32_e32 v71, v70, v67
	s_delay_alu instid0(VALU_DEP_3) | instskip(NEXT) | instid1(VALU_DEP_2)
	v_sub_f32_e32 v26, v26, v69
	v_sub_f32_e32 v68, v71, v70
	s_delay_alu instid0(VALU_DEP_2) | instskip(NEXT) | instid1(VALU_DEP_2)
	v_add_f32_e32 v26, v27, v26
	v_sub_f32_e32 v27, v67, v68
	s_delay_alu instid0(VALU_DEP_1) | instskip(NEXT) | instid1(VALU_DEP_1)
	v_add_f32_e32 v26, v26, v27
	v_add_f32_e32 v26, v71, v26
	s_delay_alu instid0(VALU_DEP_1) | instskip(NEXT) | instid1(VALU_DEP_1)
	v_cndmask_b32_e32 v26, v26, v29, vcc_lo
	v_add_f32_e32 v26, v28, v26
	s_delay_alu instid0(VALU_DEP_1) | instskip(NEXT) | instid1(VALU_DEP_1)
	v_cvt_f16_f32_e32 v26, v26
	v_mov_b32_e32 v100, v26
	v_cvt_f32_f16_e32 v27, v26
.LBB362_59:
	s_or_b32 exec_lo, exec_lo, s6
	v_cvt_f32_f16_e32 v67, v25
	s_delay_alu instid0(VALU_DEP_2) | instskip(SKIP_2) | instid1(VALU_DEP_3)
	v_max_f32_e32 v28, v27, v27
	v_cmp_u_f16_e32 vcc_lo, v26, v26
	v_cmp_u_f16_e64 s6, v25, v25
	v_min_f32_e32 v29, v28, v67
	v_max_f32_e32 v28, v28, v67
	s_delay_alu instid0(VALU_DEP_2) | instskip(NEXT) | instid1(VALU_DEP_2)
	v_cndmask_b32_e32 v29, v29, v27, vcc_lo
	v_cndmask_b32_e32 v28, v28, v27, vcc_lo
	s_delay_alu instid0(VALU_DEP_2) | instskip(NEXT) | instid1(VALU_DEP_2)
	v_cndmask_b32_e64 v29, v29, v67, s6
	v_cndmask_b32_e64 v28, v28, v67, s6
	s_delay_alu instid0(VALU_DEP_2) | instskip(NEXT) | instid1(VALU_DEP_2)
	v_cmp_class_f32_e64 s7, v29, 0x1f8
	v_cmp_neq_f32_e32 vcc_lo, v29, v28
	s_delay_alu instid0(VALU_DEP_2) | instskip(NEXT) | instid1(SALU_CYCLE_1)
	s_or_b32 s8, vcc_lo, s7
	s_and_saveexec_b32 s7, s8
	s_cbranch_execz .LBB362_61
; %bb.60:
	v_sub_f32_e32 v26, v29, v28
	s_mov_b32 s8, 0x3e9b6dac
	s_delay_alu instid0(VALU_DEP_1) | instskip(NEXT) | instid1(VALU_DEP_1)
	v_mul_f32_e32 v27, 0x3fb8aa3b, v26
	v_fma_f32 v29, 0x3fb8aa3b, v26, -v27
	v_rndne_f32_e32 v68, v27
	s_delay_alu instid0(VALU_DEP_2) | instskip(NEXT) | instid1(VALU_DEP_2)
	v_fmamk_f32 v29, v26, 0x32a5705f, v29
	v_sub_f32_e32 v27, v27, v68
	s_delay_alu instid0(VALU_DEP_1) | instskip(SKIP_2) | instid1(VALU_DEP_3)
	v_add_f32_e32 v27, v27, v29
	v_cvt_i32_f32_e32 v29, v68
	v_cmp_ngt_f32_e32 vcc_lo, 0xc2ce8ed0, v26
	v_exp_f32_e32 v27, v27
	s_waitcnt_depctr 0xfff
	v_ldexp_f32 v27, v27, v29
	s_delay_alu instid0(VALU_DEP_1) | instskip(SKIP_1) | instid1(VALU_DEP_2)
	v_cndmask_b32_e32 v27, 0, v27, vcc_lo
	v_cmp_nlt_f32_e32 vcc_lo, 0x42b17218, v26
	v_cndmask_b32_e32 v29, 0x7f800000, v27, vcc_lo
	s_delay_alu instid0(VALU_DEP_1) | instskip(NEXT) | instid1(VALU_DEP_1)
	v_add_f32_e32 v68, 1.0, v29
	v_cvt_f64_f32_e32 v[26:27], v68
	s_delay_alu instid0(VALU_DEP_1) | instskip(SKIP_1) | instid1(VALU_DEP_1)
	v_frexp_exp_i32_f64_e32 v26, v[26:27]
	v_frexp_mant_f32_e32 v27, v68
	v_cmp_gt_f32_e32 vcc_lo, 0x3f2aaaab, v27
	v_add_f32_e32 v27, -1.0, v68
	s_delay_alu instid0(VALU_DEP_1) | instskip(NEXT) | instid1(VALU_DEP_1)
	v_sub_f32_e32 v70, v27, v68
	v_add_f32_e32 v70, 1.0, v70
	v_subrev_co_ci_u32_e32 v26, vcc_lo, 0, v26, vcc_lo
	s_delay_alu instid0(VALU_DEP_1) | instskip(SKIP_1) | instid1(VALU_DEP_2)
	v_sub_nc_u32_e32 v69, 0, v26
	v_cvt_f32_i32_e32 v26, v26
	v_ldexp_f32 v68, v68, v69
	v_sub_f32_e32 v27, v29, v27
	s_delay_alu instid0(VALU_DEP_1) | instskip(NEXT) | instid1(VALU_DEP_1)
	v_add_f32_e32 v27, v27, v70
	v_ldexp_f32 v27, v27, v69
	s_delay_alu instid0(VALU_DEP_4) | instskip(NEXT) | instid1(VALU_DEP_1)
	v_add_f32_e32 v71, 1.0, v68
	v_add_f32_e32 v70, -1.0, v71
	s_delay_alu instid0(VALU_DEP_1) | instskip(NEXT) | instid1(VALU_DEP_1)
	v_sub_f32_e32 v70, v68, v70
	v_dual_add_f32 v70, v27, v70 :: v_dual_add_f32 v69, -1.0, v68
	s_delay_alu instid0(VALU_DEP_1) | instskip(SKIP_1) | instid1(VALU_DEP_2)
	v_add_f32_e32 v80, 1.0, v69
	v_cmp_eq_f32_e32 vcc_lo, 0x7f800000, v29
	v_sub_f32_e32 v68, v68, v80
	s_delay_alu instid0(VALU_DEP_4) | instskip(NEXT) | instid1(VALU_DEP_1)
	v_add_f32_e32 v80, v71, v70
	v_sub_f32_e32 v71, v71, v80
	s_delay_alu instid0(VALU_DEP_3) | instskip(SKIP_1) | instid1(VALU_DEP_2)
	v_add_f32_e32 v27, v27, v68
	v_rcp_f32_e32 v68, v80
	v_add_f32_e32 v70, v70, v71
	s_delay_alu instid0(VALU_DEP_2) | instskip(NEXT) | instid1(VALU_DEP_1)
	v_add_f32_e32 v81, v69, v27
	v_sub_f32_e32 v69, v69, v81
	s_waitcnt_depctr 0xfff
	v_dual_mul_f32 v82, v81, v68 :: v_dual_add_f32 v27, v27, v69
	s_delay_alu instid0(VALU_DEP_1) | instskip(NEXT) | instid1(VALU_DEP_1)
	v_mul_f32_e32 v83, v80, v82
	v_fma_f32 v71, v82, v80, -v83
	s_delay_alu instid0(VALU_DEP_1) | instskip(NEXT) | instid1(VALU_DEP_1)
	v_fmac_f32_e32 v71, v82, v70
	v_add_f32_e32 v84, v83, v71
	s_delay_alu instid0(VALU_DEP_1) | instskip(SKIP_1) | instid1(VALU_DEP_2)
	v_sub_f32_e32 v85, v81, v84
	v_sub_f32_e32 v69, v84, v83
	;; [unrolled: 1-line block ×3, first 2 shown]
	s_delay_alu instid0(VALU_DEP_2) | instskip(NEXT) | instid1(VALU_DEP_2)
	v_sub_f32_e32 v69, v69, v71
	v_sub_f32_e32 v81, v81, v84
	s_delay_alu instid0(VALU_DEP_1) | instskip(NEXT) | instid1(VALU_DEP_1)
	v_add_f32_e32 v27, v27, v81
	v_add_f32_e32 v27, v69, v27
	s_delay_alu instid0(VALU_DEP_1) | instskip(NEXT) | instid1(VALU_DEP_1)
	v_add_f32_e32 v69, v85, v27
	v_mul_f32_e32 v71, v68, v69
	s_delay_alu instid0(VALU_DEP_1) | instskip(NEXT) | instid1(VALU_DEP_1)
	v_dual_sub_f32 v84, v85, v69 :: v_dual_mul_f32 v81, v80, v71
	v_add_f32_e32 v27, v27, v84
	s_delay_alu instid0(VALU_DEP_2) | instskip(NEXT) | instid1(VALU_DEP_1)
	v_fma_f32 v80, v71, v80, -v81
	v_fmac_f32_e32 v80, v71, v70
	s_delay_alu instid0(VALU_DEP_1) | instskip(NEXT) | instid1(VALU_DEP_1)
	v_add_f32_e32 v70, v81, v80
	v_sub_f32_e32 v83, v69, v70
	v_sub_f32_e32 v81, v70, v81
	s_delay_alu instid0(VALU_DEP_2) | instskip(NEXT) | instid1(VALU_DEP_1)
	v_sub_f32_e32 v69, v69, v83
	v_sub_f32_e32 v69, v69, v70
	s_delay_alu instid0(VALU_DEP_1) | instskip(SKIP_1) | instid1(VALU_DEP_1)
	v_dual_sub_f32 v70, v81, v80 :: v_dual_add_f32 v27, v27, v69
	v_add_f32_e32 v69, v82, v71
	v_dual_add_f32 v27, v70, v27 :: v_dual_sub_f32 v70, v69, v82
	s_delay_alu instid0(VALU_DEP_1) | instskip(NEXT) | instid1(VALU_DEP_1)
	v_add_f32_e32 v27, v83, v27
	v_dual_sub_f32 v70, v71, v70 :: v_dual_mul_f32 v27, v68, v27
	s_delay_alu instid0(VALU_DEP_1) | instskip(NEXT) | instid1(VALU_DEP_1)
	v_add_f32_e32 v27, v70, v27
	v_add_f32_e32 v68, v69, v27
	s_delay_alu instid0(VALU_DEP_1) | instskip(NEXT) | instid1(VALU_DEP_1)
	v_mul_f32_e32 v70, v68, v68
	v_fmaak_f32 v71, s8, v70, 0x3ecc95a3
	v_mul_f32_e32 v80, v68, v70
	v_cmp_gt_f32_e64 s8, 0x33800000, |v29|
	s_delay_alu instid0(VALU_DEP_3) | instskip(SKIP_2) | instid1(VALU_DEP_4)
	v_fmaak_f32 v70, v70, v71, 0x3f2aaada
	v_ldexp_f32 v71, v68, 1
	v_sub_f32_e32 v68, v68, v69
	s_or_b32 vcc_lo, vcc_lo, s8
	s_delay_alu instid0(VALU_DEP_3) | instskip(NEXT) | instid1(VALU_DEP_2)
	v_mul_f32_e32 v70, v80, v70
	v_dual_mul_f32 v80, 0x3f317218, v26 :: v_dual_sub_f32 v27, v27, v68
	s_delay_alu instid0(VALU_DEP_2) | instskip(NEXT) | instid1(VALU_DEP_2)
	v_add_f32_e32 v69, v71, v70
	v_ldexp_f32 v27, v27, 1
	s_delay_alu instid0(VALU_DEP_2) | instskip(NEXT) | instid1(VALU_DEP_4)
	v_sub_f32_e32 v68, v69, v71
	v_fma_f32 v71, 0x3f317218, v26, -v80
	s_delay_alu instid0(VALU_DEP_2) | instskip(NEXT) | instid1(VALU_DEP_1)
	v_sub_f32_e32 v68, v70, v68
	v_dual_fmamk_f32 v26, v26, 0xb102e308, v71 :: v_dual_add_f32 v27, v27, v68
	s_delay_alu instid0(VALU_DEP_1) | instskip(NEXT) | instid1(VALU_DEP_2)
	v_add_f32_e32 v68, v80, v26
	v_add_f32_e32 v70, v69, v27
	s_delay_alu instid0(VALU_DEP_2) | instskip(NEXT) | instid1(VALU_DEP_2)
	v_sub_f32_e32 v80, v68, v80
	v_add_f32_e32 v71, v68, v70
	v_sub_f32_e32 v69, v70, v69
	s_delay_alu instid0(VALU_DEP_3) | instskip(NEXT) | instid1(VALU_DEP_3)
	v_sub_f32_e32 v26, v26, v80
	v_sub_f32_e32 v81, v71, v68
	s_delay_alu instid0(VALU_DEP_3) | instskip(NEXT) | instid1(VALU_DEP_2)
	v_sub_f32_e32 v27, v27, v69
	v_sub_f32_e32 v82, v71, v81
	;; [unrolled: 1-line block ×3, first 2 shown]
	s_delay_alu instid0(VALU_DEP_3) | instskip(NEXT) | instid1(VALU_DEP_3)
	v_add_f32_e32 v70, v26, v27
	v_sub_f32_e32 v68, v68, v82
	s_delay_alu instid0(VALU_DEP_1) | instskip(NEXT) | instid1(VALU_DEP_1)
	v_dual_add_f32 v68, v69, v68 :: v_dual_sub_f32 v69, v70, v26
	v_add_f32_e32 v68, v70, v68
	s_delay_alu instid0(VALU_DEP_2) | instskip(SKIP_1) | instid1(VALU_DEP_3)
	v_sub_f32_e32 v70, v70, v69
	v_sub_f32_e32 v27, v27, v69
	v_add_f32_e32 v80, v71, v68
	s_delay_alu instid0(VALU_DEP_1) | instskip(NEXT) | instid1(VALU_DEP_1)
	v_dual_sub_f32 v26, v26, v70 :: v_dual_sub_f32 v69, v80, v71
	v_dual_add_f32 v26, v27, v26 :: v_dual_sub_f32 v27, v68, v69
	s_delay_alu instid0(VALU_DEP_1) | instskip(NEXT) | instid1(VALU_DEP_1)
	v_add_f32_e32 v26, v26, v27
	v_add_f32_e32 v26, v80, v26
	s_delay_alu instid0(VALU_DEP_1) | instskip(NEXT) | instid1(VALU_DEP_1)
	v_cndmask_b32_e32 v26, v26, v29, vcc_lo
	v_add_f32_e32 v26, v28, v26
	s_delay_alu instid0(VALU_DEP_1) | instskip(NEXT) | instid1(VALU_DEP_1)
	v_cvt_f16_f32_e32 v26, v26
	v_mov_b32_e32 v100, v26
	v_cvt_f32_f16_e32 v27, v26
.LBB362_61:
	s_or_b32 exec_lo, exec_lo, s7
	v_cvt_f32_f16_e32 v68, v51
	s_delay_alu instid0(VALU_DEP_2) | instskip(SKIP_2) | instid1(VALU_DEP_3)
	v_max_f32_e32 v28, v27, v27
	v_cmp_u_f16_e32 vcc_lo, v26, v26
	v_cmp_u_f16_e64 s7, v51, v51
	v_min_f32_e32 v29, v28, v68
	s_delay_alu instid0(VALU_DEP_1) | instskip(NEXT) | instid1(VALU_DEP_1)
	v_dual_max_f32 v28, v28, v68 :: v_dual_cndmask_b32 v29, v29, v27
	v_cndmask_b32_e32 v28, v28, v27, vcc_lo
	s_delay_alu instid0(VALU_DEP_2) | instskip(NEXT) | instid1(VALU_DEP_2)
	v_cndmask_b32_e64 v29, v29, v68, s7
	v_cndmask_b32_e64 v28, v28, v68, s7
	s_delay_alu instid0(VALU_DEP_2) | instskip(NEXT) | instid1(VALU_DEP_2)
	v_cmp_class_f32_e64 s8, v29, 0x1f8
	v_cmp_neq_f32_e32 vcc_lo, v29, v28
	s_delay_alu instid0(VALU_DEP_2) | instskip(NEXT) | instid1(SALU_CYCLE_1)
	s_or_b32 s9, vcc_lo, s8
	s_and_saveexec_b32 s8, s9
	s_cbranch_execz .LBB362_63
; %bb.62:
	v_sub_f32_e32 v26, v29, v28
	s_mov_b32 s9, 0x3e9b6dac
	s_delay_alu instid0(VALU_DEP_1) | instskip(NEXT) | instid1(VALU_DEP_1)
	v_mul_f32_e32 v27, 0x3fb8aa3b, v26
	v_fma_f32 v29, 0x3fb8aa3b, v26, -v27
	v_rndne_f32_e32 v69, v27
	s_delay_alu instid0(VALU_DEP_1) | instskip(NEXT) | instid1(VALU_DEP_3)
	v_sub_f32_e32 v27, v27, v69
	v_fmamk_f32 v29, v26, 0x32a5705f, v29
	v_cmp_ngt_f32_e32 vcc_lo, 0xc2ce8ed0, v26
	s_delay_alu instid0(VALU_DEP_2) | instskip(SKIP_1) | instid1(VALU_DEP_2)
	v_add_f32_e32 v27, v27, v29
	v_cvt_i32_f32_e32 v29, v69
	v_exp_f32_e32 v27, v27
	s_waitcnt_depctr 0xfff
	v_ldexp_f32 v27, v27, v29
	s_delay_alu instid0(VALU_DEP_1) | instskip(SKIP_1) | instid1(VALU_DEP_2)
	v_cndmask_b32_e32 v27, 0, v27, vcc_lo
	v_cmp_nlt_f32_e32 vcc_lo, 0x42b17218, v26
	v_cndmask_b32_e32 v29, 0x7f800000, v27, vcc_lo
	s_delay_alu instid0(VALU_DEP_1) | instskip(NEXT) | instid1(VALU_DEP_1)
	v_add_f32_e32 v69, 1.0, v29
	v_cvt_f64_f32_e32 v[26:27], v69
	s_delay_alu instid0(VALU_DEP_1) | instskip(SKIP_1) | instid1(VALU_DEP_1)
	v_frexp_exp_i32_f64_e32 v26, v[26:27]
	v_frexp_mant_f32_e32 v27, v69
	v_cmp_gt_f32_e32 vcc_lo, 0x3f2aaaab, v27
	v_add_f32_e32 v27, -1.0, v69
	s_delay_alu instid0(VALU_DEP_1) | instskip(SKIP_1) | instid1(VALU_DEP_2)
	v_sub_f32_e32 v71, v27, v69
	v_sub_f32_e32 v27, v29, v27
	v_add_f32_e32 v71, 1.0, v71
	s_delay_alu instid0(VALU_DEP_1) | instskip(SKIP_1) | instid1(VALU_DEP_1)
	v_add_f32_e32 v27, v27, v71
	v_subrev_co_ci_u32_e32 v26, vcc_lo, 0, v26, vcc_lo
	v_sub_nc_u32_e32 v70, 0, v26
	v_cvt_f32_i32_e32 v26, v26
	s_delay_alu instid0(VALU_DEP_2) | instskip(SKIP_1) | instid1(VALU_DEP_2)
	v_ldexp_f32 v69, v69, v70
	v_ldexp_f32 v27, v27, v70
	v_add_f32_e32 v80, 1.0, v69
	s_delay_alu instid0(VALU_DEP_1) | instskip(NEXT) | instid1(VALU_DEP_1)
	v_dual_add_f32 v70, -1.0, v69 :: v_dual_add_f32 v71, -1.0, v80
	v_add_f32_e32 v81, 1.0, v70
	s_delay_alu instid0(VALU_DEP_2) | instskip(NEXT) | instid1(VALU_DEP_2)
	v_sub_f32_e32 v71, v69, v71
	v_sub_f32_e32 v69, v69, v81
	s_delay_alu instid0(VALU_DEP_2) | instskip(NEXT) | instid1(VALU_DEP_1)
	v_add_f32_e32 v71, v27, v71
	v_add_f32_e32 v81, v80, v71
	s_delay_alu instid0(VALU_DEP_3) | instskip(NEXT) | instid1(VALU_DEP_2)
	v_add_f32_e32 v27, v27, v69
	v_rcp_f32_e32 v69, v81
	s_delay_alu instid0(VALU_DEP_1) | instskip(SKIP_1) | instid1(VALU_DEP_1)
	v_add_f32_e32 v82, v70, v27
	v_sub_f32_e32 v80, v80, v81
	v_dual_sub_f32 v70, v70, v82 :: v_dual_add_f32 v71, v71, v80
	s_waitcnt_depctr 0xfff
	v_mul_f32_e32 v83, v82, v69
	s_delay_alu instid0(VALU_DEP_1) | instskip(NEXT) | instid1(VALU_DEP_1)
	v_dual_add_f32 v27, v27, v70 :: v_dual_mul_f32 v84, v81, v83
	v_fma_f32 v80, v83, v81, -v84
	s_delay_alu instid0(VALU_DEP_1) | instskip(NEXT) | instid1(VALU_DEP_1)
	v_fmac_f32_e32 v80, v83, v71
	v_add_f32_e32 v85, v84, v80
	s_delay_alu instid0(VALU_DEP_1) | instskip(SKIP_2) | instid1(VALU_DEP_3)
	v_sub_f32_e32 v86, v82, v85
	v_sub_f32_e32 v70, v85, v84
	v_cmp_eq_f32_e32 vcc_lo, 0x7f800000, v29
	v_sub_f32_e32 v82, v82, v86
	s_delay_alu instid0(VALU_DEP_3) | instskip(NEXT) | instid1(VALU_DEP_2)
	v_sub_f32_e32 v70, v70, v80
	v_sub_f32_e32 v82, v82, v85
	s_delay_alu instid0(VALU_DEP_1) | instskip(NEXT) | instid1(VALU_DEP_1)
	v_add_f32_e32 v27, v27, v82
	v_add_f32_e32 v27, v70, v27
	s_delay_alu instid0(VALU_DEP_1) | instskip(NEXT) | instid1(VALU_DEP_1)
	v_add_f32_e32 v70, v86, v27
	v_mul_f32_e32 v80, v69, v70
	s_delay_alu instid0(VALU_DEP_1) | instskip(NEXT) | instid1(VALU_DEP_1)
	v_dual_sub_f32 v85, v86, v70 :: v_dual_mul_f32 v82, v81, v80
	v_add_f32_e32 v27, v27, v85
	s_delay_alu instid0(VALU_DEP_2) | instskip(NEXT) | instid1(VALU_DEP_1)
	v_fma_f32 v81, v80, v81, -v82
	v_fmac_f32_e32 v81, v80, v71
	s_delay_alu instid0(VALU_DEP_1) | instskip(NEXT) | instid1(VALU_DEP_1)
	v_add_f32_e32 v71, v82, v81
	v_sub_f32_e32 v84, v70, v71
	v_sub_f32_e32 v82, v71, v82
	s_delay_alu instid0(VALU_DEP_2) | instskip(NEXT) | instid1(VALU_DEP_1)
	v_sub_f32_e32 v70, v70, v84
	v_sub_f32_e32 v70, v70, v71
	s_delay_alu instid0(VALU_DEP_3) | instskip(NEXT) | instid1(VALU_DEP_2)
	v_sub_f32_e32 v71, v82, v81
	v_add_f32_e32 v27, v27, v70
	v_add_f32_e32 v70, v83, v80
	s_delay_alu instid0(VALU_DEP_2) | instskip(NEXT) | instid1(VALU_DEP_2)
	v_add_f32_e32 v27, v71, v27
	v_sub_f32_e32 v71, v70, v83
	s_delay_alu instid0(VALU_DEP_2) | instskip(NEXT) | instid1(VALU_DEP_2)
	v_add_f32_e32 v27, v84, v27
	v_sub_f32_e32 v71, v80, v71
	s_delay_alu instid0(VALU_DEP_2) | instskip(NEXT) | instid1(VALU_DEP_1)
	v_mul_f32_e32 v27, v69, v27
	v_add_f32_e32 v27, v71, v27
	s_delay_alu instid0(VALU_DEP_1) | instskip(NEXT) | instid1(VALU_DEP_1)
	v_add_f32_e32 v69, v70, v27
	v_mul_f32_e32 v71, v69, v69
	s_delay_alu instid0(VALU_DEP_1) | instskip(SKIP_2) | instid1(VALU_DEP_3)
	v_fmaak_f32 v80, s9, v71, 0x3ecc95a3
	v_mul_f32_e32 v81, v69, v71
	v_cmp_gt_f32_e64 s9, 0x33800000, |v29|
	v_fmaak_f32 v71, v71, v80, 0x3f2aaada
	v_ldexp_f32 v80, v69, 1
	v_sub_f32_e32 v69, v69, v70
	s_delay_alu instid0(VALU_DEP_4) | instskip(NEXT) | instid1(VALU_DEP_3)
	s_or_b32 vcc_lo, vcc_lo, s9
	v_mul_f32_e32 v71, v81, v71
	v_mul_f32_e32 v81, 0x3f317218, v26
	s_delay_alu instid0(VALU_DEP_2) | instskip(NEXT) | instid1(VALU_DEP_1)
	v_dual_sub_f32 v27, v27, v69 :: v_dual_add_f32 v70, v80, v71
	v_ldexp_f32 v27, v27, 1
	s_delay_alu instid0(VALU_DEP_2) | instskip(NEXT) | instid1(VALU_DEP_4)
	v_sub_f32_e32 v69, v70, v80
	v_fma_f32 v80, 0x3f317218, v26, -v81
	s_delay_alu instid0(VALU_DEP_1) | instskip(NEXT) | instid1(VALU_DEP_1)
	v_dual_sub_f32 v69, v71, v69 :: v_dual_fmamk_f32 v26, v26, 0xb102e308, v80
	v_add_f32_e32 v27, v27, v69
	s_delay_alu instid0(VALU_DEP_2) | instskip(NEXT) | instid1(VALU_DEP_2)
	v_add_f32_e32 v69, v81, v26
	v_add_f32_e32 v71, v70, v27
	s_delay_alu instid0(VALU_DEP_2) | instskip(NEXT) | instid1(VALU_DEP_2)
	v_sub_f32_e32 v81, v69, v81
	v_add_f32_e32 v80, v69, v71
	v_sub_f32_e32 v70, v71, v70
	s_delay_alu instid0(VALU_DEP_3) | instskip(NEXT) | instid1(VALU_DEP_2)
	v_sub_f32_e32 v26, v26, v81
	v_dual_sub_f32 v82, v80, v69 :: v_dual_sub_f32 v27, v27, v70
	s_delay_alu instid0(VALU_DEP_1) | instskip(NEXT) | instid1(VALU_DEP_2)
	v_sub_f32_e32 v83, v80, v82
	v_dual_sub_f32 v70, v71, v82 :: v_dual_add_f32 v71, v26, v27
	s_delay_alu instid0(VALU_DEP_2) | instskip(NEXT) | instid1(VALU_DEP_1)
	v_sub_f32_e32 v69, v69, v83
	v_dual_add_f32 v69, v70, v69 :: v_dual_sub_f32 v70, v71, v26
	s_delay_alu instid0(VALU_DEP_1) | instskip(NEXT) | instid1(VALU_DEP_2)
	v_add_f32_e32 v69, v71, v69
	v_sub_f32_e32 v71, v71, v70
	v_sub_f32_e32 v27, v27, v70
	s_delay_alu instid0(VALU_DEP_2) | instskip(NEXT) | instid1(VALU_DEP_1)
	v_dual_add_f32 v81, v80, v69 :: v_dual_sub_f32 v26, v26, v71
	v_sub_f32_e32 v70, v81, v80
	s_delay_alu instid0(VALU_DEP_2) | instskip(NEXT) | instid1(VALU_DEP_2)
	v_add_f32_e32 v26, v27, v26
	v_sub_f32_e32 v27, v69, v70
	s_delay_alu instid0(VALU_DEP_1) | instskip(NEXT) | instid1(VALU_DEP_1)
	v_add_f32_e32 v26, v26, v27
	v_add_f32_e32 v26, v81, v26
	s_delay_alu instid0(VALU_DEP_1) | instskip(NEXT) | instid1(VALU_DEP_1)
	v_cndmask_b32_e32 v26, v26, v29, vcc_lo
	v_add_f32_e32 v26, v28, v26
	s_delay_alu instid0(VALU_DEP_1) | instskip(NEXT) | instid1(VALU_DEP_1)
	v_cvt_f16_f32_e32 v26, v26
	v_cvt_f32_f16_e32 v27, v26
	v_mov_b32_e32 v100, v26
.LBB362_63:
	s_or_b32 exec_lo, exec_lo, s8
	v_cvt_f32_f16_e32 v69, v22
	s_delay_alu instid0(VALU_DEP_3) | instskip(SKIP_2) | instid1(VALU_DEP_3)
	v_max_f32_e32 v28, v27, v27
	v_cmp_u_f16_e32 vcc_lo, v26, v26
	v_cmp_u_f16_e64 s8, v22, v22
	v_min_f32_e32 v29, v28, v69
	s_delay_alu instid0(VALU_DEP_1) | instskip(NEXT) | instid1(VALU_DEP_1)
	v_dual_max_f32 v28, v28, v69 :: v_dual_cndmask_b32 v29, v29, v27
	v_cndmask_b32_e32 v28, v28, v27, vcc_lo
	s_delay_alu instid0(VALU_DEP_2) | instskip(NEXT) | instid1(VALU_DEP_2)
	v_cndmask_b32_e64 v29, v29, v69, s8
	v_cndmask_b32_e64 v28, v28, v69, s8
	s_delay_alu instid0(VALU_DEP_2) | instskip(NEXT) | instid1(VALU_DEP_2)
	v_cmp_class_f32_e64 s9, v29, 0x1f8
	v_cmp_neq_f32_e32 vcc_lo, v29, v28
	s_delay_alu instid0(VALU_DEP_2) | instskip(NEXT) | instid1(SALU_CYCLE_1)
	s_or_b32 s10, vcc_lo, s9
	s_and_saveexec_b32 s9, s10
	s_cbranch_execz .LBB362_65
; %bb.64:
	v_sub_f32_e32 v26, v29, v28
	s_mov_b32 s10, 0x3e9b6dac
	s_delay_alu instid0(VALU_DEP_1) | instskip(NEXT) | instid1(VALU_DEP_1)
	v_mul_f32_e32 v27, 0x3fb8aa3b, v26
	v_fma_f32 v29, 0x3fb8aa3b, v26, -v27
	v_rndne_f32_e32 v70, v27
	s_delay_alu instid0(VALU_DEP_1) | instskip(NEXT) | instid1(VALU_DEP_3)
	v_sub_f32_e32 v27, v27, v70
	v_fmamk_f32 v29, v26, 0x32a5705f, v29
	v_cmp_ngt_f32_e32 vcc_lo, 0xc2ce8ed0, v26
	s_delay_alu instid0(VALU_DEP_2) | instskip(SKIP_1) | instid1(VALU_DEP_2)
	v_add_f32_e32 v27, v27, v29
	v_cvt_i32_f32_e32 v29, v70
	v_exp_f32_e32 v27, v27
	s_waitcnt_depctr 0xfff
	v_ldexp_f32 v27, v27, v29
	s_delay_alu instid0(VALU_DEP_1) | instskip(SKIP_1) | instid1(VALU_DEP_2)
	v_cndmask_b32_e32 v27, 0, v27, vcc_lo
	v_cmp_nlt_f32_e32 vcc_lo, 0x42b17218, v26
	v_cndmask_b32_e32 v29, 0x7f800000, v27, vcc_lo
	s_delay_alu instid0(VALU_DEP_1) | instskip(NEXT) | instid1(VALU_DEP_1)
	v_add_f32_e32 v70, 1.0, v29
	v_cvt_f64_f32_e32 v[26:27], v70
	s_delay_alu instid0(VALU_DEP_1) | instskip(SKIP_1) | instid1(VALU_DEP_1)
	v_frexp_exp_i32_f64_e32 v26, v[26:27]
	v_frexp_mant_f32_e32 v27, v70
	v_cmp_gt_f32_e32 vcc_lo, 0x3f2aaaab, v27
	v_add_f32_e32 v27, -1.0, v70
	s_delay_alu instid0(VALU_DEP_1) | instskip(NEXT) | instid1(VALU_DEP_1)
	v_sub_f32_e32 v80, v27, v70
	v_add_f32_e32 v80, 1.0, v80
	v_subrev_co_ci_u32_e32 v26, vcc_lo, 0, v26, vcc_lo
	s_delay_alu instid0(VALU_DEP_1) | instskip(SKIP_1) | instid1(VALU_DEP_2)
	v_sub_nc_u32_e32 v71, 0, v26
	v_cvt_f32_i32_e32 v26, v26
	v_ldexp_f32 v70, v70, v71
	v_sub_f32_e32 v27, v29, v27
	s_delay_alu instid0(VALU_DEP_1) | instskip(NEXT) | instid1(VALU_DEP_1)
	v_add_f32_e32 v27, v27, v80
	v_ldexp_f32 v27, v27, v71
	s_delay_alu instid0(VALU_DEP_4) | instskip(NEXT) | instid1(VALU_DEP_1)
	v_add_f32_e32 v81, 1.0, v70
	v_add_f32_e32 v80, -1.0, v81
	s_delay_alu instid0(VALU_DEP_1) | instskip(SKIP_1) | instid1(VALU_DEP_2)
	v_sub_f32_e32 v80, v70, v80
	v_cmp_eq_f32_e32 vcc_lo, 0x7f800000, v29
	v_dual_add_f32 v80, v27, v80 :: v_dual_add_f32 v71, -1.0, v70
	s_delay_alu instid0(VALU_DEP_1) | instskip(NEXT) | instid1(VALU_DEP_1)
	v_add_f32_e32 v82, 1.0, v71
	v_sub_f32_e32 v70, v70, v82
	s_delay_alu instid0(VALU_DEP_1) | instskip(NEXT) | instid1(VALU_DEP_1)
	v_dual_add_f32 v82, v81, v80 :: v_dual_add_f32 v27, v27, v70
	v_rcp_f32_e32 v70, v82
	v_sub_f32_e32 v81, v81, v82
	s_delay_alu instid0(VALU_DEP_1) | instskip(SKIP_3) | instid1(VALU_DEP_2)
	v_dual_add_f32 v80, v80, v81 :: v_dual_add_f32 v83, v71, v27
	s_waitcnt_depctr 0xfff
	v_mul_f32_e32 v84, v83, v70
	v_sub_f32_e32 v71, v71, v83
	v_mul_f32_e32 v85, v82, v84
	s_delay_alu instid0(VALU_DEP_1) | instskip(NEXT) | instid1(VALU_DEP_1)
	v_fma_f32 v81, v84, v82, -v85
	v_fmac_f32_e32 v81, v84, v80
	s_delay_alu instid0(VALU_DEP_1) | instskip(NEXT) | instid1(VALU_DEP_1)
	v_dual_add_f32 v86, v85, v81 :: v_dual_add_f32 v27, v27, v71
	v_sub_f32_e32 v87, v83, v86
	v_sub_f32_e32 v71, v86, v85
	s_delay_alu instid0(VALU_DEP_2) | instskip(NEXT) | instid1(VALU_DEP_2)
	v_sub_f32_e32 v83, v83, v87
	v_sub_f32_e32 v71, v71, v81
	s_delay_alu instid0(VALU_DEP_2) | instskip(NEXT) | instid1(VALU_DEP_1)
	v_sub_f32_e32 v83, v83, v86
	v_add_f32_e32 v27, v27, v83
	s_delay_alu instid0(VALU_DEP_1) | instskip(NEXT) | instid1(VALU_DEP_1)
	v_add_f32_e32 v27, v71, v27
	v_add_f32_e32 v71, v87, v27
	s_delay_alu instid0(VALU_DEP_1) | instskip(NEXT) | instid1(VALU_DEP_1)
	v_mul_f32_e32 v81, v70, v71
	v_dual_sub_f32 v86, v87, v71 :: v_dual_mul_f32 v83, v82, v81
	s_delay_alu instid0(VALU_DEP_1) | instskip(NEXT) | instid1(VALU_DEP_2)
	v_add_f32_e32 v27, v27, v86
	v_fma_f32 v82, v81, v82, -v83
	s_delay_alu instid0(VALU_DEP_1) | instskip(NEXT) | instid1(VALU_DEP_1)
	v_fmac_f32_e32 v82, v81, v80
	v_add_f32_e32 v80, v83, v82
	s_delay_alu instid0(VALU_DEP_1) | instskip(SKIP_1) | instid1(VALU_DEP_2)
	v_sub_f32_e32 v85, v71, v80
	v_sub_f32_e32 v83, v80, v83
	;; [unrolled: 1-line block ×3, first 2 shown]
	s_delay_alu instid0(VALU_DEP_1) | instskip(NEXT) | instid1(VALU_DEP_3)
	v_sub_f32_e32 v71, v71, v80
	v_sub_f32_e32 v80, v83, v82
	s_delay_alu instid0(VALU_DEP_2) | instskip(SKIP_1) | instid1(VALU_DEP_1)
	v_add_f32_e32 v27, v27, v71
	v_add_f32_e32 v71, v84, v81
	v_dual_add_f32 v27, v80, v27 :: v_dual_sub_f32 v80, v71, v84
	s_delay_alu instid0(VALU_DEP_1) | instskip(NEXT) | instid1(VALU_DEP_1)
	v_add_f32_e32 v27, v85, v27
	v_dual_sub_f32 v80, v81, v80 :: v_dual_mul_f32 v27, v70, v27
	s_delay_alu instid0(VALU_DEP_1) | instskip(NEXT) | instid1(VALU_DEP_1)
	v_add_f32_e32 v27, v80, v27
	v_add_f32_e32 v70, v71, v27
	s_delay_alu instid0(VALU_DEP_1) | instskip(NEXT) | instid1(VALU_DEP_1)
	v_mul_f32_e32 v80, v70, v70
	v_fmaak_f32 v81, s10, v80, 0x3ecc95a3
	v_mul_f32_e32 v82, v70, v80
	v_cmp_gt_f32_e64 s10, 0x33800000, |v29|
	s_delay_alu instid0(VALU_DEP_3) | instskip(SKIP_2) | instid1(VALU_DEP_4)
	v_fmaak_f32 v80, v80, v81, 0x3f2aaada
	v_ldexp_f32 v81, v70, 1
	v_sub_f32_e32 v70, v70, v71
	s_or_b32 vcc_lo, vcc_lo, s10
	s_delay_alu instid0(VALU_DEP_3) | instskip(SKIP_1) | instid1(VALU_DEP_3)
	v_mul_f32_e32 v80, v82, v80
	v_mul_f32_e32 v82, 0x3f317218, v26
	v_sub_f32_e32 v27, v27, v70
	s_delay_alu instid0(VALU_DEP_3) | instskip(NEXT) | instid1(VALU_DEP_2)
	v_add_f32_e32 v71, v81, v80
	v_ldexp_f32 v27, v27, 1
	s_delay_alu instid0(VALU_DEP_2) | instskip(SKIP_1) | instid1(VALU_DEP_2)
	v_sub_f32_e32 v70, v71, v81
	v_fma_f32 v81, 0x3f317218, v26, -v82
	v_sub_f32_e32 v70, v80, v70
	s_delay_alu instid0(VALU_DEP_1) | instskip(NEXT) | instid1(VALU_DEP_1)
	v_dual_fmamk_f32 v26, v26, 0xb102e308, v81 :: v_dual_add_f32 v27, v27, v70
	v_add_f32_e32 v70, v82, v26
	s_delay_alu instid0(VALU_DEP_2) | instskip(NEXT) | instid1(VALU_DEP_2)
	v_add_f32_e32 v80, v71, v27
	v_sub_f32_e32 v82, v70, v82
	s_delay_alu instid0(VALU_DEP_2) | instskip(NEXT) | instid1(VALU_DEP_2)
	v_add_f32_e32 v81, v70, v80
	v_dual_sub_f32 v71, v80, v71 :: v_dual_sub_f32 v26, v26, v82
	s_delay_alu instid0(VALU_DEP_2) | instskip(NEXT) | instid1(VALU_DEP_2)
	v_sub_f32_e32 v83, v81, v70
	v_sub_f32_e32 v27, v27, v71
	s_delay_alu instid0(VALU_DEP_2) | instskip(SKIP_1) | instid1(VALU_DEP_3)
	v_sub_f32_e32 v84, v81, v83
	v_sub_f32_e32 v71, v80, v83
	v_add_f32_e32 v80, v26, v27
	s_delay_alu instid0(VALU_DEP_3) | instskip(NEXT) | instid1(VALU_DEP_1)
	v_sub_f32_e32 v70, v70, v84
	v_add_f32_e32 v70, v71, v70
	s_delay_alu instid0(VALU_DEP_3) | instskip(NEXT) | instid1(VALU_DEP_2)
	v_sub_f32_e32 v71, v80, v26
	v_add_f32_e32 v70, v80, v70
	s_delay_alu instid0(VALU_DEP_2) | instskip(NEXT) | instid1(VALU_DEP_2)
	v_sub_f32_e32 v80, v80, v71
	v_dual_sub_f32 v27, v27, v71 :: v_dual_add_f32 v82, v81, v70
	s_delay_alu instid0(VALU_DEP_2) | instskip(NEXT) | instid1(VALU_DEP_1)
	v_sub_f32_e32 v26, v26, v80
	v_dual_sub_f32 v71, v82, v81 :: v_dual_add_f32 v26, v27, v26
	s_delay_alu instid0(VALU_DEP_1) | instskip(NEXT) | instid1(VALU_DEP_1)
	v_sub_f32_e32 v27, v70, v71
	v_add_f32_e32 v26, v26, v27
	s_delay_alu instid0(VALU_DEP_1) | instskip(NEXT) | instid1(VALU_DEP_1)
	v_add_f32_e32 v26, v82, v26
	v_cndmask_b32_e32 v26, v26, v29, vcc_lo
	s_delay_alu instid0(VALU_DEP_1) | instskip(NEXT) | instid1(VALU_DEP_1)
	v_add_f32_e32 v26, v28, v26
	v_cvt_f16_f32_e32 v26, v26
	s_delay_alu instid0(VALU_DEP_1)
	v_mov_b32_e32 v100, v26
	v_cvt_f32_f16_e32 v27, v26
.LBB362_65:
	s_or_b32 exec_lo, exec_lo, s9
	v_cvt_f32_f16_e32 v70, v50
	s_delay_alu instid0(VALU_DEP_2) | instskip(SKIP_2) | instid1(VALU_DEP_3)
	v_max_f32_e32 v28, v27, v27
	v_cmp_u_f16_e32 vcc_lo, v26, v26
	v_cmp_u_f16_e64 s9, v50, v50
	v_min_f32_e32 v29, v28, v70
	s_delay_alu instid0(VALU_DEP_1) | instskip(NEXT) | instid1(VALU_DEP_1)
	v_dual_max_f32 v28, v28, v70 :: v_dual_cndmask_b32 v29, v29, v27
	v_cndmask_b32_e32 v28, v28, v27, vcc_lo
	s_delay_alu instid0(VALU_DEP_2) | instskip(NEXT) | instid1(VALU_DEP_2)
	v_cndmask_b32_e64 v29, v29, v70, s9
	v_cndmask_b32_e64 v28, v28, v70, s9
	s_delay_alu instid0(VALU_DEP_2) | instskip(NEXT) | instid1(VALU_DEP_2)
	v_cmp_class_f32_e64 s10, v29, 0x1f8
	v_cmp_neq_f32_e32 vcc_lo, v29, v28
	s_delay_alu instid0(VALU_DEP_2) | instskip(NEXT) | instid1(SALU_CYCLE_1)
	s_or_b32 s11, vcc_lo, s10
	s_and_saveexec_b32 s10, s11
	s_cbranch_execz .LBB362_67
; %bb.66:
	v_sub_f32_e32 v26, v29, v28
	s_mov_b32 s11, 0x3e9b6dac
	s_delay_alu instid0(VALU_DEP_1) | instskip(NEXT) | instid1(VALU_DEP_1)
	v_mul_f32_e32 v27, 0x3fb8aa3b, v26
	v_fma_f32 v29, 0x3fb8aa3b, v26, -v27
	v_rndne_f32_e32 v71, v27
	s_delay_alu instid0(VALU_DEP_1) | instskip(NEXT) | instid1(VALU_DEP_3)
	v_sub_f32_e32 v27, v27, v71
	v_fmamk_f32 v29, v26, 0x32a5705f, v29
	v_cmp_ngt_f32_e32 vcc_lo, 0xc2ce8ed0, v26
	s_delay_alu instid0(VALU_DEP_2) | instskip(SKIP_1) | instid1(VALU_DEP_2)
	v_add_f32_e32 v27, v27, v29
	v_cvt_i32_f32_e32 v29, v71
	v_exp_f32_e32 v27, v27
	s_waitcnt_depctr 0xfff
	v_ldexp_f32 v27, v27, v29
	s_delay_alu instid0(VALU_DEP_1) | instskip(SKIP_1) | instid1(VALU_DEP_2)
	v_cndmask_b32_e32 v27, 0, v27, vcc_lo
	v_cmp_nlt_f32_e32 vcc_lo, 0x42b17218, v26
	v_cndmask_b32_e32 v29, 0x7f800000, v27, vcc_lo
	s_delay_alu instid0(VALU_DEP_1) | instskip(NEXT) | instid1(VALU_DEP_1)
	v_add_f32_e32 v71, 1.0, v29
	v_cvt_f64_f32_e32 v[26:27], v71
	s_delay_alu instid0(VALU_DEP_1) | instskip(SKIP_1) | instid1(VALU_DEP_1)
	v_frexp_exp_i32_f64_e32 v26, v[26:27]
	v_frexp_mant_f32_e32 v27, v71
	v_cmp_gt_f32_e32 vcc_lo, 0x3f2aaaab, v27
	v_add_f32_e32 v27, -1.0, v71
	s_delay_alu instid0(VALU_DEP_1) | instskip(SKIP_1) | instid1(VALU_DEP_2)
	v_sub_f32_e32 v81, v27, v71
	v_sub_f32_e32 v27, v29, v27
	v_add_f32_e32 v81, 1.0, v81
	s_delay_alu instid0(VALU_DEP_1) | instskip(SKIP_1) | instid1(VALU_DEP_1)
	v_add_f32_e32 v27, v27, v81
	v_subrev_co_ci_u32_e32 v26, vcc_lo, 0, v26, vcc_lo
	v_sub_nc_u32_e32 v80, 0, v26
	v_cvt_f32_i32_e32 v26, v26
	s_delay_alu instid0(VALU_DEP_2) | instskip(SKIP_1) | instid1(VALU_DEP_2)
	v_ldexp_f32 v71, v71, v80
	v_ldexp_f32 v27, v27, v80
	v_add_f32_e32 v82, 1.0, v71
	s_delay_alu instid0(VALU_DEP_1) | instskip(NEXT) | instid1(VALU_DEP_1)
	v_dual_add_f32 v80, -1.0, v71 :: v_dual_add_f32 v81, -1.0, v82
	v_add_f32_e32 v83, 1.0, v80
	s_delay_alu instid0(VALU_DEP_2) | instskip(NEXT) | instid1(VALU_DEP_2)
	v_sub_f32_e32 v81, v71, v81
	v_sub_f32_e32 v71, v71, v83
	s_delay_alu instid0(VALU_DEP_2) | instskip(NEXT) | instid1(VALU_DEP_2)
	v_add_f32_e32 v81, v27, v81
	v_add_f32_e32 v27, v27, v71
	s_delay_alu instid0(VALU_DEP_1) | instskip(NEXT) | instid1(VALU_DEP_1)
	v_dual_add_f32 v83, v82, v81 :: v_dual_add_f32 v84, v80, v27
	v_rcp_f32_e32 v71, v83
	v_sub_f32_e32 v82, v82, v83
	s_delay_alu instid0(VALU_DEP_1) | instskip(SKIP_3) | instid1(VALU_DEP_2)
	v_dual_sub_f32 v80, v80, v84 :: v_dual_add_f32 v81, v81, v82
	s_waitcnt_depctr 0xfff
	v_mul_f32_e32 v85, v84, v71
	v_add_f32_e32 v27, v27, v80
	v_mul_f32_e32 v86, v83, v85
	s_delay_alu instid0(VALU_DEP_1) | instskip(NEXT) | instid1(VALU_DEP_1)
	v_fma_f32 v82, v85, v83, -v86
	v_fmac_f32_e32 v82, v85, v81
	v_cmp_eq_f32_e32 vcc_lo, 0x7f800000, v29
	s_delay_alu instid0(VALU_DEP_2) | instskip(NEXT) | instid1(VALU_DEP_1)
	v_add_f32_e32 v87, v86, v82
	v_sub_f32_e32 v96, v84, v87
	v_sub_f32_e32 v80, v87, v86
	s_delay_alu instid0(VALU_DEP_2) | instskip(NEXT) | instid1(VALU_DEP_2)
	v_sub_f32_e32 v84, v84, v96
	v_sub_f32_e32 v80, v80, v82
	s_delay_alu instid0(VALU_DEP_2) | instskip(NEXT) | instid1(VALU_DEP_1)
	v_sub_f32_e32 v84, v84, v87
	v_add_f32_e32 v27, v27, v84
	s_delay_alu instid0(VALU_DEP_1) | instskip(NEXT) | instid1(VALU_DEP_1)
	v_add_f32_e32 v27, v80, v27
	v_add_f32_e32 v80, v96, v27
	s_delay_alu instid0(VALU_DEP_1) | instskip(NEXT) | instid1(VALU_DEP_1)
	v_mul_f32_e32 v82, v71, v80
	v_dual_sub_f32 v87, v96, v80 :: v_dual_mul_f32 v84, v83, v82
	s_delay_alu instid0(VALU_DEP_1) | instskip(NEXT) | instid1(VALU_DEP_2)
	v_add_f32_e32 v27, v27, v87
	v_fma_f32 v83, v82, v83, -v84
	s_delay_alu instid0(VALU_DEP_1) | instskip(NEXT) | instid1(VALU_DEP_1)
	v_fmac_f32_e32 v83, v82, v81
	v_add_f32_e32 v81, v84, v83
	s_delay_alu instid0(VALU_DEP_1) | instskip(SKIP_1) | instid1(VALU_DEP_2)
	v_sub_f32_e32 v86, v80, v81
	v_sub_f32_e32 v84, v81, v84
	;; [unrolled: 1-line block ×3, first 2 shown]
	s_delay_alu instid0(VALU_DEP_1) | instskip(NEXT) | instid1(VALU_DEP_3)
	v_sub_f32_e32 v80, v80, v81
	v_sub_f32_e32 v81, v84, v83
	s_delay_alu instid0(VALU_DEP_2) | instskip(NEXT) | instid1(VALU_DEP_1)
	v_dual_add_f32 v27, v27, v80 :: v_dual_add_f32 v80, v85, v82
	v_add_f32_e32 v27, v81, v27
	s_delay_alu instid0(VALU_DEP_2) | instskip(NEXT) | instid1(VALU_DEP_2)
	v_sub_f32_e32 v81, v80, v85
	v_add_f32_e32 v27, v86, v27
	s_delay_alu instid0(VALU_DEP_2) | instskip(NEXT) | instid1(VALU_DEP_2)
	v_sub_f32_e32 v81, v82, v81
	v_mul_f32_e32 v27, v71, v27
	s_delay_alu instid0(VALU_DEP_1) | instskip(NEXT) | instid1(VALU_DEP_1)
	v_add_f32_e32 v27, v81, v27
	v_add_f32_e32 v71, v80, v27
	s_delay_alu instid0(VALU_DEP_1) | instskip(NEXT) | instid1(VALU_DEP_1)
	v_mul_f32_e32 v81, v71, v71
	v_fmaak_f32 v82, s11, v81, 0x3ecc95a3
	v_mul_f32_e32 v83, v71, v81
	v_cmp_gt_f32_e64 s11, 0x33800000, |v29|
	s_delay_alu instid0(VALU_DEP_3) | instskip(SKIP_2) | instid1(VALU_DEP_4)
	v_fmaak_f32 v81, v81, v82, 0x3f2aaada
	v_ldexp_f32 v82, v71, 1
	v_sub_f32_e32 v71, v71, v80
	s_or_b32 vcc_lo, vcc_lo, s11
	s_delay_alu instid0(VALU_DEP_3) | instskip(SKIP_1) | instid1(VALU_DEP_2)
	v_mul_f32_e32 v81, v83, v81
	v_mul_f32_e32 v83, 0x3f317218, v26
	v_dual_sub_f32 v27, v27, v71 :: v_dual_add_f32 v80, v82, v81
	s_delay_alu instid0(VALU_DEP_1) | instskip(NEXT) | instid1(VALU_DEP_2)
	v_ldexp_f32 v27, v27, 1
	v_sub_f32_e32 v71, v80, v82
	s_delay_alu instid0(VALU_DEP_4) | instskip(NEXT) | instid1(VALU_DEP_1)
	v_fma_f32 v82, 0x3f317218, v26, -v83
	v_dual_sub_f32 v71, v81, v71 :: v_dual_fmamk_f32 v26, v26, 0xb102e308, v82
	s_delay_alu instid0(VALU_DEP_1) | instskip(NEXT) | instid1(VALU_DEP_2)
	v_add_f32_e32 v27, v27, v71
	v_add_f32_e32 v71, v83, v26
	s_delay_alu instid0(VALU_DEP_2) | instskip(NEXT) | instid1(VALU_DEP_2)
	v_add_f32_e32 v81, v80, v27
	v_sub_f32_e32 v83, v71, v83
	s_delay_alu instid0(VALU_DEP_2) | instskip(SKIP_1) | instid1(VALU_DEP_3)
	v_add_f32_e32 v82, v71, v81
	v_sub_f32_e32 v80, v81, v80
	v_sub_f32_e32 v26, v26, v83
	s_delay_alu instid0(VALU_DEP_2) | instskip(NEXT) | instid1(VALU_DEP_1)
	v_dual_sub_f32 v84, v82, v71 :: v_dual_sub_f32 v27, v27, v80
	v_sub_f32_e32 v85, v82, v84
	s_delay_alu instid0(VALU_DEP_2) | instskip(NEXT) | instid1(VALU_DEP_2)
	v_dual_sub_f32 v80, v81, v84 :: v_dual_add_f32 v81, v26, v27
	v_sub_f32_e32 v71, v71, v85
	s_delay_alu instid0(VALU_DEP_1) | instskip(NEXT) | instid1(VALU_DEP_1)
	v_dual_add_f32 v71, v80, v71 :: v_dual_sub_f32 v80, v81, v26
	v_add_f32_e32 v71, v81, v71
	s_delay_alu instid0(VALU_DEP_2) | instskip(SKIP_1) | instid1(VALU_DEP_3)
	v_sub_f32_e32 v81, v81, v80
	v_sub_f32_e32 v27, v27, v80
	v_add_f32_e32 v83, v82, v71
	s_delay_alu instid0(VALU_DEP_3) | instskip(NEXT) | instid1(VALU_DEP_2)
	v_sub_f32_e32 v26, v26, v81
	v_sub_f32_e32 v80, v83, v82
	s_delay_alu instid0(VALU_DEP_2) | instskip(NEXT) | instid1(VALU_DEP_2)
	v_add_f32_e32 v26, v27, v26
	v_sub_f32_e32 v27, v71, v80
	s_delay_alu instid0(VALU_DEP_1) | instskip(NEXT) | instid1(VALU_DEP_1)
	v_add_f32_e32 v26, v26, v27
	v_add_f32_e32 v26, v83, v26
	s_delay_alu instid0(VALU_DEP_1) | instskip(NEXT) | instid1(VALU_DEP_1)
	v_cndmask_b32_e32 v26, v26, v29, vcc_lo
	v_add_f32_e32 v26, v28, v26
	s_delay_alu instid0(VALU_DEP_1) | instskip(NEXT) | instid1(VALU_DEP_1)
	v_cvt_f16_f32_e32 v26, v26
	v_mov_b32_e32 v100, v26
	v_cvt_f32_f16_e32 v27, v26
.LBB362_67:
	s_or_b32 exec_lo, exec_lo, s10
	v_cvt_f32_f16_e32 v71, v23
	s_delay_alu instid0(VALU_DEP_2) | instskip(SKIP_2) | instid1(VALU_DEP_3)
	v_max_f32_e32 v28, v27, v27
	v_cmp_u_f16_e32 vcc_lo, v26, v26
	v_cmp_u_f16_e64 s10, v23, v23
	v_min_f32_e32 v29, v28, v71
	v_max_f32_e32 v28, v28, v71
	s_delay_alu instid0(VALU_DEP_2) | instskip(NEXT) | instid1(VALU_DEP_2)
	v_cndmask_b32_e32 v29, v29, v27, vcc_lo
	v_cndmask_b32_e32 v28, v28, v27, vcc_lo
	s_delay_alu instid0(VALU_DEP_2) | instskip(NEXT) | instid1(VALU_DEP_2)
	v_cndmask_b32_e64 v29, v29, v71, s10
	v_cndmask_b32_e64 v28, v28, v71, s10
	s_delay_alu instid0(VALU_DEP_2) | instskip(NEXT) | instid1(VALU_DEP_2)
	v_cmp_class_f32_e64 s11, v29, 0x1f8
	v_cmp_neq_f32_e32 vcc_lo, v29, v28
	s_delay_alu instid0(VALU_DEP_2) | instskip(NEXT) | instid1(SALU_CYCLE_1)
	s_or_b32 s13, vcc_lo, s11
	s_and_saveexec_b32 s11, s13
	s_cbranch_execz .LBB362_69
; %bb.68:
	v_sub_f32_e32 v26, v29, v28
	s_mov_b32 s13, 0x3e9b6dac
	s_delay_alu instid0(VALU_DEP_1) | instskip(NEXT) | instid1(VALU_DEP_1)
	v_mul_f32_e32 v27, 0x3fb8aa3b, v26
	v_fma_f32 v29, 0x3fb8aa3b, v26, -v27
	v_rndne_f32_e32 v80, v27
	s_delay_alu instid0(VALU_DEP_2) | instskip(NEXT) | instid1(VALU_DEP_2)
	v_fmamk_f32 v29, v26, 0x32a5705f, v29
	v_sub_f32_e32 v27, v27, v80
	s_delay_alu instid0(VALU_DEP_1) | instskip(SKIP_2) | instid1(VALU_DEP_3)
	v_add_f32_e32 v27, v27, v29
	v_cvt_i32_f32_e32 v29, v80
	v_cmp_ngt_f32_e32 vcc_lo, 0xc2ce8ed0, v26
	v_exp_f32_e32 v27, v27
	s_waitcnt_depctr 0xfff
	v_ldexp_f32 v27, v27, v29
	s_delay_alu instid0(VALU_DEP_1) | instskip(SKIP_1) | instid1(VALU_DEP_2)
	v_cndmask_b32_e32 v27, 0, v27, vcc_lo
	v_cmp_nlt_f32_e32 vcc_lo, 0x42b17218, v26
	v_cndmask_b32_e32 v29, 0x7f800000, v27, vcc_lo
	s_delay_alu instid0(VALU_DEP_1) | instskip(NEXT) | instid1(VALU_DEP_1)
	v_add_f32_e32 v80, 1.0, v29
	v_cvt_f64_f32_e32 v[26:27], v80
	s_delay_alu instid0(VALU_DEP_1) | instskip(SKIP_1) | instid1(VALU_DEP_1)
	v_frexp_exp_i32_f64_e32 v26, v[26:27]
	v_frexp_mant_f32_e32 v27, v80
	v_cmp_gt_f32_e32 vcc_lo, 0x3f2aaaab, v27
	v_add_f32_e32 v27, -1.0, v80
	s_delay_alu instid0(VALU_DEP_1) | instskip(NEXT) | instid1(VALU_DEP_1)
	v_sub_f32_e32 v82, v27, v80
	v_add_f32_e32 v82, 1.0, v82
	v_subrev_co_ci_u32_e32 v26, vcc_lo, 0, v26, vcc_lo
	s_delay_alu instid0(VALU_DEP_1) | instskip(SKIP_1) | instid1(VALU_DEP_2)
	v_sub_nc_u32_e32 v81, 0, v26
	v_cvt_f32_i32_e32 v26, v26
	v_ldexp_f32 v80, v80, v81
	v_sub_f32_e32 v27, v29, v27
	s_delay_alu instid0(VALU_DEP_1) | instskip(NEXT) | instid1(VALU_DEP_1)
	v_add_f32_e32 v27, v27, v82
	v_ldexp_f32 v27, v27, v81
	s_delay_alu instid0(VALU_DEP_4) | instskip(NEXT) | instid1(VALU_DEP_1)
	v_add_f32_e32 v83, 1.0, v80
	v_add_f32_e32 v82, -1.0, v83
	s_delay_alu instid0(VALU_DEP_1) | instskip(NEXT) | instid1(VALU_DEP_1)
	v_sub_f32_e32 v82, v80, v82
	v_dual_add_f32 v82, v27, v82 :: v_dual_add_f32 v81, -1.0, v80
	s_delay_alu instid0(VALU_DEP_1) | instskip(SKIP_1) | instid1(VALU_DEP_2)
	v_add_f32_e32 v84, 1.0, v81
	v_cmp_eq_f32_e32 vcc_lo, 0x7f800000, v29
	v_sub_f32_e32 v80, v80, v84
	s_delay_alu instid0(VALU_DEP_4) | instskip(NEXT) | instid1(VALU_DEP_1)
	v_add_f32_e32 v84, v83, v82
	v_sub_f32_e32 v83, v83, v84
	s_delay_alu instid0(VALU_DEP_3) | instskip(SKIP_1) | instid1(VALU_DEP_2)
	v_add_f32_e32 v27, v27, v80
	v_rcp_f32_e32 v80, v84
	v_add_f32_e32 v82, v82, v83
	s_delay_alu instid0(VALU_DEP_2) | instskip(NEXT) | instid1(VALU_DEP_1)
	v_add_f32_e32 v85, v81, v27
	v_sub_f32_e32 v81, v81, v85
	s_waitcnt_depctr 0xfff
	v_dual_mul_f32 v86, v85, v80 :: v_dual_add_f32 v27, v27, v81
	s_delay_alu instid0(VALU_DEP_1) | instskip(NEXT) | instid1(VALU_DEP_1)
	v_mul_f32_e32 v87, v84, v86
	v_fma_f32 v83, v86, v84, -v87
	s_delay_alu instid0(VALU_DEP_1) | instskip(NEXT) | instid1(VALU_DEP_1)
	v_fmac_f32_e32 v83, v86, v82
	v_add_f32_e32 v96, v87, v83
	s_delay_alu instid0(VALU_DEP_1) | instskip(SKIP_1) | instid1(VALU_DEP_2)
	v_sub_f32_e32 v97, v85, v96
	v_sub_f32_e32 v81, v96, v87
	;; [unrolled: 1-line block ×3, first 2 shown]
	s_delay_alu instid0(VALU_DEP_2) | instskip(NEXT) | instid1(VALU_DEP_2)
	v_sub_f32_e32 v81, v81, v83
	v_sub_f32_e32 v85, v85, v96
	s_delay_alu instid0(VALU_DEP_1) | instskip(NEXT) | instid1(VALU_DEP_1)
	v_add_f32_e32 v27, v27, v85
	v_add_f32_e32 v27, v81, v27
	s_delay_alu instid0(VALU_DEP_1) | instskip(NEXT) | instid1(VALU_DEP_1)
	v_add_f32_e32 v81, v97, v27
	v_mul_f32_e32 v83, v80, v81
	s_delay_alu instid0(VALU_DEP_1) | instskip(NEXT) | instid1(VALU_DEP_1)
	v_dual_sub_f32 v96, v97, v81 :: v_dual_mul_f32 v85, v84, v83
	v_add_f32_e32 v27, v27, v96
	s_delay_alu instid0(VALU_DEP_2) | instskip(NEXT) | instid1(VALU_DEP_1)
	v_fma_f32 v84, v83, v84, -v85
	v_fmac_f32_e32 v84, v83, v82
	s_delay_alu instid0(VALU_DEP_1) | instskip(NEXT) | instid1(VALU_DEP_1)
	v_add_f32_e32 v82, v85, v84
	v_sub_f32_e32 v87, v81, v82
	v_sub_f32_e32 v85, v82, v85
	s_delay_alu instid0(VALU_DEP_2) | instskip(NEXT) | instid1(VALU_DEP_1)
	v_sub_f32_e32 v81, v81, v87
	v_sub_f32_e32 v81, v81, v82
	s_delay_alu instid0(VALU_DEP_1) | instskip(SKIP_1) | instid1(VALU_DEP_1)
	v_dual_sub_f32 v82, v85, v84 :: v_dual_add_f32 v27, v27, v81
	v_add_f32_e32 v81, v86, v83
	v_dual_add_f32 v27, v82, v27 :: v_dual_sub_f32 v82, v81, v86
	s_delay_alu instid0(VALU_DEP_1) | instskip(NEXT) | instid1(VALU_DEP_1)
	v_add_f32_e32 v27, v87, v27
	v_dual_sub_f32 v82, v83, v82 :: v_dual_mul_f32 v27, v80, v27
	s_delay_alu instid0(VALU_DEP_1) | instskip(NEXT) | instid1(VALU_DEP_1)
	v_add_f32_e32 v27, v82, v27
	v_add_f32_e32 v80, v81, v27
	s_delay_alu instid0(VALU_DEP_1) | instskip(NEXT) | instid1(VALU_DEP_1)
	v_mul_f32_e32 v82, v80, v80
	v_fmaak_f32 v83, s13, v82, 0x3ecc95a3
	v_mul_f32_e32 v84, v80, v82
	v_cmp_gt_f32_e64 s13, 0x33800000, |v29|
	s_delay_alu instid0(VALU_DEP_3) | instskip(SKIP_2) | instid1(VALU_DEP_4)
	v_fmaak_f32 v82, v82, v83, 0x3f2aaada
	v_ldexp_f32 v83, v80, 1
	v_sub_f32_e32 v80, v80, v81
	s_or_b32 vcc_lo, vcc_lo, s13
	s_delay_alu instid0(VALU_DEP_3) | instskip(NEXT) | instid1(VALU_DEP_2)
	v_mul_f32_e32 v82, v84, v82
	v_dual_mul_f32 v84, 0x3f317218, v26 :: v_dual_sub_f32 v27, v27, v80
	s_delay_alu instid0(VALU_DEP_2) | instskip(NEXT) | instid1(VALU_DEP_2)
	v_add_f32_e32 v81, v83, v82
	v_ldexp_f32 v27, v27, 1
	s_delay_alu instid0(VALU_DEP_2) | instskip(NEXT) | instid1(VALU_DEP_4)
	v_sub_f32_e32 v80, v81, v83
	v_fma_f32 v83, 0x3f317218, v26, -v84
	s_delay_alu instid0(VALU_DEP_2) | instskip(NEXT) | instid1(VALU_DEP_1)
	v_sub_f32_e32 v80, v82, v80
	v_dual_fmamk_f32 v26, v26, 0xb102e308, v83 :: v_dual_add_f32 v27, v27, v80
	s_delay_alu instid0(VALU_DEP_1) | instskip(NEXT) | instid1(VALU_DEP_2)
	v_add_f32_e32 v80, v84, v26
	v_add_f32_e32 v82, v81, v27
	s_delay_alu instid0(VALU_DEP_2) | instskip(NEXT) | instid1(VALU_DEP_2)
	v_sub_f32_e32 v84, v80, v84
	v_add_f32_e32 v83, v80, v82
	v_sub_f32_e32 v81, v82, v81
	s_delay_alu instid0(VALU_DEP_3) | instskip(NEXT) | instid1(VALU_DEP_3)
	v_sub_f32_e32 v26, v26, v84
	v_sub_f32_e32 v85, v83, v80
	s_delay_alu instid0(VALU_DEP_3) | instskip(NEXT) | instid1(VALU_DEP_2)
	v_sub_f32_e32 v27, v27, v81
	v_sub_f32_e32 v86, v83, v85
	;; [unrolled: 1-line block ×3, first 2 shown]
	s_delay_alu instid0(VALU_DEP_3) | instskip(NEXT) | instid1(VALU_DEP_3)
	v_add_f32_e32 v82, v26, v27
	v_sub_f32_e32 v80, v80, v86
	s_delay_alu instid0(VALU_DEP_1) | instskip(NEXT) | instid1(VALU_DEP_1)
	v_dual_add_f32 v80, v81, v80 :: v_dual_sub_f32 v81, v82, v26
	v_add_f32_e32 v80, v82, v80
	s_delay_alu instid0(VALU_DEP_2) | instskip(SKIP_1) | instid1(VALU_DEP_3)
	v_sub_f32_e32 v82, v82, v81
	v_sub_f32_e32 v27, v27, v81
	v_add_f32_e32 v84, v83, v80
	s_delay_alu instid0(VALU_DEP_1) | instskip(NEXT) | instid1(VALU_DEP_1)
	v_dual_sub_f32 v26, v26, v82 :: v_dual_sub_f32 v81, v84, v83
	v_dual_add_f32 v26, v27, v26 :: v_dual_sub_f32 v27, v80, v81
	s_delay_alu instid0(VALU_DEP_1) | instskip(NEXT) | instid1(VALU_DEP_1)
	v_add_f32_e32 v26, v26, v27
	v_add_f32_e32 v26, v84, v26
	s_delay_alu instid0(VALU_DEP_1) | instskip(NEXT) | instid1(VALU_DEP_1)
	v_cndmask_b32_e32 v26, v26, v29, vcc_lo
	v_add_f32_e32 v26, v28, v26
	s_delay_alu instid0(VALU_DEP_1) | instskip(NEXT) | instid1(VALU_DEP_1)
	v_cvt_f16_f32_e32 v26, v26
	v_mov_b32_e32 v100, v26
	v_cvt_f32_f16_e32 v27, v26
.LBB362_69:
	s_or_b32 exec_lo, exec_lo, s11
	v_cvt_f32_f16_e32 v80, v49
	s_delay_alu instid0(VALU_DEP_2) | instskip(SKIP_2) | instid1(VALU_DEP_3)
	v_max_f32_e32 v28, v27, v27
	v_cmp_u_f16_e32 vcc_lo, v26, v26
	v_cmp_u_f16_e64 s11, v49, v49
	v_min_f32_e32 v29, v28, v80
	s_delay_alu instid0(VALU_DEP_1) | instskip(NEXT) | instid1(VALU_DEP_1)
	v_dual_max_f32 v28, v28, v80 :: v_dual_cndmask_b32 v29, v29, v27
	v_cndmask_b32_e32 v28, v28, v27, vcc_lo
	s_delay_alu instid0(VALU_DEP_2) | instskip(NEXT) | instid1(VALU_DEP_2)
	v_cndmask_b32_e64 v29, v29, v80, s11
	v_cndmask_b32_e64 v28, v28, v80, s11
	s_delay_alu instid0(VALU_DEP_2) | instskip(NEXT) | instid1(VALU_DEP_2)
	v_cmp_class_f32_e64 s13, v29, 0x1f8
	v_cmp_neq_f32_e32 vcc_lo, v29, v28
	s_delay_alu instid0(VALU_DEP_2) | instskip(NEXT) | instid1(SALU_CYCLE_1)
	s_or_b32 s14, vcc_lo, s13
	s_and_saveexec_b32 s13, s14
	s_cbranch_execz .LBB362_71
; %bb.70:
	v_sub_f32_e32 v26, v29, v28
	s_mov_b32 s14, 0x3e9b6dac
	s_delay_alu instid0(VALU_DEP_1) | instskip(NEXT) | instid1(VALU_DEP_1)
	v_mul_f32_e32 v27, 0x3fb8aa3b, v26
	v_fma_f32 v29, 0x3fb8aa3b, v26, -v27
	v_rndne_f32_e32 v81, v27
	s_delay_alu instid0(VALU_DEP_1) | instskip(NEXT) | instid1(VALU_DEP_3)
	v_sub_f32_e32 v27, v27, v81
	v_fmamk_f32 v29, v26, 0x32a5705f, v29
	v_cmp_ngt_f32_e32 vcc_lo, 0xc2ce8ed0, v26
	s_delay_alu instid0(VALU_DEP_2) | instskip(SKIP_1) | instid1(VALU_DEP_2)
	v_add_f32_e32 v27, v27, v29
	v_cvt_i32_f32_e32 v29, v81
	v_exp_f32_e32 v27, v27
	s_waitcnt_depctr 0xfff
	v_ldexp_f32 v27, v27, v29
	s_delay_alu instid0(VALU_DEP_1) | instskip(SKIP_1) | instid1(VALU_DEP_2)
	v_cndmask_b32_e32 v27, 0, v27, vcc_lo
	v_cmp_nlt_f32_e32 vcc_lo, 0x42b17218, v26
	v_cndmask_b32_e32 v29, 0x7f800000, v27, vcc_lo
	s_delay_alu instid0(VALU_DEP_1) | instskip(NEXT) | instid1(VALU_DEP_1)
	v_add_f32_e32 v81, 1.0, v29
	v_cvt_f64_f32_e32 v[26:27], v81
	s_delay_alu instid0(VALU_DEP_1) | instskip(SKIP_1) | instid1(VALU_DEP_1)
	v_frexp_exp_i32_f64_e32 v26, v[26:27]
	v_frexp_mant_f32_e32 v27, v81
	v_cmp_gt_f32_e32 vcc_lo, 0x3f2aaaab, v27
	v_add_f32_e32 v27, -1.0, v81
	s_delay_alu instid0(VALU_DEP_1) | instskip(SKIP_1) | instid1(VALU_DEP_2)
	v_sub_f32_e32 v83, v27, v81
	v_sub_f32_e32 v27, v29, v27
	v_add_f32_e32 v83, 1.0, v83
	s_delay_alu instid0(VALU_DEP_1) | instskip(SKIP_1) | instid1(VALU_DEP_1)
	v_add_f32_e32 v27, v27, v83
	v_subrev_co_ci_u32_e32 v26, vcc_lo, 0, v26, vcc_lo
	v_sub_nc_u32_e32 v82, 0, v26
	v_cvt_f32_i32_e32 v26, v26
	s_delay_alu instid0(VALU_DEP_2) | instskip(SKIP_1) | instid1(VALU_DEP_2)
	v_ldexp_f32 v81, v81, v82
	v_ldexp_f32 v27, v27, v82
	v_add_f32_e32 v84, 1.0, v81
	s_delay_alu instid0(VALU_DEP_1) | instskip(NEXT) | instid1(VALU_DEP_1)
	v_dual_add_f32 v82, -1.0, v81 :: v_dual_add_f32 v83, -1.0, v84
	v_add_f32_e32 v85, 1.0, v82
	s_delay_alu instid0(VALU_DEP_2) | instskip(NEXT) | instid1(VALU_DEP_2)
	v_sub_f32_e32 v83, v81, v83
	v_sub_f32_e32 v81, v81, v85
	s_delay_alu instid0(VALU_DEP_2) | instskip(NEXT) | instid1(VALU_DEP_1)
	v_add_f32_e32 v83, v27, v83
	v_add_f32_e32 v85, v84, v83
	s_delay_alu instid0(VALU_DEP_3) | instskip(NEXT) | instid1(VALU_DEP_2)
	v_add_f32_e32 v27, v27, v81
	v_rcp_f32_e32 v81, v85
	s_delay_alu instid0(VALU_DEP_1) | instskip(SKIP_1) | instid1(VALU_DEP_1)
	v_add_f32_e32 v86, v82, v27
	v_sub_f32_e32 v84, v84, v85
	v_dual_sub_f32 v82, v82, v86 :: v_dual_add_f32 v83, v83, v84
	s_waitcnt_depctr 0xfff
	v_mul_f32_e32 v87, v86, v81
	s_delay_alu instid0(VALU_DEP_1) | instskip(NEXT) | instid1(VALU_DEP_1)
	v_dual_add_f32 v27, v27, v82 :: v_dual_mul_f32 v96, v85, v87
	v_fma_f32 v84, v87, v85, -v96
	s_delay_alu instid0(VALU_DEP_1) | instskip(NEXT) | instid1(VALU_DEP_1)
	v_fmac_f32_e32 v84, v87, v83
	v_add_f32_e32 v97, v96, v84
	s_delay_alu instid0(VALU_DEP_1) | instskip(SKIP_2) | instid1(VALU_DEP_3)
	v_sub_f32_e32 v98, v86, v97
	v_sub_f32_e32 v82, v97, v96
	v_cmp_eq_f32_e32 vcc_lo, 0x7f800000, v29
	v_sub_f32_e32 v86, v86, v98
	s_delay_alu instid0(VALU_DEP_3) | instskip(NEXT) | instid1(VALU_DEP_2)
	v_sub_f32_e32 v82, v82, v84
	v_sub_f32_e32 v86, v86, v97
	s_delay_alu instid0(VALU_DEP_1) | instskip(NEXT) | instid1(VALU_DEP_1)
	v_add_f32_e32 v27, v27, v86
	v_add_f32_e32 v27, v82, v27
	s_delay_alu instid0(VALU_DEP_1) | instskip(NEXT) | instid1(VALU_DEP_1)
	v_add_f32_e32 v82, v98, v27
	v_mul_f32_e32 v84, v81, v82
	s_delay_alu instid0(VALU_DEP_1) | instskip(NEXT) | instid1(VALU_DEP_1)
	v_dual_sub_f32 v97, v98, v82 :: v_dual_mul_f32 v86, v85, v84
	v_add_f32_e32 v27, v27, v97
	s_delay_alu instid0(VALU_DEP_2) | instskip(NEXT) | instid1(VALU_DEP_1)
	v_fma_f32 v85, v84, v85, -v86
	v_fmac_f32_e32 v85, v84, v83
	s_delay_alu instid0(VALU_DEP_1) | instskip(NEXT) | instid1(VALU_DEP_1)
	v_add_f32_e32 v83, v86, v85
	v_sub_f32_e32 v96, v82, v83
	v_sub_f32_e32 v86, v83, v86
	s_delay_alu instid0(VALU_DEP_2) | instskip(NEXT) | instid1(VALU_DEP_1)
	v_sub_f32_e32 v82, v82, v96
	v_sub_f32_e32 v82, v82, v83
	s_delay_alu instid0(VALU_DEP_3) | instskip(NEXT) | instid1(VALU_DEP_2)
	v_sub_f32_e32 v83, v86, v85
	v_add_f32_e32 v27, v27, v82
	v_add_f32_e32 v82, v87, v84
	s_delay_alu instid0(VALU_DEP_2) | instskip(NEXT) | instid1(VALU_DEP_2)
	v_add_f32_e32 v27, v83, v27
	v_sub_f32_e32 v83, v82, v87
	s_delay_alu instid0(VALU_DEP_2) | instskip(NEXT) | instid1(VALU_DEP_2)
	v_add_f32_e32 v27, v96, v27
	v_sub_f32_e32 v83, v84, v83
	s_delay_alu instid0(VALU_DEP_2) | instskip(NEXT) | instid1(VALU_DEP_1)
	v_mul_f32_e32 v27, v81, v27
	v_add_f32_e32 v27, v83, v27
	s_delay_alu instid0(VALU_DEP_1) | instskip(NEXT) | instid1(VALU_DEP_1)
	v_add_f32_e32 v81, v82, v27
	v_mul_f32_e32 v83, v81, v81
	s_delay_alu instid0(VALU_DEP_1) | instskip(SKIP_2) | instid1(VALU_DEP_3)
	v_fmaak_f32 v84, s14, v83, 0x3ecc95a3
	v_mul_f32_e32 v85, v81, v83
	v_cmp_gt_f32_e64 s14, 0x33800000, |v29|
	v_fmaak_f32 v83, v83, v84, 0x3f2aaada
	v_ldexp_f32 v84, v81, 1
	v_sub_f32_e32 v81, v81, v82
	s_delay_alu instid0(VALU_DEP_4) | instskip(NEXT) | instid1(VALU_DEP_3)
	s_or_b32 vcc_lo, vcc_lo, s14
	v_mul_f32_e32 v83, v85, v83
	v_mul_f32_e32 v85, 0x3f317218, v26
	s_delay_alu instid0(VALU_DEP_2) | instskip(NEXT) | instid1(VALU_DEP_1)
	v_dual_sub_f32 v27, v27, v81 :: v_dual_add_f32 v82, v84, v83
	v_ldexp_f32 v27, v27, 1
	s_delay_alu instid0(VALU_DEP_2) | instskip(NEXT) | instid1(VALU_DEP_4)
	v_sub_f32_e32 v81, v82, v84
	v_fma_f32 v84, 0x3f317218, v26, -v85
	s_delay_alu instid0(VALU_DEP_1) | instskip(NEXT) | instid1(VALU_DEP_1)
	v_dual_sub_f32 v81, v83, v81 :: v_dual_fmamk_f32 v26, v26, 0xb102e308, v84
	v_add_f32_e32 v27, v27, v81
	s_delay_alu instid0(VALU_DEP_2) | instskip(NEXT) | instid1(VALU_DEP_2)
	v_add_f32_e32 v81, v85, v26
	v_add_f32_e32 v83, v82, v27
	s_delay_alu instid0(VALU_DEP_2) | instskip(NEXT) | instid1(VALU_DEP_2)
	v_sub_f32_e32 v85, v81, v85
	v_add_f32_e32 v84, v81, v83
	v_sub_f32_e32 v82, v83, v82
	s_delay_alu instid0(VALU_DEP_3) | instskip(NEXT) | instid1(VALU_DEP_2)
	v_sub_f32_e32 v26, v26, v85
	v_dual_sub_f32 v86, v84, v81 :: v_dual_sub_f32 v27, v27, v82
	s_delay_alu instid0(VALU_DEP_1) | instskip(NEXT) | instid1(VALU_DEP_2)
	v_sub_f32_e32 v87, v84, v86
	v_dual_sub_f32 v82, v83, v86 :: v_dual_add_f32 v83, v26, v27
	s_delay_alu instid0(VALU_DEP_2) | instskip(NEXT) | instid1(VALU_DEP_1)
	v_sub_f32_e32 v81, v81, v87
	v_dual_add_f32 v81, v82, v81 :: v_dual_sub_f32 v82, v83, v26
	s_delay_alu instid0(VALU_DEP_1) | instskip(NEXT) | instid1(VALU_DEP_2)
	v_add_f32_e32 v81, v83, v81
	v_sub_f32_e32 v83, v83, v82
	v_sub_f32_e32 v27, v27, v82
	s_delay_alu instid0(VALU_DEP_2) | instskip(NEXT) | instid1(VALU_DEP_1)
	v_dual_add_f32 v85, v84, v81 :: v_dual_sub_f32 v26, v26, v83
	v_sub_f32_e32 v82, v85, v84
	s_delay_alu instid0(VALU_DEP_2) | instskip(NEXT) | instid1(VALU_DEP_2)
	v_add_f32_e32 v26, v27, v26
	v_sub_f32_e32 v27, v81, v82
	s_delay_alu instid0(VALU_DEP_1) | instskip(NEXT) | instid1(VALU_DEP_1)
	v_add_f32_e32 v26, v26, v27
	v_add_f32_e32 v26, v85, v26
	s_delay_alu instid0(VALU_DEP_1) | instskip(NEXT) | instid1(VALU_DEP_1)
	v_cndmask_b32_e32 v26, v26, v29, vcc_lo
	v_add_f32_e32 v26, v28, v26
	s_delay_alu instid0(VALU_DEP_1) | instskip(NEXT) | instid1(VALU_DEP_1)
	v_cvt_f16_f32_e32 v26, v26
	v_cvt_f32_f16_e32 v27, v26
	v_mov_b32_e32 v100, v26
.LBB362_71:
	s_or_b32 exec_lo, exec_lo, s13
	v_cvt_f32_f16_e32 v81, v20
	s_delay_alu instid0(VALU_DEP_3) | instskip(SKIP_2) | instid1(VALU_DEP_3)
	v_max_f32_e32 v28, v27, v27
	v_cmp_u_f16_e32 vcc_lo, v26, v26
	v_cmp_u_f16_e64 s13, v20, v20
	v_min_f32_e32 v29, v28, v81
	s_delay_alu instid0(VALU_DEP_1) | instskip(NEXT) | instid1(VALU_DEP_1)
	v_dual_max_f32 v28, v28, v81 :: v_dual_cndmask_b32 v29, v29, v27
	v_cndmask_b32_e32 v28, v28, v27, vcc_lo
	s_delay_alu instid0(VALU_DEP_2) | instskip(NEXT) | instid1(VALU_DEP_2)
	v_cndmask_b32_e64 v29, v29, v81, s13
	v_cndmask_b32_e64 v28, v28, v81, s13
	s_delay_alu instid0(VALU_DEP_2) | instskip(NEXT) | instid1(VALU_DEP_2)
	v_cmp_class_f32_e64 s14, v29, 0x1f8
	v_cmp_neq_f32_e32 vcc_lo, v29, v28
	s_delay_alu instid0(VALU_DEP_2) | instskip(NEXT) | instid1(SALU_CYCLE_1)
	s_or_b32 s15, vcc_lo, s14
	s_and_saveexec_b32 s14, s15
	s_cbranch_execz .LBB362_73
; %bb.72:
	v_sub_f32_e32 v26, v29, v28
	s_mov_b32 s15, 0x3e9b6dac
	s_delay_alu instid0(VALU_DEP_1) | instskip(NEXT) | instid1(VALU_DEP_1)
	v_mul_f32_e32 v27, 0x3fb8aa3b, v26
	v_fma_f32 v29, 0x3fb8aa3b, v26, -v27
	v_rndne_f32_e32 v82, v27
	s_delay_alu instid0(VALU_DEP_1) | instskip(NEXT) | instid1(VALU_DEP_3)
	v_sub_f32_e32 v27, v27, v82
	v_fmamk_f32 v29, v26, 0x32a5705f, v29
	v_cmp_ngt_f32_e32 vcc_lo, 0xc2ce8ed0, v26
	s_delay_alu instid0(VALU_DEP_2) | instskip(SKIP_1) | instid1(VALU_DEP_2)
	v_add_f32_e32 v27, v27, v29
	v_cvt_i32_f32_e32 v29, v82
	v_exp_f32_e32 v27, v27
	s_waitcnt_depctr 0xfff
	v_ldexp_f32 v27, v27, v29
	s_delay_alu instid0(VALU_DEP_1) | instskip(SKIP_1) | instid1(VALU_DEP_2)
	v_cndmask_b32_e32 v27, 0, v27, vcc_lo
	v_cmp_nlt_f32_e32 vcc_lo, 0x42b17218, v26
	v_cndmask_b32_e32 v29, 0x7f800000, v27, vcc_lo
	s_delay_alu instid0(VALU_DEP_1) | instskip(NEXT) | instid1(VALU_DEP_1)
	v_add_f32_e32 v82, 1.0, v29
	v_cvt_f64_f32_e32 v[26:27], v82
	s_delay_alu instid0(VALU_DEP_1) | instskip(SKIP_1) | instid1(VALU_DEP_1)
	v_frexp_exp_i32_f64_e32 v26, v[26:27]
	v_frexp_mant_f32_e32 v27, v82
	v_cmp_gt_f32_e32 vcc_lo, 0x3f2aaaab, v27
	v_add_f32_e32 v27, -1.0, v82
	s_delay_alu instid0(VALU_DEP_1) | instskip(NEXT) | instid1(VALU_DEP_1)
	v_sub_f32_e32 v84, v27, v82
	v_add_f32_e32 v84, 1.0, v84
	v_subrev_co_ci_u32_e32 v26, vcc_lo, 0, v26, vcc_lo
	s_delay_alu instid0(VALU_DEP_1) | instskip(SKIP_1) | instid1(VALU_DEP_2)
	v_sub_nc_u32_e32 v83, 0, v26
	v_cvt_f32_i32_e32 v26, v26
	v_ldexp_f32 v82, v82, v83
	v_sub_f32_e32 v27, v29, v27
	s_delay_alu instid0(VALU_DEP_1) | instskip(NEXT) | instid1(VALU_DEP_1)
	v_add_f32_e32 v27, v27, v84
	v_ldexp_f32 v27, v27, v83
	s_delay_alu instid0(VALU_DEP_4) | instskip(NEXT) | instid1(VALU_DEP_1)
	v_add_f32_e32 v85, 1.0, v82
	v_add_f32_e32 v84, -1.0, v85
	s_delay_alu instid0(VALU_DEP_1) | instskip(SKIP_1) | instid1(VALU_DEP_2)
	v_sub_f32_e32 v84, v82, v84
	v_cmp_eq_f32_e32 vcc_lo, 0x7f800000, v29
	v_dual_add_f32 v84, v27, v84 :: v_dual_add_f32 v83, -1.0, v82
	s_delay_alu instid0(VALU_DEP_1) | instskip(NEXT) | instid1(VALU_DEP_1)
	v_add_f32_e32 v86, 1.0, v83
	v_sub_f32_e32 v82, v82, v86
	s_delay_alu instid0(VALU_DEP_1) | instskip(NEXT) | instid1(VALU_DEP_1)
	v_dual_add_f32 v86, v85, v84 :: v_dual_add_f32 v27, v27, v82
	v_rcp_f32_e32 v82, v86
	v_sub_f32_e32 v85, v85, v86
	s_delay_alu instid0(VALU_DEP_1) | instskip(SKIP_3) | instid1(VALU_DEP_2)
	v_dual_add_f32 v84, v84, v85 :: v_dual_add_f32 v87, v83, v27
	s_waitcnt_depctr 0xfff
	v_mul_f32_e32 v96, v87, v82
	v_sub_f32_e32 v83, v83, v87
	v_mul_f32_e32 v97, v86, v96
	s_delay_alu instid0(VALU_DEP_1) | instskip(NEXT) | instid1(VALU_DEP_1)
	v_fma_f32 v85, v96, v86, -v97
	v_fmac_f32_e32 v85, v96, v84
	s_delay_alu instid0(VALU_DEP_1) | instskip(NEXT) | instid1(VALU_DEP_1)
	v_dual_add_f32 v98, v97, v85 :: v_dual_add_f32 v27, v27, v83
	v_dual_sub_f32 v100, v87, v98 :: v_dual_sub_f32 v83, v98, v97
	s_delay_alu instid0(VALU_DEP_1) | instskip(NEXT) | instid1(VALU_DEP_2)
	v_sub_f32_e32 v87, v87, v100
	v_sub_f32_e32 v83, v83, v85
	s_delay_alu instid0(VALU_DEP_2) | instskip(NEXT) | instid1(VALU_DEP_1)
	v_sub_f32_e32 v87, v87, v98
	v_add_f32_e32 v27, v27, v87
	s_delay_alu instid0(VALU_DEP_1) | instskip(NEXT) | instid1(VALU_DEP_1)
	v_add_f32_e32 v27, v83, v27
	v_add_f32_e32 v83, v100, v27
	s_delay_alu instid0(VALU_DEP_1) | instskip(NEXT) | instid1(VALU_DEP_1)
	v_mul_f32_e32 v85, v82, v83
	v_dual_sub_f32 v98, v100, v83 :: v_dual_mul_f32 v87, v86, v85
	s_delay_alu instid0(VALU_DEP_1) | instskip(NEXT) | instid1(VALU_DEP_2)
	v_add_f32_e32 v27, v27, v98
	v_fma_f32 v86, v85, v86, -v87
	s_delay_alu instid0(VALU_DEP_1) | instskip(NEXT) | instid1(VALU_DEP_1)
	v_fmac_f32_e32 v86, v85, v84
	v_add_f32_e32 v84, v87, v86
	s_delay_alu instid0(VALU_DEP_1) | instskip(SKIP_1) | instid1(VALU_DEP_2)
	v_sub_f32_e32 v97, v83, v84
	v_sub_f32_e32 v87, v84, v87
	;; [unrolled: 1-line block ×3, first 2 shown]
	s_delay_alu instid0(VALU_DEP_1) | instskip(NEXT) | instid1(VALU_DEP_3)
	v_sub_f32_e32 v83, v83, v84
	v_sub_f32_e32 v84, v87, v86
	s_delay_alu instid0(VALU_DEP_2) | instskip(SKIP_1) | instid1(VALU_DEP_1)
	v_add_f32_e32 v27, v27, v83
	v_add_f32_e32 v83, v96, v85
	v_dual_add_f32 v27, v84, v27 :: v_dual_sub_f32 v84, v83, v96
	s_delay_alu instid0(VALU_DEP_1) | instskip(NEXT) | instid1(VALU_DEP_1)
	v_add_f32_e32 v27, v97, v27
	v_dual_sub_f32 v84, v85, v84 :: v_dual_mul_f32 v27, v82, v27
	s_delay_alu instid0(VALU_DEP_1) | instskip(NEXT) | instid1(VALU_DEP_1)
	v_add_f32_e32 v27, v84, v27
	v_add_f32_e32 v82, v83, v27
	s_delay_alu instid0(VALU_DEP_1) | instskip(NEXT) | instid1(VALU_DEP_1)
	v_mul_f32_e32 v84, v82, v82
	v_fmaak_f32 v85, s15, v84, 0x3ecc95a3
	v_mul_f32_e32 v86, v82, v84
	v_cmp_gt_f32_e64 s15, 0x33800000, |v29|
	s_delay_alu instid0(VALU_DEP_3) | instskip(SKIP_2) | instid1(VALU_DEP_4)
	v_fmaak_f32 v84, v84, v85, 0x3f2aaada
	v_ldexp_f32 v85, v82, 1
	v_sub_f32_e32 v82, v82, v83
	s_or_b32 vcc_lo, vcc_lo, s15
	s_delay_alu instid0(VALU_DEP_3) | instskip(SKIP_1) | instid1(VALU_DEP_3)
	v_mul_f32_e32 v84, v86, v84
	v_mul_f32_e32 v86, 0x3f317218, v26
	v_sub_f32_e32 v27, v27, v82
	s_delay_alu instid0(VALU_DEP_3) | instskip(NEXT) | instid1(VALU_DEP_2)
	v_add_f32_e32 v83, v85, v84
	v_ldexp_f32 v27, v27, 1
	s_delay_alu instid0(VALU_DEP_2) | instskip(SKIP_1) | instid1(VALU_DEP_2)
	v_sub_f32_e32 v82, v83, v85
	v_fma_f32 v85, 0x3f317218, v26, -v86
	v_sub_f32_e32 v82, v84, v82
	s_delay_alu instid0(VALU_DEP_1) | instskip(NEXT) | instid1(VALU_DEP_1)
	v_dual_fmamk_f32 v26, v26, 0xb102e308, v85 :: v_dual_add_f32 v27, v27, v82
	v_add_f32_e32 v82, v86, v26
	s_delay_alu instid0(VALU_DEP_2) | instskip(NEXT) | instid1(VALU_DEP_2)
	v_add_f32_e32 v84, v83, v27
	v_sub_f32_e32 v86, v82, v86
	s_delay_alu instid0(VALU_DEP_2) | instskip(NEXT) | instid1(VALU_DEP_2)
	v_add_f32_e32 v85, v82, v84
	v_dual_sub_f32 v83, v84, v83 :: v_dual_sub_f32 v26, v26, v86
	s_delay_alu instid0(VALU_DEP_2) | instskip(NEXT) | instid1(VALU_DEP_2)
	v_sub_f32_e32 v87, v85, v82
	v_sub_f32_e32 v27, v27, v83
	s_delay_alu instid0(VALU_DEP_2) | instskip(SKIP_1) | instid1(VALU_DEP_3)
	v_sub_f32_e32 v96, v85, v87
	v_sub_f32_e32 v83, v84, v87
	v_add_f32_e32 v84, v26, v27
	s_delay_alu instid0(VALU_DEP_3) | instskip(NEXT) | instid1(VALU_DEP_1)
	v_sub_f32_e32 v82, v82, v96
	v_add_f32_e32 v82, v83, v82
	s_delay_alu instid0(VALU_DEP_3) | instskip(NEXT) | instid1(VALU_DEP_2)
	v_sub_f32_e32 v83, v84, v26
	v_add_f32_e32 v82, v84, v82
	s_delay_alu instid0(VALU_DEP_2) | instskip(NEXT) | instid1(VALU_DEP_1)
	v_sub_f32_e32 v84, v84, v83
	v_dual_sub_f32 v27, v27, v83 :: v_dual_sub_f32 v26, v26, v84
	s_delay_alu instid0(VALU_DEP_1) | instskip(NEXT) | instid1(VALU_DEP_4)
	v_add_f32_e32 v26, v27, v26
	v_add_f32_e32 v86, v85, v82
	s_delay_alu instid0(VALU_DEP_1) | instskip(NEXT) | instid1(VALU_DEP_1)
	v_sub_f32_e32 v83, v86, v85
	v_sub_f32_e32 v27, v82, v83
	s_delay_alu instid0(VALU_DEP_1) | instskip(NEXT) | instid1(VALU_DEP_1)
	v_add_f32_e32 v26, v26, v27
	v_add_f32_e32 v26, v86, v26
	s_delay_alu instid0(VALU_DEP_1) | instskip(NEXT) | instid1(VALU_DEP_1)
	v_cndmask_b32_e32 v26, v26, v29, vcc_lo
	v_add_f32_e32 v26, v28, v26
	s_delay_alu instid0(VALU_DEP_1) | instskip(NEXT) | instid1(VALU_DEP_1)
	v_cvt_f16_f32_e32 v26, v26
	v_cvt_f32_f16_e32 v27, v26
	v_mov_b32_e32 v100, v26
.LBB362_73:
	s_or_b32 exec_lo, exec_lo, s14
	v_cvt_f32_f16_e32 v82, v48
	s_delay_alu instid0(VALU_DEP_3) | instskip(SKIP_2) | instid1(VALU_DEP_3)
	v_max_f32_e32 v28, v27, v27
	v_cmp_u_f16_e32 vcc_lo, v26, v26
	v_cmp_u_f16_e64 s14, v48, v48
	v_min_f32_e32 v29, v28, v82
	s_delay_alu instid0(VALU_DEP_1) | instskip(NEXT) | instid1(VALU_DEP_1)
	v_dual_max_f32 v28, v28, v82 :: v_dual_cndmask_b32 v29, v29, v27
	v_cndmask_b32_e32 v28, v28, v27, vcc_lo
	s_delay_alu instid0(VALU_DEP_2) | instskip(NEXT) | instid1(VALU_DEP_2)
	v_cndmask_b32_e64 v29, v29, v82, s14
	v_cndmask_b32_e64 v28, v28, v82, s14
	s_delay_alu instid0(VALU_DEP_2) | instskip(NEXT) | instid1(VALU_DEP_2)
	v_cmp_class_f32_e64 s15, v29, 0x1f8
	v_cmp_neq_f32_e32 vcc_lo, v29, v28
	s_delay_alu instid0(VALU_DEP_2) | instskip(NEXT) | instid1(SALU_CYCLE_1)
	s_or_b32 s16, vcc_lo, s15
	s_and_saveexec_b32 s15, s16
	s_cbranch_execz .LBB362_75
; %bb.74:
	v_sub_f32_e32 v26, v29, v28
	s_mov_b32 s16, 0x3e9b6dac
	s_delay_alu instid0(VALU_DEP_1) | instskip(NEXT) | instid1(VALU_DEP_1)
	v_mul_f32_e32 v27, 0x3fb8aa3b, v26
	v_fma_f32 v29, 0x3fb8aa3b, v26, -v27
	v_rndne_f32_e32 v83, v27
	s_delay_alu instid0(VALU_DEP_1) | instskip(NEXT) | instid1(VALU_DEP_3)
	v_sub_f32_e32 v27, v27, v83
	v_fmamk_f32 v29, v26, 0x32a5705f, v29
	v_cmp_ngt_f32_e32 vcc_lo, 0xc2ce8ed0, v26
	s_delay_alu instid0(VALU_DEP_2) | instskip(SKIP_1) | instid1(VALU_DEP_2)
	v_add_f32_e32 v27, v27, v29
	v_cvt_i32_f32_e32 v29, v83
	v_exp_f32_e32 v27, v27
	s_waitcnt_depctr 0xfff
	v_ldexp_f32 v27, v27, v29
	s_delay_alu instid0(VALU_DEP_1) | instskip(SKIP_1) | instid1(VALU_DEP_2)
	v_cndmask_b32_e32 v27, 0, v27, vcc_lo
	v_cmp_nlt_f32_e32 vcc_lo, 0x42b17218, v26
	v_cndmask_b32_e32 v29, 0x7f800000, v27, vcc_lo
	s_delay_alu instid0(VALU_DEP_1) | instskip(NEXT) | instid1(VALU_DEP_1)
	v_add_f32_e32 v83, 1.0, v29
	v_cvt_f64_f32_e32 v[26:27], v83
	s_delay_alu instid0(VALU_DEP_1) | instskip(SKIP_1) | instid1(VALU_DEP_1)
	v_frexp_exp_i32_f64_e32 v26, v[26:27]
	v_frexp_mant_f32_e32 v27, v83
	v_cmp_gt_f32_e32 vcc_lo, 0x3f2aaaab, v27
	v_add_f32_e32 v27, -1.0, v83
	s_delay_alu instid0(VALU_DEP_1) | instskip(SKIP_1) | instid1(VALU_DEP_2)
	v_sub_f32_e32 v85, v27, v83
	v_sub_f32_e32 v27, v29, v27
	v_add_f32_e32 v85, 1.0, v85
	s_delay_alu instid0(VALU_DEP_1) | instskip(SKIP_1) | instid1(VALU_DEP_1)
	v_add_f32_e32 v27, v27, v85
	v_subrev_co_ci_u32_e32 v26, vcc_lo, 0, v26, vcc_lo
	v_sub_nc_u32_e32 v84, 0, v26
	v_cvt_f32_i32_e32 v26, v26
	s_delay_alu instid0(VALU_DEP_2) | instskip(SKIP_1) | instid1(VALU_DEP_2)
	v_ldexp_f32 v83, v83, v84
	v_ldexp_f32 v27, v27, v84
	v_add_f32_e32 v86, 1.0, v83
	s_delay_alu instid0(VALU_DEP_1) | instskip(NEXT) | instid1(VALU_DEP_1)
	v_dual_add_f32 v84, -1.0, v83 :: v_dual_add_f32 v85, -1.0, v86
	v_add_f32_e32 v87, 1.0, v84
	s_delay_alu instid0(VALU_DEP_2) | instskip(NEXT) | instid1(VALU_DEP_2)
	v_sub_f32_e32 v85, v83, v85
	v_sub_f32_e32 v83, v83, v87
	s_delay_alu instid0(VALU_DEP_2) | instskip(NEXT) | instid1(VALU_DEP_2)
	v_add_f32_e32 v85, v27, v85
	v_add_f32_e32 v27, v27, v83
	s_delay_alu instid0(VALU_DEP_1) | instskip(NEXT) | instid1(VALU_DEP_1)
	v_dual_add_f32 v87, v86, v85 :: v_dual_add_f32 v96, v84, v27
	v_rcp_f32_e32 v83, v87
	v_sub_f32_e32 v86, v86, v87
	s_delay_alu instid0(VALU_DEP_1) | instskip(NEXT) | instid1(VALU_DEP_1)
	v_dual_sub_f32 v84, v84, v96 :: v_dual_add_f32 v85, v85, v86
	v_add_f32_e32 v27, v27, v84
	s_waitcnt_depctr 0xfff
	v_mul_f32_e32 v97, v96, v83
	s_delay_alu instid0(VALU_DEP_1) | instskip(NEXT) | instid1(VALU_DEP_1)
	v_mul_f32_e32 v98, v87, v97
	v_fma_f32 v86, v97, v87, -v98
	s_delay_alu instid0(VALU_DEP_1) | instskip(SKIP_1) | instid1(VALU_DEP_2)
	v_fmac_f32_e32 v86, v97, v85
	v_cmp_eq_f32_e32 vcc_lo, 0x7f800000, v29
	v_add_f32_e32 v100, v98, v86
	s_delay_alu instid0(VALU_DEP_1) | instskip(SKIP_1) | instid1(VALU_DEP_2)
	v_sub_f32_e32 v101, v96, v100
	v_sub_f32_e32 v84, v100, v98
	;; [unrolled: 1-line block ×3, first 2 shown]
	s_delay_alu instid0(VALU_DEP_2) | instskip(NEXT) | instid1(VALU_DEP_2)
	v_sub_f32_e32 v84, v84, v86
	v_sub_f32_e32 v96, v96, v100
	s_delay_alu instid0(VALU_DEP_1) | instskip(NEXT) | instid1(VALU_DEP_1)
	v_add_f32_e32 v27, v27, v96
	v_add_f32_e32 v27, v84, v27
	s_delay_alu instid0(VALU_DEP_1) | instskip(NEXT) | instid1(VALU_DEP_1)
	v_add_f32_e32 v84, v101, v27
	v_mul_f32_e32 v86, v83, v84
	v_sub_f32_e32 v100, v101, v84
	s_delay_alu instid0(VALU_DEP_2) | instskip(NEXT) | instid1(VALU_DEP_2)
	v_mul_f32_e32 v96, v87, v86
	v_add_f32_e32 v27, v27, v100
	s_delay_alu instid0(VALU_DEP_2) | instskip(NEXT) | instid1(VALU_DEP_1)
	v_fma_f32 v87, v86, v87, -v96
	v_fmac_f32_e32 v87, v86, v85
	s_delay_alu instid0(VALU_DEP_1) | instskip(NEXT) | instid1(VALU_DEP_1)
	v_add_f32_e32 v85, v96, v87
	v_sub_f32_e32 v98, v84, v85
	v_sub_f32_e32 v96, v85, v96
	s_delay_alu instid0(VALU_DEP_2) | instskip(NEXT) | instid1(VALU_DEP_1)
	v_sub_f32_e32 v84, v84, v98
	v_sub_f32_e32 v84, v84, v85
	s_delay_alu instid0(VALU_DEP_3) | instskip(NEXT) | instid1(VALU_DEP_2)
	v_sub_f32_e32 v85, v96, v87
	v_dual_add_f32 v27, v27, v84 :: v_dual_add_f32 v84, v97, v86
	s_delay_alu instid0(VALU_DEP_1) | instskip(NEXT) | instid1(VALU_DEP_2)
	v_add_f32_e32 v27, v85, v27
	v_sub_f32_e32 v85, v84, v97
	s_delay_alu instid0(VALU_DEP_2) | instskip(NEXT) | instid1(VALU_DEP_2)
	v_add_f32_e32 v27, v98, v27
	v_sub_f32_e32 v85, v86, v85
	s_delay_alu instid0(VALU_DEP_2) | instskip(NEXT) | instid1(VALU_DEP_1)
	v_mul_f32_e32 v27, v83, v27
	v_add_f32_e32 v27, v85, v27
	s_delay_alu instid0(VALU_DEP_1) | instskip(NEXT) | instid1(VALU_DEP_1)
	v_add_f32_e32 v83, v84, v27
	v_mul_f32_e32 v85, v83, v83
	s_delay_alu instid0(VALU_DEP_1) | instskip(SKIP_2) | instid1(VALU_DEP_3)
	v_fmaak_f32 v86, s16, v85, 0x3ecc95a3
	v_mul_f32_e32 v87, v83, v85
	v_cmp_gt_f32_e64 s16, 0x33800000, |v29|
	v_fmaak_f32 v85, v85, v86, 0x3f2aaada
	v_ldexp_f32 v86, v83, 1
	v_sub_f32_e32 v83, v83, v84
	s_delay_alu instid0(VALU_DEP_4) | instskip(NEXT) | instid1(VALU_DEP_3)
	s_or_b32 vcc_lo, vcc_lo, s16
	v_mul_f32_e32 v85, v87, v85
	v_mul_f32_e32 v87, 0x3f317218, v26
	s_delay_alu instid0(VALU_DEP_2) | instskip(NEXT) | instid1(VALU_DEP_1)
	v_dual_sub_f32 v27, v27, v83 :: v_dual_add_f32 v84, v86, v85
	v_ldexp_f32 v27, v27, 1
	s_delay_alu instid0(VALU_DEP_2) | instskip(NEXT) | instid1(VALU_DEP_4)
	v_sub_f32_e32 v83, v84, v86
	v_fma_f32 v86, 0x3f317218, v26, -v87
	s_delay_alu instid0(VALU_DEP_1) | instskip(NEXT) | instid1(VALU_DEP_1)
	v_dual_sub_f32 v83, v85, v83 :: v_dual_fmamk_f32 v26, v26, 0xb102e308, v86
	v_add_f32_e32 v27, v27, v83
	s_delay_alu instid0(VALU_DEP_2) | instskip(NEXT) | instid1(VALU_DEP_2)
	v_add_f32_e32 v83, v87, v26
	v_add_f32_e32 v85, v84, v27
	s_delay_alu instid0(VALU_DEP_2) | instskip(NEXT) | instid1(VALU_DEP_2)
	v_sub_f32_e32 v87, v83, v87
	v_add_f32_e32 v86, v83, v85
	v_sub_f32_e32 v84, v85, v84
	s_delay_alu instid0(VALU_DEP_3) | instskip(NEXT) | instid1(VALU_DEP_2)
	v_sub_f32_e32 v26, v26, v87
	v_dual_sub_f32 v96, v86, v83 :: v_dual_sub_f32 v27, v27, v84
	s_delay_alu instid0(VALU_DEP_1) | instskip(NEXT) | instid1(VALU_DEP_2)
	v_sub_f32_e32 v97, v86, v96
	v_dual_sub_f32 v84, v85, v96 :: v_dual_add_f32 v85, v26, v27
	s_delay_alu instid0(VALU_DEP_2) | instskip(NEXT) | instid1(VALU_DEP_1)
	v_sub_f32_e32 v83, v83, v97
	v_dual_add_f32 v83, v84, v83 :: v_dual_sub_f32 v84, v85, v26
	s_delay_alu instid0(VALU_DEP_1) | instskip(NEXT) | instid1(VALU_DEP_2)
	v_add_f32_e32 v83, v85, v83
	v_sub_f32_e32 v85, v85, v84
	v_sub_f32_e32 v27, v27, v84
	s_delay_alu instid0(VALU_DEP_3) | instskip(NEXT) | instid1(VALU_DEP_3)
	v_add_f32_e32 v87, v86, v83
	v_sub_f32_e32 v26, v26, v85
	s_delay_alu instid0(VALU_DEP_2) | instskip(NEXT) | instid1(VALU_DEP_2)
	v_sub_f32_e32 v84, v87, v86
	v_add_f32_e32 v26, v27, v26
	s_delay_alu instid0(VALU_DEP_2) | instskip(NEXT) | instid1(VALU_DEP_1)
	v_sub_f32_e32 v27, v83, v84
	v_add_f32_e32 v26, v26, v27
	s_delay_alu instid0(VALU_DEP_1) | instskip(NEXT) | instid1(VALU_DEP_1)
	v_add_f32_e32 v26, v87, v26
	v_cndmask_b32_e32 v26, v26, v29, vcc_lo
	s_delay_alu instid0(VALU_DEP_1) | instskip(NEXT) | instid1(VALU_DEP_1)
	v_add_f32_e32 v26, v28, v26
	v_cvt_f16_f32_e32 v26, v26
	s_delay_alu instid0(VALU_DEP_1)
	v_mov_b32_e32 v100, v26
	v_cvt_f32_f16_e32 v27, v26
.LBB362_75:
	s_or_b32 exec_lo, exec_lo, s15
	v_cvt_f32_f16_e32 v83, v21
	s_delay_alu instid0(VALU_DEP_2) | instskip(SKIP_2) | instid1(VALU_DEP_3)
	v_max_f32_e32 v28, v27, v27
	v_cmp_u_f16_e32 vcc_lo, v26, v26
	v_cmp_u_f16_e64 s15, v21, v21
	v_min_f32_e32 v29, v28, v83
	v_max_f32_e32 v28, v28, v83
	s_delay_alu instid0(VALU_DEP_2) | instskip(NEXT) | instid1(VALU_DEP_2)
	v_cndmask_b32_e32 v29, v29, v27, vcc_lo
	v_cndmask_b32_e32 v28, v28, v27, vcc_lo
	s_delay_alu instid0(VALU_DEP_2) | instskip(NEXT) | instid1(VALU_DEP_2)
	v_cndmask_b32_e64 v29, v29, v83, s15
	v_cndmask_b32_e64 v28, v28, v83, s15
	s_delay_alu instid0(VALU_DEP_2) | instskip(NEXT) | instid1(VALU_DEP_2)
	v_cmp_class_f32_e64 s16, v29, 0x1f8
	v_cmp_neq_f32_e32 vcc_lo, v29, v28
	s_delay_alu instid0(VALU_DEP_2) | instskip(NEXT) | instid1(SALU_CYCLE_1)
	s_or_b32 s17, vcc_lo, s16
	s_and_saveexec_b32 s16, s17
	s_cbranch_execz .LBB362_77
; %bb.76:
	v_sub_f32_e32 v26, v29, v28
	s_mov_b32 s17, 0x3e9b6dac
	s_delay_alu instid0(VALU_DEP_1) | instskip(NEXT) | instid1(VALU_DEP_1)
	v_mul_f32_e32 v27, 0x3fb8aa3b, v26
	v_fma_f32 v29, 0x3fb8aa3b, v26, -v27
	v_rndne_f32_e32 v84, v27
	s_delay_alu instid0(VALU_DEP_2) | instskip(NEXT) | instid1(VALU_DEP_2)
	v_fmamk_f32 v29, v26, 0x32a5705f, v29
	v_sub_f32_e32 v27, v27, v84
	s_delay_alu instid0(VALU_DEP_1) | instskip(SKIP_2) | instid1(VALU_DEP_3)
	v_add_f32_e32 v27, v27, v29
	v_cvt_i32_f32_e32 v29, v84
	v_cmp_ngt_f32_e32 vcc_lo, 0xc2ce8ed0, v26
	v_exp_f32_e32 v27, v27
	s_waitcnt_depctr 0xfff
	v_ldexp_f32 v27, v27, v29
	s_delay_alu instid0(VALU_DEP_1) | instskip(SKIP_1) | instid1(VALU_DEP_2)
	v_cndmask_b32_e32 v27, 0, v27, vcc_lo
	v_cmp_nlt_f32_e32 vcc_lo, 0x42b17218, v26
	v_cndmask_b32_e32 v29, 0x7f800000, v27, vcc_lo
	s_delay_alu instid0(VALU_DEP_1) | instskip(NEXT) | instid1(VALU_DEP_1)
	v_add_f32_e32 v84, 1.0, v29
	v_cvt_f64_f32_e32 v[26:27], v84
	s_delay_alu instid0(VALU_DEP_1) | instskip(SKIP_1) | instid1(VALU_DEP_1)
	v_frexp_exp_i32_f64_e32 v26, v[26:27]
	v_frexp_mant_f32_e32 v27, v84
	v_cmp_gt_f32_e32 vcc_lo, 0x3f2aaaab, v27
	v_add_f32_e32 v27, -1.0, v84
	s_delay_alu instid0(VALU_DEP_1) | instskip(NEXT) | instid1(VALU_DEP_1)
	v_sub_f32_e32 v86, v27, v84
	v_add_f32_e32 v86, 1.0, v86
	v_subrev_co_ci_u32_e32 v26, vcc_lo, 0, v26, vcc_lo
	s_delay_alu instid0(VALU_DEP_1) | instskip(SKIP_1) | instid1(VALU_DEP_2)
	v_sub_nc_u32_e32 v85, 0, v26
	v_cvt_f32_i32_e32 v26, v26
	v_ldexp_f32 v84, v84, v85
	v_sub_f32_e32 v27, v29, v27
	s_delay_alu instid0(VALU_DEP_1) | instskip(NEXT) | instid1(VALU_DEP_1)
	v_add_f32_e32 v27, v27, v86
	v_ldexp_f32 v27, v27, v85
	s_delay_alu instid0(VALU_DEP_4) | instskip(NEXT) | instid1(VALU_DEP_1)
	v_add_f32_e32 v87, 1.0, v84
	v_add_f32_e32 v86, -1.0, v87
	s_delay_alu instid0(VALU_DEP_1) | instskip(NEXT) | instid1(VALU_DEP_1)
	v_sub_f32_e32 v86, v84, v86
	v_dual_add_f32 v86, v27, v86 :: v_dual_add_f32 v85, -1.0, v84
	s_delay_alu instid0(VALU_DEP_1) | instskip(SKIP_1) | instid1(VALU_DEP_2)
	v_add_f32_e32 v96, 1.0, v85
	v_cmp_eq_f32_e32 vcc_lo, 0x7f800000, v29
	v_sub_f32_e32 v84, v84, v96
	s_delay_alu instid0(VALU_DEP_4) | instskip(NEXT) | instid1(VALU_DEP_2)
	v_add_f32_e32 v96, v87, v86
	v_add_f32_e32 v27, v27, v84
	s_delay_alu instid0(VALU_DEP_2) | instskip(SKIP_1) | instid1(VALU_DEP_1)
	v_rcp_f32_e32 v84, v96
	v_sub_f32_e32 v87, v87, v96
	v_add_f32_e32 v86, v86, v87
	s_delay_alu instid0(VALU_DEP_3) | instskip(SKIP_2) | instid1(VALU_DEP_1)
	v_add_f32_e32 v97, v85, v27
	s_waitcnt_depctr 0xfff
	v_mul_f32_e32 v98, v97, v84
	v_dual_sub_f32 v85, v85, v97 :: v_dual_mul_f32 v100, v96, v98
	s_delay_alu instid0(VALU_DEP_1) | instskip(NEXT) | instid1(VALU_DEP_2)
	v_add_f32_e32 v27, v27, v85
	v_fma_f32 v87, v98, v96, -v100
	s_delay_alu instid0(VALU_DEP_1) | instskip(NEXT) | instid1(VALU_DEP_1)
	v_fmac_f32_e32 v87, v98, v86
	v_add_f32_e32 v101, v100, v87
	s_delay_alu instid0(VALU_DEP_1) | instskip(SKIP_1) | instid1(VALU_DEP_2)
	v_sub_f32_e32 v102, v97, v101
	v_sub_f32_e32 v85, v101, v100
	;; [unrolled: 1-line block ×3, first 2 shown]
	s_delay_alu instid0(VALU_DEP_2) | instskip(NEXT) | instid1(VALU_DEP_2)
	v_sub_f32_e32 v85, v85, v87
	v_sub_f32_e32 v97, v97, v101
	s_delay_alu instid0(VALU_DEP_1) | instskip(NEXT) | instid1(VALU_DEP_1)
	v_add_f32_e32 v27, v27, v97
	v_add_f32_e32 v27, v85, v27
	s_delay_alu instid0(VALU_DEP_1) | instskip(NEXT) | instid1(VALU_DEP_1)
	v_add_f32_e32 v85, v102, v27
	v_mul_f32_e32 v87, v84, v85
	v_sub_f32_e32 v101, v102, v85
	s_delay_alu instid0(VALU_DEP_2) | instskip(NEXT) | instid1(VALU_DEP_2)
	v_mul_f32_e32 v97, v96, v87
	v_add_f32_e32 v27, v27, v101
	s_delay_alu instid0(VALU_DEP_2) | instskip(NEXT) | instid1(VALU_DEP_1)
	v_fma_f32 v96, v87, v96, -v97
	v_fmac_f32_e32 v96, v87, v86
	s_delay_alu instid0(VALU_DEP_1) | instskip(NEXT) | instid1(VALU_DEP_1)
	v_add_f32_e32 v86, v97, v96
	v_dual_sub_f32 v100, v85, v86 :: v_dual_sub_f32 v97, v86, v97
	s_delay_alu instid0(VALU_DEP_1) | instskip(NEXT) | instid1(VALU_DEP_1)
	v_sub_f32_e32 v85, v85, v100
	v_sub_f32_e32 v85, v85, v86
	s_delay_alu instid0(VALU_DEP_1) | instskip(SKIP_1) | instid1(VALU_DEP_1)
	v_dual_sub_f32 v86, v97, v96 :: v_dual_add_f32 v27, v27, v85
	v_add_f32_e32 v85, v98, v87
	v_dual_add_f32 v27, v86, v27 :: v_dual_sub_f32 v86, v85, v98
	s_delay_alu instid0(VALU_DEP_1) | instskip(NEXT) | instid1(VALU_DEP_1)
	v_dual_add_f32 v27, v100, v27 :: v_dual_sub_f32 v86, v87, v86
	v_mul_f32_e32 v27, v84, v27
	s_delay_alu instid0(VALU_DEP_1) | instskip(NEXT) | instid1(VALU_DEP_1)
	v_add_f32_e32 v27, v86, v27
	v_add_f32_e32 v84, v85, v27
	s_delay_alu instid0(VALU_DEP_1) | instskip(NEXT) | instid1(VALU_DEP_1)
	v_mul_f32_e32 v86, v84, v84
	v_fmaak_f32 v87, s17, v86, 0x3ecc95a3
	v_mul_f32_e32 v96, v84, v86
	v_cmp_gt_f32_e64 s17, 0x33800000, |v29|
	s_delay_alu instid0(VALU_DEP_3) | instskip(SKIP_2) | instid1(VALU_DEP_4)
	v_fmaak_f32 v86, v86, v87, 0x3f2aaada
	v_ldexp_f32 v87, v84, 1
	v_sub_f32_e32 v84, v84, v85
	s_or_b32 vcc_lo, vcc_lo, s17
	s_delay_alu instid0(VALU_DEP_3) | instskip(NEXT) | instid1(VALU_DEP_2)
	v_mul_f32_e32 v86, v96, v86
	v_dual_mul_f32 v96, 0x3f317218, v26 :: v_dual_sub_f32 v27, v27, v84
	s_delay_alu instid0(VALU_DEP_2) | instskip(NEXT) | instid1(VALU_DEP_2)
	v_add_f32_e32 v85, v87, v86
	v_ldexp_f32 v27, v27, 1
	s_delay_alu instid0(VALU_DEP_2) | instskip(NEXT) | instid1(VALU_DEP_4)
	v_sub_f32_e32 v84, v85, v87
	v_fma_f32 v87, 0x3f317218, v26, -v96
	s_delay_alu instid0(VALU_DEP_2) | instskip(NEXT) | instid1(VALU_DEP_1)
	v_sub_f32_e32 v84, v86, v84
	v_dual_fmamk_f32 v26, v26, 0xb102e308, v87 :: v_dual_add_f32 v27, v27, v84
	s_delay_alu instid0(VALU_DEP_1) | instskip(NEXT) | instid1(VALU_DEP_2)
	v_add_f32_e32 v84, v96, v26
	v_add_f32_e32 v86, v85, v27
	s_delay_alu instid0(VALU_DEP_2) | instskip(NEXT) | instid1(VALU_DEP_2)
	v_sub_f32_e32 v96, v84, v96
	v_add_f32_e32 v87, v84, v86
	v_sub_f32_e32 v85, v86, v85
	s_delay_alu instid0(VALU_DEP_3) | instskip(NEXT) | instid1(VALU_DEP_3)
	v_sub_f32_e32 v26, v26, v96
	v_sub_f32_e32 v97, v87, v84
	s_delay_alu instid0(VALU_DEP_3) | instskip(NEXT) | instid1(VALU_DEP_2)
	v_sub_f32_e32 v27, v27, v85
	v_sub_f32_e32 v98, v87, v97
	;; [unrolled: 1-line block ×3, first 2 shown]
	s_delay_alu instid0(VALU_DEP_3) | instskip(NEXT) | instid1(VALU_DEP_3)
	v_add_f32_e32 v86, v26, v27
	v_sub_f32_e32 v84, v84, v98
	s_delay_alu instid0(VALU_DEP_1) | instskip(NEXT) | instid1(VALU_DEP_1)
	v_dual_add_f32 v84, v85, v84 :: v_dual_sub_f32 v85, v86, v26
	v_add_f32_e32 v84, v86, v84
	s_delay_alu instid0(VALU_DEP_2) | instskip(SKIP_1) | instid1(VALU_DEP_3)
	v_sub_f32_e32 v86, v86, v85
	v_sub_f32_e32 v27, v27, v85
	v_add_f32_e32 v96, v87, v84
	s_delay_alu instid0(VALU_DEP_1) | instskip(NEXT) | instid1(VALU_DEP_1)
	v_dual_sub_f32 v26, v26, v86 :: v_dual_sub_f32 v85, v96, v87
	v_dual_add_f32 v26, v27, v26 :: v_dual_sub_f32 v27, v84, v85
	s_delay_alu instid0(VALU_DEP_1) | instskip(NEXT) | instid1(VALU_DEP_1)
	v_add_f32_e32 v26, v26, v27
	v_add_f32_e32 v26, v96, v26
	s_delay_alu instid0(VALU_DEP_1) | instskip(NEXT) | instid1(VALU_DEP_1)
	v_cndmask_b32_e32 v26, v26, v29, vcc_lo
	v_add_f32_e32 v26, v28, v26
	s_delay_alu instid0(VALU_DEP_1) | instskip(NEXT) | instid1(VALU_DEP_1)
	v_cvt_f16_f32_e32 v26, v26
	v_cvt_f32_f16_e32 v27, v26
	v_mov_b32_e32 v100, v26
.LBB362_77:
	s_or_b32 exec_lo, exec_lo, s16
	v_cvt_f32_f16_e32 v84, v39
	s_delay_alu instid0(VALU_DEP_3) | instskip(SKIP_2) | instid1(VALU_DEP_3)
	v_max_f32_e32 v28, v27, v27
	v_cmp_u_f16_e32 vcc_lo, v26, v26
	v_cmp_u_f16_e64 s16, v39, v39
	v_min_f32_e32 v29, v28, v84
	s_delay_alu instid0(VALU_DEP_1) | instskip(NEXT) | instid1(VALU_DEP_1)
	v_dual_max_f32 v28, v28, v84 :: v_dual_cndmask_b32 v29, v29, v27
	v_cndmask_b32_e32 v28, v28, v27, vcc_lo
	s_delay_alu instid0(VALU_DEP_2) | instskip(NEXT) | instid1(VALU_DEP_2)
	v_cndmask_b32_e64 v29, v29, v84, s16
	v_cndmask_b32_e64 v28, v28, v84, s16
	s_delay_alu instid0(VALU_DEP_2) | instskip(NEXT) | instid1(VALU_DEP_2)
	v_cmp_class_f32_e64 s17, v29, 0x1f8
	v_cmp_neq_f32_e32 vcc_lo, v29, v28
	s_delay_alu instid0(VALU_DEP_2) | instskip(NEXT) | instid1(SALU_CYCLE_1)
	s_or_b32 s18, vcc_lo, s17
	s_and_saveexec_b32 s17, s18
	s_cbranch_execz .LBB362_79
; %bb.78:
	v_sub_f32_e32 v26, v29, v28
	s_mov_b32 s18, 0x3e9b6dac
	s_delay_alu instid0(VALU_DEP_1) | instskip(NEXT) | instid1(VALU_DEP_1)
	v_mul_f32_e32 v27, 0x3fb8aa3b, v26
	v_fma_f32 v29, 0x3fb8aa3b, v26, -v27
	v_rndne_f32_e32 v85, v27
	s_delay_alu instid0(VALU_DEP_1) | instskip(NEXT) | instid1(VALU_DEP_3)
	v_sub_f32_e32 v27, v27, v85
	v_fmamk_f32 v29, v26, 0x32a5705f, v29
	v_cmp_ngt_f32_e32 vcc_lo, 0xc2ce8ed0, v26
	s_delay_alu instid0(VALU_DEP_2) | instskip(SKIP_1) | instid1(VALU_DEP_2)
	v_add_f32_e32 v27, v27, v29
	v_cvt_i32_f32_e32 v29, v85
	v_exp_f32_e32 v27, v27
	s_waitcnt_depctr 0xfff
	v_ldexp_f32 v27, v27, v29
	s_delay_alu instid0(VALU_DEP_1) | instskip(SKIP_1) | instid1(VALU_DEP_2)
	v_cndmask_b32_e32 v27, 0, v27, vcc_lo
	v_cmp_nlt_f32_e32 vcc_lo, 0x42b17218, v26
	v_cndmask_b32_e32 v29, 0x7f800000, v27, vcc_lo
	s_delay_alu instid0(VALU_DEP_1) | instskip(NEXT) | instid1(VALU_DEP_1)
	v_add_f32_e32 v85, 1.0, v29
	v_cvt_f64_f32_e32 v[26:27], v85
	s_delay_alu instid0(VALU_DEP_1) | instskip(SKIP_1) | instid1(VALU_DEP_1)
	v_frexp_exp_i32_f64_e32 v26, v[26:27]
	v_frexp_mant_f32_e32 v27, v85
	v_cmp_gt_f32_e32 vcc_lo, 0x3f2aaaab, v27
	v_add_f32_e32 v27, -1.0, v85
	s_delay_alu instid0(VALU_DEP_1) | instskip(SKIP_1) | instid1(VALU_DEP_2)
	v_sub_f32_e32 v87, v27, v85
	v_sub_f32_e32 v27, v29, v27
	v_add_f32_e32 v87, 1.0, v87
	s_delay_alu instid0(VALU_DEP_1) | instskip(SKIP_1) | instid1(VALU_DEP_1)
	v_add_f32_e32 v27, v27, v87
	v_subrev_co_ci_u32_e32 v26, vcc_lo, 0, v26, vcc_lo
	v_sub_nc_u32_e32 v86, 0, v26
	v_cvt_f32_i32_e32 v26, v26
	s_delay_alu instid0(VALU_DEP_2) | instskip(SKIP_1) | instid1(VALU_DEP_2)
	v_ldexp_f32 v85, v85, v86
	v_ldexp_f32 v27, v27, v86
	v_add_f32_e32 v96, 1.0, v85
	s_delay_alu instid0(VALU_DEP_1) | instskip(NEXT) | instid1(VALU_DEP_1)
	v_dual_add_f32 v86, -1.0, v85 :: v_dual_add_f32 v87, -1.0, v96
	v_add_f32_e32 v97, 1.0, v86
	s_delay_alu instid0(VALU_DEP_2) | instskip(NEXT) | instid1(VALU_DEP_2)
	v_sub_f32_e32 v87, v85, v87
	v_sub_f32_e32 v85, v85, v97
	s_delay_alu instid0(VALU_DEP_2) | instskip(NEXT) | instid1(VALU_DEP_1)
	v_add_f32_e32 v87, v27, v87
	v_add_f32_e32 v97, v96, v87
	s_delay_alu instid0(VALU_DEP_3) | instskip(NEXT) | instid1(VALU_DEP_2)
	v_add_f32_e32 v27, v27, v85
	v_rcp_f32_e32 v85, v97
	s_delay_alu instid0(VALU_DEP_1) | instskip(SKIP_2) | instid1(VALU_DEP_2)
	v_add_f32_e32 v98, v86, v27
	v_sub_f32_e32 v96, v96, v97
	v_cmp_eq_f32_e32 vcc_lo, 0x7f800000, v29
	v_dual_sub_f32 v86, v86, v98 :: v_dual_add_f32 v87, v87, v96
	s_waitcnt_depctr 0xfff
	v_dual_mul_f32 v100, v98, v85 :: v_dual_add_f32 v27, v27, v86
	s_delay_alu instid0(VALU_DEP_1) | instskip(NEXT) | instid1(VALU_DEP_1)
	v_mul_f32_e32 v101, v97, v100
	v_fma_f32 v96, v100, v97, -v101
	s_delay_alu instid0(VALU_DEP_1) | instskip(NEXT) | instid1(VALU_DEP_1)
	v_fmac_f32_e32 v96, v100, v87
	v_add_f32_e32 v102, v101, v96
	s_delay_alu instid0(VALU_DEP_1) | instskip(SKIP_1) | instid1(VALU_DEP_2)
	v_sub_f32_e32 v103, v98, v102
	v_sub_f32_e32 v86, v102, v101
	;; [unrolled: 1-line block ×3, first 2 shown]
	s_delay_alu instid0(VALU_DEP_2) | instskip(NEXT) | instid1(VALU_DEP_2)
	v_sub_f32_e32 v86, v86, v96
	v_sub_f32_e32 v98, v98, v102
	s_delay_alu instid0(VALU_DEP_1) | instskip(NEXT) | instid1(VALU_DEP_1)
	v_add_f32_e32 v27, v27, v98
	v_add_f32_e32 v27, v86, v27
	s_delay_alu instid0(VALU_DEP_1) | instskip(NEXT) | instid1(VALU_DEP_1)
	v_add_f32_e32 v86, v103, v27
	v_mul_f32_e32 v96, v85, v86
	v_sub_f32_e32 v102, v103, v86
	s_delay_alu instid0(VALU_DEP_1) | instskip(NEXT) | instid1(VALU_DEP_1)
	v_dual_mul_f32 v98, v97, v96 :: v_dual_add_f32 v27, v27, v102
	v_fma_f32 v97, v96, v97, -v98
	s_delay_alu instid0(VALU_DEP_1) | instskip(NEXT) | instid1(VALU_DEP_1)
	v_fmac_f32_e32 v97, v96, v87
	v_add_f32_e32 v87, v98, v97
	s_delay_alu instid0(VALU_DEP_1) | instskip(NEXT) | instid1(VALU_DEP_1)
	v_dual_sub_f32 v101, v86, v87 :: v_dual_sub_f32 v98, v87, v98
	v_sub_f32_e32 v86, v86, v101
	s_delay_alu instid0(VALU_DEP_1) | instskip(NEXT) | instid1(VALU_DEP_3)
	v_sub_f32_e32 v86, v86, v87
	v_sub_f32_e32 v87, v98, v97
	s_delay_alu instid0(VALU_DEP_2) | instskip(NEXT) | instid1(VALU_DEP_1)
	v_dual_add_f32 v27, v27, v86 :: v_dual_add_f32 v86, v100, v96
	v_add_f32_e32 v27, v87, v27
	s_delay_alu instid0(VALU_DEP_2) | instskip(NEXT) | instid1(VALU_DEP_2)
	v_sub_f32_e32 v87, v86, v100
	v_add_f32_e32 v27, v101, v27
	s_delay_alu instid0(VALU_DEP_2) | instskip(NEXT) | instid1(VALU_DEP_2)
	v_sub_f32_e32 v87, v96, v87
	v_mul_f32_e32 v27, v85, v27
	s_delay_alu instid0(VALU_DEP_1) | instskip(NEXT) | instid1(VALU_DEP_1)
	v_add_f32_e32 v27, v87, v27
	v_add_f32_e32 v85, v86, v27
	s_delay_alu instid0(VALU_DEP_1) | instskip(NEXT) | instid1(VALU_DEP_1)
	v_mul_f32_e32 v87, v85, v85
	v_fmaak_f32 v96, s18, v87, 0x3ecc95a3
	v_mul_f32_e32 v97, v85, v87
	v_cmp_gt_f32_e64 s18, 0x33800000, |v29|
	s_delay_alu instid0(VALU_DEP_3) | instskip(SKIP_2) | instid1(VALU_DEP_4)
	v_fmaak_f32 v87, v87, v96, 0x3f2aaada
	v_ldexp_f32 v96, v85, 1
	v_sub_f32_e32 v85, v85, v86
	s_or_b32 vcc_lo, vcc_lo, s18
	s_delay_alu instid0(VALU_DEP_3) | instskip(SKIP_1) | instid1(VALU_DEP_2)
	v_mul_f32_e32 v87, v97, v87
	v_mul_f32_e32 v97, 0x3f317218, v26
	v_dual_sub_f32 v27, v27, v85 :: v_dual_add_f32 v86, v96, v87
	s_delay_alu instid0(VALU_DEP_1) | instskip(NEXT) | instid1(VALU_DEP_2)
	v_ldexp_f32 v27, v27, 1
	v_sub_f32_e32 v85, v86, v96
	s_delay_alu instid0(VALU_DEP_4) | instskip(NEXT) | instid1(VALU_DEP_1)
	v_fma_f32 v96, 0x3f317218, v26, -v97
	v_dual_sub_f32 v85, v87, v85 :: v_dual_fmamk_f32 v26, v26, 0xb102e308, v96
	s_delay_alu instid0(VALU_DEP_1) | instskip(NEXT) | instid1(VALU_DEP_2)
	v_add_f32_e32 v27, v27, v85
	v_add_f32_e32 v85, v97, v26
	s_delay_alu instid0(VALU_DEP_2) | instskip(NEXT) | instid1(VALU_DEP_2)
	v_add_f32_e32 v87, v86, v27
	v_sub_f32_e32 v97, v85, v97
	s_delay_alu instid0(VALU_DEP_2) | instskip(SKIP_1) | instid1(VALU_DEP_3)
	v_add_f32_e32 v96, v85, v87
	v_sub_f32_e32 v86, v87, v86
	v_sub_f32_e32 v26, v26, v97
	s_delay_alu instid0(VALU_DEP_2) | instskip(NEXT) | instid1(VALU_DEP_1)
	v_dual_sub_f32 v98, v96, v85 :: v_dual_sub_f32 v27, v27, v86
	v_sub_f32_e32 v100, v96, v98
	s_delay_alu instid0(VALU_DEP_2) | instskip(NEXT) | instid1(VALU_DEP_2)
	v_dual_sub_f32 v86, v87, v98 :: v_dual_add_f32 v87, v26, v27
	v_sub_f32_e32 v85, v85, v100
	s_delay_alu instid0(VALU_DEP_1) | instskip(NEXT) | instid1(VALU_DEP_1)
	v_dual_add_f32 v85, v86, v85 :: v_dual_sub_f32 v86, v87, v26
	v_add_f32_e32 v85, v87, v85
	s_delay_alu instid0(VALU_DEP_2) | instskip(SKIP_1) | instid1(VALU_DEP_2)
	v_sub_f32_e32 v87, v87, v86
	v_sub_f32_e32 v27, v27, v86
	v_dual_add_f32 v97, v96, v85 :: v_dual_sub_f32 v26, v26, v87
	s_delay_alu instid0(VALU_DEP_1) | instskip(NEXT) | instid1(VALU_DEP_2)
	v_sub_f32_e32 v86, v97, v96
	v_add_f32_e32 v26, v27, v26
	s_delay_alu instid0(VALU_DEP_2) | instskip(NEXT) | instid1(VALU_DEP_1)
	v_sub_f32_e32 v27, v85, v86
	v_add_f32_e32 v26, v26, v27
	s_delay_alu instid0(VALU_DEP_1) | instskip(NEXT) | instid1(VALU_DEP_1)
	v_add_f32_e32 v26, v97, v26
	v_cndmask_b32_e32 v26, v26, v29, vcc_lo
	s_delay_alu instid0(VALU_DEP_1) | instskip(NEXT) | instid1(VALU_DEP_1)
	v_add_f32_e32 v26, v28, v26
	v_cvt_f16_f32_e32 v26, v26
	s_delay_alu instid0(VALU_DEP_1)
	v_cvt_f32_f16_e32 v27, v26
	v_mov_b32_e32 v100, v26
.LBB362_79:
	s_or_b32 exec_lo, exec_lo, s17
	v_cvt_f32_f16_e32 v85, v18
	s_delay_alu instid0(VALU_DEP_3) | instskip(SKIP_2) | instid1(VALU_DEP_3)
	v_max_f32_e32 v28, v27, v27
	v_cmp_u_f16_e32 vcc_lo, v26, v26
	v_cmp_u_f16_e64 s17, v18, v18
	v_min_f32_e32 v29, v28, v85
	s_delay_alu instid0(VALU_DEP_1) | instskip(NEXT) | instid1(VALU_DEP_1)
	v_dual_max_f32 v28, v28, v85 :: v_dual_cndmask_b32 v29, v29, v27
	v_cndmask_b32_e32 v28, v28, v27, vcc_lo
	s_delay_alu instid0(VALU_DEP_2) | instskip(NEXT) | instid1(VALU_DEP_2)
	v_cndmask_b32_e64 v29, v29, v85, s17
	v_cndmask_b32_e64 v28, v28, v85, s17
	s_delay_alu instid0(VALU_DEP_2) | instskip(NEXT) | instid1(VALU_DEP_2)
	v_cmp_class_f32_e64 s18, v29, 0x1f8
	v_cmp_neq_f32_e32 vcc_lo, v29, v28
	s_delay_alu instid0(VALU_DEP_2) | instskip(NEXT) | instid1(SALU_CYCLE_1)
	s_or_b32 s19, vcc_lo, s18
	s_and_saveexec_b32 s18, s19
	s_cbranch_execz .LBB362_81
; %bb.80:
	v_sub_f32_e32 v26, v29, v28
	s_mov_b32 s19, 0x3e9b6dac
	s_delay_alu instid0(VALU_DEP_1) | instskip(NEXT) | instid1(VALU_DEP_1)
	v_mul_f32_e32 v27, 0x3fb8aa3b, v26
	v_fma_f32 v29, 0x3fb8aa3b, v26, -v27
	v_rndne_f32_e32 v86, v27
	s_delay_alu instid0(VALU_DEP_1) | instskip(NEXT) | instid1(VALU_DEP_3)
	v_sub_f32_e32 v27, v27, v86
	v_fmamk_f32 v29, v26, 0x32a5705f, v29
	v_cmp_ngt_f32_e32 vcc_lo, 0xc2ce8ed0, v26
	s_delay_alu instid0(VALU_DEP_2) | instskip(SKIP_1) | instid1(VALU_DEP_2)
	v_add_f32_e32 v27, v27, v29
	v_cvt_i32_f32_e32 v29, v86
	v_exp_f32_e32 v27, v27
	s_waitcnt_depctr 0xfff
	v_ldexp_f32 v27, v27, v29
	s_delay_alu instid0(VALU_DEP_1) | instskip(SKIP_1) | instid1(VALU_DEP_2)
	v_cndmask_b32_e32 v27, 0, v27, vcc_lo
	v_cmp_nlt_f32_e32 vcc_lo, 0x42b17218, v26
	v_cndmask_b32_e32 v29, 0x7f800000, v27, vcc_lo
	s_delay_alu instid0(VALU_DEP_1) | instskip(NEXT) | instid1(VALU_DEP_1)
	v_add_f32_e32 v86, 1.0, v29
	v_cvt_f64_f32_e32 v[26:27], v86
	s_delay_alu instid0(VALU_DEP_1) | instskip(SKIP_1) | instid1(VALU_DEP_1)
	v_frexp_exp_i32_f64_e32 v26, v[26:27]
	v_frexp_mant_f32_e32 v27, v86
	v_cmp_gt_f32_e32 vcc_lo, 0x3f2aaaab, v27
	v_add_f32_e32 v27, -1.0, v86
	s_delay_alu instid0(VALU_DEP_1) | instskip(NEXT) | instid1(VALU_DEP_1)
	v_sub_f32_e32 v96, v27, v86
	v_add_f32_e32 v96, 1.0, v96
	v_subrev_co_ci_u32_e32 v26, vcc_lo, 0, v26, vcc_lo
	s_delay_alu instid0(VALU_DEP_1) | instskip(SKIP_1) | instid1(VALU_DEP_2)
	v_sub_nc_u32_e32 v87, 0, v26
	v_cvt_f32_i32_e32 v26, v26
	v_ldexp_f32 v86, v86, v87
	v_sub_f32_e32 v27, v29, v27
	s_delay_alu instid0(VALU_DEP_1) | instskip(NEXT) | instid1(VALU_DEP_1)
	v_add_f32_e32 v27, v27, v96
	v_ldexp_f32 v27, v27, v87
	s_delay_alu instid0(VALU_DEP_4) | instskip(NEXT) | instid1(VALU_DEP_1)
	v_add_f32_e32 v97, 1.0, v86
	v_add_f32_e32 v96, -1.0, v97
	s_delay_alu instid0(VALU_DEP_1) | instskip(SKIP_1) | instid1(VALU_DEP_2)
	v_sub_f32_e32 v96, v86, v96
	v_cmp_eq_f32_e32 vcc_lo, 0x7f800000, v29
	v_dual_add_f32 v96, v27, v96 :: v_dual_add_f32 v87, -1.0, v86
	s_delay_alu instid0(VALU_DEP_1) | instskip(NEXT) | instid1(VALU_DEP_1)
	v_add_f32_e32 v98, 1.0, v87
	v_sub_f32_e32 v86, v86, v98
	s_delay_alu instid0(VALU_DEP_3) | instskip(NEXT) | instid1(VALU_DEP_1)
	v_add_f32_e32 v98, v97, v96
	v_sub_f32_e32 v97, v97, v98
	s_delay_alu instid0(VALU_DEP_3) | instskip(SKIP_1) | instid1(VALU_DEP_2)
	v_add_f32_e32 v27, v27, v86
	v_rcp_f32_e32 v86, v98
	v_add_f32_e32 v96, v96, v97
	s_delay_alu instid0(VALU_DEP_2) | instskip(SKIP_2) | instid1(VALU_DEP_1)
	v_add_f32_e32 v100, v87, v27
	s_waitcnt_depctr 0xfff
	v_mul_f32_e32 v101, v100, v86
	v_mul_f32_e32 v102, v98, v101
	s_delay_alu instid0(VALU_DEP_1) | instskip(NEXT) | instid1(VALU_DEP_1)
	v_fma_f32 v97, v101, v98, -v102
	v_fmac_f32_e32 v97, v101, v96
	s_delay_alu instid0(VALU_DEP_1) | instskip(NEXT) | instid1(VALU_DEP_1)
	v_add_f32_e32 v103, v102, v97
	v_dual_sub_f32 v87, v87, v100 :: v_dual_sub_f32 v112, v100, v103
	s_delay_alu instid0(VALU_DEP_1) | instskip(NEXT) | instid1(VALU_DEP_1)
	v_sub_f32_e32 v100, v100, v112
	v_sub_f32_e32 v100, v100, v103
	s_delay_alu instid0(VALU_DEP_3) | instskip(SKIP_1) | instid1(VALU_DEP_2)
	v_add_f32_e32 v27, v27, v87
	v_sub_f32_e32 v87, v103, v102
	v_add_f32_e32 v27, v27, v100
	s_delay_alu instid0(VALU_DEP_2) | instskip(NEXT) | instid1(VALU_DEP_1)
	v_sub_f32_e32 v87, v87, v97
	v_add_f32_e32 v27, v87, v27
	s_delay_alu instid0(VALU_DEP_1) | instskip(NEXT) | instid1(VALU_DEP_1)
	v_add_f32_e32 v87, v112, v27
	v_mul_f32_e32 v97, v86, v87
	s_delay_alu instid0(VALU_DEP_1) | instskip(NEXT) | instid1(VALU_DEP_1)
	v_dual_mul_f32 v100, v98, v97 :: v_dual_sub_f32 v103, v112, v87
	v_fma_f32 v98, v97, v98, -v100
	s_delay_alu instid0(VALU_DEP_1) | instskip(NEXT) | instid1(VALU_DEP_1)
	v_dual_add_f32 v27, v27, v103 :: v_dual_fmac_f32 v98, v97, v96
	v_add_f32_e32 v96, v100, v98
	s_delay_alu instid0(VALU_DEP_1) | instskip(NEXT) | instid1(VALU_DEP_1)
	v_sub_f32_e32 v102, v87, v96
	v_dual_sub_f32 v100, v96, v100 :: v_dual_sub_f32 v87, v87, v102
	s_delay_alu instid0(VALU_DEP_1) | instskip(NEXT) | instid1(VALU_DEP_1)
	v_dual_sub_f32 v87, v87, v96 :: v_dual_sub_f32 v96, v100, v98
	v_add_f32_e32 v27, v27, v87
	v_add_f32_e32 v87, v101, v97
	s_delay_alu instid0(VALU_DEP_1) | instskip(NEXT) | instid1(VALU_DEP_1)
	v_dual_add_f32 v27, v96, v27 :: v_dual_sub_f32 v96, v87, v101
	v_dual_add_f32 v27, v102, v27 :: v_dual_sub_f32 v96, v97, v96
	s_delay_alu instid0(VALU_DEP_1) | instskip(NEXT) | instid1(VALU_DEP_1)
	v_mul_f32_e32 v27, v86, v27
	v_add_f32_e32 v27, v96, v27
	s_delay_alu instid0(VALU_DEP_1) | instskip(NEXT) | instid1(VALU_DEP_1)
	v_add_f32_e32 v86, v87, v27
	v_mul_f32_e32 v96, v86, v86
	s_delay_alu instid0(VALU_DEP_1) | instskip(SKIP_2) | instid1(VALU_DEP_3)
	v_fmaak_f32 v97, s19, v96, 0x3ecc95a3
	v_mul_f32_e32 v98, v86, v96
	v_cmp_gt_f32_e64 s19, 0x33800000, |v29|
	v_fmaak_f32 v96, v96, v97, 0x3f2aaada
	v_ldexp_f32 v97, v86, 1
	s_delay_alu instid0(VALU_DEP_3) | instskip(NEXT) | instid1(VALU_DEP_2)
	s_or_b32 vcc_lo, vcc_lo, s19
	v_mul_f32_e32 v96, v98, v96
	v_sub_f32_e32 v86, v86, v87
	s_delay_alu instid0(VALU_DEP_2) | instskip(NEXT) | instid1(VALU_DEP_2)
	v_dual_mul_f32 v98, 0x3f317218, v26 :: v_dual_add_f32 v87, v97, v96
	v_sub_f32_e32 v27, v27, v86
	s_delay_alu instid0(VALU_DEP_2) | instskip(NEXT) | instid1(VALU_DEP_3)
	v_sub_f32_e32 v86, v87, v97
	v_fma_f32 v97, 0x3f317218, v26, -v98
	s_delay_alu instid0(VALU_DEP_3) | instskip(NEXT) | instid1(VALU_DEP_3)
	v_ldexp_f32 v27, v27, 1
	v_sub_f32_e32 v86, v96, v86
	s_delay_alu instid0(VALU_DEP_1) | instskip(NEXT) | instid1(VALU_DEP_1)
	v_dual_fmamk_f32 v26, v26, 0xb102e308, v97 :: v_dual_add_f32 v27, v27, v86
	v_add_f32_e32 v96, v87, v27
	s_delay_alu instid0(VALU_DEP_1) | instskip(NEXT) | instid1(VALU_DEP_1)
	v_dual_add_f32 v86, v98, v26 :: v_dual_sub_f32 v87, v96, v87
	v_add_f32_e32 v97, v86, v96
	s_delay_alu instid0(VALU_DEP_2) | instskip(NEXT) | instid1(VALU_DEP_2)
	v_dual_sub_f32 v98, v86, v98 :: v_dual_sub_f32 v27, v27, v87
	v_sub_f32_e32 v100, v97, v86
	s_delay_alu instid0(VALU_DEP_1) | instskip(NEXT) | instid1(VALU_DEP_1)
	v_dual_sub_f32 v101, v97, v100 :: v_dual_sub_f32 v26, v26, v98
	v_dual_sub_f32 v87, v96, v100 :: v_dual_sub_f32 v86, v86, v101
	s_delay_alu instid0(VALU_DEP_2) | instskip(NEXT) | instid1(VALU_DEP_2)
	v_add_f32_e32 v96, v26, v27
	v_add_f32_e32 v86, v87, v86
	s_delay_alu instid0(VALU_DEP_2) | instskip(NEXT) | instid1(VALU_DEP_2)
	v_sub_f32_e32 v87, v96, v26
	v_add_f32_e32 v86, v96, v86
	s_delay_alu instid0(VALU_DEP_2) | instskip(NEXT) | instid1(VALU_DEP_1)
	v_sub_f32_e32 v96, v96, v87
	v_sub_f32_e32 v26, v26, v96
	s_delay_alu instid0(VALU_DEP_3) | instskip(NEXT) | instid1(VALU_DEP_1)
	v_dual_add_f32 v98, v97, v86 :: v_dual_sub_f32 v27, v27, v87
	v_dual_sub_f32 v87, v98, v97 :: v_dual_add_f32 v26, v27, v26
	s_delay_alu instid0(VALU_DEP_1) | instskip(NEXT) | instid1(VALU_DEP_1)
	v_sub_f32_e32 v27, v86, v87
	v_add_f32_e32 v26, v26, v27
	s_delay_alu instid0(VALU_DEP_1) | instskip(NEXT) | instid1(VALU_DEP_1)
	v_add_f32_e32 v26, v98, v26
	v_cndmask_b32_e32 v26, v26, v29, vcc_lo
	s_delay_alu instid0(VALU_DEP_1) | instskip(NEXT) | instid1(VALU_DEP_1)
	v_add_f32_e32 v26, v28, v26
	v_cvt_f16_f32_e32 v26, v26
	s_delay_alu instid0(VALU_DEP_1)
	v_cvt_f32_f16_e32 v27, v26
	v_mov_b32_e32 v100, v26
.LBB362_81:
	s_or_b32 exec_lo, exec_lo, s18
	v_cvt_f32_f16_e32 v86, v38
	s_delay_alu instid0(VALU_DEP_3) | instskip(SKIP_2) | instid1(VALU_DEP_3)
	v_max_f32_e32 v28, v27, v27
	v_cmp_u_f16_e32 vcc_lo, v26, v26
	v_cmp_u_f16_e64 s18, v38, v38
	v_min_f32_e32 v29, v28, v86
	s_delay_alu instid0(VALU_DEP_1) | instskip(NEXT) | instid1(VALU_DEP_1)
	v_dual_max_f32 v28, v28, v86 :: v_dual_cndmask_b32 v29, v29, v27
	v_cndmask_b32_e32 v28, v28, v27, vcc_lo
	s_delay_alu instid0(VALU_DEP_2) | instskip(NEXT) | instid1(VALU_DEP_2)
	v_cndmask_b32_e64 v29, v29, v86, s18
	v_cndmask_b32_e64 v28, v28, v86, s18
	s_delay_alu instid0(VALU_DEP_2) | instskip(NEXT) | instid1(VALU_DEP_2)
	v_cmp_class_f32_e64 s19, v29, 0x1f8
	v_cmp_neq_f32_e32 vcc_lo, v29, v28
	s_delay_alu instid0(VALU_DEP_2) | instskip(NEXT) | instid1(SALU_CYCLE_1)
	s_or_b32 s20, vcc_lo, s19
	s_and_saveexec_b32 s19, s20
	s_cbranch_execz .LBB362_83
; %bb.82:
	v_sub_f32_e32 v26, v29, v28
	s_mov_b32 s20, 0x3e9b6dac
	s_delay_alu instid0(VALU_DEP_1) | instskip(NEXT) | instid1(VALU_DEP_1)
	v_mul_f32_e32 v27, 0x3fb8aa3b, v26
	v_fma_f32 v29, 0x3fb8aa3b, v26, -v27
	v_rndne_f32_e32 v87, v27
	s_delay_alu instid0(VALU_DEP_1) | instskip(NEXT) | instid1(VALU_DEP_3)
	v_sub_f32_e32 v27, v27, v87
	v_fmamk_f32 v29, v26, 0x32a5705f, v29
	v_cmp_ngt_f32_e32 vcc_lo, 0xc2ce8ed0, v26
	s_delay_alu instid0(VALU_DEP_2) | instskip(SKIP_1) | instid1(VALU_DEP_2)
	v_add_f32_e32 v27, v27, v29
	v_cvt_i32_f32_e32 v29, v87
	v_exp_f32_e32 v27, v27
	s_waitcnt_depctr 0xfff
	v_ldexp_f32 v27, v27, v29
	s_delay_alu instid0(VALU_DEP_1) | instskip(SKIP_1) | instid1(VALU_DEP_2)
	v_cndmask_b32_e32 v27, 0, v27, vcc_lo
	v_cmp_nlt_f32_e32 vcc_lo, 0x42b17218, v26
	v_cndmask_b32_e32 v29, 0x7f800000, v27, vcc_lo
	s_delay_alu instid0(VALU_DEP_1) | instskip(NEXT) | instid1(VALU_DEP_1)
	v_add_f32_e32 v87, 1.0, v29
	v_cvt_f64_f32_e32 v[26:27], v87
	s_delay_alu instid0(VALU_DEP_1) | instskip(SKIP_1) | instid1(VALU_DEP_1)
	v_frexp_exp_i32_f64_e32 v26, v[26:27]
	v_frexp_mant_f32_e32 v27, v87
	v_cmp_gt_f32_e32 vcc_lo, 0x3f2aaaab, v27
	v_add_f32_e32 v27, -1.0, v87
	s_delay_alu instid0(VALU_DEP_1) | instskip(SKIP_1) | instid1(VALU_DEP_2)
	v_sub_f32_e32 v97, v27, v87
	v_sub_f32_e32 v27, v29, v27
	v_add_f32_e32 v97, 1.0, v97
	s_delay_alu instid0(VALU_DEP_1) | instskip(SKIP_1) | instid1(VALU_DEP_1)
	v_add_f32_e32 v27, v27, v97
	v_subrev_co_ci_u32_e32 v26, vcc_lo, 0, v26, vcc_lo
	v_sub_nc_u32_e32 v96, 0, v26
	v_cvt_f32_i32_e32 v26, v26
	s_delay_alu instid0(VALU_DEP_2) | instskip(SKIP_1) | instid1(VALU_DEP_2)
	v_ldexp_f32 v87, v87, v96
	v_ldexp_f32 v27, v27, v96
	v_add_f32_e32 v98, 1.0, v87
	s_delay_alu instid0(VALU_DEP_1) | instskip(NEXT) | instid1(VALU_DEP_1)
	v_dual_add_f32 v96, -1.0, v87 :: v_dual_add_f32 v97, -1.0, v98
	v_dual_add_f32 v100, 1.0, v96 :: v_dual_sub_f32 v97, v87, v97
	s_delay_alu instid0(VALU_DEP_1) | instskip(NEXT) | instid1(VALU_DEP_2)
	v_sub_f32_e32 v87, v87, v100
	v_add_f32_e32 v97, v27, v97
	s_delay_alu instid0(VALU_DEP_1) | instskip(NEXT) | instid1(VALU_DEP_1)
	v_dual_add_f32 v27, v27, v87 :: v_dual_add_f32 v100, v98, v97
	v_rcp_f32_e32 v87, v100
	s_delay_alu instid0(VALU_DEP_1) | instskip(SKIP_1) | instid1(VALU_DEP_2)
	v_dual_add_f32 v101, v96, v27 :: v_dual_sub_f32 v98, v98, v100
	v_cmp_eq_f32_e32 vcc_lo, 0x7f800000, v29
	v_dual_sub_f32 v96, v96, v101 :: v_dual_add_f32 v97, v97, v98
	s_waitcnt_depctr 0xfff
	v_dual_mul_f32 v102, v101, v87 :: v_dual_add_f32 v27, v27, v96
	s_delay_alu instid0(VALU_DEP_1) | instskip(NEXT) | instid1(VALU_DEP_1)
	v_mul_f32_e32 v103, v100, v102
	v_fma_f32 v98, v102, v100, -v103
	s_delay_alu instid0(VALU_DEP_1) | instskip(NEXT) | instid1(VALU_DEP_1)
	v_fmac_f32_e32 v98, v102, v97
	v_add_f32_e32 v112, v103, v98
	s_delay_alu instid0(VALU_DEP_1) | instskip(NEXT) | instid1(VALU_DEP_1)
	v_dual_sub_f32 v113, v101, v112 :: v_dual_sub_f32 v96, v112, v103
	v_dual_sub_f32 v101, v101, v113 :: v_dual_sub_f32 v96, v96, v98
	s_delay_alu instid0(VALU_DEP_1) | instskip(NEXT) | instid1(VALU_DEP_1)
	v_sub_f32_e32 v101, v101, v112
	v_add_f32_e32 v27, v27, v101
	s_delay_alu instid0(VALU_DEP_1) | instskip(NEXT) | instid1(VALU_DEP_1)
	v_add_f32_e32 v27, v96, v27
	v_add_f32_e32 v96, v113, v27
	s_delay_alu instid0(VALU_DEP_1) | instskip(NEXT) | instid1(VALU_DEP_1)
	v_mul_f32_e32 v98, v87, v96
	v_dual_sub_f32 v112, v113, v96 :: v_dual_mul_f32 v101, v100, v98
	s_delay_alu instid0(VALU_DEP_1) | instskip(NEXT) | instid1(VALU_DEP_2)
	v_add_f32_e32 v27, v27, v112
	v_fma_f32 v100, v98, v100, -v101
	s_delay_alu instid0(VALU_DEP_1) | instskip(NEXT) | instid1(VALU_DEP_1)
	v_fmac_f32_e32 v100, v98, v97
	v_add_f32_e32 v97, v101, v100
	s_delay_alu instid0(VALU_DEP_1) | instskip(NEXT) | instid1(VALU_DEP_1)
	v_sub_f32_e32 v103, v96, v97
	v_dual_sub_f32 v101, v97, v101 :: v_dual_sub_f32 v96, v96, v103
	s_delay_alu instid0(VALU_DEP_1) | instskip(NEXT) | instid1(VALU_DEP_1)
	v_dual_sub_f32 v96, v96, v97 :: v_dual_sub_f32 v97, v101, v100
	v_dual_add_f32 v27, v27, v96 :: v_dual_add_f32 v96, v102, v98
	s_delay_alu instid0(VALU_DEP_1) | instskip(NEXT) | instid1(VALU_DEP_2)
	v_add_f32_e32 v27, v97, v27
	v_sub_f32_e32 v97, v96, v102
	s_delay_alu instid0(VALU_DEP_2) | instskip(NEXT) | instid1(VALU_DEP_2)
	v_add_f32_e32 v27, v103, v27
	v_sub_f32_e32 v97, v98, v97
	s_delay_alu instid0(VALU_DEP_2) | instskip(NEXT) | instid1(VALU_DEP_1)
	v_mul_f32_e32 v27, v87, v27
	v_add_f32_e32 v27, v97, v27
	s_delay_alu instid0(VALU_DEP_1) | instskip(NEXT) | instid1(VALU_DEP_1)
	v_add_f32_e32 v87, v96, v27
	v_mul_f32_e32 v97, v87, v87
	s_delay_alu instid0(VALU_DEP_1) | instskip(SKIP_2) | instid1(VALU_DEP_3)
	v_fmaak_f32 v98, s20, v97, 0x3ecc95a3
	v_mul_f32_e32 v100, v87, v97
	v_cmp_gt_f32_e64 s20, 0x33800000, |v29|
	v_fmaak_f32 v97, v97, v98, 0x3f2aaada
	v_ldexp_f32 v98, v87, 1
	v_sub_f32_e32 v87, v87, v96
	s_delay_alu instid0(VALU_DEP_4) | instskip(NEXT) | instid1(VALU_DEP_3)
	s_or_b32 vcc_lo, vcc_lo, s20
	v_dual_mul_f32 v97, v100, v97 :: v_dual_mul_f32 v100, 0x3f317218, v26
	s_delay_alu instid0(VALU_DEP_1) | instskip(NEXT) | instid1(VALU_DEP_1)
	v_dual_sub_f32 v27, v27, v87 :: v_dual_add_f32 v96, v98, v97
	v_ldexp_f32 v27, v27, 1
	s_delay_alu instid0(VALU_DEP_2) | instskip(NEXT) | instid1(VALU_DEP_4)
	v_sub_f32_e32 v87, v96, v98
	v_fma_f32 v98, 0x3f317218, v26, -v100
	s_delay_alu instid0(VALU_DEP_1) | instskip(NEXT) | instid1(VALU_DEP_1)
	v_dual_sub_f32 v87, v97, v87 :: v_dual_fmamk_f32 v26, v26, 0xb102e308, v98
	v_add_f32_e32 v27, v27, v87
	s_delay_alu instid0(VALU_DEP_2) | instskip(NEXT) | instid1(VALU_DEP_1)
	v_add_f32_e32 v87, v100, v26
	v_dual_add_f32 v97, v96, v27 :: v_dual_sub_f32 v100, v87, v100
	s_delay_alu instid0(VALU_DEP_1) | instskip(SKIP_1) | instid1(VALU_DEP_3)
	v_add_f32_e32 v98, v87, v97
	v_sub_f32_e32 v96, v97, v96
	v_sub_f32_e32 v26, v26, v100
	s_delay_alu instid0(VALU_DEP_3) | instskip(NEXT) | instid1(VALU_DEP_1)
	v_sub_f32_e32 v101, v98, v87
	v_dual_sub_f32 v27, v27, v96 :: v_dual_sub_f32 v102, v98, v101
	s_delay_alu instid0(VALU_DEP_1) | instskip(NEXT) | instid1(VALU_DEP_2)
	v_dual_sub_f32 v96, v97, v101 :: v_dual_add_f32 v97, v26, v27
	v_sub_f32_e32 v87, v87, v102
	s_delay_alu instid0(VALU_DEP_1) | instskip(NEXT) | instid1(VALU_DEP_1)
	v_dual_add_f32 v87, v96, v87 :: v_dual_sub_f32 v96, v97, v26
	v_add_f32_e32 v87, v97, v87
	s_delay_alu instid0(VALU_DEP_2) | instskip(NEXT) | instid1(VALU_DEP_2)
	v_sub_f32_e32 v97, v97, v96
	v_dual_sub_f32 v27, v27, v96 :: v_dual_add_f32 v100, v98, v87
	s_delay_alu instid0(VALU_DEP_2) | instskip(NEXT) | instid1(VALU_DEP_2)
	v_sub_f32_e32 v26, v26, v97
	v_sub_f32_e32 v96, v100, v98
	s_delay_alu instid0(VALU_DEP_2) | instskip(NEXT) | instid1(VALU_DEP_2)
	v_add_f32_e32 v26, v27, v26
	v_sub_f32_e32 v27, v87, v96
	s_delay_alu instid0(VALU_DEP_1) | instskip(NEXT) | instid1(VALU_DEP_1)
	v_add_f32_e32 v26, v26, v27
	v_add_f32_e32 v26, v100, v26
	s_delay_alu instid0(VALU_DEP_1) | instskip(NEXT) | instid1(VALU_DEP_1)
	v_cndmask_b32_e32 v26, v26, v29, vcc_lo
	v_add_f32_e32 v26, v28, v26
	s_delay_alu instid0(VALU_DEP_1) | instskip(NEXT) | instid1(VALU_DEP_1)
	v_cvt_f16_f32_e32 v26, v26
	v_mov_b32_e32 v100, v26
	v_cvt_f32_f16_e32 v27, v26
.LBB362_83:
	s_or_b32 exec_lo, exec_lo, s19
	v_cvt_f32_f16_e32 v87, v19
	s_delay_alu instid0(VALU_DEP_2) | instskip(SKIP_2) | instid1(VALU_DEP_3)
	v_max_f32_e32 v28, v27, v27
	v_cmp_u_f16_e32 vcc_lo, v26, v26
	v_cmp_u_f16_e64 s19, v19, v19
	v_min_f32_e32 v29, v28, v87
	v_max_f32_e32 v28, v28, v87
	s_delay_alu instid0(VALU_DEP_2) | instskip(NEXT) | instid1(VALU_DEP_2)
	v_cndmask_b32_e32 v29, v29, v27, vcc_lo
	v_cndmask_b32_e32 v28, v28, v27, vcc_lo
	s_delay_alu instid0(VALU_DEP_2) | instskip(NEXT) | instid1(VALU_DEP_2)
	v_cndmask_b32_e64 v29, v29, v87, s19
	v_cndmask_b32_e64 v28, v28, v87, s19
	s_delay_alu instid0(VALU_DEP_2) | instskip(NEXT) | instid1(VALU_DEP_2)
	v_cmp_class_f32_e64 s20, v29, 0x1f8
	v_cmp_neq_f32_e32 vcc_lo, v29, v28
	s_delay_alu instid0(VALU_DEP_2) | instskip(NEXT) | instid1(SALU_CYCLE_1)
	s_or_b32 s21, vcc_lo, s20
	s_and_saveexec_b32 s20, s21
	s_cbranch_execz .LBB362_85
; %bb.84:
	v_sub_f32_e32 v26, v29, v28
	s_mov_b32 s21, 0x3e9b6dac
	s_delay_alu instid0(VALU_DEP_1) | instskip(NEXT) | instid1(VALU_DEP_1)
	v_mul_f32_e32 v27, 0x3fb8aa3b, v26
	v_fma_f32 v29, 0x3fb8aa3b, v26, -v27
	v_rndne_f32_e32 v96, v27
	s_delay_alu instid0(VALU_DEP_2) | instskip(NEXT) | instid1(VALU_DEP_2)
	v_fmamk_f32 v29, v26, 0x32a5705f, v29
	v_sub_f32_e32 v27, v27, v96
	s_delay_alu instid0(VALU_DEP_1) | instskip(SKIP_2) | instid1(VALU_DEP_3)
	v_add_f32_e32 v27, v27, v29
	v_cvt_i32_f32_e32 v29, v96
	v_cmp_ngt_f32_e32 vcc_lo, 0xc2ce8ed0, v26
	v_exp_f32_e32 v27, v27
	s_waitcnt_depctr 0xfff
	v_ldexp_f32 v27, v27, v29
	s_delay_alu instid0(VALU_DEP_1) | instskip(SKIP_1) | instid1(VALU_DEP_2)
	v_cndmask_b32_e32 v27, 0, v27, vcc_lo
	v_cmp_nlt_f32_e32 vcc_lo, 0x42b17218, v26
	v_cndmask_b32_e32 v29, 0x7f800000, v27, vcc_lo
	s_delay_alu instid0(VALU_DEP_1) | instskip(NEXT) | instid1(VALU_DEP_1)
	v_add_f32_e32 v96, 1.0, v29
	v_cvt_f64_f32_e32 v[26:27], v96
	s_delay_alu instid0(VALU_DEP_1) | instskip(SKIP_1) | instid1(VALU_DEP_1)
	v_frexp_exp_i32_f64_e32 v26, v[26:27]
	v_frexp_mant_f32_e32 v27, v96
	v_cmp_gt_f32_e32 vcc_lo, 0x3f2aaaab, v27
	v_add_f32_e32 v27, -1.0, v96
	s_delay_alu instid0(VALU_DEP_1) | instskip(NEXT) | instid1(VALU_DEP_1)
	v_sub_f32_e32 v98, v27, v96
	v_add_f32_e32 v98, 1.0, v98
	v_subrev_co_ci_u32_e32 v26, vcc_lo, 0, v26, vcc_lo
	s_delay_alu instid0(VALU_DEP_1) | instskip(SKIP_1) | instid1(VALU_DEP_2)
	v_sub_nc_u32_e32 v97, 0, v26
	v_cvt_f32_i32_e32 v26, v26
	v_ldexp_f32 v96, v96, v97
	s_delay_alu instid0(VALU_DEP_1) | instskip(NEXT) | instid1(VALU_DEP_1)
	v_dual_sub_f32 v27, v29, v27 :: v_dual_add_f32 v100, 1.0, v96
	v_dual_add_f32 v27, v27, v98 :: v_dual_add_f32 v98, -1.0, v100
	s_delay_alu instid0(VALU_DEP_1) | instskip(SKIP_1) | instid1(VALU_DEP_3)
	v_ldexp_f32 v27, v27, v97
	v_cmp_eq_f32_e32 vcc_lo, 0x7f800000, v29
	v_dual_sub_f32 v98, v96, v98 :: v_dual_add_f32 v97, -1.0, v96
	s_delay_alu instid0(VALU_DEP_1) | instskip(NEXT) | instid1(VALU_DEP_1)
	v_dual_add_f32 v98, v27, v98 :: v_dual_add_f32 v101, 1.0, v97
	v_sub_f32_e32 v96, v96, v101
	s_delay_alu instid0(VALU_DEP_2) | instskip(NEXT) | instid1(VALU_DEP_1)
	v_add_f32_e32 v101, v100, v98
	v_sub_f32_e32 v100, v100, v101
	s_delay_alu instid0(VALU_DEP_1) | instskip(NEXT) | instid1(VALU_DEP_4)
	v_add_f32_e32 v98, v98, v100
	v_add_f32_e32 v27, v27, v96
	v_rcp_f32_e32 v96, v101
	s_delay_alu instid0(VALU_DEP_1) | instskip(NEXT) | instid1(VALU_DEP_1)
	v_add_f32_e32 v102, v97, v27
	v_sub_f32_e32 v97, v97, v102
	s_waitcnt_depctr 0xfff
	v_mul_f32_e32 v103, v102, v96
	s_delay_alu instid0(VALU_DEP_1) | instskip(NEXT) | instid1(VALU_DEP_1)
	v_dual_mul_f32 v112, v101, v103 :: v_dual_add_f32 v27, v27, v97
	v_fma_f32 v100, v103, v101, -v112
	s_delay_alu instid0(VALU_DEP_1) | instskip(NEXT) | instid1(VALU_DEP_1)
	v_fmac_f32_e32 v100, v103, v98
	v_add_f32_e32 v113, v112, v100
	s_delay_alu instid0(VALU_DEP_1) | instskip(NEXT) | instid1(VALU_DEP_1)
	v_sub_f32_e32 v114, v102, v113
	v_dual_sub_f32 v102, v102, v114 :: v_dual_sub_f32 v97, v113, v112
	s_delay_alu instid0(VALU_DEP_1) | instskip(NEXT) | instid1(VALU_DEP_1)
	v_dual_sub_f32 v102, v102, v113 :: v_dual_sub_f32 v97, v97, v100
	v_add_f32_e32 v27, v27, v102
	s_delay_alu instid0(VALU_DEP_1) | instskip(NEXT) | instid1(VALU_DEP_1)
	v_add_f32_e32 v27, v97, v27
	v_add_f32_e32 v97, v114, v27
	s_delay_alu instid0(VALU_DEP_1) | instskip(NEXT) | instid1(VALU_DEP_1)
	v_mul_f32_e32 v100, v96, v97
	v_dual_sub_f32 v113, v114, v97 :: v_dual_mul_f32 v102, v101, v100
	s_delay_alu instid0(VALU_DEP_1) | instskip(NEXT) | instid1(VALU_DEP_1)
	v_fma_f32 v101, v100, v101, -v102
	v_fmac_f32_e32 v101, v100, v98
	s_delay_alu instid0(VALU_DEP_1) | instskip(NEXT) | instid1(VALU_DEP_1)
	v_add_f32_e32 v98, v102, v101
	v_sub_f32_e32 v112, v97, v98
	v_dual_sub_f32 v102, v98, v102 :: v_dual_add_f32 v27, v27, v113
	s_delay_alu instid0(VALU_DEP_2) | instskip(NEXT) | instid1(VALU_DEP_1)
	v_sub_f32_e32 v97, v97, v112
	v_dual_sub_f32 v97, v97, v98 :: v_dual_sub_f32 v98, v102, v101
	s_delay_alu instid0(VALU_DEP_1) | instskip(SKIP_1) | instid1(VALU_DEP_2)
	v_add_f32_e32 v27, v27, v97
	v_add_f32_e32 v97, v103, v100
	;; [unrolled: 1-line block ×3, first 2 shown]
	s_delay_alu instid0(VALU_DEP_2) | instskip(NEXT) | instid1(VALU_DEP_2)
	v_sub_f32_e32 v98, v97, v103
	v_add_f32_e32 v27, v112, v27
	s_delay_alu instid0(VALU_DEP_2) | instskip(NEXT) | instid1(VALU_DEP_2)
	v_sub_f32_e32 v98, v100, v98
	v_mul_f32_e32 v27, v96, v27
	s_delay_alu instid0(VALU_DEP_1) | instskip(NEXT) | instid1(VALU_DEP_1)
	v_add_f32_e32 v27, v98, v27
	v_add_f32_e32 v96, v97, v27
	s_delay_alu instid0(VALU_DEP_1) | instskip(NEXT) | instid1(VALU_DEP_1)
	v_mul_f32_e32 v98, v96, v96
	v_fmaak_f32 v100, s21, v98, 0x3ecc95a3
	v_mul_f32_e32 v101, v96, v98
	v_cmp_gt_f32_e64 s21, 0x33800000, |v29|
	s_delay_alu instid0(VALU_DEP_3) | instskip(SKIP_1) | instid1(VALU_DEP_3)
	v_fmaak_f32 v98, v98, v100, 0x3f2aaada
	v_ldexp_f32 v100, v96, 1
	s_or_b32 vcc_lo, vcc_lo, s21
	s_delay_alu instid0(VALU_DEP_2) | instskip(SKIP_1) | instid1(VALU_DEP_2)
	v_mul_f32_e32 v98, v101, v98
	v_sub_f32_e32 v96, v96, v97
	v_add_f32_e32 v97, v100, v98
	s_delay_alu instid0(VALU_DEP_2) | instskip(NEXT) | instid1(VALU_DEP_2)
	v_sub_f32_e32 v27, v27, v96
	v_sub_f32_e32 v96, v97, v100
	s_delay_alu instid0(VALU_DEP_2) | instskip(NEXT) | instid1(VALU_DEP_2)
	v_ldexp_f32 v27, v27, 1
	v_sub_f32_e32 v96, v98, v96
	s_delay_alu instid0(VALU_DEP_1) | instskip(NEXT) | instid1(VALU_DEP_1)
	v_add_f32_e32 v27, v27, v96
	v_dual_mul_f32 v101, 0x3f317218, v26 :: v_dual_add_f32 v98, v97, v27
	s_delay_alu instid0(VALU_DEP_1) | instskip(NEXT) | instid1(VALU_DEP_2)
	v_fma_f32 v100, 0x3f317218, v26, -v101
	v_sub_f32_e32 v97, v98, v97
	s_delay_alu instid0(VALU_DEP_2) | instskip(NEXT) | instid1(VALU_DEP_1)
	v_fmamk_f32 v26, v26, 0xb102e308, v100
	v_add_f32_e32 v96, v101, v26
	s_delay_alu instid0(VALU_DEP_1) | instskip(SKIP_1) | instid1(VALU_DEP_2)
	v_add_f32_e32 v100, v96, v98
	v_sub_f32_e32 v101, v96, v101
	v_sub_f32_e32 v102, v100, v96
	s_delay_alu instid0(VALU_DEP_2) | instskip(SKIP_1) | instid1(VALU_DEP_3)
	v_sub_f32_e32 v26, v26, v101
	v_sub_f32_e32 v27, v27, v97
	;; [unrolled: 1-line block ×4, first 2 shown]
	s_delay_alu instid0(VALU_DEP_1) | instskip(NEXT) | instid1(VALU_DEP_4)
	v_sub_f32_e32 v96, v96, v103
	v_add_f32_e32 v98, v26, v27
	s_delay_alu instid0(VALU_DEP_1) | instskip(NEXT) | instid1(VALU_DEP_1)
	v_dual_add_f32 v96, v97, v96 :: v_dual_sub_f32 v97, v98, v26
	v_dual_add_f32 v96, v98, v96 :: v_dual_sub_f32 v27, v27, v97
	s_delay_alu instid0(VALU_DEP_1) | instskip(NEXT) | instid1(VALU_DEP_1)
	v_dual_sub_f32 v98, v98, v97 :: v_dual_add_f32 v101, v100, v96
	v_dual_sub_f32 v26, v26, v98 :: v_dual_sub_f32 v97, v101, v100
	s_delay_alu instid0(VALU_DEP_1) | instskip(NEXT) | instid1(VALU_DEP_1)
	v_dual_add_f32 v26, v27, v26 :: v_dual_sub_f32 v27, v96, v97
	v_add_f32_e32 v26, v26, v27
	s_delay_alu instid0(VALU_DEP_1) | instskip(NEXT) | instid1(VALU_DEP_1)
	v_add_f32_e32 v26, v101, v26
	v_cndmask_b32_e32 v26, v26, v29, vcc_lo
	s_delay_alu instid0(VALU_DEP_1) | instskip(NEXT) | instid1(VALU_DEP_1)
	v_add_f32_e32 v26, v28, v26
	v_cvt_f16_f32_e32 v26, v26
	s_delay_alu instid0(VALU_DEP_1)
	v_cvt_f32_f16_e32 v27, v26
	v_mov_b32_e32 v100, v26
.LBB362_85:
	s_or_b32 exec_lo, exec_lo, s20
	v_cvt_f32_f16_e32 v96, v37
	s_delay_alu instid0(VALU_DEP_3) | instskip(SKIP_2) | instid1(VALU_DEP_3)
	v_max_f32_e32 v28, v27, v27
	v_cmp_u_f16_e32 vcc_lo, v26, v26
	v_cmp_u_f16_e64 s20, v37, v37
	v_min_f32_e32 v29, v28, v96
	s_delay_alu instid0(VALU_DEP_1) | instskip(NEXT) | instid1(VALU_DEP_1)
	v_dual_max_f32 v28, v28, v96 :: v_dual_cndmask_b32 v29, v29, v27
	v_cndmask_b32_e32 v28, v28, v27, vcc_lo
	s_delay_alu instid0(VALU_DEP_2) | instskip(NEXT) | instid1(VALU_DEP_2)
	v_cndmask_b32_e64 v29, v29, v96, s20
	v_cndmask_b32_e64 v28, v28, v96, s20
	s_delay_alu instid0(VALU_DEP_2) | instskip(NEXT) | instid1(VALU_DEP_2)
	v_cmp_class_f32_e64 s21, v29, 0x1f8
	v_cmp_neq_f32_e32 vcc_lo, v29, v28
	s_delay_alu instid0(VALU_DEP_2) | instskip(NEXT) | instid1(SALU_CYCLE_1)
	s_or_b32 s22, vcc_lo, s21
	s_and_saveexec_b32 s21, s22
	s_cbranch_execz .LBB362_87
; %bb.86:
	v_sub_f32_e32 v26, v29, v28
	s_mov_b32 s22, 0x3e9b6dac
	s_delay_alu instid0(VALU_DEP_1) | instskip(NEXT) | instid1(VALU_DEP_1)
	v_mul_f32_e32 v27, 0x3fb8aa3b, v26
	v_fma_f32 v29, 0x3fb8aa3b, v26, -v27
	v_rndne_f32_e32 v97, v27
	s_delay_alu instid0(VALU_DEP_1) | instskip(NEXT) | instid1(VALU_DEP_3)
	v_sub_f32_e32 v27, v27, v97
	v_fmamk_f32 v29, v26, 0x32a5705f, v29
	v_cmp_ngt_f32_e32 vcc_lo, 0xc2ce8ed0, v26
	s_delay_alu instid0(VALU_DEP_2) | instskip(SKIP_1) | instid1(VALU_DEP_2)
	v_add_f32_e32 v27, v27, v29
	v_cvt_i32_f32_e32 v29, v97
	v_exp_f32_e32 v27, v27
	s_waitcnt_depctr 0xfff
	v_ldexp_f32 v27, v27, v29
	s_delay_alu instid0(VALU_DEP_1) | instskip(SKIP_1) | instid1(VALU_DEP_2)
	v_cndmask_b32_e32 v27, 0, v27, vcc_lo
	v_cmp_nlt_f32_e32 vcc_lo, 0x42b17218, v26
	v_cndmask_b32_e32 v29, 0x7f800000, v27, vcc_lo
	s_delay_alu instid0(VALU_DEP_1) | instskip(NEXT) | instid1(VALU_DEP_1)
	v_add_f32_e32 v97, 1.0, v29
	v_cvt_f64_f32_e32 v[26:27], v97
	s_delay_alu instid0(VALU_DEP_1) | instskip(SKIP_1) | instid1(VALU_DEP_1)
	v_frexp_exp_i32_f64_e32 v26, v[26:27]
	v_frexp_mant_f32_e32 v27, v97
	v_cmp_gt_f32_e32 vcc_lo, 0x3f2aaaab, v27
	v_add_f32_e32 v27, -1.0, v97
	s_delay_alu instid0(VALU_DEP_1) | instskip(NEXT) | instid1(VALU_DEP_1)
	v_dual_sub_f32 v100, v27, v97 :: v_dual_sub_f32 v27, v29, v27
	v_add_f32_e32 v100, 1.0, v100
	s_delay_alu instid0(VALU_DEP_1) | instskip(SKIP_1) | instid1(VALU_DEP_1)
	v_add_f32_e32 v27, v27, v100
	v_subrev_co_ci_u32_e32 v26, vcc_lo, 0, v26, vcc_lo
	v_sub_nc_u32_e32 v98, 0, v26
	v_cvt_f32_i32_e32 v26, v26
	s_delay_alu instid0(VALU_DEP_2) | instskip(SKIP_1) | instid1(VALU_DEP_2)
	v_ldexp_f32 v97, v97, v98
	v_ldexp_f32 v27, v27, v98
	v_add_f32_e32 v101, 1.0, v97
	v_add_f32_e32 v98, -1.0, v97
	v_cmp_eq_f32_e32 vcc_lo, 0x7f800000, v29
	s_delay_alu instid0(VALU_DEP_3) | instskip(NEXT) | instid1(VALU_DEP_3)
	v_add_f32_e32 v100, -1.0, v101
	v_add_f32_e32 v102, 1.0, v98
	s_delay_alu instid0(VALU_DEP_2) | instskip(NEXT) | instid1(VALU_DEP_1)
	v_sub_f32_e32 v100, v97, v100
	v_dual_sub_f32 v97, v97, v102 :: v_dual_add_f32 v100, v27, v100
	s_delay_alu instid0(VALU_DEP_1) | instskip(NEXT) | instid1(VALU_DEP_1)
	v_add_f32_e32 v102, v101, v100
	v_sub_f32_e32 v101, v101, v102
	s_delay_alu instid0(VALU_DEP_1) | instskip(NEXT) | instid1(VALU_DEP_4)
	v_add_f32_e32 v100, v100, v101
	v_add_f32_e32 v27, v27, v97
	v_rcp_f32_e32 v97, v102
	s_delay_alu instid0(VALU_DEP_1) | instskip(SKIP_2) | instid1(VALU_DEP_1)
	v_add_f32_e32 v103, v98, v27
	s_waitcnt_depctr 0xfff
	v_mul_f32_e32 v112, v103, v97
	v_mul_f32_e32 v113, v102, v112
	s_delay_alu instid0(VALU_DEP_1) | instskip(NEXT) | instid1(VALU_DEP_1)
	v_fma_f32 v101, v112, v102, -v113
	v_fmac_f32_e32 v101, v112, v100
	s_delay_alu instid0(VALU_DEP_1) | instskip(SKIP_1) | instid1(VALU_DEP_1)
	v_add_f32_e32 v114, v113, v101
	v_sub_f32_e32 v98, v98, v103
	v_dual_add_f32 v27, v27, v98 :: v_dual_sub_f32 v98, v114, v113
	s_delay_alu instid0(VALU_DEP_1) | instskip(NEXT) | instid1(VALU_DEP_1)
	v_dual_sub_f32 v115, v103, v114 :: v_dual_sub_f32 v98, v98, v101
	v_sub_f32_e32 v103, v103, v115
	s_delay_alu instid0(VALU_DEP_1) | instskip(NEXT) | instid1(VALU_DEP_1)
	v_sub_f32_e32 v103, v103, v114
	v_add_f32_e32 v27, v27, v103
	s_delay_alu instid0(VALU_DEP_1) | instskip(NEXT) | instid1(VALU_DEP_1)
	v_add_f32_e32 v27, v98, v27
	v_add_f32_e32 v98, v115, v27
	s_delay_alu instid0(VALU_DEP_1) | instskip(SKIP_1) | instid1(VALU_DEP_2)
	v_sub_f32_e32 v114, v115, v98
	v_mul_f32_e32 v101, v97, v98
	v_add_f32_e32 v27, v27, v114
	s_delay_alu instid0(VALU_DEP_2) | instskip(NEXT) | instid1(VALU_DEP_1)
	v_mul_f32_e32 v103, v102, v101
	v_fma_f32 v102, v101, v102, -v103
	s_delay_alu instid0(VALU_DEP_1) | instskip(NEXT) | instid1(VALU_DEP_1)
	v_fmac_f32_e32 v102, v101, v100
	v_add_f32_e32 v100, v103, v102
	s_delay_alu instid0(VALU_DEP_1) | instskip(SKIP_1) | instid1(VALU_DEP_1)
	v_sub_f32_e32 v103, v100, v103
	v_sub_f32_e32 v113, v98, v100
	;; [unrolled: 1-line block ×3, first 2 shown]
	s_delay_alu instid0(VALU_DEP_1) | instskip(NEXT) | instid1(VALU_DEP_4)
	v_sub_f32_e32 v98, v98, v100
	v_sub_f32_e32 v100, v103, v102
	s_delay_alu instid0(VALU_DEP_2) | instskip(NEXT) | instid1(VALU_DEP_1)
	v_dual_add_f32 v27, v27, v98 :: v_dual_add_f32 v98, v112, v101
	v_dual_add_f32 v27, v100, v27 :: v_dual_sub_f32 v100, v98, v112
	s_delay_alu instid0(VALU_DEP_1) | instskip(NEXT) | instid1(VALU_DEP_2)
	v_add_f32_e32 v27, v113, v27
	v_sub_f32_e32 v100, v101, v100
	s_delay_alu instid0(VALU_DEP_2) | instskip(NEXT) | instid1(VALU_DEP_1)
	v_mul_f32_e32 v27, v97, v27
	v_add_f32_e32 v27, v100, v27
	s_delay_alu instid0(VALU_DEP_1) | instskip(NEXT) | instid1(VALU_DEP_1)
	v_add_f32_e32 v97, v98, v27
	v_mul_f32_e32 v100, v97, v97
	s_delay_alu instid0(VALU_DEP_1) | instskip(SKIP_2) | instid1(VALU_DEP_3)
	v_fmaak_f32 v101, s22, v100, 0x3ecc95a3
	v_mul_f32_e32 v102, v97, v100
	v_cmp_gt_f32_e64 s22, 0x33800000, |v29|
	v_fmaak_f32 v100, v100, v101, 0x3f2aaada
	v_ldexp_f32 v101, v97, 1
	v_sub_f32_e32 v97, v97, v98
	s_delay_alu instid0(VALU_DEP_4) | instskip(NEXT) | instid1(VALU_DEP_3)
	s_or_b32 vcc_lo, vcc_lo, s22
	v_mul_f32_e32 v100, v102, v100
	s_delay_alu instid0(VALU_DEP_2) | instskip(NEXT) | instid1(VALU_DEP_2)
	v_dual_mul_f32 v102, 0x3f317218, v26 :: v_dual_sub_f32 v27, v27, v97
	v_add_f32_e32 v98, v101, v100
	s_delay_alu instid0(VALU_DEP_2) | instskip(NEXT) | instid1(VALU_DEP_2)
	v_ldexp_f32 v27, v27, 1
	v_sub_f32_e32 v97, v98, v101
	s_delay_alu instid0(VALU_DEP_4) | instskip(NEXT) | instid1(VALU_DEP_1)
	v_fma_f32 v101, 0x3f317218, v26, -v102
	v_dual_fmamk_f32 v26, v26, 0xb102e308, v101 :: v_dual_sub_f32 v97, v100, v97
	s_delay_alu instid0(VALU_DEP_1) | instskip(NEXT) | instid1(VALU_DEP_2)
	v_add_f32_e32 v27, v27, v97
	v_add_f32_e32 v97, v102, v26
	s_delay_alu instid0(VALU_DEP_2) | instskip(NEXT) | instid1(VALU_DEP_2)
	v_add_f32_e32 v100, v98, v27
	v_sub_f32_e32 v102, v97, v102
	s_delay_alu instid0(VALU_DEP_2) | instskip(NEXT) | instid1(VALU_DEP_2)
	v_sub_f32_e32 v98, v100, v98
	v_sub_f32_e32 v26, v26, v102
	s_delay_alu instid0(VALU_DEP_2) | instskip(SKIP_1) | instid1(VALU_DEP_1)
	v_sub_f32_e32 v27, v27, v98
	v_add_f32_e32 v101, v97, v100
	v_sub_f32_e32 v103, v101, v97
	s_delay_alu instid0(VALU_DEP_1) | instskip(NEXT) | instid1(VALU_DEP_4)
	v_sub_f32_e32 v98, v100, v103
	v_add_f32_e32 v100, v26, v27
	v_sub_f32_e32 v112, v101, v103
	s_delay_alu instid0(VALU_DEP_1) | instskip(NEXT) | instid1(VALU_DEP_1)
	v_sub_f32_e32 v97, v97, v112
	v_dual_add_f32 v97, v98, v97 :: v_dual_sub_f32 v98, v100, v26
	s_delay_alu instid0(VALU_DEP_1) | instskip(NEXT) | instid1(VALU_DEP_2)
	v_add_f32_e32 v97, v100, v97
	v_sub_f32_e32 v100, v100, v98
	s_delay_alu instid0(VALU_DEP_2) | instskip(NEXT) | instid1(VALU_DEP_2)
	v_dual_add_f32 v102, v101, v97 :: v_dual_sub_f32 v27, v27, v98
	v_sub_f32_e32 v26, v26, v100
	s_delay_alu instid0(VALU_DEP_2) | instskip(NEXT) | instid1(VALU_DEP_2)
	v_sub_f32_e32 v98, v102, v101
	v_add_f32_e32 v26, v27, v26
	s_delay_alu instid0(VALU_DEP_2) | instskip(NEXT) | instid1(VALU_DEP_1)
	v_sub_f32_e32 v27, v97, v98
	v_add_f32_e32 v26, v26, v27
	s_delay_alu instid0(VALU_DEP_1) | instskip(NEXT) | instid1(VALU_DEP_1)
	v_add_f32_e32 v26, v102, v26
	v_cndmask_b32_e32 v26, v26, v29, vcc_lo
	s_delay_alu instid0(VALU_DEP_1) | instskip(NEXT) | instid1(VALU_DEP_1)
	v_add_f32_e32 v26, v28, v26
	v_cvt_f16_f32_e32 v26, v26
	s_delay_alu instid0(VALU_DEP_1)
	v_mov_b32_e32 v100, v26
	v_cvt_f32_f16_e32 v27, v26
.LBB362_87:
	s_or_b32 exec_lo, exec_lo, s21
	v_cvt_f32_f16_e32 v97, v36
	s_delay_alu instid0(VALU_DEP_2) | instskip(SKIP_2) | instid1(VALU_DEP_3)
	v_max_f32_e32 v28, v27, v27
	v_cmp_u_f16_e32 vcc_lo, v26, v26
	v_cmp_u_f16_e64 s21, v36, v36
	v_min_f32_e32 v29, v28, v97
	s_delay_alu instid0(VALU_DEP_1) | instskip(NEXT) | instid1(VALU_DEP_1)
	v_dual_max_f32 v28, v28, v97 :: v_dual_cndmask_b32 v29, v29, v27
	v_cndmask_b32_e32 v28, v28, v27, vcc_lo
	s_delay_alu instid0(VALU_DEP_2) | instskip(NEXT) | instid1(VALU_DEP_2)
	v_cndmask_b32_e64 v29, v29, v97, s21
	v_cndmask_b32_e64 v28, v28, v97, s21
	s_delay_alu instid0(VALU_DEP_2) | instskip(NEXT) | instid1(VALU_DEP_2)
	v_cmp_class_f32_e64 s22, v29, 0x1f8
	v_cmp_neq_f32_e32 vcc_lo, v29, v28
	s_delay_alu instid0(VALU_DEP_2) | instskip(NEXT) | instid1(SALU_CYCLE_1)
	s_or_b32 s24, vcc_lo, s22
	s_and_saveexec_b32 s22, s24
	s_cbranch_execz .LBB362_89
; %bb.88:
	v_sub_f32_e32 v26, v29, v28
	s_mov_b32 s24, 0x3e9b6dac
	s_delay_alu instid0(VALU_DEP_1) | instskip(NEXT) | instid1(VALU_DEP_1)
	v_mul_f32_e32 v27, 0x3fb8aa3b, v26
	v_fma_f32 v29, 0x3fb8aa3b, v26, -v27
	v_rndne_f32_e32 v98, v27
	s_delay_alu instid0(VALU_DEP_1) | instskip(NEXT) | instid1(VALU_DEP_3)
	v_sub_f32_e32 v27, v27, v98
	v_fmamk_f32 v29, v26, 0x32a5705f, v29
	v_cmp_ngt_f32_e32 vcc_lo, 0xc2ce8ed0, v26
	s_delay_alu instid0(VALU_DEP_2) | instskip(SKIP_1) | instid1(VALU_DEP_2)
	v_add_f32_e32 v27, v27, v29
	v_cvt_i32_f32_e32 v29, v98
	v_exp_f32_e32 v27, v27
	s_waitcnt_depctr 0xfff
	v_ldexp_f32 v27, v27, v29
	s_delay_alu instid0(VALU_DEP_1) | instskip(SKIP_1) | instid1(VALU_DEP_2)
	v_cndmask_b32_e32 v27, 0, v27, vcc_lo
	v_cmp_nlt_f32_e32 vcc_lo, 0x42b17218, v26
	v_cndmask_b32_e32 v29, 0x7f800000, v27, vcc_lo
	s_delay_alu instid0(VALU_DEP_1) | instskip(NEXT) | instid1(VALU_DEP_1)
	v_add_f32_e32 v98, 1.0, v29
	v_cvt_f64_f32_e32 v[26:27], v98
	s_delay_alu instid0(VALU_DEP_1) | instskip(SKIP_1) | instid1(VALU_DEP_1)
	v_frexp_exp_i32_f64_e32 v26, v[26:27]
	v_frexp_mant_f32_e32 v27, v98
	v_cmp_gt_f32_e32 vcc_lo, 0x3f2aaaab, v27
	v_add_f32_e32 v27, -1.0, v98
	s_delay_alu instid0(VALU_DEP_1) | instskip(SKIP_2) | instid1(VALU_DEP_1)
	v_sub_f32_e32 v101, v27, v98
	v_sub_f32_e32 v27, v29, v27
	v_subrev_co_ci_u32_e32 v26, vcc_lo, 0, v26, vcc_lo
	v_sub_nc_u32_e32 v100, 0, v26
	v_cvt_f32_i32_e32 v26, v26
	s_delay_alu instid0(VALU_DEP_2) | instskip(NEXT) | instid1(VALU_DEP_1)
	v_ldexp_f32 v98, v98, v100
	v_dual_add_f32 v102, 1.0, v98 :: v_dual_add_f32 v101, 1.0, v101
	s_delay_alu instid0(VALU_DEP_1) | instskip(NEXT) | instid1(VALU_DEP_2)
	v_add_f32_e32 v27, v27, v101
	v_add_f32_e32 v101, -1.0, v102
	s_delay_alu instid0(VALU_DEP_2) | instskip(NEXT) | instid1(VALU_DEP_2)
	v_ldexp_f32 v27, v27, v100
	v_dual_add_f32 v100, -1.0, v98 :: v_dual_sub_f32 v101, v98, v101
	s_delay_alu instid0(VALU_DEP_1) | instskip(NEXT) | instid1(VALU_DEP_1)
	v_add_f32_e32 v103, 1.0, v100
	v_dual_add_f32 v101, v27, v101 :: v_dual_sub_f32 v98, v98, v103
	s_delay_alu instid0(VALU_DEP_1) | instskip(NEXT) | instid1(VALU_DEP_2)
	v_add_f32_e32 v103, v102, v101
	v_add_f32_e32 v27, v27, v98
	s_delay_alu instid0(VALU_DEP_2) | instskip(SKIP_1) | instid1(VALU_DEP_1)
	v_rcp_f32_e32 v98, v103
	v_sub_f32_e32 v102, v102, v103
	v_dual_add_f32 v112, v100, v27 :: v_dual_add_f32 v101, v101, v102
	s_delay_alu instid0(VALU_DEP_1) | instskip(SKIP_3) | instid1(VALU_DEP_2)
	v_sub_f32_e32 v100, v100, v112
	s_waitcnt_depctr 0xfff
	v_mul_f32_e32 v113, v112, v98
	v_add_f32_e32 v27, v27, v100
	v_mul_f32_e32 v114, v103, v113
	s_delay_alu instid0(VALU_DEP_1) | instskip(NEXT) | instid1(VALU_DEP_1)
	v_fma_f32 v102, v113, v103, -v114
	v_fmac_f32_e32 v102, v113, v101
	v_cmp_eq_f32_e32 vcc_lo, 0x7f800000, v29
	s_delay_alu instid0(VALU_DEP_2) | instskip(NEXT) | instid1(VALU_DEP_1)
	v_add_f32_e32 v115, v114, v102
	v_sub_f32_e32 v116, v112, v115
	v_sub_f32_e32 v100, v115, v114
	s_delay_alu instid0(VALU_DEP_2) | instskip(NEXT) | instid1(VALU_DEP_2)
	v_sub_f32_e32 v112, v112, v116
	v_sub_f32_e32 v100, v100, v102
	s_delay_alu instid0(VALU_DEP_2) | instskip(NEXT) | instid1(VALU_DEP_1)
	v_sub_f32_e32 v112, v112, v115
	v_add_f32_e32 v27, v27, v112
	s_delay_alu instid0(VALU_DEP_1) | instskip(NEXT) | instid1(VALU_DEP_1)
	v_add_f32_e32 v27, v100, v27
	v_add_f32_e32 v100, v116, v27
	s_delay_alu instid0(VALU_DEP_1) | instskip(NEXT) | instid1(VALU_DEP_1)
	v_mul_f32_e32 v102, v98, v100
	v_dual_sub_f32 v115, v116, v100 :: v_dual_mul_f32 v112, v103, v102
	s_delay_alu instid0(VALU_DEP_1) | instskip(NEXT) | instid1(VALU_DEP_2)
	v_add_f32_e32 v27, v27, v115
	v_fma_f32 v103, v102, v103, -v112
	s_delay_alu instid0(VALU_DEP_1) | instskip(NEXT) | instid1(VALU_DEP_1)
	v_fmac_f32_e32 v103, v102, v101
	v_add_f32_e32 v101, v112, v103
	s_delay_alu instid0(VALU_DEP_1) | instskip(SKIP_1) | instid1(VALU_DEP_2)
	v_sub_f32_e32 v114, v100, v101
	v_sub_f32_e32 v112, v101, v112
	v_sub_f32_e32 v100, v100, v114
	s_delay_alu instid0(VALU_DEP_1) | instskip(NEXT) | instid1(VALU_DEP_1)
	v_sub_f32_e32 v100, v100, v101
	v_dual_add_f32 v27, v27, v100 :: v_dual_add_f32 v100, v113, v102
	s_delay_alu instid0(VALU_DEP_4) | instskip(NEXT) | instid1(VALU_DEP_1)
	v_sub_f32_e32 v101, v112, v103
	v_add_f32_e32 v27, v101, v27
	s_delay_alu instid0(VALU_DEP_3) | instskip(NEXT) | instid1(VALU_DEP_2)
	v_sub_f32_e32 v101, v100, v113
	v_add_f32_e32 v27, v114, v27
	s_delay_alu instid0(VALU_DEP_2) | instskip(NEXT) | instid1(VALU_DEP_2)
	v_sub_f32_e32 v101, v102, v101
	v_mul_f32_e32 v27, v98, v27
	s_delay_alu instid0(VALU_DEP_1) | instskip(NEXT) | instid1(VALU_DEP_1)
	v_add_f32_e32 v27, v101, v27
	v_add_f32_e32 v98, v100, v27
	s_delay_alu instid0(VALU_DEP_1) | instskip(NEXT) | instid1(VALU_DEP_1)
	v_mul_f32_e32 v101, v98, v98
	v_fmaak_f32 v102, s24, v101, 0x3ecc95a3
	v_mul_f32_e32 v103, v98, v101
	v_cmp_gt_f32_e64 s24, 0x33800000, |v29|
	s_delay_alu instid0(VALU_DEP_3) | instskip(SKIP_2) | instid1(VALU_DEP_4)
	v_fmaak_f32 v101, v101, v102, 0x3f2aaada
	v_ldexp_f32 v102, v98, 1
	v_sub_f32_e32 v98, v98, v100
	s_or_b32 vcc_lo, vcc_lo, s24
	s_delay_alu instid0(VALU_DEP_3) | instskip(SKIP_1) | instid1(VALU_DEP_2)
	v_mul_f32_e32 v101, v103, v101
	v_mul_f32_e32 v103, 0x3f317218, v26
	v_dual_sub_f32 v27, v27, v98 :: v_dual_add_f32 v100, v102, v101
	s_delay_alu instid0(VALU_DEP_1) | instskip(NEXT) | instid1(VALU_DEP_2)
	v_ldexp_f32 v27, v27, 1
	v_sub_f32_e32 v98, v100, v102
	s_delay_alu instid0(VALU_DEP_4) | instskip(NEXT) | instid1(VALU_DEP_2)
	v_fma_f32 v102, 0x3f317218, v26, -v103
	v_sub_f32_e32 v98, v101, v98
	s_delay_alu instid0(VALU_DEP_1) | instskip(NEXT) | instid1(VALU_DEP_1)
	v_dual_fmamk_f32 v26, v26, 0xb102e308, v102 :: v_dual_add_f32 v27, v27, v98
	v_dual_add_f32 v98, v103, v26 :: v_dual_add_f32 v101, v100, v27
	s_delay_alu instid0(VALU_DEP_1) | instskip(NEXT) | instid1(VALU_DEP_2)
	v_sub_f32_e32 v103, v98, v103
	v_add_f32_e32 v102, v98, v101
	v_sub_f32_e32 v100, v101, v100
	s_delay_alu instid0(VALU_DEP_3) | instskip(NEXT) | instid1(VALU_DEP_2)
	v_sub_f32_e32 v26, v26, v103
	v_dual_sub_f32 v112, v102, v98 :: v_dual_sub_f32 v27, v27, v100
	s_delay_alu instid0(VALU_DEP_1) | instskip(SKIP_1) | instid1(VALU_DEP_1)
	v_dual_sub_f32 v100, v101, v112 :: v_dual_add_f32 v101, v26, v27
	v_sub_f32_e32 v113, v102, v112
	v_sub_f32_e32 v98, v98, v113
	s_delay_alu instid0(VALU_DEP_1) | instskip(NEXT) | instid1(VALU_DEP_4)
	v_add_f32_e32 v98, v100, v98
	v_sub_f32_e32 v100, v101, v26
	s_delay_alu instid0(VALU_DEP_1) | instskip(NEXT) | instid1(VALU_DEP_1)
	v_dual_add_f32 v98, v101, v98 :: v_dual_sub_f32 v27, v27, v100
	v_add_f32_e32 v103, v102, v98
	s_delay_alu instid0(VALU_DEP_1) | instskip(NEXT) | instid1(VALU_DEP_1)
	v_dual_sub_f32 v101, v101, v100 :: v_dual_sub_f32 v100, v103, v102
	v_sub_f32_e32 v26, v26, v101
	s_delay_alu instid0(VALU_DEP_1) | instskip(NEXT) | instid1(VALU_DEP_1)
	v_dual_add_f32 v26, v27, v26 :: v_dual_sub_f32 v27, v98, v100
	v_add_f32_e32 v26, v26, v27
	s_delay_alu instid0(VALU_DEP_1) | instskip(NEXT) | instid1(VALU_DEP_1)
	v_add_f32_e32 v26, v103, v26
	v_cndmask_b32_e32 v26, v26, v29, vcc_lo
	s_delay_alu instid0(VALU_DEP_1) | instskip(NEXT) | instid1(VALU_DEP_1)
	v_add_f32_e32 v26, v28, v26
	v_cvt_f16_f32_e32 v26, v26
	s_delay_alu instid0(VALU_DEP_1)
	v_cvt_f32_f16_e32 v27, v26
	v_mov_b32_e32 v100, v26
.LBB362_89:
	s_or_b32 exec_lo, exec_lo, s22
	v_cvt_f32_f16_e32 v98, v35
	s_delay_alu instid0(VALU_DEP_3) | instskip(SKIP_2) | instid1(VALU_DEP_3)
	v_max_f32_e32 v28, v27, v27
	v_cmp_u_f16_e32 vcc_lo, v26, v26
	v_cmp_u_f16_e64 s22, v35, v35
	v_min_f32_e32 v29, v28, v98
	v_max_f32_e32 v28, v28, v98
	s_delay_alu instid0(VALU_DEP_2) | instskip(NEXT) | instid1(VALU_DEP_2)
	v_cndmask_b32_e32 v26, v29, v27, vcc_lo
	v_cndmask_b32_e32 v28, v28, v27, vcc_lo
	s_delay_alu instid0(VALU_DEP_2) | instskip(NEXT) | instid1(VALU_DEP_2)
	v_cndmask_b32_e64 v27, v26, v98, s22
	v_cndmask_b32_e64 v26, v28, v98, s22
	s_delay_alu instid0(VALU_DEP_2) | instskip(NEXT) | instid1(VALU_DEP_2)
	v_cmp_class_f32_e64 s24, v27, 0x1f8
	v_cmp_neq_f32_e32 vcc_lo, v27, v26
	s_delay_alu instid0(VALU_DEP_2) | instskip(NEXT) | instid1(SALU_CYCLE_1)
	s_or_b32 s25, vcc_lo, s24
	s_and_saveexec_b32 s24, s25
	s_cbranch_execz .LBB362_91
; %bb.90:
	v_sub_f32_e32 v27, v27, v26
	s_mov_b32 s25, 0x3e9b6dac
	s_delay_alu instid0(VALU_DEP_1) | instskip(NEXT) | instid1(VALU_DEP_1)
	v_mul_f32_e32 v28, 0x3fb8aa3b, v27
	v_fma_f32 v29, 0x3fb8aa3b, v27, -v28
	v_rndne_f32_e32 v100, v28
	s_delay_alu instid0(VALU_DEP_1) | instskip(SKIP_1) | instid1(VALU_DEP_4)
	v_sub_f32_e32 v28, v28, v100
	v_cmp_ngt_f32_e32 vcc_lo, 0xc2ce8ed0, v27
	v_fmamk_f32 v29, v27, 0x32a5705f, v29
	s_delay_alu instid0(VALU_DEP_1) | instskip(SKIP_1) | instid1(VALU_DEP_2)
	v_add_f32_e32 v28, v28, v29
	v_cvt_i32_f32_e32 v29, v100
	v_exp_f32_e32 v28, v28
	s_waitcnt_depctr 0xfff
	v_ldexp_f32 v28, v28, v29
	s_delay_alu instid0(VALU_DEP_1) | instskip(SKIP_1) | instid1(VALU_DEP_2)
	v_cndmask_b32_e32 v28, 0, v28, vcc_lo
	v_cmp_nlt_f32_e32 vcc_lo, 0x42b17218, v27
	v_cndmask_b32_e32 v29, 0x7f800000, v28, vcc_lo
	s_delay_alu instid0(VALU_DEP_1) | instskip(NEXT) | instid1(VALU_DEP_1)
	v_add_f32_e32 v100, 1.0, v29
	v_cvt_f64_f32_e32 v[27:28], v100
	s_delay_alu instid0(VALU_DEP_1) | instskip(SKIP_1) | instid1(VALU_DEP_1)
	v_frexp_exp_i32_f64_e32 v27, v[27:28]
	v_frexp_mant_f32_e32 v28, v100
	v_cmp_gt_f32_e32 vcc_lo, 0x3f2aaaab, v28
	v_add_f32_e32 v28, -1.0, v100
	s_delay_alu instid0(VALU_DEP_1) | instskip(NEXT) | instid1(VALU_DEP_1)
	v_sub_f32_e32 v102, v28, v100
	v_add_f32_e32 v102, 1.0, v102
	v_sub_f32_e32 v28, v29, v28
	v_subrev_co_ci_u32_e32 v27, vcc_lo, 0, v27, vcc_lo
	v_cmp_eq_f32_e32 vcc_lo, 0x7f800000, v29
	s_delay_alu instid0(VALU_DEP_2) | instskip(SKIP_1) | instid1(VALU_DEP_2)
	v_sub_nc_u32_e32 v101, 0, v27
	v_cvt_f32_i32_e32 v27, v27
	v_ldexp_f32 v100, v100, v101
	s_delay_alu instid0(VALU_DEP_1) | instskip(NEXT) | instid1(VALU_DEP_1)
	v_dual_add_f32 v103, 1.0, v100 :: v_dual_add_f32 v28, v28, v102
	v_add_f32_e32 v102, -1.0, v103
	s_delay_alu instid0(VALU_DEP_2) | instskip(NEXT) | instid1(VALU_DEP_2)
	v_ldexp_f32 v28, v28, v101
	v_dual_add_f32 v101, -1.0, v100 :: v_dual_sub_f32 v102, v100, v102
	s_delay_alu instid0(VALU_DEP_1) | instskip(NEXT) | instid1(VALU_DEP_2)
	v_add_f32_e32 v112, 1.0, v101
	v_add_f32_e32 v102, v28, v102
	s_delay_alu instid0(VALU_DEP_2) | instskip(NEXT) | instid1(VALU_DEP_2)
	v_sub_f32_e32 v100, v100, v112
	v_add_f32_e32 v112, v103, v102
	s_delay_alu instid0(VALU_DEP_2) | instskip(NEXT) | instid1(VALU_DEP_2)
	v_add_f32_e32 v28, v28, v100
	v_rcp_f32_e32 v100, v112
	v_sub_f32_e32 v103, v103, v112
	s_delay_alu instid0(VALU_DEP_1) | instskip(NEXT) | instid1(VALU_DEP_1)
	v_dual_add_f32 v113, v101, v28 :: v_dual_add_f32 v102, v102, v103
	v_sub_f32_e32 v101, v101, v113
	s_waitcnt_depctr 0xfff
	v_mul_f32_e32 v114, v113, v100
	v_add_f32_e32 v28, v28, v101
	s_delay_alu instid0(VALU_DEP_2) | instskip(NEXT) | instid1(VALU_DEP_1)
	v_mul_f32_e32 v115, v112, v114
	v_fma_f32 v103, v114, v112, -v115
	s_delay_alu instid0(VALU_DEP_1) | instskip(NEXT) | instid1(VALU_DEP_1)
	v_fmac_f32_e32 v103, v114, v102
	v_add_f32_e32 v116, v115, v103
	s_delay_alu instid0(VALU_DEP_1) | instskip(SKIP_1) | instid1(VALU_DEP_2)
	v_sub_f32_e32 v117, v113, v116
	v_sub_f32_e32 v101, v116, v115
	;; [unrolled: 1-line block ×3, first 2 shown]
	s_delay_alu instid0(VALU_DEP_2) | instskip(NEXT) | instid1(VALU_DEP_2)
	v_sub_f32_e32 v101, v101, v103
	v_sub_f32_e32 v113, v113, v116
	s_delay_alu instid0(VALU_DEP_1) | instskip(NEXT) | instid1(VALU_DEP_1)
	v_add_f32_e32 v28, v28, v113
	v_add_f32_e32 v28, v101, v28
	s_delay_alu instid0(VALU_DEP_1) | instskip(NEXT) | instid1(VALU_DEP_1)
	v_add_f32_e32 v101, v117, v28
	v_mul_f32_e32 v103, v100, v101
	s_delay_alu instid0(VALU_DEP_1) | instskip(NEXT) | instid1(VALU_DEP_1)
	v_dual_sub_f32 v116, v117, v101 :: v_dual_mul_f32 v113, v112, v103
	v_add_f32_e32 v28, v28, v116
	s_delay_alu instid0(VALU_DEP_2) | instskip(NEXT) | instid1(VALU_DEP_1)
	v_fma_f32 v112, v103, v112, -v113
	v_fmac_f32_e32 v112, v103, v102
	s_delay_alu instid0(VALU_DEP_1) | instskip(NEXT) | instid1(VALU_DEP_1)
	v_add_f32_e32 v102, v113, v112
	v_sub_f32_e32 v115, v101, v102
	v_sub_f32_e32 v113, v102, v113
	s_delay_alu instid0(VALU_DEP_2) | instskip(NEXT) | instid1(VALU_DEP_1)
	v_sub_f32_e32 v101, v101, v115
	v_sub_f32_e32 v101, v101, v102
	s_delay_alu instid0(VALU_DEP_1) | instskip(NEXT) | instid1(VALU_DEP_4)
	v_dual_add_f32 v28, v28, v101 :: v_dual_add_f32 v101, v114, v103
	v_sub_f32_e32 v102, v113, v112
	s_delay_alu instid0(VALU_DEP_1) | instskip(NEXT) | instid1(VALU_DEP_3)
	v_add_f32_e32 v28, v102, v28
	v_sub_f32_e32 v102, v101, v114
	s_delay_alu instid0(VALU_DEP_2) | instskip(NEXT) | instid1(VALU_DEP_2)
	v_add_f32_e32 v28, v115, v28
	v_sub_f32_e32 v102, v103, v102
	s_delay_alu instid0(VALU_DEP_2) | instskip(NEXT) | instid1(VALU_DEP_1)
	v_mul_f32_e32 v28, v100, v28
	v_add_f32_e32 v28, v102, v28
	s_delay_alu instid0(VALU_DEP_1) | instskip(NEXT) | instid1(VALU_DEP_1)
	v_add_f32_e32 v100, v101, v28
	v_mul_f32_e32 v102, v100, v100
	s_delay_alu instid0(VALU_DEP_1) | instskip(SKIP_2) | instid1(VALU_DEP_3)
	v_fmaak_f32 v103, s25, v102, 0x3ecc95a3
	v_mul_f32_e32 v112, v100, v102
	v_cmp_gt_f32_e64 s25, 0x33800000, |v29|
	v_fmaak_f32 v102, v102, v103, 0x3f2aaada
	v_ldexp_f32 v103, v100, 1
	v_sub_f32_e32 v100, v100, v101
	s_delay_alu instid0(VALU_DEP_4) | instskip(NEXT) | instid1(VALU_DEP_3)
	s_or_b32 vcc_lo, vcc_lo, s25
	v_mul_f32_e32 v102, v112, v102
	v_mul_f32_e32 v112, 0x3f317218, v27
	s_delay_alu instid0(VALU_DEP_2) | instskip(NEXT) | instid1(VALU_DEP_1)
	v_dual_sub_f32 v28, v28, v100 :: v_dual_add_f32 v101, v103, v102
	v_ldexp_f32 v28, v28, 1
	s_delay_alu instid0(VALU_DEP_2) | instskip(NEXT) | instid1(VALU_DEP_4)
	v_sub_f32_e32 v100, v101, v103
	v_fma_f32 v103, 0x3f317218, v27, -v112
	s_delay_alu instid0(VALU_DEP_1) | instskip(NEXT) | instid1(VALU_DEP_1)
	v_dual_sub_f32 v100, v102, v100 :: v_dual_fmamk_f32 v27, v27, 0xb102e308, v103
	v_add_f32_e32 v28, v28, v100
	s_delay_alu instid0(VALU_DEP_2) | instskip(NEXT) | instid1(VALU_DEP_2)
	v_add_f32_e32 v100, v112, v27
	v_add_f32_e32 v102, v101, v28
	s_delay_alu instid0(VALU_DEP_2) | instskip(NEXT) | instid1(VALU_DEP_2)
	v_sub_f32_e32 v112, v100, v112
	v_add_f32_e32 v103, v100, v102
	v_sub_f32_e32 v101, v102, v101
	s_delay_alu instid0(VALU_DEP_3) | instskip(NEXT) | instid1(VALU_DEP_2)
	v_sub_f32_e32 v27, v27, v112
	v_dual_sub_f32 v113, v103, v100 :: v_dual_sub_f32 v28, v28, v101
	s_delay_alu instid0(VALU_DEP_1) | instskip(NEXT) | instid1(VALU_DEP_2)
	v_sub_f32_e32 v114, v103, v113
	v_dual_sub_f32 v101, v102, v113 :: v_dual_add_f32 v102, v27, v28
	s_delay_alu instid0(VALU_DEP_2) | instskip(NEXT) | instid1(VALU_DEP_1)
	v_sub_f32_e32 v100, v100, v114
	v_dual_add_f32 v100, v101, v100 :: v_dual_sub_f32 v101, v102, v27
	s_delay_alu instid0(VALU_DEP_1) | instskip(NEXT) | instid1(VALU_DEP_2)
	v_add_f32_e32 v100, v102, v100
	v_sub_f32_e32 v102, v102, v101
	v_sub_f32_e32 v28, v28, v101
	s_delay_alu instid0(VALU_DEP_3) | instskip(NEXT) | instid1(VALU_DEP_3)
	v_add_f32_e32 v112, v103, v100
	v_sub_f32_e32 v27, v27, v102
	s_delay_alu instid0(VALU_DEP_2) | instskip(NEXT) | instid1(VALU_DEP_2)
	v_sub_f32_e32 v101, v112, v103
	v_add_f32_e32 v27, v28, v27
	s_delay_alu instid0(VALU_DEP_2) | instskip(NEXT) | instid1(VALU_DEP_1)
	v_sub_f32_e32 v28, v100, v101
	v_add_f32_e32 v27, v27, v28
	s_delay_alu instid0(VALU_DEP_1) | instskip(NEXT) | instid1(VALU_DEP_1)
	v_add_f32_e32 v27, v112, v27
	v_cndmask_b32_e32 v27, v27, v29, vcc_lo
	s_delay_alu instid0(VALU_DEP_1) | instskip(NEXT) | instid1(VALU_DEP_1)
	v_add_f32_e32 v26, v26, v27
	v_cvt_f16_f32_e32 v100, v26
.LBB362_91:
	s_or_b32 exec_lo, exec_lo, s24
	v_lshrrev_b32_e32 v26, 5, v0
	v_cmp_gt_u32_e32 vcc_lo, 32, v0
	s_delay_alu instid0(VALU_DEP_2)
	v_add_lshl_u32 v26, v26, v0, 1
	ds_store_b16 v26, v100
	s_waitcnt lgkmcnt(0)
	s_barrier
	buffer_gl0_inv
	s_and_saveexec_b32 s26, vcc_lo
	s_cbranch_execz .LBB362_119
; %bb.92:
	v_lshrrev_b32_e32 v26, 3, v0
	s_delay_alu instid0(VALU_DEP_1) | instskip(NEXT) | instid1(VALU_DEP_1)
	v_and_b32_e32 v26, 0x7e, v26
	v_lshl_or_b32 v26, v0, 2, v26
	ds_load_u16 v101, v26
	ds_load_u16 v28, v26 offset:2
	s_waitcnt lgkmcnt(1)
	v_cvt_f32_f16_e32 v27, v101
	s_waitcnt lgkmcnt(0)
	v_cvt_f32_f16_e32 v102, v28
	v_cmp_u_f16_e64 s24, v101, v101
	v_cmp_u_f16_e64 s25, v28, v28
	s_delay_alu instid0(VALU_DEP_3) | instskip(SKIP_1) | instid1(VALU_DEP_2)
	v_min_f32_e32 v29, v27, v102
	v_max_f32_e32 v103, v27, v102
	v_cndmask_b32_e64 v29, v29, v27, s24
	s_delay_alu instid0(VALU_DEP_2) | instskip(NEXT) | instid1(VALU_DEP_2)
	v_cndmask_b32_e64 v103, v103, v27, s24
	v_cndmask_b32_e64 v29, v29, v102, s25
	s_delay_alu instid0(VALU_DEP_2) | instskip(NEXT) | instid1(VALU_DEP_2)
	v_cndmask_b32_e64 v28, v103, v102, s25
	v_cmp_class_f32_e64 s27, v29, 0x1f8
	s_delay_alu instid0(VALU_DEP_2) | instskip(NEXT) | instid1(VALU_DEP_1)
	v_cmp_neq_f32_e64 s25, v29, v28
	s_or_b32 s25, s25, s27
	s_delay_alu instid0(SALU_CYCLE_1)
	s_and_saveexec_b32 s27, s25
	s_cbranch_execz .LBB362_94
; %bb.93:
	v_sub_f32_e32 v29, v29, v28
	s_delay_alu instid0(VALU_DEP_1) | instskip(SKIP_1) | instid1(VALU_DEP_2)
	v_mul_f32_e32 v101, 0x3fb8aa3b, v29
	v_cmp_ngt_f32_e64 s25, 0xc2ce8ed0, v29
	v_fma_f32 v102, 0x3fb8aa3b, v29, -v101
	v_rndne_f32_e32 v103, v101
	s_delay_alu instid0(VALU_DEP_2) | instskip(NEXT) | instid1(VALU_DEP_2)
	v_fmamk_f32 v102, v29, 0x32a5705f, v102
	v_sub_f32_e32 v101, v101, v103
	s_delay_alu instid0(VALU_DEP_1) | instskip(SKIP_1) | instid1(VALU_DEP_2)
	v_add_f32_e32 v101, v101, v102
	v_cvt_i32_f32_e32 v102, v103
	v_exp_f32_e32 v101, v101
	s_waitcnt_depctr 0xfff
	v_ldexp_f32 v101, v101, v102
	s_delay_alu instid0(VALU_DEP_1) | instskip(SKIP_1) | instid1(VALU_DEP_1)
	v_cndmask_b32_e64 v101, 0, v101, s25
	v_cmp_nlt_f32_e64 s25, 0x42b17218, v29
	v_cndmask_b32_e64 v29, 0x7f800000, v101, s25
	s_delay_alu instid0(VALU_DEP_1) | instskip(SKIP_1) | instid1(VALU_DEP_2)
	v_add_f32_e32 v103, 1.0, v29
	v_cmp_gt_f32_e64 vcc_hi, 0x33800000, |v29|
	v_cvt_f64_f32_e32 v[101:102], v103
	s_delay_alu instid0(VALU_DEP_1) | instskip(SKIP_1) | instid1(VALU_DEP_1)
	v_frexp_exp_i32_f64_e32 v101, v[101:102]
	v_frexp_mant_f32_e32 v102, v103
	v_cmp_gt_f32_e64 s25, 0x3f2aaaab, v102
	v_add_f32_e32 v102, -1.0, v103
	s_delay_alu instid0(VALU_DEP_1) | instskip(NEXT) | instid1(VALU_DEP_3)
	v_dual_sub_f32 v113, v102, v103 :: v_dual_sub_f32 v102, v29, v102
	v_subrev_co_ci_u32_e64 v101, s25, 0, v101, s25
	s_mov_b32 s25, 0x3e9b6dac
	s_delay_alu instid0(VALU_DEP_1) | instskip(SKIP_1) | instid1(VALU_DEP_2)
	v_sub_nc_u32_e32 v112, 0, v101
	v_cvt_f32_i32_e32 v101, v101
	v_ldexp_f32 v103, v103, v112
	s_delay_alu instid0(VALU_DEP_1) | instskip(NEXT) | instid1(VALU_DEP_1)
	v_dual_add_f32 v113, 1.0, v113 :: v_dual_add_f32 v114, 1.0, v103
	v_add_f32_e32 v102, v102, v113
	s_delay_alu instid0(VALU_DEP_1) | instskip(NEXT) | instid1(VALU_DEP_3)
	v_ldexp_f32 v102, v102, v112
	v_dual_add_f32 v112, -1.0, v103 :: v_dual_add_f32 v113, -1.0, v114
	s_delay_alu instid0(VALU_DEP_1) | instskip(NEXT) | instid1(VALU_DEP_2)
	v_add_f32_e32 v115, 1.0, v112
	v_sub_f32_e32 v113, v103, v113
	s_delay_alu instid0(VALU_DEP_2) | instskip(NEXT) | instid1(VALU_DEP_2)
	v_sub_f32_e32 v103, v103, v115
	v_add_f32_e32 v113, v102, v113
	s_delay_alu instid0(VALU_DEP_2) | instskip(NEXT) | instid1(VALU_DEP_1)
	v_add_f32_e32 v102, v102, v103
	v_dual_add_f32 v116, v112, v102 :: v_dual_add_f32 v115, v114, v113
	s_delay_alu instid0(VALU_DEP_1) | instskip(NEXT) | instid1(VALU_DEP_2)
	v_sub_f32_e32 v112, v112, v116
	v_rcp_f32_e32 v103, v115
	v_sub_f32_e32 v114, v114, v115
	s_delay_alu instid0(VALU_DEP_1) | instskip(SKIP_2) | instid1(VALU_DEP_1)
	v_dual_add_f32 v102, v102, v112 :: v_dual_add_f32 v113, v113, v114
	s_waitcnt_depctr 0xfff
	v_mul_f32_e32 v117, v116, v103
	v_mul_f32_e32 v118, v115, v117
	s_delay_alu instid0(VALU_DEP_1) | instskip(NEXT) | instid1(VALU_DEP_1)
	v_fma_f32 v114, v117, v115, -v118
	v_fmac_f32_e32 v114, v117, v113
	s_delay_alu instid0(VALU_DEP_1) | instskip(NEXT) | instid1(VALU_DEP_1)
	v_add_f32_e32 v119, v118, v114
	v_sub_f32_e32 v128, v116, v119
	v_sub_f32_e32 v112, v119, v118
	s_delay_alu instid0(VALU_DEP_2) | instskip(NEXT) | instid1(VALU_DEP_2)
	v_sub_f32_e32 v116, v116, v128
	v_sub_f32_e32 v112, v112, v114
	s_delay_alu instid0(VALU_DEP_2) | instskip(NEXT) | instid1(VALU_DEP_1)
	v_sub_f32_e32 v116, v116, v119
	v_add_f32_e32 v102, v102, v116
	s_delay_alu instid0(VALU_DEP_1) | instskip(NEXT) | instid1(VALU_DEP_1)
	v_add_f32_e32 v102, v112, v102
	v_add_f32_e32 v112, v128, v102
	s_delay_alu instid0(VALU_DEP_1) | instskip(NEXT) | instid1(VALU_DEP_1)
	v_mul_f32_e32 v114, v103, v112
	v_dual_sub_f32 v119, v128, v112 :: v_dual_mul_f32 v116, v115, v114
	s_delay_alu instid0(VALU_DEP_1) | instskip(NEXT) | instid1(VALU_DEP_2)
	v_add_f32_e32 v102, v102, v119
	v_fma_f32 v115, v114, v115, -v116
	s_delay_alu instid0(VALU_DEP_1) | instskip(NEXT) | instid1(VALU_DEP_1)
	v_fmac_f32_e32 v115, v114, v113
	v_add_f32_e32 v113, v116, v115
	s_delay_alu instid0(VALU_DEP_1) | instskip(NEXT) | instid1(VALU_DEP_1)
	v_sub_f32_e32 v118, v112, v113
	v_sub_f32_e32 v112, v112, v118
	s_delay_alu instid0(VALU_DEP_1) | instskip(NEXT) | instid1(VALU_DEP_1)
	v_sub_f32_e32 v112, v112, v113
	v_add_f32_e32 v102, v102, v112
	v_add_f32_e32 v112, v117, v114
	v_sub_f32_e32 v116, v113, v116
	s_delay_alu instid0(VALU_DEP_1) | instskip(NEXT) | instid1(VALU_DEP_1)
	v_sub_f32_e32 v113, v116, v115
	v_dual_add_f32 v102, v113, v102 :: v_dual_sub_f32 v113, v112, v117
	s_delay_alu instid0(VALU_DEP_1) | instskip(NEXT) | instid1(VALU_DEP_1)
	v_add_f32_e32 v102, v118, v102
	v_dual_sub_f32 v113, v114, v113 :: v_dual_mul_f32 v102, v103, v102
	s_delay_alu instid0(VALU_DEP_1) | instskip(NEXT) | instid1(VALU_DEP_1)
	v_add_f32_e32 v102, v113, v102
	v_add_f32_e32 v103, v112, v102
	s_delay_alu instid0(VALU_DEP_1) | instskip(NEXT) | instid1(VALU_DEP_1)
	v_mul_f32_e32 v113, v103, v103
	v_fmaak_f32 v114, s25, v113, 0x3ecc95a3
	v_mul_f32_e32 v115, v103, v113
	v_cmp_eq_f32_e64 s25, 0x7f800000, v29
	s_delay_alu instid0(VALU_DEP_3) | instskip(SKIP_2) | instid1(VALU_DEP_4)
	v_fmaak_f32 v113, v113, v114, 0x3f2aaada
	v_ldexp_f32 v114, v103, 1
	v_sub_f32_e32 v103, v103, v112
	s_or_b32 s25, s25, vcc_hi
	s_delay_alu instid0(VALU_DEP_3) | instskip(NEXT) | instid1(VALU_DEP_2)
	v_mul_f32_e32 v113, v115, v113
	v_dual_mul_f32 v115, 0x3f317218, v101 :: v_dual_sub_f32 v102, v102, v103
	s_delay_alu instid0(VALU_DEP_2) | instskip(NEXT) | instid1(VALU_DEP_2)
	v_add_f32_e32 v112, v114, v113
	v_ldexp_f32 v102, v102, 1
	s_delay_alu instid0(VALU_DEP_2) | instskip(NEXT) | instid1(VALU_DEP_4)
	v_sub_f32_e32 v103, v112, v114
	v_fma_f32 v114, 0x3f317218, v101, -v115
	s_delay_alu instid0(VALU_DEP_2) | instskip(NEXT) | instid1(VALU_DEP_1)
	v_sub_f32_e32 v103, v113, v103
	v_dual_fmamk_f32 v101, v101, 0xb102e308, v114 :: v_dual_add_f32 v102, v102, v103
	s_delay_alu instid0(VALU_DEP_1) | instskip(NEXT) | instid1(VALU_DEP_1)
	v_add_f32_e32 v103, v115, v101
	v_sub_f32_e32 v115, v103, v115
	s_delay_alu instid0(VALU_DEP_1) | instskip(NEXT) | instid1(VALU_DEP_4)
	v_sub_f32_e32 v101, v101, v115
	v_add_f32_e32 v113, v112, v102
	s_delay_alu instid0(VALU_DEP_1) | instskip(NEXT) | instid1(VALU_DEP_1)
	v_sub_f32_e32 v112, v113, v112
	v_sub_f32_e32 v102, v102, v112
	v_add_f32_e32 v114, v103, v113
	s_delay_alu instid0(VALU_DEP_1) | instskip(NEXT) | instid1(VALU_DEP_1)
	v_sub_f32_e32 v116, v114, v103
	v_sub_f32_e32 v112, v113, v116
	s_delay_alu instid0(VALU_DEP_4) | instskip(SKIP_1) | instid1(VALU_DEP_1)
	v_add_f32_e32 v113, v101, v102
	v_sub_f32_e32 v117, v114, v116
	v_sub_f32_e32 v103, v103, v117
	s_delay_alu instid0(VALU_DEP_1) | instskip(NEXT) | instid1(VALU_DEP_1)
	v_dual_add_f32 v103, v112, v103 :: v_dual_sub_f32 v112, v113, v101
	v_dual_add_f32 v103, v113, v103 :: v_dual_sub_f32 v102, v102, v112
	v_sub_f32_e32 v113, v113, v112
	s_delay_alu instid0(VALU_DEP_2) | instskip(NEXT) | instid1(VALU_DEP_1)
	v_add_f32_e32 v115, v114, v103
	v_dual_sub_f32 v101, v101, v113 :: v_dual_sub_f32 v112, v115, v114
	s_delay_alu instid0(VALU_DEP_1) | instskip(NEXT) | instid1(VALU_DEP_1)
	v_dual_add_f32 v101, v102, v101 :: v_dual_sub_f32 v102, v103, v112
	v_add_f32_e32 v101, v101, v102
	s_delay_alu instid0(VALU_DEP_1) | instskip(NEXT) | instid1(VALU_DEP_1)
	v_add_f32_e32 v101, v115, v101
	v_cndmask_b32_e64 v29, v101, v29, s25
	s_delay_alu instid0(VALU_DEP_1) | instskip(NEXT) | instid1(VALU_DEP_1)
	v_add_f32_e32 v28, v28, v29
	v_cvt_f16_f32_e32 v101, v28
.LBB362_94:
	s_or_b32 exec_lo, exec_lo, s27
	v_mbcnt_lo_u32_b32 v28, -1, 0
	s_delay_alu instid0(VALU_DEP_2) | instskip(SKIP_1) | instid1(VALU_DEP_2)
	v_and_b32_e32 v102, 0xffff, v101
	s_mov_b32 s27, exec_lo
	v_and_b32_e32 v29, 15, v28
	s_delay_alu instid0(VALU_DEP_2) | instskip(NEXT) | instid1(VALU_DEP_2)
	v_mov_b32_dpp v103, v102 row_shr:1 row_mask:0xf bank_mask:0xf
	v_cmpx_ne_u32_e32 0, v29
	s_cbranch_execz .LBB362_98
; %bb.95:
	s_delay_alu instid0(VALU_DEP_2) | instskip(SKIP_2) | instid1(VALU_DEP_2)
	v_cvt_f32_f16_e32 v102, v103
	v_cvt_f32_f16_e32 v112, v101
	v_cmp_u_f16_e64 s25, v103, v103
	v_min_f32_e32 v113, v102, v112
	v_max_f32_e32 v114, v102, v112
	s_delay_alu instid0(VALU_DEP_2) | instskip(NEXT) | instid1(VALU_DEP_2)
	v_cndmask_b32_e64 v113, v113, v102, s25
	v_cndmask_b32_e64 v114, v114, v102, s25
	v_cmp_u_f16_e64 s25, v101, v101
	s_delay_alu instid0(VALU_DEP_1) | instskip(NEXT) | instid1(VALU_DEP_3)
	v_cndmask_b32_e64 v102, v113, v112, s25
	v_cndmask_b32_e64 v101, v114, v112, s25
	s_delay_alu instid0(VALU_DEP_2) | instskip(NEXT) | instid1(VALU_DEP_2)
	v_cmp_class_f32_e64 vcc_hi, v102, 0x1f8
	v_cmp_neq_f32_e64 s25, v102, v101
	s_delay_alu instid0(VALU_DEP_1) | instskip(NEXT) | instid1(SALU_CYCLE_1)
	s_or_b32 s25, s25, vcc_hi
	s_and_saveexec_b32 vcc_hi, s25
	s_cbranch_execz .LBB362_97
; %bb.96:
	v_sub_f32_e32 v102, v102, v101
	s_delay_alu instid0(VALU_DEP_1) | instskip(NEXT) | instid1(VALU_DEP_1)
	v_mul_f32_e32 v103, 0x3fb8aa3b, v102
	v_fma_f32 v112, 0x3fb8aa3b, v102, -v103
	v_rndne_f32_e32 v113, v103
	s_delay_alu instid0(VALU_DEP_1) | instskip(NEXT) | instid1(VALU_DEP_1)
	v_dual_fmamk_f32 v112, v102, 0x32a5705f, v112 :: v_dual_sub_f32 v103, v103, v113
	v_add_f32_e32 v103, v103, v112
	v_cvt_i32_f32_e32 v112, v113
	v_cmp_ngt_f32_e64 s25, 0xc2ce8ed0, v102
	s_delay_alu instid0(VALU_DEP_3) | instskip(SKIP_2) | instid1(VALU_DEP_1)
	v_exp_f32_e32 v103, v103
	s_waitcnt_depctr 0xfff
	v_ldexp_f32 v103, v103, v112
	v_cndmask_b32_e64 v103, 0, v103, s25
	v_cmp_nlt_f32_e64 s25, 0x42b17218, v102
	s_delay_alu instid0(VALU_DEP_1) | instskip(NEXT) | instid1(VALU_DEP_1)
	v_cndmask_b32_e64 v112, 0x7f800000, v103, s25
	v_add_f32_e32 v113, 1.0, v112
	v_cmp_gt_f32_e64 s30, 0x33800000, |v112|
	s_delay_alu instid0(VALU_DEP_2) | instskip(NEXT) | instid1(VALU_DEP_1)
	v_cvt_f64_f32_e32 v[102:103], v113
	v_frexp_exp_i32_f64_e32 v102, v[102:103]
	v_frexp_mant_f32_e32 v103, v113
	s_delay_alu instid0(VALU_DEP_1) | instskip(SKIP_1) | instid1(VALU_DEP_1)
	v_cmp_gt_f32_e64 s25, 0x3f2aaaab, v103
	v_add_f32_e32 v103, -1.0, v113
	v_sub_f32_e32 v115, v103, v113
	s_delay_alu instid0(VALU_DEP_3) | instskip(SKIP_1) | instid1(VALU_DEP_1)
	v_subrev_co_ci_u32_e64 v102, s25, 0, v102, s25
	s_mov_b32 s25, 0x3e9b6dac
	v_sub_nc_u32_e32 v114, 0, v102
	v_cvt_f32_i32_e32 v102, v102
	s_delay_alu instid0(VALU_DEP_2) | instskip(NEXT) | instid1(VALU_DEP_1)
	v_ldexp_f32 v113, v113, v114
	v_dual_sub_f32 v103, v112, v103 :: v_dual_add_f32 v116, 1.0, v113
	v_add_f32_e32 v115, 1.0, v115
	s_delay_alu instid0(VALU_DEP_1) | instskip(NEXT) | instid1(VALU_DEP_3)
	v_add_f32_e32 v103, v103, v115
	v_add_f32_e32 v115, -1.0, v116
	s_delay_alu instid0(VALU_DEP_2) | instskip(NEXT) | instid1(VALU_DEP_2)
	v_ldexp_f32 v103, v103, v114
	v_dual_add_f32 v114, -1.0, v113 :: v_dual_sub_f32 v115, v113, v115
	s_delay_alu instid0(VALU_DEP_1) | instskip(NEXT) | instid1(VALU_DEP_2)
	v_add_f32_e32 v117, 1.0, v114
	v_add_f32_e32 v115, v103, v115
	s_delay_alu instid0(VALU_DEP_2) | instskip(NEXT) | instid1(VALU_DEP_2)
	v_sub_f32_e32 v113, v113, v117
	v_add_f32_e32 v117, v116, v115
	s_delay_alu instid0(VALU_DEP_2) | instskip(NEXT) | instid1(VALU_DEP_2)
	v_add_f32_e32 v103, v103, v113
	v_rcp_f32_e32 v113, v117
	v_sub_f32_e32 v116, v116, v117
	s_delay_alu instid0(VALU_DEP_1) | instskip(NEXT) | instid1(VALU_DEP_1)
	v_dual_add_f32 v118, v114, v103 :: v_dual_add_f32 v115, v115, v116
	v_sub_f32_e32 v114, v114, v118
	s_waitcnt_depctr 0xfff
	v_mul_f32_e32 v119, v118, v113
	s_delay_alu instid0(VALU_DEP_1) | instskip(NEXT) | instid1(VALU_DEP_1)
	v_dual_add_f32 v103, v103, v114 :: v_dual_mul_f32 v128, v117, v119
	v_fma_f32 v116, v119, v117, -v128
	s_delay_alu instid0(VALU_DEP_1) | instskip(NEXT) | instid1(VALU_DEP_1)
	v_fmac_f32_e32 v116, v119, v115
	v_add_f32_e32 v129, v128, v116
	s_delay_alu instid0(VALU_DEP_1) | instskip(SKIP_1) | instid1(VALU_DEP_2)
	v_sub_f32_e32 v130, v118, v129
	v_sub_f32_e32 v114, v129, v128
	;; [unrolled: 1-line block ×3, first 2 shown]
	s_delay_alu instid0(VALU_DEP_2) | instskip(NEXT) | instid1(VALU_DEP_2)
	v_sub_f32_e32 v114, v114, v116
	v_sub_f32_e32 v118, v118, v129
	s_delay_alu instid0(VALU_DEP_1) | instskip(NEXT) | instid1(VALU_DEP_1)
	v_add_f32_e32 v103, v103, v118
	v_add_f32_e32 v103, v114, v103
	s_delay_alu instid0(VALU_DEP_1) | instskip(NEXT) | instid1(VALU_DEP_1)
	v_add_f32_e32 v114, v130, v103
	v_mul_f32_e32 v116, v113, v114
	s_delay_alu instid0(VALU_DEP_1) | instskip(NEXT) | instid1(VALU_DEP_1)
	v_dual_sub_f32 v129, v130, v114 :: v_dual_mul_f32 v118, v117, v116
	v_add_f32_e32 v103, v103, v129
	s_delay_alu instid0(VALU_DEP_2) | instskip(NEXT) | instid1(VALU_DEP_1)
	v_fma_f32 v117, v116, v117, -v118
	v_fmac_f32_e32 v117, v116, v115
	s_delay_alu instid0(VALU_DEP_1) | instskip(NEXT) | instid1(VALU_DEP_1)
	v_add_f32_e32 v115, v118, v117
	v_sub_f32_e32 v128, v114, v115
	v_sub_f32_e32 v118, v115, v118
	s_delay_alu instid0(VALU_DEP_2) | instskip(NEXT) | instid1(VALU_DEP_1)
	v_sub_f32_e32 v114, v114, v128
	v_sub_f32_e32 v114, v114, v115
	s_delay_alu instid0(VALU_DEP_3) | instskip(NEXT) | instid1(VALU_DEP_2)
	v_sub_f32_e32 v115, v118, v117
	v_add_f32_e32 v103, v103, v114
	v_add_f32_e32 v114, v119, v116
	s_delay_alu instid0(VALU_DEP_2) | instskip(NEXT) | instid1(VALU_DEP_2)
	v_add_f32_e32 v103, v115, v103
	v_sub_f32_e32 v115, v114, v119
	s_delay_alu instid0(VALU_DEP_2) | instskip(NEXT) | instid1(VALU_DEP_2)
	v_add_f32_e32 v103, v128, v103
	v_sub_f32_e32 v115, v116, v115
	s_delay_alu instid0(VALU_DEP_2) | instskip(NEXT) | instid1(VALU_DEP_1)
	v_mul_f32_e32 v103, v113, v103
	v_add_f32_e32 v103, v115, v103
	s_delay_alu instid0(VALU_DEP_1) | instskip(NEXT) | instid1(VALU_DEP_1)
	v_add_f32_e32 v113, v114, v103
	v_mul_f32_e32 v115, v113, v113
	s_delay_alu instid0(VALU_DEP_1) | instskip(SKIP_2) | instid1(VALU_DEP_3)
	v_fmaak_f32 v116, s25, v115, 0x3ecc95a3
	v_mul_f32_e32 v117, v113, v115
	v_cmp_eq_f32_e64 s25, 0x7f800000, v112
	v_fmaak_f32 v115, v115, v116, 0x3f2aaada
	v_ldexp_f32 v116, v113, 1
	v_sub_f32_e32 v113, v113, v114
	s_delay_alu instid0(VALU_DEP_4) | instskip(NEXT) | instid1(VALU_DEP_3)
	s_or_b32 s25, s25, s30
	v_mul_f32_e32 v115, v117, v115
	v_mul_f32_e32 v117, 0x3f317218, v102
	s_delay_alu instid0(VALU_DEP_2) | instskip(NEXT) | instid1(VALU_DEP_1)
	v_dual_sub_f32 v103, v103, v113 :: v_dual_add_f32 v114, v116, v115
	v_ldexp_f32 v103, v103, 1
	s_delay_alu instid0(VALU_DEP_2) | instskip(NEXT) | instid1(VALU_DEP_4)
	v_sub_f32_e32 v113, v114, v116
	v_fma_f32 v116, 0x3f317218, v102, -v117
	s_delay_alu instid0(VALU_DEP_1) | instskip(NEXT) | instid1(VALU_DEP_1)
	v_dual_sub_f32 v113, v115, v113 :: v_dual_fmamk_f32 v102, v102, 0xb102e308, v116
	v_add_f32_e32 v103, v103, v113
	s_delay_alu instid0(VALU_DEP_2) | instskip(NEXT) | instid1(VALU_DEP_2)
	v_add_f32_e32 v113, v117, v102
	v_add_f32_e32 v115, v114, v103
	s_delay_alu instid0(VALU_DEP_2) | instskip(NEXT) | instid1(VALU_DEP_2)
	v_sub_f32_e32 v117, v113, v117
	v_add_f32_e32 v116, v113, v115
	v_sub_f32_e32 v114, v115, v114
	s_delay_alu instid0(VALU_DEP_3) | instskip(NEXT) | instid1(VALU_DEP_2)
	v_sub_f32_e32 v102, v102, v117
	v_dual_sub_f32 v118, v116, v113 :: v_dual_sub_f32 v103, v103, v114
	s_delay_alu instid0(VALU_DEP_1) | instskip(NEXT) | instid1(VALU_DEP_2)
	v_sub_f32_e32 v119, v116, v118
	v_dual_sub_f32 v114, v115, v118 :: v_dual_add_f32 v115, v102, v103
	s_delay_alu instid0(VALU_DEP_2) | instskip(NEXT) | instid1(VALU_DEP_1)
	v_sub_f32_e32 v113, v113, v119
	v_dual_add_f32 v113, v114, v113 :: v_dual_sub_f32 v114, v115, v102
	s_delay_alu instid0(VALU_DEP_1) | instskip(NEXT) | instid1(VALU_DEP_2)
	v_add_f32_e32 v113, v115, v113
	v_sub_f32_e32 v115, v115, v114
	v_sub_f32_e32 v103, v103, v114
	s_delay_alu instid0(VALU_DEP_2) | instskip(NEXT) | instid1(VALU_DEP_1)
	v_dual_add_f32 v117, v116, v113 :: v_dual_sub_f32 v102, v102, v115
	v_sub_f32_e32 v114, v117, v116
	s_delay_alu instid0(VALU_DEP_2) | instskip(NEXT) | instid1(VALU_DEP_2)
	v_add_f32_e32 v102, v103, v102
	v_sub_f32_e32 v103, v113, v114
	s_delay_alu instid0(VALU_DEP_1) | instskip(NEXT) | instid1(VALU_DEP_1)
	v_add_f32_e32 v102, v102, v103
	v_add_f32_e32 v102, v117, v102
	s_delay_alu instid0(VALU_DEP_1) | instskip(NEXT) | instid1(VALU_DEP_1)
	v_cndmask_b32_e64 v102, v102, v112, s25
	v_add_f32_e32 v101, v101, v102
	s_delay_alu instid0(VALU_DEP_1)
	v_cvt_f16_f32_e32 v103, v101
.LBB362_97:
	s_or_b32 exec_lo, exec_lo, vcc_hi
	s_delay_alu instid0(VALU_DEP_1)
	v_dual_mov_b32 v101, v103 :: v_dual_and_b32 v102, 0xffff, v103
.LBB362_98:
	s_or_b32 exec_lo, exec_lo, s27
	s_delay_alu instid0(VALU_DEP_1)
	v_mov_b32_dpp v103, v102 row_shr:2 row_mask:0xf bank_mask:0xf
	s_mov_b32 s27, exec_lo
	v_cmpx_lt_u32_e32 1, v29
	s_cbranch_execz .LBB362_102
; %bb.99:
	s_delay_alu instid0(VALU_DEP_2) | instskip(SKIP_2) | instid1(VALU_DEP_2)
	v_cvt_f32_f16_e32 v102, v103
	v_cvt_f32_f16_e32 v112, v101
	v_cmp_u_f16_e64 s25, v103, v103
	v_min_f32_e32 v113, v102, v112
	v_max_f32_e32 v114, v102, v112
	s_delay_alu instid0(VALU_DEP_2) | instskip(NEXT) | instid1(VALU_DEP_2)
	v_cndmask_b32_e64 v113, v113, v102, s25
	v_cndmask_b32_e64 v114, v114, v102, s25
	v_cmp_u_f16_e64 s25, v101, v101
	s_delay_alu instid0(VALU_DEP_1) | instskip(NEXT) | instid1(VALU_DEP_3)
	v_cndmask_b32_e64 v102, v113, v112, s25
	v_cndmask_b32_e64 v101, v114, v112, s25
	s_delay_alu instid0(VALU_DEP_2) | instskip(NEXT) | instid1(VALU_DEP_2)
	v_cmp_class_f32_e64 vcc_hi, v102, 0x1f8
	v_cmp_neq_f32_e64 s25, v102, v101
	s_delay_alu instid0(VALU_DEP_1) | instskip(NEXT) | instid1(SALU_CYCLE_1)
	s_or_b32 s25, s25, vcc_hi
	s_and_saveexec_b32 vcc_hi, s25
	s_cbranch_execz .LBB362_101
; %bb.100:
	v_sub_f32_e32 v102, v102, v101
	s_delay_alu instid0(VALU_DEP_1) | instskip(NEXT) | instid1(VALU_DEP_1)
	v_mul_f32_e32 v103, 0x3fb8aa3b, v102
	v_fma_f32 v112, 0x3fb8aa3b, v102, -v103
	v_rndne_f32_e32 v113, v103
	s_delay_alu instid0(VALU_DEP_1) | instskip(NEXT) | instid1(VALU_DEP_1)
	v_dual_fmamk_f32 v112, v102, 0x32a5705f, v112 :: v_dual_sub_f32 v103, v103, v113
	v_add_f32_e32 v103, v103, v112
	v_cvt_i32_f32_e32 v112, v113
	v_cmp_ngt_f32_e64 s25, 0xc2ce8ed0, v102
	s_delay_alu instid0(VALU_DEP_3) | instskip(SKIP_2) | instid1(VALU_DEP_1)
	v_exp_f32_e32 v103, v103
	s_waitcnt_depctr 0xfff
	v_ldexp_f32 v103, v103, v112
	v_cndmask_b32_e64 v103, 0, v103, s25
	v_cmp_nlt_f32_e64 s25, 0x42b17218, v102
	s_delay_alu instid0(VALU_DEP_1) | instskip(NEXT) | instid1(VALU_DEP_1)
	v_cndmask_b32_e64 v112, 0x7f800000, v103, s25
	v_add_f32_e32 v113, 1.0, v112
	v_cmp_gt_f32_e64 s30, 0x33800000, |v112|
	s_delay_alu instid0(VALU_DEP_2) | instskip(NEXT) | instid1(VALU_DEP_1)
	v_cvt_f64_f32_e32 v[102:103], v113
	v_frexp_exp_i32_f64_e32 v102, v[102:103]
	v_frexp_mant_f32_e32 v103, v113
	s_delay_alu instid0(VALU_DEP_1) | instskip(SKIP_1) | instid1(VALU_DEP_1)
	v_cmp_gt_f32_e64 s25, 0x3f2aaaab, v103
	v_add_f32_e32 v103, -1.0, v113
	v_sub_f32_e32 v115, v103, v113
	s_delay_alu instid0(VALU_DEP_3) | instskip(SKIP_1) | instid1(VALU_DEP_1)
	v_subrev_co_ci_u32_e64 v102, s25, 0, v102, s25
	s_mov_b32 s25, 0x3e9b6dac
	v_sub_nc_u32_e32 v114, 0, v102
	v_cvt_f32_i32_e32 v102, v102
	s_delay_alu instid0(VALU_DEP_2) | instskip(NEXT) | instid1(VALU_DEP_1)
	v_ldexp_f32 v113, v113, v114
	v_dual_sub_f32 v103, v112, v103 :: v_dual_add_f32 v116, 1.0, v113
	v_add_f32_e32 v115, 1.0, v115
	s_delay_alu instid0(VALU_DEP_1) | instskip(NEXT) | instid1(VALU_DEP_3)
	v_add_f32_e32 v103, v103, v115
	v_add_f32_e32 v115, -1.0, v116
	s_delay_alu instid0(VALU_DEP_2) | instskip(NEXT) | instid1(VALU_DEP_2)
	v_ldexp_f32 v103, v103, v114
	v_dual_add_f32 v114, -1.0, v113 :: v_dual_sub_f32 v115, v113, v115
	s_delay_alu instid0(VALU_DEP_1) | instskip(NEXT) | instid1(VALU_DEP_2)
	v_add_f32_e32 v117, 1.0, v114
	v_add_f32_e32 v115, v103, v115
	s_delay_alu instid0(VALU_DEP_2) | instskip(NEXT) | instid1(VALU_DEP_2)
	v_sub_f32_e32 v113, v113, v117
	v_add_f32_e32 v117, v116, v115
	s_delay_alu instid0(VALU_DEP_2) | instskip(NEXT) | instid1(VALU_DEP_2)
	v_add_f32_e32 v103, v103, v113
	v_rcp_f32_e32 v113, v117
	v_sub_f32_e32 v116, v116, v117
	s_delay_alu instid0(VALU_DEP_1) | instskip(NEXT) | instid1(VALU_DEP_1)
	v_dual_add_f32 v118, v114, v103 :: v_dual_add_f32 v115, v115, v116
	v_sub_f32_e32 v114, v114, v118
	s_waitcnt_depctr 0xfff
	v_mul_f32_e32 v119, v118, v113
	s_delay_alu instid0(VALU_DEP_1) | instskip(NEXT) | instid1(VALU_DEP_1)
	v_dual_add_f32 v103, v103, v114 :: v_dual_mul_f32 v128, v117, v119
	v_fma_f32 v116, v119, v117, -v128
	s_delay_alu instid0(VALU_DEP_1) | instskip(NEXT) | instid1(VALU_DEP_1)
	v_fmac_f32_e32 v116, v119, v115
	v_add_f32_e32 v129, v128, v116
	s_delay_alu instid0(VALU_DEP_1) | instskip(SKIP_1) | instid1(VALU_DEP_2)
	v_sub_f32_e32 v130, v118, v129
	v_sub_f32_e32 v114, v129, v128
	v_sub_f32_e32 v118, v118, v130
	s_delay_alu instid0(VALU_DEP_2) | instskip(NEXT) | instid1(VALU_DEP_2)
	v_sub_f32_e32 v114, v114, v116
	v_sub_f32_e32 v118, v118, v129
	s_delay_alu instid0(VALU_DEP_1) | instskip(NEXT) | instid1(VALU_DEP_1)
	v_add_f32_e32 v103, v103, v118
	v_add_f32_e32 v103, v114, v103
	s_delay_alu instid0(VALU_DEP_1) | instskip(NEXT) | instid1(VALU_DEP_1)
	v_add_f32_e32 v114, v130, v103
	v_mul_f32_e32 v116, v113, v114
	s_delay_alu instid0(VALU_DEP_1) | instskip(NEXT) | instid1(VALU_DEP_1)
	v_dual_sub_f32 v129, v130, v114 :: v_dual_mul_f32 v118, v117, v116
	v_add_f32_e32 v103, v103, v129
	s_delay_alu instid0(VALU_DEP_2) | instskip(NEXT) | instid1(VALU_DEP_1)
	v_fma_f32 v117, v116, v117, -v118
	v_fmac_f32_e32 v117, v116, v115
	s_delay_alu instid0(VALU_DEP_1) | instskip(NEXT) | instid1(VALU_DEP_1)
	v_add_f32_e32 v115, v118, v117
	v_sub_f32_e32 v128, v114, v115
	v_sub_f32_e32 v118, v115, v118
	s_delay_alu instid0(VALU_DEP_2) | instskip(NEXT) | instid1(VALU_DEP_1)
	v_sub_f32_e32 v114, v114, v128
	v_sub_f32_e32 v114, v114, v115
	s_delay_alu instid0(VALU_DEP_3) | instskip(NEXT) | instid1(VALU_DEP_2)
	v_sub_f32_e32 v115, v118, v117
	v_add_f32_e32 v103, v103, v114
	v_add_f32_e32 v114, v119, v116
	s_delay_alu instid0(VALU_DEP_2) | instskip(NEXT) | instid1(VALU_DEP_2)
	v_add_f32_e32 v103, v115, v103
	v_sub_f32_e32 v115, v114, v119
	s_delay_alu instid0(VALU_DEP_2) | instskip(NEXT) | instid1(VALU_DEP_2)
	v_add_f32_e32 v103, v128, v103
	v_sub_f32_e32 v115, v116, v115
	s_delay_alu instid0(VALU_DEP_2) | instskip(NEXT) | instid1(VALU_DEP_1)
	v_mul_f32_e32 v103, v113, v103
	v_add_f32_e32 v103, v115, v103
	s_delay_alu instid0(VALU_DEP_1) | instskip(NEXT) | instid1(VALU_DEP_1)
	v_add_f32_e32 v113, v114, v103
	v_mul_f32_e32 v115, v113, v113
	s_delay_alu instid0(VALU_DEP_1) | instskip(SKIP_2) | instid1(VALU_DEP_3)
	v_fmaak_f32 v116, s25, v115, 0x3ecc95a3
	v_mul_f32_e32 v117, v113, v115
	v_cmp_eq_f32_e64 s25, 0x7f800000, v112
	v_fmaak_f32 v115, v115, v116, 0x3f2aaada
	v_ldexp_f32 v116, v113, 1
	v_sub_f32_e32 v113, v113, v114
	s_delay_alu instid0(VALU_DEP_4) | instskip(NEXT) | instid1(VALU_DEP_3)
	s_or_b32 s25, s25, s30
	v_mul_f32_e32 v115, v117, v115
	v_mul_f32_e32 v117, 0x3f317218, v102
	s_delay_alu instid0(VALU_DEP_2) | instskip(NEXT) | instid1(VALU_DEP_1)
	v_dual_sub_f32 v103, v103, v113 :: v_dual_add_f32 v114, v116, v115
	v_ldexp_f32 v103, v103, 1
	s_delay_alu instid0(VALU_DEP_2) | instskip(NEXT) | instid1(VALU_DEP_4)
	v_sub_f32_e32 v113, v114, v116
	v_fma_f32 v116, 0x3f317218, v102, -v117
	s_delay_alu instid0(VALU_DEP_1) | instskip(NEXT) | instid1(VALU_DEP_1)
	v_dual_sub_f32 v113, v115, v113 :: v_dual_fmamk_f32 v102, v102, 0xb102e308, v116
	v_add_f32_e32 v103, v103, v113
	s_delay_alu instid0(VALU_DEP_2) | instskip(NEXT) | instid1(VALU_DEP_2)
	v_add_f32_e32 v113, v117, v102
	v_add_f32_e32 v115, v114, v103
	s_delay_alu instid0(VALU_DEP_2) | instskip(NEXT) | instid1(VALU_DEP_2)
	v_sub_f32_e32 v117, v113, v117
	v_add_f32_e32 v116, v113, v115
	v_sub_f32_e32 v114, v115, v114
	s_delay_alu instid0(VALU_DEP_3) | instskip(NEXT) | instid1(VALU_DEP_2)
	v_sub_f32_e32 v102, v102, v117
	v_dual_sub_f32 v118, v116, v113 :: v_dual_sub_f32 v103, v103, v114
	s_delay_alu instid0(VALU_DEP_1) | instskip(NEXT) | instid1(VALU_DEP_2)
	v_sub_f32_e32 v119, v116, v118
	v_dual_sub_f32 v114, v115, v118 :: v_dual_add_f32 v115, v102, v103
	s_delay_alu instid0(VALU_DEP_2) | instskip(NEXT) | instid1(VALU_DEP_1)
	v_sub_f32_e32 v113, v113, v119
	v_dual_add_f32 v113, v114, v113 :: v_dual_sub_f32 v114, v115, v102
	s_delay_alu instid0(VALU_DEP_1) | instskip(NEXT) | instid1(VALU_DEP_2)
	v_add_f32_e32 v113, v115, v113
	v_sub_f32_e32 v115, v115, v114
	v_sub_f32_e32 v103, v103, v114
	s_delay_alu instid0(VALU_DEP_2) | instskip(NEXT) | instid1(VALU_DEP_1)
	v_dual_add_f32 v117, v116, v113 :: v_dual_sub_f32 v102, v102, v115
	v_sub_f32_e32 v114, v117, v116
	s_delay_alu instid0(VALU_DEP_2) | instskip(NEXT) | instid1(VALU_DEP_2)
	v_add_f32_e32 v102, v103, v102
	v_sub_f32_e32 v103, v113, v114
	s_delay_alu instid0(VALU_DEP_1) | instskip(NEXT) | instid1(VALU_DEP_1)
	v_add_f32_e32 v102, v102, v103
	v_add_f32_e32 v102, v117, v102
	s_delay_alu instid0(VALU_DEP_1) | instskip(NEXT) | instid1(VALU_DEP_1)
	v_cndmask_b32_e64 v102, v102, v112, s25
	v_add_f32_e32 v101, v101, v102
	s_delay_alu instid0(VALU_DEP_1)
	v_cvt_f16_f32_e32 v103, v101
.LBB362_101:
	s_or_b32 exec_lo, exec_lo, vcc_hi
	s_delay_alu instid0(VALU_DEP_1)
	v_dual_mov_b32 v101, v103 :: v_dual_and_b32 v102, 0xffff, v103
.LBB362_102:
	s_or_b32 exec_lo, exec_lo, s27
	s_delay_alu instid0(VALU_DEP_1)
	v_mov_b32_dpp v103, v102 row_shr:4 row_mask:0xf bank_mask:0xf
	s_mov_b32 s27, exec_lo
	v_cmpx_lt_u32_e32 3, v29
	s_cbranch_execz .LBB362_106
; %bb.103:
	s_delay_alu instid0(VALU_DEP_2) | instskip(SKIP_2) | instid1(VALU_DEP_2)
	v_cvt_f32_f16_e32 v102, v103
	v_cvt_f32_f16_e32 v112, v101
	v_cmp_u_f16_e64 s25, v103, v103
	v_min_f32_e32 v113, v102, v112
	v_max_f32_e32 v114, v102, v112
	s_delay_alu instid0(VALU_DEP_2) | instskip(NEXT) | instid1(VALU_DEP_2)
	v_cndmask_b32_e64 v113, v113, v102, s25
	v_cndmask_b32_e64 v114, v114, v102, s25
	v_cmp_u_f16_e64 s25, v101, v101
	s_delay_alu instid0(VALU_DEP_1) | instskip(NEXT) | instid1(VALU_DEP_3)
	v_cndmask_b32_e64 v102, v113, v112, s25
	v_cndmask_b32_e64 v101, v114, v112, s25
	s_delay_alu instid0(VALU_DEP_2) | instskip(NEXT) | instid1(VALU_DEP_2)
	v_cmp_class_f32_e64 vcc_hi, v102, 0x1f8
	v_cmp_neq_f32_e64 s25, v102, v101
	s_delay_alu instid0(VALU_DEP_1) | instskip(NEXT) | instid1(SALU_CYCLE_1)
	s_or_b32 s25, s25, vcc_hi
	s_and_saveexec_b32 vcc_hi, s25
	s_cbranch_execz .LBB362_105
; %bb.104:
	v_sub_f32_e32 v102, v102, v101
	s_delay_alu instid0(VALU_DEP_1) | instskip(NEXT) | instid1(VALU_DEP_1)
	v_mul_f32_e32 v103, 0x3fb8aa3b, v102
	v_fma_f32 v112, 0x3fb8aa3b, v102, -v103
	v_rndne_f32_e32 v113, v103
	s_delay_alu instid0(VALU_DEP_1) | instskip(NEXT) | instid1(VALU_DEP_1)
	v_dual_fmamk_f32 v112, v102, 0x32a5705f, v112 :: v_dual_sub_f32 v103, v103, v113
	v_add_f32_e32 v103, v103, v112
	v_cvt_i32_f32_e32 v112, v113
	v_cmp_ngt_f32_e64 s25, 0xc2ce8ed0, v102
	s_delay_alu instid0(VALU_DEP_3) | instskip(SKIP_2) | instid1(VALU_DEP_1)
	v_exp_f32_e32 v103, v103
	s_waitcnt_depctr 0xfff
	v_ldexp_f32 v103, v103, v112
	v_cndmask_b32_e64 v103, 0, v103, s25
	v_cmp_nlt_f32_e64 s25, 0x42b17218, v102
	s_delay_alu instid0(VALU_DEP_1) | instskip(NEXT) | instid1(VALU_DEP_1)
	v_cndmask_b32_e64 v112, 0x7f800000, v103, s25
	v_add_f32_e32 v113, 1.0, v112
	v_cmp_gt_f32_e64 s30, 0x33800000, |v112|
	s_delay_alu instid0(VALU_DEP_2) | instskip(NEXT) | instid1(VALU_DEP_1)
	v_cvt_f64_f32_e32 v[102:103], v113
	v_frexp_exp_i32_f64_e32 v102, v[102:103]
	v_frexp_mant_f32_e32 v103, v113
	s_delay_alu instid0(VALU_DEP_1) | instskip(SKIP_1) | instid1(VALU_DEP_1)
	v_cmp_gt_f32_e64 s25, 0x3f2aaaab, v103
	v_add_f32_e32 v103, -1.0, v113
	v_sub_f32_e32 v115, v103, v113
	s_delay_alu instid0(VALU_DEP_3) | instskip(SKIP_1) | instid1(VALU_DEP_1)
	v_subrev_co_ci_u32_e64 v102, s25, 0, v102, s25
	s_mov_b32 s25, 0x3e9b6dac
	v_sub_nc_u32_e32 v114, 0, v102
	v_cvt_f32_i32_e32 v102, v102
	s_delay_alu instid0(VALU_DEP_2) | instskip(NEXT) | instid1(VALU_DEP_1)
	v_ldexp_f32 v113, v113, v114
	v_dual_sub_f32 v103, v112, v103 :: v_dual_add_f32 v116, 1.0, v113
	v_add_f32_e32 v115, 1.0, v115
	s_delay_alu instid0(VALU_DEP_1) | instskip(NEXT) | instid1(VALU_DEP_3)
	v_add_f32_e32 v103, v103, v115
	v_add_f32_e32 v115, -1.0, v116
	s_delay_alu instid0(VALU_DEP_2) | instskip(NEXT) | instid1(VALU_DEP_2)
	v_ldexp_f32 v103, v103, v114
	v_dual_add_f32 v114, -1.0, v113 :: v_dual_sub_f32 v115, v113, v115
	s_delay_alu instid0(VALU_DEP_1) | instskip(NEXT) | instid1(VALU_DEP_2)
	v_add_f32_e32 v117, 1.0, v114
	v_add_f32_e32 v115, v103, v115
	s_delay_alu instid0(VALU_DEP_2) | instskip(NEXT) | instid1(VALU_DEP_2)
	v_sub_f32_e32 v113, v113, v117
	v_add_f32_e32 v117, v116, v115
	s_delay_alu instid0(VALU_DEP_2) | instskip(NEXT) | instid1(VALU_DEP_2)
	v_add_f32_e32 v103, v103, v113
	v_rcp_f32_e32 v113, v117
	v_sub_f32_e32 v116, v116, v117
	s_delay_alu instid0(VALU_DEP_1) | instskip(NEXT) | instid1(VALU_DEP_1)
	v_dual_add_f32 v118, v114, v103 :: v_dual_add_f32 v115, v115, v116
	v_sub_f32_e32 v114, v114, v118
	s_waitcnt_depctr 0xfff
	v_mul_f32_e32 v119, v118, v113
	s_delay_alu instid0(VALU_DEP_1) | instskip(NEXT) | instid1(VALU_DEP_1)
	v_dual_add_f32 v103, v103, v114 :: v_dual_mul_f32 v128, v117, v119
	v_fma_f32 v116, v119, v117, -v128
	s_delay_alu instid0(VALU_DEP_1) | instskip(NEXT) | instid1(VALU_DEP_1)
	v_fmac_f32_e32 v116, v119, v115
	v_add_f32_e32 v129, v128, v116
	s_delay_alu instid0(VALU_DEP_1) | instskip(SKIP_1) | instid1(VALU_DEP_2)
	v_sub_f32_e32 v130, v118, v129
	v_sub_f32_e32 v114, v129, v128
	;; [unrolled: 1-line block ×3, first 2 shown]
	s_delay_alu instid0(VALU_DEP_2) | instskip(NEXT) | instid1(VALU_DEP_2)
	v_sub_f32_e32 v114, v114, v116
	v_sub_f32_e32 v118, v118, v129
	s_delay_alu instid0(VALU_DEP_1) | instskip(NEXT) | instid1(VALU_DEP_1)
	v_add_f32_e32 v103, v103, v118
	v_add_f32_e32 v103, v114, v103
	s_delay_alu instid0(VALU_DEP_1) | instskip(NEXT) | instid1(VALU_DEP_1)
	v_add_f32_e32 v114, v130, v103
	v_mul_f32_e32 v116, v113, v114
	s_delay_alu instid0(VALU_DEP_1) | instskip(NEXT) | instid1(VALU_DEP_1)
	v_dual_sub_f32 v129, v130, v114 :: v_dual_mul_f32 v118, v117, v116
	v_add_f32_e32 v103, v103, v129
	s_delay_alu instid0(VALU_DEP_2) | instskip(NEXT) | instid1(VALU_DEP_1)
	v_fma_f32 v117, v116, v117, -v118
	v_fmac_f32_e32 v117, v116, v115
	s_delay_alu instid0(VALU_DEP_1) | instskip(NEXT) | instid1(VALU_DEP_1)
	v_add_f32_e32 v115, v118, v117
	v_sub_f32_e32 v128, v114, v115
	v_sub_f32_e32 v118, v115, v118
	s_delay_alu instid0(VALU_DEP_2) | instskip(NEXT) | instid1(VALU_DEP_1)
	v_sub_f32_e32 v114, v114, v128
	v_sub_f32_e32 v114, v114, v115
	s_delay_alu instid0(VALU_DEP_3) | instskip(NEXT) | instid1(VALU_DEP_2)
	v_sub_f32_e32 v115, v118, v117
	v_add_f32_e32 v103, v103, v114
	v_add_f32_e32 v114, v119, v116
	s_delay_alu instid0(VALU_DEP_2) | instskip(NEXT) | instid1(VALU_DEP_2)
	v_add_f32_e32 v103, v115, v103
	v_sub_f32_e32 v115, v114, v119
	s_delay_alu instid0(VALU_DEP_2) | instskip(NEXT) | instid1(VALU_DEP_2)
	v_add_f32_e32 v103, v128, v103
	v_sub_f32_e32 v115, v116, v115
	s_delay_alu instid0(VALU_DEP_2) | instskip(NEXT) | instid1(VALU_DEP_1)
	v_mul_f32_e32 v103, v113, v103
	v_add_f32_e32 v103, v115, v103
	s_delay_alu instid0(VALU_DEP_1) | instskip(NEXT) | instid1(VALU_DEP_1)
	v_add_f32_e32 v113, v114, v103
	v_mul_f32_e32 v115, v113, v113
	s_delay_alu instid0(VALU_DEP_1) | instskip(SKIP_2) | instid1(VALU_DEP_3)
	v_fmaak_f32 v116, s25, v115, 0x3ecc95a3
	v_mul_f32_e32 v117, v113, v115
	v_cmp_eq_f32_e64 s25, 0x7f800000, v112
	v_fmaak_f32 v115, v115, v116, 0x3f2aaada
	v_ldexp_f32 v116, v113, 1
	v_sub_f32_e32 v113, v113, v114
	s_delay_alu instid0(VALU_DEP_4) | instskip(NEXT) | instid1(VALU_DEP_3)
	s_or_b32 s25, s25, s30
	v_mul_f32_e32 v115, v117, v115
	v_mul_f32_e32 v117, 0x3f317218, v102
	s_delay_alu instid0(VALU_DEP_2) | instskip(NEXT) | instid1(VALU_DEP_1)
	v_dual_sub_f32 v103, v103, v113 :: v_dual_add_f32 v114, v116, v115
	v_ldexp_f32 v103, v103, 1
	s_delay_alu instid0(VALU_DEP_2) | instskip(NEXT) | instid1(VALU_DEP_4)
	v_sub_f32_e32 v113, v114, v116
	v_fma_f32 v116, 0x3f317218, v102, -v117
	s_delay_alu instid0(VALU_DEP_1) | instskip(NEXT) | instid1(VALU_DEP_1)
	v_dual_sub_f32 v113, v115, v113 :: v_dual_fmamk_f32 v102, v102, 0xb102e308, v116
	v_add_f32_e32 v103, v103, v113
	s_delay_alu instid0(VALU_DEP_2) | instskip(NEXT) | instid1(VALU_DEP_2)
	v_add_f32_e32 v113, v117, v102
	v_add_f32_e32 v115, v114, v103
	s_delay_alu instid0(VALU_DEP_2) | instskip(NEXT) | instid1(VALU_DEP_2)
	v_sub_f32_e32 v117, v113, v117
	v_add_f32_e32 v116, v113, v115
	v_sub_f32_e32 v114, v115, v114
	s_delay_alu instid0(VALU_DEP_3) | instskip(NEXT) | instid1(VALU_DEP_2)
	v_sub_f32_e32 v102, v102, v117
	v_dual_sub_f32 v118, v116, v113 :: v_dual_sub_f32 v103, v103, v114
	s_delay_alu instid0(VALU_DEP_1) | instskip(NEXT) | instid1(VALU_DEP_2)
	v_sub_f32_e32 v119, v116, v118
	v_dual_sub_f32 v114, v115, v118 :: v_dual_add_f32 v115, v102, v103
	s_delay_alu instid0(VALU_DEP_2) | instskip(NEXT) | instid1(VALU_DEP_1)
	v_sub_f32_e32 v113, v113, v119
	v_dual_add_f32 v113, v114, v113 :: v_dual_sub_f32 v114, v115, v102
	s_delay_alu instid0(VALU_DEP_1) | instskip(NEXT) | instid1(VALU_DEP_2)
	v_add_f32_e32 v113, v115, v113
	v_sub_f32_e32 v115, v115, v114
	v_sub_f32_e32 v103, v103, v114
	s_delay_alu instid0(VALU_DEP_2) | instskip(NEXT) | instid1(VALU_DEP_1)
	v_dual_add_f32 v117, v116, v113 :: v_dual_sub_f32 v102, v102, v115
	v_sub_f32_e32 v114, v117, v116
	s_delay_alu instid0(VALU_DEP_2) | instskip(NEXT) | instid1(VALU_DEP_2)
	v_add_f32_e32 v102, v103, v102
	v_sub_f32_e32 v103, v113, v114
	s_delay_alu instid0(VALU_DEP_1) | instskip(NEXT) | instid1(VALU_DEP_1)
	v_add_f32_e32 v102, v102, v103
	v_add_f32_e32 v102, v117, v102
	s_delay_alu instid0(VALU_DEP_1) | instskip(NEXT) | instid1(VALU_DEP_1)
	v_cndmask_b32_e64 v102, v102, v112, s25
	v_add_f32_e32 v101, v101, v102
	s_delay_alu instid0(VALU_DEP_1)
	v_cvt_f16_f32_e32 v103, v101
.LBB362_105:
	s_or_b32 exec_lo, exec_lo, vcc_hi
	s_delay_alu instid0(VALU_DEP_1)
	v_dual_mov_b32 v101, v103 :: v_dual_and_b32 v102, 0xffff, v103
.LBB362_106:
	s_or_b32 exec_lo, exec_lo, s27
	s_delay_alu instid0(VALU_DEP_1)
	v_mov_b32_dpp v103, v102 row_shr:8 row_mask:0xf bank_mask:0xf
	s_mov_b32 s27, exec_lo
	v_cmpx_lt_u32_e32 7, v29
	s_cbranch_execz .LBB362_110
; %bb.107:
	s_delay_alu instid0(VALU_DEP_2) | instskip(SKIP_2) | instid1(VALU_DEP_2)
	v_cvt_f32_f16_e32 v29, v103
	v_cvt_f32_f16_e32 v102, v101
	v_cmp_u_f16_e64 s25, v103, v103
	v_min_f32_e32 v112, v29, v102
	v_max_f32_e32 v113, v29, v102
	s_delay_alu instid0(VALU_DEP_2) | instskip(NEXT) | instid1(VALU_DEP_2)
	v_cndmask_b32_e64 v112, v112, v29, s25
	v_cndmask_b32_e64 v29, v113, v29, s25
	v_cmp_u_f16_e64 s25, v101, v101
	s_delay_alu instid0(VALU_DEP_1) | instskip(NEXT) | instid1(VALU_DEP_3)
	v_cndmask_b32_e64 v101, v112, v102, s25
	v_cndmask_b32_e64 v29, v29, v102, s25
	s_delay_alu instid0(VALU_DEP_2) | instskip(NEXT) | instid1(VALU_DEP_2)
	v_cmp_class_f32_e64 vcc_hi, v101, 0x1f8
	v_cmp_neq_f32_e64 s25, v101, v29
	s_delay_alu instid0(VALU_DEP_1) | instskip(NEXT) | instid1(SALU_CYCLE_1)
	s_or_b32 s25, s25, vcc_hi
	s_and_saveexec_b32 vcc_hi, s25
	s_cbranch_execz .LBB362_109
; %bb.108:
	v_sub_f32_e32 v101, v101, v29
	s_delay_alu instid0(VALU_DEP_1) | instskip(NEXT) | instid1(VALU_DEP_1)
	v_mul_f32_e32 v102, 0x3fb8aa3b, v101
	v_fma_f32 v103, 0x3fb8aa3b, v101, -v102
	v_rndne_f32_e32 v112, v102
	s_delay_alu instid0(VALU_DEP_1) | instskip(SKIP_1) | instid1(VALU_DEP_2)
	v_dual_sub_f32 v102, v102, v112 :: v_dual_fmamk_f32 v103, v101, 0x32a5705f, v103
	v_cmp_ngt_f32_e64 s25, 0xc2ce8ed0, v101
	v_add_f32_e32 v102, v102, v103
	v_cvt_i32_f32_e32 v103, v112
	s_delay_alu instid0(VALU_DEP_2) | instskip(SKIP_2) | instid1(VALU_DEP_1)
	v_exp_f32_e32 v102, v102
	s_waitcnt_depctr 0xfff
	v_ldexp_f32 v102, v102, v103
	v_cndmask_b32_e64 v102, 0, v102, s25
	v_cmp_nlt_f32_e64 s25, 0x42b17218, v101
	s_delay_alu instid0(VALU_DEP_1) | instskip(NEXT) | instid1(VALU_DEP_1)
	v_cndmask_b32_e64 v103, 0x7f800000, v102, s25
	v_add_f32_e32 v112, 1.0, v103
	v_cmp_gt_f32_e64 s30, 0x33800000, |v103|
	s_delay_alu instid0(VALU_DEP_2) | instskip(NEXT) | instid1(VALU_DEP_1)
	v_cvt_f64_f32_e32 v[101:102], v112
	v_frexp_exp_i32_f64_e32 v101, v[101:102]
	v_frexp_mant_f32_e32 v102, v112
	s_delay_alu instid0(VALU_DEP_1) | instskip(SKIP_1) | instid1(VALU_DEP_1)
	v_cmp_gt_f32_e64 s25, 0x3f2aaaab, v102
	v_add_f32_e32 v102, -1.0, v112
	v_sub_f32_e32 v114, v102, v112
	v_sub_f32_e32 v102, v103, v102
	s_delay_alu instid0(VALU_DEP_4) | instskip(SKIP_1) | instid1(VALU_DEP_1)
	v_subrev_co_ci_u32_e64 v101, s25, 0, v101, s25
	s_mov_b32 s25, 0x3e9b6dac
	v_sub_nc_u32_e32 v113, 0, v101
	v_cvt_f32_i32_e32 v101, v101
	s_delay_alu instid0(VALU_DEP_2) | instskip(NEXT) | instid1(VALU_DEP_1)
	v_ldexp_f32 v112, v112, v113
	v_dual_add_f32 v115, 1.0, v112 :: v_dual_add_f32 v114, 1.0, v114
	s_delay_alu instid0(VALU_DEP_1) | instskip(NEXT) | instid1(VALU_DEP_2)
	v_add_f32_e32 v102, v102, v114
	v_add_f32_e32 v114, -1.0, v115
	s_delay_alu instid0(VALU_DEP_2) | instskip(NEXT) | instid1(VALU_DEP_2)
	v_ldexp_f32 v102, v102, v113
	v_dual_add_f32 v113, -1.0, v112 :: v_dual_sub_f32 v114, v112, v114
	s_delay_alu instid0(VALU_DEP_1) | instskip(NEXT) | instid1(VALU_DEP_2)
	v_add_f32_e32 v116, 1.0, v113
	v_add_f32_e32 v114, v102, v114
	s_delay_alu instid0(VALU_DEP_2) | instskip(NEXT) | instid1(VALU_DEP_2)
	v_sub_f32_e32 v112, v112, v116
	v_add_f32_e32 v116, v115, v114
	s_delay_alu instid0(VALU_DEP_2) | instskip(NEXT) | instid1(VALU_DEP_2)
	v_add_f32_e32 v102, v102, v112
	v_rcp_f32_e32 v112, v116
	v_sub_f32_e32 v115, v115, v116
	s_delay_alu instid0(VALU_DEP_1) | instskip(NEXT) | instid1(VALU_DEP_1)
	v_dual_add_f32 v117, v113, v102 :: v_dual_add_f32 v114, v114, v115
	v_sub_f32_e32 v113, v113, v117
	s_waitcnt_depctr 0xfff
	v_mul_f32_e32 v118, v117, v112
	s_delay_alu instid0(VALU_DEP_1) | instskip(NEXT) | instid1(VALU_DEP_1)
	v_dual_add_f32 v102, v102, v113 :: v_dual_mul_f32 v119, v116, v118
	v_fma_f32 v115, v118, v116, -v119
	s_delay_alu instid0(VALU_DEP_1) | instskip(NEXT) | instid1(VALU_DEP_1)
	v_fmac_f32_e32 v115, v118, v114
	v_add_f32_e32 v128, v119, v115
	s_delay_alu instid0(VALU_DEP_1) | instskip(SKIP_1) | instid1(VALU_DEP_2)
	v_sub_f32_e32 v129, v117, v128
	v_sub_f32_e32 v113, v128, v119
	;; [unrolled: 1-line block ×3, first 2 shown]
	s_delay_alu instid0(VALU_DEP_2) | instskip(NEXT) | instid1(VALU_DEP_2)
	v_sub_f32_e32 v113, v113, v115
	v_sub_f32_e32 v117, v117, v128
	s_delay_alu instid0(VALU_DEP_1) | instskip(NEXT) | instid1(VALU_DEP_1)
	v_add_f32_e32 v102, v102, v117
	v_add_f32_e32 v102, v113, v102
	s_delay_alu instid0(VALU_DEP_1) | instskip(NEXT) | instid1(VALU_DEP_1)
	v_add_f32_e32 v113, v129, v102
	v_mul_f32_e32 v115, v112, v113
	s_delay_alu instid0(VALU_DEP_1) | instskip(NEXT) | instid1(VALU_DEP_1)
	v_dual_sub_f32 v128, v129, v113 :: v_dual_mul_f32 v117, v116, v115
	v_add_f32_e32 v102, v102, v128
	s_delay_alu instid0(VALU_DEP_2) | instskip(NEXT) | instid1(VALU_DEP_1)
	v_fma_f32 v116, v115, v116, -v117
	v_fmac_f32_e32 v116, v115, v114
	s_delay_alu instid0(VALU_DEP_1) | instskip(NEXT) | instid1(VALU_DEP_1)
	v_add_f32_e32 v114, v117, v116
	v_sub_f32_e32 v119, v113, v114
	v_sub_f32_e32 v117, v114, v117
	s_delay_alu instid0(VALU_DEP_2) | instskip(NEXT) | instid1(VALU_DEP_1)
	v_sub_f32_e32 v113, v113, v119
	v_sub_f32_e32 v113, v113, v114
	s_delay_alu instid0(VALU_DEP_3) | instskip(NEXT) | instid1(VALU_DEP_2)
	v_sub_f32_e32 v114, v117, v116
	v_add_f32_e32 v102, v102, v113
	v_add_f32_e32 v113, v118, v115
	s_delay_alu instid0(VALU_DEP_2) | instskip(NEXT) | instid1(VALU_DEP_2)
	v_add_f32_e32 v102, v114, v102
	v_sub_f32_e32 v114, v113, v118
	s_delay_alu instid0(VALU_DEP_2) | instskip(NEXT) | instid1(VALU_DEP_2)
	v_add_f32_e32 v102, v119, v102
	v_sub_f32_e32 v114, v115, v114
	s_delay_alu instid0(VALU_DEP_2) | instskip(NEXT) | instid1(VALU_DEP_1)
	v_mul_f32_e32 v102, v112, v102
	v_add_f32_e32 v102, v114, v102
	s_delay_alu instid0(VALU_DEP_1) | instskip(NEXT) | instid1(VALU_DEP_1)
	v_add_f32_e32 v112, v113, v102
	v_mul_f32_e32 v114, v112, v112
	s_delay_alu instid0(VALU_DEP_1) | instskip(SKIP_2) | instid1(VALU_DEP_3)
	v_fmaak_f32 v115, s25, v114, 0x3ecc95a3
	v_mul_f32_e32 v116, v112, v114
	v_cmp_eq_f32_e64 s25, 0x7f800000, v103
	v_fmaak_f32 v114, v114, v115, 0x3f2aaada
	v_ldexp_f32 v115, v112, 1
	v_sub_f32_e32 v112, v112, v113
	s_delay_alu instid0(VALU_DEP_4) | instskip(NEXT) | instid1(VALU_DEP_3)
	s_or_b32 s25, s25, s30
	v_mul_f32_e32 v114, v116, v114
	v_mul_f32_e32 v116, 0x3f317218, v101
	s_delay_alu instid0(VALU_DEP_2) | instskip(NEXT) | instid1(VALU_DEP_1)
	v_dual_sub_f32 v102, v102, v112 :: v_dual_add_f32 v113, v115, v114
	v_ldexp_f32 v102, v102, 1
	s_delay_alu instid0(VALU_DEP_2) | instskip(NEXT) | instid1(VALU_DEP_4)
	v_sub_f32_e32 v112, v113, v115
	v_fma_f32 v115, 0x3f317218, v101, -v116
	s_delay_alu instid0(VALU_DEP_1) | instskip(NEXT) | instid1(VALU_DEP_1)
	v_dual_sub_f32 v112, v114, v112 :: v_dual_fmamk_f32 v101, v101, 0xb102e308, v115
	v_add_f32_e32 v102, v102, v112
	s_delay_alu instid0(VALU_DEP_2) | instskip(NEXT) | instid1(VALU_DEP_2)
	v_add_f32_e32 v112, v116, v101
	v_add_f32_e32 v114, v113, v102
	s_delay_alu instid0(VALU_DEP_2) | instskip(NEXT) | instid1(VALU_DEP_2)
	v_sub_f32_e32 v116, v112, v116
	v_add_f32_e32 v115, v112, v114
	v_sub_f32_e32 v113, v114, v113
	s_delay_alu instid0(VALU_DEP_3) | instskip(NEXT) | instid1(VALU_DEP_2)
	v_sub_f32_e32 v101, v101, v116
	v_dual_sub_f32 v117, v115, v112 :: v_dual_sub_f32 v102, v102, v113
	s_delay_alu instid0(VALU_DEP_1) | instskip(NEXT) | instid1(VALU_DEP_2)
	v_sub_f32_e32 v118, v115, v117
	v_dual_sub_f32 v113, v114, v117 :: v_dual_add_f32 v114, v101, v102
	s_delay_alu instid0(VALU_DEP_2) | instskip(NEXT) | instid1(VALU_DEP_1)
	v_sub_f32_e32 v112, v112, v118
	v_dual_add_f32 v112, v113, v112 :: v_dual_sub_f32 v113, v114, v101
	s_delay_alu instid0(VALU_DEP_1) | instskip(NEXT) | instid1(VALU_DEP_2)
	v_add_f32_e32 v112, v114, v112
	v_sub_f32_e32 v114, v114, v113
	v_sub_f32_e32 v102, v102, v113
	s_delay_alu instid0(VALU_DEP_2) | instskip(NEXT) | instid1(VALU_DEP_1)
	v_dual_add_f32 v116, v115, v112 :: v_dual_sub_f32 v101, v101, v114
	v_sub_f32_e32 v113, v116, v115
	s_delay_alu instid0(VALU_DEP_2) | instskip(NEXT) | instid1(VALU_DEP_2)
	v_add_f32_e32 v101, v102, v101
	v_sub_f32_e32 v102, v112, v113
	s_delay_alu instid0(VALU_DEP_1) | instskip(NEXT) | instid1(VALU_DEP_1)
	v_add_f32_e32 v101, v101, v102
	v_add_f32_e32 v101, v116, v101
	s_delay_alu instid0(VALU_DEP_1) | instskip(NEXT) | instid1(VALU_DEP_1)
	v_cndmask_b32_e64 v101, v101, v103, s25
	v_add_f32_e32 v29, v29, v101
	s_delay_alu instid0(VALU_DEP_1)
	v_cvt_f16_f32_e32 v103, v29
.LBB362_109:
	s_or_b32 exec_lo, exec_lo, vcc_hi
	s_delay_alu instid0(VALU_DEP_1)
	v_dual_mov_b32 v101, v103 :: v_dual_and_b32 v102, 0xffff, v103
.LBB362_110:
	s_or_b32 exec_lo, exec_lo, s27
	ds_swizzle_b32 v102, v102 offset:swizzle(BROADCAST,32,15)
	v_and_b32_e32 v29, 16, v28
	s_mov_b32 s27, exec_lo
	s_delay_alu instid0(VALU_DEP_1)
	v_cmpx_ne_u32_e32 0, v29
	s_cbranch_execz .LBB362_114
; %bb.111:
	s_waitcnt lgkmcnt(0)
	v_cvt_f32_f16_e32 v29, v102
	v_cvt_f32_f16_e32 v103, v101
	v_cmp_u_f16_e64 s25, v102, v102
	s_delay_alu instid0(VALU_DEP_2) | instskip(SKIP_1) | instid1(VALU_DEP_2)
	v_min_f32_e32 v112, v29, v103
	v_max_f32_e32 v113, v29, v103
	v_cndmask_b32_e64 v112, v112, v29, s25
	s_delay_alu instid0(VALU_DEP_2) | instskip(SKIP_1) | instid1(VALU_DEP_1)
	v_cndmask_b32_e64 v29, v113, v29, s25
	v_cmp_u_f16_e64 s25, v101, v101
	v_cndmask_b32_e64 v101, v112, v103, s25
	s_delay_alu instid0(VALU_DEP_3) | instskip(NEXT) | instid1(VALU_DEP_2)
	v_cndmask_b32_e64 v29, v29, v103, s25
	v_cmp_class_f32_e64 vcc_hi, v101, 0x1f8
	s_delay_alu instid0(VALU_DEP_2) | instskip(NEXT) | instid1(VALU_DEP_1)
	v_cmp_neq_f32_e64 s25, v101, v29
	s_or_b32 s25, s25, vcc_hi
	s_delay_alu instid0(SALU_CYCLE_1)
	s_and_saveexec_b32 vcc_hi, s25
	s_cbranch_execz .LBB362_113
; %bb.112:
	v_sub_f32_e32 v101, v101, v29
	s_delay_alu instid0(VALU_DEP_1) | instskip(NEXT) | instid1(VALU_DEP_1)
	v_mul_f32_e32 v102, 0x3fb8aa3b, v101
	v_fma_f32 v103, 0x3fb8aa3b, v101, -v102
	v_rndne_f32_e32 v112, v102
	s_delay_alu instid0(VALU_DEP_1) | instskip(SKIP_1) | instid1(VALU_DEP_2)
	v_dual_sub_f32 v102, v102, v112 :: v_dual_fmamk_f32 v103, v101, 0x32a5705f, v103
	v_cmp_ngt_f32_e64 s25, 0xc2ce8ed0, v101
	v_add_f32_e32 v102, v102, v103
	v_cvt_i32_f32_e32 v103, v112
	s_delay_alu instid0(VALU_DEP_2) | instskip(SKIP_2) | instid1(VALU_DEP_1)
	v_exp_f32_e32 v102, v102
	s_waitcnt_depctr 0xfff
	v_ldexp_f32 v102, v102, v103
	v_cndmask_b32_e64 v102, 0, v102, s25
	v_cmp_nlt_f32_e64 s25, 0x42b17218, v101
	s_delay_alu instid0(VALU_DEP_1) | instskip(NEXT) | instid1(VALU_DEP_1)
	v_cndmask_b32_e64 v103, 0x7f800000, v102, s25
	v_add_f32_e32 v112, 1.0, v103
	v_cmp_gt_f32_e64 s30, 0x33800000, |v103|
	s_delay_alu instid0(VALU_DEP_2) | instskip(NEXT) | instid1(VALU_DEP_1)
	v_cvt_f64_f32_e32 v[101:102], v112
	v_frexp_exp_i32_f64_e32 v101, v[101:102]
	v_frexp_mant_f32_e32 v102, v112
	s_delay_alu instid0(VALU_DEP_1) | instskip(SKIP_1) | instid1(VALU_DEP_1)
	v_cmp_gt_f32_e64 s25, 0x3f2aaaab, v102
	v_add_f32_e32 v102, -1.0, v112
	v_sub_f32_e32 v114, v102, v112
	v_sub_f32_e32 v102, v103, v102
	s_delay_alu instid0(VALU_DEP_4) | instskip(SKIP_1) | instid1(VALU_DEP_1)
	v_subrev_co_ci_u32_e64 v101, s25, 0, v101, s25
	s_mov_b32 s25, 0x3e9b6dac
	v_sub_nc_u32_e32 v113, 0, v101
	v_cvt_f32_i32_e32 v101, v101
	s_delay_alu instid0(VALU_DEP_2) | instskip(NEXT) | instid1(VALU_DEP_1)
	v_ldexp_f32 v112, v112, v113
	v_dual_add_f32 v115, 1.0, v112 :: v_dual_add_f32 v114, 1.0, v114
	s_delay_alu instid0(VALU_DEP_1) | instskip(NEXT) | instid1(VALU_DEP_2)
	v_add_f32_e32 v102, v102, v114
	v_add_f32_e32 v114, -1.0, v115
	s_delay_alu instid0(VALU_DEP_2) | instskip(NEXT) | instid1(VALU_DEP_2)
	v_ldexp_f32 v102, v102, v113
	v_dual_add_f32 v113, -1.0, v112 :: v_dual_sub_f32 v114, v112, v114
	s_delay_alu instid0(VALU_DEP_1) | instskip(NEXT) | instid1(VALU_DEP_2)
	v_add_f32_e32 v116, 1.0, v113
	v_add_f32_e32 v114, v102, v114
	s_delay_alu instid0(VALU_DEP_2) | instskip(NEXT) | instid1(VALU_DEP_2)
	v_sub_f32_e32 v112, v112, v116
	v_add_f32_e32 v116, v115, v114
	s_delay_alu instid0(VALU_DEP_2) | instskip(NEXT) | instid1(VALU_DEP_2)
	v_add_f32_e32 v102, v102, v112
	v_rcp_f32_e32 v112, v116
	v_sub_f32_e32 v115, v115, v116
	s_delay_alu instid0(VALU_DEP_1) | instskip(NEXT) | instid1(VALU_DEP_1)
	v_dual_add_f32 v117, v113, v102 :: v_dual_add_f32 v114, v114, v115
	v_sub_f32_e32 v113, v113, v117
	s_waitcnt_depctr 0xfff
	v_mul_f32_e32 v118, v117, v112
	s_delay_alu instid0(VALU_DEP_1) | instskip(NEXT) | instid1(VALU_DEP_1)
	v_dual_add_f32 v102, v102, v113 :: v_dual_mul_f32 v119, v116, v118
	v_fma_f32 v115, v118, v116, -v119
	s_delay_alu instid0(VALU_DEP_1) | instskip(NEXT) | instid1(VALU_DEP_1)
	v_fmac_f32_e32 v115, v118, v114
	v_add_f32_e32 v128, v119, v115
	s_delay_alu instid0(VALU_DEP_1) | instskip(SKIP_1) | instid1(VALU_DEP_2)
	v_sub_f32_e32 v129, v117, v128
	v_sub_f32_e32 v113, v128, v119
	v_sub_f32_e32 v117, v117, v129
	s_delay_alu instid0(VALU_DEP_2) | instskip(NEXT) | instid1(VALU_DEP_2)
	v_sub_f32_e32 v113, v113, v115
	v_sub_f32_e32 v117, v117, v128
	s_delay_alu instid0(VALU_DEP_1) | instskip(NEXT) | instid1(VALU_DEP_1)
	v_add_f32_e32 v102, v102, v117
	v_add_f32_e32 v102, v113, v102
	s_delay_alu instid0(VALU_DEP_1) | instskip(NEXT) | instid1(VALU_DEP_1)
	v_add_f32_e32 v113, v129, v102
	v_mul_f32_e32 v115, v112, v113
	s_delay_alu instid0(VALU_DEP_1) | instskip(NEXT) | instid1(VALU_DEP_1)
	v_dual_sub_f32 v128, v129, v113 :: v_dual_mul_f32 v117, v116, v115
	v_add_f32_e32 v102, v102, v128
	s_delay_alu instid0(VALU_DEP_2) | instskip(NEXT) | instid1(VALU_DEP_1)
	v_fma_f32 v116, v115, v116, -v117
	v_fmac_f32_e32 v116, v115, v114
	s_delay_alu instid0(VALU_DEP_1) | instskip(NEXT) | instid1(VALU_DEP_1)
	v_add_f32_e32 v114, v117, v116
	v_sub_f32_e32 v119, v113, v114
	v_sub_f32_e32 v117, v114, v117
	s_delay_alu instid0(VALU_DEP_2) | instskip(NEXT) | instid1(VALU_DEP_1)
	v_sub_f32_e32 v113, v113, v119
	v_sub_f32_e32 v113, v113, v114
	s_delay_alu instid0(VALU_DEP_3) | instskip(NEXT) | instid1(VALU_DEP_2)
	v_sub_f32_e32 v114, v117, v116
	v_add_f32_e32 v102, v102, v113
	v_add_f32_e32 v113, v118, v115
	s_delay_alu instid0(VALU_DEP_2) | instskip(NEXT) | instid1(VALU_DEP_2)
	v_add_f32_e32 v102, v114, v102
	v_sub_f32_e32 v114, v113, v118
	s_delay_alu instid0(VALU_DEP_2) | instskip(NEXT) | instid1(VALU_DEP_2)
	v_add_f32_e32 v102, v119, v102
	v_sub_f32_e32 v114, v115, v114
	s_delay_alu instid0(VALU_DEP_2) | instskip(NEXT) | instid1(VALU_DEP_1)
	v_mul_f32_e32 v102, v112, v102
	v_add_f32_e32 v102, v114, v102
	s_delay_alu instid0(VALU_DEP_1) | instskip(NEXT) | instid1(VALU_DEP_1)
	v_add_f32_e32 v112, v113, v102
	v_mul_f32_e32 v114, v112, v112
	s_delay_alu instid0(VALU_DEP_1) | instskip(SKIP_2) | instid1(VALU_DEP_3)
	v_fmaak_f32 v115, s25, v114, 0x3ecc95a3
	v_mul_f32_e32 v116, v112, v114
	v_cmp_eq_f32_e64 s25, 0x7f800000, v103
	v_fmaak_f32 v114, v114, v115, 0x3f2aaada
	v_ldexp_f32 v115, v112, 1
	v_sub_f32_e32 v112, v112, v113
	s_delay_alu instid0(VALU_DEP_4) | instskip(NEXT) | instid1(VALU_DEP_3)
	s_or_b32 s25, s25, s30
	v_mul_f32_e32 v114, v116, v114
	v_mul_f32_e32 v116, 0x3f317218, v101
	s_delay_alu instid0(VALU_DEP_2) | instskip(NEXT) | instid1(VALU_DEP_1)
	v_dual_sub_f32 v102, v102, v112 :: v_dual_add_f32 v113, v115, v114
	v_ldexp_f32 v102, v102, 1
	s_delay_alu instid0(VALU_DEP_2) | instskip(NEXT) | instid1(VALU_DEP_4)
	v_sub_f32_e32 v112, v113, v115
	v_fma_f32 v115, 0x3f317218, v101, -v116
	s_delay_alu instid0(VALU_DEP_1) | instskip(NEXT) | instid1(VALU_DEP_1)
	v_dual_sub_f32 v112, v114, v112 :: v_dual_fmamk_f32 v101, v101, 0xb102e308, v115
	v_add_f32_e32 v102, v102, v112
	s_delay_alu instid0(VALU_DEP_2) | instskip(NEXT) | instid1(VALU_DEP_2)
	v_add_f32_e32 v112, v116, v101
	v_add_f32_e32 v114, v113, v102
	s_delay_alu instid0(VALU_DEP_2) | instskip(NEXT) | instid1(VALU_DEP_2)
	v_sub_f32_e32 v116, v112, v116
	v_add_f32_e32 v115, v112, v114
	v_sub_f32_e32 v113, v114, v113
	s_delay_alu instid0(VALU_DEP_3) | instskip(NEXT) | instid1(VALU_DEP_2)
	v_sub_f32_e32 v101, v101, v116
	v_dual_sub_f32 v117, v115, v112 :: v_dual_sub_f32 v102, v102, v113
	s_delay_alu instid0(VALU_DEP_1) | instskip(NEXT) | instid1(VALU_DEP_2)
	v_sub_f32_e32 v118, v115, v117
	v_dual_sub_f32 v113, v114, v117 :: v_dual_add_f32 v114, v101, v102
	s_delay_alu instid0(VALU_DEP_2) | instskip(NEXT) | instid1(VALU_DEP_1)
	v_sub_f32_e32 v112, v112, v118
	v_dual_add_f32 v112, v113, v112 :: v_dual_sub_f32 v113, v114, v101
	s_delay_alu instid0(VALU_DEP_1) | instskip(NEXT) | instid1(VALU_DEP_2)
	v_add_f32_e32 v112, v114, v112
	v_sub_f32_e32 v114, v114, v113
	v_sub_f32_e32 v102, v102, v113
	s_delay_alu instid0(VALU_DEP_2) | instskip(NEXT) | instid1(VALU_DEP_1)
	v_dual_add_f32 v116, v115, v112 :: v_dual_sub_f32 v101, v101, v114
	v_sub_f32_e32 v113, v116, v115
	s_delay_alu instid0(VALU_DEP_2) | instskip(NEXT) | instid1(VALU_DEP_2)
	v_add_f32_e32 v101, v102, v101
	v_sub_f32_e32 v102, v112, v113
	s_delay_alu instid0(VALU_DEP_1) | instskip(NEXT) | instid1(VALU_DEP_1)
	v_add_f32_e32 v101, v101, v102
	v_add_f32_e32 v101, v116, v101
	s_delay_alu instid0(VALU_DEP_1) | instskip(NEXT) | instid1(VALU_DEP_1)
	v_cndmask_b32_e64 v101, v101, v103, s25
	v_add_f32_e32 v29, v29, v101
	s_delay_alu instid0(VALU_DEP_1)
	v_cvt_f16_f32_e32 v102, v29
.LBB362_113:
	s_or_b32 exec_lo, exec_lo, vcc_hi
	s_delay_alu instid0(VALU_DEP_1)
	v_mov_b32_e32 v101, v102
.LBB362_114:
	s_or_b32 exec_lo, exec_lo, s27
	v_add_nc_u32_e32 v29, -1, v28
	s_delay_alu instid0(VALU_DEP_1) | instskip(NEXT) | instid1(VALU_DEP_1)
	v_cmp_gt_i32_e64 s25, 0, v29
	v_cndmask_b32_e64 v28, v29, v28, s25
	v_and_b32_e32 v29, 0xffff, v101
	s_delay_alu instid0(VALU_DEP_2)
	v_lshlrev_b32_e32 v28, 2, v28
	ds_bpermute_b32 v28, v28, v29
	v_max_f32_e32 v29, v27, v27
	s_waitcnt lgkmcnt(0)
	v_cvt_f32_f16_e32 v101, v28
	v_cmp_u_f16_e64 s25, v28, v28
	s_delay_alu instid0(VALU_DEP_2) | instskip(SKIP_1) | instid1(VALU_DEP_2)
	v_min_f32_e32 v102, v101, v29
	v_max_f32_e32 v29, v101, v29
	v_cndmask_b32_e64 v102, v102, v101, s25
	s_delay_alu instid0(VALU_DEP_2) | instskip(NEXT) | instid1(VALU_DEP_2)
	v_cndmask_b32_e64 v101, v29, v101, s25
	v_cndmask_b32_e64 v29, v102, v27, s24
	s_delay_alu instid0(VALU_DEP_2) | instskip(NEXT) | instid1(VALU_DEP_2)
	v_cndmask_b32_e64 v27, v101, v27, s24
	v_cmp_class_f32_e64 s25, v29, 0x1f8
	s_delay_alu instid0(VALU_DEP_2) | instskip(NEXT) | instid1(VALU_DEP_1)
	v_cmp_neq_f32_e64 s24, v29, v27
	s_or_b32 s24, s24, s25
	s_delay_alu instid0(SALU_CYCLE_1)
	s_and_saveexec_b32 s25, s24
	s_cbranch_execz .LBB362_116
; %bb.115:
	v_sub_f32_e32 v28, v29, v27
	s_delay_alu instid0(VALU_DEP_1) | instskip(SKIP_1) | instid1(VALU_DEP_2)
	v_mul_f32_e32 v29, 0x3fb8aa3b, v28
	v_cmp_ngt_f32_e64 s24, 0xc2ce8ed0, v28
	v_fma_f32 v101, 0x3fb8aa3b, v28, -v29
	v_rndne_f32_e32 v102, v29
	s_delay_alu instid0(VALU_DEP_2) | instskip(NEXT) | instid1(VALU_DEP_2)
	v_fmamk_f32 v101, v28, 0x32a5705f, v101
	v_sub_f32_e32 v29, v29, v102
	s_delay_alu instid0(VALU_DEP_1) | instskip(SKIP_1) | instid1(VALU_DEP_2)
	v_add_f32_e32 v29, v29, v101
	v_cvt_i32_f32_e32 v101, v102
	v_exp_f32_e32 v29, v29
	s_waitcnt_depctr 0xfff
	v_ldexp_f32 v29, v29, v101
	s_delay_alu instid0(VALU_DEP_1) | instskip(SKIP_1) | instid1(VALU_DEP_1)
	v_cndmask_b32_e64 v29, 0, v29, s24
	v_cmp_nlt_f32_e64 s24, 0x42b17218, v28
	v_cndmask_b32_e64 v101, 0x7f800000, v29, s24
	s_delay_alu instid0(VALU_DEP_1) | instskip(SKIP_1) | instid1(VALU_DEP_2)
	v_add_f32_e32 v102, 1.0, v101
	v_cmp_gt_f32_e64 s27, 0x33800000, |v101|
	v_cvt_f64_f32_e32 v[28:29], v102
	s_delay_alu instid0(VALU_DEP_1) | instskip(SKIP_1) | instid1(VALU_DEP_1)
	v_frexp_exp_i32_f64_e32 v28, v[28:29]
	v_frexp_mant_f32_e32 v29, v102
	v_cmp_gt_f32_e64 s24, 0x3f2aaaab, v29
	v_add_f32_e32 v29, -1.0, v102
	s_delay_alu instid0(VALU_DEP_1) | instskip(NEXT) | instid1(VALU_DEP_1)
	v_sub_f32_e32 v112, v29, v102
	v_dual_sub_f32 v29, v101, v29 :: v_dual_add_f32 v112, 1.0, v112
	s_delay_alu instid0(VALU_DEP_1) | instskip(SKIP_2) | instid1(VALU_DEP_1)
	v_add_f32_e32 v29, v29, v112
	v_subrev_co_ci_u32_e64 v28, s24, 0, v28, s24
	s_mov_b32 s24, 0x3e9b6dac
	v_sub_nc_u32_e32 v103, 0, v28
	v_cvt_f32_i32_e32 v28, v28
	s_delay_alu instid0(VALU_DEP_2) | instskip(SKIP_1) | instid1(VALU_DEP_2)
	v_ldexp_f32 v102, v102, v103
	v_ldexp_f32 v29, v29, v103
	v_add_f32_e32 v113, 1.0, v102
	s_delay_alu instid0(VALU_DEP_1) | instskip(NEXT) | instid1(VALU_DEP_1)
	v_add_f32_e32 v112, -1.0, v113
	v_sub_f32_e32 v112, v102, v112
	s_delay_alu instid0(VALU_DEP_1) | instskip(NEXT) | instid1(VALU_DEP_1)
	v_dual_add_f32 v112, v29, v112 :: v_dual_add_f32 v103, -1.0, v102
	v_add_f32_e32 v114, 1.0, v103
	s_delay_alu instid0(VALU_DEP_1) | instskip(NEXT) | instid1(VALU_DEP_3)
	v_sub_f32_e32 v102, v102, v114
	v_add_f32_e32 v114, v113, v112
	s_delay_alu instid0(VALU_DEP_1) | instskip(NEXT) | instid1(VALU_DEP_3)
	v_sub_f32_e32 v113, v113, v114
	v_add_f32_e32 v29, v29, v102
	v_rcp_f32_e32 v102, v114
	s_delay_alu instid0(VALU_DEP_2) | instskip(NEXT) | instid1(VALU_DEP_2)
	v_add_f32_e32 v112, v112, v113
	v_add_f32_e32 v115, v103, v29
	s_delay_alu instid0(VALU_DEP_1) | instskip(SKIP_2) | instid1(VALU_DEP_1)
	v_sub_f32_e32 v103, v103, v115
	s_waitcnt_depctr 0xfff
	v_dual_mul_f32 v116, v115, v102 :: v_dual_add_f32 v29, v29, v103
	v_mul_f32_e32 v117, v114, v116
	s_delay_alu instid0(VALU_DEP_1) | instskip(NEXT) | instid1(VALU_DEP_1)
	v_fma_f32 v113, v116, v114, -v117
	v_fmac_f32_e32 v113, v116, v112
	s_delay_alu instid0(VALU_DEP_1) | instskip(NEXT) | instid1(VALU_DEP_1)
	v_add_f32_e32 v118, v117, v113
	v_sub_f32_e32 v119, v115, v118
	s_delay_alu instid0(VALU_DEP_1) | instskip(SKIP_1) | instid1(VALU_DEP_2)
	v_sub_f32_e32 v115, v115, v119
	v_sub_f32_e32 v103, v118, v117
	;; [unrolled: 1-line block ×3, first 2 shown]
	s_delay_alu instid0(VALU_DEP_2) | instskip(NEXT) | instid1(VALU_DEP_2)
	v_sub_f32_e32 v103, v103, v113
	v_add_f32_e32 v29, v29, v115
	s_delay_alu instid0(VALU_DEP_1) | instskip(NEXT) | instid1(VALU_DEP_1)
	v_add_f32_e32 v29, v103, v29
	v_add_f32_e32 v103, v119, v29
	s_delay_alu instid0(VALU_DEP_1) | instskip(NEXT) | instid1(VALU_DEP_1)
	v_mul_f32_e32 v113, v102, v103
	v_mul_f32_e32 v115, v114, v113
	s_delay_alu instid0(VALU_DEP_1) | instskip(NEXT) | instid1(VALU_DEP_1)
	v_fma_f32 v114, v113, v114, -v115
	v_fmac_f32_e32 v114, v113, v112
	v_sub_f32_e32 v118, v119, v103
	s_delay_alu instid0(VALU_DEP_2) | instskip(NEXT) | instid1(VALU_DEP_2)
	v_add_f32_e32 v112, v115, v114
	v_add_f32_e32 v29, v29, v118
	s_delay_alu instid0(VALU_DEP_2) | instskip(SKIP_1) | instid1(VALU_DEP_2)
	v_sub_f32_e32 v117, v103, v112
	v_sub_f32_e32 v115, v112, v115
	;; [unrolled: 1-line block ×3, first 2 shown]
	s_delay_alu instid0(VALU_DEP_1) | instskip(NEXT) | instid1(VALU_DEP_1)
	v_sub_f32_e32 v103, v103, v112
	v_dual_sub_f32 v112, v115, v114 :: v_dual_add_f32 v29, v29, v103
	v_add_f32_e32 v103, v116, v113
	s_delay_alu instid0(VALU_DEP_1) | instskip(NEXT) | instid1(VALU_DEP_1)
	v_dual_add_f32 v29, v112, v29 :: v_dual_sub_f32 v112, v103, v116
	v_add_f32_e32 v29, v117, v29
	s_delay_alu instid0(VALU_DEP_1) | instskip(NEXT) | instid1(VALU_DEP_1)
	v_dual_sub_f32 v112, v113, v112 :: v_dual_mul_f32 v29, v102, v29
	v_add_f32_e32 v29, v112, v29
	s_delay_alu instid0(VALU_DEP_1) | instskip(NEXT) | instid1(VALU_DEP_1)
	v_add_f32_e32 v102, v103, v29
	v_mul_f32_e32 v112, v102, v102
	s_delay_alu instid0(VALU_DEP_1) | instskip(SKIP_2) | instid1(VALU_DEP_3)
	v_fmaak_f32 v113, s24, v112, 0x3ecc95a3
	v_mul_f32_e32 v114, v102, v112
	v_cmp_eq_f32_e64 s24, 0x7f800000, v101
	v_fmaak_f32 v112, v112, v113, 0x3f2aaada
	v_ldexp_f32 v113, v102, 1
	v_sub_f32_e32 v102, v102, v103
	s_delay_alu instid0(VALU_DEP_4) | instskip(NEXT) | instid1(VALU_DEP_3)
	s_or_b32 s24, s24, s27
	v_mul_f32_e32 v112, v114, v112
	s_delay_alu instid0(VALU_DEP_2) | instskip(NEXT) | instid1(VALU_DEP_2)
	v_dual_mul_f32 v114, 0x3f317218, v28 :: v_dual_sub_f32 v29, v29, v102
	v_add_f32_e32 v103, v113, v112
	s_delay_alu instid0(VALU_DEP_2) | instskip(NEXT) | instid1(VALU_DEP_2)
	v_ldexp_f32 v29, v29, 1
	v_sub_f32_e32 v102, v103, v113
	s_delay_alu instid0(VALU_DEP_4) | instskip(NEXT) | instid1(VALU_DEP_2)
	v_fma_f32 v113, 0x3f317218, v28, -v114
	v_sub_f32_e32 v102, v112, v102
	s_delay_alu instid0(VALU_DEP_1) | instskip(NEXT) | instid1(VALU_DEP_1)
	v_dual_fmamk_f32 v28, v28, 0xb102e308, v113 :: v_dual_add_f32 v29, v29, v102
	v_add_f32_e32 v102, v114, v28
	s_delay_alu instid0(VALU_DEP_2) | instskip(NEXT) | instid1(VALU_DEP_2)
	v_add_f32_e32 v112, v103, v29
	v_sub_f32_e32 v114, v102, v114
	s_delay_alu instid0(VALU_DEP_2) | instskip(SKIP_1) | instid1(VALU_DEP_3)
	v_add_f32_e32 v113, v102, v112
	v_sub_f32_e32 v103, v112, v103
	v_sub_f32_e32 v28, v28, v114
	s_delay_alu instid0(VALU_DEP_3) | instskip(NEXT) | instid1(VALU_DEP_3)
	v_sub_f32_e32 v115, v113, v102
	v_sub_f32_e32 v29, v29, v103
	s_delay_alu instid0(VALU_DEP_2) | instskip(SKIP_1) | instid1(VALU_DEP_3)
	v_sub_f32_e32 v116, v113, v115
	v_sub_f32_e32 v103, v112, v115
	v_add_f32_e32 v112, v28, v29
	s_delay_alu instid0(VALU_DEP_3) | instskip(NEXT) | instid1(VALU_DEP_1)
	v_sub_f32_e32 v102, v102, v116
	v_dual_add_f32 v102, v103, v102 :: v_dual_sub_f32 v103, v112, v28
	s_delay_alu instid0(VALU_DEP_1) | instskip(NEXT) | instid1(VALU_DEP_2)
	v_add_f32_e32 v102, v112, v102
	v_sub_f32_e32 v112, v112, v103
	v_sub_f32_e32 v29, v29, v103
	s_delay_alu instid0(VALU_DEP_3) | instskip(NEXT) | instid1(VALU_DEP_1)
	v_add_f32_e32 v114, v113, v102
	v_dual_sub_f32 v28, v28, v112 :: v_dual_sub_f32 v103, v114, v113
	s_delay_alu instid0(VALU_DEP_1) | instskip(NEXT) | instid1(VALU_DEP_1)
	v_dual_add_f32 v28, v29, v28 :: v_dual_sub_f32 v29, v102, v103
	v_add_f32_e32 v28, v28, v29
	s_delay_alu instid0(VALU_DEP_1) | instskip(NEXT) | instid1(VALU_DEP_1)
	v_add_f32_e32 v28, v114, v28
	v_cndmask_b32_e64 v28, v28, v101, s24
	s_delay_alu instid0(VALU_DEP_1) | instskip(NEXT) | instid1(VALU_DEP_1)
	v_add_f32_e32 v27, v27, v28
	v_cvt_f16_f32_e32 v28, v27
.LBB362_116:
	s_or_b32 exec_lo, exec_lo, s25
	v_cmp_eq_u32_e64 s24, 0, v0
	; wave barrier
	s_delay_alu instid0(VALU_DEP_1)
	v_cndmask_b32_e64 v28, v28, v100, s24
	ds_store_b16 v26, v28
	; wave barrier
	ds_load_u16 v27, v26 offset:2
	v_cvt_f32_f16_e32 v29, v28
	v_cmp_u_f16_e64 s24, v28, v28
	s_waitcnt lgkmcnt(0)
	v_cvt_f32_f16_e32 v101, v27
	s_delay_alu instid0(VALU_DEP_1) | instskip(SKIP_1) | instid1(VALU_DEP_2)
	v_min_f32_e32 v102, v29, v101
	v_max_f32_e32 v103, v29, v101
	v_cndmask_b32_e64 v102, v102, v29, s24
	s_delay_alu instid0(VALU_DEP_2) | instskip(SKIP_1) | instid1(VALU_DEP_1)
	v_cndmask_b32_e64 v103, v103, v29, s24
	v_cmp_u_f16_e64 s24, v27, v27
	v_cndmask_b32_e64 v29, v102, v101, s24
	s_delay_alu instid0(VALU_DEP_3) | instskip(NEXT) | instid1(VALU_DEP_2)
	v_cndmask_b32_e64 v27, v103, v101, s24
	v_cmp_class_f32_e64 s25, v29, 0x1f8
	s_delay_alu instid0(VALU_DEP_2) | instskip(NEXT) | instid1(VALU_DEP_1)
	v_cmp_neq_f32_e64 s24, v29, v27
	s_or_b32 s24, s24, s25
	s_delay_alu instid0(SALU_CYCLE_1)
	s_and_saveexec_b32 s25, s24
	s_cbranch_execz .LBB362_118
; %bb.117:
	v_sub_f32_e32 v28, v29, v27
	s_delay_alu instid0(VALU_DEP_1) | instskip(SKIP_1) | instid1(VALU_DEP_2)
	v_mul_f32_e32 v29, 0x3fb8aa3b, v28
	v_cmp_ngt_f32_e64 s24, 0xc2ce8ed0, v28
	v_fma_f32 v101, 0x3fb8aa3b, v28, -v29
	v_rndne_f32_e32 v102, v29
	s_delay_alu instid0(VALU_DEP_2) | instskip(NEXT) | instid1(VALU_DEP_2)
	v_fmamk_f32 v101, v28, 0x32a5705f, v101
	v_sub_f32_e32 v29, v29, v102
	s_delay_alu instid0(VALU_DEP_1) | instskip(SKIP_1) | instid1(VALU_DEP_2)
	v_add_f32_e32 v29, v29, v101
	v_cvt_i32_f32_e32 v101, v102
	v_exp_f32_e32 v29, v29
	s_waitcnt_depctr 0xfff
	v_ldexp_f32 v29, v29, v101
	s_delay_alu instid0(VALU_DEP_1) | instskip(SKIP_1) | instid1(VALU_DEP_1)
	v_cndmask_b32_e64 v29, 0, v29, s24
	v_cmp_nlt_f32_e64 s24, 0x42b17218, v28
	v_cndmask_b32_e64 v101, 0x7f800000, v29, s24
	s_delay_alu instid0(VALU_DEP_1) | instskip(SKIP_1) | instid1(VALU_DEP_2)
	v_add_f32_e32 v102, 1.0, v101
	v_cmp_gt_f32_e64 s27, 0x33800000, |v101|
	v_cvt_f64_f32_e32 v[28:29], v102
	s_delay_alu instid0(VALU_DEP_1) | instskip(SKIP_1) | instid1(VALU_DEP_1)
	v_frexp_exp_i32_f64_e32 v28, v[28:29]
	v_frexp_mant_f32_e32 v29, v102
	v_cmp_gt_f32_e64 s24, 0x3f2aaaab, v29
	v_add_f32_e32 v29, -1.0, v102
	s_delay_alu instid0(VALU_DEP_1) | instskip(NEXT) | instid1(VALU_DEP_1)
	v_sub_f32_e32 v112, v29, v102
	v_dual_sub_f32 v29, v101, v29 :: v_dual_add_f32 v112, 1.0, v112
	s_delay_alu instid0(VALU_DEP_1) | instskip(SKIP_2) | instid1(VALU_DEP_1)
	v_add_f32_e32 v29, v29, v112
	v_subrev_co_ci_u32_e64 v28, s24, 0, v28, s24
	s_mov_b32 s24, 0x3e9b6dac
	v_sub_nc_u32_e32 v103, 0, v28
	v_cvt_f32_i32_e32 v28, v28
	s_delay_alu instid0(VALU_DEP_2) | instskip(SKIP_1) | instid1(VALU_DEP_2)
	v_ldexp_f32 v102, v102, v103
	v_ldexp_f32 v29, v29, v103
	v_add_f32_e32 v113, 1.0, v102
	s_delay_alu instid0(VALU_DEP_1) | instskip(NEXT) | instid1(VALU_DEP_1)
	v_add_f32_e32 v112, -1.0, v113
	v_sub_f32_e32 v112, v102, v112
	s_delay_alu instid0(VALU_DEP_1) | instskip(NEXT) | instid1(VALU_DEP_1)
	v_dual_add_f32 v112, v29, v112 :: v_dual_add_f32 v103, -1.0, v102
	v_add_f32_e32 v114, 1.0, v103
	s_delay_alu instid0(VALU_DEP_1) | instskip(NEXT) | instid1(VALU_DEP_3)
	v_sub_f32_e32 v102, v102, v114
	v_add_f32_e32 v114, v113, v112
	s_delay_alu instid0(VALU_DEP_1) | instskip(NEXT) | instid1(VALU_DEP_3)
	v_sub_f32_e32 v113, v113, v114
	v_add_f32_e32 v29, v29, v102
	v_rcp_f32_e32 v102, v114
	s_delay_alu instid0(VALU_DEP_2) | instskip(NEXT) | instid1(VALU_DEP_2)
	v_add_f32_e32 v112, v112, v113
	v_add_f32_e32 v115, v103, v29
	s_delay_alu instid0(VALU_DEP_1) | instskip(SKIP_2) | instid1(VALU_DEP_1)
	v_sub_f32_e32 v103, v103, v115
	s_waitcnt_depctr 0xfff
	v_dual_mul_f32 v116, v115, v102 :: v_dual_add_f32 v29, v29, v103
	v_mul_f32_e32 v117, v114, v116
	s_delay_alu instid0(VALU_DEP_1) | instskip(NEXT) | instid1(VALU_DEP_1)
	v_fma_f32 v113, v116, v114, -v117
	v_fmac_f32_e32 v113, v116, v112
	s_delay_alu instid0(VALU_DEP_1) | instskip(NEXT) | instid1(VALU_DEP_1)
	v_add_f32_e32 v118, v117, v113
	v_sub_f32_e32 v119, v115, v118
	s_delay_alu instid0(VALU_DEP_1) | instskip(SKIP_1) | instid1(VALU_DEP_2)
	v_sub_f32_e32 v115, v115, v119
	v_sub_f32_e32 v103, v118, v117
	;; [unrolled: 1-line block ×3, first 2 shown]
	s_delay_alu instid0(VALU_DEP_2) | instskip(NEXT) | instid1(VALU_DEP_2)
	v_sub_f32_e32 v103, v103, v113
	v_add_f32_e32 v29, v29, v115
	s_delay_alu instid0(VALU_DEP_1) | instskip(NEXT) | instid1(VALU_DEP_1)
	v_add_f32_e32 v29, v103, v29
	v_add_f32_e32 v103, v119, v29
	s_delay_alu instid0(VALU_DEP_1) | instskip(NEXT) | instid1(VALU_DEP_1)
	v_mul_f32_e32 v113, v102, v103
	v_mul_f32_e32 v115, v114, v113
	s_delay_alu instid0(VALU_DEP_1) | instskip(NEXT) | instid1(VALU_DEP_1)
	v_fma_f32 v114, v113, v114, -v115
	v_fmac_f32_e32 v114, v113, v112
	v_sub_f32_e32 v118, v119, v103
	s_delay_alu instid0(VALU_DEP_2) | instskip(NEXT) | instid1(VALU_DEP_2)
	v_add_f32_e32 v112, v115, v114
	v_add_f32_e32 v29, v29, v118
	s_delay_alu instid0(VALU_DEP_2) | instskip(SKIP_1) | instid1(VALU_DEP_2)
	v_sub_f32_e32 v117, v103, v112
	v_sub_f32_e32 v115, v112, v115
	;; [unrolled: 1-line block ×3, first 2 shown]
	s_delay_alu instid0(VALU_DEP_1) | instskip(NEXT) | instid1(VALU_DEP_1)
	v_sub_f32_e32 v103, v103, v112
	v_dual_sub_f32 v112, v115, v114 :: v_dual_add_f32 v29, v29, v103
	v_add_f32_e32 v103, v116, v113
	s_delay_alu instid0(VALU_DEP_1) | instskip(NEXT) | instid1(VALU_DEP_1)
	v_dual_add_f32 v29, v112, v29 :: v_dual_sub_f32 v112, v103, v116
	v_add_f32_e32 v29, v117, v29
	s_delay_alu instid0(VALU_DEP_1) | instskip(NEXT) | instid1(VALU_DEP_1)
	v_dual_sub_f32 v112, v113, v112 :: v_dual_mul_f32 v29, v102, v29
	v_add_f32_e32 v29, v112, v29
	s_delay_alu instid0(VALU_DEP_1) | instskip(NEXT) | instid1(VALU_DEP_1)
	v_add_f32_e32 v102, v103, v29
	v_mul_f32_e32 v112, v102, v102
	s_delay_alu instid0(VALU_DEP_1) | instskip(SKIP_2) | instid1(VALU_DEP_3)
	v_fmaak_f32 v113, s24, v112, 0x3ecc95a3
	v_mul_f32_e32 v114, v102, v112
	v_cmp_eq_f32_e64 s24, 0x7f800000, v101
	v_fmaak_f32 v112, v112, v113, 0x3f2aaada
	v_ldexp_f32 v113, v102, 1
	v_sub_f32_e32 v102, v102, v103
	s_delay_alu instid0(VALU_DEP_4) | instskip(NEXT) | instid1(VALU_DEP_3)
	s_or_b32 s24, s24, s27
	v_mul_f32_e32 v112, v114, v112
	s_delay_alu instid0(VALU_DEP_2) | instskip(NEXT) | instid1(VALU_DEP_2)
	v_dual_mul_f32 v114, 0x3f317218, v28 :: v_dual_sub_f32 v29, v29, v102
	v_add_f32_e32 v103, v113, v112
	s_delay_alu instid0(VALU_DEP_2) | instskip(NEXT) | instid1(VALU_DEP_2)
	v_ldexp_f32 v29, v29, 1
	v_sub_f32_e32 v102, v103, v113
	s_delay_alu instid0(VALU_DEP_4) | instskip(NEXT) | instid1(VALU_DEP_2)
	v_fma_f32 v113, 0x3f317218, v28, -v114
	v_sub_f32_e32 v102, v112, v102
	s_delay_alu instid0(VALU_DEP_1) | instskip(NEXT) | instid1(VALU_DEP_1)
	v_dual_fmamk_f32 v28, v28, 0xb102e308, v113 :: v_dual_add_f32 v29, v29, v102
	v_add_f32_e32 v102, v114, v28
	s_delay_alu instid0(VALU_DEP_2) | instskip(NEXT) | instid1(VALU_DEP_2)
	v_add_f32_e32 v112, v103, v29
	v_sub_f32_e32 v114, v102, v114
	s_delay_alu instid0(VALU_DEP_2) | instskip(SKIP_1) | instid1(VALU_DEP_3)
	v_add_f32_e32 v113, v102, v112
	v_sub_f32_e32 v103, v112, v103
	v_sub_f32_e32 v28, v28, v114
	s_delay_alu instid0(VALU_DEP_3) | instskip(NEXT) | instid1(VALU_DEP_3)
	v_sub_f32_e32 v115, v113, v102
	v_sub_f32_e32 v29, v29, v103
	s_delay_alu instid0(VALU_DEP_2) | instskip(SKIP_1) | instid1(VALU_DEP_3)
	v_sub_f32_e32 v116, v113, v115
	v_sub_f32_e32 v103, v112, v115
	v_add_f32_e32 v112, v28, v29
	s_delay_alu instid0(VALU_DEP_3) | instskip(NEXT) | instid1(VALU_DEP_1)
	v_sub_f32_e32 v102, v102, v116
	v_dual_add_f32 v102, v103, v102 :: v_dual_sub_f32 v103, v112, v28
	s_delay_alu instid0(VALU_DEP_1) | instskip(NEXT) | instid1(VALU_DEP_2)
	v_add_f32_e32 v102, v112, v102
	v_sub_f32_e32 v112, v112, v103
	v_sub_f32_e32 v29, v29, v103
	s_delay_alu instid0(VALU_DEP_3) | instskip(NEXT) | instid1(VALU_DEP_1)
	v_add_f32_e32 v114, v113, v102
	v_dual_sub_f32 v28, v28, v112 :: v_dual_sub_f32 v103, v114, v113
	s_delay_alu instid0(VALU_DEP_1) | instskip(NEXT) | instid1(VALU_DEP_1)
	v_dual_add_f32 v28, v29, v28 :: v_dual_sub_f32 v29, v102, v103
	v_add_f32_e32 v28, v28, v29
	s_delay_alu instid0(VALU_DEP_1) | instskip(NEXT) | instid1(VALU_DEP_1)
	v_add_f32_e32 v28, v114, v28
	v_cndmask_b32_e64 v28, v28, v101, s24
	s_delay_alu instid0(VALU_DEP_1) | instskip(NEXT) | instid1(VALU_DEP_1)
	v_add_f32_e32 v27, v27, v28
	v_cvt_f16_f32_e32 v28, v27
.LBB362_118:
	s_or_b32 exec_lo, exec_lo, s25
	ds_store_b16 v26, v28 offset:2
.LBB362_119:
	s_or_b32 exec_lo, exec_lo, s26
	v_cmp_eq_u32_e64 s25, 0, v0
	v_cmp_ne_u32_e64 s24, 0, v0
	s_waitcnt lgkmcnt(0)
	s_barrier
	buffer_gl0_inv
	s_and_saveexec_b32 s26, s24
	s_cbranch_execz .LBB362_121
; %bb.120:
	v_add_nc_u32_e32 v26, -1, v0
	s_delay_alu instid0(VALU_DEP_1) | instskip(NEXT) | instid1(VALU_DEP_1)
	v_lshrrev_b32_e32 v27, 5, v26
	v_add_lshl_u32 v26, v27, v26, 1
	ds_load_u16 v100, v26
.LBB362_121:
	s_or_b32 exec_lo, exec_lo, s26
	s_and_saveexec_b32 s27, vcc_lo
	s_cbranch_execz .LBB362_184
; %bb.122:
	v_mov_b32_e32 v28, 0
	v_mbcnt_lo_u32_b32 v102, -1, 0
	s_mov_b32 vcc_hi, 0
	ds_load_u16 v101, v28 offset:128
	v_cmp_eq_u32_e64 s26, 0, v102
	s_delay_alu instid0(VALU_DEP_1)
	s_and_saveexec_b32 s30, s26
	s_cbranch_execz .LBB362_124
; %bb.123:
	s_add_i32 vcc_lo, s12, 32
	s_waitcnt lgkmcnt(0)
	v_or_b32_e32 v29, 0x10000, v101
	s_lshl_b64 vcc, vcc, 2
	s_delay_alu instid0(SALU_CYCLE_1)
	v_add_co_u32 v26, vcc_lo, v14, vcc_lo
	v_add_co_ci_u32_e32 v27, vcc_lo, vcc_hi, v15, vcc_lo
	flat_store_b32 v[26:27], v29
.LBB362_124:
	s_or_b32 exec_lo, exec_lo, s30
	v_xad_u32 v26, v102, -1, s12
	s_mov_b32 vcc_hi, exec_lo
	s_delay_alu instid0(VALU_DEP_1) | instskip(NEXT) | instid1(VALU_DEP_1)
	v_add_nc_u32_e32 v27, 32, v26
	v_lshlrev_b64 v[27:28], 2, v[27:28]
	s_delay_alu instid0(VALU_DEP_1) | instskip(NEXT) | instid1(VALU_DEP_2)
	v_add_co_u32 v27, vcc_lo, v14, v27
	v_add_co_ci_u32_e32 v28, vcc_lo, v15, v28, vcc_lo
	flat_load_b32 v131, v[27:28] glc
	s_waitcnt vmcnt(0) lgkmcnt(0)
	v_lshrrev_b32_e32 v103, 16, v131
	s_delay_alu instid0(VALU_DEP_1) | instskip(NEXT) | instid1(VALU_DEP_1)
	v_and_b32_e32 v29, 0xff, v103
	v_cmpx_eq_u16_e32 0, v29
	s_cbranch_execz .LBB362_128
; %bb.125:
	s_mov_b32 s30, 0
.LBB362_126:                            ; =>This Inner Loop Header: Depth=1
	flat_load_b32 v131, v[27:28] glc
	s_waitcnt vmcnt(0) lgkmcnt(0)
	v_lshrrev_b32_e32 v103, 16, v131
	s_delay_alu instid0(VALU_DEP_1) | instskip(NEXT) | instid1(VALU_DEP_1)
	v_and_b32_e32 v29, 0xff, v103
	v_cmp_ne_u16_e32 vcc_lo, 0, v29
	s_or_b32 s30, vcc_lo, s30
	s_delay_alu instid0(SALU_CYCLE_1)
	s_and_not1_b32 exec_lo, exec_lo, s30
	s_cbranch_execnz .LBB362_126
; %bb.127:
	s_or_b32 exec_lo, exec_lo, s30
.LBB362_128:
	s_delay_alu instid0(SALU_CYCLE_1)
	s_or_b32 exec_lo, exec_lo, vcc_hi
	v_cmp_ne_u32_e32 vcc_lo, 31, v102
	v_and_b32_e32 v29, 0xff, v103
	v_and_b32_e32 v28, 0xffff, v131
	v_lshlrev_b32_e64 v113, v102, -1
	v_add_co_ci_u32_e32 v27, vcc_lo, 0, v102, vcc_lo
	s_delay_alu instid0(VALU_DEP_4) | instskip(SKIP_1) | instid1(VALU_DEP_2)
	v_cmp_eq_u16_e32 vcc_lo, 2, v29
	s_mov_b32 vcc_hi, exec_lo
	v_lshlrev_b32_e32 v112, 2, v27
	v_and_or_b32 v27, vcc_lo, v113, 0x80000000
	ds_bpermute_b32 v29, v112, v28
	v_ctz_i32_b32_e32 v27, v27
	s_delay_alu instid0(VALU_DEP_1)
	v_cmpx_lt_u32_e64 v102, v27
	s_cbranch_execz .LBB362_132
; %bb.129:
	s_waitcnt lgkmcnt(0)
	v_cvt_f32_f16_e32 v28, v29
	v_cvt_f32_f16_e64 v115, v131
	v_cmp_u_f16_e32 vcc_lo, v29, v29
	s_delay_alu instid0(VALU_DEP_2) | instskip(SKIP_1) | instid1(VALU_DEP_2)
	v_min_f32_e32 v114, v28, v115
	v_max_f32_e32 v116, v28, v115
	v_cndmask_b32_e32 v114, v114, v28, vcc_lo
	s_delay_alu instid0(VALU_DEP_2) | instskip(SKIP_1) | instid1(VALU_DEP_3)
	v_cndmask_b32_e32 v28, v116, v28, vcc_lo
	v_cmp_u_f16_e64 vcc_lo, v131, v131
	v_cndmask_b32_e32 v114, v114, v115, vcc_lo
	s_delay_alu instid0(VALU_DEP_3) | instskip(NEXT) | instid1(VALU_DEP_2)
	v_cndmask_b32_e32 v28, v28, v115, vcc_lo
	v_cmp_class_f32_e64 s30, v114, 0x1f8
	s_delay_alu instid0(VALU_DEP_2) | instskip(NEXT) | instid1(VALU_DEP_2)
	v_cmp_neq_f32_e32 vcc_lo, v114, v28
	s_or_b32 vcc_lo, vcc_lo, s30
	s_delay_alu instid0(SALU_CYCLE_1)
	s_and_saveexec_b32 s30, vcc_lo
	s_cbranch_execz .LBB362_131
; %bb.130:
	v_sub_f32_e32 v29, v114, v28
	s_mov_b32 s31, 0x3e9b6dac
	s_delay_alu instid0(VALU_DEP_1) | instskip(SKIP_1) | instid1(VALU_DEP_2)
	v_mul_f32_e32 v114, 0x3fb8aa3b, v29
	v_cmp_ngt_f32_e32 vcc_lo, 0xc2ce8ed0, v29
	v_fma_f32 v115, 0x3fb8aa3b, v29, -v114
	v_rndne_f32_e32 v116, v114
	s_delay_alu instid0(VALU_DEP_1) | instskip(NEXT) | instid1(VALU_DEP_1)
	v_dual_fmamk_f32 v115, v29, 0x32a5705f, v115 :: v_dual_sub_f32 v114, v114, v116
	v_add_f32_e32 v114, v114, v115
	v_cvt_i32_f32_e32 v115, v116
	s_delay_alu instid0(VALU_DEP_2) | instskip(SKIP_2) | instid1(VALU_DEP_1)
	v_exp_f32_e32 v114, v114
	s_waitcnt_depctr 0xfff
	v_ldexp_f32 v114, v114, v115
	v_cndmask_b32_e32 v114, 0, v114, vcc_lo
	v_cmp_nlt_f32_e32 vcc_lo, 0x42b17218, v29
	s_delay_alu instid0(VALU_DEP_2) | instskip(NEXT) | instid1(VALU_DEP_1)
	v_cndmask_b32_e32 v29, 0x7f800000, v114, vcc_lo
	v_add_f32_e32 v116, 1.0, v29
	s_delay_alu instid0(VALU_DEP_1) | instskip(NEXT) | instid1(VALU_DEP_1)
	v_cvt_f64_f32_e32 v[114:115], v116
	v_frexp_exp_i32_f64_e32 v114, v[114:115]
	v_frexp_mant_f32_e32 v115, v116
	s_delay_alu instid0(VALU_DEP_1) | instskip(SKIP_1) | instid1(VALU_DEP_1)
	v_cmp_gt_f32_e32 vcc_lo, 0x3f2aaaab, v115
	v_add_f32_e32 v115, -1.0, v116
	v_dual_sub_f32 v118, v115, v116 :: v_dual_sub_f32 v115, v29, v115
	v_subrev_co_ci_u32_e32 v114, vcc_lo, 0, v114, vcc_lo
	v_cmp_eq_f32_e32 vcc_lo, 0x7f800000, v29
	s_delay_alu instid0(VALU_DEP_2) | instskip(SKIP_1) | instid1(VALU_DEP_2)
	v_sub_nc_u32_e32 v117, 0, v114
	v_cvt_f32_i32_e32 v114, v114
	v_ldexp_f32 v116, v116, v117
	s_delay_alu instid0(VALU_DEP_1) | instskip(NEXT) | instid1(VALU_DEP_1)
	v_dual_add_f32 v118, 1.0, v118 :: v_dual_add_f32 v119, 1.0, v116
	v_dual_add_f32 v115, v115, v118 :: v_dual_add_f32 v118, -1.0, v119
	s_delay_alu instid0(VALU_DEP_1) | instskip(NEXT) | instid1(VALU_DEP_2)
	v_ldexp_f32 v115, v115, v117
	v_dual_add_f32 v117, -1.0, v116 :: v_dual_sub_f32 v118, v116, v118
	s_delay_alu instid0(VALU_DEP_1) | instskip(NEXT) | instid1(VALU_DEP_2)
	v_add_f32_e32 v128, 1.0, v117
	v_add_f32_e32 v118, v115, v118
	s_delay_alu instid0(VALU_DEP_2) | instskip(NEXT) | instid1(VALU_DEP_1)
	v_sub_f32_e32 v116, v116, v128
	v_add_f32_e32 v115, v115, v116
	s_delay_alu instid0(VALU_DEP_1) | instskip(NEXT) | instid1(VALU_DEP_1)
	v_dual_add_f32 v129, v117, v115 :: v_dual_add_f32 v128, v119, v118
	v_sub_f32_e32 v117, v117, v129
	s_delay_alu instid0(VALU_DEP_2) | instskip(SKIP_1) | instid1(VALU_DEP_1)
	v_rcp_f32_e32 v116, v128
	v_sub_f32_e32 v119, v119, v128
	v_dual_add_f32 v115, v115, v117 :: v_dual_add_f32 v118, v118, v119
	s_waitcnt_depctr 0xfff
	v_mul_f32_e32 v130, v129, v116
	s_delay_alu instid0(VALU_DEP_1) | instskip(NEXT) | instid1(VALU_DEP_1)
	v_mul_f32_e32 v131, v128, v130
	v_fma_f32 v119, v130, v128, -v131
	s_delay_alu instid0(VALU_DEP_1) | instskip(NEXT) | instid1(VALU_DEP_1)
	v_fmac_f32_e32 v119, v130, v118
	v_add_f32_e32 v132, v131, v119
	s_delay_alu instid0(VALU_DEP_1) | instskip(NEXT) | instid1(VALU_DEP_1)
	v_sub_f32_e32 v133, v129, v132
	v_sub_f32_e32 v129, v129, v133
	;; [unrolled: 1-line block ×3, first 2 shown]
	s_delay_alu instid0(VALU_DEP_2) | instskip(NEXT) | instid1(VALU_DEP_2)
	v_sub_f32_e32 v129, v129, v132
	v_sub_f32_e32 v117, v117, v119
	s_delay_alu instid0(VALU_DEP_2) | instskip(NEXT) | instid1(VALU_DEP_1)
	v_add_f32_e32 v115, v115, v129
	v_add_f32_e32 v115, v117, v115
	s_delay_alu instid0(VALU_DEP_1) | instskip(NEXT) | instid1(VALU_DEP_1)
	v_add_f32_e32 v117, v133, v115
	v_mul_f32_e32 v119, v116, v117
	s_delay_alu instid0(VALU_DEP_1) | instskip(NEXT) | instid1(VALU_DEP_1)
	v_dual_sub_f32 v132, v133, v117 :: v_dual_mul_f32 v129, v128, v119
	v_add_f32_e32 v115, v115, v132
	s_delay_alu instid0(VALU_DEP_2) | instskip(NEXT) | instid1(VALU_DEP_1)
	v_fma_f32 v128, v119, v128, -v129
	v_fmac_f32_e32 v128, v119, v118
	s_delay_alu instid0(VALU_DEP_1) | instskip(NEXT) | instid1(VALU_DEP_1)
	v_add_f32_e32 v118, v129, v128
	v_sub_f32_e32 v131, v117, v118
	v_sub_f32_e32 v129, v118, v129
	s_delay_alu instid0(VALU_DEP_2) | instskip(NEXT) | instid1(VALU_DEP_1)
	v_sub_f32_e32 v117, v117, v131
	v_sub_f32_e32 v117, v117, v118
	s_delay_alu instid0(VALU_DEP_1) | instskip(SKIP_1) | instid1(VALU_DEP_1)
	v_dual_sub_f32 v118, v129, v128 :: v_dual_add_f32 v115, v115, v117
	v_add_f32_e32 v117, v130, v119
	v_dual_add_f32 v115, v118, v115 :: v_dual_sub_f32 v118, v117, v130
	s_delay_alu instid0(VALU_DEP_1) | instskip(NEXT) | instid1(VALU_DEP_1)
	v_add_f32_e32 v115, v131, v115
	v_dual_sub_f32 v118, v119, v118 :: v_dual_mul_f32 v115, v116, v115
	s_delay_alu instid0(VALU_DEP_1) | instskip(NEXT) | instid1(VALU_DEP_1)
	v_add_f32_e32 v115, v118, v115
	v_add_f32_e32 v116, v117, v115
	s_delay_alu instid0(VALU_DEP_1) | instskip(NEXT) | instid1(VALU_DEP_1)
	v_mul_f32_e32 v118, v116, v116
	v_fmaak_f32 v119, s31, v118, 0x3ecc95a3
	v_mul_f32_e32 v128, v116, v118
	v_cmp_gt_f32_e64 s31, 0x33800000, |v29|
	s_delay_alu instid0(VALU_DEP_3) | instskip(SKIP_2) | instid1(VALU_DEP_4)
	v_fmaak_f32 v118, v118, v119, 0x3f2aaada
	v_ldexp_f32 v119, v116, 1
	v_sub_f32_e32 v116, v116, v117
	s_or_b32 vcc_lo, vcc_lo, s31
	s_delay_alu instid0(VALU_DEP_3) | instskip(NEXT) | instid1(VALU_DEP_2)
	v_mul_f32_e32 v118, v128, v118
	v_dual_mul_f32 v128, 0x3f317218, v114 :: v_dual_sub_f32 v115, v115, v116
	s_delay_alu instid0(VALU_DEP_2) | instskip(NEXT) | instid1(VALU_DEP_2)
	v_add_f32_e32 v117, v119, v118
	v_ldexp_f32 v115, v115, 1
	s_delay_alu instid0(VALU_DEP_2) | instskip(NEXT) | instid1(VALU_DEP_4)
	v_sub_f32_e32 v116, v117, v119
	v_fma_f32 v119, 0x3f317218, v114, -v128
	s_delay_alu instid0(VALU_DEP_2) | instskip(NEXT) | instid1(VALU_DEP_1)
	v_sub_f32_e32 v116, v118, v116
	v_dual_fmamk_f32 v114, v114, 0xb102e308, v119 :: v_dual_add_f32 v115, v115, v116
	s_delay_alu instid0(VALU_DEP_1) | instskip(NEXT) | instid1(VALU_DEP_1)
	v_add_f32_e32 v116, v128, v114
	v_sub_f32_e32 v128, v116, v128
	s_delay_alu instid0(VALU_DEP_1) | instskip(NEXT) | instid1(VALU_DEP_4)
	v_sub_f32_e32 v114, v114, v128
	v_add_f32_e32 v118, v117, v115
	s_delay_alu instid0(VALU_DEP_1) | instskip(NEXT) | instid1(VALU_DEP_1)
	v_sub_f32_e32 v117, v118, v117
	v_sub_f32_e32 v115, v115, v117
	v_add_f32_e32 v119, v116, v118
	s_delay_alu instid0(VALU_DEP_1) | instskip(NEXT) | instid1(VALU_DEP_1)
	v_sub_f32_e32 v129, v119, v116
	v_sub_f32_e32 v117, v118, v129
	s_delay_alu instid0(VALU_DEP_4) | instskip(SKIP_1) | instid1(VALU_DEP_1)
	v_add_f32_e32 v118, v114, v115
	v_sub_f32_e32 v130, v119, v129
	v_sub_f32_e32 v116, v116, v130
	s_delay_alu instid0(VALU_DEP_1) | instskip(NEXT) | instid1(VALU_DEP_1)
	v_dual_add_f32 v116, v117, v116 :: v_dual_sub_f32 v117, v118, v114
	v_dual_add_f32 v116, v118, v116 :: v_dual_sub_f32 v115, v115, v117
	v_sub_f32_e32 v118, v118, v117
	s_delay_alu instid0(VALU_DEP_2) | instskip(NEXT) | instid1(VALU_DEP_1)
	v_add_f32_e32 v128, v119, v116
	v_dual_sub_f32 v114, v114, v118 :: v_dual_sub_f32 v117, v128, v119
	s_delay_alu instid0(VALU_DEP_1) | instskip(NEXT) | instid1(VALU_DEP_1)
	v_dual_add_f32 v114, v115, v114 :: v_dual_sub_f32 v115, v116, v117
	v_add_f32_e32 v114, v114, v115
	s_delay_alu instid0(VALU_DEP_1) | instskip(NEXT) | instid1(VALU_DEP_1)
	v_add_f32_e32 v114, v128, v114
	v_cndmask_b32_e32 v29, v114, v29, vcc_lo
	s_delay_alu instid0(VALU_DEP_1) | instskip(NEXT) | instid1(VALU_DEP_1)
	v_add_f32_e32 v28, v28, v29
	v_cvt_f16_f32_e32 v29, v28
.LBB362_131:
	s_or_b32 exec_lo, exec_lo, s30
	s_delay_alu instid0(VALU_DEP_1)
	v_dual_mov_b32 v131, v29 :: v_dual_and_b32 v28, 0xffff, v29
.LBB362_132:
	s_or_b32 exec_lo, exec_lo, vcc_hi
	v_cmp_gt_u32_e32 vcc_lo, 30, v102
	v_add_nc_u32_e32 v115, 2, v102
	s_mov_b32 vcc_hi, exec_lo
	s_waitcnt lgkmcnt(0)
	v_cndmask_b32_e64 v29, 0, 1, vcc_lo
	s_delay_alu instid0(VALU_DEP_1) | instskip(NEXT) | instid1(VALU_DEP_1)
	v_lshlrev_b32_e32 v29, 1, v29
	v_add_lshl_u32 v114, v29, v102, 2
	ds_bpermute_b32 v29, v114, v28
	v_cmpx_le_u32_e64 v115, v27
	s_cbranch_execz .LBB362_136
; %bb.133:
	s_waitcnt lgkmcnt(0)
	v_cvt_f32_f16_e32 v28, v29
	v_cvt_f32_f16_e64 v117, v131
	v_cmp_u_f16_e32 vcc_lo, v29, v29
	s_delay_alu instid0(VALU_DEP_2) | instskip(SKIP_1) | instid1(VALU_DEP_2)
	v_min_f32_e32 v116, v28, v117
	v_max_f32_e32 v118, v28, v117
	v_cndmask_b32_e32 v116, v116, v28, vcc_lo
	s_delay_alu instid0(VALU_DEP_2) | instskip(SKIP_1) | instid1(VALU_DEP_3)
	v_cndmask_b32_e32 v28, v118, v28, vcc_lo
	v_cmp_u_f16_e64 vcc_lo, v131, v131
	v_cndmask_b32_e32 v116, v116, v117, vcc_lo
	s_delay_alu instid0(VALU_DEP_3) | instskip(NEXT) | instid1(VALU_DEP_2)
	v_cndmask_b32_e32 v28, v28, v117, vcc_lo
	v_cmp_class_f32_e64 s30, v116, 0x1f8
	s_delay_alu instid0(VALU_DEP_2) | instskip(NEXT) | instid1(VALU_DEP_2)
	v_cmp_neq_f32_e32 vcc_lo, v116, v28
	s_or_b32 vcc_lo, vcc_lo, s30
	s_delay_alu instid0(SALU_CYCLE_1)
	s_and_saveexec_b32 s30, vcc_lo
	s_cbranch_execz .LBB362_135
; %bb.134:
	v_sub_f32_e32 v29, v116, v28
	s_mov_b32 s31, 0x3e9b6dac
	s_delay_alu instid0(VALU_DEP_1) | instskip(SKIP_1) | instid1(VALU_DEP_2)
	v_mul_f32_e32 v116, 0x3fb8aa3b, v29
	v_cmp_ngt_f32_e32 vcc_lo, 0xc2ce8ed0, v29
	v_fma_f32 v117, 0x3fb8aa3b, v29, -v116
	v_rndne_f32_e32 v118, v116
	s_delay_alu instid0(VALU_DEP_1) | instskip(NEXT) | instid1(VALU_DEP_1)
	v_dual_fmamk_f32 v117, v29, 0x32a5705f, v117 :: v_dual_sub_f32 v116, v116, v118
	v_add_f32_e32 v116, v116, v117
	v_cvt_i32_f32_e32 v117, v118
	s_delay_alu instid0(VALU_DEP_2) | instskip(SKIP_2) | instid1(VALU_DEP_1)
	v_exp_f32_e32 v116, v116
	s_waitcnt_depctr 0xfff
	v_ldexp_f32 v116, v116, v117
	v_cndmask_b32_e32 v116, 0, v116, vcc_lo
	v_cmp_nlt_f32_e32 vcc_lo, 0x42b17218, v29
	s_delay_alu instid0(VALU_DEP_2) | instskip(NEXT) | instid1(VALU_DEP_1)
	v_cndmask_b32_e32 v29, 0x7f800000, v116, vcc_lo
	v_add_f32_e32 v118, 1.0, v29
	s_delay_alu instid0(VALU_DEP_1) | instskip(NEXT) | instid1(VALU_DEP_1)
	v_cvt_f64_f32_e32 v[116:117], v118
	v_frexp_exp_i32_f64_e32 v116, v[116:117]
	v_frexp_mant_f32_e32 v117, v118
	s_delay_alu instid0(VALU_DEP_1) | instskip(SKIP_1) | instid1(VALU_DEP_1)
	v_cmp_gt_f32_e32 vcc_lo, 0x3f2aaaab, v117
	v_add_f32_e32 v117, -1.0, v118
	v_sub_f32_e32 v128, v117, v118
	s_delay_alu instid0(VALU_DEP_1) | instskip(NEXT) | instid1(VALU_DEP_1)
	v_dual_sub_f32 v117, v29, v117 :: v_dual_add_f32 v128, 1.0, v128
	v_add_f32_e32 v117, v117, v128
	v_subrev_co_ci_u32_e32 v116, vcc_lo, 0, v116, vcc_lo
	s_delay_alu instid0(VALU_DEP_1) | instskip(SKIP_1) | instid1(VALU_DEP_2)
	v_sub_nc_u32_e32 v119, 0, v116
	v_cvt_f32_i32_e32 v116, v116
	v_ldexp_f32 v118, v118, v119
	v_ldexp_f32 v117, v117, v119
	s_delay_alu instid0(VALU_DEP_2) | instskip(NEXT) | instid1(VALU_DEP_1)
	v_add_f32_e32 v119, -1.0, v118
	v_dual_add_f32 v129, 1.0, v118 :: v_dual_add_f32 v130, 1.0, v119
	s_delay_alu instid0(VALU_DEP_1) | instskip(SKIP_1) | instid1(VALU_DEP_2)
	v_add_f32_e32 v128, -1.0, v129
	v_cmp_eq_f32_e32 vcc_lo, 0x7f800000, v29
	v_sub_f32_e32 v128, v118, v128
	s_delay_alu instid0(VALU_DEP_4) | instskip(NEXT) | instid1(VALU_DEP_2)
	v_sub_f32_e32 v118, v118, v130
	v_add_f32_e32 v128, v117, v128
	s_delay_alu instid0(VALU_DEP_2) | instskip(NEXT) | instid1(VALU_DEP_1)
	v_add_f32_e32 v117, v117, v118
	v_dual_add_f32 v131, v119, v117 :: v_dual_add_f32 v130, v129, v128
	s_delay_alu instid0(VALU_DEP_1) | instskip(NEXT) | instid1(VALU_DEP_2)
	v_sub_f32_e32 v119, v119, v131
	v_rcp_f32_e32 v118, v130
	v_sub_f32_e32 v129, v129, v130
	s_delay_alu instid0(VALU_DEP_1) | instskip(SKIP_2) | instid1(VALU_DEP_1)
	v_dual_add_f32 v117, v117, v119 :: v_dual_add_f32 v128, v128, v129
	s_waitcnt_depctr 0xfff
	v_mul_f32_e32 v132, v131, v118
	v_mul_f32_e32 v133, v130, v132
	s_delay_alu instid0(VALU_DEP_1) | instskip(NEXT) | instid1(VALU_DEP_1)
	v_fma_f32 v129, v132, v130, -v133
	v_fmac_f32_e32 v129, v132, v128
	s_delay_alu instid0(VALU_DEP_1) | instskip(NEXT) | instid1(VALU_DEP_1)
	v_add_f32_e32 v134, v133, v129
	v_sub_f32_e32 v135, v131, v134
	s_delay_alu instid0(VALU_DEP_1) | instskip(SKIP_1) | instid1(VALU_DEP_2)
	v_sub_f32_e32 v131, v131, v135
	v_sub_f32_e32 v119, v134, v133
	;; [unrolled: 1-line block ×3, first 2 shown]
	s_delay_alu instid0(VALU_DEP_2) | instskip(NEXT) | instid1(VALU_DEP_2)
	v_sub_f32_e32 v119, v119, v129
	v_add_f32_e32 v117, v117, v131
	s_delay_alu instid0(VALU_DEP_1) | instskip(NEXT) | instid1(VALU_DEP_1)
	v_add_f32_e32 v117, v119, v117
	v_add_f32_e32 v119, v135, v117
	s_delay_alu instid0(VALU_DEP_1) | instskip(NEXT) | instid1(VALU_DEP_1)
	v_mul_f32_e32 v129, v118, v119
	v_dual_sub_f32 v134, v135, v119 :: v_dual_mul_f32 v131, v130, v129
	s_delay_alu instid0(VALU_DEP_1) | instskip(NEXT) | instid1(VALU_DEP_2)
	v_add_f32_e32 v117, v117, v134
	v_fma_f32 v130, v129, v130, -v131
	s_delay_alu instid0(VALU_DEP_1) | instskip(NEXT) | instid1(VALU_DEP_1)
	v_fmac_f32_e32 v130, v129, v128
	v_add_f32_e32 v128, v131, v130
	s_delay_alu instid0(VALU_DEP_1) | instskip(SKIP_1) | instid1(VALU_DEP_2)
	v_sub_f32_e32 v133, v119, v128
	v_sub_f32_e32 v131, v128, v131
	;; [unrolled: 1-line block ×3, first 2 shown]
	s_delay_alu instid0(VALU_DEP_1) | instskip(NEXT) | instid1(VALU_DEP_1)
	v_sub_f32_e32 v119, v119, v128
	v_dual_sub_f32 v128, v131, v130 :: v_dual_add_f32 v117, v117, v119
	v_add_f32_e32 v119, v132, v129
	s_delay_alu instid0(VALU_DEP_1) | instskip(NEXT) | instid1(VALU_DEP_1)
	v_dual_add_f32 v117, v128, v117 :: v_dual_sub_f32 v128, v119, v132
	v_add_f32_e32 v117, v133, v117
	s_delay_alu instid0(VALU_DEP_1) | instskip(NEXT) | instid1(VALU_DEP_1)
	v_dual_sub_f32 v128, v129, v128 :: v_dual_mul_f32 v117, v118, v117
	v_add_f32_e32 v117, v128, v117
	s_delay_alu instid0(VALU_DEP_1) | instskip(NEXT) | instid1(VALU_DEP_1)
	v_add_f32_e32 v118, v119, v117
	v_mul_f32_e32 v128, v118, v118
	s_delay_alu instid0(VALU_DEP_1) | instskip(SKIP_2) | instid1(VALU_DEP_3)
	v_fmaak_f32 v129, s31, v128, 0x3ecc95a3
	v_mul_f32_e32 v130, v118, v128
	v_cmp_gt_f32_e64 s31, 0x33800000, |v29|
	v_fmaak_f32 v128, v128, v129, 0x3f2aaada
	v_ldexp_f32 v129, v118, 1
	v_sub_f32_e32 v118, v118, v119
	s_delay_alu instid0(VALU_DEP_4) | instskip(NEXT) | instid1(VALU_DEP_3)
	s_or_b32 vcc_lo, vcc_lo, s31
	v_mul_f32_e32 v128, v130, v128
	s_delay_alu instid0(VALU_DEP_2) | instskip(NEXT) | instid1(VALU_DEP_2)
	v_dual_mul_f32 v130, 0x3f317218, v116 :: v_dual_sub_f32 v117, v117, v118
	v_add_f32_e32 v119, v129, v128
	s_delay_alu instid0(VALU_DEP_2) | instskip(NEXT) | instid1(VALU_DEP_2)
	v_ldexp_f32 v117, v117, 1
	v_sub_f32_e32 v118, v119, v129
	s_delay_alu instid0(VALU_DEP_4) | instskip(NEXT) | instid1(VALU_DEP_2)
	v_fma_f32 v129, 0x3f317218, v116, -v130
	v_sub_f32_e32 v118, v128, v118
	s_delay_alu instid0(VALU_DEP_1) | instskip(NEXT) | instid1(VALU_DEP_1)
	v_dual_fmamk_f32 v116, v116, 0xb102e308, v129 :: v_dual_add_f32 v117, v117, v118
	v_add_f32_e32 v118, v130, v116
	s_delay_alu instid0(VALU_DEP_1) | instskip(NEXT) | instid1(VALU_DEP_1)
	v_sub_f32_e32 v130, v118, v130
	v_sub_f32_e32 v116, v116, v130
	s_delay_alu instid0(VALU_DEP_4) | instskip(NEXT) | instid1(VALU_DEP_1)
	v_add_f32_e32 v128, v119, v117
	v_sub_f32_e32 v119, v128, v119
	s_delay_alu instid0(VALU_DEP_1) | instskip(SKIP_1) | instid1(VALU_DEP_1)
	v_sub_f32_e32 v117, v117, v119
	v_add_f32_e32 v129, v118, v128
	v_sub_f32_e32 v131, v129, v118
	s_delay_alu instid0(VALU_DEP_1) | instskip(NEXT) | instid1(VALU_DEP_4)
	v_sub_f32_e32 v119, v128, v131
	v_add_f32_e32 v128, v116, v117
	v_sub_f32_e32 v132, v129, v131
	s_delay_alu instid0(VALU_DEP_1) | instskip(NEXT) | instid1(VALU_DEP_1)
	v_sub_f32_e32 v118, v118, v132
	v_dual_add_f32 v118, v119, v118 :: v_dual_sub_f32 v119, v128, v116
	s_delay_alu instid0(VALU_DEP_1) | instskip(SKIP_1) | instid1(VALU_DEP_2)
	v_dual_add_f32 v118, v128, v118 :: v_dual_sub_f32 v117, v117, v119
	v_sub_f32_e32 v128, v128, v119
	v_add_f32_e32 v130, v129, v118
	s_delay_alu instid0(VALU_DEP_1) | instskip(NEXT) | instid1(VALU_DEP_1)
	v_dual_sub_f32 v116, v116, v128 :: v_dual_sub_f32 v119, v130, v129
	v_dual_add_f32 v116, v117, v116 :: v_dual_sub_f32 v117, v118, v119
	s_delay_alu instid0(VALU_DEP_1) | instskip(NEXT) | instid1(VALU_DEP_1)
	v_add_f32_e32 v116, v116, v117
	v_add_f32_e32 v116, v130, v116
	s_delay_alu instid0(VALU_DEP_1) | instskip(NEXT) | instid1(VALU_DEP_1)
	v_cndmask_b32_e32 v29, v116, v29, vcc_lo
	v_add_f32_e32 v28, v28, v29
	s_delay_alu instid0(VALU_DEP_1)
	v_cvt_f16_f32_e32 v29, v28
.LBB362_135:
	s_or_b32 exec_lo, exec_lo, s30
	s_delay_alu instid0(VALU_DEP_1)
	v_dual_mov_b32 v131, v29 :: v_dual_and_b32 v28, 0xffff, v29
.LBB362_136:
	s_or_b32 exec_lo, exec_lo, vcc_hi
	v_cmp_gt_u32_e32 vcc_lo, 28, v102
	v_add_nc_u32_e32 v117, 4, v102
	s_mov_b32 vcc_hi, exec_lo
	s_waitcnt lgkmcnt(0)
	v_cndmask_b32_e64 v29, 0, 1, vcc_lo
	s_delay_alu instid0(VALU_DEP_1) | instskip(NEXT) | instid1(VALU_DEP_1)
	v_lshlrev_b32_e32 v29, 2, v29
	v_add_lshl_u32 v116, v29, v102, 2
	ds_bpermute_b32 v29, v116, v28
	v_cmpx_le_u32_e64 v117, v27
	s_cbranch_execz .LBB362_140
; %bb.137:
	s_waitcnt lgkmcnt(0)
	v_cvt_f32_f16_e32 v28, v29
	v_cvt_f32_f16_e64 v119, v131
	v_cmp_u_f16_e32 vcc_lo, v29, v29
	s_delay_alu instid0(VALU_DEP_2) | instskip(SKIP_1) | instid1(VALU_DEP_2)
	v_min_f32_e32 v118, v28, v119
	v_max_f32_e32 v128, v28, v119
	v_cndmask_b32_e32 v118, v118, v28, vcc_lo
	s_delay_alu instid0(VALU_DEP_2) | instskip(SKIP_1) | instid1(VALU_DEP_3)
	v_cndmask_b32_e32 v28, v128, v28, vcc_lo
	v_cmp_u_f16_e64 vcc_lo, v131, v131
	v_cndmask_b32_e32 v118, v118, v119, vcc_lo
	s_delay_alu instid0(VALU_DEP_3) | instskip(NEXT) | instid1(VALU_DEP_2)
	v_cndmask_b32_e32 v28, v28, v119, vcc_lo
	v_cmp_class_f32_e64 s30, v118, 0x1f8
	s_delay_alu instid0(VALU_DEP_2) | instskip(NEXT) | instid1(VALU_DEP_2)
	v_cmp_neq_f32_e32 vcc_lo, v118, v28
	s_or_b32 vcc_lo, vcc_lo, s30
	s_delay_alu instid0(SALU_CYCLE_1)
	s_and_saveexec_b32 s30, vcc_lo
	s_cbranch_execz .LBB362_139
; %bb.138:
	v_sub_f32_e32 v29, v118, v28
	s_mov_b32 s31, 0x3e9b6dac
	s_delay_alu instid0(VALU_DEP_1) | instskip(SKIP_1) | instid1(VALU_DEP_2)
	v_mul_f32_e32 v118, 0x3fb8aa3b, v29
	v_cmp_ngt_f32_e32 vcc_lo, 0xc2ce8ed0, v29
	v_fma_f32 v119, 0x3fb8aa3b, v29, -v118
	v_rndne_f32_e32 v128, v118
	s_delay_alu instid0(VALU_DEP_1) | instskip(NEXT) | instid1(VALU_DEP_1)
	v_dual_fmamk_f32 v119, v29, 0x32a5705f, v119 :: v_dual_sub_f32 v118, v118, v128
	v_add_f32_e32 v118, v118, v119
	v_cvt_i32_f32_e32 v119, v128
	s_delay_alu instid0(VALU_DEP_2) | instskip(SKIP_2) | instid1(VALU_DEP_1)
	v_exp_f32_e32 v118, v118
	s_waitcnt_depctr 0xfff
	v_ldexp_f32 v118, v118, v119
	v_cndmask_b32_e32 v118, 0, v118, vcc_lo
	v_cmp_nlt_f32_e32 vcc_lo, 0x42b17218, v29
	s_delay_alu instid0(VALU_DEP_2) | instskip(NEXT) | instid1(VALU_DEP_1)
	v_cndmask_b32_e32 v29, 0x7f800000, v118, vcc_lo
	v_add_f32_e32 v128, 1.0, v29
	s_delay_alu instid0(VALU_DEP_1) | instskip(NEXT) | instid1(VALU_DEP_1)
	v_cvt_f64_f32_e32 v[118:119], v128
	v_frexp_exp_i32_f64_e32 v118, v[118:119]
	v_frexp_mant_f32_e32 v119, v128
	s_delay_alu instid0(VALU_DEP_1) | instskip(SKIP_1) | instid1(VALU_DEP_1)
	v_cmp_gt_f32_e32 vcc_lo, 0x3f2aaaab, v119
	v_add_f32_e32 v119, -1.0, v128
	v_dual_sub_f32 v130, v119, v128 :: v_dual_sub_f32 v119, v29, v119
	v_subrev_co_ci_u32_e32 v118, vcc_lo, 0, v118, vcc_lo
	v_cmp_eq_f32_e32 vcc_lo, 0x7f800000, v29
	s_delay_alu instid0(VALU_DEP_2) | instskip(SKIP_1) | instid1(VALU_DEP_2)
	v_sub_nc_u32_e32 v129, 0, v118
	v_cvt_f32_i32_e32 v118, v118
	v_ldexp_f32 v128, v128, v129
	s_delay_alu instid0(VALU_DEP_1) | instskip(NEXT) | instid1(VALU_DEP_1)
	v_dual_add_f32 v130, 1.0, v130 :: v_dual_add_f32 v131, 1.0, v128
	v_dual_add_f32 v119, v119, v130 :: v_dual_add_f32 v130, -1.0, v131
	s_delay_alu instid0(VALU_DEP_1) | instskip(NEXT) | instid1(VALU_DEP_2)
	v_ldexp_f32 v119, v119, v129
	v_dual_add_f32 v129, -1.0, v128 :: v_dual_sub_f32 v130, v128, v130
	s_delay_alu instid0(VALU_DEP_1) | instskip(NEXT) | instid1(VALU_DEP_2)
	v_add_f32_e32 v132, 1.0, v129
	v_add_f32_e32 v130, v119, v130
	s_delay_alu instid0(VALU_DEP_2) | instskip(NEXT) | instid1(VALU_DEP_1)
	v_sub_f32_e32 v128, v128, v132
	v_add_f32_e32 v119, v119, v128
	s_delay_alu instid0(VALU_DEP_1) | instskip(NEXT) | instid1(VALU_DEP_1)
	v_dual_add_f32 v133, v129, v119 :: v_dual_add_f32 v132, v131, v130
	v_sub_f32_e32 v129, v129, v133
	s_delay_alu instid0(VALU_DEP_2) | instskip(SKIP_1) | instid1(VALU_DEP_1)
	v_rcp_f32_e32 v128, v132
	v_sub_f32_e32 v131, v131, v132
	v_dual_add_f32 v119, v119, v129 :: v_dual_add_f32 v130, v130, v131
	s_waitcnt_depctr 0xfff
	v_mul_f32_e32 v134, v133, v128
	s_delay_alu instid0(VALU_DEP_1) | instskip(NEXT) | instid1(VALU_DEP_1)
	v_mul_f32_e32 v135, v132, v134
	v_fma_f32 v131, v134, v132, -v135
	s_delay_alu instid0(VALU_DEP_1) | instskip(NEXT) | instid1(VALU_DEP_1)
	v_fmac_f32_e32 v131, v134, v130
	v_add_f32_e32 v144, v135, v131
	s_delay_alu instid0(VALU_DEP_1) | instskip(NEXT) | instid1(VALU_DEP_1)
	v_sub_f32_e32 v145, v133, v144
	v_sub_f32_e32 v133, v133, v145
	;; [unrolled: 1-line block ×3, first 2 shown]
	s_delay_alu instid0(VALU_DEP_2) | instskip(NEXT) | instid1(VALU_DEP_2)
	v_sub_f32_e32 v133, v133, v144
	v_sub_f32_e32 v129, v129, v131
	s_delay_alu instid0(VALU_DEP_2) | instskip(NEXT) | instid1(VALU_DEP_1)
	v_add_f32_e32 v119, v119, v133
	v_add_f32_e32 v119, v129, v119
	s_delay_alu instid0(VALU_DEP_1) | instskip(NEXT) | instid1(VALU_DEP_1)
	v_add_f32_e32 v129, v145, v119
	v_mul_f32_e32 v131, v128, v129
	s_delay_alu instid0(VALU_DEP_1) | instskip(NEXT) | instid1(VALU_DEP_1)
	v_dual_sub_f32 v144, v145, v129 :: v_dual_mul_f32 v133, v132, v131
	v_add_f32_e32 v119, v119, v144
	s_delay_alu instid0(VALU_DEP_2) | instskip(NEXT) | instid1(VALU_DEP_1)
	v_fma_f32 v132, v131, v132, -v133
	v_fmac_f32_e32 v132, v131, v130
	s_delay_alu instid0(VALU_DEP_1) | instskip(NEXT) | instid1(VALU_DEP_1)
	v_add_f32_e32 v130, v133, v132
	v_sub_f32_e32 v135, v129, v130
	v_sub_f32_e32 v133, v130, v133
	s_delay_alu instid0(VALU_DEP_2) | instskip(NEXT) | instid1(VALU_DEP_1)
	v_sub_f32_e32 v129, v129, v135
	v_sub_f32_e32 v129, v129, v130
	s_delay_alu instid0(VALU_DEP_1) | instskip(SKIP_1) | instid1(VALU_DEP_1)
	v_dual_sub_f32 v130, v133, v132 :: v_dual_add_f32 v119, v119, v129
	v_add_f32_e32 v129, v134, v131
	v_dual_add_f32 v119, v130, v119 :: v_dual_sub_f32 v130, v129, v134
	s_delay_alu instid0(VALU_DEP_1) | instskip(NEXT) | instid1(VALU_DEP_1)
	v_add_f32_e32 v119, v135, v119
	v_dual_sub_f32 v130, v131, v130 :: v_dual_mul_f32 v119, v128, v119
	s_delay_alu instid0(VALU_DEP_1) | instskip(NEXT) | instid1(VALU_DEP_1)
	v_add_f32_e32 v119, v130, v119
	v_add_f32_e32 v128, v129, v119
	s_delay_alu instid0(VALU_DEP_1) | instskip(NEXT) | instid1(VALU_DEP_1)
	v_mul_f32_e32 v130, v128, v128
	v_fmaak_f32 v131, s31, v130, 0x3ecc95a3
	v_mul_f32_e32 v132, v128, v130
	v_cmp_gt_f32_e64 s31, 0x33800000, |v29|
	s_delay_alu instid0(VALU_DEP_3) | instskip(SKIP_2) | instid1(VALU_DEP_4)
	v_fmaak_f32 v130, v130, v131, 0x3f2aaada
	v_ldexp_f32 v131, v128, 1
	v_sub_f32_e32 v128, v128, v129
	s_or_b32 vcc_lo, vcc_lo, s31
	s_delay_alu instid0(VALU_DEP_3) | instskip(NEXT) | instid1(VALU_DEP_2)
	v_mul_f32_e32 v130, v132, v130
	v_dual_mul_f32 v132, 0x3f317218, v118 :: v_dual_sub_f32 v119, v119, v128
	s_delay_alu instid0(VALU_DEP_2) | instskip(NEXT) | instid1(VALU_DEP_2)
	v_add_f32_e32 v129, v131, v130
	v_ldexp_f32 v119, v119, 1
	s_delay_alu instid0(VALU_DEP_2) | instskip(NEXT) | instid1(VALU_DEP_4)
	v_sub_f32_e32 v128, v129, v131
	v_fma_f32 v131, 0x3f317218, v118, -v132
	s_delay_alu instid0(VALU_DEP_2) | instskip(NEXT) | instid1(VALU_DEP_1)
	v_sub_f32_e32 v128, v130, v128
	v_dual_fmamk_f32 v118, v118, 0xb102e308, v131 :: v_dual_add_f32 v119, v119, v128
	s_delay_alu instid0(VALU_DEP_1) | instskip(NEXT) | instid1(VALU_DEP_1)
	v_add_f32_e32 v128, v132, v118
	v_sub_f32_e32 v132, v128, v132
	s_delay_alu instid0(VALU_DEP_1) | instskip(NEXT) | instid1(VALU_DEP_4)
	v_sub_f32_e32 v118, v118, v132
	v_add_f32_e32 v130, v129, v119
	s_delay_alu instid0(VALU_DEP_1) | instskip(NEXT) | instid1(VALU_DEP_1)
	v_sub_f32_e32 v129, v130, v129
	v_sub_f32_e32 v119, v119, v129
	v_add_f32_e32 v131, v128, v130
	s_delay_alu instid0(VALU_DEP_1) | instskip(NEXT) | instid1(VALU_DEP_1)
	v_sub_f32_e32 v133, v131, v128
	v_sub_f32_e32 v129, v130, v133
	s_delay_alu instid0(VALU_DEP_4) | instskip(SKIP_1) | instid1(VALU_DEP_1)
	v_add_f32_e32 v130, v118, v119
	v_sub_f32_e32 v134, v131, v133
	v_sub_f32_e32 v128, v128, v134
	s_delay_alu instid0(VALU_DEP_1) | instskip(NEXT) | instid1(VALU_DEP_1)
	v_dual_add_f32 v128, v129, v128 :: v_dual_sub_f32 v129, v130, v118
	v_dual_add_f32 v128, v130, v128 :: v_dual_sub_f32 v119, v119, v129
	v_sub_f32_e32 v130, v130, v129
	s_delay_alu instid0(VALU_DEP_2) | instskip(NEXT) | instid1(VALU_DEP_1)
	v_add_f32_e32 v132, v131, v128
	v_dual_sub_f32 v118, v118, v130 :: v_dual_sub_f32 v129, v132, v131
	s_delay_alu instid0(VALU_DEP_1) | instskip(NEXT) | instid1(VALU_DEP_1)
	v_dual_add_f32 v118, v119, v118 :: v_dual_sub_f32 v119, v128, v129
	v_add_f32_e32 v118, v118, v119
	s_delay_alu instid0(VALU_DEP_1) | instskip(NEXT) | instid1(VALU_DEP_1)
	v_add_f32_e32 v118, v132, v118
	v_cndmask_b32_e32 v29, v118, v29, vcc_lo
	s_delay_alu instid0(VALU_DEP_1) | instskip(NEXT) | instid1(VALU_DEP_1)
	v_add_f32_e32 v28, v28, v29
	v_cvt_f16_f32_e32 v29, v28
.LBB362_139:
	s_or_b32 exec_lo, exec_lo, s30
	s_delay_alu instid0(VALU_DEP_1)
	v_dual_mov_b32 v131, v29 :: v_dual_and_b32 v28, 0xffff, v29
.LBB362_140:
	s_or_b32 exec_lo, exec_lo, vcc_hi
	v_cmp_gt_u32_e32 vcc_lo, 24, v102
	v_add_nc_u32_e32 v119, 8, v102
	s_mov_b32 vcc_hi, exec_lo
	s_waitcnt lgkmcnt(0)
	v_cndmask_b32_e64 v29, 0, 1, vcc_lo
	s_delay_alu instid0(VALU_DEP_1) | instskip(NEXT) | instid1(VALU_DEP_1)
	v_lshlrev_b32_e32 v29, 3, v29
	v_add_lshl_u32 v118, v29, v102, 2
	ds_bpermute_b32 v29, v118, v28
	v_cmpx_le_u32_e64 v119, v27
	s_cbranch_execz .LBB362_144
; %bb.141:
	s_waitcnt lgkmcnt(0)
	v_cvt_f32_f16_e32 v28, v29
	v_cvt_f32_f16_e64 v129, v131
	v_cmp_u_f16_e32 vcc_lo, v29, v29
	s_delay_alu instid0(VALU_DEP_2) | instskip(SKIP_1) | instid1(VALU_DEP_2)
	v_min_f32_e32 v128, v28, v129
	v_max_f32_e32 v130, v28, v129
	v_cndmask_b32_e32 v128, v128, v28, vcc_lo
	s_delay_alu instid0(VALU_DEP_2) | instskip(SKIP_1) | instid1(VALU_DEP_3)
	v_cndmask_b32_e32 v28, v130, v28, vcc_lo
	v_cmp_u_f16_e64 vcc_lo, v131, v131
	v_cndmask_b32_e32 v128, v128, v129, vcc_lo
	s_delay_alu instid0(VALU_DEP_3) | instskip(NEXT) | instid1(VALU_DEP_2)
	v_cndmask_b32_e32 v28, v28, v129, vcc_lo
	v_cmp_class_f32_e64 s30, v128, 0x1f8
	s_delay_alu instid0(VALU_DEP_2) | instskip(NEXT) | instid1(VALU_DEP_2)
	v_cmp_neq_f32_e32 vcc_lo, v128, v28
	s_or_b32 vcc_lo, vcc_lo, s30
	s_delay_alu instid0(SALU_CYCLE_1)
	s_and_saveexec_b32 s30, vcc_lo
	s_cbranch_execz .LBB362_143
; %bb.142:
	v_sub_f32_e32 v29, v128, v28
	s_mov_b32 s31, 0x3e9b6dac
	s_delay_alu instid0(VALU_DEP_1) | instskip(SKIP_1) | instid1(VALU_DEP_2)
	v_mul_f32_e32 v128, 0x3fb8aa3b, v29
	v_cmp_ngt_f32_e32 vcc_lo, 0xc2ce8ed0, v29
	v_fma_f32 v129, 0x3fb8aa3b, v29, -v128
	v_rndne_f32_e32 v130, v128
	s_delay_alu instid0(VALU_DEP_1) | instskip(NEXT) | instid1(VALU_DEP_1)
	v_dual_fmamk_f32 v129, v29, 0x32a5705f, v129 :: v_dual_sub_f32 v128, v128, v130
	v_add_f32_e32 v128, v128, v129
	v_cvt_i32_f32_e32 v129, v130
	s_delay_alu instid0(VALU_DEP_2) | instskip(SKIP_2) | instid1(VALU_DEP_1)
	v_exp_f32_e32 v128, v128
	s_waitcnt_depctr 0xfff
	v_ldexp_f32 v128, v128, v129
	v_cndmask_b32_e32 v128, 0, v128, vcc_lo
	v_cmp_nlt_f32_e32 vcc_lo, 0x42b17218, v29
	s_delay_alu instid0(VALU_DEP_2) | instskip(NEXT) | instid1(VALU_DEP_1)
	v_cndmask_b32_e32 v29, 0x7f800000, v128, vcc_lo
	v_add_f32_e32 v130, 1.0, v29
	s_delay_alu instid0(VALU_DEP_1) | instskip(NEXT) | instid1(VALU_DEP_1)
	v_cvt_f64_f32_e32 v[128:129], v130
	v_frexp_exp_i32_f64_e32 v128, v[128:129]
	v_frexp_mant_f32_e32 v129, v130
	s_delay_alu instid0(VALU_DEP_1) | instskip(SKIP_1) | instid1(VALU_DEP_1)
	v_cmp_gt_f32_e32 vcc_lo, 0x3f2aaaab, v129
	v_add_f32_e32 v129, -1.0, v130
	v_sub_f32_e32 v132, v129, v130
	s_delay_alu instid0(VALU_DEP_1) | instskip(NEXT) | instid1(VALU_DEP_1)
	v_dual_sub_f32 v129, v29, v129 :: v_dual_add_f32 v132, 1.0, v132
	v_add_f32_e32 v129, v129, v132
	v_subrev_co_ci_u32_e32 v128, vcc_lo, 0, v128, vcc_lo
	s_delay_alu instid0(VALU_DEP_1) | instskip(SKIP_1) | instid1(VALU_DEP_2)
	v_sub_nc_u32_e32 v131, 0, v128
	v_cvt_f32_i32_e32 v128, v128
	v_ldexp_f32 v130, v130, v131
	v_ldexp_f32 v129, v129, v131
	s_delay_alu instid0(VALU_DEP_2) | instskip(NEXT) | instid1(VALU_DEP_1)
	v_add_f32_e32 v131, -1.0, v130
	v_dual_add_f32 v133, 1.0, v130 :: v_dual_add_f32 v134, 1.0, v131
	s_delay_alu instid0(VALU_DEP_1) | instskip(SKIP_1) | instid1(VALU_DEP_2)
	v_add_f32_e32 v132, -1.0, v133
	v_cmp_eq_f32_e32 vcc_lo, 0x7f800000, v29
	v_sub_f32_e32 v132, v130, v132
	s_delay_alu instid0(VALU_DEP_4) | instskip(NEXT) | instid1(VALU_DEP_2)
	v_sub_f32_e32 v130, v130, v134
	v_add_f32_e32 v132, v129, v132
	s_delay_alu instid0(VALU_DEP_2) | instskip(NEXT) | instid1(VALU_DEP_1)
	v_add_f32_e32 v129, v129, v130
	v_dual_add_f32 v135, v131, v129 :: v_dual_add_f32 v134, v133, v132
	s_delay_alu instid0(VALU_DEP_1) | instskip(NEXT) | instid1(VALU_DEP_2)
	v_sub_f32_e32 v131, v131, v135
	v_rcp_f32_e32 v130, v134
	v_sub_f32_e32 v133, v133, v134
	s_delay_alu instid0(VALU_DEP_1) | instskip(SKIP_2) | instid1(VALU_DEP_1)
	v_dual_add_f32 v129, v129, v131 :: v_dual_add_f32 v132, v132, v133
	s_waitcnt_depctr 0xfff
	v_mul_f32_e32 v144, v135, v130
	v_mul_f32_e32 v145, v134, v144
	s_delay_alu instid0(VALU_DEP_1) | instskip(NEXT) | instid1(VALU_DEP_1)
	v_fma_f32 v133, v144, v134, -v145
	v_fmac_f32_e32 v133, v144, v132
	s_delay_alu instid0(VALU_DEP_1) | instskip(NEXT) | instid1(VALU_DEP_1)
	v_add_f32_e32 v146, v145, v133
	v_sub_f32_e32 v147, v135, v146
	s_delay_alu instid0(VALU_DEP_1) | instskip(SKIP_1) | instid1(VALU_DEP_2)
	v_sub_f32_e32 v135, v135, v147
	v_sub_f32_e32 v131, v146, v145
	;; [unrolled: 1-line block ×3, first 2 shown]
	s_delay_alu instid0(VALU_DEP_2) | instskip(NEXT) | instid1(VALU_DEP_2)
	v_sub_f32_e32 v131, v131, v133
	v_add_f32_e32 v129, v129, v135
	s_delay_alu instid0(VALU_DEP_1) | instskip(NEXT) | instid1(VALU_DEP_1)
	v_add_f32_e32 v129, v131, v129
	v_add_f32_e32 v131, v147, v129
	s_delay_alu instid0(VALU_DEP_1) | instskip(NEXT) | instid1(VALU_DEP_1)
	v_mul_f32_e32 v133, v130, v131
	v_dual_sub_f32 v146, v147, v131 :: v_dual_mul_f32 v135, v134, v133
	s_delay_alu instid0(VALU_DEP_1) | instskip(NEXT) | instid1(VALU_DEP_2)
	v_add_f32_e32 v129, v129, v146
	v_fma_f32 v134, v133, v134, -v135
	s_delay_alu instid0(VALU_DEP_1) | instskip(NEXT) | instid1(VALU_DEP_1)
	v_fmac_f32_e32 v134, v133, v132
	v_add_f32_e32 v132, v135, v134
	s_delay_alu instid0(VALU_DEP_1) | instskip(SKIP_1) | instid1(VALU_DEP_2)
	v_sub_f32_e32 v145, v131, v132
	v_sub_f32_e32 v135, v132, v135
	;; [unrolled: 1-line block ×3, first 2 shown]
	s_delay_alu instid0(VALU_DEP_1) | instskip(NEXT) | instid1(VALU_DEP_1)
	v_sub_f32_e32 v131, v131, v132
	v_dual_sub_f32 v132, v135, v134 :: v_dual_add_f32 v129, v129, v131
	v_add_f32_e32 v131, v144, v133
	s_delay_alu instid0(VALU_DEP_1) | instskip(NEXT) | instid1(VALU_DEP_1)
	v_dual_add_f32 v129, v132, v129 :: v_dual_sub_f32 v132, v131, v144
	v_add_f32_e32 v129, v145, v129
	s_delay_alu instid0(VALU_DEP_1) | instskip(NEXT) | instid1(VALU_DEP_1)
	v_dual_sub_f32 v132, v133, v132 :: v_dual_mul_f32 v129, v130, v129
	v_add_f32_e32 v129, v132, v129
	s_delay_alu instid0(VALU_DEP_1) | instskip(NEXT) | instid1(VALU_DEP_1)
	v_add_f32_e32 v130, v131, v129
	v_mul_f32_e32 v132, v130, v130
	s_delay_alu instid0(VALU_DEP_1) | instskip(SKIP_2) | instid1(VALU_DEP_3)
	v_fmaak_f32 v133, s31, v132, 0x3ecc95a3
	v_mul_f32_e32 v134, v130, v132
	v_cmp_gt_f32_e64 s31, 0x33800000, |v29|
	v_fmaak_f32 v132, v132, v133, 0x3f2aaada
	v_ldexp_f32 v133, v130, 1
	v_sub_f32_e32 v130, v130, v131
	s_delay_alu instid0(VALU_DEP_4) | instskip(NEXT) | instid1(VALU_DEP_3)
	s_or_b32 vcc_lo, vcc_lo, s31
	v_mul_f32_e32 v132, v134, v132
	s_delay_alu instid0(VALU_DEP_2) | instskip(NEXT) | instid1(VALU_DEP_2)
	v_dual_mul_f32 v134, 0x3f317218, v128 :: v_dual_sub_f32 v129, v129, v130
	v_add_f32_e32 v131, v133, v132
	s_delay_alu instid0(VALU_DEP_2) | instskip(NEXT) | instid1(VALU_DEP_2)
	v_ldexp_f32 v129, v129, 1
	v_sub_f32_e32 v130, v131, v133
	s_delay_alu instid0(VALU_DEP_4) | instskip(NEXT) | instid1(VALU_DEP_2)
	v_fma_f32 v133, 0x3f317218, v128, -v134
	v_sub_f32_e32 v130, v132, v130
	s_delay_alu instid0(VALU_DEP_1) | instskip(NEXT) | instid1(VALU_DEP_1)
	v_dual_fmamk_f32 v128, v128, 0xb102e308, v133 :: v_dual_add_f32 v129, v129, v130
	v_add_f32_e32 v130, v134, v128
	s_delay_alu instid0(VALU_DEP_1) | instskip(NEXT) | instid1(VALU_DEP_1)
	v_sub_f32_e32 v134, v130, v134
	v_sub_f32_e32 v128, v128, v134
	s_delay_alu instid0(VALU_DEP_4) | instskip(NEXT) | instid1(VALU_DEP_1)
	v_add_f32_e32 v132, v131, v129
	v_sub_f32_e32 v131, v132, v131
	s_delay_alu instid0(VALU_DEP_1) | instskip(SKIP_1) | instid1(VALU_DEP_1)
	v_sub_f32_e32 v129, v129, v131
	v_add_f32_e32 v133, v130, v132
	v_sub_f32_e32 v135, v133, v130
	s_delay_alu instid0(VALU_DEP_1) | instskip(NEXT) | instid1(VALU_DEP_4)
	v_sub_f32_e32 v131, v132, v135
	v_add_f32_e32 v132, v128, v129
	v_sub_f32_e32 v144, v133, v135
	s_delay_alu instid0(VALU_DEP_1) | instskip(NEXT) | instid1(VALU_DEP_1)
	v_sub_f32_e32 v130, v130, v144
	v_dual_add_f32 v130, v131, v130 :: v_dual_sub_f32 v131, v132, v128
	s_delay_alu instid0(VALU_DEP_1) | instskip(SKIP_1) | instid1(VALU_DEP_2)
	v_dual_add_f32 v130, v132, v130 :: v_dual_sub_f32 v129, v129, v131
	v_sub_f32_e32 v132, v132, v131
	v_add_f32_e32 v134, v133, v130
	s_delay_alu instid0(VALU_DEP_1) | instskip(NEXT) | instid1(VALU_DEP_1)
	v_dual_sub_f32 v128, v128, v132 :: v_dual_sub_f32 v131, v134, v133
	v_dual_add_f32 v128, v129, v128 :: v_dual_sub_f32 v129, v130, v131
	s_delay_alu instid0(VALU_DEP_1) | instskip(NEXT) | instid1(VALU_DEP_1)
	v_add_f32_e32 v128, v128, v129
	v_add_f32_e32 v128, v134, v128
	s_delay_alu instid0(VALU_DEP_1) | instskip(NEXT) | instid1(VALU_DEP_1)
	v_cndmask_b32_e32 v29, v128, v29, vcc_lo
	v_add_f32_e32 v28, v28, v29
	s_delay_alu instid0(VALU_DEP_1)
	v_cvt_f16_f32_e32 v29, v28
.LBB362_143:
	s_or_b32 exec_lo, exec_lo, s30
	s_delay_alu instid0(VALU_DEP_1)
	v_dual_mov_b32 v131, v29 :: v_dual_and_b32 v28, 0xffff, v29
.LBB362_144:
	s_or_b32 exec_lo, exec_lo, vcc_hi
	v_cmp_gt_u32_e32 vcc_lo, 16, v102
	v_add_nc_u32_e32 v130, 16, v102
	s_mov_b32 vcc_hi, exec_lo
	s_waitcnt lgkmcnt(0)
	v_cndmask_b32_e64 v29, 0, 1, vcc_lo
	s_delay_alu instid0(VALU_DEP_1) | instskip(NEXT) | instid1(VALU_DEP_1)
	v_lshlrev_b32_e32 v29, 4, v29
	v_add_lshl_u32 v129, v29, v102, 2
	ds_bpermute_b32 v28, v129, v28
	v_cmpx_le_u32_e64 v130, v27
	s_cbranch_execz .LBB362_148
; %bb.145:
	s_waitcnt lgkmcnt(0)
	v_cvt_f32_f16_e32 v27, v28
	v_cvt_f32_f16_e64 v128, v131
	v_cmp_u_f16_e32 vcc_lo, v28, v28
	s_delay_alu instid0(VALU_DEP_2) | instskip(NEXT) | instid1(VALU_DEP_1)
	v_min_f32_e32 v29, v27, v128
	v_dual_max_f32 v132, v27, v128 :: v_dual_cndmask_b32 v29, v29, v27
	s_delay_alu instid0(VALU_DEP_1) | instskip(SKIP_1) | instid1(VALU_DEP_3)
	v_cndmask_b32_e32 v27, v132, v27, vcc_lo
	v_cmp_u_f16_e64 vcc_lo, v131, v131
	v_cndmask_b32_e32 v29, v29, v128, vcc_lo
	s_delay_alu instid0(VALU_DEP_3) | instskip(NEXT) | instid1(VALU_DEP_2)
	v_cndmask_b32_e32 v27, v27, v128, vcc_lo
	v_cmp_class_f32_e64 s30, v29, 0x1f8
	s_delay_alu instid0(VALU_DEP_2) | instskip(NEXT) | instid1(VALU_DEP_2)
	v_cmp_neq_f32_e32 vcc_lo, v29, v27
	s_or_b32 vcc_lo, vcc_lo, s30
	s_delay_alu instid0(SALU_CYCLE_1)
	s_and_saveexec_b32 s30, vcc_lo
	s_cbranch_execz .LBB362_147
; %bb.146:
	v_sub_f32_e32 v28, v29, v27
	s_mov_b32 s31, 0x3e9b6dac
	s_delay_alu instid0(VALU_DEP_1) | instskip(SKIP_1) | instid1(VALU_DEP_2)
	v_mul_f32_e32 v29, 0x3fb8aa3b, v28
	v_cmp_ngt_f32_e32 vcc_lo, 0xc2ce8ed0, v28
	v_fma_f32 v128, 0x3fb8aa3b, v28, -v29
	v_rndne_f32_e32 v131, v29
	s_delay_alu instid0(VALU_DEP_1) | instskip(NEXT) | instid1(VALU_DEP_1)
	v_dual_fmamk_f32 v128, v28, 0x32a5705f, v128 :: v_dual_sub_f32 v29, v29, v131
	v_add_f32_e32 v29, v29, v128
	v_cvt_i32_f32_e32 v128, v131
	s_delay_alu instid0(VALU_DEP_2) | instskip(SKIP_2) | instid1(VALU_DEP_1)
	v_exp_f32_e32 v29, v29
	s_waitcnt_depctr 0xfff
	v_ldexp_f32 v29, v29, v128
	v_cndmask_b32_e32 v29, 0, v29, vcc_lo
	v_cmp_nlt_f32_e32 vcc_lo, 0x42b17218, v28
	s_delay_alu instid0(VALU_DEP_2) | instskip(NEXT) | instid1(VALU_DEP_1)
	v_cndmask_b32_e32 v128, 0x7f800000, v29, vcc_lo
	v_add_f32_e32 v131, 1.0, v128
	s_delay_alu instid0(VALU_DEP_1) | instskip(NEXT) | instid1(VALU_DEP_1)
	v_cvt_f64_f32_e32 v[28:29], v131
	v_frexp_exp_i32_f64_e32 v28, v[28:29]
	v_frexp_mant_f32_e32 v29, v131
	s_delay_alu instid0(VALU_DEP_1) | instskip(SKIP_1) | instid1(VALU_DEP_1)
	v_cmp_gt_f32_e32 vcc_lo, 0x3f2aaaab, v29
	v_add_f32_e32 v29, -1.0, v131
	v_sub_f32_e32 v133, v29, v131
	s_delay_alu instid0(VALU_DEP_1) | instskip(SKIP_2) | instid1(VALU_DEP_2)
	v_add_f32_e32 v133, 1.0, v133
	v_subrev_co_ci_u32_e32 v28, vcc_lo, 0, v28, vcc_lo
	v_cmp_eq_f32_e32 vcc_lo, 0x7f800000, v128
	v_sub_nc_u32_e32 v132, 0, v28
	v_cvt_f32_i32_e32 v28, v28
	s_delay_alu instid0(VALU_DEP_2) | instskip(NEXT) | instid1(VALU_DEP_1)
	v_ldexp_f32 v131, v131, v132
	v_dual_add_f32 v134, 1.0, v131 :: v_dual_sub_f32 v29, v128, v29
	s_delay_alu instid0(VALU_DEP_1) | instskip(NEXT) | instid1(VALU_DEP_2)
	v_add_f32_e32 v29, v29, v133
	v_add_f32_e32 v133, -1.0, v134
	s_delay_alu instid0(VALU_DEP_2) | instskip(NEXT) | instid1(VALU_DEP_2)
	v_ldexp_f32 v29, v29, v132
	v_dual_add_f32 v132, -1.0, v131 :: v_dual_sub_f32 v133, v131, v133
	s_delay_alu instid0(VALU_DEP_1) | instskip(NEXT) | instid1(VALU_DEP_2)
	v_add_f32_e32 v135, 1.0, v132
	v_add_f32_e32 v133, v29, v133
	s_delay_alu instid0(VALU_DEP_2) | instskip(NEXT) | instid1(VALU_DEP_2)
	v_sub_f32_e32 v131, v131, v135
	v_add_f32_e32 v135, v134, v133
	s_delay_alu instid0(VALU_DEP_2) | instskip(NEXT) | instid1(VALU_DEP_2)
	v_add_f32_e32 v29, v29, v131
	v_rcp_f32_e32 v131, v135
	v_sub_f32_e32 v134, v134, v135
	s_delay_alu instid0(VALU_DEP_1) | instskip(NEXT) | instid1(VALU_DEP_1)
	v_dual_add_f32 v144, v132, v29 :: v_dual_add_f32 v133, v133, v134
	v_sub_f32_e32 v132, v132, v144
	s_waitcnt_depctr 0xfff
	v_mul_f32_e32 v145, v144, v131
	s_delay_alu instid0(VALU_DEP_1) | instskip(NEXT) | instid1(VALU_DEP_1)
	v_dual_add_f32 v29, v29, v132 :: v_dual_mul_f32 v146, v135, v145
	v_fma_f32 v134, v145, v135, -v146
	s_delay_alu instid0(VALU_DEP_1) | instskip(NEXT) | instid1(VALU_DEP_1)
	v_fmac_f32_e32 v134, v145, v133
	v_add_f32_e32 v147, v146, v134
	s_delay_alu instid0(VALU_DEP_1) | instskip(SKIP_1) | instid1(VALU_DEP_2)
	v_sub_f32_e32 v148, v144, v147
	v_sub_f32_e32 v132, v147, v146
	;; [unrolled: 1-line block ×3, first 2 shown]
	s_delay_alu instid0(VALU_DEP_2) | instskip(NEXT) | instid1(VALU_DEP_2)
	v_sub_f32_e32 v132, v132, v134
	v_sub_f32_e32 v144, v144, v147
	s_delay_alu instid0(VALU_DEP_1) | instskip(NEXT) | instid1(VALU_DEP_1)
	v_add_f32_e32 v29, v29, v144
	v_add_f32_e32 v29, v132, v29
	s_delay_alu instid0(VALU_DEP_1) | instskip(NEXT) | instid1(VALU_DEP_1)
	v_add_f32_e32 v132, v148, v29
	v_mul_f32_e32 v134, v131, v132
	s_delay_alu instid0(VALU_DEP_1) | instskip(NEXT) | instid1(VALU_DEP_1)
	v_dual_sub_f32 v147, v148, v132 :: v_dual_mul_f32 v144, v135, v134
	v_add_f32_e32 v29, v29, v147
	s_delay_alu instid0(VALU_DEP_2) | instskip(NEXT) | instid1(VALU_DEP_1)
	v_fma_f32 v135, v134, v135, -v144
	v_fmac_f32_e32 v135, v134, v133
	s_delay_alu instid0(VALU_DEP_1) | instskip(NEXT) | instid1(VALU_DEP_1)
	v_add_f32_e32 v133, v144, v135
	v_sub_f32_e32 v146, v132, v133
	v_sub_f32_e32 v144, v133, v144
	s_delay_alu instid0(VALU_DEP_2) | instskip(NEXT) | instid1(VALU_DEP_1)
	v_sub_f32_e32 v132, v132, v146
	v_sub_f32_e32 v132, v132, v133
	s_delay_alu instid0(VALU_DEP_3) | instskip(NEXT) | instid1(VALU_DEP_2)
	v_sub_f32_e32 v133, v144, v135
	v_add_f32_e32 v29, v29, v132
	v_add_f32_e32 v132, v145, v134
	s_delay_alu instid0(VALU_DEP_2) | instskip(NEXT) | instid1(VALU_DEP_2)
	v_add_f32_e32 v29, v133, v29
	v_sub_f32_e32 v133, v132, v145
	s_delay_alu instid0(VALU_DEP_2) | instskip(NEXT) | instid1(VALU_DEP_2)
	v_add_f32_e32 v29, v146, v29
	v_sub_f32_e32 v133, v134, v133
	s_delay_alu instid0(VALU_DEP_2) | instskip(NEXT) | instid1(VALU_DEP_1)
	v_mul_f32_e32 v29, v131, v29
	v_add_f32_e32 v29, v133, v29
	s_delay_alu instid0(VALU_DEP_1) | instskip(NEXT) | instid1(VALU_DEP_1)
	v_add_f32_e32 v131, v132, v29
	v_mul_f32_e32 v133, v131, v131
	s_delay_alu instid0(VALU_DEP_1) | instskip(SKIP_2) | instid1(VALU_DEP_3)
	v_fmaak_f32 v134, s31, v133, 0x3ecc95a3
	v_mul_f32_e32 v135, v131, v133
	v_cmp_gt_f32_e64 s31, 0x33800000, |v128|
	v_fmaak_f32 v133, v133, v134, 0x3f2aaada
	v_ldexp_f32 v134, v131, 1
	v_sub_f32_e32 v131, v131, v132
	s_delay_alu instid0(VALU_DEP_4) | instskip(NEXT) | instid1(VALU_DEP_3)
	s_or_b32 vcc_lo, vcc_lo, s31
	v_mul_f32_e32 v133, v135, v133
	v_mul_f32_e32 v135, 0x3f317218, v28
	s_delay_alu instid0(VALU_DEP_2) | instskip(NEXT) | instid1(VALU_DEP_1)
	v_dual_sub_f32 v29, v29, v131 :: v_dual_add_f32 v132, v134, v133
	v_ldexp_f32 v29, v29, 1
	s_delay_alu instid0(VALU_DEP_2) | instskip(NEXT) | instid1(VALU_DEP_4)
	v_sub_f32_e32 v131, v132, v134
	v_fma_f32 v134, 0x3f317218, v28, -v135
	s_delay_alu instid0(VALU_DEP_1) | instskip(NEXT) | instid1(VALU_DEP_1)
	v_dual_sub_f32 v131, v133, v131 :: v_dual_fmamk_f32 v28, v28, 0xb102e308, v134
	v_add_f32_e32 v29, v29, v131
	s_delay_alu instid0(VALU_DEP_2) | instskip(NEXT) | instid1(VALU_DEP_2)
	v_add_f32_e32 v131, v135, v28
	v_add_f32_e32 v133, v132, v29
	s_delay_alu instid0(VALU_DEP_2) | instskip(NEXT) | instid1(VALU_DEP_2)
	v_sub_f32_e32 v135, v131, v135
	v_add_f32_e32 v134, v131, v133
	v_sub_f32_e32 v132, v133, v132
	s_delay_alu instid0(VALU_DEP_3) | instskip(NEXT) | instid1(VALU_DEP_2)
	v_sub_f32_e32 v28, v28, v135
	v_dual_sub_f32 v144, v134, v131 :: v_dual_sub_f32 v29, v29, v132
	s_delay_alu instid0(VALU_DEP_1) | instskip(NEXT) | instid1(VALU_DEP_2)
	v_sub_f32_e32 v145, v134, v144
	v_dual_sub_f32 v132, v133, v144 :: v_dual_add_f32 v133, v28, v29
	s_delay_alu instid0(VALU_DEP_2) | instskip(NEXT) | instid1(VALU_DEP_1)
	v_sub_f32_e32 v131, v131, v145
	v_dual_add_f32 v131, v132, v131 :: v_dual_sub_f32 v132, v133, v28
	s_delay_alu instid0(VALU_DEP_1) | instskip(NEXT) | instid1(VALU_DEP_2)
	v_add_f32_e32 v131, v133, v131
	v_sub_f32_e32 v133, v133, v132
	v_sub_f32_e32 v29, v29, v132
	s_delay_alu instid0(VALU_DEP_2) | instskip(NEXT) | instid1(VALU_DEP_1)
	v_dual_add_f32 v135, v134, v131 :: v_dual_sub_f32 v28, v28, v133
	v_sub_f32_e32 v132, v135, v134
	s_delay_alu instid0(VALU_DEP_2) | instskip(NEXT) | instid1(VALU_DEP_2)
	v_add_f32_e32 v28, v29, v28
	v_sub_f32_e32 v29, v131, v132
	s_delay_alu instid0(VALU_DEP_1) | instskip(NEXT) | instid1(VALU_DEP_1)
	v_add_f32_e32 v28, v28, v29
	v_add_f32_e32 v28, v135, v28
	s_delay_alu instid0(VALU_DEP_1) | instskip(NEXT) | instid1(VALU_DEP_1)
	v_cndmask_b32_e32 v28, v28, v128, vcc_lo
	v_add_f32_e32 v27, v27, v28
	s_delay_alu instid0(VALU_DEP_1)
	v_cvt_f16_f32_e32 v28, v27
.LBB362_147:
	s_or_b32 exec_lo, exec_lo, s30
	s_delay_alu instid0(VALU_DEP_1)
	v_mov_b32_e32 v131, v28
.LBB362_148:
	s_or_b32 exec_lo, exec_lo, vcc_hi
	v_mov_b32_e32 v27, 0
	s_mov_b32 s30, 0x3e9b6dac
	s_branch .LBB362_150
.LBB362_149:                            ;   in Loop: Header=BB362_150 Depth=1
	s_or_b32 exec_lo, exec_lo, vcc_hi
	v_subrev_nc_u32_e32 v26, 32, v26
.LBB362_150:                            ; =>This Loop Header: Depth=1
                                        ;     Child Loop BB362_153 Depth 2
	s_waitcnt lgkmcnt(0)
	v_and_b32_e32 v28, 0xff, v103
	v_mov_b32_e32 v128, v131
	s_delay_alu instid0(VALU_DEP_2) | instskip(SKIP_2) | instid1(VALU_DEP_1)
	v_cmp_ne_u16_e32 vcc_lo, 2, v28
	v_cndmask_b32_e64 v28, 0, 1, vcc_lo
	;;#ASMSTART
	;;#ASMEND
	v_cmp_ne_u32_e32 vcc_lo, 0, v28
	s_cmp_lg_u32 vcc_lo, exec_lo
	s_cbranch_scc1 .LBB362_177
; %bb.151:                              ;   in Loop: Header=BB362_150 Depth=1
	v_lshlrev_b64 v[28:29], 2, v[26:27]
	s_mov_b32 vcc_hi, exec_lo
	s_delay_alu instid0(VALU_DEP_1) | instskip(NEXT) | instid1(VALU_DEP_2)
	v_add_co_u32 v28, vcc_lo, v14, v28
	v_add_co_ci_u32_e32 v29, vcc_lo, v15, v29, vcc_lo
	flat_load_b32 v131, v[28:29] glc
	s_waitcnt vmcnt(0) lgkmcnt(0)
	v_lshrrev_b32_e32 v103, 16, v131
	s_delay_alu instid0(VALU_DEP_1) | instskip(NEXT) | instid1(VALU_DEP_1)
	v_and_b32_e32 v132, 0xff, v103
	v_cmpx_eq_u16_e64 0, v132
	s_cbranch_execz .LBB362_155
; %bb.152:                              ;   in Loop: Header=BB362_150 Depth=1
	s_mov_b32 s31, 0
.LBB362_153:                            ;   Parent Loop BB362_150 Depth=1
                                        ; =>  This Inner Loop Header: Depth=2
	flat_load_b32 v131, v[28:29] glc
	s_waitcnt vmcnt(0) lgkmcnt(0)
	v_lshrrev_b32_e32 v103, 16, v131
	s_delay_alu instid0(VALU_DEP_1) | instskip(NEXT) | instid1(VALU_DEP_1)
	v_and_b32_e32 v132, 0xff, v103
	v_cmp_ne_u16_e64 vcc_lo, 0, v132
	s_delay_alu instid0(VALU_DEP_1) | instskip(NEXT) | instid1(SALU_CYCLE_1)
	s_or_b32 s31, vcc_lo, s31
	s_and_not1_b32 exec_lo, exec_lo, s31
	s_cbranch_execnz .LBB362_153
; %bb.154:                              ;   in Loop: Header=BB362_150 Depth=1
	s_or_b32 exec_lo, exec_lo, s31
.LBB362_155:                            ;   in Loop: Header=BB362_150 Depth=1
	s_delay_alu instid0(SALU_CYCLE_1)
	s_or_b32 exec_lo, exec_lo, vcc_hi
	v_and_b32_e32 v29, 0xffff, v131
	v_and_b32_e32 v28, 0xff, v103
	ds_bpermute_b32 v132, v112, v29
	v_cmp_eq_u16_e32 vcc_lo, 2, v28
	s_mov_b32 vcc_hi, exec_lo
	v_and_or_b32 v28, vcc_lo, v113, 0x80000000
	s_delay_alu instid0(VALU_DEP_1) | instskip(NEXT) | instid1(VALU_DEP_1)
	v_ctz_i32_b32_e32 v28, v28
	v_cmpx_lt_u32_e64 v102, v28
	s_cbranch_execz .LBB362_159
; %bb.156:                              ;   in Loop: Header=BB362_150 Depth=1
	s_waitcnt lgkmcnt(0)
	v_cvt_f32_f16_e64 v29, v132
	v_cvt_f32_f16_e64 v133, v131
	v_cmp_u_f16_e64 vcc_lo, v132, v132
	s_delay_alu instid0(VALU_DEP_2) | instskip(SKIP_1) | instid1(VALU_DEP_2)
	v_min_f32_e32 v134, v29, v133
	v_max_f32_e32 v135, v29, v133
	v_cndmask_b32_e32 v134, v134, v29, vcc_lo
	s_delay_alu instid0(VALU_DEP_2) | instskip(SKIP_1) | instid1(VALU_DEP_3)
	v_cndmask_b32_e32 v29, v135, v29, vcc_lo
	v_cmp_u_f16_e64 vcc_lo, v131, v131
	v_cndmask_b32_e32 v131, v134, v133, vcc_lo
	s_delay_alu instid0(VALU_DEP_3) | instskip(NEXT) | instid1(VALU_DEP_2)
	v_cndmask_b32_e32 v29, v29, v133, vcc_lo
	v_cmp_class_f32_e64 s31, v131, 0x1f8
	s_delay_alu instid0(VALU_DEP_2) | instskip(NEXT) | instid1(VALU_DEP_2)
	v_cmp_neq_f32_e32 vcc_lo, v131, v29
	s_or_b32 vcc_lo, vcc_lo, s31
	s_delay_alu instid0(SALU_CYCLE_1)
	s_and_saveexec_b32 s31, vcc_lo
	s_cbranch_execz .LBB362_158
; %bb.157:                              ;   in Loop: Header=BB362_150 Depth=1
	v_sub_f32_e32 v131, v131, v29
	s_delay_alu instid0(VALU_DEP_1) | instskip(NEXT) | instid1(VALU_DEP_1)
	v_mul_f32_e32 v132, 0x3fb8aa3b, v131
	v_fma_f32 v133, 0x3fb8aa3b, v131, -v132
	v_rndne_f32_e32 v134, v132
	s_delay_alu instid0(VALU_DEP_1) | instskip(SKIP_1) | instid1(VALU_DEP_4)
	v_sub_f32_e32 v132, v132, v134
	v_cmp_ngt_f32_e32 vcc_lo, 0xc2ce8ed0, v131
	v_fmac_f32_e32 v133, 0x32a5705f, v131
	s_delay_alu instid0(VALU_DEP_1) | instskip(SKIP_1) | instid1(VALU_DEP_2)
	v_add_f32_e32 v132, v132, v133
	v_cvt_i32_f32_e32 v133, v134
	v_exp_f32_e32 v132, v132
	s_waitcnt_depctr 0xfff
	v_ldexp_f32 v132, v132, v133
	s_delay_alu instid0(VALU_DEP_1) | instskip(SKIP_1) | instid1(VALU_DEP_2)
	v_cndmask_b32_e32 v132, 0, v132, vcc_lo
	v_cmp_nlt_f32_e32 vcc_lo, 0x42b17218, v131
	v_cndmask_b32_e32 v133, 0x7f800000, v132, vcc_lo
	s_delay_alu instid0(VALU_DEP_1) | instskip(NEXT) | instid1(VALU_DEP_1)
	v_add_f32_e32 v134, 1.0, v133
	v_add_f32_e32 v131, -1.0, v134
	s_delay_alu instid0(VALU_DEP_1) | instskip(SKIP_1) | instid1(VALU_DEP_2)
	v_dual_sub_f32 v132, v131, v134 :: v_dual_sub_f32 v131, v133, v131
	v_cmp_gt_f32_e64 s34, 0x33800000, |v133|
	v_add_f32_e32 v132, 1.0, v132
	s_delay_alu instid0(VALU_DEP_1) | instskip(SKIP_1) | instid1(VALU_DEP_1)
	v_add_f32_e32 v135, v131, v132
	v_frexp_mant_f32_e32 v131, v134
	v_cmp_gt_f32_e32 vcc_lo, 0x3f2aaaab, v131
	v_cvt_f64_f32_e32 v[131:132], v134
	s_delay_alu instid0(VALU_DEP_1) | instskip(NEXT) | instid1(VALU_DEP_1)
	v_frexp_exp_i32_f64_e32 v131, v[131:132]
	v_subrev_co_ci_u32_e32 v131, vcc_lo, 0, v131, vcc_lo
	v_cmp_eq_f32_e32 vcc_lo, 0x7f800000, v133
	s_delay_alu instid0(VALU_DEP_2) | instskip(SKIP_2) | instid1(VALU_DEP_2)
	v_sub_nc_u32_e32 v132, 0, v131
	v_cvt_f32_i32_e32 v131, v131
	s_or_b32 vcc_lo, vcc_lo, s34
	v_ldexp_f32 v134, v134, v132
	v_ldexp_f32 v132, v135, v132
	s_delay_alu instid0(VALU_DEP_2) | instskip(NEXT) | instid1(VALU_DEP_1)
	v_add_f32_e32 v135, -1.0, v134
	v_add_f32_e32 v144, 1.0, v135
	s_delay_alu instid0(VALU_DEP_1) | instskip(NEXT) | instid1(VALU_DEP_1)
	v_sub_f32_e32 v144, v134, v144
	v_add_f32_e32 v144, v132, v144
	s_delay_alu instid0(VALU_DEP_1) | instskip(NEXT) | instid1(VALU_DEP_1)
	v_add_f32_e32 v145, v135, v144
	v_sub_f32_e32 v135, v135, v145
	s_delay_alu instid0(VALU_DEP_1) | instskip(NEXT) | instid1(VALU_DEP_1)
	v_dual_add_f32 v135, v144, v135 :: v_dual_add_f32 v144, 1.0, v134
	v_add_f32_e32 v146, -1.0, v144
	s_delay_alu instid0(VALU_DEP_1) | instskip(NEXT) | instid1(VALU_DEP_1)
	v_sub_f32_e32 v134, v134, v146
	v_add_f32_e32 v132, v132, v134
	s_delay_alu instid0(VALU_DEP_1) | instskip(NEXT) | instid1(VALU_DEP_1)
	v_add_f32_e32 v134, v144, v132
	v_sub_f32_e32 v144, v144, v134
	s_delay_alu instid0(VALU_DEP_1) | instskip(SKIP_3) | instid1(VALU_DEP_1)
	v_add_f32_e32 v132, v132, v144
	v_rcp_f32_e32 v144, v134
	s_waitcnt_depctr 0xfff
	v_mul_f32_e32 v146, v145, v144
	v_mul_f32_e32 v147, v134, v146
	s_delay_alu instid0(VALU_DEP_1) | instskip(NEXT) | instid1(VALU_DEP_1)
	v_fma_f32 v148, v146, v134, -v147
	v_fmac_f32_e32 v148, v146, v132
	s_delay_alu instid0(VALU_DEP_1) | instskip(NEXT) | instid1(VALU_DEP_1)
	v_add_f32_e32 v149, v147, v148
	v_sub_f32_e32 v147, v149, v147
	v_sub_f32_e32 v150, v145, v149
	s_delay_alu instid0(VALU_DEP_1) | instskip(NEXT) | instid1(VALU_DEP_1)
	v_sub_f32_e32 v145, v145, v150
	v_sub_f32_e32 v145, v145, v149
	s_delay_alu instid0(VALU_DEP_1) | instskip(SKIP_1) | instid1(VALU_DEP_1)
	v_add_f32_e32 v135, v135, v145
	v_sub_f32_e32 v145, v147, v148
	v_add_f32_e32 v135, v145, v135
	s_delay_alu instid0(VALU_DEP_1) | instskip(NEXT) | instid1(VALU_DEP_1)
	v_add_f32_e32 v145, v150, v135
	v_mul_f32_e32 v147, v144, v145
	s_delay_alu instid0(VALU_DEP_1) | instskip(NEXT) | instid1(VALU_DEP_1)
	v_mul_f32_e32 v148, v134, v147
	v_fma_f32 v134, v147, v134, -v148
	s_delay_alu instid0(VALU_DEP_1) | instskip(SKIP_1) | instid1(VALU_DEP_1)
	v_fmac_f32_e32 v134, v147, v132
	v_sub_f32_e32 v132, v150, v145
	v_dual_add_f32 v132, v135, v132 :: v_dual_add_f32 v135, v148, v134
	s_delay_alu instid0(VALU_DEP_1) | instskip(NEXT) | instid1(VALU_DEP_1)
	v_sub_f32_e32 v149, v145, v135
	v_dual_sub_f32 v145, v145, v149 :: v_dual_sub_f32 v148, v135, v148
	s_delay_alu instid0(VALU_DEP_1) | instskip(NEXT) | instid1(VALU_DEP_1)
	v_dual_sub_f32 v135, v145, v135 :: v_dual_sub_f32 v134, v148, v134
	v_add_f32_e32 v132, v132, v135
	s_delay_alu instid0(VALU_DEP_1) | instskip(SKIP_1) | instid1(VALU_DEP_1)
	v_add_f32_e32 v132, v134, v132
	v_add_f32_e32 v134, v146, v147
	v_dual_sub_f32 v135, v134, v146 :: v_dual_mul_f32 v146, 0x3f317218, v131
	s_delay_alu instid0(VALU_DEP_1) | instskip(NEXT) | instid1(VALU_DEP_2)
	v_sub_f32_e32 v135, v147, v135
	v_fma_f32 v147, 0x3f317218, v131, -v146
	s_delay_alu instid0(VALU_DEP_1) | instskip(NEXT) | instid1(VALU_DEP_1)
	v_dual_add_f32 v132, v149, v132 :: v_dual_fmac_f32 v147, 0xb102e308, v131
	v_mul_f32_e32 v132, v144, v132
	s_delay_alu instid0(VALU_DEP_1) | instskip(NEXT) | instid1(VALU_DEP_1)
	v_add_f32_e32 v132, v135, v132
	v_add_f32_e32 v135, v134, v132
	s_delay_alu instid0(VALU_DEP_1) | instskip(NEXT) | instid1(VALU_DEP_1)
	v_sub_f32_e32 v131, v135, v134
	v_sub_f32_e32 v131, v132, v131
	v_add_f32_e32 v132, v146, v147
	s_delay_alu instid0(VALU_DEP_1) | instskip(SKIP_2) | instid1(VALU_DEP_2)
	v_sub_f32_e32 v134, v132, v146
	v_mul_f32_e32 v144, v135, v135
	v_ldexp_f32 v146, v135, 1
	v_dual_sub_f32 v134, v147, v134 :: v_dual_fmaak_f32 v145, s30, v144, 0x3ecc95a3
	v_mul_f32_e32 v135, v135, v144
	v_ldexp_f32 v131, v131, 1
	s_delay_alu instid0(VALU_DEP_3) | instskip(NEXT) | instid1(VALU_DEP_1)
	v_fmaak_f32 v145, v144, v145, 0x3f2aaada
	v_mul_f32_e32 v135, v135, v145
	s_delay_alu instid0(VALU_DEP_1) | instskip(NEXT) | instid1(VALU_DEP_1)
	v_add_f32_e32 v144, v146, v135
	v_sub_f32_e32 v145, v144, v146
	s_delay_alu instid0(VALU_DEP_1) | instskip(NEXT) | instid1(VALU_DEP_1)
	v_sub_f32_e32 v135, v135, v145
	v_add_f32_e32 v131, v131, v135
	s_delay_alu instid0(VALU_DEP_1) | instskip(NEXT) | instid1(VALU_DEP_1)
	v_add_f32_e32 v135, v144, v131
	v_sub_f32_e32 v144, v135, v144
	s_delay_alu instid0(VALU_DEP_1) | instskip(NEXT) | instid1(VALU_DEP_1)
	v_dual_sub_f32 v131, v131, v144 :: v_dual_add_f32 v144, v132, v135
	v_sub_f32_e32 v145, v144, v132
	s_delay_alu instid0(VALU_DEP_1) | instskip(NEXT) | instid1(VALU_DEP_1)
	v_sub_f32_e32 v146, v144, v145
	v_dual_sub_f32 v135, v135, v145 :: v_dual_sub_f32 v132, v132, v146
	s_delay_alu instid0(VALU_DEP_1) | instskip(NEXT) | instid1(VALU_DEP_1)
	v_dual_add_f32 v132, v135, v132 :: v_dual_add_f32 v135, v134, v131
	v_add_f32_e32 v132, v135, v132
	v_sub_f32_e32 v145, v135, v134
	s_delay_alu instid0(VALU_DEP_1) | instskip(NEXT) | instid1(VALU_DEP_1)
	v_sub_f32_e32 v146, v135, v145
	v_dual_sub_f32 v131, v131, v145 :: v_dual_sub_f32 v134, v134, v146
	s_delay_alu instid0(VALU_DEP_1) | instskip(NEXT) | instid1(VALU_DEP_1)
	v_dual_add_f32 v131, v131, v134 :: v_dual_add_f32 v134, v144, v132
	v_sub_f32_e32 v135, v134, v144
	s_delay_alu instid0(VALU_DEP_1) | instskip(NEXT) | instid1(VALU_DEP_1)
	v_sub_f32_e32 v132, v132, v135
	v_add_f32_e32 v131, v131, v132
	s_delay_alu instid0(VALU_DEP_1) | instskip(NEXT) | instid1(VALU_DEP_1)
	v_add_f32_e32 v131, v134, v131
	v_cndmask_b32_e32 v131, v131, v133, vcc_lo
	s_delay_alu instid0(VALU_DEP_1) | instskip(NEXT) | instid1(VALU_DEP_1)
	v_add_f32_e32 v29, v29, v131
	v_cvt_f16_f32_e64 v132, v29
.LBB362_158:                            ;   in Loop: Header=BB362_150 Depth=1
	s_or_b32 exec_lo, exec_lo, s31
	s_delay_alu instid0(VALU_DEP_1)
	v_and_b32_e32 v29, 0xffff, v132
	v_mov_b32_e32 v131, v132
.LBB362_159:                            ;   in Loop: Header=BB362_150 Depth=1
	s_or_b32 exec_lo, exec_lo, vcc_hi
	s_waitcnt lgkmcnt(0)
	ds_bpermute_b32 v132, v114, v29
	s_mov_b32 vcc_hi, exec_lo
	v_cmpx_le_u32_e64 v115, v28
	s_cbranch_execz .LBB362_163
; %bb.160:                              ;   in Loop: Header=BB362_150 Depth=1
	s_waitcnt lgkmcnt(0)
	v_cvt_f32_f16_e64 v29, v132
	v_cvt_f32_f16_e64 v133, v131
	v_cmp_u_f16_e64 vcc_lo, v132, v132
	s_delay_alu instid0(VALU_DEP_2) | instskip(SKIP_1) | instid1(VALU_DEP_2)
	v_min_f32_e32 v134, v29, v133
	v_max_f32_e32 v135, v29, v133
	v_cndmask_b32_e32 v134, v134, v29, vcc_lo
	s_delay_alu instid0(VALU_DEP_2) | instskip(SKIP_1) | instid1(VALU_DEP_3)
	v_cndmask_b32_e32 v29, v135, v29, vcc_lo
	v_cmp_u_f16_e64 vcc_lo, v131, v131
	v_cndmask_b32_e32 v131, v134, v133, vcc_lo
	s_delay_alu instid0(VALU_DEP_3) | instskip(NEXT) | instid1(VALU_DEP_2)
	v_cndmask_b32_e32 v29, v29, v133, vcc_lo
	v_cmp_class_f32_e64 s31, v131, 0x1f8
	s_delay_alu instid0(VALU_DEP_2) | instskip(NEXT) | instid1(VALU_DEP_2)
	v_cmp_neq_f32_e32 vcc_lo, v131, v29
	s_or_b32 vcc_lo, vcc_lo, s31
	s_delay_alu instid0(SALU_CYCLE_1)
	s_and_saveexec_b32 s31, vcc_lo
	s_cbranch_execz .LBB362_162
; %bb.161:                              ;   in Loop: Header=BB362_150 Depth=1
	v_sub_f32_e32 v131, v131, v29
	s_delay_alu instid0(VALU_DEP_1) | instskip(NEXT) | instid1(VALU_DEP_1)
	v_mul_f32_e32 v132, 0x3fb8aa3b, v131
	v_fma_f32 v133, 0x3fb8aa3b, v131, -v132
	v_rndne_f32_e32 v134, v132
	s_delay_alu instid0(VALU_DEP_1) | instskip(SKIP_1) | instid1(VALU_DEP_4)
	v_sub_f32_e32 v132, v132, v134
	v_cmp_ngt_f32_e32 vcc_lo, 0xc2ce8ed0, v131
	v_fmac_f32_e32 v133, 0x32a5705f, v131
	s_delay_alu instid0(VALU_DEP_1) | instskip(SKIP_1) | instid1(VALU_DEP_2)
	v_add_f32_e32 v132, v132, v133
	v_cvt_i32_f32_e32 v133, v134
	v_exp_f32_e32 v132, v132
	s_waitcnt_depctr 0xfff
	v_ldexp_f32 v132, v132, v133
	s_delay_alu instid0(VALU_DEP_1) | instskip(SKIP_1) | instid1(VALU_DEP_2)
	v_cndmask_b32_e32 v132, 0, v132, vcc_lo
	v_cmp_nlt_f32_e32 vcc_lo, 0x42b17218, v131
	v_cndmask_b32_e32 v133, 0x7f800000, v132, vcc_lo
	s_delay_alu instid0(VALU_DEP_1) | instskip(NEXT) | instid1(VALU_DEP_1)
	v_add_f32_e32 v134, 1.0, v133
	v_add_f32_e32 v131, -1.0, v134
	s_delay_alu instid0(VALU_DEP_1) | instskip(SKIP_1) | instid1(VALU_DEP_2)
	v_dual_sub_f32 v132, v131, v134 :: v_dual_sub_f32 v131, v133, v131
	v_cmp_gt_f32_e64 s34, 0x33800000, |v133|
	v_add_f32_e32 v132, 1.0, v132
	s_delay_alu instid0(VALU_DEP_1) | instskip(SKIP_1) | instid1(VALU_DEP_1)
	v_add_f32_e32 v135, v131, v132
	v_frexp_mant_f32_e32 v131, v134
	v_cmp_gt_f32_e32 vcc_lo, 0x3f2aaaab, v131
	v_cvt_f64_f32_e32 v[131:132], v134
	s_delay_alu instid0(VALU_DEP_1) | instskip(NEXT) | instid1(VALU_DEP_1)
	v_frexp_exp_i32_f64_e32 v131, v[131:132]
	v_subrev_co_ci_u32_e32 v131, vcc_lo, 0, v131, vcc_lo
	v_cmp_eq_f32_e32 vcc_lo, 0x7f800000, v133
	s_delay_alu instid0(VALU_DEP_2) | instskip(SKIP_2) | instid1(VALU_DEP_2)
	v_sub_nc_u32_e32 v132, 0, v131
	v_cvt_f32_i32_e32 v131, v131
	s_or_b32 vcc_lo, vcc_lo, s34
	v_ldexp_f32 v134, v134, v132
	v_ldexp_f32 v132, v135, v132
	s_delay_alu instid0(VALU_DEP_2) | instskip(NEXT) | instid1(VALU_DEP_1)
	v_add_f32_e32 v135, -1.0, v134
	v_add_f32_e32 v144, 1.0, v135
	s_delay_alu instid0(VALU_DEP_1) | instskip(NEXT) | instid1(VALU_DEP_1)
	v_sub_f32_e32 v144, v134, v144
	v_add_f32_e32 v144, v132, v144
	s_delay_alu instid0(VALU_DEP_1) | instskip(NEXT) | instid1(VALU_DEP_1)
	v_add_f32_e32 v145, v135, v144
	v_sub_f32_e32 v135, v135, v145
	s_delay_alu instid0(VALU_DEP_1) | instskip(NEXT) | instid1(VALU_DEP_1)
	v_dual_add_f32 v135, v144, v135 :: v_dual_add_f32 v144, 1.0, v134
	v_add_f32_e32 v146, -1.0, v144
	s_delay_alu instid0(VALU_DEP_1) | instskip(NEXT) | instid1(VALU_DEP_1)
	v_sub_f32_e32 v134, v134, v146
	v_add_f32_e32 v132, v132, v134
	s_delay_alu instid0(VALU_DEP_1) | instskip(NEXT) | instid1(VALU_DEP_1)
	v_add_f32_e32 v134, v144, v132
	v_sub_f32_e32 v144, v144, v134
	s_delay_alu instid0(VALU_DEP_1) | instskip(SKIP_3) | instid1(VALU_DEP_1)
	v_add_f32_e32 v132, v132, v144
	v_rcp_f32_e32 v144, v134
	s_waitcnt_depctr 0xfff
	v_mul_f32_e32 v146, v145, v144
	v_mul_f32_e32 v147, v134, v146
	s_delay_alu instid0(VALU_DEP_1) | instskip(NEXT) | instid1(VALU_DEP_1)
	v_fma_f32 v148, v146, v134, -v147
	v_fmac_f32_e32 v148, v146, v132
	s_delay_alu instid0(VALU_DEP_1) | instskip(NEXT) | instid1(VALU_DEP_1)
	v_add_f32_e32 v149, v147, v148
	v_sub_f32_e32 v147, v149, v147
	v_sub_f32_e32 v150, v145, v149
	s_delay_alu instid0(VALU_DEP_1) | instskip(NEXT) | instid1(VALU_DEP_1)
	v_sub_f32_e32 v145, v145, v150
	v_sub_f32_e32 v145, v145, v149
	s_delay_alu instid0(VALU_DEP_1) | instskip(SKIP_1) | instid1(VALU_DEP_1)
	v_add_f32_e32 v135, v135, v145
	v_sub_f32_e32 v145, v147, v148
	v_add_f32_e32 v135, v145, v135
	s_delay_alu instid0(VALU_DEP_1) | instskip(NEXT) | instid1(VALU_DEP_1)
	v_add_f32_e32 v145, v150, v135
	v_mul_f32_e32 v147, v144, v145
	s_delay_alu instid0(VALU_DEP_1) | instskip(NEXT) | instid1(VALU_DEP_1)
	v_mul_f32_e32 v148, v134, v147
	v_fma_f32 v134, v147, v134, -v148
	s_delay_alu instid0(VALU_DEP_1) | instskip(SKIP_1) | instid1(VALU_DEP_1)
	v_fmac_f32_e32 v134, v147, v132
	v_sub_f32_e32 v132, v150, v145
	v_dual_add_f32 v132, v135, v132 :: v_dual_add_f32 v135, v148, v134
	s_delay_alu instid0(VALU_DEP_1) | instskip(NEXT) | instid1(VALU_DEP_1)
	v_sub_f32_e32 v149, v145, v135
	v_dual_sub_f32 v145, v145, v149 :: v_dual_sub_f32 v148, v135, v148
	s_delay_alu instid0(VALU_DEP_1) | instskip(NEXT) | instid1(VALU_DEP_1)
	v_dual_sub_f32 v135, v145, v135 :: v_dual_sub_f32 v134, v148, v134
	v_add_f32_e32 v132, v132, v135
	s_delay_alu instid0(VALU_DEP_1) | instskip(SKIP_1) | instid1(VALU_DEP_1)
	v_add_f32_e32 v132, v134, v132
	v_add_f32_e32 v134, v146, v147
	v_dual_sub_f32 v135, v134, v146 :: v_dual_mul_f32 v146, 0x3f317218, v131
	s_delay_alu instid0(VALU_DEP_1) | instskip(NEXT) | instid1(VALU_DEP_2)
	v_sub_f32_e32 v135, v147, v135
	v_fma_f32 v147, 0x3f317218, v131, -v146
	s_delay_alu instid0(VALU_DEP_1) | instskip(NEXT) | instid1(VALU_DEP_1)
	v_dual_add_f32 v132, v149, v132 :: v_dual_fmac_f32 v147, 0xb102e308, v131
	v_mul_f32_e32 v132, v144, v132
	s_delay_alu instid0(VALU_DEP_1) | instskip(NEXT) | instid1(VALU_DEP_1)
	v_add_f32_e32 v132, v135, v132
	v_add_f32_e32 v135, v134, v132
	s_delay_alu instid0(VALU_DEP_1) | instskip(NEXT) | instid1(VALU_DEP_1)
	v_sub_f32_e32 v131, v135, v134
	v_sub_f32_e32 v131, v132, v131
	v_add_f32_e32 v132, v146, v147
	s_delay_alu instid0(VALU_DEP_1) | instskip(SKIP_2) | instid1(VALU_DEP_2)
	v_sub_f32_e32 v134, v132, v146
	v_mul_f32_e32 v144, v135, v135
	v_ldexp_f32 v146, v135, 1
	v_dual_sub_f32 v134, v147, v134 :: v_dual_fmaak_f32 v145, s30, v144, 0x3ecc95a3
	v_mul_f32_e32 v135, v135, v144
	v_ldexp_f32 v131, v131, 1
	s_delay_alu instid0(VALU_DEP_3) | instskip(NEXT) | instid1(VALU_DEP_1)
	v_fmaak_f32 v145, v144, v145, 0x3f2aaada
	v_mul_f32_e32 v135, v135, v145
	s_delay_alu instid0(VALU_DEP_1) | instskip(NEXT) | instid1(VALU_DEP_1)
	v_add_f32_e32 v144, v146, v135
	v_sub_f32_e32 v145, v144, v146
	s_delay_alu instid0(VALU_DEP_1) | instskip(NEXT) | instid1(VALU_DEP_1)
	v_sub_f32_e32 v135, v135, v145
	v_add_f32_e32 v131, v131, v135
	s_delay_alu instid0(VALU_DEP_1) | instskip(NEXT) | instid1(VALU_DEP_1)
	v_add_f32_e32 v135, v144, v131
	v_sub_f32_e32 v144, v135, v144
	s_delay_alu instid0(VALU_DEP_1) | instskip(NEXT) | instid1(VALU_DEP_1)
	v_dual_sub_f32 v131, v131, v144 :: v_dual_add_f32 v144, v132, v135
	v_sub_f32_e32 v145, v144, v132
	s_delay_alu instid0(VALU_DEP_1) | instskip(NEXT) | instid1(VALU_DEP_1)
	v_sub_f32_e32 v146, v144, v145
	v_dual_sub_f32 v135, v135, v145 :: v_dual_sub_f32 v132, v132, v146
	s_delay_alu instid0(VALU_DEP_1) | instskip(NEXT) | instid1(VALU_DEP_1)
	v_dual_add_f32 v132, v135, v132 :: v_dual_add_f32 v135, v134, v131
	v_add_f32_e32 v132, v135, v132
	v_sub_f32_e32 v145, v135, v134
	s_delay_alu instid0(VALU_DEP_1) | instskip(NEXT) | instid1(VALU_DEP_1)
	v_sub_f32_e32 v146, v135, v145
	v_dual_sub_f32 v131, v131, v145 :: v_dual_sub_f32 v134, v134, v146
	s_delay_alu instid0(VALU_DEP_1) | instskip(NEXT) | instid1(VALU_DEP_1)
	v_dual_add_f32 v131, v131, v134 :: v_dual_add_f32 v134, v144, v132
	v_sub_f32_e32 v135, v134, v144
	s_delay_alu instid0(VALU_DEP_1) | instskip(NEXT) | instid1(VALU_DEP_1)
	v_sub_f32_e32 v132, v132, v135
	v_add_f32_e32 v131, v131, v132
	s_delay_alu instid0(VALU_DEP_1) | instskip(NEXT) | instid1(VALU_DEP_1)
	v_add_f32_e32 v131, v134, v131
	v_cndmask_b32_e32 v131, v131, v133, vcc_lo
	s_delay_alu instid0(VALU_DEP_1) | instskip(NEXT) | instid1(VALU_DEP_1)
	v_add_f32_e32 v29, v29, v131
	v_cvt_f16_f32_e64 v132, v29
.LBB362_162:                            ;   in Loop: Header=BB362_150 Depth=1
	s_or_b32 exec_lo, exec_lo, s31
	s_delay_alu instid0(VALU_DEP_1)
	v_and_b32_e32 v29, 0xffff, v132
	v_mov_b32_e32 v131, v132
.LBB362_163:                            ;   in Loop: Header=BB362_150 Depth=1
	s_or_b32 exec_lo, exec_lo, vcc_hi
	s_waitcnt lgkmcnt(0)
	ds_bpermute_b32 v132, v116, v29
	s_mov_b32 vcc_hi, exec_lo
	v_cmpx_le_u32_e64 v117, v28
	s_cbranch_execz .LBB362_167
; %bb.164:                              ;   in Loop: Header=BB362_150 Depth=1
	s_waitcnt lgkmcnt(0)
	v_cvt_f32_f16_e64 v29, v132
	v_cvt_f32_f16_e64 v133, v131
	v_cmp_u_f16_e64 vcc_lo, v132, v132
	s_delay_alu instid0(VALU_DEP_2) | instskip(SKIP_1) | instid1(VALU_DEP_2)
	v_min_f32_e32 v134, v29, v133
	v_max_f32_e32 v135, v29, v133
	v_cndmask_b32_e32 v134, v134, v29, vcc_lo
	s_delay_alu instid0(VALU_DEP_2) | instskip(SKIP_1) | instid1(VALU_DEP_3)
	v_cndmask_b32_e32 v29, v135, v29, vcc_lo
	v_cmp_u_f16_e64 vcc_lo, v131, v131
	v_cndmask_b32_e32 v131, v134, v133, vcc_lo
	s_delay_alu instid0(VALU_DEP_3) | instskip(NEXT) | instid1(VALU_DEP_2)
	v_cndmask_b32_e32 v29, v29, v133, vcc_lo
	v_cmp_class_f32_e64 s31, v131, 0x1f8
	s_delay_alu instid0(VALU_DEP_2) | instskip(NEXT) | instid1(VALU_DEP_2)
	v_cmp_neq_f32_e32 vcc_lo, v131, v29
	s_or_b32 vcc_lo, vcc_lo, s31
	s_delay_alu instid0(SALU_CYCLE_1)
	s_and_saveexec_b32 s31, vcc_lo
	s_cbranch_execz .LBB362_166
; %bb.165:                              ;   in Loop: Header=BB362_150 Depth=1
	v_sub_f32_e32 v131, v131, v29
	s_delay_alu instid0(VALU_DEP_1) | instskip(NEXT) | instid1(VALU_DEP_1)
	v_mul_f32_e32 v132, 0x3fb8aa3b, v131
	v_fma_f32 v133, 0x3fb8aa3b, v131, -v132
	v_rndne_f32_e32 v134, v132
	s_delay_alu instid0(VALU_DEP_1) | instskip(SKIP_1) | instid1(VALU_DEP_4)
	v_sub_f32_e32 v132, v132, v134
	v_cmp_ngt_f32_e32 vcc_lo, 0xc2ce8ed0, v131
	v_fmac_f32_e32 v133, 0x32a5705f, v131
	s_delay_alu instid0(VALU_DEP_1) | instskip(SKIP_1) | instid1(VALU_DEP_2)
	v_add_f32_e32 v132, v132, v133
	v_cvt_i32_f32_e32 v133, v134
	v_exp_f32_e32 v132, v132
	s_waitcnt_depctr 0xfff
	v_ldexp_f32 v132, v132, v133
	s_delay_alu instid0(VALU_DEP_1) | instskip(SKIP_1) | instid1(VALU_DEP_2)
	v_cndmask_b32_e32 v132, 0, v132, vcc_lo
	v_cmp_nlt_f32_e32 vcc_lo, 0x42b17218, v131
	v_cndmask_b32_e32 v133, 0x7f800000, v132, vcc_lo
	s_delay_alu instid0(VALU_DEP_1) | instskip(NEXT) | instid1(VALU_DEP_1)
	v_add_f32_e32 v134, 1.0, v133
	v_add_f32_e32 v131, -1.0, v134
	s_delay_alu instid0(VALU_DEP_1) | instskip(SKIP_1) | instid1(VALU_DEP_2)
	v_dual_sub_f32 v132, v131, v134 :: v_dual_sub_f32 v131, v133, v131
	v_cmp_gt_f32_e64 s34, 0x33800000, |v133|
	v_add_f32_e32 v132, 1.0, v132
	s_delay_alu instid0(VALU_DEP_1) | instskip(SKIP_1) | instid1(VALU_DEP_1)
	v_add_f32_e32 v135, v131, v132
	v_frexp_mant_f32_e32 v131, v134
	v_cmp_gt_f32_e32 vcc_lo, 0x3f2aaaab, v131
	v_cvt_f64_f32_e32 v[131:132], v134
	s_delay_alu instid0(VALU_DEP_1) | instskip(NEXT) | instid1(VALU_DEP_1)
	v_frexp_exp_i32_f64_e32 v131, v[131:132]
	v_subrev_co_ci_u32_e32 v131, vcc_lo, 0, v131, vcc_lo
	v_cmp_eq_f32_e32 vcc_lo, 0x7f800000, v133
	s_delay_alu instid0(VALU_DEP_2) | instskip(SKIP_2) | instid1(VALU_DEP_2)
	v_sub_nc_u32_e32 v132, 0, v131
	v_cvt_f32_i32_e32 v131, v131
	s_or_b32 vcc_lo, vcc_lo, s34
	v_ldexp_f32 v134, v134, v132
	v_ldexp_f32 v132, v135, v132
	s_delay_alu instid0(VALU_DEP_2) | instskip(NEXT) | instid1(VALU_DEP_1)
	v_add_f32_e32 v135, -1.0, v134
	v_add_f32_e32 v144, 1.0, v135
	s_delay_alu instid0(VALU_DEP_1) | instskip(NEXT) | instid1(VALU_DEP_1)
	v_sub_f32_e32 v144, v134, v144
	v_add_f32_e32 v144, v132, v144
	s_delay_alu instid0(VALU_DEP_1) | instskip(NEXT) | instid1(VALU_DEP_1)
	v_add_f32_e32 v145, v135, v144
	v_sub_f32_e32 v135, v135, v145
	s_delay_alu instid0(VALU_DEP_1) | instskip(NEXT) | instid1(VALU_DEP_1)
	v_dual_add_f32 v135, v144, v135 :: v_dual_add_f32 v144, 1.0, v134
	v_add_f32_e32 v146, -1.0, v144
	s_delay_alu instid0(VALU_DEP_1) | instskip(NEXT) | instid1(VALU_DEP_1)
	v_sub_f32_e32 v134, v134, v146
	v_add_f32_e32 v132, v132, v134
	s_delay_alu instid0(VALU_DEP_1) | instskip(NEXT) | instid1(VALU_DEP_1)
	v_add_f32_e32 v134, v144, v132
	v_sub_f32_e32 v144, v144, v134
	s_delay_alu instid0(VALU_DEP_1) | instskip(SKIP_3) | instid1(VALU_DEP_1)
	v_add_f32_e32 v132, v132, v144
	v_rcp_f32_e32 v144, v134
	s_waitcnt_depctr 0xfff
	v_mul_f32_e32 v146, v145, v144
	v_mul_f32_e32 v147, v134, v146
	s_delay_alu instid0(VALU_DEP_1) | instskip(NEXT) | instid1(VALU_DEP_1)
	v_fma_f32 v148, v146, v134, -v147
	v_fmac_f32_e32 v148, v146, v132
	s_delay_alu instid0(VALU_DEP_1) | instskip(NEXT) | instid1(VALU_DEP_1)
	v_add_f32_e32 v149, v147, v148
	v_sub_f32_e32 v147, v149, v147
	v_sub_f32_e32 v150, v145, v149
	s_delay_alu instid0(VALU_DEP_1) | instskip(NEXT) | instid1(VALU_DEP_1)
	v_sub_f32_e32 v145, v145, v150
	v_sub_f32_e32 v145, v145, v149
	s_delay_alu instid0(VALU_DEP_1) | instskip(SKIP_1) | instid1(VALU_DEP_1)
	v_add_f32_e32 v135, v135, v145
	v_sub_f32_e32 v145, v147, v148
	v_add_f32_e32 v135, v145, v135
	s_delay_alu instid0(VALU_DEP_1) | instskip(NEXT) | instid1(VALU_DEP_1)
	v_add_f32_e32 v145, v150, v135
	v_mul_f32_e32 v147, v144, v145
	s_delay_alu instid0(VALU_DEP_1) | instskip(NEXT) | instid1(VALU_DEP_1)
	v_mul_f32_e32 v148, v134, v147
	v_fma_f32 v134, v147, v134, -v148
	s_delay_alu instid0(VALU_DEP_1) | instskip(SKIP_1) | instid1(VALU_DEP_1)
	v_fmac_f32_e32 v134, v147, v132
	v_sub_f32_e32 v132, v150, v145
	v_dual_add_f32 v132, v135, v132 :: v_dual_add_f32 v135, v148, v134
	s_delay_alu instid0(VALU_DEP_1) | instskip(NEXT) | instid1(VALU_DEP_1)
	v_sub_f32_e32 v149, v145, v135
	v_dual_sub_f32 v145, v145, v149 :: v_dual_sub_f32 v148, v135, v148
	s_delay_alu instid0(VALU_DEP_1) | instskip(NEXT) | instid1(VALU_DEP_1)
	v_dual_sub_f32 v135, v145, v135 :: v_dual_sub_f32 v134, v148, v134
	v_add_f32_e32 v132, v132, v135
	s_delay_alu instid0(VALU_DEP_1) | instskip(SKIP_1) | instid1(VALU_DEP_1)
	v_add_f32_e32 v132, v134, v132
	v_add_f32_e32 v134, v146, v147
	v_dual_sub_f32 v135, v134, v146 :: v_dual_mul_f32 v146, 0x3f317218, v131
	s_delay_alu instid0(VALU_DEP_1) | instskip(NEXT) | instid1(VALU_DEP_2)
	v_sub_f32_e32 v135, v147, v135
	v_fma_f32 v147, 0x3f317218, v131, -v146
	s_delay_alu instid0(VALU_DEP_1) | instskip(NEXT) | instid1(VALU_DEP_1)
	v_dual_add_f32 v132, v149, v132 :: v_dual_fmac_f32 v147, 0xb102e308, v131
	v_mul_f32_e32 v132, v144, v132
	s_delay_alu instid0(VALU_DEP_1) | instskip(NEXT) | instid1(VALU_DEP_1)
	v_add_f32_e32 v132, v135, v132
	v_add_f32_e32 v135, v134, v132
	s_delay_alu instid0(VALU_DEP_1) | instskip(NEXT) | instid1(VALU_DEP_1)
	v_sub_f32_e32 v131, v135, v134
	v_sub_f32_e32 v131, v132, v131
	v_add_f32_e32 v132, v146, v147
	s_delay_alu instid0(VALU_DEP_1) | instskip(SKIP_2) | instid1(VALU_DEP_2)
	v_sub_f32_e32 v134, v132, v146
	v_mul_f32_e32 v144, v135, v135
	v_ldexp_f32 v146, v135, 1
	v_dual_sub_f32 v134, v147, v134 :: v_dual_fmaak_f32 v145, s30, v144, 0x3ecc95a3
	v_mul_f32_e32 v135, v135, v144
	v_ldexp_f32 v131, v131, 1
	s_delay_alu instid0(VALU_DEP_3) | instskip(NEXT) | instid1(VALU_DEP_1)
	v_fmaak_f32 v145, v144, v145, 0x3f2aaada
	v_mul_f32_e32 v135, v135, v145
	s_delay_alu instid0(VALU_DEP_1) | instskip(NEXT) | instid1(VALU_DEP_1)
	v_add_f32_e32 v144, v146, v135
	v_sub_f32_e32 v145, v144, v146
	s_delay_alu instid0(VALU_DEP_1) | instskip(NEXT) | instid1(VALU_DEP_1)
	v_sub_f32_e32 v135, v135, v145
	v_add_f32_e32 v131, v131, v135
	s_delay_alu instid0(VALU_DEP_1) | instskip(NEXT) | instid1(VALU_DEP_1)
	v_add_f32_e32 v135, v144, v131
	v_sub_f32_e32 v144, v135, v144
	s_delay_alu instid0(VALU_DEP_1) | instskip(NEXT) | instid1(VALU_DEP_1)
	v_dual_sub_f32 v131, v131, v144 :: v_dual_add_f32 v144, v132, v135
	v_sub_f32_e32 v145, v144, v132
	s_delay_alu instid0(VALU_DEP_1) | instskip(NEXT) | instid1(VALU_DEP_1)
	v_sub_f32_e32 v146, v144, v145
	v_dual_sub_f32 v135, v135, v145 :: v_dual_sub_f32 v132, v132, v146
	s_delay_alu instid0(VALU_DEP_1) | instskip(NEXT) | instid1(VALU_DEP_1)
	v_dual_add_f32 v132, v135, v132 :: v_dual_add_f32 v135, v134, v131
	v_add_f32_e32 v132, v135, v132
	v_sub_f32_e32 v145, v135, v134
	s_delay_alu instid0(VALU_DEP_1) | instskip(NEXT) | instid1(VALU_DEP_1)
	v_sub_f32_e32 v146, v135, v145
	v_dual_sub_f32 v131, v131, v145 :: v_dual_sub_f32 v134, v134, v146
	s_delay_alu instid0(VALU_DEP_1) | instskip(NEXT) | instid1(VALU_DEP_1)
	v_dual_add_f32 v131, v131, v134 :: v_dual_add_f32 v134, v144, v132
	v_sub_f32_e32 v135, v134, v144
	s_delay_alu instid0(VALU_DEP_1) | instskip(NEXT) | instid1(VALU_DEP_1)
	v_sub_f32_e32 v132, v132, v135
	v_add_f32_e32 v131, v131, v132
	s_delay_alu instid0(VALU_DEP_1) | instskip(NEXT) | instid1(VALU_DEP_1)
	v_add_f32_e32 v131, v134, v131
	v_cndmask_b32_e32 v131, v131, v133, vcc_lo
	s_delay_alu instid0(VALU_DEP_1) | instskip(NEXT) | instid1(VALU_DEP_1)
	v_add_f32_e32 v29, v29, v131
	v_cvt_f16_f32_e64 v132, v29
.LBB362_166:                            ;   in Loop: Header=BB362_150 Depth=1
	s_or_b32 exec_lo, exec_lo, s31
	s_delay_alu instid0(VALU_DEP_1)
	v_and_b32_e32 v29, 0xffff, v132
	v_mov_b32_e32 v131, v132
.LBB362_167:                            ;   in Loop: Header=BB362_150 Depth=1
	s_or_b32 exec_lo, exec_lo, vcc_hi
	s_waitcnt lgkmcnt(0)
	ds_bpermute_b32 v132, v118, v29
	s_mov_b32 vcc_hi, exec_lo
	v_cmpx_le_u32_e64 v119, v28
	s_cbranch_execz .LBB362_171
; %bb.168:                              ;   in Loop: Header=BB362_150 Depth=1
	s_waitcnt lgkmcnt(0)
	v_cvt_f32_f16_e64 v29, v132
	v_cvt_f32_f16_e64 v133, v131
	v_cmp_u_f16_e64 vcc_lo, v132, v132
	s_delay_alu instid0(VALU_DEP_2) | instskip(SKIP_1) | instid1(VALU_DEP_2)
	v_min_f32_e32 v134, v29, v133
	v_max_f32_e32 v135, v29, v133
	v_cndmask_b32_e32 v134, v134, v29, vcc_lo
	s_delay_alu instid0(VALU_DEP_2) | instskip(SKIP_1) | instid1(VALU_DEP_3)
	v_cndmask_b32_e32 v29, v135, v29, vcc_lo
	v_cmp_u_f16_e64 vcc_lo, v131, v131
	v_cndmask_b32_e32 v131, v134, v133, vcc_lo
	s_delay_alu instid0(VALU_DEP_3) | instskip(NEXT) | instid1(VALU_DEP_2)
	v_cndmask_b32_e32 v29, v29, v133, vcc_lo
	v_cmp_class_f32_e64 s31, v131, 0x1f8
	s_delay_alu instid0(VALU_DEP_2) | instskip(NEXT) | instid1(VALU_DEP_2)
	v_cmp_neq_f32_e32 vcc_lo, v131, v29
	s_or_b32 vcc_lo, vcc_lo, s31
	s_delay_alu instid0(SALU_CYCLE_1)
	s_and_saveexec_b32 s31, vcc_lo
	s_cbranch_execz .LBB362_170
; %bb.169:                              ;   in Loop: Header=BB362_150 Depth=1
	v_sub_f32_e32 v131, v131, v29
	s_delay_alu instid0(VALU_DEP_1) | instskip(NEXT) | instid1(VALU_DEP_1)
	v_mul_f32_e32 v132, 0x3fb8aa3b, v131
	v_fma_f32 v133, 0x3fb8aa3b, v131, -v132
	v_rndne_f32_e32 v134, v132
	s_delay_alu instid0(VALU_DEP_1) | instskip(SKIP_1) | instid1(VALU_DEP_4)
	v_sub_f32_e32 v132, v132, v134
	v_cmp_ngt_f32_e32 vcc_lo, 0xc2ce8ed0, v131
	v_fmac_f32_e32 v133, 0x32a5705f, v131
	s_delay_alu instid0(VALU_DEP_1) | instskip(SKIP_1) | instid1(VALU_DEP_2)
	v_add_f32_e32 v132, v132, v133
	v_cvt_i32_f32_e32 v133, v134
	v_exp_f32_e32 v132, v132
	s_waitcnt_depctr 0xfff
	v_ldexp_f32 v132, v132, v133
	s_delay_alu instid0(VALU_DEP_1) | instskip(SKIP_1) | instid1(VALU_DEP_2)
	v_cndmask_b32_e32 v132, 0, v132, vcc_lo
	v_cmp_nlt_f32_e32 vcc_lo, 0x42b17218, v131
	v_cndmask_b32_e32 v133, 0x7f800000, v132, vcc_lo
	s_delay_alu instid0(VALU_DEP_1) | instskip(NEXT) | instid1(VALU_DEP_1)
	v_add_f32_e32 v134, 1.0, v133
	v_add_f32_e32 v131, -1.0, v134
	s_delay_alu instid0(VALU_DEP_1) | instskip(SKIP_1) | instid1(VALU_DEP_2)
	v_dual_sub_f32 v132, v131, v134 :: v_dual_sub_f32 v131, v133, v131
	v_cmp_gt_f32_e64 s34, 0x33800000, |v133|
	v_add_f32_e32 v132, 1.0, v132
	s_delay_alu instid0(VALU_DEP_1) | instskip(SKIP_1) | instid1(VALU_DEP_1)
	v_add_f32_e32 v135, v131, v132
	v_frexp_mant_f32_e32 v131, v134
	v_cmp_gt_f32_e32 vcc_lo, 0x3f2aaaab, v131
	v_cvt_f64_f32_e32 v[131:132], v134
	s_delay_alu instid0(VALU_DEP_1) | instskip(NEXT) | instid1(VALU_DEP_1)
	v_frexp_exp_i32_f64_e32 v131, v[131:132]
	v_subrev_co_ci_u32_e32 v131, vcc_lo, 0, v131, vcc_lo
	v_cmp_eq_f32_e32 vcc_lo, 0x7f800000, v133
	s_delay_alu instid0(VALU_DEP_2) | instskip(SKIP_2) | instid1(VALU_DEP_2)
	v_sub_nc_u32_e32 v132, 0, v131
	v_cvt_f32_i32_e32 v131, v131
	s_or_b32 vcc_lo, vcc_lo, s34
	v_ldexp_f32 v134, v134, v132
	v_ldexp_f32 v132, v135, v132
	s_delay_alu instid0(VALU_DEP_2) | instskip(NEXT) | instid1(VALU_DEP_1)
	v_add_f32_e32 v135, -1.0, v134
	v_add_f32_e32 v144, 1.0, v135
	s_delay_alu instid0(VALU_DEP_1) | instskip(NEXT) | instid1(VALU_DEP_1)
	v_sub_f32_e32 v144, v134, v144
	v_add_f32_e32 v144, v132, v144
	s_delay_alu instid0(VALU_DEP_1) | instskip(NEXT) | instid1(VALU_DEP_1)
	v_add_f32_e32 v145, v135, v144
	v_sub_f32_e32 v135, v135, v145
	s_delay_alu instid0(VALU_DEP_1) | instskip(NEXT) | instid1(VALU_DEP_1)
	v_dual_add_f32 v135, v144, v135 :: v_dual_add_f32 v144, 1.0, v134
	v_add_f32_e32 v146, -1.0, v144
	s_delay_alu instid0(VALU_DEP_1) | instskip(NEXT) | instid1(VALU_DEP_1)
	v_sub_f32_e32 v134, v134, v146
	v_add_f32_e32 v132, v132, v134
	s_delay_alu instid0(VALU_DEP_1) | instskip(NEXT) | instid1(VALU_DEP_1)
	v_add_f32_e32 v134, v144, v132
	v_sub_f32_e32 v144, v144, v134
	s_delay_alu instid0(VALU_DEP_1) | instskip(SKIP_3) | instid1(VALU_DEP_1)
	v_add_f32_e32 v132, v132, v144
	v_rcp_f32_e32 v144, v134
	s_waitcnt_depctr 0xfff
	v_mul_f32_e32 v146, v145, v144
	v_mul_f32_e32 v147, v134, v146
	s_delay_alu instid0(VALU_DEP_1) | instskip(NEXT) | instid1(VALU_DEP_1)
	v_fma_f32 v148, v146, v134, -v147
	v_fmac_f32_e32 v148, v146, v132
	s_delay_alu instid0(VALU_DEP_1) | instskip(NEXT) | instid1(VALU_DEP_1)
	v_add_f32_e32 v149, v147, v148
	v_sub_f32_e32 v147, v149, v147
	v_sub_f32_e32 v150, v145, v149
	s_delay_alu instid0(VALU_DEP_1) | instskip(NEXT) | instid1(VALU_DEP_1)
	v_sub_f32_e32 v145, v145, v150
	v_sub_f32_e32 v145, v145, v149
	s_delay_alu instid0(VALU_DEP_1) | instskip(SKIP_1) | instid1(VALU_DEP_1)
	v_add_f32_e32 v135, v135, v145
	v_sub_f32_e32 v145, v147, v148
	v_add_f32_e32 v135, v145, v135
	s_delay_alu instid0(VALU_DEP_1) | instskip(NEXT) | instid1(VALU_DEP_1)
	v_add_f32_e32 v145, v150, v135
	v_mul_f32_e32 v147, v144, v145
	s_delay_alu instid0(VALU_DEP_1) | instskip(NEXT) | instid1(VALU_DEP_1)
	v_mul_f32_e32 v148, v134, v147
	v_fma_f32 v134, v147, v134, -v148
	s_delay_alu instid0(VALU_DEP_1) | instskip(SKIP_1) | instid1(VALU_DEP_1)
	v_fmac_f32_e32 v134, v147, v132
	v_sub_f32_e32 v132, v150, v145
	v_dual_add_f32 v132, v135, v132 :: v_dual_add_f32 v135, v148, v134
	s_delay_alu instid0(VALU_DEP_1) | instskip(NEXT) | instid1(VALU_DEP_1)
	v_sub_f32_e32 v149, v145, v135
	v_dual_sub_f32 v145, v145, v149 :: v_dual_sub_f32 v148, v135, v148
	s_delay_alu instid0(VALU_DEP_1) | instskip(NEXT) | instid1(VALU_DEP_1)
	v_dual_sub_f32 v135, v145, v135 :: v_dual_sub_f32 v134, v148, v134
	v_add_f32_e32 v132, v132, v135
	s_delay_alu instid0(VALU_DEP_1) | instskip(SKIP_1) | instid1(VALU_DEP_1)
	v_add_f32_e32 v132, v134, v132
	v_add_f32_e32 v134, v146, v147
	v_dual_sub_f32 v135, v134, v146 :: v_dual_mul_f32 v146, 0x3f317218, v131
	s_delay_alu instid0(VALU_DEP_1) | instskip(NEXT) | instid1(VALU_DEP_2)
	v_sub_f32_e32 v135, v147, v135
	v_fma_f32 v147, 0x3f317218, v131, -v146
	s_delay_alu instid0(VALU_DEP_1) | instskip(NEXT) | instid1(VALU_DEP_1)
	v_dual_add_f32 v132, v149, v132 :: v_dual_fmac_f32 v147, 0xb102e308, v131
	v_mul_f32_e32 v132, v144, v132
	s_delay_alu instid0(VALU_DEP_1) | instskip(NEXT) | instid1(VALU_DEP_1)
	v_add_f32_e32 v132, v135, v132
	v_add_f32_e32 v135, v134, v132
	s_delay_alu instid0(VALU_DEP_1) | instskip(NEXT) | instid1(VALU_DEP_1)
	v_sub_f32_e32 v131, v135, v134
	v_sub_f32_e32 v131, v132, v131
	v_add_f32_e32 v132, v146, v147
	s_delay_alu instid0(VALU_DEP_1) | instskip(SKIP_2) | instid1(VALU_DEP_2)
	v_sub_f32_e32 v134, v132, v146
	v_mul_f32_e32 v144, v135, v135
	v_ldexp_f32 v146, v135, 1
	v_dual_sub_f32 v134, v147, v134 :: v_dual_fmaak_f32 v145, s30, v144, 0x3ecc95a3
	v_mul_f32_e32 v135, v135, v144
	v_ldexp_f32 v131, v131, 1
	s_delay_alu instid0(VALU_DEP_3) | instskip(NEXT) | instid1(VALU_DEP_1)
	v_fmaak_f32 v145, v144, v145, 0x3f2aaada
	v_mul_f32_e32 v135, v135, v145
	s_delay_alu instid0(VALU_DEP_1) | instskip(NEXT) | instid1(VALU_DEP_1)
	v_add_f32_e32 v144, v146, v135
	v_sub_f32_e32 v145, v144, v146
	s_delay_alu instid0(VALU_DEP_1) | instskip(NEXT) | instid1(VALU_DEP_1)
	v_sub_f32_e32 v135, v135, v145
	v_add_f32_e32 v131, v131, v135
	s_delay_alu instid0(VALU_DEP_1) | instskip(NEXT) | instid1(VALU_DEP_1)
	v_add_f32_e32 v135, v144, v131
	v_sub_f32_e32 v144, v135, v144
	s_delay_alu instid0(VALU_DEP_1) | instskip(NEXT) | instid1(VALU_DEP_1)
	v_dual_sub_f32 v131, v131, v144 :: v_dual_add_f32 v144, v132, v135
	v_sub_f32_e32 v145, v144, v132
	s_delay_alu instid0(VALU_DEP_1) | instskip(NEXT) | instid1(VALU_DEP_1)
	v_sub_f32_e32 v146, v144, v145
	v_dual_sub_f32 v135, v135, v145 :: v_dual_sub_f32 v132, v132, v146
	s_delay_alu instid0(VALU_DEP_1) | instskip(NEXT) | instid1(VALU_DEP_1)
	v_dual_add_f32 v132, v135, v132 :: v_dual_add_f32 v135, v134, v131
	v_add_f32_e32 v132, v135, v132
	v_sub_f32_e32 v145, v135, v134
	s_delay_alu instid0(VALU_DEP_1) | instskip(NEXT) | instid1(VALU_DEP_1)
	v_sub_f32_e32 v146, v135, v145
	v_dual_sub_f32 v131, v131, v145 :: v_dual_sub_f32 v134, v134, v146
	s_delay_alu instid0(VALU_DEP_1) | instskip(NEXT) | instid1(VALU_DEP_1)
	v_dual_add_f32 v131, v131, v134 :: v_dual_add_f32 v134, v144, v132
	v_sub_f32_e32 v135, v134, v144
	s_delay_alu instid0(VALU_DEP_1) | instskip(NEXT) | instid1(VALU_DEP_1)
	v_sub_f32_e32 v132, v132, v135
	v_add_f32_e32 v131, v131, v132
	s_delay_alu instid0(VALU_DEP_1) | instskip(NEXT) | instid1(VALU_DEP_1)
	v_add_f32_e32 v131, v134, v131
	v_cndmask_b32_e32 v131, v131, v133, vcc_lo
	s_delay_alu instid0(VALU_DEP_1) | instskip(NEXT) | instid1(VALU_DEP_1)
	v_add_f32_e32 v29, v29, v131
	v_cvt_f16_f32_e64 v132, v29
.LBB362_170:                            ;   in Loop: Header=BB362_150 Depth=1
	s_or_b32 exec_lo, exec_lo, s31
	s_delay_alu instid0(VALU_DEP_1)
	v_and_b32_e32 v29, 0xffff, v132
	v_mov_b32_e32 v131, v132
.LBB362_171:                            ;   in Loop: Header=BB362_150 Depth=1
	s_or_b32 exec_lo, exec_lo, vcc_hi
	ds_bpermute_b32 v29, v129, v29
	s_mov_b32 vcc_hi, exec_lo
	v_cmpx_le_u32_e64 v130, v28
	s_cbranch_execz .LBB362_175
; %bb.172:                              ;   in Loop: Header=BB362_150 Depth=1
	s_waitcnt lgkmcnt(0)
	v_cvt_f32_f16_e32 v28, v29
	v_cvt_f32_f16_e64 v132, v131
	v_cmp_u_f16_e32 vcc_lo, v29, v29
	s_delay_alu instid0(VALU_DEP_2) | instskip(SKIP_1) | instid1(VALU_DEP_2)
	v_min_f32_e32 v133, v28, v132
	v_max_f32_e32 v134, v28, v132
	v_cndmask_b32_e32 v133, v133, v28, vcc_lo
	s_delay_alu instid0(VALU_DEP_2) | instskip(SKIP_1) | instid1(VALU_DEP_3)
	v_cndmask_b32_e32 v28, v134, v28, vcc_lo
	v_cmp_u_f16_e64 vcc_lo, v131, v131
	v_cndmask_b32_e32 v131, v133, v132, vcc_lo
	s_delay_alu instid0(VALU_DEP_3) | instskip(NEXT) | instid1(VALU_DEP_2)
	v_cndmask_b32_e32 v28, v28, v132, vcc_lo
	v_cmp_class_f32_e64 s31, v131, 0x1f8
	s_delay_alu instid0(VALU_DEP_2) | instskip(NEXT) | instid1(VALU_DEP_2)
	v_cmp_neq_f32_e32 vcc_lo, v131, v28
	s_or_b32 vcc_lo, vcc_lo, s31
	s_delay_alu instid0(SALU_CYCLE_1)
	s_and_saveexec_b32 s31, vcc_lo
	s_cbranch_execz .LBB362_174
; %bb.173:                              ;   in Loop: Header=BB362_150 Depth=1
	v_sub_f32_e32 v29, v131, v28
	s_delay_alu instid0(VALU_DEP_1) | instskip(SKIP_1) | instid1(VALU_DEP_2)
	v_mul_f32_e32 v131, 0x3fb8aa3b, v29
	v_cmp_ngt_f32_e32 vcc_lo, 0xc2ce8ed0, v29
	v_fma_f32 v132, 0x3fb8aa3b, v29, -v131
	v_rndne_f32_e32 v133, v131
	s_delay_alu instid0(VALU_DEP_2) | instskip(NEXT) | instid1(VALU_DEP_2)
	v_fmac_f32_e32 v132, 0x32a5705f, v29
	v_sub_f32_e32 v131, v131, v133
	s_delay_alu instid0(VALU_DEP_1) | instskip(SKIP_1) | instid1(VALU_DEP_2)
	v_add_f32_e32 v131, v131, v132
	v_cvt_i32_f32_e32 v132, v133
	v_exp_f32_e32 v131, v131
	s_waitcnt_depctr 0xfff
	v_ldexp_f32 v131, v131, v132
	s_delay_alu instid0(VALU_DEP_1) | instskip(SKIP_1) | instid1(VALU_DEP_2)
	v_cndmask_b32_e32 v131, 0, v131, vcc_lo
	v_cmp_nlt_f32_e32 vcc_lo, 0x42b17218, v29
	v_cndmask_b32_e32 v29, 0x7f800000, v131, vcc_lo
	s_delay_alu instid0(VALU_DEP_1) | instskip(NEXT) | instid1(VALU_DEP_1)
	v_add_f32_e32 v133, 1.0, v29
	v_cvt_f64_f32_e32 v[131:132], v133
	s_delay_alu instid0(VALU_DEP_1) | instskip(SKIP_1) | instid1(VALU_DEP_1)
	v_frexp_exp_i32_f64_e32 v131, v[131:132]
	v_frexp_mant_f32_e32 v132, v133
	v_cmp_gt_f32_e32 vcc_lo, 0x3f2aaaab, v132
	v_add_f32_e32 v132, -1.0, v133
	s_delay_alu instid0(VALU_DEP_1) | instskip(NEXT) | instid1(VALU_DEP_1)
	v_dual_sub_f32 v135, v132, v133 :: v_dual_sub_f32 v132, v29, v132
	v_add_f32_e32 v135, 1.0, v135
	s_delay_alu instid0(VALU_DEP_1) | instskip(SKIP_1) | instid1(VALU_DEP_1)
	v_add_f32_e32 v132, v132, v135
	v_subrev_co_ci_u32_e32 v131, vcc_lo, 0, v131, vcc_lo
	v_sub_nc_u32_e32 v134, 0, v131
	v_cvt_f32_i32_e32 v131, v131
	s_delay_alu instid0(VALU_DEP_2) | instskip(SKIP_1) | instid1(VALU_DEP_2)
	v_ldexp_f32 v133, v133, v134
	v_ldexp_f32 v132, v132, v134
	v_add_f32_e32 v144, 1.0, v133
	v_add_f32_e32 v134, -1.0, v133
	v_cmp_eq_f32_e32 vcc_lo, 0x7f800000, v29
	v_cmp_gt_f32_e64 s34, 0x33800000, |v29|
	s_delay_alu instid0(VALU_DEP_4) | instskip(NEXT) | instid1(VALU_DEP_4)
	v_add_f32_e32 v135, -1.0, v144
	v_add_f32_e32 v145, 1.0, v134
	s_delay_alu instid0(VALU_DEP_3) | instskip(NEXT) | instid1(VALU_DEP_2)
	s_or_b32 vcc_lo, vcc_lo, s34
	v_sub_f32_e32 v135, v133, v135
	s_delay_alu instid0(VALU_DEP_2) | instskip(NEXT) | instid1(VALU_DEP_2)
	v_sub_f32_e32 v133, v133, v145
	v_add_f32_e32 v135, v132, v135
	s_delay_alu instid0(VALU_DEP_2) | instskip(NEXT) | instid1(VALU_DEP_1)
	v_add_f32_e32 v132, v132, v133
	v_add_f32_e32 v146, v134, v132
	s_delay_alu instid0(VALU_DEP_1) | instskip(NEXT) | instid1(VALU_DEP_1)
	v_dual_sub_f32 v134, v134, v146 :: v_dual_add_f32 v145, v144, v135
	v_add_f32_e32 v132, v132, v134
	s_delay_alu instid0(VALU_DEP_2) | instskip(SKIP_1) | instid1(VALU_DEP_1)
	v_rcp_f32_e32 v133, v145
	v_sub_f32_e32 v144, v144, v145
	v_add_f32_e32 v135, v135, v144
	s_waitcnt_depctr 0xfff
	v_mul_f32_e32 v147, v146, v133
	s_delay_alu instid0(VALU_DEP_1) | instskip(NEXT) | instid1(VALU_DEP_1)
	v_mul_f32_e32 v148, v145, v147
	v_fma_f32 v144, v147, v145, -v148
	s_delay_alu instid0(VALU_DEP_1) | instskip(NEXT) | instid1(VALU_DEP_1)
	v_fmac_f32_e32 v144, v147, v135
	v_add_f32_e32 v149, v148, v144
	s_delay_alu instid0(VALU_DEP_1) | instskip(SKIP_1) | instid1(VALU_DEP_2)
	v_sub_f32_e32 v150, v146, v149
	v_sub_f32_e32 v134, v149, v148
	;; [unrolled: 1-line block ×3, first 2 shown]
	s_delay_alu instid0(VALU_DEP_1) | instskip(NEXT) | instid1(VALU_DEP_3)
	v_sub_f32_e32 v146, v146, v149
	v_sub_f32_e32 v134, v134, v144
	s_delay_alu instid0(VALU_DEP_2) | instskip(NEXT) | instid1(VALU_DEP_1)
	v_add_f32_e32 v132, v132, v146
	v_add_f32_e32 v132, v134, v132
	s_delay_alu instid0(VALU_DEP_1) | instskip(NEXT) | instid1(VALU_DEP_1)
	v_add_f32_e32 v134, v150, v132
	v_mul_f32_e32 v144, v133, v134
	s_delay_alu instid0(VALU_DEP_1) | instskip(NEXT) | instid1(VALU_DEP_1)
	v_dual_sub_f32 v149, v150, v134 :: v_dual_mul_f32 v146, v145, v144
	v_add_f32_e32 v132, v132, v149
	s_delay_alu instid0(VALU_DEP_2) | instskip(NEXT) | instid1(VALU_DEP_1)
	v_fma_f32 v145, v144, v145, -v146
	v_fmac_f32_e32 v145, v144, v135
	s_delay_alu instid0(VALU_DEP_1) | instskip(NEXT) | instid1(VALU_DEP_1)
	v_add_f32_e32 v135, v146, v145
	v_sub_f32_e32 v148, v134, v135
	s_delay_alu instid0(VALU_DEP_1) | instskip(NEXT) | instid1(VALU_DEP_1)
	v_sub_f32_e32 v134, v134, v148
	v_sub_f32_e32 v134, v134, v135
	s_delay_alu instid0(VALU_DEP_1) | instskip(SKIP_2) | instid1(VALU_DEP_1)
	v_add_f32_e32 v132, v132, v134
	v_add_f32_e32 v134, v147, v144
	v_sub_f32_e32 v146, v135, v146
	v_sub_f32_e32 v135, v146, v145
	s_delay_alu instid0(VALU_DEP_1) | instskip(NEXT) | instid1(VALU_DEP_1)
	v_dual_add_f32 v132, v135, v132 :: v_dual_sub_f32 v135, v134, v147
	v_add_f32_e32 v132, v148, v132
	s_delay_alu instid0(VALU_DEP_1) | instskip(NEXT) | instid1(VALU_DEP_1)
	v_dual_sub_f32 v135, v144, v135 :: v_dual_mul_f32 v132, v133, v132
	v_add_f32_e32 v132, v135, v132
	s_delay_alu instid0(VALU_DEP_1) | instskip(NEXT) | instid1(VALU_DEP_1)
	v_add_f32_e32 v133, v134, v132
	v_mul_f32_e32 v135, v133, v133
	s_delay_alu instid0(VALU_DEP_1) | instskip(SKIP_1) | instid1(VALU_DEP_2)
	v_fmaak_f32 v144, s30, v135, 0x3ecc95a3
	v_mul_f32_e32 v145, v133, v135
	v_fmaak_f32 v135, v135, v144, 0x3f2aaada
	v_ldexp_f32 v144, v133, 1
	s_delay_alu instid0(VALU_DEP_2) | instskip(SKIP_1) | instid1(VALU_DEP_2)
	v_mul_f32_e32 v135, v145, v135
	v_mul_f32_e32 v145, 0x3f317218, v131
	v_dual_sub_f32 v133, v133, v134 :: v_dual_add_f32 v134, v144, v135
	s_delay_alu instid0(VALU_DEP_1) | instskip(NEXT) | instid1(VALU_DEP_3)
	v_dual_sub_f32 v132, v132, v133 :: v_dual_sub_f32 v133, v134, v144
	v_fma_f32 v144, 0x3f317218, v131, -v145
	s_delay_alu instid0(VALU_DEP_2) | instskip(NEXT) | instid1(VALU_DEP_2)
	v_ldexp_f32 v132, v132, 1
	v_dual_sub_f32 v133, v135, v133 :: v_dual_fmac_f32 v144, 0xb102e308, v131
	s_delay_alu instid0(VALU_DEP_1) | instskip(NEXT) | instid1(VALU_DEP_1)
	v_dual_add_f32 v131, v132, v133 :: v_dual_add_f32 v132, v145, v144
	v_add_f32_e32 v133, v134, v131
	s_delay_alu instid0(VALU_DEP_1) | instskip(NEXT) | instid1(VALU_DEP_1)
	v_add_f32_e32 v135, v132, v133
	v_sub_f32_e32 v146, v135, v132
	s_delay_alu instid0(VALU_DEP_1) | instskip(SKIP_1) | instid1(VALU_DEP_1)
	v_sub_f32_e32 v147, v135, v146
	v_sub_f32_e32 v134, v133, v134
	;; [unrolled: 1-line block ×4, first 2 shown]
	s_delay_alu instid0(VALU_DEP_1) | instskip(NEXT) | instid1(VALU_DEP_1)
	v_dual_sub_f32 v133, v133, v146 :: v_dual_sub_f32 v144, v144, v145
	v_add_f32_e32 v134, v144, v131
	v_sub_f32_e32 v132, v132, v147
	s_delay_alu instid0(VALU_DEP_1) | instskip(NEXT) | instid1(VALU_DEP_3)
	v_add_f32_e32 v132, v133, v132
	v_sub_f32_e32 v133, v134, v144
	s_delay_alu instid0(VALU_DEP_1) | instskip(NEXT) | instid1(VALU_DEP_1)
	v_dual_sub_f32 v131, v131, v133 :: v_dual_add_f32 v132, v134, v132
	v_dual_sub_f32 v134, v134, v133 :: v_dual_add_f32 v145, v135, v132
	s_delay_alu instid0(VALU_DEP_1) | instskip(NEXT) | instid1(VALU_DEP_1)
	v_dual_sub_f32 v133, v145, v135 :: v_dual_sub_f32 v134, v144, v134
	v_dual_sub_f32 v132, v132, v133 :: v_dual_add_f32 v131, v131, v134
	s_delay_alu instid0(VALU_DEP_1) | instskip(NEXT) | instid1(VALU_DEP_1)
	v_add_f32_e32 v131, v131, v132
	v_add_f32_e32 v131, v145, v131
	s_delay_alu instid0(VALU_DEP_1) | instskip(NEXT) | instid1(VALU_DEP_1)
	v_cndmask_b32_e32 v29, v131, v29, vcc_lo
	v_add_f32_e32 v28, v28, v29
	s_delay_alu instid0(VALU_DEP_1)
	v_cvt_f16_f32_e32 v29, v28
.LBB362_174:                            ;   in Loop: Header=BB362_150 Depth=1
	s_or_b32 exec_lo, exec_lo, s31
	s_delay_alu instid0(VALU_DEP_1)
	v_mov_b32_e32 v131, v29
.LBB362_175:                            ;   in Loop: Header=BB362_150 Depth=1
	s_or_b32 exec_lo, exec_lo, vcc_hi
	s_delay_alu instid0(VALU_DEP_1) | instskip(SKIP_4) | instid1(VALU_DEP_2)
	v_cvt_f32_f16_e64 v28, v131
	s_waitcnt lgkmcnt(1)
	v_cvt_f32_f16_e64 v132, v128
	v_cmp_u_f16_e64 vcc_lo, v131, v131
	s_waitcnt lgkmcnt(0)
	v_min_f32_e32 v29, v28, v132
	v_max_f32_e32 v133, v28, v132
	s_delay_alu instid0(VALU_DEP_2) | instskip(NEXT) | instid1(VALU_DEP_2)
	v_cndmask_b32_e32 v29, v29, v28, vcc_lo
	v_cndmask_b32_e32 v28, v133, v28, vcc_lo
	v_cmp_u_f16_e64 vcc_lo, v128, v128
	s_delay_alu instid0(VALU_DEP_3) | instskip(NEXT) | instid1(VALU_DEP_3)
	v_cndmask_b32_e32 v29, v29, v132, vcc_lo
	v_cndmask_b32_e32 v28, v28, v132, vcc_lo
	s_delay_alu instid0(VALU_DEP_1) | instskip(SKIP_1) | instid1(VALU_DEP_1)
	v_cmp_neq_f32_e32 vcc_lo, v29, v28
	v_cmp_class_f32_e64 vcc_hi, v29, 0x1f8
	s_or_b32 vcc_lo, vcc_lo, vcc_hi
	s_delay_alu instid0(SALU_CYCLE_1) | instskip(NEXT) | instid1(SALU_CYCLE_1)
	s_and_saveexec_b32 vcc_hi, vcc_lo
	s_xor_b32 vcc_hi, exec_lo, vcc_hi
	s_cbranch_execz .LBB362_149
; %bb.176:                              ;   in Loop: Header=BB362_150 Depth=1
	v_sub_f32_e32 v29, v29, v28
	s_delay_alu instid0(VALU_DEP_1) | instskip(SKIP_1) | instid1(VALU_DEP_2)
	v_mul_f32_e32 v131, 0x3fb8aa3b, v29
	v_cmp_ngt_f32_e32 vcc_lo, 0xc2ce8ed0, v29
	v_fma_f32 v132, 0x3fb8aa3b, v29, -v131
	v_rndne_f32_e32 v133, v131
	s_delay_alu instid0(VALU_DEP_2) | instskip(NEXT) | instid1(VALU_DEP_2)
	v_fmac_f32_e32 v132, 0x32a5705f, v29
	v_sub_f32_e32 v131, v131, v133
	s_delay_alu instid0(VALU_DEP_1) | instskip(SKIP_1) | instid1(VALU_DEP_2)
	v_add_f32_e32 v131, v131, v132
	v_cvt_i32_f32_e32 v132, v133
	v_exp_f32_e32 v131, v131
	s_waitcnt_depctr 0xfff
	v_ldexp_f32 v131, v131, v132
	s_delay_alu instid0(VALU_DEP_1) | instskip(SKIP_1) | instid1(VALU_DEP_2)
	v_cndmask_b32_e32 v131, 0, v131, vcc_lo
	v_cmp_nlt_f32_e32 vcc_lo, 0x42b17218, v29
	v_cndmask_b32_e32 v29, 0x7f800000, v131, vcc_lo
	s_delay_alu instid0(VALU_DEP_1) | instskip(NEXT) | instid1(VALU_DEP_1)
	v_add_f32_e32 v133, 1.0, v29
	v_cvt_f64_f32_e32 v[131:132], v133
	s_delay_alu instid0(VALU_DEP_1) | instskip(SKIP_1) | instid1(VALU_DEP_1)
	v_frexp_exp_i32_f64_e32 v131, v[131:132]
	v_frexp_mant_f32_e32 v132, v133
	v_cmp_gt_f32_e32 vcc_lo, 0x3f2aaaab, v132
	v_add_f32_e32 v132, -1.0, v133
	s_delay_alu instid0(VALU_DEP_1) | instskip(NEXT) | instid1(VALU_DEP_1)
	v_dual_sub_f32 v135, v132, v133 :: v_dual_sub_f32 v132, v29, v132
	v_add_f32_e32 v135, 1.0, v135
	s_delay_alu instid0(VALU_DEP_1) | instskip(SKIP_1) | instid1(VALU_DEP_1)
	v_add_f32_e32 v132, v132, v135
	v_subrev_co_ci_u32_e32 v131, vcc_lo, 0, v131, vcc_lo
	v_sub_nc_u32_e32 v134, 0, v131
	v_cvt_f32_i32_e32 v131, v131
	s_delay_alu instid0(VALU_DEP_2) | instskip(SKIP_1) | instid1(VALU_DEP_2)
	v_ldexp_f32 v133, v133, v134
	v_ldexp_f32 v132, v132, v134
	v_add_f32_e32 v144, 1.0, v133
	v_add_f32_e32 v134, -1.0, v133
	v_cmp_eq_f32_e32 vcc_lo, 0x7f800000, v29
	v_cmp_gt_f32_e64 s31, 0x33800000, |v29|
	s_delay_alu instid0(VALU_DEP_4) | instskip(NEXT) | instid1(VALU_DEP_4)
	v_add_f32_e32 v135, -1.0, v144
	v_add_f32_e32 v145, 1.0, v134
	s_delay_alu instid0(VALU_DEP_3) | instskip(NEXT) | instid1(VALU_DEP_2)
	s_or_b32 vcc_lo, vcc_lo, s31
	v_sub_f32_e32 v135, v133, v135
	s_delay_alu instid0(VALU_DEP_2) | instskip(NEXT) | instid1(VALU_DEP_2)
	v_sub_f32_e32 v133, v133, v145
	v_add_f32_e32 v135, v132, v135
	s_delay_alu instid0(VALU_DEP_2) | instskip(NEXT) | instid1(VALU_DEP_1)
	v_add_f32_e32 v132, v132, v133
	v_add_f32_e32 v146, v134, v132
	s_delay_alu instid0(VALU_DEP_1) | instskip(NEXT) | instid1(VALU_DEP_1)
	v_dual_sub_f32 v134, v134, v146 :: v_dual_add_f32 v145, v144, v135
	v_add_f32_e32 v132, v132, v134
	s_delay_alu instid0(VALU_DEP_2) | instskip(SKIP_1) | instid1(VALU_DEP_1)
	v_rcp_f32_e32 v133, v145
	v_sub_f32_e32 v144, v144, v145
	v_add_f32_e32 v135, v135, v144
	s_waitcnt_depctr 0xfff
	v_mul_f32_e32 v147, v146, v133
	s_delay_alu instid0(VALU_DEP_1) | instskip(NEXT) | instid1(VALU_DEP_1)
	v_mul_f32_e32 v148, v145, v147
	v_fma_f32 v144, v147, v145, -v148
	s_delay_alu instid0(VALU_DEP_1) | instskip(NEXT) | instid1(VALU_DEP_1)
	v_fmac_f32_e32 v144, v147, v135
	v_add_f32_e32 v149, v148, v144
	s_delay_alu instid0(VALU_DEP_1) | instskip(SKIP_1) | instid1(VALU_DEP_2)
	v_sub_f32_e32 v150, v146, v149
	v_sub_f32_e32 v134, v149, v148
	;; [unrolled: 1-line block ×3, first 2 shown]
	s_delay_alu instid0(VALU_DEP_1) | instskip(NEXT) | instid1(VALU_DEP_3)
	v_sub_f32_e32 v146, v146, v149
	v_sub_f32_e32 v134, v134, v144
	s_delay_alu instid0(VALU_DEP_2) | instskip(NEXT) | instid1(VALU_DEP_1)
	v_add_f32_e32 v132, v132, v146
	v_add_f32_e32 v132, v134, v132
	s_delay_alu instid0(VALU_DEP_1) | instskip(NEXT) | instid1(VALU_DEP_1)
	v_add_f32_e32 v134, v150, v132
	v_mul_f32_e32 v144, v133, v134
	s_delay_alu instid0(VALU_DEP_1) | instskip(NEXT) | instid1(VALU_DEP_1)
	v_dual_sub_f32 v149, v150, v134 :: v_dual_mul_f32 v146, v145, v144
	v_add_f32_e32 v132, v132, v149
	s_delay_alu instid0(VALU_DEP_2) | instskip(NEXT) | instid1(VALU_DEP_1)
	v_fma_f32 v145, v144, v145, -v146
	v_fmac_f32_e32 v145, v144, v135
	s_delay_alu instid0(VALU_DEP_1) | instskip(NEXT) | instid1(VALU_DEP_1)
	v_add_f32_e32 v135, v146, v145
	v_sub_f32_e32 v148, v134, v135
	s_delay_alu instid0(VALU_DEP_1) | instskip(NEXT) | instid1(VALU_DEP_1)
	v_sub_f32_e32 v134, v134, v148
	v_sub_f32_e32 v134, v134, v135
	s_delay_alu instid0(VALU_DEP_1) | instskip(SKIP_2) | instid1(VALU_DEP_1)
	v_add_f32_e32 v132, v132, v134
	v_add_f32_e32 v134, v147, v144
	v_sub_f32_e32 v146, v135, v146
	v_sub_f32_e32 v135, v146, v145
	s_delay_alu instid0(VALU_DEP_1) | instskip(NEXT) | instid1(VALU_DEP_1)
	v_dual_add_f32 v132, v135, v132 :: v_dual_sub_f32 v135, v134, v147
	v_add_f32_e32 v132, v148, v132
	s_delay_alu instid0(VALU_DEP_1) | instskip(NEXT) | instid1(VALU_DEP_1)
	v_dual_sub_f32 v135, v144, v135 :: v_dual_mul_f32 v132, v133, v132
	v_add_f32_e32 v132, v135, v132
	s_delay_alu instid0(VALU_DEP_1) | instskip(NEXT) | instid1(VALU_DEP_1)
	v_add_f32_e32 v133, v134, v132
	v_mul_f32_e32 v135, v133, v133
	s_delay_alu instid0(VALU_DEP_1) | instskip(SKIP_1) | instid1(VALU_DEP_2)
	v_fmaak_f32 v144, s30, v135, 0x3ecc95a3
	v_mul_f32_e32 v145, v133, v135
	v_fmaak_f32 v135, v135, v144, 0x3f2aaada
	v_ldexp_f32 v144, v133, 1
	s_delay_alu instid0(VALU_DEP_2) | instskip(SKIP_1) | instid1(VALU_DEP_2)
	v_mul_f32_e32 v135, v145, v135
	v_mul_f32_e32 v145, 0x3f317218, v131
	v_dual_sub_f32 v133, v133, v134 :: v_dual_add_f32 v134, v144, v135
	s_delay_alu instid0(VALU_DEP_1) | instskip(NEXT) | instid1(VALU_DEP_3)
	v_dual_sub_f32 v132, v132, v133 :: v_dual_sub_f32 v133, v134, v144
	v_fma_f32 v144, 0x3f317218, v131, -v145
	s_delay_alu instid0(VALU_DEP_2) | instskip(NEXT) | instid1(VALU_DEP_2)
	v_ldexp_f32 v132, v132, 1
	v_dual_sub_f32 v133, v135, v133 :: v_dual_fmac_f32 v144, 0xb102e308, v131
	s_delay_alu instid0(VALU_DEP_1) | instskip(NEXT) | instid1(VALU_DEP_1)
	v_dual_add_f32 v131, v132, v133 :: v_dual_add_f32 v132, v145, v144
	v_add_f32_e32 v133, v134, v131
	s_delay_alu instid0(VALU_DEP_1) | instskip(NEXT) | instid1(VALU_DEP_1)
	v_add_f32_e32 v135, v132, v133
	v_sub_f32_e32 v146, v135, v132
	s_delay_alu instid0(VALU_DEP_1) | instskip(SKIP_1) | instid1(VALU_DEP_1)
	v_sub_f32_e32 v147, v135, v146
	v_sub_f32_e32 v134, v133, v134
	;; [unrolled: 1-line block ×4, first 2 shown]
	s_delay_alu instid0(VALU_DEP_1) | instskip(NEXT) | instid1(VALU_DEP_1)
	v_dual_sub_f32 v133, v133, v146 :: v_dual_sub_f32 v144, v144, v145
	v_add_f32_e32 v134, v144, v131
	v_sub_f32_e32 v132, v132, v147
	s_delay_alu instid0(VALU_DEP_1) | instskip(NEXT) | instid1(VALU_DEP_3)
	v_add_f32_e32 v132, v133, v132
	v_sub_f32_e32 v133, v134, v144
	s_delay_alu instid0(VALU_DEP_1) | instskip(NEXT) | instid1(VALU_DEP_1)
	v_dual_sub_f32 v131, v131, v133 :: v_dual_add_f32 v132, v134, v132
	v_dual_sub_f32 v134, v134, v133 :: v_dual_add_f32 v145, v135, v132
	s_delay_alu instid0(VALU_DEP_1) | instskip(NEXT) | instid1(VALU_DEP_1)
	v_dual_sub_f32 v133, v145, v135 :: v_dual_sub_f32 v134, v144, v134
	v_dual_sub_f32 v132, v132, v133 :: v_dual_add_f32 v131, v131, v134
	s_delay_alu instid0(VALU_DEP_1) | instskip(NEXT) | instid1(VALU_DEP_1)
	v_add_f32_e32 v131, v131, v132
	v_add_f32_e32 v131, v145, v131
	s_delay_alu instid0(VALU_DEP_1) | instskip(NEXT) | instid1(VALU_DEP_1)
	v_cndmask_b32_e32 v29, v131, v29, vcc_lo
	v_add_f32_e32 v28, v28, v29
	s_delay_alu instid0(VALU_DEP_1)
	v_cvt_f16_f32_e64 v131, v28
	s_branch .LBB362_149
.LBB362_177:                            ;   in Loop: Header=BB362_150 Depth=1
                                        ; implicit-def: $vgpr131
                                        ; implicit-def: $vgpr103
	s_cbranch_execz .LBB362_150
; %bb.178:
	s_and_saveexec_b32 vcc_hi, s26
	s_cbranch_execz .LBB362_182
; %bb.179:
	v_cvt_f32_f16_e64 v26, v128
	v_cvt_f32_f16_e32 v27, v101
	v_cmp_u_f16_e64 vcc_lo, v128, v128
	s_delay_alu instid0(VALU_DEP_2) | instskip(NEXT) | instid1(VALU_DEP_1)
	v_min_f32_e32 v28, v26, v27
	v_dual_max_f32 v29, v26, v27 :: v_dual_cndmask_b32 v28, v28, v26
	s_delay_alu instid0(VALU_DEP_1) | instskip(SKIP_1) | instid1(VALU_DEP_3)
	v_cndmask_b32_e32 v26, v29, v26, vcc_lo
	v_cmp_u_f16_e32 vcc_lo, v101, v101
	v_cndmask_b32_e32 v28, v28, v27, vcc_lo
	s_delay_alu instid0(VALU_DEP_3) | instskip(NEXT) | instid1(VALU_DEP_2)
	v_dual_cndmask_b32 v26, v26, v27 :: v_dual_mov_b32 v27, v128
	v_cmp_class_f32_e64 s26, v28, 0x1f8
	s_delay_alu instid0(VALU_DEP_2) | instskip(NEXT) | instid1(VALU_DEP_2)
	v_cmp_neq_f32_e32 vcc_lo, v28, v26
	s_or_b32 vcc_lo, vcc_lo, s26
	s_delay_alu instid0(SALU_CYCLE_1)
	s_and_saveexec_b32 s26, vcc_lo
	s_cbranch_execz .LBB362_181
; %bb.180:
	v_sub_f32_e32 v27, v28, v26
	s_mov_b32 s30, 0x3e9b6dac
	s_delay_alu instid0(VALU_DEP_1) | instskip(SKIP_1) | instid1(VALU_DEP_2)
	v_mul_f32_e32 v28, 0x3fb8aa3b, v27
	v_cmp_ngt_f32_e32 vcc_lo, 0xc2ce8ed0, v27
	v_fma_f32 v29, 0x3fb8aa3b, v27, -v28
	v_rndne_f32_e32 v101, v28
	s_delay_alu instid0(VALU_DEP_1) | instskip(NEXT) | instid1(VALU_DEP_1)
	v_dual_fmamk_f32 v29, v27, 0x32a5705f, v29 :: v_dual_sub_f32 v28, v28, v101
	v_add_f32_e32 v28, v28, v29
	v_cvt_i32_f32_e32 v29, v101
	s_delay_alu instid0(VALU_DEP_2) | instskip(SKIP_2) | instid1(VALU_DEP_1)
	v_exp_f32_e32 v28, v28
	s_waitcnt_depctr 0xfff
	v_ldexp_f32 v28, v28, v29
	v_cndmask_b32_e32 v28, 0, v28, vcc_lo
	v_cmp_nlt_f32_e32 vcc_lo, 0x42b17218, v27
	s_delay_alu instid0(VALU_DEP_2) | instskip(NEXT) | instid1(VALU_DEP_1)
	v_cndmask_b32_e32 v29, 0x7f800000, v28, vcc_lo
	v_add_f32_e32 v101, 1.0, v29
	s_delay_alu instid0(VALU_DEP_1) | instskip(NEXT) | instid1(VALU_DEP_1)
	v_cvt_f64_f32_e32 v[27:28], v101
	v_frexp_exp_i32_f64_e32 v27, v[27:28]
	v_frexp_mant_f32_e32 v28, v101
	s_delay_alu instid0(VALU_DEP_1) | instskip(SKIP_1) | instid1(VALU_DEP_1)
	v_cmp_gt_f32_e32 vcc_lo, 0x3f2aaaab, v28
	v_add_f32_e32 v28, -1.0, v101
	v_dual_sub_f32 v103, v28, v101 :: v_dual_sub_f32 v28, v29, v28
	s_delay_alu instid0(VALU_DEP_1) | instskip(SKIP_2) | instid1(VALU_DEP_2)
	v_add_f32_e32 v103, 1.0, v103
	v_subrev_co_ci_u32_e32 v27, vcc_lo, 0, v27, vcc_lo
	v_cmp_eq_f32_e32 vcc_lo, 0x7f800000, v29
	v_sub_nc_u32_e32 v102, 0, v27
	v_cvt_f32_i32_e32 v27, v27
	s_delay_alu instid0(VALU_DEP_2) | instskip(NEXT) | instid1(VALU_DEP_1)
	v_ldexp_f32 v101, v101, v102
	v_add_f32_e32 v112, 1.0, v101
	s_delay_alu instid0(VALU_DEP_1) | instskip(NEXT) | instid1(VALU_DEP_1)
	v_dual_add_f32 v28, v28, v103 :: v_dual_add_f32 v103, -1.0, v112
	v_ldexp_f32 v28, v28, v102
	s_delay_alu instid0(VALU_DEP_2) | instskip(NEXT) | instid1(VALU_DEP_1)
	v_dual_sub_f32 v103, v101, v103 :: v_dual_add_f32 v102, -1.0, v101
	v_add_f32_e32 v103, v28, v103
	s_delay_alu instid0(VALU_DEP_2) | instskip(NEXT) | instid1(VALU_DEP_1)
	v_add_f32_e32 v113, 1.0, v102
	v_sub_f32_e32 v101, v101, v113
	s_delay_alu instid0(VALU_DEP_1) | instskip(NEXT) | instid1(VALU_DEP_1)
	v_add_f32_e32 v28, v28, v101
	v_dual_add_f32 v114, v102, v28 :: v_dual_add_f32 v113, v112, v103
	s_delay_alu instid0(VALU_DEP_1) | instskip(NEXT) | instid1(VALU_DEP_2)
	v_sub_f32_e32 v102, v102, v114
	v_rcp_f32_e32 v101, v113
	v_sub_f32_e32 v112, v112, v113
	s_delay_alu instid0(VALU_DEP_1) | instskip(SKIP_2) | instid1(VALU_DEP_1)
	v_dual_add_f32 v28, v28, v102 :: v_dual_add_f32 v103, v103, v112
	s_waitcnt_depctr 0xfff
	v_mul_f32_e32 v115, v114, v101
	v_mul_f32_e32 v116, v113, v115
	s_delay_alu instid0(VALU_DEP_1) | instskip(NEXT) | instid1(VALU_DEP_1)
	v_fma_f32 v112, v115, v113, -v116
	v_fmac_f32_e32 v112, v115, v103
	s_delay_alu instid0(VALU_DEP_1) | instskip(NEXT) | instid1(VALU_DEP_1)
	v_add_f32_e32 v117, v116, v112
	v_sub_f32_e32 v118, v114, v117
	s_delay_alu instid0(VALU_DEP_1) | instskip(SKIP_1) | instid1(VALU_DEP_2)
	v_sub_f32_e32 v114, v114, v118
	v_sub_f32_e32 v102, v117, v116
	;; [unrolled: 1-line block ×3, first 2 shown]
	s_delay_alu instid0(VALU_DEP_2) | instskip(NEXT) | instid1(VALU_DEP_2)
	v_sub_f32_e32 v102, v102, v112
	v_add_f32_e32 v28, v28, v114
	s_delay_alu instid0(VALU_DEP_1) | instskip(NEXT) | instid1(VALU_DEP_1)
	v_add_f32_e32 v28, v102, v28
	v_add_f32_e32 v102, v118, v28
	s_delay_alu instid0(VALU_DEP_1) | instskip(NEXT) | instid1(VALU_DEP_1)
	v_mul_f32_e32 v112, v101, v102
	v_dual_sub_f32 v117, v118, v102 :: v_dual_mul_f32 v114, v113, v112
	s_delay_alu instid0(VALU_DEP_1) | instskip(NEXT) | instid1(VALU_DEP_2)
	v_add_f32_e32 v28, v28, v117
	v_fma_f32 v113, v112, v113, -v114
	s_delay_alu instid0(VALU_DEP_1) | instskip(NEXT) | instid1(VALU_DEP_1)
	v_fmac_f32_e32 v113, v112, v103
	v_add_f32_e32 v103, v114, v113
	s_delay_alu instid0(VALU_DEP_1) | instskip(SKIP_1) | instid1(VALU_DEP_2)
	v_sub_f32_e32 v116, v102, v103
	v_sub_f32_e32 v114, v103, v114
	;; [unrolled: 1-line block ×3, first 2 shown]
	s_delay_alu instid0(VALU_DEP_1) | instskip(NEXT) | instid1(VALU_DEP_1)
	v_sub_f32_e32 v102, v102, v103
	v_dual_sub_f32 v103, v114, v113 :: v_dual_add_f32 v28, v28, v102
	v_add_f32_e32 v102, v115, v112
	s_delay_alu instid0(VALU_DEP_1) | instskip(NEXT) | instid1(VALU_DEP_1)
	v_dual_add_f32 v28, v103, v28 :: v_dual_sub_f32 v103, v102, v115
	v_add_f32_e32 v28, v116, v28
	s_delay_alu instid0(VALU_DEP_1) | instskip(NEXT) | instid1(VALU_DEP_1)
	v_dual_sub_f32 v103, v112, v103 :: v_dual_mul_f32 v28, v101, v28
	v_add_f32_e32 v28, v103, v28
	s_delay_alu instid0(VALU_DEP_1) | instskip(NEXT) | instid1(VALU_DEP_1)
	v_add_f32_e32 v101, v102, v28
	v_mul_f32_e32 v103, v101, v101
	s_delay_alu instid0(VALU_DEP_1) | instskip(SKIP_2) | instid1(VALU_DEP_3)
	v_fmaak_f32 v112, s30, v103, 0x3ecc95a3
	v_mul_f32_e32 v113, v101, v103
	v_cmp_gt_f32_e64 s30, 0x33800000, |v29|
	v_fmaak_f32 v103, v103, v112, 0x3f2aaada
	v_ldexp_f32 v112, v101, 1
	v_sub_f32_e32 v101, v101, v102
	s_delay_alu instid0(VALU_DEP_4) | instskip(NEXT) | instid1(VALU_DEP_3)
	s_or_b32 vcc_lo, vcc_lo, s30
	v_mul_f32_e32 v103, v113, v103
	s_delay_alu instid0(VALU_DEP_2) | instskip(NEXT) | instid1(VALU_DEP_2)
	v_dual_mul_f32 v113, 0x3f317218, v27 :: v_dual_sub_f32 v28, v28, v101
	v_add_f32_e32 v102, v112, v103
	s_delay_alu instid0(VALU_DEP_2) | instskip(NEXT) | instid1(VALU_DEP_2)
	v_ldexp_f32 v28, v28, 1
	v_sub_f32_e32 v101, v102, v112
	s_delay_alu instid0(VALU_DEP_4) | instskip(NEXT) | instid1(VALU_DEP_2)
	v_fma_f32 v112, 0x3f317218, v27, -v113
	v_sub_f32_e32 v101, v103, v101
	s_delay_alu instid0(VALU_DEP_1) | instskip(NEXT) | instid1(VALU_DEP_1)
	v_dual_fmamk_f32 v27, v27, 0xb102e308, v112 :: v_dual_add_f32 v28, v28, v101
	v_add_f32_e32 v101, v113, v27
	s_delay_alu instid0(VALU_DEP_2) | instskip(NEXT) | instid1(VALU_DEP_2)
	v_add_f32_e32 v103, v102, v28
	v_sub_f32_e32 v113, v101, v113
	s_delay_alu instid0(VALU_DEP_2) | instskip(SKIP_1) | instid1(VALU_DEP_3)
	v_add_f32_e32 v112, v101, v103
	v_sub_f32_e32 v102, v103, v102
	v_sub_f32_e32 v27, v27, v113
	s_delay_alu instid0(VALU_DEP_3) | instskip(NEXT) | instid1(VALU_DEP_3)
	v_sub_f32_e32 v114, v112, v101
	v_sub_f32_e32 v28, v28, v102
	s_delay_alu instid0(VALU_DEP_2) | instskip(SKIP_1) | instid1(VALU_DEP_3)
	v_sub_f32_e32 v115, v112, v114
	v_sub_f32_e32 v102, v103, v114
	v_add_f32_e32 v103, v27, v28
	s_delay_alu instid0(VALU_DEP_3) | instskip(NEXT) | instid1(VALU_DEP_1)
	v_sub_f32_e32 v101, v101, v115
	v_dual_add_f32 v101, v102, v101 :: v_dual_sub_f32 v102, v103, v27
	s_delay_alu instid0(VALU_DEP_1) | instskip(NEXT) | instid1(VALU_DEP_2)
	v_add_f32_e32 v101, v103, v101
	v_sub_f32_e32 v103, v103, v102
	v_sub_f32_e32 v28, v28, v102
	s_delay_alu instid0(VALU_DEP_3) | instskip(NEXT) | instid1(VALU_DEP_1)
	v_add_f32_e32 v113, v112, v101
	v_dual_sub_f32 v27, v27, v103 :: v_dual_sub_f32 v102, v113, v112
	s_delay_alu instid0(VALU_DEP_1) | instskip(NEXT) | instid1(VALU_DEP_1)
	v_dual_add_f32 v27, v28, v27 :: v_dual_sub_f32 v28, v101, v102
	v_add_f32_e32 v27, v27, v28
	s_delay_alu instid0(VALU_DEP_1) | instskip(NEXT) | instid1(VALU_DEP_1)
	v_add_f32_e32 v27, v113, v27
	v_cndmask_b32_e32 v27, v27, v29, vcc_lo
	s_delay_alu instid0(VALU_DEP_1) | instskip(NEXT) | instid1(VALU_DEP_1)
	v_add_f32_e32 v26, v26, v27
	v_cvt_f16_f32_e32 v27, v26
.LBB362_181:
	s_or_b32 exec_lo, exec_lo, s26
	s_add_i32 s30, s12, 32
	s_mov_b32 s31, 0
	s_delay_alu instid0(VALU_DEP_1) | instskip(SKIP_1) | instid1(SALU_CYCLE_1)
	v_and_b32_e32 v28, 0xffff, v27
	s_lshl_b64 s[30:31], s[30:31], 2
	v_add_co_u32 v26, vcc_lo, v14, s30
	v_add_co_ci_u32_e32 v27, vcc_lo, s31, v15, vcc_lo
	s_delay_alu instid0(VALU_DEP_3)
	v_or_b32_e32 v28, 0x20000, v28
	flat_store_b32 v[26:27], v28
.LBB362_182:
	s_or_b32 exec_lo, exec_lo, vcc_hi
	s_delay_alu instid0(SALU_CYCLE_1)
	s_and_b32 exec_lo, exec_lo, s25
	s_cbranch_execz .LBB362_184
; %bb.183:
	v_mov_b32_e32 v26, 0
	ds_store_b16 v26, v128
.LBB362_184:
	s_or_b32 exec_lo, exec_lo, s27
	v_mov_b32_e32 v26, 0
	s_waitcnt lgkmcnt(0)
	s_waitcnt_vscnt null, 0x0
	s_barrier
	buffer_gl0_inv
	ds_load_u16 v101, v26
	v_mov_b32_e32 v26, v12
	s_and_saveexec_b32 s12, s24
	s_cbranch_execz .LBB362_188
; %bb.185:
	v_cvt_f32_f16_e32 v27, v100
	v_max_f32_e32 v26, v99, v99
	v_cmp_u_f16_e32 vcc_lo, v100, v100
	s_delay_alu instid0(VALU_DEP_2) | instskip(SKIP_1) | instid1(VALU_DEP_2)
	v_min_f32_e32 v28, v27, v26
	v_max_f32_e32 v26, v27, v26
	v_cndmask_b32_e32 v28, v28, v27, vcc_lo
	s_delay_alu instid0(VALU_DEP_2) | instskip(NEXT) | instid1(VALU_DEP_2)
	v_cndmask_b32_e32 v26, v26, v27, vcc_lo
	v_cndmask_b32_e64 v28, v28, v99, s23
	s_delay_alu instid0(VALU_DEP_2) | instskip(NEXT) | instid1(VALU_DEP_2)
	v_cndmask_b32_e64 v26, v26, v99, s23
	v_cmp_class_f32_e64 s23, v28, 0x1f8
	s_delay_alu instid0(VALU_DEP_2) | instskip(NEXT) | instid1(VALU_DEP_2)
	v_cmp_neq_f32_e32 vcc_lo, v28, v26
	s_or_b32 s24, vcc_lo, s23
	s_delay_alu instid0(SALU_CYCLE_1)
	s_and_saveexec_b32 s23, s24
	s_cbranch_execz .LBB362_187
; %bb.186:
	v_sub_f32_e32 v27, v28, v26
	s_mov_b32 s24, 0x3e9b6dac
	s_delay_alu instid0(VALU_DEP_1) | instskip(SKIP_1) | instid1(VALU_DEP_2)
	v_mul_f32_e32 v28, 0x3fb8aa3b, v27
	v_cmp_ngt_f32_e32 vcc_lo, 0xc2ce8ed0, v27
	v_fma_f32 v29, 0x3fb8aa3b, v27, -v28
	v_rndne_f32_e32 v99, v28
	s_delay_alu instid0(VALU_DEP_1) | instskip(NEXT) | instid1(VALU_DEP_1)
	v_dual_fmamk_f32 v29, v27, 0x32a5705f, v29 :: v_dual_sub_f32 v28, v28, v99
	v_add_f32_e32 v28, v28, v29
	v_cvt_i32_f32_e32 v29, v99
	s_delay_alu instid0(VALU_DEP_2) | instskip(SKIP_2) | instid1(VALU_DEP_1)
	v_exp_f32_e32 v28, v28
	s_waitcnt_depctr 0xfff
	v_ldexp_f32 v28, v28, v29
	v_cndmask_b32_e32 v28, 0, v28, vcc_lo
	v_cmp_nlt_f32_e32 vcc_lo, 0x42b17218, v27
	s_delay_alu instid0(VALU_DEP_2) | instskip(NEXT) | instid1(VALU_DEP_1)
	v_cndmask_b32_e32 v29, 0x7f800000, v28, vcc_lo
	v_add_f32_e32 v99, 1.0, v29
	s_delay_alu instid0(VALU_DEP_1) | instskip(NEXT) | instid1(VALU_DEP_1)
	v_cvt_f64_f32_e32 v[27:28], v99
	v_frexp_exp_i32_f64_e32 v27, v[27:28]
	v_frexp_mant_f32_e32 v28, v99
	s_delay_alu instid0(VALU_DEP_1) | instskip(SKIP_1) | instid1(VALU_DEP_1)
	v_cmp_gt_f32_e32 vcc_lo, 0x3f2aaaab, v28
	v_add_f32_e32 v28, -1.0, v99
	v_sub_f32_e32 v102, v28, v99
	v_sub_f32_e32 v28, v29, v28
	s_delay_alu instid0(VALU_DEP_2) | instskip(SKIP_2) | instid1(VALU_DEP_2)
	v_add_f32_e32 v102, 1.0, v102
	v_subrev_co_ci_u32_e32 v27, vcc_lo, 0, v27, vcc_lo
	v_cmp_eq_f32_e32 vcc_lo, 0x7f800000, v29
	v_sub_nc_u32_e32 v100, 0, v27
	v_cvt_f32_i32_e32 v27, v27
	s_delay_alu instid0(VALU_DEP_2) | instskip(NEXT) | instid1(VALU_DEP_1)
	v_ldexp_f32 v99, v99, v100
	v_dual_add_f32 v103, 1.0, v99 :: v_dual_add_f32 v28, v28, v102
	s_delay_alu instid0(VALU_DEP_1) | instskip(NEXT) | instid1(VALU_DEP_2)
	v_add_f32_e32 v102, -1.0, v103
	v_ldexp_f32 v28, v28, v100
	v_add_f32_e32 v100, -1.0, v99
	s_delay_alu instid0(VALU_DEP_3) | instskip(NEXT) | instid1(VALU_DEP_2)
	v_sub_f32_e32 v102, v99, v102
	v_add_f32_e32 v112, 1.0, v100
	s_delay_alu instid0(VALU_DEP_1) | instskip(NEXT) | instid1(VALU_DEP_1)
	v_dual_add_f32 v102, v28, v102 :: v_dual_sub_f32 v99, v99, v112
	v_add_f32_e32 v112, v103, v102
	s_delay_alu instid0(VALU_DEP_2) | instskip(NEXT) | instid1(VALU_DEP_2)
	v_add_f32_e32 v28, v28, v99
	v_rcp_f32_e32 v99, v112
	v_sub_f32_e32 v103, v103, v112
	s_delay_alu instid0(VALU_DEP_1) | instskip(SKIP_2) | instid1(VALU_DEP_1)
	v_dual_add_f32 v113, v100, v28 :: v_dual_add_f32 v102, v102, v103
	s_waitcnt_depctr 0xfff
	v_mul_f32_e32 v114, v113, v99
	v_mul_f32_e32 v115, v112, v114
	s_delay_alu instid0(VALU_DEP_1) | instskip(NEXT) | instid1(VALU_DEP_1)
	v_fma_f32 v103, v114, v112, -v115
	v_dual_fmac_f32 v103, v114, v102 :: v_dual_sub_f32 v100, v100, v113
	s_delay_alu instid0(VALU_DEP_1) | instskip(NEXT) | instid1(VALU_DEP_2)
	v_add_f32_e32 v116, v115, v103
	v_add_f32_e32 v28, v28, v100
	s_delay_alu instid0(VALU_DEP_2) | instskip(NEXT) | instid1(VALU_DEP_1)
	v_dual_sub_f32 v117, v113, v116 :: v_dual_sub_f32 v100, v116, v115
	v_dual_sub_f32 v113, v113, v117 :: v_dual_sub_f32 v100, v100, v103
	s_delay_alu instid0(VALU_DEP_1) | instskip(NEXT) | instid1(VALU_DEP_1)
	v_sub_f32_e32 v113, v113, v116
	v_add_f32_e32 v28, v28, v113
	s_delay_alu instid0(VALU_DEP_1) | instskip(NEXT) | instid1(VALU_DEP_1)
	v_add_f32_e32 v28, v100, v28
	v_add_f32_e32 v100, v117, v28
	s_delay_alu instid0(VALU_DEP_1) | instskip(NEXT) | instid1(VALU_DEP_1)
	v_mul_f32_e32 v103, v99, v100
	v_dual_mul_f32 v113, v112, v103 :: v_dual_sub_f32 v116, v117, v100
	s_delay_alu instid0(VALU_DEP_1) | instskip(NEXT) | instid1(VALU_DEP_2)
	v_fma_f32 v112, v103, v112, -v113
	v_add_f32_e32 v28, v28, v116
	s_delay_alu instid0(VALU_DEP_2) | instskip(NEXT) | instid1(VALU_DEP_1)
	v_fmac_f32_e32 v112, v103, v102
	v_add_f32_e32 v102, v113, v112
	s_delay_alu instid0(VALU_DEP_1) | instskip(NEXT) | instid1(VALU_DEP_1)
	v_sub_f32_e32 v115, v100, v102
	v_dual_sub_f32 v113, v102, v113 :: v_dual_sub_f32 v100, v100, v115
	s_delay_alu instid0(VALU_DEP_1) | instskip(NEXT) | instid1(VALU_DEP_2)
	v_sub_f32_e32 v100, v100, v102
	v_sub_f32_e32 v102, v113, v112
	s_delay_alu instid0(VALU_DEP_2) | instskip(SKIP_1) | instid1(VALU_DEP_2)
	v_add_f32_e32 v28, v28, v100
	v_add_f32_e32 v100, v114, v103
	v_add_f32_e32 v28, v102, v28
	s_delay_alu instid0(VALU_DEP_2) | instskip(NEXT) | instid1(VALU_DEP_2)
	v_sub_f32_e32 v102, v100, v114
	v_add_f32_e32 v28, v115, v28
	s_delay_alu instid0(VALU_DEP_2) | instskip(NEXT) | instid1(VALU_DEP_2)
	v_sub_f32_e32 v102, v103, v102
	v_mul_f32_e32 v28, v99, v28
	s_delay_alu instid0(VALU_DEP_1) | instskip(NEXT) | instid1(VALU_DEP_1)
	v_add_f32_e32 v28, v102, v28
	v_add_f32_e32 v99, v100, v28
	s_delay_alu instid0(VALU_DEP_1) | instskip(NEXT) | instid1(VALU_DEP_1)
	v_mul_f32_e32 v102, v99, v99
	v_fmaak_f32 v103, s24, v102, 0x3ecc95a3
	v_mul_f32_e32 v112, v99, v102
	v_cmp_gt_f32_e64 s24, 0x33800000, |v29|
	s_delay_alu instid0(VALU_DEP_3) | instskip(SKIP_2) | instid1(VALU_DEP_4)
	v_fmaak_f32 v102, v102, v103, 0x3f2aaada
	v_ldexp_f32 v103, v99, 1
	v_sub_f32_e32 v99, v99, v100
	s_or_b32 vcc_lo, vcc_lo, s24
	s_delay_alu instid0(VALU_DEP_3) | instskip(SKIP_1) | instid1(VALU_DEP_3)
	v_mul_f32_e32 v102, v112, v102
	v_mul_f32_e32 v112, 0x3f317218, v27
	v_sub_f32_e32 v28, v28, v99
	s_delay_alu instid0(VALU_DEP_3) | instskip(NEXT) | instid1(VALU_DEP_2)
	v_add_f32_e32 v100, v103, v102
	v_ldexp_f32 v28, v28, 1
	s_delay_alu instid0(VALU_DEP_2) | instskip(SKIP_1) | instid1(VALU_DEP_2)
	v_sub_f32_e32 v99, v100, v103
	v_fma_f32 v103, 0x3f317218, v27, -v112
	v_sub_f32_e32 v99, v102, v99
	s_delay_alu instid0(VALU_DEP_1) | instskip(NEXT) | instid1(VALU_DEP_1)
	v_dual_fmamk_f32 v27, v27, 0xb102e308, v103 :: v_dual_add_f32 v28, v28, v99
	v_add_f32_e32 v99, v112, v27
	s_delay_alu instid0(VALU_DEP_2) | instskip(NEXT) | instid1(VALU_DEP_2)
	v_add_f32_e32 v102, v100, v28
	v_sub_f32_e32 v112, v99, v112
	s_delay_alu instid0(VALU_DEP_2) | instskip(NEXT) | instid1(VALU_DEP_2)
	v_dual_add_f32 v103, v99, v102 :: v_dual_sub_f32 v100, v102, v100
	v_sub_f32_e32 v27, v27, v112
	s_delay_alu instid0(VALU_DEP_2) | instskip(NEXT) | instid1(VALU_DEP_1)
	v_dual_sub_f32 v113, v103, v99 :: v_dual_sub_f32 v28, v28, v100
	v_sub_f32_e32 v114, v103, v113
	v_sub_f32_e32 v100, v102, v113
	s_delay_alu instid0(VALU_DEP_3) | instskip(NEXT) | instid1(VALU_DEP_3)
	v_add_f32_e32 v102, v27, v28
	v_sub_f32_e32 v99, v99, v114
	s_delay_alu instid0(VALU_DEP_1) | instskip(NEXT) | instid1(VALU_DEP_3)
	v_add_f32_e32 v99, v100, v99
	v_sub_f32_e32 v100, v102, v27
	s_delay_alu instid0(VALU_DEP_2) | instskip(NEXT) | instid1(VALU_DEP_2)
	v_add_f32_e32 v99, v102, v99
	v_sub_f32_e32 v102, v102, v100
	v_sub_f32_e32 v28, v28, v100
	s_delay_alu instid0(VALU_DEP_3) | instskip(NEXT) | instid1(VALU_DEP_1)
	v_add_f32_e32 v112, v103, v99
	v_dual_sub_f32 v27, v27, v102 :: v_dual_sub_f32 v100, v112, v103
	s_delay_alu instid0(VALU_DEP_1) | instskip(NEXT) | instid1(VALU_DEP_1)
	v_dual_add_f32 v27, v28, v27 :: v_dual_sub_f32 v28, v99, v100
	v_add_f32_e32 v27, v27, v28
	s_delay_alu instid0(VALU_DEP_1) | instskip(NEXT) | instid1(VALU_DEP_1)
	v_add_f32_e32 v27, v112, v27
	v_cndmask_b32_e32 v27, v27, v29, vcc_lo
	s_delay_alu instid0(VALU_DEP_1) | instskip(NEXT) | instid1(VALU_DEP_1)
	v_add_f32_e32 v26, v26, v27
	v_cvt_f16_f32_e32 v100, v26
	s_delay_alu instid0(VALU_DEP_1)
	v_cvt_f32_f16_e32 v27, v100
.LBB362_187:
	s_or_b32 exec_lo, exec_lo, s23
	s_delay_alu instid0(VALU_DEP_1)
	v_dual_mov_b32 v99, v27 :: v_dual_mov_b32 v26, v100
.LBB362_188:
	s_or_b32 exec_lo, exec_lo, s12
	s_waitcnt lgkmcnt(0)
	v_cvt_f32_f16_e32 v100, v101
	v_cmp_u_f16_e32 vcc_lo, v101, v101
	v_max_f32_e32 v27, v99, v99
	s_delay_alu instid0(VALU_DEP_1) | instskip(NEXT) | instid1(VALU_DEP_1)
	v_min_f32_e32 v28, v100, v27
	v_cndmask_b32_e32 v28, v28, v100, vcc_lo
	v_max_f32_e32 v27, v100, v27
	s_delay_alu instid0(VALU_DEP_1) | instskip(SKIP_1) | instid1(VALU_DEP_4)
	v_cndmask_b32_e32 v29, v27, v100, vcc_lo
	v_cmp_u_f16_e32 vcc_lo, v26, v26
	v_cndmask_b32_e32 v27, v28, v99, vcc_lo
	s_delay_alu instid0(VALU_DEP_3) | instskip(NEXT) | instid1(VALU_DEP_2)
	v_cndmask_b32_e32 v26, v29, v99, vcc_lo
	v_cmp_class_f32_e64 s12, v27, 0x1f8
	s_delay_alu instid0(VALU_DEP_2) | instskip(NEXT) | instid1(VALU_DEP_2)
	v_cmp_neq_f32_e32 vcc_lo, v27, v26
	s_or_b32 s23, vcc_lo, s12
	s_delay_alu instid0(SALU_CYCLE_1)
	s_and_saveexec_b32 s12, s23
	s_cbranch_execz .LBB362_190
; %bb.189:
	v_sub_f32_e32 v27, v27, v26
	s_mov_b32 s23, 0x3e9b6dac
	s_delay_alu instid0(VALU_DEP_1) | instskip(NEXT) | instid1(VALU_DEP_1)
	v_mul_f32_e32 v28, 0x3fb8aa3b, v27
	v_fma_f32 v29, 0x3fb8aa3b, v27, -v28
	v_rndne_f32_e32 v99, v28
	s_delay_alu instid0(VALU_DEP_1) | instskip(SKIP_1) | instid1(VALU_DEP_4)
	v_sub_f32_e32 v28, v28, v99
	v_cmp_ngt_f32_e32 vcc_lo, 0xc2ce8ed0, v27
	v_fmamk_f32 v29, v27, 0x32a5705f, v29
	s_delay_alu instid0(VALU_DEP_1) | instskip(SKIP_1) | instid1(VALU_DEP_2)
	v_add_f32_e32 v28, v28, v29
	v_cvt_i32_f32_e32 v29, v99
	v_exp_f32_e32 v28, v28
	s_waitcnt_depctr 0xfff
	v_ldexp_f32 v28, v28, v29
	s_delay_alu instid0(VALU_DEP_1) | instskip(SKIP_1) | instid1(VALU_DEP_2)
	v_cndmask_b32_e32 v28, 0, v28, vcc_lo
	v_cmp_nlt_f32_e32 vcc_lo, 0x42b17218, v27
	v_cndmask_b32_e32 v29, 0x7f800000, v28, vcc_lo
	s_delay_alu instid0(VALU_DEP_1) | instskip(NEXT) | instid1(VALU_DEP_1)
	v_add_f32_e32 v99, 1.0, v29
	v_cvt_f64_f32_e32 v[27:28], v99
	s_delay_alu instid0(VALU_DEP_1) | instskip(SKIP_1) | instid1(VALU_DEP_1)
	v_frexp_exp_i32_f64_e32 v27, v[27:28]
	v_frexp_mant_f32_e32 v28, v99
	v_cmp_gt_f32_e32 vcc_lo, 0x3f2aaaab, v28
	v_add_f32_e32 v28, -1.0, v99
	s_delay_alu instid0(VALU_DEP_1) | instskip(SKIP_2) | instid1(VALU_DEP_2)
	v_dual_sub_f32 v101, v28, v99 :: v_dual_sub_f32 v28, v29, v28
	v_subrev_co_ci_u32_e32 v27, vcc_lo, 0, v27, vcc_lo
	v_cmp_eq_f32_e32 vcc_lo, 0x7f800000, v29
	v_sub_nc_u32_e32 v100, 0, v27
	v_cvt_f32_i32_e32 v27, v27
	s_delay_alu instid0(VALU_DEP_2) | instskip(NEXT) | instid1(VALU_DEP_1)
	v_ldexp_f32 v99, v99, v100
	v_dual_add_f32 v101, 1.0, v101 :: v_dual_add_f32 v102, 1.0, v99
	s_delay_alu instid0(VALU_DEP_1) | instskip(NEXT) | instid1(VALU_DEP_1)
	v_dual_add_f32 v28, v28, v101 :: v_dual_add_f32 v101, -1.0, v102
	v_ldexp_f32 v28, v28, v100
	s_delay_alu instid0(VALU_DEP_2) | instskip(NEXT) | instid1(VALU_DEP_1)
	v_dual_add_f32 v100, -1.0, v99 :: v_dual_sub_f32 v101, v99, v101
	v_add_f32_e32 v103, 1.0, v100
	s_delay_alu instid0(VALU_DEP_2) | instskip(NEXT) | instid1(VALU_DEP_2)
	v_add_f32_e32 v101, v28, v101
	v_sub_f32_e32 v99, v99, v103
	s_delay_alu instid0(VALU_DEP_1) | instskip(NEXT) | instid1(VALU_DEP_1)
	v_dual_add_f32 v103, v102, v101 :: v_dual_add_f32 v28, v28, v99
	v_rcp_f32_e32 v99, v103
	v_sub_f32_e32 v102, v102, v103
	s_delay_alu instid0(VALU_DEP_1) | instskip(NEXT) | instid1(VALU_DEP_1)
	v_dual_add_f32 v112, v100, v28 :: v_dual_add_f32 v101, v101, v102
	v_sub_f32_e32 v100, v100, v112
	s_waitcnt_depctr 0xfff
	v_mul_f32_e32 v113, v112, v99
	v_add_f32_e32 v28, v28, v100
	s_delay_alu instid0(VALU_DEP_2) | instskip(NEXT) | instid1(VALU_DEP_1)
	v_mul_f32_e32 v114, v103, v113
	v_fma_f32 v102, v113, v103, -v114
	s_delay_alu instid0(VALU_DEP_1) | instskip(NEXT) | instid1(VALU_DEP_1)
	v_fmac_f32_e32 v102, v113, v101
	v_add_f32_e32 v115, v114, v102
	s_delay_alu instid0(VALU_DEP_1) | instskip(SKIP_1) | instid1(VALU_DEP_2)
	v_sub_f32_e32 v116, v112, v115
	v_sub_f32_e32 v100, v115, v114
	;; [unrolled: 1-line block ×3, first 2 shown]
	s_delay_alu instid0(VALU_DEP_2) | instskip(NEXT) | instid1(VALU_DEP_2)
	v_sub_f32_e32 v100, v100, v102
	v_sub_f32_e32 v112, v112, v115
	s_delay_alu instid0(VALU_DEP_1) | instskip(NEXT) | instid1(VALU_DEP_1)
	v_add_f32_e32 v28, v28, v112
	v_add_f32_e32 v28, v100, v28
	s_delay_alu instid0(VALU_DEP_1) | instskip(NEXT) | instid1(VALU_DEP_1)
	v_add_f32_e32 v100, v116, v28
	v_mul_f32_e32 v102, v99, v100
	s_delay_alu instid0(VALU_DEP_1) | instskip(NEXT) | instid1(VALU_DEP_1)
	v_mul_f32_e32 v112, v103, v102
	v_fma_f32 v103, v102, v103, -v112
	s_delay_alu instid0(VALU_DEP_1) | instskip(SKIP_1) | instid1(VALU_DEP_2)
	v_fmac_f32_e32 v103, v102, v101
	v_sub_f32_e32 v115, v116, v100
	v_add_f32_e32 v101, v112, v103
	s_delay_alu instid0(VALU_DEP_2) | instskip(NEXT) | instid1(VALU_DEP_2)
	v_add_f32_e32 v28, v28, v115
	v_sub_f32_e32 v114, v100, v101
	v_sub_f32_e32 v112, v101, v112
	s_delay_alu instid0(VALU_DEP_2) | instskip(NEXT) | instid1(VALU_DEP_1)
	v_sub_f32_e32 v100, v100, v114
	v_sub_f32_e32 v100, v100, v101
	s_delay_alu instid0(VALU_DEP_3) | instskip(NEXT) | instid1(VALU_DEP_2)
	v_sub_f32_e32 v101, v112, v103
	v_add_f32_e32 v28, v28, v100
	v_add_f32_e32 v100, v113, v102
	s_delay_alu instid0(VALU_DEP_1) | instskip(NEXT) | instid1(VALU_DEP_1)
	v_dual_add_f32 v28, v101, v28 :: v_dual_sub_f32 v101, v100, v113
	v_add_f32_e32 v28, v114, v28
	s_delay_alu instid0(VALU_DEP_1) | instskip(NEXT) | instid1(VALU_DEP_1)
	v_dual_sub_f32 v101, v102, v101 :: v_dual_mul_f32 v28, v99, v28
	v_add_f32_e32 v28, v101, v28
	s_delay_alu instid0(VALU_DEP_1) | instskip(NEXT) | instid1(VALU_DEP_1)
	v_add_f32_e32 v99, v100, v28
	v_mul_f32_e32 v101, v99, v99
	s_delay_alu instid0(VALU_DEP_1) | instskip(SKIP_2) | instid1(VALU_DEP_3)
	v_fmaak_f32 v102, s23, v101, 0x3ecc95a3
	v_mul_f32_e32 v103, v99, v101
	v_cmp_gt_f32_e64 s23, 0x33800000, |v29|
	v_fmaak_f32 v101, v101, v102, 0x3f2aaada
	v_ldexp_f32 v102, v99, 1
	v_sub_f32_e32 v99, v99, v100
	s_delay_alu instid0(VALU_DEP_4) | instskip(NEXT) | instid1(VALU_DEP_3)
	s_or_b32 vcc_lo, vcc_lo, s23
	v_mul_f32_e32 v101, v103, v101
	v_mul_f32_e32 v103, 0x3f317218, v27
	s_delay_alu instid0(VALU_DEP_3) | instskip(NEXT) | instid1(VALU_DEP_3)
	v_sub_f32_e32 v28, v28, v99
	v_add_f32_e32 v100, v102, v101
	s_delay_alu instid0(VALU_DEP_2) | instskip(NEXT) | instid1(VALU_DEP_2)
	v_ldexp_f32 v28, v28, 1
	v_sub_f32_e32 v99, v100, v102
	v_fma_f32 v102, 0x3f317218, v27, -v103
	s_delay_alu instid0(VALU_DEP_2) | instskip(NEXT) | instid1(VALU_DEP_1)
	v_sub_f32_e32 v99, v101, v99
	v_dual_fmamk_f32 v27, v27, 0xb102e308, v102 :: v_dual_add_f32 v28, v28, v99
	s_delay_alu instid0(VALU_DEP_1) | instskip(NEXT) | instid1(VALU_DEP_2)
	v_add_f32_e32 v99, v103, v27
	v_add_f32_e32 v101, v100, v28
	s_delay_alu instid0(VALU_DEP_2) | instskip(NEXT) | instid1(VALU_DEP_2)
	v_sub_f32_e32 v103, v99, v103
	v_add_f32_e32 v102, v99, v101
	s_delay_alu instid0(VALU_DEP_2) | instskip(NEXT) | instid1(VALU_DEP_2)
	v_sub_f32_e32 v27, v27, v103
	v_sub_f32_e32 v112, v102, v99
	;; [unrolled: 1-line block ×3, first 2 shown]
	s_delay_alu instid0(VALU_DEP_2) | instskip(NEXT) | instid1(VALU_DEP_2)
	v_sub_f32_e32 v113, v102, v112
	v_sub_f32_e32 v28, v28, v100
	s_delay_alu instid0(VALU_DEP_2) | instskip(NEXT) | instid1(VALU_DEP_2)
	v_dual_sub_f32 v100, v101, v112 :: v_dual_sub_f32 v99, v99, v113
	v_add_f32_e32 v101, v27, v28
	s_delay_alu instid0(VALU_DEP_2) | instskip(NEXT) | instid1(VALU_DEP_2)
	v_add_f32_e32 v99, v100, v99
	v_sub_f32_e32 v100, v101, v27
	s_delay_alu instid0(VALU_DEP_2) | instskip(NEXT) | instid1(VALU_DEP_2)
	v_add_f32_e32 v99, v101, v99
	v_sub_f32_e32 v101, v101, v100
	s_delay_alu instid0(VALU_DEP_2) | instskip(NEXT) | instid1(VALU_DEP_2)
	v_dual_sub_f32 v28, v28, v100 :: v_dual_add_f32 v103, v102, v99
	v_sub_f32_e32 v27, v27, v101
	s_delay_alu instid0(VALU_DEP_1) | instskip(NEXT) | instid1(VALU_DEP_1)
	v_dual_sub_f32 v100, v103, v102 :: v_dual_add_f32 v27, v28, v27
	v_sub_f32_e32 v28, v99, v100
	s_delay_alu instid0(VALU_DEP_1) | instskip(NEXT) | instid1(VALU_DEP_1)
	v_add_f32_e32 v27, v27, v28
	v_add_f32_e32 v27, v103, v27
	s_delay_alu instid0(VALU_DEP_1) | instskip(NEXT) | instid1(VALU_DEP_1)
	v_cndmask_b32_e32 v27, v27, v29, vcc_lo
	v_add_f32_e32 v26, v26, v27
	s_delay_alu instid0(VALU_DEP_1) | instskip(NEXT) | instid1(VALU_DEP_1)
	v_cvt_f16_f32_e32 v101, v26
	v_cvt_f32_f16_e32 v100, v101
.LBB362_190:
	s_or_b32 exec_lo, exec_lo, s12
	s_delay_alu instid0(VALU_DEP_1) | instskip(SKIP_1) | instid1(VALU_DEP_2)
	v_dual_max_f32 v26, v34, v34 :: v_dual_max_f32 v27, v100, v100
	v_cmp_u_f16_e32 vcc_lo, v101, v101
	v_dual_mov_b32 v99, v101 :: v_dual_min_f32 v28, v27, v26
	s_delay_alu instid0(VALU_DEP_1) | instskip(NEXT) | instid1(VALU_DEP_1)
	v_dual_max_f32 v26, v27, v26 :: v_dual_cndmask_b32 v27, v28, v100
	v_cndmask_b32_e32 v26, v26, v100, vcc_lo
	s_delay_alu instid0(VALU_DEP_2) | instskip(NEXT) | instid1(VALU_DEP_2)
	v_cndmask_b32_e64 v28, v27, v34, s1
	v_cndmask_b32_e64 v27, v26, v34, s1
	v_mov_b32_e32 v26, v101
	s_delay_alu instid0(VALU_DEP_3) | instskip(NEXT) | instid1(VALU_DEP_3)
	v_cmp_class_f32_e64 s1, v28, 0x1f8
	v_cmp_neq_f32_e32 vcc_lo, v28, v27
	s_delay_alu instid0(VALU_DEP_2) | instskip(NEXT) | instid1(SALU_CYCLE_1)
	s_or_b32 s12, vcc_lo, s1
	s_and_saveexec_b32 s1, s12
	s_cbranch_execz .LBB362_192
; %bb.191:
	v_sub_f32_e32 v26, v28, v27
	s_mov_b32 s12, 0x3e9b6dac
	s_delay_alu instid0(VALU_DEP_1) | instskip(SKIP_1) | instid1(VALU_DEP_2)
	v_mul_f32_e32 v28, 0x3fb8aa3b, v26
	v_cmp_ngt_f32_e32 vcc_lo, 0xc2ce8ed0, v26
	v_fma_f32 v29, 0x3fb8aa3b, v26, -v28
	v_rndne_f32_e32 v99, v28
	s_delay_alu instid0(VALU_DEP_1) | instskip(NEXT) | instid1(VALU_DEP_1)
	v_dual_fmamk_f32 v29, v26, 0x32a5705f, v29 :: v_dual_sub_f32 v28, v28, v99
	v_add_f32_e32 v28, v28, v29
	v_cvt_i32_f32_e32 v29, v99
	s_delay_alu instid0(VALU_DEP_2) | instskip(SKIP_2) | instid1(VALU_DEP_1)
	v_exp_f32_e32 v28, v28
	s_waitcnt_depctr 0xfff
	v_ldexp_f32 v28, v28, v29
	v_cndmask_b32_e32 v28, 0, v28, vcc_lo
	v_cmp_nlt_f32_e32 vcc_lo, 0x42b17218, v26
	s_delay_alu instid0(VALU_DEP_2) | instskip(NEXT) | instid1(VALU_DEP_1)
	v_cndmask_b32_e32 v26, 0x7f800000, v28, vcc_lo
	v_add_f32_e32 v99, 1.0, v26
	s_delay_alu instid0(VALU_DEP_1) | instskip(NEXT) | instid1(VALU_DEP_1)
	v_cvt_f64_f32_e32 v[28:29], v99
	v_frexp_exp_i32_f64_e32 v28, v[28:29]
	v_frexp_mant_f32_e32 v29, v99
	s_delay_alu instid0(VALU_DEP_1) | instskip(SKIP_1) | instid1(VALU_DEP_1)
	v_cmp_gt_f32_e32 vcc_lo, 0x3f2aaaab, v29
	v_add_f32_e32 v29, -1.0, v99
	v_sub_f32_e32 v102, v29, v99
	s_delay_alu instid0(VALU_DEP_1) | instskip(SKIP_1) | instid1(VALU_DEP_1)
	v_add_f32_e32 v102, 1.0, v102
	v_subrev_co_ci_u32_e32 v28, vcc_lo, 0, v28, vcc_lo
	v_sub_nc_u32_e32 v100, 0, v28
	v_cvt_f32_i32_e32 v28, v28
	s_delay_alu instid0(VALU_DEP_2) | instskip(NEXT) | instid1(VALU_DEP_1)
	v_ldexp_f32 v99, v99, v100
	v_add_f32_e32 v103, 1.0, v99
	v_sub_f32_e32 v29, v26, v29
	v_cmp_eq_f32_e32 vcc_lo, 0x7f800000, v26
	s_delay_alu instid0(VALU_DEP_2) | instskip(NEXT) | instid1(VALU_DEP_1)
	v_add_f32_e32 v29, v29, v102
	v_ldexp_f32 v29, v29, v100
	v_add_f32_e32 v100, -1.0, v99
	v_add_f32_e32 v102, -1.0, v103
	s_delay_alu instid0(VALU_DEP_2) | instskip(NEXT) | instid1(VALU_DEP_2)
	v_add_f32_e32 v112, 1.0, v100
	v_sub_f32_e32 v102, v99, v102
	s_delay_alu instid0(VALU_DEP_1) | instskip(NEXT) | instid1(VALU_DEP_1)
	v_dual_sub_f32 v99, v99, v112 :: v_dual_add_f32 v102, v29, v102
	v_dual_add_f32 v29, v29, v99 :: v_dual_add_f32 v112, v103, v102
	s_delay_alu instid0(VALU_DEP_1) | instskip(SKIP_1) | instid1(VALU_DEP_1)
	v_rcp_f32_e32 v99, v112
	v_sub_f32_e32 v103, v103, v112
	v_dual_add_f32 v113, v100, v29 :: v_dual_add_f32 v102, v102, v103
	s_delay_alu instid0(VALU_DEP_1) | instskip(SKIP_3) | instid1(VALU_DEP_2)
	v_sub_f32_e32 v100, v100, v113
	s_waitcnt_depctr 0xfff
	v_mul_f32_e32 v114, v113, v99
	v_add_f32_e32 v29, v29, v100
	v_mul_f32_e32 v115, v112, v114
	s_delay_alu instid0(VALU_DEP_1) | instskip(NEXT) | instid1(VALU_DEP_1)
	v_fma_f32 v103, v114, v112, -v115
	v_fmac_f32_e32 v103, v114, v102
	s_delay_alu instid0(VALU_DEP_1) | instskip(NEXT) | instid1(VALU_DEP_1)
	v_add_f32_e32 v116, v115, v103
	v_sub_f32_e32 v117, v113, v116
	s_delay_alu instid0(VALU_DEP_1) | instskip(NEXT) | instid1(VALU_DEP_1)
	v_sub_f32_e32 v113, v113, v117
	v_dual_sub_f32 v113, v113, v116 :: v_dual_sub_f32 v100, v116, v115
	s_delay_alu instid0(VALU_DEP_1) | instskip(NEXT) | instid1(VALU_DEP_1)
	v_dual_add_f32 v29, v29, v113 :: v_dual_sub_f32 v100, v100, v103
	v_add_f32_e32 v29, v100, v29
	s_delay_alu instid0(VALU_DEP_1) | instskip(NEXT) | instid1(VALU_DEP_1)
	v_add_f32_e32 v100, v117, v29
	v_mul_f32_e32 v103, v99, v100
	s_delay_alu instid0(VALU_DEP_1) | instskip(NEXT) | instid1(VALU_DEP_1)
	v_dual_mul_f32 v113, v112, v103 :: v_dual_sub_f32 v116, v117, v100
	v_fma_f32 v112, v103, v112, -v113
	s_delay_alu instid0(VALU_DEP_1) | instskip(NEXT) | instid1(VALU_DEP_1)
	v_dual_add_f32 v29, v29, v116 :: v_dual_fmac_f32 v112, v103, v102
	v_add_f32_e32 v102, v113, v112
	s_delay_alu instid0(VALU_DEP_1) | instskip(NEXT) | instid1(VALU_DEP_1)
	v_sub_f32_e32 v115, v100, v102
	v_dual_sub_f32 v113, v102, v113 :: v_dual_sub_f32 v100, v100, v115
	s_delay_alu instid0(VALU_DEP_1) | instskip(NEXT) | instid1(VALU_DEP_1)
	v_sub_f32_e32 v100, v100, v102
	v_dual_add_f32 v29, v29, v100 :: v_dual_add_f32 v100, v114, v103
	s_delay_alu instid0(VALU_DEP_3) | instskip(NEXT) | instid1(VALU_DEP_1)
	v_sub_f32_e32 v102, v113, v112
	v_dual_add_f32 v29, v102, v29 :: v_dual_sub_f32 v102, v100, v114
	s_delay_alu instid0(VALU_DEP_1) | instskip(NEXT) | instid1(VALU_DEP_2)
	v_add_f32_e32 v29, v115, v29
	v_sub_f32_e32 v102, v103, v102
	s_delay_alu instid0(VALU_DEP_2) | instskip(NEXT) | instid1(VALU_DEP_1)
	v_mul_f32_e32 v29, v99, v29
	v_add_f32_e32 v29, v102, v29
	s_delay_alu instid0(VALU_DEP_1) | instskip(NEXT) | instid1(VALU_DEP_1)
	v_add_f32_e32 v99, v100, v29
	v_mul_f32_e32 v102, v99, v99
	s_delay_alu instid0(VALU_DEP_1) | instskip(SKIP_2) | instid1(VALU_DEP_3)
	v_fmaak_f32 v103, s12, v102, 0x3ecc95a3
	v_mul_f32_e32 v112, v99, v102
	v_cmp_gt_f32_e64 s12, 0x33800000, |v26|
	v_fmaak_f32 v102, v102, v103, 0x3f2aaada
	v_ldexp_f32 v103, v99, 1
	v_sub_f32_e32 v99, v99, v100
	s_delay_alu instid0(VALU_DEP_4) | instskip(NEXT) | instid1(VALU_DEP_1)
	s_or_b32 vcc_lo, vcc_lo, s12
	v_sub_f32_e32 v29, v29, v99
	s_delay_alu instid0(VALU_DEP_1) | instskip(SKIP_1) | instid1(VALU_DEP_1)
	v_ldexp_f32 v29, v29, 1
	v_mul_f32_e32 v102, v112, v102
	v_add_f32_e32 v100, v103, v102
	s_delay_alu instid0(VALU_DEP_1) | instskip(NEXT) | instid1(VALU_DEP_1)
	v_sub_f32_e32 v99, v100, v103
	v_sub_f32_e32 v99, v102, v99
	s_delay_alu instid0(VALU_DEP_1) | instskip(NEXT) | instid1(VALU_DEP_1)
	v_add_f32_e32 v29, v29, v99
	v_add_f32_e32 v102, v100, v29
	v_mul_f32_e32 v112, 0x3f317218, v28
	s_delay_alu instid0(VALU_DEP_1) | instskip(NEXT) | instid1(VALU_DEP_1)
	v_fma_f32 v103, 0x3f317218, v28, -v112
	v_fmamk_f32 v28, v28, 0xb102e308, v103
	s_delay_alu instid0(VALU_DEP_1) | instskip(NEXT) | instid1(VALU_DEP_1)
	v_add_f32_e32 v99, v112, v28
	v_add_f32_e32 v103, v99, v102
	s_delay_alu instid0(VALU_DEP_1) | instskip(NEXT) | instid1(VALU_DEP_1)
	v_sub_f32_e32 v113, v103, v99
	v_sub_f32_e32 v114, v103, v113
	v_sub_f32_e32 v100, v102, v100
	s_delay_alu instid0(VALU_DEP_1) | instskip(SKIP_1) | instid1(VALU_DEP_4)
	v_dual_sub_f32 v29, v29, v100 :: v_dual_sub_f32 v100, v102, v113
	v_sub_f32_e32 v112, v99, v112
	v_sub_f32_e32 v99, v99, v114
	s_delay_alu instid0(VALU_DEP_1) | instskip(NEXT) | instid1(VALU_DEP_3)
	v_add_f32_e32 v99, v100, v99
	v_sub_f32_e32 v28, v28, v112
	s_delay_alu instid0(VALU_DEP_1) | instskip(NEXT) | instid1(VALU_DEP_1)
	v_add_f32_e32 v102, v28, v29
	v_add_f32_e32 v99, v102, v99
	v_sub_f32_e32 v100, v102, v28
	s_delay_alu instid0(VALU_DEP_1) | instskip(SKIP_1) | instid1(VALU_DEP_2)
	v_dual_add_f32 v112, v103, v99 :: v_dual_sub_f32 v29, v29, v100
	v_sub_f32_e32 v102, v102, v100
	v_sub_f32_e32 v100, v112, v103
	s_delay_alu instid0(VALU_DEP_2) | instskip(NEXT) | instid1(VALU_DEP_1)
	v_sub_f32_e32 v28, v28, v102
	v_add_f32_e32 v28, v29, v28
	s_delay_alu instid0(VALU_DEP_3) | instskip(NEXT) | instid1(VALU_DEP_1)
	v_sub_f32_e32 v29, v99, v100
	v_add_f32_e32 v28, v28, v29
	s_delay_alu instid0(VALU_DEP_1) | instskip(NEXT) | instid1(VALU_DEP_1)
	v_add_f32_e32 v28, v112, v28
	v_cndmask_b32_e32 v26, v28, v26, vcc_lo
	s_delay_alu instid0(VALU_DEP_1) | instskip(NEXT) | instid1(VALU_DEP_1)
	v_add_f32_e32 v26, v27, v26
	v_cvt_f16_f32_e32 v99, v26
	s_delay_alu instid0(VALU_DEP_1)
	v_cvt_f32_f16_e32 v100, v99
	v_mov_b32_e32 v26, v99
.LBB362_192:
	s_or_b32 exec_lo, exec_lo, s1
	s_delay_alu instid0(VALU_DEP_2) | instskip(SKIP_1) | instid1(VALU_DEP_2)
	v_dual_max_f32 v27, v55, v55 :: v_dual_max_f32 v28, v100, v100
	v_cmp_u_f16_e32 vcc_lo, v99, v99
	v_min_f32_e32 v29, v28, v27
	s_delay_alu instid0(VALU_DEP_1) | instskip(NEXT) | instid1(VALU_DEP_1)
	v_dual_max_f32 v27, v28, v27 :: v_dual_cndmask_b32 v28, v29, v100
	v_cndmask_b32_e32 v27, v27, v100, vcc_lo
	s_delay_alu instid0(VALU_DEP_2) | instskip(NEXT) | instid1(VALU_DEP_2)
	v_cndmask_b32_e64 v29, v28, v55, s2
	v_cndmask_b32_e64 v28, v27, v55, s2
	v_mov_b32_e32 v27, v26
	s_delay_alu instid0(VALU_DEP_3) | instskip(NEXT) | instid1(VALU_DEP_3)
	v_cmp_class_f32_e64 s1, v29, 0x1f8
	v_cmp_neq_f32_e32 vcc_lo, v29, v28
	s_delay_alu instid0(VALU_DEP_2) | instskip(NEXT) | instid1(SALU_CYCLE_1)
	s_or_b32 s2, vcc_lo, s1
	s_and_saveexec_b32 s1, s2
	s_cbranch_execz .LBB362_194
; %bb.193:
	v_sub_f32_e32 v27, v29, v28
	s_mov_b32 s2, 0x3e9b6dac
	s_delay_alu instid0(VALU_DEP_1) | instskip(SKIP_1) | instid1(VALU_DEP_2)
	v_mul_f32_e32 v29, 0x3fb8aa3b, v27
	v_cmp_ngt_f32_e32 vcc_lo, 0xc2ce8ed0, v27
	v_fma_f32 v55, 0x3fb8aa3b, v27, -v29
	v_rndne_f32_e32 v99, v29
	s_delay_alu instid0(VALU_DEP_2) | instskip(NEXT) | instid1(VALU_DEP_2)
	v_fmamk_f32 v55, v27, 0x32a5705f, v55
	v_sub_f32_e32 v29, v29, v99
	s_delay_alu instid0(VALU_DEP_1) | instskip(SKIP_1) | instid1(VALU_DEP_2)
	v_add_f32_e32 v29, v29, v55
	v_cvt_i32_f32_e32 v55, v99
	v_exp_f32_e32 v29, v29
	s_waitcnt_depctr 0xfff
	v_ldexp_f32 v29, v29, v55
	s_delay_alu instid0(VALU_DEP_1) | instskip(SKIP_1) | instid1(VALU_DEP_2)
	v_cndmask_b32_e32 v29, 0, v29, vcc_lo
	v_cmp_nlt_f32_e32 vcc_lo, 0x42b17218, v27
	v_cndmask_b32_e32 v27, 0x7f800000, v29, vcc_lo
	s_delay_alu instid0(VALU_DEP_1) | instskip(NEXT) | instid1(VALU_DEP_1)
	v_add_f32_e32 v29, 1.0, v27
	v_cvt_f64_f32_e32 v[99:100], v29
	s_delay_alu instid0(VALU_DEP_1) | instskip(SKIP_1) | instid1(VALU_DEP_1)
	v_frexp_exp_i32_f64_e32 v55, v[99:100]
	v_frexp_mant_f32_e32 v99, v29
	v_cmp_gt_f32_e32 vcc_lo, 0x3f2aaaab, v99
	v_add_f32_e32 v99, -1.0, v29
	s_delay_alu instid0(VALU_DEP_1) | instskip(NEXT) | instid1(VALU_DEP_1)
	v_sub_f32_e32 v102, v99, v29
	v_add_f32_e32 v102, 1.0, v102
	v_subrev_co_ci_u32_e32 v55, vcc_lo, 0, v55, vcc_lo
	s_delay_alu instid0(VALU_DEP_1) | instskip(SKIP_1) | instid1(VALU_DEP_2)
	v_sub_nc_u32_e32 v100, 0, v55
	v_cvt_f32_i32_e32 v55, v55
	v_ldexp_f32 v29, v29, v100
	v_sub_f32_e32 v99, v27, v99
	s_delay_alu instid0(VALU_DEP_2) | instskip(NEXT) | instid1(VALU_DEP_1)
	v_add_f32_e32 v103, 1.0, v29
	v_dual_add_f32 v99, v99, v102 :: v_dual_add_f32 v102, -1.0, v103
	s_delay_alu instid0(VALU_DEP_1) | instskip(SKIP_1) | instid1(VALU_DEP_3)
	v_ldexp_f32 v99, v99, v100
	v_add_f32_e32 v100, -1.0, v29
	v_sub_f32_e32 v102, v29, v102
	v_cmp_eq_f32_e32 vcc_lo, 0x7f800000, v27
	s_delay_alu instid0(VALU_DEP_3) | instskip(NEXT) | instid1(VALU_DEP_1)
	v_add_f32_e32 v112, 1.0, v100
	v_dual_add_f32 v102, v99, v102 :: v_dual_sub_f32 v29, v29, v112
	s_delay_alu instid0(VALU_DEP_1) | instskip(NEXT) | instid1(VALU_DEP_2)
	v_add_f32_e32 v112, v103, v102
	v_add_f32_e32 v29, v99, v29
	s_delay_alu instid0(VALU_DEP_2) | instskip(NEXT) | instid1(VALU_DEP_1)
	v_rcp_f32_e32 v99, v112
	v_add_f32_e32 v113, v100, v29
	s_delay_alu instid0(VALU_DEP_1) | instskip(SKIP_3) | instid1(VALU_DEP_2)
	v_sub_f32_e32 v100, v100, v113
	s_waitcnt_depctr 0xfff
	v_dual_mul_f32 v114, v113, v99 :: v_dual_sub_f32 v103, v103, v112
	v_add_f32_e32 v29, v29, v100
	v_dual_mul_f32 v115, v112, v114 :: v_dual_add_f32 v102, v102, v103
	s_delay_alu instid0(VALU_DEP_1) | instskip(NEXT) | instid1(VALU_DEP_1)
	v_fma_f32 v103, v114, v112, -v115
	v_fmac_f32_e32 v103, v114, v102
	s_delay_alu instid0(VALU_DEP_1) | instskip(NEXT) | instid1(VALU_DEP_1)
	v_add_f32_e32 v116, v115, v103
	v_dual_sub_f32 v117, v113, v116 :: v_dual_sub_f32 v100, v116, v115
	s_delay_alu instid0(VALU_DEP_1) | instskip(NEXT) | instid1(VALU_DEP_1)
	v_dual_sub_f32 v113, v113, v117 :: v_dual_sub_f32 v100, v100, v103
	v_sub_f32_e32 v113, v113, v116
	s_delay_alu instid0(VALU_DEP_1) | instskip(NEXT) | instid1(VALU_DEP_1)
	v_add_f32_e32 v29, v29, v113
	v_add_f32_e32 v29, v100, v29
	s_delay_alu instid0(VALU_DEP_1) | instskip(NEXT) | instid1(VALU_DEP_1)
	v_add_f32_e32 v100, v117, v29
	v_mul_f32_e32 v103, v99, v100
	s_delay_alu instid0(VALU_DEP_1) | instskip(NEXT) | instid1(VALU_DEP_1)
	v_dual_sub_f32 v116, v117, v100 :: v_dual_mul_f32 v113, v112, v103
	v_fma_f32 v112, v103, v112, -v113
	s_delay_alu instid0(VALU_DEP_1) | instskip(NEXT) | instid1(VALU_DEP_1)
	v_fmac_f32_e32 v112, v103, v102
	v_add_f32_e32 v102, v113, v112
	s_delay_alu instid0(VALU_DEP_1) | instskip(NEXT) | instid1(VALU_DEP_1)
	v_sub_f32_e32 v115, v100, v102
	v_dual_sub_f32 v113, v102, v113 :: v_dual_sub_f32 v100, v100, v115
	s_delay_alu instid0(VALU_DEP_1) | instskip(NEXT) | instid1(VALU_DEP_2)
	v_sub_f32_e32 v100, v100, v102
	v_sub_f32_e32 v102, v113, v112
	v_add_f32_e32 v29, v29, v116
	s_delay_alu instid0(VALU_DEP_1) | instskip(NEXT) | instid1(VALU_DEP_1)
	v_dual_add_f32 v29, v29, v100 :: v_dual_add_f32 v100, v114, v103
	v_dual_add_f32 v29, v102, v29 :: v_dual_sub_f32 v102, v100, v114
	s_delay_alu instid0(VALU_DEP_1) | instskip(NEXT) | instid1(VALU_DEP_2)
	v_add_f32_e32 v29, v115, v29
	v_sub_f32_e32 v102, v103, v102
	s_delay_alu instid0(VALU_DEP_2) | instskip(NEXT) | instid1(VALU_DEP_1)
	v_mul_f32_e32 v29, v99, v29
	v_add_f32_e32 v29, v102, v29
	s_delay_alu instid0(VALU_DEP_1) | instskip(NEXT) | instid1(VALU_DEP_1)
	v_add_f32_e32 v99, v100, v29
	v_mul_f32_e32 v102, v99, v99
	s_delay_alu instid0(VALU_DEP_1) | instskip(SKIP_2) | instid1(VALU_DEP_3)
	v_fmaak_f32 v103, s2, v102, 0x3ecc95a3
	v_mul_f32_e32 v112, v99, v102
	v_cmp_gt_f32_e64 s2, 0x33800000, |v27|
	v_fmaak_f32 v102, v102, v103, 0x3f2aaada
	v_ldexp_f32 v103, v99, 1
	v_sub_f32_e32 v99, v99, v100
	s_delay_alu instid0(VALU_DEP_4) | instskip(NEXT) | instid1(VALU_DEP_3)
	s_or_b32 vcc_lo, vcc_lo, s2
	v_mul_f32_e32 v102, v112, v102
	v_mul_f32_e32 v112, 0x3f317218, v55
	s_delay_alu instid0(VALU_DEP_2) | instskip(NEXT) | instid1(VALU_DEP_1)
	v_dual_sub_f32 v29, v29, v99 :: v_dual_add_f32 v100, v103, v102
	v_ldexp_f32 v29, v29, 1
	s_delay_alu instid0(VALU_DEP_2) | instskip(NEXT) | instid1(VALU_DEP_4)
	v_sub_f32_e32 v99, v100, v103
	v_fma_f32 v103, 0x3f317218, v55, -v112
	s_delay_alu instid0(VALU_DEP_2) | instskip(NEXT) | instid1(VALU_DEP_2)
	v_sub_f32_e32 v99, v102, v99
	v_fmamk_f32 v55, v55, 0xb102e308, v103
	s_delay_alu instid0(VALU_DEP_2) | instskip(NEXT) | instid1(VALU_DEP_2)
	v_add_f32_e32 v29, v29, v99
	v_add_f32_e32 v99, v112, v55
	s_delay_alu instid0(VALU_DEP_2) | instskip(NEXT) | instid1(VALU_DEP_2)
	v_add_f32_e32 v102, v100, v29
	v_sub_f32_e32 v112, v99, v112
	s_delay_alu instid0(VALU_DEP_2) | instskip(NEXT) | instid1(VALU_DEP_2)
	v_dual_add_f32 v103, v99, v102 :: v_dual_sub_f32 v100, v102, v100
	v_sub_f32_e32 v55, v55, v112
	s_delay_alu instid0(VALU_DEP_2) | instskip(NEXT) | instid1(VALU_DEP_1)
	v_sub_f32_e32 v113, v103, v99
	v_dual_sub_f32 v29, v29, v100 :: v_dual_sub_f32 v114, v103, v113
	v_sub_f32_e32 v100, v102, v113
	s_delay_alu instid0(VALU_DEP_2) | instskip(NEXT) | instid1(VALU_DEP_3)
	v_add_f32_e32 v102, v55, v29
	v_sub_f32_e32 v99, v99, v114
	s_delay_alu instid0(VALU_DEP_1) | instskip(NEXT) | instid1(VALU_DEP_3)
	v_add_f32_e32 v99, v100, v99
	v_sub_f32_e32 v100, v102, v55
	s_delay_alu instid0(VALU_DEP_2) | instskip(NEXT) | instid1(VALU_DEP_2)
	v_add_f32_e32 v99, v102, v99
	v_sub_f32_e32 v102, v102, v100
	s_delay_alu instid0(VALU_DEP_2) | instskip(NEXT) | instid1(VALU_DEP_1)
	v_dual_sub_f32 v29, v29, v100 :: v_dual_add_f32 v112, v103, v99
	v_dual_sub_f32 v55, v55, v102 :: v_dual_sub_f32 v100, v112, v103
	s_delay_alu instid0(VALU_DEP_1) | instskip(NEXT) | instid1(VALU_DEP_2)
	v_add_f32_e32 v29, v29, v55
	v_sub_f32_e32 v55, v99, v100
	s_delay_alu instid0(VALU_DEP_1) | instskip(NEXT) | instid1(VALU_DEP_1)
	v_add_f32_e32 v29, v29, v55
	v_add_f32_e32 v29, v112, v29
	s_delay_alu instid0(VALU_DEP_1) | instskip(NEXT) | instid1(VALU_DEP_1)
	v_cndmask_b32_e32 v27, v29, v27, vcc_lo
	v_add_f32_e32 v27, v28, v27
	s_delay_alu instid0(VALU_DEP_1) | instskip(NEXT) | instid1(VALU_DEP_1)
	v_cvt_f16_f32_e32 v99, v27
	v_cvt_f32_f16_e32 v100, v99
	v_mov_b32_e32 v27, v99
.LBB362_194:
	s_or_b32 exec_lo, exec_lo, s1
	v_max_f32_e32 v28, v64, v64
	s_delay_alu instid0(VALU_DEP_3) | instskip(SKIP_1) | instid1(VALU_DEP_2)
	v_max_f32_e32 v29, v100, v100
	v_cmp_u_f16_e32 vcc_lo, v99, v99
	v_min_f32_e32 v55, v29, v28
	v_max_f32_e32 v28, v29, v28
	s_delay_alu instid0(VALU_DEP_2) | instskip(NEXT) | instid1(VALU_DEP_2)
	v_cndmask_b32_e32 v29, v55, v100, vcc_lo
	v_cndmask_b32_e32 v28, v28, v100, vcc_lo
	s_delay_alu instid0(VALU_DEP_2) | instskip(NEXT) | instid1(VALU_DEP_2)
	v_cndmask_b32_e64 v55, v29, v64, s3
	v_cndmask_b32_e64 v29, v28, v64, s3
	v_mov_b32_e32 v28, v27
	s_delay_alu instid0(VALU_DEP_3) | instskip(NEXT) | instid1(VALU_DEP_3)
	v_cmp_class_f32_e64 s1, v55, 0x1f8
	v_cmp_neq_f32_e32 vcc_lo, v55, v29
	s_delay_alu instid0(VALU_DEP_2) | instskip(NEXT) | instid1(SALU_CYCLE_1)
	s_or_b32 s2, vcc_lo, s1
	s_and_saveexec_b32 s1, s2
	s_cbranch_execz .LBB362_196
; %bb.195:
	v_sub_f32_e32 v28, v55, v29
	s_mov_b32 s2, 0x3e9b6dac
	s_delay_alu instid0(VALU_DEP_1) | instskip(SKIP_1) | instid1(VALU_DEP_2)
	v_mul_f32_e32 v55, 0x3fb8aa3b, v28
	v_cmp_ngt_f32_e32 vcc_lo, 0xc2ce8ed0, v28
	v_fma_f32 v64, 0x3fb8aa3b, v28, -v55
	v_rndne_f32_e32 v99, v55
	s_delay_alu instid0(VALU_DEP_1) | instskip(NEXT) | instid1(VALU_DEP_1)
	v_dual_fmamk_f32 v64, v28, 0x32a5705f, v64 :: v_dual_sub_f32 v55, v55, v99
	v_add_f32_e32 v55, v55, v64
	v_cvt_i32_f32_e32 v64, v99
	s_delay_alu instid0(VALU_DEP_2) | instskip(SKIP_2) | instid1(VALU_DEP_1)
	v_exp_f32_e32 v55, v55
	s_waitcnt_depctr 0xfff
	v_ldexp_f32 v55, v55, v64
	v_cndmask_b32_e32 v55, 0, v55, vcc_lo
	v_cmp_nlt_f32_e32 vcc_lo, 0x42b17218, v28
	s_delay_alu instid0(VALU_DEP_2) | instskip(NEXT) | instid1(VALU_DEP_1)
	v_cndmask_b32_e32 v28, 0x7f800000, v55, vcc_lo
	v_add_f32_e32 v55, 1.0, v28
	s_delay_alu instid0(VALU_DEP_1) | instskip(NEXT) | instid1(VALU_DEP_1)
	v_cvt_f64_f32_e32 v[99:100], v55
	v_frexp_exp_i32_f64_e32 v64, v[99:100]
	v_frexp_mant_f32_e32 v99, v55
	s_delay_alu instid0(VALU_DEP_1) | instskip(SKIP_1) | instid1(VALU_DEP_1)
	v_cmp_gt_f32_e32 vcc_lo, 0x3f2aaaab, v99
	v_add_f32_e32 v99, -1.0, v55
	v_sub_f32_e32 v102, v99, v55
	s_delay_alu instid0(VALU_DEP_1) | instskip(NEXT) | instid1(VALU_DEP_1)
	v_dual_sub_f32 v99, v28, v99 :: v_dual_add_f32 v102, 1.0, v102
	v_add_f32_e32 v99, v99, v102
	v_subrev_co_ci_u32_e32 v64, vcc_lo, 0, v64, vcc_lo
	v_cmp_eq_f32_e32 vcc_lo, 0x7f800000, v28
	s_delay_alu instid0(VALU_DEP_2) | instskip(SKIP_1) | instid1(VALU_DEP_2)
	v_sub_nc_u32_e32 v100, 0, v64
	v_cvt_f32_i32_e32 v64, v64
	v_ldexp_f32 v55, v55, v100
	v_ldexp_f32 v99, v99, v100
	s_delay_alu instid0(VALU_DEP_2) | instskip(NEXT) | instid1(VALU_DEP_1)
	v_add_f32_e32 v100, -1.0, v55
	v_dual_add_f32 v103, 1.0, v55 :: v_dual_add_f32 v112, 1.0, v100
	s_delay_alu instid0(VALU_DEP_1) | instskip(NEXT) | instid1(VALU_DEP_1)
	v_add_f32_e32 v102, -1.0, v103
	v_sub_f32_e32 v102, v55, v102
	s_delay_alu instid0(VALU_DEP_3) | instskip(NEXT) | instid1(VALU_DEP_2)
	v_sub_f32_e32 v55, v55, v112
	v_add_f32_e32 v102, v99, v102
	s_delay_alu instid0(VALU_DEP_2) | instskip(NEXT) | instid1(VALU_DEP_1)
	v_add_f32_e32 v55, v99, v55
	v_add_f32_e32 v113, v100, v55
	s_delay_alu instid0(VALU_DEP_1) | instskip(NEXT) | instid1(VALU_DEP_4)
	v_sub_f32_e32 v100, v100, v113
	v_add_f32_e32 v112, v103, v102
	s_delay_alu instid0(VALU_DEP_1) | instskip(SKIP_1) | instid1(VALU_DEP_1)
	v_rcp_f32_e32 v99, v112
	v_sub_f32_e32 v103, v103, v112
	v_add_f32_e32 v102, v102, v103
	s_waitcnt_depctr 0xfff
	v_mul_f32_e32 v114, v113, v99
	s_delay_alu instid0(VALU_DEP_1) | instskip(NEXT) | instid1(VALU_DEP_1)
	v_mul_f32_e32 v115, v112, v114
	v_fma_f32 v103, v114, v112, -v115
	s_delay_alu instid0(VALU_DEP_1) | instskip(SKIP_1) | instid1(VALU_DEP_2)
	v_fmac_f32_e32 v103, v114, v102
	v_add_f32_e32 v55, v55, v100
	v_add_f32_e32 v116, v115, v103
	s_delay_alu instid0(VALU_DEP_1) | instskip(NEXT) | instid1(VALU_DEP_1)
	v_dual_sub_f32 v117, v113, v116 :: v_dual_sub_f32 v100, v116, v115
	v_dual_sub_f32 v113, v113, v117 :: v_dual_sub_f32 v100, v100, v103
	s_delay_alu instid0(VALU_DEP_1) | instskip(NEXT) | instid1(VALU_DEP_1)
	v_sub_f32_e32 v113, v113, v116
	v_add_f32_e32 v55, v55, v113
	s_delay_alu instid0(VALU_DEP_1) | instskip(NEXT) | instid1(VALU_DEP_1)
	v_add_f32_e32 v55, v100, v55
	v_add_f32_e32 v100, v117, v55
	s_delay_alu instid0(VALU_DEP_1) | instskip(NEXT) | instid1(VALU_DEP_1)
	v_mul_f32_e32 v103, v99, v100
	v_dual_sub_f32 v116, v117, v100 :: v_dual_mul_f32 v113, v112, v103
	s_delay_alu instid0(VALU_DEP_1) | instskip(NEXT) | instid1(VALU_DEP_1)
	v_fma_f32 v112, v103, v112, -v113
	v_fmac_f32_e32 v112, v103, v102
	s_delay_alu instid0(VALU_DEP_1) | instskip(NEXT) | instid1(VALU_DEP_1)
	v_add_f32_e32 v102, v113, v112
	v_sub_f32_e32 v115, v100, v102
	s_delay_alu instid0(VALU_DEP_1) | instskip(NEXT) | instid1(VALU_DEP_1)
	v_dual_sub_f32 v113, v102, v113 :: v_dual_sub_f32 v100, v100, v115
	v_sub_f32_e32 v100, v100, v102
	s_delay_alu instid0(VALU_DEP_2) | instskip(SKIP_1) | instid1(VALU_DEP_1)
	v_sub_f32_e32 v102, v113, v112
	v_add_f32_e32 v55, v55, v116
	v_dual_add_f32 v55, v55, v100 :: v_dual_add_f32 v100, v114, v103
	s_delay_alu instid0(VALU_DEP_1) | instskip(NEXT) | instid1(VALU_DEP_1)
	v_dual_add_f32 v55, v102, v55 :: v_dual_sub_f32 v102, v100, v114
	v_add_f32_e32 v55, v115, v55
	s_delay_alu instid0(VALU_DEP_2) | instskip(NEXT) | instid1(VALU_DEP_2)
	v_sub_f32_e32 v102, v103, v102
	v_mul_f32_e32 v55, v99, v55
	s_delay_alu instid0(VALU_DEP_1) | instskip(NEXT) | instid1(VALU_DEP_1)
	v_add_f32_e32 v55, v102, v55
	v_add_f32_e32 v99, v100, v55
	s_delay_alu instid0(VALU_DEP_1) | instskip(NEXT) | instid1(VALU_DEP_1)
	v_mul_f32_e32 v102, v99, v99
	v_fmaak_f32 v103, s2, v102, 0x3ecc95a3
	v_mul_f32_e32 v112, v99, v102
	v_cmp_gt_f32_e64 s2, 0x33800000, |v28|
	s_delay_alu instid0(VALU_DEP_3) | instskip(SKIP_2) | instid1(VALU_DEP_4)
	v_fmaak_f32 v102, v102, v103, 0x3f2aaada
	v_ldexp_f32 v103, v99, 1
	v_sub_f32_e32 v99, v99, v100
	s_or_b32 vcc_lo, vcc_lo, s2
	s_delay_alu instid0(VALU_DEP_3) | instskip(SKIP_1) | instid1(VALU_DEP_2)
	v_mul_f32_e32 v102, v112, v102
	v_mul_f32_e32 v112, 0x3f317218, v64
	v_add_f32_e32 v100, v103, v102
	v_sub_f32_e32 v55, v55, v99
	s_delay_alu instid0(VALU_DEP_2) | instskip(NEXT) | instid1(VALU_DEP_4)
	v_sub_f32_e32 v99, v100, v103
	v_fma_f32 v103, 0x3f317218, v64, -v112
	s_delay_alu instid0(VALU_DEP_1) | instskip(NEXT) | instid1(VALU_DEP_4)
	v_fmamk_f32 v64, v64, 0xb102e308, v103
	v_ldexp_f32 v55, v55, 1
	s_delay_alu instid0(VALU_DEP_4) | instskip(NEXT) | instid1(VALU_DEP_1)
	v_sub_f32_e32 v99, v102, v99
	v_add_f32_e32 v55, v55, v99
	s_delay_alu instid0(VALU_DEP_4) | instskip(NEXT) | instid1(VALU_DEP_2)
	v_add_f32_e32 v99, v112, v64
	v_add_f32_e32 v102, v100, v55
	s_delay_alu instid0(VALU_DEP_2) | instskip(NEXT) | instid1(VALU_DEP_2)
	v_sub_f32_e32 v112, v99, v112
	v_sub_f32_e32 v100, v102, v100
	s_delay_alu instid0(VALU_DEP_2) | instskip(NEXT) | instid1(VALU_DEP_2)
	v_sub_f32_e32 v64, v64, v112
	v_sub_f32_e32 v55, v55, v100
	v_add_f32_e32 v103, v99, v102
	s_delay_alu instid0(VALU_DEP_1) | instskip(NEXT) | instid1(VALU_DEP_1)
	v_sub_f32_e32 v113, v103, v99
	v_sub_f32_e32 v100, v102, v113
	s_delay_alu instid0(VALU_DEP_4) | instskip(SKIP_1) | instid1(VALU_DEP_1)
	v_add_f32_e32 v102, v64, v55
	v_sub_f32_e32 v114, v103, v113
	v_sub_f32_e32 v99, v99, v114
	s_delay_alu instid0(VALU_DEP_1) | instskip(NEXT) | instid1(VALU_DEP_1)
	v_dual_add_f32 v99, v100, v99 :: v_dual_sub_f32 v100, v102, v64
	v_add_f32_e32 v99, v102, v99
	s_delay_alu instid0(VALU_DEP_2) | instskip(NEXT) | instid1(VALU_DEP_2)
	v_sub_f32_e32 v102, v102, v100
	v_add_f32_e32 v112, v103, v99
	s_delay_alu instid0(VALU_DEP_2) | instskip(NEXT) | instid1(VALU_DEP_1)
	v_dual_sub_f32 v64, v64, v102 :: v_dual_sub_f32 v55, v55, v100
	v_dual_sub_f32 v100, v112, v103 :: v_dual_add_f32 v55, v55, v64
	s_delay_alu instid0(VALU_DEP_1) | instskip(NEXT) | instid1(VALU_DEP_1)
	v_sub_f32_e32 v64, v99, v100
	v_add_f32_e32 v55, v55, v64
	s_delay_alu instid0(VALU_DEP_1) | instskip(NEXT) | instid1(VALU_DEP_1)
	v_add_f32_e32 v55, v112, v55
	v_cndmask_b32_e32 v28, v55, v28, vcc_lo
	s_delay_alu instid0(VALU_DEP_1) | instskip(NEXT) | instid1(VALU_DEP_1)
	v_add_f32_e32 v28, v29, v28
	v_cvt_f16_f32_e32 v99, v28
	s_delay_alu instid0(VALU_DEP_1)
	v_cvt_f32_f16_e32 v100, v99
	v_mov_b32_e32 v28, v99
.LBB362_196:
	s_or_b32 exec_lo, exec_lo, s1
	v_max_f32_e32 v29, v65, v65
	s_delay_alu instid0(VALU_DEP_3) | instskip(SKIP_1) | instid1(VALU_DEP_2)
	v_max_f32_e32 v55, v100, v100
	v_cmp_u_f16_e32 vcc_lo, v99, v99
	v_min_f32_e32 v64, v55, v29
	v_max_f32_e32 v29, v55, v29
	s_delay_alu instid0(VALU_DEP_1) | instskip(NEXT) | instid1(VALU_DEP_3)
	v_cndmask_b32_e32 v29, v29, v100, vcc_lo
	v_cndmask_b32_e32 v55, v64, v100, vcc_lo
	s_delay_alu instid0(VALU_DEP_1) | instskip(NEXT) | instid1(VALU_DEP_3)
	v_cndmask_b32_e64 v64, v55, v65, s4
	v_cndmask_b32_e64 v55, v29, v65, s4
	v_mov_b32_e32 v29, v28
	s_delay_alu instid0(VALU_DEP_3) | instskip(NEXT) | instid1(VALU_DEP_3)
	v_cmp_class_f32_e64 s1, v64, 0x1f8
	v_cmp_neq_f32_e32 vcc_lo, v64, v55
	s_delay_alu instid0(VALU_DEP_2) | instskip(NEXT) | instid1(SALU_CYCLE_1)
	s_or_b32 s2, vcc_lo, s1
	s_and_saveexec_b32 s1, s2
	s_cbranch_execz .LBB362_198
; %bb.197:
	v_sub_f32_e32 v29, v64, v55
	s_mov_b32 s2, 0x3e9b6dac
	s_delay_alu instid0(VALU_DEP_1) | instskip(SKIP_1) | instid1(VALU_DEP_2)
	v_mul_f32_e32 v64, 0x3fb8aa3b, v29
	v_cmp_ngt_f32_e32 vcc_lo, 0xc2ce8ed0, v29
	v_fma_f32 v65, 0x3fb8aa3b, v29, -v64
	v_rndne_f32_e32 v99, v64
	s_delay_alu instid0(VALU_DEP_1) | instskip(NEXT) | instid1(VALU_DEP_1)
	v_dual_fmamk_f32 v65, v29, 0x32a5705f, v65 :: v_dual_sub_f32 v64, v64, v99
	v_add_f32_e32 v64, v64, v65
	v_cvt_i32_f32_e32 v65, v99
	s_delay_alu instid0(VALU_DEP_2) | instskip(SKIP_2) | instid1(VALU_DEP_1)
	v_exp_f32_e32 v64, v64
	s_waitcnt_depctr 0xfff
	v_ldexp_f32 v64, v64, v65
	v_cndmask_b32_e32 v64, 0, v64, vcc_lo
	v_cmp_nlt_f32_e32 vcc_lo, 0x42b17218, v29
	s_delay_alu instid0(VALU_DEP_2) | instskip(NEXT) | instid1(VALU_DEP_1)
	v_cndmask_b32_e32 v29, 0x7f800000, v64, vcc_lo
	v_add_f32_e32 v99, 1.0, v29
	s_delay_alu instid0(VALU_DEP_1) | instskip(NEXT) | instid1(VALU_DEP_1)
	v_cvt_f64_f32_e32 v[64:65], v99
	v_frexp_exp_i32_f64_e32 v64, v[64:65]
	v_frexp_mant_f32_e32 v65, v99
	s_delay_alu instid0(VALU_DEP_1) | instskip(SKIP_1) | instid1(VALU_DEP_1)
	v_cmp_gt_f32_e32 vcc_lo, 0x3f2aaaab, v65
	v_add_f32_e32 v65, -1.0, v99
	v_sub_f32_e32 v102, v65, v99
	s_delay_alu instid0(VALU_DEP_1) | instskip(SKIP_2) | instid1(VALU_DEP_2)
	v_add_f32_e32 v102, 1.0, v102
	v_subrev_co_ci_u32_e32 v64, vcc_lo, 0, v64, vcc_lo
	v_cmp_eq_f32_e32 vcc_lo, 0x7f800000, v29
	v_sub_nc_u32_e32 v100, 0, v64
	v_cvt_f32_i32_e32 v64, v64
	s_delay_alu instid0(VALU_DEP_2) | instskip(NEXT) | instid1(VALU_DEP_1)
	v_ldexp_f32 v99, v99, v100
	v_add_f32_e32 v103, 1.0, v99
	v_sub_f32_e32 v65, v29, v65
	s_delay_alu instid0(VALU_DEP_1) | instskip(NEXT) | instid1(VALU_DEP_1)
	v_dual_add_f32 v65, v65, v102 :: v_dual_add_f32 v102, -1.0, v103
	v_ldexp_f32 v65, v65, v100
	v_add_f32_e32 v100, -1.0, v99
	s_delay_alu instid0(VALU_DEP_3) | instskip(NEXT) | instid1(VALU_DEP_2)
	v_sub_f32_e32 v102, v99, v102
	v_add_f32_e32 v112, 1.0, v100
	s_delay_alu instid0(VALU_DEP_1) | instskip(NEXT) | instid1(VALU_DEP_1)
	v_dual_add_f32 v102, v65, v102 :: v_dual_sub_f32 v99, v99, v112
	v_add_f32_e32 v65, v65, v99
	s_delay_alu instid0(VALU_DEP_1) | instskip(NEXT) | instid1(VALU_DEP_1)
	v_dual_add_f32 v113, v100, v65 :: v_dual_add_f32 v112, v103, v102
	v_sub_f32_e32 v100, v100, v113
	s_delay_alu instid0(VALU_DEP_2) | instskip(SKIP_1) | instid1(VALU_DEP_1)
	v_rcp_f32_e32 v99, v112
	v_sub_f32_e32 v103, v103, v112
	v_add_f32_e32 v102, v102, v103
	s_waitcnt_depctr 0xfff
	v_mul_f32_e32 v114, v113, v99
	s_delay_alu instid0(VALU_DEP_1) | instskip(NEXT) | instid1(VALU_DEP_1)
	v_mul_f32_e32 v115, v112, v114
	v_fma_f32 v103, v114, v112, -v115
	s_delay_alu instid0(VALU_DEP_1) | instskip(NEXT) | instid1(VALU_DEP_1)
	v_fmac_f32_e32 v103, v114, v102
	v_add_f32_e32 v116, v115, v103
	s_delay_alu instid0(VALU_DEP_1) | instskip(NEXT) | instid1(VALU_DEP_1)
	v_sub_f32_e32 v117, v113, v116
	v_sub_f32_e32 v113, v113, v117
	v_dual_add_f32 v65, v65, v100 :: v_dual_sub_f32 v100, v116, v115
	s_delay_alu instid0(VALU_DEP_1) | instskip(NEXT) | instid1(VALU_DEP_1)
	v_dual_sub_f32 v113, v113, v116 :: v_dual_sub_f32 v100, v100, v103
	v_add_f32_e32 v65, v65, v113
	s_delay_alu instid0(VALU_DEP_1) | instskip(NEXT) | instid1(VALU_DEP_1)
	v_add_f32_e32 v65, v100, v65
	v_add_f32_e32 v100, v117, v65
	s_delay_alu instid0(VALU_DEP_1) | instskip(NEXT) | instid1(VALU_DEP_1)
	v_mul_f32_e32 v103, v99, v100
	v_dual_mul_f32 v113, v112, v103 :: v_dual_sub_f32 v116, v117, v100
	s_delay_alu instid0(VALU_DEP_1) | instskip(NEXT) | instid1(VALU_DEP_1)
	v_fma_f32 v112, v103, v112, -v113
	v_fmac_f32_e32 v112, v103, v102
	s_delay_alu instid0(VALU_DEP_1) | instskip(NEXT) | instid1(VALU_DEP_1)
	v_add_f32_e32 v102, v113, v112
	v_sub_f32_e32 v115, v100, v102
	s_delay_alu instid0(VALU_DEP_1) | instskip(NEXT) | instid1(VALU_DEP_1)
	v_dual_sub_f32 v100, v100, v115 :: v_dual_add_f32 v65, v65, v116
	v_sub_f32_e32 v100, v100, v102
	s_delay_alu instid0(VALU_DEP_1) | instskip(SKIP_1) | instid1(VALU_DEP_1)
	v_dual_add_f32 v65, v65, v100 :: v_dual_add_f32 v100, v114, v103
	v_sub_f32_e32 v113, v102, v113
	v_sub_f32_e32 v102, v113, v112
	s_delay_alu instid0(VALU_DEP_1) | instskip(NEXT) | instid1(VALU_DEP_1)
	v_dual_add_f32 v65, v102, v65 :: v_dual_sub_f32 v102, v100, v114
	v_sub_f32_e32 v102, v103, v102
	s_delay_alu instid0(VALU_DEP_2) | instskip(NEXT) | instid1(VALU_DEP_1)
	v_add_f32_e32 v65, v115, v65
	v_mul_f32_e32 v65, v99, v65
	s_delay_alu instid0(VALU_DEP_1) | instskip(NEXT) | instid1(VALU_DEP_1)
	v_add_f32_e32 v65, v102, v65
	v_add_f32_e32 v99, v100, v65
	s_delay_alu instid0(VALU_DEP_1) | instskip(NEXT) | instid1(VALU_DEP_1)
	v_mul_f32_e32 v102, v99, v99
	v_fmaak_f32 v103, s2, v102, 0x3ecc95a3
	v_mul_f32_e32 v112, v99, v102
	v_cmp_gt_f32_e64 s2, 0x33800000, |v29|
	s_delay_alu instid0(VALU_DEP_3) | instskip(SKIP_2) | instid1(VALU_DEP_4)
	v_fmaak_f32 v102, v102, v103, 0x3f2aaada
	v_ldexp_f32 v103, v99, 1
	v_sub_f32_e32 v99, v99, v100
	s_or_b32 vcc_lo, vcc_lo, s2
	s_delay_alu instid0(VALU_DEP_1) | instskip(NEXT) | instid1(VALU_DEP_1)
	v_sub_f32_e32 v65, v65, v99
	v_ldexp_f32 v65, v65, 1
	v_mul_f32_e32 v102, v112, v102
	s_delay_alu instid0(VALU_DEP_1) | instskip(NEXT) | instid1(VALU_DEP_1)
	v_add_f32_e32 v100, v103, v102
	v_dual_mul_f32 v112, 0x3f317218, v64 :: v_dual_sub_f32 v99, v100, v103
	s_delay_alu instid0(VALU_DEP_1) | instskip(NEXT) | instid1(VALU_DEP_1)
	v_fma_f32 v103, 0x3f317218, v64, -v112
	v_dual_sub_f32 v99, v102, v99 :: v_dual_fmamk_f32 v64, v64, 0xb102e308, v103
	s_delay_alu instid0(VALU_DEP_1) | instskip(NEXT) | instid1(VALU_DEP_1)
	v_add_f32_e32 v65, v65, v99
	v_add_f32_e32 v102, v100, v65
	s_delay_alu instid0(VALU_DEP_3) | instskip(NEXT) | instid1(VALU_DEP_1)
	v_add_f32_e32 v99, v112, v64
	v_dual_sub_f32 v100, v102, v100 :: v_dual_add_f32 v103, v99, v102
	s_delay_alu instid0(VALU_DEP_1) | instskip(NEXT) | instid1(VALU_DEP_2)
	v_sub_f32_e32 v65, v65, v100
	v_sub_f32_e32 v113, v103, v99
	s_delay_alu instid0(VALU_DEP_1) | instskip(SKIP_1) | instid1(VALU_DEP_1)
	v_sub_f32_e32 v100, v102, v113
	v_sub_f32_e32 v112, v99, v112
	;; [unrolled: 1-line block ×4, first 2 shown]
	s_delay_alu instid0(VALU_DEP_1) | instskip(NEXT) | instid1(VALU_DEP_1)
	v_dual_add_f32 v102, v64, v65 :: v_dual_sub_f32 v99, v99, v114
	v_dual_add_f32 v99, v100, v99 :: v_dual_sub_f32 v100, v102, v64
	s_delay_alu instid0(VALU_DEP_1) | instskip(NEXT) | instid1(VALU_DEP_2)
	v_add_f32_e32 v99, v102, v99
	v_sub_f32_e32 v102, v102, v100
	s_delay_alu instid0(VALU_DEP_1) | instskip(NEXT) | instid1(VALU_DEP_3)
	v_sub_f32_e32 v64, v64, v102
	v_dual_add_f32 v112, v103, v99 :: v_dual_sub_f32 v65, v65, v100
	s_delay_alu instid0(VALU_DEP_1) | instskip(NEXT) | instid1(VALU_DEP_2)
	v_sub_f32_e32 v100, v112, v103
	v_add_f32_e32 v64, v65, v64
	s_delay_alu instid0(VALU_DEP_2) | instskip(NEXT) | instid1(VALU_DEP_1)
	v_sub_f32_e32 v65, v99, v100
	v_add_f32_e32 v64, v64, v65
	s_delay_alu instid0(VALU_DEP_1) | instskip(NEXT) | instid1(VALU_DEP_1)
	v_add_f32_e32 v64, v112, v64
	v_cndmask_b32_e32 v29, v64, v29, vcc_lo
	s_delay_alu instid0(VALU_DEP_1) | instskip(NEXT) | instid1(VALU_DEP_1)
	v_add_f32_e32 v29, v55, v29
	v_cvt_f16_f32_e32 v99, v29
	s_delay_alu instid0(VALU_DEP_1)
	v_mov_b32_e32 v29, v99
	v_cvt_f32_f16_e32 v100, v99
.LBB362_198:
	s_or_b32 exec_lo, exec_lo, s1
	s_delay_alu instid0(VALU_DEP_1) | instskip(SKIP_1) | instid1(VALU_DEP_2)
	v_dual_max_f32 v55, v66, v66 :: v_dual_max_f32 v64, v100, v100
	v_cmp_u_f16_e32 vcc_lo, v99, v99
	v_min_f32_e32 v65, v64, v55
	s_delay_alu instid0(VALU_DEP_1) | instskip(NEXT) | instid1(VALU_DEP_1)
	v_dual_max_f32 v55, v64, v55 :: v_dual_cndmask_b32 v64, v65, v100
	v_cndmask_b32_e32 v55, v55, v100, vcc_lo
	s_delay_alu instid0(VALU_DEP_2) | instskip(NEXT) | instid1(VALU_DEP_2)
	v_cndmask_b32_e64 v65, v64, v66, s5
	v_cndmask_b32_e64 v64, v55, v66, s5
	v_mov_b32_e32 v55, v29
	s_delay_alu instid0(VALU_DEP_3) | instskip(NEXT) | instid1(VALU_DEP_3)
	v_cmp_class_f32_e64 s1, v65, 0x1f8
	v_cmp_neq_f32_e32 vcc_lo, v65, v64
	s_delay_alu instid0(VALU_DEP_2) | instskip(NEXT) | instid1(SALU_CYCLE_1)
	s_or_b32 s2, vcc_lo, s1
	s_and_saveexec_b32 s1, s2
	s_cbranch_execz .LBB362_200
; %bb.199:
	v_sub_f32_e32 v55, v65, v64
	s_mov_b32 s2, 0x3e9b6dac
	s_delay_alu instid0(VALU_DEP_1) | instskip(SKIP_1) | instid1(VALU_DEP_2)
	v_mul_f32_e32 v65, 0x3fb8aa3b, v55
	v_cmp_ngt_f32_e32 vcc_lo, 0xc2ce8ed0, v55
	v_fma_f32 v66, 0x3fb8aa3b, v55, -v65
	v_rndne_f32_e32 v99, v65
	s_delay_alu instid0(VALU_DEP_1) | instskip(NEXT) | instid1(VALU_DEP_1)
	v_dual_fmamk_f32 v66, v55, 0x32a5705f, v66 :: v_dual_sub_f32 v65, v65, v99
	v_add_f32_e32 v65, v65, v66
	v_cvt_i32_f32_e32 v66, v99
	s_delay_alu instid0(VALU_DEP_2) | instskip(SKIP_2) | instid1(VALU_DEP_1)
	v_exp_f32_e32 v65, v65
	s_waitcnt_depctr 0xfff
	v_ldexp_f32 v65, v65, v66
	v_cndmask_b32_e32 v65, 0, v65, vcc_lo
	v_cmp_nlt_f32_e32 vcc_lo, 0x42b17218, v55
	s_delay_alu instid0(VALU_DEP_2) | instskip(NEXT) | instid1(VALU_DEP_1)
	v_cndmask_b32_e32 v55, 0x7f800000, v65, vcc_lo
	v_add_f32_e32 v99, 1.0, v55
	s_delay_alu instid0(VALU_DEP_1) | instskip(NEXT) | instid1(VALU_DEP_1)
	v_cvt_f64_f32_e32 v[65:66], v99
	v_frexp_exp_i32_f64_e32 v65, v[65:66]
	v_frexp_mant_f32_e32 v66, v99
	s_delay_alu instid0(VALU_DEP_1) | instskip(SKIP_1) | instid1(VALU_DEP_1)
	v_cmp_gt_f32_e32 vcc_lo, 0x3f2aaaab, v66
	v_add_f32_e32 v66, -1.0, v99
	v_sub_f32_e32 v102, v66, v99
	v_sub_f32_e32 v66, v55, v66
	s_delay_alu instid0(VALU_DEP_2) | instskip(NEXT) | instid1(VALU_DEP_1)
	v_add_f32_e32 v102, 1.0, v102
	v_add_f32_e32 v66, v66, v102
	v_subrev_co_ci_u32_e32 v65, vcc_lo, 0, v65, vcc_lo
	v_cmp_eq_f32_e32 vcc_lo, 0x7f800000, v55
	s_delay_alu instid0(VALU_DEP_2) | instskip(SKIP_1) | instid1(VALU_DEP_2)
	v_sub_nc_u32_e32 v100, 0, v65
	v_cvt_f32_i32_e32 v65, v65
	v_ldexp_f32 v99, v99, v100
	v_ldexp_f32 v66, v66, v100
	s_delay_alu instid0(VALU_DEP_2) | instskip(SKIP_1) | instid1(VALU_DEP_1)
	v_add_f32_e32 v103, 1.0, v99
	v_add_f32_e32 v100, -1.0, v99
	v_add_f32_e32 v112, 1.0, v100
	s_delay_alu instid0(VALU_DEP_3) | instskip(NEXT) | instid1(VALU_DEP_1)
	v_add_f32_e32 v102, -1.0, v103
	v_sub_f32_e32 v102, v99, v102
	s_delay_alu instid0(VALU_DEP_1) | instskip(NEXT) | instid1(VALU_DEP_1)
	v_dual_sub_f32 v99, v99, v112 :: v_dual_add_f32 v102, v66, v102
	v_add_f32_e32 v112, v103, v102
	s_delay_alu instid0(VALU_DEP_2) | instskip(NEXT) | instid1(VALU_DEP_2)
	v_add_f32_e32 v66, v66, v99
	v_rcp_f32_e32 v99, v112
	v_sub_f32_e32 v103, v103, v112
	s_delay_alu instid0(VALU_DEP_1) | instskip(NEXT) | instid1(VALU_DEP_1)
	v_dual_add_f32 v113, v100, v66 :: v_dual_add_f32 v102, v102, v103
	v_sub_f32_e32 v100, v100, v113
	s_waitcnt_depctr 0xfff
	v_mul_f32_e32 v114, v113, v99
	s_delay_alu instid0(VALU_DEP_1) | instskip(NEXT) | instid1(VALU_DEP_1)
	v_mul_f32_e32 v115, v112, v114
	v_fma_f32 v103, v114, v112, -v115
	s_delay_alu instid0(VALU_DEP_1) | instskip(NEXT) | instid1(VALU_DEP_1)
	v_fmac_f32_e32 v103, v114, v102
	v_add_f32_e32 v116, v115, v103
	s_delay_alu instid0(VALU_DEP_1) | instskip(NEXT) | instid1(VALU_DEP_1)
	v_sub_f32_e32 v117, v113, v116
	v_dual_sub_f32 v113, v113, v117 :: v_dual_add_f32 v66, v66, v100
	s_delay_alu instid0(VALU_DEP_1) | instskip(NEXT) | instid1(VALU_DEP_1)
	v_dual_sub_f32 v100, v116, v115 :: v_dual_sub_f32 v113, v113, v116
	v_sub_f32_e32 v100, v100, v103
	s_delay_alu instid0(VALU_DEP_2) | instskip(NEXT) | instid1(VALU_DEP_1)
	v_add_f32_e32 v66, v66, v113
	v_add_f32_e32 v66, v100, v66
	s_delay_alu instid0(VALU_DEP_1) | instskip(NEXT) | instid1(VALU_DEP_1)
	v_add_f32_e32 v100, v117, v66
	v_mul_f32_e32 v103, v99, v100
	s_delay_alu instid0(VALU_DEP_1) | instskip(NEXT) | instid1(VALU_DEP_1)
	v_dual_sub_f32 v116, v117, v100 :: v_dual_mul_f32 v113, v112, v103
	v_add_f32_e32 v66, v66, v116
	s_delay_alu instid0(VALU_DEP_2) | instskip(NEXT) | instid1(VALU_DEP_1)
	v_fma_f32 v112, v103, v112, -v113
	v_fmac_f32_e32 v112, v103, v102
	s_delay_alu instid0(VALU_DEP_1) | instskip(NEXT) | instid1(VALU_DEP_1)
	v_add_f32_e32 v102, v113, v112
	v_sub_f32_e32 v115, v100, v102
	s_delay_alu instid0(VALU_DEP_1) | instskip(NEXT) | instid1(VALU_DEP_1)
	v_dual_sub_f32 v113, v102, v113 :: v_dual_sub_f32 v100, v100, v115
	v_sub_f32_e32 v100, v100, v102
	s_delay_alu instid0(VALU_DEP_2) | instskip(NEXT) | instid1(VALU_DEP_2)
	v_sub_f32_e32 v102, v113, v112
	v_add_f32_e32 v66, v66, v100
	v_add_f32_e32 v100, v114, v103
	s_delay_alu instid0(VALU_DEP_2) | instskip(NEXT) | instid1(VALU_DEP_2)
	v_add_f32_e32 v66, v102, v66
	v_sub_f32_e32 v102, v100, v114
	s_delay_alu instid0(VALU_DEP_2) | instskip(NEXT) | instid1(VALU_DEP_2)
	v_add_f32_e32 v66, v115, v66
	v_sub_f32_e32 v102, v103, v102
	s_delay_alu instid0(VALU_DEP_2) | instskip(NEXT) | instid1(VALU_DEP_1)
	v_mul_f32_e32 v66, v99, v66
	v_add_f32_e32 v66, v102, v66
	s_delay_alu instid0(VALU_DEP_1) | instskip(NEXT) | instid1(VALU_DEP_1)
	v_add_f32_e32 v99, v100, v66
	v_mul_f32_e32 v102, v99, v99
	s_delay_alu instid0(VALU_DEP_1) | instskip(SKIP_2) | instid1(VALU_DEP_3)
	v_fmaak_f32 v103, s2, v102, 0x3ecc95a3
	v_mul_f32_e32 v112, v99, v102
	v_cmp_gt_f32_e64 s2, 0x33800000, |v55|
	v_fmaak_f32 v102, v102, v103, 0x3f2aaada
	v_ldexp_f32 v103, v99, 1
	v_sub_f32_e32 v99, v99, v100
	s_delay_alu instid0(VALU_DEP_4) | instskip(NEXT) | instid1(VALU_DEP_3)
	s_or_b32 vcc_lo, vcc_lo, s2
	v_mul_f32_e32 v102, v112, v102
	v_mul_f32_e32 v112, 0x3f317218, v65
	s_delay_alu instid0(VALU_DEP_3) | instskip(NEXT) | instid1(VALU_DEP_3)
	v_sub_f32_e32 v66, v66, v99
	v_add_f32_e32 v100, v103, v102
	s_delay_alu instid0(VALU_DEP_2) | instskip(NEXT) | instid1(VALU_DEP_2)
	v_ldexp_f32 v66, v66, 1
	v_sub_f32_e32 v99, v100, v103
	v_fma_f32 v103, 0x3f317218, v65, -v112
	s_delay_alu instid0(VALU_DEP_2) | instskip(NEXT) | instid1(VALU_DEP_1)
	v_sub_f32_e32 v99, v102, v99
	v_dual_fmamk_f32 v65, v65, 0xb102e308, v103 :: v_dual_add_f32 v66, v66, v99
	s_delay_alu instid0(VALU_DEP_1) | instskip(NEXT) | instid1(VALU_DEP_2)
	v_add_f32_e32 v99, v112, v65
	v_add_f32_e32 v102, v100, v66
	s_delay_alu instid0(VALU_DEP_2) | instskip(NEXT) | instid1(VALU_DEP_2)
	v_sub_f32_e32 v112, v99, v112
	v_dual_add_f32 v103, v99, v102 :: v_dual_sub_f32 v100, v102, v100
	s_delay_alu instid0(VALU_DEP_2) | instskip(NEXT) | instid1(VALU_DEP_2)
	v_sub_f32_e32 v65, v65, v112
	v_dual_sub_f32 v113, v103, v99 :: v_dual_sub_f32 v66, v66, v100
	s_delay_alu instid0(VALU_DEP_1) | instskip(SKIP_1) | instid1(VALU_DEP_3)
	v_sub_f32_e32 v114, v103, v113
	v_sub_f32_e32 v100, v102, v113
	v_add_f32_e32 v102, v65, v66
	s_delay_alu instid0(VALU_DEP_3) | instskip(NEXT) | instid1(VALU_DEP_1)
	v_sub_f32_e32 v99, v99, v114
	v_dual_add_f32 v99, v100, v99 :: v_dual_sub_f32 v100, v102, v65
	s_delay_alu instid0(VALU_DEP_1) | instskip(NEXT) | instid1(VALU_DEP_2)
	v_add_f32_e32 v99, v102, v99
	v_sub_f32_e32 v102, v102, v100
	v_sub_f32_e32 v66, v66, v100
	s_delay_alu instid0(VALU_DEP_2) | instskip(NEXT) | instid1(VALU_DEP_1)
	v_dual_add_f32 v112, v103, v99 :: v_dual_sub_f32 v65, v65, v102
	v_dual_sub_f32 v100, v112, v103 :: v_dual_add_f32 v65, v66, v65
	s_delay_alu instid0(VALU_DEP_1) | instskip(NEXT) | instid1(VALU_DEP_1)
	v_sub_f32_e32 v66, v99, v100
	v_add_f32_e32 v65, v65, v66
	s_delay_alu instid0(VALU_DEP_1) | instskip(NEXT) | instid1(VALU_DEP_1)
	v_add_f32_e32 v65, v112, v65
	v_cndmask_b32_e32 v55, v65, v55, vcc_lo
	s_delay_alu instid0(VALU_DEP_1) | instskip(NEXT) | instid1(VALU_DEP_1)
	v_add_f32_e32 v55, v64, v55
	v_cvt_f16_f32_e32 v99, v55
	s_delay_alu instid0(VALU_DEP_1)
	v_cvt_f32_f16_e32 v100, v99
	v_mov_b32_e32 v55, v99
.LBB362_200:
	s_or_b32 exec_lo, exec_lo, s1
	s_delay_alu instid0(VALU_DEP_2) | instskip(SKIP_1) | instid1(VALU_DEP_2)
	v_dual_max_f32 v64, v67, v67 :: v_dual_max_f32 v65, v100, v100
	v_cmp_u_f16_e32 vcc_lo, v99, v99
	v_min_f32_e32 v66, v65, v64
	v_max_f32_e32 v64, v65, v64
	s_delay_alu instid0(VALU_DEP_2) | instskip(NEXT) | instid1(VALU_DEP_2)
	v_cndmask_b32_e32 v65, v66, v100, vcc_lo
	v_cndmask_b32_e32 v64, v64, v100, vcc_lo
	s_delay_alu instid0(VALU_DEP_2) | instskip(NEXT) | instid1(VALU_DEP_2)
	v_cndmask_b32_e64 v66, v65, v67, s6
	v_cndmask_b32_e64 v65, v64, v67, s6
	v_mov_b32_e32 v64, v55
	s_delay_alu instid0(VALU_DEP_3) | instskip(NEXT) | instid1(VALU_DEP_3)
	v_cmp_class_f32_e64 s1, v66, 0x1f8
	v_cmp_neq_f32_e32 vcc_lo, v66, v65
	s_delay_alu instid0(VALU_DEP_2) | instskip(NEXT) | instid1(SALU_CYCLE_1)
	s_or_b32 s2, vcc_lo, s1
	s_and_saveexec_b32 s1, s2
	s_cbranch_execz .LBB362_202
; %bb.201:
	v_sub_f32_e32 v64, v66, v65
	s_mov_b32 s2, 0x3e9b6dac
	s_delay_alu instid0(VALU_DEP_1) | instskip(SKIP_1) | instid1(VALU_DEP_2)
	v_mul_f32_e32 v66, 0x3fb8aa3b, v64
	v_cmp_ngt_f32_e32 vcc_lo, 0xc2ce8ed0, v64
	v_fma_f32 v67, 0x3fb8aa3b, v64, -v66
	v_rndne_f32_e32 v99, v66
	s_delay_alu instid0(VALU_DEP_1) | instskip(NEXT) | instid1(VALU_DEP_1)
	v_dual_fmamk_f32 v67, v64, 0x32a5705f, v67 :: v_dual_sub_f32 v66, v66, v99
	v_add_f32_e32 v66, v66, v67
	v_cvt_i32_f32_e32 v67, v99
	s_delay_alu instid0(VALU_DEP_2) | instskip(SKIP_2) | instid1(VALU_DEP_1)
	v_exp_f32_e32 v66, v66
	s_waitcnt_depctr 0xfff
	v_ldexp_f32 v66, v66, v67
	v_cndmask_b32_e32 v66, 0, v66, vcc_lo
	v_cmp_nlt_f32_e32 vcc_lo, 0x42b17218, v64
	s_delay_alu instid0(VALU_DEP_2) | instskip(NEXT) | instid1(VALU_DEP_1)
	v_cndmask_b32_e32 v64, 0x7f800000, v66, vcc_lo
	v_add_f32_e32 v99, 1.0, v64
	s_delay_alu instid0(VALU_DEP_1) | instskip(NEXT) | instid1(VALU_DEP_1)
	v_cvt_f64_f32_e32 v[66:67], v99
	v_frexp_exp_i32_f64_e32 v66, v[66:67]
	v_frexp_mant_f32_e32 v67, v99
	s_delay_alu instid0(VALU_DEP_1) | instskip(SKIP_1) | instid1(VALU_DEP_1)
	v_cmp_gt_f32_e32 vcc_lo, 0x3f2aaaab, v67
	v_add_f32_e32 v67, -1.0, v99
	v_sub_f32_e32 v102, v67, v99
	s_delay_alu instid0(VALU_DEP_1) | instskip(SKIP_1) | instid1(VALU_DEP_1)
	v_dual_sub_f32 v67, v64, v67 :: v_dual_add_f32 v102, 1.0, v102
	v_subrev_co_ci_u32_e32 v66, vcc_lo, 0, v66, vcc_lo
	v_sub_nc_u32_e32 v100, 0, v66
	v_cvt_f32_i32_e32 v66, v66
	s_delay_alu instid0(VALU_DEP_2) | instskip(NEXT) | instid1(VALU_DEP_1)
	v_ldexp_f32 v99, v99, v100
	v_add_f32_e32 v103, 1.0, v99
	s_delay_alu instid0(VALU_DEP_1) | instskip(NEXT) | instid1(VALU_DEP_1)
	v_dual_add_f32 v67, v67, v102 :: v_dual_add_f32 v102, -1.0, v103
	v_ldexp_f32 v67, v67, v100
	v_add_f32_e32 v100, -1.0, v99
	s_delay_alu instid0(VALU_DEP_3) | instskip(NEXT) | instid1(VALU_DEP_2)
	v_sub_f32_e32 v102, v99, v102
	v_add_f32_e32 v112, 1.0, v100
	s_delay_alu instid0(VALU_DEP_2) | instskip(NEXT) | instid1(VALU_DEP_2)
	v_add_f32_e32 v102, v67, v102
	v_sub_f32_e32 v99, v99, v112
	v_cmp_eq_f32_e32 vcc_lo, 0x7f800000, v64
	s_delay_alu instid0(VALU_DEP_3) | instskip(NEXT) | instid1(VALU_DEP_3)
	v_add_f32_e32 v112, v103, v102
	v_add_f32_e32 v67, v67, v99
	s_delay_alu instid0(VALU_DEP_2) | instskip(SKIP_1) | instid1(VALU_DEP_2)
	v_rcp_f32_e32 v99, v112
	v_sub_f32_e32 v103, v103, v112
	v_add_f32_e32 v113, v100, v67
	s_delay_alu instid0(VALU_DEP_2) | instskip(NEXT) | instid1(VALU_DEP_2)
	v_add_f32_e32 v102, v102, v103
	v_sub_f32_e32 v100, v100, v113
	s_waitcnt_depctr 0xfff
	v_dual_mul_f32 v114, v113, v99 :: v_dual_add_f32 v67, v67, v100
	s_delay_alu instid0(VALU_DEP_1) | instskip(NEXT) | instid1(VALU_DEP_1)
	v_mul_f32_e32 v115, v112, v114
	v_fma_f32 v103, v114, v112, -v115
	s_delay_alu instid0(VALU_DEP_1) | instskip(NEXT) | instid1(VALU_DEP_1)
	v_fmac_f32_e32 v103, v114, v102
	v_add_f32_e32 v116, v115, v103
	s_delay_alu instid0(VALU_DEP_1) | instskip(NEXT) | instid1(VALU_DEP_1)
	v_sub_f32_e32 v117, v113, v116
	v_sub_f32_e32 v113, v113, v117
	s_delay_alu instid0(VALU_DEP_1) | instskip(NEXT) | instid1(VALU_DEP_1)
	v_dual_sub_f32 v113, v113, v116 :: v_dual_sub_f32 v100, v116, v115
	v_dual_add_f32 v67, v67, v113 :: v_dual_sub_f32 v100, v100, v103
	s_delay_alu instid0(VALU_DEP_1) | instskip(NEXT) | instid1(VALU_DEP_1)
	v_add_f32_e32 v67, v100, v67
	v_add_f32_e32 v100, v117, v67
	s_delay_alu instid0(VALU_DEP_1) | instskip(NEXT) | instid1(VALU_DEP_1)
	v_mul_f32_e32 v103, v99, v100
	v_dual_sub_f32 v116, v117, v100 :: v_dual_mul_f32 v113, v112, v103
	s_delay_alu instid0(VALU_DEP_1) | instskip(NEXT) | instid1(VALU_DEP_1)
	v_fma_f32 v112, v103, v112, -v113
	v_fmac_f32_e32 v112, v103, v102
	s_delay_alu instid0(VALU_DEP_3) | instskip(NEXT) | instid1(VALU_DEP_2)
	v_add_f32_e32 v67, v67, v116
	v_add_f32_e32 v102, v113, v112
	s_delay_alu instid0(VALU_DEP_1) | instskip(NEXT) | instid1(VALU_DEP_1)
	v_sub_f32_e32 v115, v100, v102
	v_dual_sub_f32 v113, v102, v113 :: v_dual_sub_f32 v100, v100, v115
	s_delay_alu instid0(VALU_DEP_1) | instskip(NEXT) | instid1(VALU_DEP_2)
	v_sub_f32_e32 v100, v100, v102
	v_sub_f32_e32 v102, v113, v112
	s_delay_alu instid0(VALU_DEP_2) | instskip(NEXT) | instid1(VALU_DEP_1)
	v_dual_add_f32 v67, v67, v100 :: v_dual_add_f32 v100, v114, v103
	v_dual_add_f32 v67, v102, v67 :: v_dual_sub_f32 v102, v100, v114
	s_delay_alu instid0(VALU_DEP_1) | instskip(NEXT) | instid1(VALU_DEP_2)
	v_add_f32_e32 v67, v115, v67
	v_sub_f32_e32 v102, v103, v102
	s_delay_alu instid0(VALU_DEP_2) | instskip(NEXT) | instid1(VALU_DEP_1)
	v_mul_f32_e32 v67, v99, v67
	v_add_f32_e32 v67, v102, v67
	s_delay_alu instid0(VALU_DEP_1) | instskip(NEXT) | instid1(VALU_DEP_1)
	v_add_f32_e32 v99, v100, v67
	v_mul_f32_e32 v102, v99, v99
	s_delay_alu instid0(VALU_DEP_1) | instskip(SKIP_2) | instid1(VALU_DEP_3)
	v_fmaak_f32 v103, s2, v102, 0x3ecc95a3
	v_mul_f32_e32 v112, v99, v102
	v_cmp_gt_f32_e64 s2, 0x33800000, |v64|
	v_fmaak_f32 v102, v102, v103, 0x3f2aaada
	v_ldexp_f32 v103, v99, 1
	v_sub_f32_e32 v99, v99, v100
	s_delay_alu instid0(VALU_DEP_4) | instskip(NEXT) | instid1(VALU_DEP_1)
	s_or_b32 vcc_lo, vcc_lo, s2
	v_dual_mul_f32 v102, v112, v102 :: v_dual_sub_f32 v67, v67, v99
	s_delay_alu instid0(VALU_DEP_1) | instskip(SKIP_1) | instid1(VALU_DEP_3)
	v_add_f32_e32 v100, v103, v102
	v_mul_f32_e32 v112, 0x3f317218, v66
	v_ldexp_f32 v67, v67, 1
	s_delay_alu instid0(VALU_DEP_3) | instskip(NEXT) | instid1(VALU_DEP_3)
	v_sub_f32_e32 v99, v100, v103
	v_fma_f32 v103, 0x3f317218, v66, -v112
	s_delay_alu instid0(VALU_DEP_2) | instskip(NEXT) | instid1(VALU_DEP_1)
	v_sub_f32_e32 v99, v102, v99
	v_dual_fmamk_f32 v66, v66, 0xb102e308, v103 :: v_dual_add_f32 v67, v67, v99
	s_delay_alu instid0(VALU_DEP_1) | instskip(NEXT) | instid1(VALU_DEP_2)
	v_add_f32_e32 v99, v112, v66
	v_add_f32_e32 v102, v100, v67
	s_delay_alu instid0(VALU_DEP_2) | instskip(NEXT) | instid1(VALU_DEP_1)
	v_sub_f32_e32 v112, v99, v112
	v_dual_add_f32 v103, v99, v102 :: v_dual_sub_f32 v66, v66, v112
	s_delay_alu instid0(VALU_DEP_1) | instskip(NEXT) | instid1(VALU_DEP_1)
	v_sub_f32_e32 v113, v103, v99
	v_sub_f32_e32 v114, v103, v113
	s_delay_alu instid0(VALU_DEP_1) | instskip(NEXT) | instid1(VALU_DEP_1)
	v_dual_sub_f32 v99, v99, v114 :: v_dual_sub_f32 v100, v102, v100
	v_dual_sub_f32 v67, v67, v100 :: v_dual_sub_f32 v100, v102, v113
	s_delay_alu instid0(VALU_DEP_1) | instskip(NEXT) | instid1(VALU_DEP_1)
	v_add_f32_e32 v102, v66, v67
	v_dual_add_f32 v99, v100, v99 :: v_dual_sub_f32 v100, v102, v66
	s_delay_alu instid0(VALU_DEP_1) | instskip(NEXT) | instid1(VALU_DEP_2)
	v_sub_f32_e32 v67, v67, v100
	v_add_f32_e32 v99, v102, v99
	v_sub_f32_e32 v102, v102, v100
	s_delay_alu instid0(VALU_DEP_2) | instskip(NEXT) | instid1(VALU_DEP_1)
	v_add_f32_e32 v112, v103, v99
	v_sub_f32_e32 v100, v112, v103
	s_delay_alu instid0(VALU_DEP_3) | instskip(NEXT) | instid1(VALU_DEP_1)
	v_sub_f32_e32 v66, v66, v102
	v_add_f32_e32 v66, v67, v66
	s_delay_alu instid0(VALU_DEP_3) | instskip(NEXT) | instid1(VALU_DEP_1)
	v_sub_f32_e32 v67, v99, v100
	v_add_f32_e32 v66, v66, v67
	s_delay_alu instid0(VALU_DEP_1) | instskip(NEXT) | instid1(VALU_DEP_1)
	v_add_f32_e32 v66, v112, v66
	v_cndmask_b32_e32 v64, v66, v64, vcc_lo
	s_delay_alu instid0(VALU_DEP_1) | instskip(NEXT) | instid1(VALU_DEP_1)
	v_add_f32_e32 v64, v65, v64
	v_cvt_f16_f32_e32 v99, v64
	s_delay_alu instid0(VALU_DEP_1)
	v_cvt_f32_f16_e32 v100, v99
	v_mov_b32_e32 v64, v99
.LBB362_202:
	s_or_b32 exec_lo, exec_lo, s1
	v_max_f32_e32 v65, v68, v68
	s_delay_alu instid0(VALU_DEP_3) | instskip(SKIP_1) | instid1(VALU_DEP_2)
	v_max_f32_e32 v66, v100, v100
	v_cmp_u_f16_e32 vcc_lo, v99, v99
	v_min_f32_e32 v67, v66, v65
	s_delay_alu instid0(VALU_DEP_1) | instskip(NEXT) | instid1(VALU_DEP_1)
	v_dual_max_f32 v65, v66, v65 :: v_dual_cndmask_b32 v66, v67, v100
	v_cndmask_b32_e32 v65, v65, v100, vcc_lo
	s_delay_alu instid0(VALU_DEP_2) | instskip(NEXT) | instid1(VALU_DEP_2)
	v_cndmask_b32_e64 v67, v66, v68, s7
	v_cndmask_b32_e64 v66, v65, v68, s7
	v_mov_b32_e32 v65, v64
	s_delay_alu instid0(VALU_DEP_3) | instskip(NEXT) | instid1(VALU_DEP_3)
	v_cmp_class_f32_e64 s1, v67, 0x1f8
	v_cmp_neq_f32_e32 vcc_lo, v67, v66
	s_delay_alu instid0(VALU_DEP_2) | instskip(NEXT) | instid1(SALU_CYCLE_1)
	s_or_b32 s2, vcc_lo, s1
	s_and_saveexec_b32 s1, s2
	s_cbranch_execz .LBB362_204
; %bb.203:
	v_sub_f32_e32 v65, v67, v66
	s_mov_b32 s2, 0x3e9b6dac
	s_delay_alu instid0(VALU_DEP_1) | instskip(SKIP_1) | instid1(VALU_DEP_2)
	v_mul_f32_e32 v67, 0x3fb8aa3b, v65
	v_cmp_ngt_f32_e32 vcc_lo, 0xc2ce8ed0, v65
	v_fma_f32 v68, 0x3fb8aa3b, v65, -v67
	v_rndne_f32_e32 v99, v67
	s_delay_alu instid0(VALU_DEP_1) | instskip(NEXT) | instid1(VALU_DEP_1)
	v_dual_fmamk_f32 v68, v65, 0x32a5705f, v68 :: v_dual_sub_f32 v67, v67, v99
	v_add_f32_e32 v67, v67, v68
	v_cvt_i32_f32_e32 v68, v99
	s_delay_alu instid0(VALU_DEP_2) | instskip(SKIP_2) | instid1(VALU_DEP_1)
	v_exp_f32_e32 v67, v67
	s_waitcnt_depctr 0xfff
	v_ldexp_f32 v67, v67, v68
	v_cndmask_b32_e32 v67, 0, v67, vcc_lo
	v_cmp_nlt_f32_e32 vcc_lo, 0x42b17218, v65
	s_delay_alu instid0(VALU_DEP_2) | instskip(NEXT) | instid1(VALU_DEP_1)
	v_cndmask_b32_e32 v65, 0x7f800000, v67, vcc_lo
	v_add_f32_e32 v99, 1.0, v65
	s_delay_alu instid0(VALU_DEP_1) | instskip(NEXT) | instid1(VALU_DEP_1)
	v_cvt_f64_f32_e32 v[67:68], v99
	v_frexp_exp_i32_f64_e32 v67, v[67:68]
	v_frexp_mant_f32_e32 v68, v99
	s_delay_alu instid0(VALU_DEP_1) | instskip(SKIP_1) | instid1(VALU_DEP_1)
	v_cmp_gt_f32_e32 vcc_lo, 0x3f2aaaab, v68
	v_add_f32_e32 v68, -1.0, v99
	v_sub_f32_e32 v102, v68, v99
	v_sub_f32_e32 v68, v65, v68
	s_delay_alu instid0(VALU_DEP_2) | instskip(NEXT) | instid1(VALU_DEP_1)
	v_add_f32_e32 v102, 1.0, v102
	v_add_f32_e32 v68, v68, v102
	v_subrev_co_ci_u32_e32 v67, vcc_lo, 0, v67, vcc_lo
	v_cmp_eq_f32_e32 vcc_lo, 0x7f800000, v65
	s_delay_alu instid0(VALU_DEP_2) | instskip(SKIP_1) | instid1(VALU_DEP_2)
	v_sub_nc_u32_e32 v100, 0, v67
	v_cvt_f32_i32_e32 v67, v67
	v_ldexp_f32 v99, v99, v100
	v_ldexp_f32 v68, v68, v100
	s_delay_alu instid0(VALU_DEP_2) | instskip(SKIP_1) | instid1(VALU_DEP_2)
	v_add_f32_e32 v103, 1.0, v99
	v_add_f32_e32 v100, -1.0, v99
	v_add_f32_e32 v102, -1.0, v103
	s_delay_alu instid0(VALU_DEP_2) | instskip(NEXT) | instid1(VALU_DEP_2)
	v_add_f32_e32 v112, 1.0, v100
	v_sub_f32_e32 v102, v99, v102
	s_delay_alu instid0(VALU_DEP_1) | instskip(NEXT) | instid1(VALU_DEP_1)
	v_dual_sub_f32 v99, v99, v112 :: v_dual_add_f32 v102, v68, v102
	v_add_f32_e32 v68, v68, v99
	s_delay_alu instid0(VALU_DEP_1) | instskip(NEXT) | instid1(VALU_DEP_1)
	v_dual_add_f32 v112, v103, v102 :: v_dual_add_f32 v113, v100, v68
	v_rcp_f32_e32 v99, v112
	v_sub_f32_e32 v103, v103, v112
	s_delay_alu instid0(VALU_DEP_1) | instskip(SKIP_2) | instid1(VALU_DEP_1)
	v_add_f32_e32 v102, v102, v103
	s_waitcnt_depctr 0xfff
	v_mul_f32_e32 v114, v113, v99
	v_mul_f32_e32 v115, v112, v114
	s_delay_alu instid0(VALU_DEP_1) | instskip(NEXT) | instid1(VALU_DEP_1)
	v_fma_f32 v103, v114, v112, -v115
	v_fmac_f32_e32 v103, v114, v102
	s_delay_alu instid0(VALU_DEP_1) | instskip(NEXT) | instid1(VALU_DEP_1)
	v_add_f32_e32 v116, v115, v103
	v_dual_sub_f32 v100, v100, v113 :: v_dual_sub_f32 v117, v113, v116
	s_delay_alu instid0(VALU_DEP_1) | instskip(NEXT) | instid1(VALU_DEP_1)
	v_sub_f32_e32 v113, v113, v117
	v_sub_f32_e32 v113, v113, v116
	s_delay_alu instid0(VALU_DEP_3) | instskip(SKIP_1) | instid1(VALU_DEP_2)
	v_add_f32_e32 v68, v68, v100
	v_sub_f32_e32 v100, v116, v115
	v_add_f32_e32 v68, v68, v113
	s_delay_alu instid0(VALU_DEP_2) | instskip(NEXT) | instid1(VALU_DEP_1)
	v_sub_f32_e32 v100, v100, v103
	v_add_f32_e32 v68, v100, v68
	s_delay_alu instid0(VALU_DEP_1) | instskip(NEXT) | instid1(VALU_DEP_1)
	v_add_f32_e32 v100, v117, v68
	v_mul_f32_e32 v103, v99, v100
	s_delay_alu instid0(VALU_DEP_1) | instskip(NEXT) | instid1(VALU_DEP_1)
	v_dual_mul_f32 v113, v112, v103 :: v_dual_sub_f32 v116, v117, v100
	v_fma_f32 v112, v103, v112, -v113
	s_delay_alu instid0(VALU_DEP_2) | instskip(NEXT) | instid1(VALU_DEP_2)
	v_add_f32_e32 v68, v68, v116
	v_fmac_f32_e32 v112, v103, v102
	s_delay_alu instid0(VALU_DEP_1) | instskip(NEXT) | instid1(VALU_DEP_1)
	v_add_f32_e32 v102, v113, v112
	v_sub_f32_e32 v115, v100, v102
	s_delay_alu instid0(VALU_DEP_1) | instskip(NEXT) | instid1(VALU_DEP_1)
	v_dual_sub_f32 v113, v102, v113 :: v_dual_sub_f32 v100, v100, v115
	v_sub_f32_e32 v100, v100, v102
	s_delay_alu instid0(VALU_DEP_2) | instskip(NEXT) | instid1(VALU_DEP_2)
	v_sub_f32_e32 v102, v113, v112
	v_add_f32_e32 v68, v68, v100
	v_add_f32_e32 v100, v114, v103
	s_delay_alu instid0(VALU_DEP_2) | instskip(NEXT) | instid1(VALU_DEP_2)
	v_add_f32_e32 v68, v102, v68
	v_sub_f32_e32 v102, v100, v114
	s_delay_alu instid0(VALU_DEP_2) | instskip(NEXT) | instid1(VALU_DEP_2)
	v_add_f32_e32 v68, v115, v68
	v_sub_f32_e32 v102, v103, v102
	s_delay_alu instid0(VALU_DEP_2) | instskip(NEXT) | instid1(VALU_DEP_1)
	v_mul_f32_e32 v68, v99, v68
	v_add_f32_e32 v68, v102, v68
	s_delay_alu instid0(VALU_DEP_1) | instskip(NEXT) | instid1(VALU_DEP_1)
	v_add_f32_e32 v99, v100, v68
	v_mul_f32_e32 v102, v99, v99
	s_delay_alu instid0(VALU_DEP_1) | instskip(SKIP_2) | instid1(VALU_DEP_3)
	v_fmaak_f32 v103, s2, v102, 0x3ecc95a3
	v_mul_f32_e32 v112, v99, v102
	v_cmp_gt_f32_e64 s2, 0x33800000, |v65|
	v_fmaak_f32 v102, v102, v103, 0x3f2aaada
	v_ldexp_f32 v103, v99, 1
	v_sub_f32_e32 v99, v99, v100
	s_delay_alu instid0(VALU_DEP_4) | instskip(NEXT) | instid1(VALU_DEP_3)
	s_or_b32 vcc_lo, vcc_lo, s2
	v_mul_f32_e32 v102, v112, v102
	v_mul_f32_e32 v112, 0x3f317218, v67
	s_delay_alu instid0(VALU_DEP_3) | instskip(NEXT) | instid1(VALU_DEP_3)
	v_sub_f32_e32 v68, v68, v99
	v_add_f32_e32 v100, v103, v102
	s_delay_alu instid0(VALU_DEP_2) | instskip(NEXT) | instid1(VALU_DEP_2)
	v_ldexp_f32 v68, v68, 1
	v_sub_f32_e32 v99, v100, v103
	v_fma_f32 v103, 0x3f317218, v67, -v112
	s_delay_alu instid0(VALU_DEP_2) | instskip(NEXT) | instid1(VALU_DEP_1)
	v_sub_f32_e32 v99, v102, v99
	v_dual_fmamk_f32 v67, v67, 0xb102e308, v103 :: v_dual_add_f32 v68, v68, v99
	s_delay_alu instid0(VALU_DEP_1) | instskip(NEXT) | instid1(VALU_DEP_2)
	v_add_f32_e32 v99, v112, v67
	v_add_f32_e32 v102, v100, v68
	s_delay_alu instid0(VALU_DEP_2) | instskip(NEXT) | instid1(VALU_DEP_2)
	v_sub_f32_e32 v112, v99, v112
	v_dual_add_f32 v103, v99, v102 :: v_dual_sub_f32 v100, v102, v100
	s_delay_alu instid0(VALU_DEP_2) | instskip(NEXT) | instid1(VALU_DEP_2)
	v_sub_f32_e32 v67, v67, v112
	v_dual_sub_f32 v113, v103, v99 :: v_dual_sub_f32 v68, v68, v100
	s_delay_alu instid0(VALU_DEP_1) | instskip(SKIP_1) | instid1(VALU_DEP_3)
	v_sub_f32_e32 v114, v103, v113
	v_sub_f32_e32 v100, v102, v113
	v_add_f32_e32 v102, v67, v68
	s_delay_alu instid0(VALU_DEP_3) | instskip(NEXT) | instid1(VALU_DEP_1)
	v_sub_f32_e32 v99, v99, v114
	v_add_f32_e32 v99, v100, v99
	s_delay_alu instid0(VALU_DEP_3) | instskip(NEXT) | instid1(VALU_DEP_2)
	v_sub_f32_e32 v100, v102, v67
	v_add_f32_e32 v99, v102, v99
	s_delay_alu instid0(VALU_DEP_2) | instskip(SKIP_1) | instid1(VALU_DEP_3)
	v_sub_f32_e32 v102, v102, v100
	v_sub_f32_e32 v68, v68, v100
	v_add_f32_e32 v112, v103, v99
	s_delay_alu instid0(VALU_DEP_1) | instskip(NEXT) | instid1(VALU_DEP_1)
	v_dual_sub_f32 v67, v67, v102 :: v_dual_sub_f32 v100, v112, v103
	v_dual_add_f32 v67, v68, v67 :: v_dual_sub_f32 v68, v99, v100
	s_delay_alu instid0(VALU_DEP_1) | instskip(NEXT) | instid1(VALU_DEP_1)
	v_add_f32_e32 v67, v67, v68
	v_add_f32_e32 v67, v112, v67
	s_delay_alu instid0(VALU_DEP_1) | instskip(NEXT) | instid1(VALU_DEP_1)
	v_cndmask_b32_e32 v65, v67, v65, vcc_lo
	v_add_f32_e32 v65, v66, v65
	s_delay_alu instid0(VALU_DEP_1) | instskip(NEXT) | instid1(VALU_DEP_1)
	v_cvt_f16_f32_e32 v99, v65
	v_mov_b32_e32 v65, v99
	v_cvt_f32_f16_e32 v100, v99
.LBB362_204:
	s_or_b32 exec_lo, exec_lo, s1
	s_delay_alu instid0(VALU_DEP_1) | instskip(SKIP_1) | instid1(VALU_DEP_2)
	v_dual_max_f32 v66, v69, v69 :: v_dual_max_f32 v67, v100, v100
	v_cmp_u_f16_e32 vcc_lo, v99, v99
	v_min_f32_e32 v68, v67, v66
	s_delay_alu instid0(VALU_DEP_1) | instskip(NEXT) | instid1(VALU_DEP_1)
	v_dual_max_f32 v66, v67, v66 :: v_dual_cndmask_b32 v67, v68, v100
	v_cndmask_b32_e32 v66, v66, v100, vcc_lo
	s_delay_alu instid0(VALU_DEP_2) | instskip(NEXT) | instid1(VALU_DEP_2)
	v_cndmask_b32_e64 v68, v67, v69, s8
	v_cndmask_b32_e64 v67, v66, v69, s8
	v_mov_b32_e32 v66, v65
	s_delay_alu instid0(VALU_DEP_3) | instskip(NEXT) | instid1(VALU_DEP_3)
	v_cmp_class_f32_e64 s1, v68, 0x1f8
	v_cmp_neq_f32_e32 vcc_lo, v68, v67
	s_delay_alu instid0(VALU_DEP_2) | instskip(NEXT) | instid1(SALU_CYCLE_1)
	s_or_b32 s2, vcc_lo, s1
	s_and_saveexec_b32 s1, s2
	s_cbranch_execz .LBB362_206
; %bb.205:
	v_sub_f32_e32 v66, v68, v67
	s_mov_b32 s2, 0x3e9b6dac
	s_delay_alu instid0(VALU_DEP_1) | instskip(SKIP_1) | instid1(VALU_DEP_2)
	v_mul_f32_e32 v68, 0x3fb8aa3b, v66
	v_cmp_ngt_f32_e32 vcc_lo, 0xc2ce8ed0, v66
	v_fma_f32 v69, 0x3fb8aa3b, v66, -v68
	v_rndne_f32_e32 v99, v68
	s_delay_alu instid0(VALU_DEP_1) | instskip(NEXT) | instid1(VALU_DEP_1)
	v_dual_fmamk_f32 v69, v66, 0x32a5705f, v69 :: v_dual_sub_f32 v68, v68, v99
	v_add_f32_e32 v68, v68, v69
	v_cvt_i32_f32_e32 v69, v99
	s_delay_alu instid0(VALU_DEP_2) | instskip(SKIP_2) | instid1(VALU_DEP_1)
	v_exp_f32_e32 v68, v68
	s_waitcnt_depctr 0xfff
	v_ldexp_f32 v68, v68, v69
	v_cndmask_b32_e32 v68, 0, v68, vcc_lo
	v_cmp_nlt_f32_e32 vcc_lo, 0x42b17218, v66
	s_delay_alu instid0(VALU_DEP_2) | instskip(NEXT) | instid1(VALU_DEP_1)
	v_cndmask_b32_e32 v66, 0x7f800000, v68, vcc_lo
	v_add_f32_e32 v99, 1.0, v66
	s_delay_alu instid0(VALU_DEP_1) | instskip(NEXT) | instid1(VALU_DEP_1)
	v_cvt_f64_f32_e32 v[68:69], v99
	v_frexp_exp_i32_f64_e32 v68, v[68:69]
	v_frexp_mant_f32_e32 v69, v99
	s_delay_alu instid0(VALU_DEP_1) | instskip(SKIP_1) | instid1(VALU_DEP_1)
	v_cmp_gt_f32_e32 vcc_lo, 0x3f2aaaab, v69
	v_add_f32_e32 v69, -1.0, v99
	v_sub_f32_e32 v102, v69, v99
	s_delay_alu instid0(VALU_DEP_1) | instskip(SKIP_1) | instid1(VALU_DEP_1)
	v_add_f32_e32 v102, 1.0, v102
	v_subrev_co_ci_u32_e32 v68, vcc_lo, 0, v68, vcc_lo
	v_sub_nc_u32_e32 v100, 0, v68
	v_cvt_f32_i32_e32 v68, v68
	s_delay_alu instid0(VALU_DEP_2) | instskip(NEXT) | instid1(VALU_DEP_1)
	v_ldexp_f32 v99, v99, v100
	v_add_f32_e32 v103, 1.0, v99
	v_sub_f32_e32 v69, v66, v69
	v_cmp_eq_f32_e32 vcc_lo, 0x7f800000, v66
	s_delay_alu instid0(VALU_DEP_2) | instskip(NEXT) | instid1(VALU_DEP_1)
	v_add_f32_e32 v69, v69, v102
	v_ldexp_f32 v69, v69, v100
	v_add_f32_e32 v100, -1.0, v99
	v_add_f32_e32 v102, -1.0, v103
	s_delay_alu instid0(VALU_DEP_2) | instskip(NEXT) | instid1(VALU_DEP_2)
	v_add_f32_e32 v112, 1.0, v100
	v_sub_f32_e32 v102, v99, v102
	s_delay_alu instid0(VALU_DEP_1) | instskip(NEXT) | instid1(VALU_DEP_1)
	v_dual_sub_f32 v99, v99, v112 :: v_dual_add_f32 v102, v69, v102
	v_dual_add_f32 v69, v69, v99 :: v_dual_add_f32 v112, v103, v102
	s_delay_alu instid0(VALU_DEP_1) | instskip(SKIP_1) | instid1(VALU_DEP_1)
	v_rcp_f32_e32 v99, v112
	v_sub_f32_e32 v103, v103, v112
	v_dual_add_f32 v113, v100, v69 :: v_dual_add_f32 v102, v102, v103
	s_delay_alu instid0(VALU_DEP_1) | instskip(SKIP_3) | instid1(VALU_DEP_2)
	v_sub_f32_e32 v100, v100, v113
	s_waitcnt_depctr 0xfff
	v_mul_f32_e32 v114, v113, v99
	v_add_f32_e32 v69, v69, v100
	v_mul_f32_e32 v115, v112, v114
	s_delay_alu instid0(VALU_DEP_1) | instskip(NEXT) | instid1(VALU_DEP_1)
	v_fma_f32 v103, v114, v112, -v115
	v_fmac_f32_e32 v103, v114, v102
	s_delay_alu instid0(VALU_DEP_1) | instskip(NEXT) | instid1(VALU_DEP_1)
	v_add_f32_e32 v116, v115, v103
	v_sub_f32_e32 v117, v113, v116
	s_delay_alu instid0(VALU_DEP_1) | instskip(NEXT) | instid1(VALU_DEP_1)
	v_sub_f32_e32 v113, v113, v117
	v_dual_sub_f32 v113, v113, v116 :: v_dual_sub_f32 v100, v116, v115
	s_delay_alu instid0(VALU_DEP_1) | instskip(NEXT) | instid1(VALU_DEP_1)
	v_dual_add_f32 v69, v69, v113 :: v_dual_sub_f32 v100, v100, v103
	v_add_f32_e32 v69, v100, v69
	s_delay_alu instid0(VALU_DEP_1) | instskip(NEXT) | instid1(VALU_DEP_1)
	v_add_f32_e32 v100, v117, v69
	v_mul_f32_e32 v103, v99, v100
	s_delay_alu instid0(VALU_DEP_1) | instskip(NEXT) | instid1(VALU_DEP_1)
	v_dual_mul_f32 v113, v112, v103 :: v_dual_sub_f32 v116, v117, v100
	v_fma_f32 v112, v103, v112, -v113
	s_delay_alu instid0(VALU_DEP_1) | instskip(NEXT) | instid1(VALU_DEP_1)
	v_dual_add_f32 v69, v69, v116 :: v_dual_fmac_f32 v112, v103, v102
	v_add_f32_e32 v102, v113, v112
	s_delay_alu instid0(VALU_DEP_1) | instskip(NEXT) | instid1(VALU_DEP_1)
	v_sub_f32_e32 v115, v100, v102
	v_dual_sub_f32 v113, v102, v113 :: v_dual_sub_f32 v100, v100, v115
	s_delay_alu instid0(VALU_DEP_1) | instskip(NEXT) | instid1(VALU_DEP_1)
	v_sub_f32_e32 v100, v100, v102
	v_dual_add_f32 v69, v69, v100 :: v_dual_add_f32 v100, v114, v103
	s_delay_alu instid0(VALU_DEP_3) | instskip(NEXT) | instid1(VALU_DEP_1)
	v_sub_f32_e32 v102, v113, v112
	v_dual_add_f32 v69, v102, v69 :: v_dual_sub_f32 v102, v100, v114
	s_delay_alu instid0(VALU_DEP_1) | instskip(NEXT) | instid1(VALU_DEP_2)
	v_add_f32_e32 v69, v115, v69
	v_sub_f32_e32 v102, v103, v102
	s_delay_alu instid0(VALU_DEP_2) | instskip(NEXT) | instid1(VALU_DEP_1)
	v_mul_f32_e32 v69, v99, v69
	v_add_f32_e32 v69, v102, v69
	s_delay_alu instid0(VALU_DEP_1) | instskip(NEXT) | instid1(VALU_DEP_1)
	v_add_f32_e32 v99, v100, v69
	v_mul_f32_e32 v102, v99, v99
	s_delay_alu instid0(VALU_DEP_1) | instskip(SKIP_2) | instid1(VALU_DEP_3)
	v_fmaak_f32 v103, s2, v102, 0x3ecc95a3
	v_mul_f32_e32 v112, v99, v102
	v_cmp_gt_f32_e64 s2, 0x33800000, |v66|
	v_fmaak_f32 v102, v102, v103, 0x3f2aaada
	v_ldexp_f32 v103, v99, 1
	v_sub_f32_e32 v99, v99, v100
	s_delay_alu instid0(VALU_DEP_4) | instskip(NEXT) | instid1(VALU_DEP_1)
	s_or_b32 vcc_lo, vcc_lo, s2
	v_sub_f32_e32 v69, v69, v99
	s_delay_alu instid0(VALU_DEP_1) | instskip(SKIP_1) | instid1(VALU_DEP_1)
	v_ldexp_f32 v69, v69, 1
	v_mul_f32_e32 v102, v112, v102
	v_add_f32_e32 v100, v103, v102
	s_delay_alu instid0(VALU_DEP_1) | instskip(NEXT) | instid1(VALU_DEP_1)
	v_sub_f32_e32 v99, v100, v103
	v_sub_f32_e32 v99, v102, v99
	s_delay_alu instid0(VALU_DEP_1) | instskip(NEXT) | instid1(VALU_DEP_1)
	v_add_f32_e32 v69, v69, v99
	v_add_f32_e32 v102, v100, v69
	v_mul_f32_e32 v112, 0x3f317218, v68
	s_delay_alu instid0(VALU_DEP_1) | instskip(NEXT) | instid1(VALU_DEP_1)
	v_fma_f32 v103, 0x3f317218, v68, -v112
	v_fmamk_f32 v68, v68, 0xb102e308, v103
	s_delay_alu instid0(VALU_DEP_1) | instskip(NEXT) | instid1(VALU_DEP_1)
	v_add_f32_e32 v99, v112, v68
	v_add_f32_e32 v103, v99, v102
	s_delay_alu instid0(VALU_DEP_1) | instskip(NEXT) | instid1(VALU_DEP_1)
	v_sub_f32_e32 v113, v103, v99
	v_sub_f32_e32 v114, v103, v113
	;; [unrolled: 1-line block ×3, first 2 shown]
	s_delay_alu instid0(VALU_DEP_1) | instskip(SKIP_1) | instid1(VALU_DEP_4)
	v_dual_sub_f32 v69, v69, v100 :: v_dual_sub_f32 v100, v102, v113
	v_sub_f32_e32 v112, v99, v112
	v_sub_f32_e32 v99, v99, v114
	s_delay_alu instid0(VALU_DEP_1) | instskip(NEXT) | instid1(VALU_DEP_3)
	v_add_f32_e32 v99, v100, v99
	v_sub_f32_e32 v68, v68, v112
	s_delay_alu instid0(VALU_DEP_1) | instskip(NEXT) | instid1(VALU_DEP_1)
	v_add_f32_e32 v102, v68, v69
	v_add_f32_e32 v99, v102, v99
	v_sub_f32_e32 v100, v102, v68
	s_delay_alu instid0(VALU_DEP_1) | instskip(SKIP_1) | instid1(VALU_DEP_2)
	v_dual_add_f32 v112, v103, v99 :: v_dual_sub_f32 v69, v69, v100
	v_sub_f32_e32 v102, v102, v100
	v_sub_f32_e32 v100, v112, v103
	s_delay_alu instid0(VALU_DEP_2) | instskip(NEXT) | instid1(VALU_DEP_1)
	v_sub_f32_e32 v68, v68, v102
	v_add_f32_e32 v68, v69, v68
	s_delay_alu instid0(VALU_DEP_3) | instskip(NEXT) | instid1(VALU_DEP_1)
	v_sub_f32_e32 v69, v99, v100
	v_add_f32_e32 v68, v68, v69
	s_delay_alu instid0(VALU_DEP_1) | instskip(NEXT) | instid1(VALU_DEP_1)
	v_add_f32_e32 v68, v112, v68
	v_cndmask_b32_e32 v66, v68, v66, vcc_lo
	s_delay_alu instid0(VALU_DEP_1) | instskip(NEXT) | instid1(VALU_DEP_1)
	v_add_f32_e32 v66, v67, v66
	v_cvt_f16_f32_e32 v99, v66
	s_delay_alu instid0(VALU_DEP_1)
	v_cvt_f32_f16_e32 v100, v99
	v_mov_b32_e32 v66, v99
.LBB362_206:
	s_or_b32 exec_lo, exec_lo, s1
	s_delay_alu instid0(VALU_DEP_2) | instskip(SKIP_1) | instid1(VALU_DEP_2)
	v_dual_max_f32 v67, v70, v70 :: v_dual_max_f32 v68, v100, v100
	v_cmp_u_f16_e32 vcc_lo, v99, v99
	v_min_f32_e32 v69, v68, v67
	s_delay_alu instid0(VALU_DEP_1) | instskip(NEXT) | instid1(VALU_DEP_1)
	v_dual_max_f32 v67, v68, v67 :: v_dual_cndmask_b32 v68, v69, v100
	v_cndmask_b32_e32 v67, v67, v100, vcc_lo
	s_delay_alu instid0(VALU_DEP_2) | instskip(NEXT) | instid1(VALU_DEP_2)
	v_cndmask_b32_e64 v69, v68, v70, s9
	v_cndmask_b32_e64 v68, v67, v70, s9
	v_mov_b32_e32 v67, v66
	s_delay_alu instid0(VALU_DEP_3) | instskip(NEXT) | instid1(VALU_DEP_3)
	v_cmp_class_f32_e64 s1, v69, 0x1f8
	v_cmp_neq_f32_e32 vcc_lo, v69, v68
	s_delay_alu instid0(VALU_DEP_2) | instskip(NEXT) | instid1(SALU_CYCLE_1)
	s_or_b32 s2, vcc_lo, s1
	s_and_saveexec_b32 s1, s2
	s_cbranch_execz .LBB362_208
; %bb.207:
	v_sub_f32_e32 v67, v69, v68
	s_mov_b32 s2, 0x3e9b6dac
	s_delay_alu instid0(VALU_DEP_1) | instskip(SKIP_1) | instid1(VALU_DEP_2)
	v_mul_f32_e32 v69, 0x3fb8aa3b, v67
	v_cmp_ngt_f32_e32 vcc_lo, 0xc2ce8ed0, v67
	v_fma_f32 v70, 0x3fb8aa3b, v67, -v69
	v_rndne_f32_e32 v99, v69
	s_delay_alu instid0(VALU_DEP_1) | instskip(NEXT) | instid1(VALU_DEP_1)
	v_dual_fmamk_f32 v70, v67, 0x32a5705f, v70 :: v_dual_sub_f32 v69, v69, v99
	v_add_f32_e32 v69, v69, v70
	v_cvt_i32_f32_e32 v70, v99
	s_delay_alu instid0(VALU_DEP_2) | instskip(SKIP_2) | instid1(VALU_DEP_1)
	v_exp_f32_e32 v69, v69
	s_waitcnt_depctr 0xfff
	v_ldexp_f32 v69, v69, v70
	v_cndmask_b32_e32 v69, 0, v69, vcc_lo
	v_cmp_nlt_f32_e32 vcc_lo, 0x42b17218, v67
	s_delay_alu instid0(VALU_DEP_2) | instskip(NEXT) | instid1(VALU_DEP_1)
	v_cndmask_b32_e32 v67, 0x7f800000, v69, vcc_lo
	v_add_f32_e32 v99, 1.0, v67
	s_delay_alu instid0(VALU_DEP_1) | instskip(NEXT) | instid1(VALU_DEP_1)
	v_cvt_f64_f32_e32 v[69:70], v99
	v_frexp_exp_i32_f64_e32 v69, v[69:70]
	v_frexp_mant_f32_e32 v70, v99
	s_delay_alu instid0(VALU_DEP_1) | instskip(SKIP_1) | instid1(VALU_DEP_1)
	v_cmp_gt_f32_e32 vcc_lo, 0x3f2aaaab, v70
	v_add_f32_e32 v70, -1.0, v99
	v_sub_f32_e32 v102, v70, v99
	v_sub_f32_e32 v70, v67, v70
	s_delay_alu instid0(VALU_DEP_2) | instskip(NEXT) | instid1(VALU_DEP_1)
	v_add_f32_e32 v102, 1.0, v102
	v_add_f32_e32 v70, v70, v102
	v_subrev_co_ci_u32_e32 v69, vcc_lo, 0, v69, vcc_lo
	v_cmp_eq_f32_e32 vcc_lo, 0x7f800000, v67
	s_delay_alu instid0(VALU_DEP_2) | instskip(SKIP_1) | instid1(VALU_DEP_2)
	v_sub_nc_u32_e32 v100, 0, v69
	v_cvt_f32_i32_e32 v69, v69
	v_ldexp_f32 v99, v99, v100
	v_ldexp_f32 v70, v70, v100
	s_delay_alu instid0(VALU_DEP_2) | instskip(SKIP_1) | instid1(VALU_DEP_1)
	v_add_f32_e32 v103, 1.0, v99
	v_add_f32_e32 v100, -1.0, v99
	v_add_f32_e32 v112, 1.0, v100
	s_delay_alu instid0(VALU_DEP_3) | instskip(NEXT) | instid1(VALU_DEP_1)
	v_add_f32_e32 v102, -1.0, v103
	v_sub_f32_e32 v102, v99, v102
	s_delay_alu instid0(VALU_DEP_1) | instskip(NEXT) | instid1(VALU_DEP_1)
	v_dual_sub_f32 v99, v99, v112 :: v_dual_add_f32 v102, v70, v102
	v_add_f32_e32 v112, v103, v102
	s_delay_alu instid0(VALU_DEP_2) | instskip(NEXT) | instid1(VALU_DEP_2)
	v_add_f32_e32 v70, v70, v99
	v_rcp_f32_e32 v99, v112
	v_sub_f32_e32 v103, v103, v112
	s_delay_alu instid0(VALU_DEP_1) | instskip(NEXT) | instid1(VALU_DEP_1)
	v_dual_add_f32 v113, v100, v70 :: v_dual_add_f32 v102, v102, v103
	v_sub_f32_e32 v100, v100, v113
	s_waitcnt_depctr 0xfff
	v_mul_f32_e32 v114, v113, v99
	s_delay_alu instid0(VALU_DEP_1) | instskip(NEXT) | instid1(VALU_DEP_1)
	v_mul_f32_e32 v115, v112, v114
	v_fma_f32 v103, v114, v112, -v115
	s_delay_alu instid0(VALU_DEP_1) | instskip(NEXT) | instid1(VALU_DEP_1)
	v_fmac_f32_e32 v103, v114, v102
	v_add_f32_e32 v116, v115, v103
	s_delay_alu instid0(VALU_DEP_1) | instskip(NEXT) | instid1(VALU_DEP_1)
	v_sub_f32_e32 v117, v113, v116
	v_dual_sub_f32 v113, v113, v117 :: v_dual_add_f32 v70, v70, v100
	s_delay_alu instid0(VALU_DEP_1) | instskip(NEXT) | instid1(VALU_DEP_1)
	v_dual_sub_f32 v100, v116, v115 :: v_dual_sub_f32 v113, v113, v116
	v_sub_f32_e32 v100, v100, v103
	s_delay_alu instid0(VALU_DEP_2) | instskip(NEXT) | instid1(VALU_DEP_1)
	v_add_f32_e32 v70, v70, v113
	v_add_f32_e32 v70, v100, v70
	s_delay_alu instid0(VALU_DEP_1) | instskip(NEXT) | instid1(VALU_DEP_1)
	v_add_f32_e32 v100, v117, v70
	v_mul_f32_e32 v103, v99, v100
	s_delay_alu instid0(VALU_DEP_1) | instskip(NEXT) | instid1(VALU_DEP_1)
	v_dual_sub_f32 v116, v117, v100 :: v_dual_mul_f32 v113, v112, v103
	v_add_f32_e32 v70, v70, v116
	s_delay_alu instid0(VALU_DEP_2) | instskip(NEXT) | instid1(VALU_DEP_1)
	v_fma_f32 v112, v103, v112, -v113
	v_fmac_f32_e32 v112, v103, v102
	s_delay_alu instid0(VALU_DEP_1) | instskip(NEXT) | instid1(VALU_DEP_1)
	v_add_f32_e32 v102, v113, v112
	v_sub_f32_e32 v115, v100, v102
	s_delay_alu instid0(VALU_DEP_1) | instskip(NEXT) | instid1(VALU_DEP_1)
	v_dual_sub_f32 v113, v102, v113 :: v_dual_sub_f32 v100, v100, v115
	v_sub_f32_e32 v100, v100, v102
	s_delay_alu instid0(VALU_DEP_2) | instskip(NEXT) | instid1(VALU_DEP_2)
	v_sub_f32_e32 v102, v113, v112
	v_add_f32_e32 v70, v70, v100
	v_add_f32_e32 v100, v114, v103
	s_delay_alu instid0(VALU_DEP_2) | instskip(NEXT) | instid1(VALU_DEP_2)
	v_add_f32_e32 v70, v102, v70
	v_sub_f32_e32 v102, v100, v114
	s_delay_alu instid0(VALU_DEP_2) | instskip(NEXT) | instid1(VALU_DEP_2)
	v_add_f32_e32 v70, v115, v70
	v_sub_f32_e32 v102, v103, v102
	s_delay_alu instid0(VALU_DEP_2) | instskip(NEXT) | instid1(VALU_DEP_1)
	v_mul_f32_e32 v70, v99, v70
	v_add_f32_e32 v70, v102, v70
	s_delay_alu instid0(VALU_DEP_1) | instskip(NEXT) | instid1(VALU_DEP_1)
	v_add_f32_e32 v99, v100, v70
	v_mul_f32_e32 v102, v99, v99
	s_delay_alu instid0(VALU_DEP_1) | instskip(SKIP_2) | instid1(VALU_DEP_3)
	v_fmaak_f32 v103, s2, v102, 0x3ecc95a3
	v_mul_f32_e32 v112, v99, v102
	v_cmp_gt_f32_e64 s2, 0x33800000, |v67|
	v_fmaak_f32 v102, v102, v103, 0x3f2aaada
	v_ldexp_f32 v103, v99, 1
	v_sub_f32_e32 v99, v99, v100
	s_delay_alu instid0(VALU_DEP_4) | instskip(NEXT) | instid1(VALU_DEP_3)
	s_or_b32 vcc_lo, vcc_lo, s2
	v_mul_f32_e32 v102, v112, v102
	v_mul_f32_e32 v112, 0x3f317218, v69
	s_delay_alu instid0(VALU_DEP_3) | instskip(NEXT) | instid1(VALU_DEP_3)
	v_sub_f32_e32 v70, v70, v99
	v_add_f32_e32 v100, v103, v102
	s_delay_alu instid0(VALU_DEP_2) | instskip(NEXT) | instid1(VALU_DEP_2)
	v_ldexp_f32 v70, v70, 1
	v_sub_f32_e32 v99, v100, v103
	v_fma_f32 v103, 0x3f317218, v69, -v112
	s_delay_alu instid0(VALU_DEP_2) | instskip(NEXT) | instid1(VALU_DEP_1)
	v_sub_f32_e32 v99, v102, v99
	v_dual_fmamk_f32 v69, v69, 0xb102e308, v103 :: v_dual_add_f32 v70, v70, v99
	s_delay_alu instid0(VALU_DEP_1) | instskip(NEXT) | instid1(VALU_DEP_2)
	v_add_f32_e32 v99, v112, v69
	v_add_f32_e32 v102, v100, v70
	s_delay_alu instid0(VALU_DEP_2) | instskip(NEXT) | instid1(VALU_DEP_2)
	v_sub_f32_e32 v112, v99, v112
	v_dual_add_f32 v103, v99, v102 :: v_dual_sub_f32 v100, v102, v100
	s_delay_alu instid0(VALU_DEP_2) | instskip(NEXT) | instid1(VALU_DEP_2)
	v_sub_f32_e32 v69, v69, v112
	v_dual_sub_f32 v113, v103, v99 :: v_dual_sub_f32 v70, v70, v100
	s_delay_alu instid0(VALU_DEP_1) | instskip(SKIP_1) | instid1(VALU_DEP_3)
	v_sub_f32_e32 v114, v103, v113
	v_sub_f32_e32 v100, v102, v113
	v_add_f32_e32 v102, v69, v70
	s_delay_alu instid0(VALU_DEP_3) | instskip(NEXT) | instid1(VALU_DEP_1)
	v_sub_f32_e32 v99, v99, v114
	v_dual_add_f32 v99, v100, v99 :: v_dual_sub_f32 v100, v102, v69
	s_delay_alu instid0(VALU_DEP_1) | instskip(NEXT) | instid1(VALU_DEP_2)
	v_add_f32_e32 v99, v102, v99
	v_sub_f32_e32 v102, v102, v100
	v_sub_f32_e32 v70, v70, v100
	s_delay_alu instid0(VALU_DEP_2) | instskip(NEXT) | instid1(VALU_DEP_1)
	v_dual_add_f32 v112, v103, v99 :: v_dual_sub_f32 v69, v69, v102
	v_dual_sub_f32 v100, v112, v103 :: v_dual_add_f32 v69, v70, v69
	s_delay_alu instid0(VALU_DEP_1) | instskip(NEXT) | instid1(VALU_DEP_1)
	v_sub_f32_e32 v70, v99, v100
	v_add_f32_e32 v69, v69, v70
	s_delay_alu instid0(VALU_DEP_1) | instskip(NEXT) | instid1(VALU_DEP_1)
	v_add_f32_e32 v69, v112, v69
	v_cndmask_b32_e32 v67, v69, v67, vcc_lo
	s_delay_alu instid0(VALU_DEP_1) | instskip(NEXT) | instid1(VALU_DEP_1)
	v_add_f32_e32 v67, v68, v67
	v_cvt_f16_f32_e32 v99, v67
	s_delay_alu instid0(VALU_DEP_1)
	v_cvt_f32_f16_e32 v100, v99
	v_mov_b32_e32 v67, v99
.LBB362_208:
	s_or_b32 exec_lo, exec_lo, s1
	s_delay_alu instid0(VALU_DEP_2) | instskip(SKIP_1) | instid1(VALU_DEP_2)
	v_dual_max_f32 v68, v71, v71 :: v_dual_max_f32 v69, v100, v100
	v_cmp_u_f16_e32 vcc_lo, v99, v99
	v_min_f32_e32 v70, v69, v68
	v_max_f32_e32 v68, v69, v68
	s_delay_alu instid0(VALU_DEP_2) | instskip(NEXT) | instid1(VALU_DEP_2)
	v_cndmask_b32_e32 v69, v70, v100, vcc_lo
	v_cndmask_b32_e32 v68, v68, v100, vcc_lo
	s_delay_alu instid0(VALU_DEP_2) | instskip(NEXT) | instid1(VALU_DEP_2)
	v_cndmask_b32_e64 v70, v69, v71, s10
	v_cndmask_b32_e64 v69, v68, v71, s10
	v_mov_b32_e32 v68, v67
	s_delay_alu instid0(VALU_DEP_3) | instskip(NEXT) | instid1(VALU_DEP_3)
	v_cmp_class_f32_e64 s1, v70, 0x1f8
	v_cmp_neq_f32_e32 vcc_lo, v70, v69
	s_delay_alu instid0(VALU_DEP_2) | instskip(NEXT) | instid1(SALU_CYCLE_1)
	s_or_b32 s2, vcc_lo, s1
	s_and_saveexec_b32 s1, s2
	s_cbranch_execz .LBB362_210
; %bb.209:
	v_sub_f32_e32 v68, v70, v69
	s_mov_b32 s2, 0x3e9b6dac
	s_delay_alu instid0(VALU_DEP_1) | instskip(SKIP_1) | instid1(VALU_DEP_2)
	v_mul_f32_e32 v70, 0x3fb8aa3b, v68
	v_cmp_ngt_f32_e32 vcc_lo, 0xc2ce8ed0, v68
	v_fma_f32 v71, 0x3fb8aa3b, v68, -v70
	v_rndne_f32_e32 v99, v70
	s_delay_alu instid0(VALU_DEP_1) | instskip(NEXT) | instid1(VALU_DEP_1)
	v_dual_fmamk_f32 v71, v68, 0x32a5705f, v71 :: v_dual_sub_f32 v70, v70, v99
	v_add_f32_e32 v70, v70, v71
	v_cvt_i32_f32_e32 v71, v99
	s_delay_alu instid0(VALU_DEP_2) | instskip(SKIP_2) | instid1(VALU_DEP_1)
	v_exp_f32_e32 v70, v70
	s_waitcnt_depctr 0xfff
	v_ldexp_f32 v70, v70, v71
	v_cndmask_b32_e32 v70, 0, v70, vcc_lo
	v_cmp_nlt_f32_e32 vcc_lo, 0x42b17218, v68
	s_delay_alu instid0(VALU_DEP_2) | instskip(NEXT) | instid1(VALU_DEP_1)
	v_cndmask_b32_e32 v68, 0x7f800000, v70, vcc_lo
	v_add_f32_e32 v99, 1.0, v68
	s_delay_alu instid0(VALU_DEP_1) | instskip(NEXT) | instid1(VALU_DEP_1)
	v_cvt_f64_f32_e32 v[70:71], v99
	v_frexp_exp_i32_f64_e32 v70, v[70:71]
	v_frexp_mant_f32_e32 v71, v99
	s_delay_alu instid0(VALU_DEP_1) | instskip(SKIP_1) | instid1(VALU_DEP_1)
	v_cmp_gt_f32_e32 vcc_lo, 0x3f2aaaab, v71
	v_add_f32_e32 v71, -1.0, v99
	v_sub_f32_e32 v102, v71, v99
	s_delay_alu instid0(VALU_DEP_1) | instskip(SKIP_1) | instid1(VALU_DEP_1)
	v_dual_sub_f32 v71, v68, v71 :: v_dual_add_f32 v102, 1.0, v102
	v_subrev_co_ci_u32_e32 v70, vcc_lo, 0, v70, vcc_lo
	v_sub_nc_u32_e32 v100, 0, v70
	v_cvt_f32_i32_e32 v70, v70
	s_delay_alu instid0(VALU_DEP_2) | instskip(NEXT) | instid1(VALU_DEP_1)
	v_ldexp_f32 v99, v99, v100
	v_add_f32_e32 v103, 1.0, v99
	s_delay_alu instid0(VALU_DEP_1) | instskip(NEXT) | instid1(VALU_DEP_1)
	v_dual_add_f32 v71, v71, v102 :: v_dual_add_f32 v102, -1.0, v103
	v_ldexp_f32 v71, v71, v100
	v_add_f32_e32 v100, -1.0, v99
	s_delay_alu instid0(VALU_DEP_3) | instskip(NEXT) | instid1(VALU_DEP_2)
	v_sub_f32_e32 v102, v99, v102
	v_add_f32_e32 v112, 1.0, v100
	s_delay_alu instid0(VALU_DEP_2) | instskip(NEXT) | instid1(VALU_DEP_2)
	v_add_f32_e32 v102, v71, v102
	v_sub_f32_e32 v99, v99, v112
	v_cmp_eq_f32_e32 vcc_lo, 0x7f800000, v68
	s_delay_alu instid0(VALU_DEP_3) | instskip(NEXT) | instid1(VALU_DEP_3)
	v_add_f32_e32 v112, v103, v102
	v_add_f32_e32 v71, v71, v99
	s_delay_alu instid0(VALU_DEP_2) | instskip(SKIP_1) | instid1(VALU_DEP_2)
	v_rcp_f32_e32 v99, v112
	v_sub_f32_e32 v103, v103, v112
	v_add_f32_e32 v113, v100, v71
	s_delay_alu instid0(VALU_DEP_2) | instskip(NEXT) | instid1(VALU_DEP_2)
	v_add_f32_e32 v102, v102, v103
	v_sub_f32_e32 v100, v100, v113
	s_waitcnt_depctr 0xfff
	v_dual_mul_f32 v114, v113, v99 :: v_dual_add_f32 v71, v71, v100
	s_delay_alu instid0(VALU_DEP_1) | instskip(NEXT) | instid1(VALU_DEP_1)
	v_mul_f32_e32 v115, v112, v114
	v_fma_f32 v103, v114, v112, -v115
	s_delay_alu instid0(VALU_DEP_1) | instskip(NEXT) | instid1(VALU_DEP_1)
	v_fmac_f32_e32 v103, v114, v102
	v_add_f32_e32 v116, v115, v103
	s_delay_alu instid0(VALU_DEP_1) | instskip(NEXT) | instid1(VALU_DEP_1)
	v_sub_f32_e32 v117, v113, v116
	v_sub_f32_e32 v113, v113, v117
	s_delay_alu instid0(VALU_DEP_1) | instskip(NEXT) | instid1(VALU_DEP_1)
	v_dual_sub_f32 v113, v113, v116 :: v_dual_sub_f32 v100, v116, v115
	v_dual_add_f32 v71, v71, v113 :: v_dual_sub_f32 v100, v100, v103
	s_delay_alu instid0(VALU_DEP_1) | instskip(NEXT) | instid1(VALU_DEP_1)
	v_add_f32_e32 v71, v100, v71
	v_add_f32_e32 v100, v117, v71
	s_delay_alu instid0(VALU_DEP_1) | instskip(NEXT) | instid1(VALU_DEP_1)
	v_mul_f32_e32 v103, v99, v100
	v_dual_sub_f32 v116, v117, v100 :: v_dual_mul_f32 v113, v112, v103
	s_delay_alu instid0(VALU_DEP_1) | instskip(NEXT) | instid1(VALU_DEP_1)
	v_fma_f32 v112, v103, v112, -v113
	v_fmac_f32_e32 v112, v103, v102
	s_delay_alu instid0(VALU_DEP_3) | instskip(NEXT) | instid1(VALU_DEP_2)
	v_add_f32_e32 v71, v71, v116
	v_add_f32_e32 v102, v113, v112
	s_delay_alu instid0(VALU_DEP_1) | instskip(NEXT) | instid1(VALU_DEP_1)
	v_sub_f32_e32 v115, v100, v102
	v_dual_sub_f32 v113, v102, v113 :: v_dual_sub_f32 v100, v100, v115
	s_delay_alu instid0(VALU_DEP_1) | instskip(NEXT) | instid1(VALU_DEP_2)
	v_sub_f32_e32 v100, v100, v102
	v_sub_f32_e32 v102, v113, v112
	s_delay_alu instid0(VALU_DEP_2) | instskip(NEXT) | instid1(VALU_DEP_1)
	v_dual_add_f32 v71, v71, v100 :: v_dual_add_f32 v100, v114, v103
	v_dual_add_f32 v71, v102, v71 :: v_dual_sub_f32 v102, v100, v114
	s_delay_alu instid0(VALU_DEP_1) | instskip(NEXT) | instid1(VALU_DEP_2)
	v_add_f32_e32 v71, v115, v71
	v_sub_f32_e32 v102, v103, v102
	s_delay_alu instid0(VALU_DEP_2) | instskip(NEXT) | instid1(VALU_DEP_1)
	v_mul_f32_e32 v71, v99, v71
	v_add_f32_e32 v71, v102, v71
	s_delay_alu instid0(VALU_DEP_1) | instskip(NEXT) | instid1(VALU_DEP_1)
	v_add_f32_e32 v99, v100, v71
	v_mul_f32_e32 v102, v99, v99
	s_delay_alu instid0(VALU_DEP_1) | instskip(SKIP_2) | instid1(VALU_DEP_3)
	v_fmaak_f32 v103, s2, v102, 0x3ecc95a3
	v_mul_f32_e32 v112, v99, v102
	v_cmp_gt_f32_e64 s2, 0x33800000, |v68|
	v_fmaak_f32 v102, v102, v103, 0x3f2aaada
	v_ldexp_f32 v103, v99, 1
	v_sub_f32_e32 v99, v99, v100
	s_delay_alu instid0(VALU_DEP_4) | instskip(NEXT) | instid1(VALU_DEP_1)
	s_or_b32 vcc_lo, vcc_lo, s2
	v_dual_mul_f32 v102, v112, v102 :: v_dual_sub_f32 v71, v71, v99
	s_delay_alu instid0(VALU_DEP_1) | instskip(SKIP_1) | instid1(VALU_DEP_3)
	v_add_f32_e32 v100, v103, v102
	v_mul_f32_e32 v112, 0x3f317218, v70
	v_ldexp_f32 v71, v71, 1
	s_delay_alu instid0(VALU_DEP_3) | instskip(NEXT) | instid1(VALU_DEP_3)
	v_sub_f32_e32 v99, v100, v103
	v_fma_f32 v103, 0x3f317218, v70, -v112
	s_delay_alu instid0(VALU_DEP_2) | instskip(NEXT) | instid1(VALU_DEP_1)
	v_sub_f32_e32 v99, v102, v99
	v_dual_fmamk_f32 v70, v70, 0xb102e308, v103 :: v_dual_add_f32 v71, v71, v99
	s_delay_alu instid0(VALU_DEP_1) | instskip(NEXT) | instid1(VALU_DEP_2)
	v_add_f32_e32 v99, v112, v70
	v_add_f32_e32 v102, v100, v71
	s_delay_alu instid0(VALU_DEP_2) | instskip(NEXT) | instid1(VALU_DEP_1)
	v_sub_f32_e32 v112, v99, v112
	v_dual_add_f32 v103, v99, v102 :: v_dual_sub_f32 v70, v70, v112
	s_delay_alu instid0(VALU_DEP_1) | instskip(NEXT) | instid1(VALU_DEP_1)
	v_sub_f32_e32 v113, v103, v99
	v_sub_f32_e32 v114, v103, v113
	s_delay_alu instid0(VALU_DEP_1) | instskip(NEXT) | instid1(VALU_DEP_1)
	v_dual_sub_f32 v99, v99, v114 :: v_dual_sub_f32 v100, v102, v100
	v_dual_sub_f32 v71, v71, v100 :: v_dual_sub_f32 v100, v102, v113
	s_delay_alu instid0(VALU_DEP_1) | instskip(NEXT) | instid1(VALU_DEP_1)
	v_add_f32_e32 v102, v70, v71
	v_dual_add_f32 v99, v100, v99 :: v_dual_sub_f32 v100, v102, v70
	s_delay_alu instid0(VALU_DEP_1) | instskip(NEXT) | instid1(VALU_DEP_2)
	v_sub_f32_e32 v71, v71, v100
	v_add_f32_e32 v99, v102, v99
	v_sub_f32_e32 v102, v102, v100
	s_delay_alu instid0(VALU_DEP_2) | instskip(NEXT) | instid1(VALU_DEP_1)
	v_add_f32_e32 v112, v103, v99
	v_sub_f32_e32 v100, v112, v103
	s_delay_alu instid0(VALU_DEP_3) | instskip(NEXT) | instid1(VALU_DEP_1)
	v_sub_f32_e32 v70, v70, v102
	v_add_f32_e32 v70, v71, v70
	s_delay_alu instid0(VALU_DEP_3) | instskip(NEXT) | instid1(VALU_DEP_1)
	v_sub_f32_e32 v71, v99, v100
	v_add_f32_e32 v70, v70, v71
	s_delay_alu instid0(VALU_DEP_1) | instskip(NEXT) | instid1(VALU_DEP_1)
	v_add_f32_e32 v70, v112, v70
	v_cndmask_b32_e32 v68, v70, v68, vcc_lo
	s_delay_alu instid0(VALU_DEP_1) | instskip(NEXT) | instid1(VALU_DEP_1)
	v_add_f32_e32 v68, v69, v68
	v_cvt_f16_f32_e32 v99, v68
	s_delay_alu instid0(VALU_DEP_1)
	v_cvt_f32_f16_e32 v100, v99
	v_mov_b32_e32 v68, v99
.LBB362_210:
	s_or_b32 exec_lo, exec_lo, s1
	v_max_f32_e32 v69, v80, v80
	s_delay_alu instid0(VALU_DEP_3) | instskip(SKIP_1) | instid1(VALU_DEP_2)
	v_max_f32_e32 v70, v100, v100
	v_cmp_u_f16_e32 vcc_lo, v99, v99
	v_min_f32_e32 v71, v70, v69
	s_delay_alu instid0(VALU_DEP_1) | instskip(NEXT) | instid1(VALU_DEP_1)
	v_dual_max_f32 v69, v70, v69 :: v_dual_cndmask_b32 v70, v71, v100
	v_cndmask_b32_e32 v69, v69, v100, vcc_lo
	s_delay_alu instid0(VALU_DEP_2) | instskip(NEXT) | instid1(VALU_DEP_2)
	v_cndmask_b32_e64 v71, v70, v80, s11
	v_cndmask_b32_e64 v70, v69, v80, s11
	v_mov_b32_e32 v69, v68
	s_delay_alu instid0(VALU_DEP_3) | instskip(NEXT) | instid1(VALU_DEP_3)
	v_cmp_class_f32_e64 s1, v71, 0x1f8
	v_cmp_neq_f32_e32 vcc_lo, v71, v70
	s_delay_alu instid0(VALU_DEP_2) | instskip(NEXT) | instid1(SALU_CYCLE_1)
	s_or_b32 s2, vcc_lo, s1
	s_and_saveexec_b32 s1, s2
	s_cbranch_execz .LBB362_212
; %bb.211:
	v_sub_f32_e32 v69, v71, v70
	s_mov_b32 s2, 0x3e9b6dac
	s_delay_alu instid0(VALU_DEP_1) | instskip(SKIP_1) | instid1(VALU_DEP_2)
	v_mul_f32_e32 v71, 0x3fb8aa3b, v69
	v_cmp_ngt_f32_e32 vcc_lo, 0xc2ce8ed0, v69
	v_fma_f32 v80, 0x3fb8aa3b, v69, -v71
	v_rndne_f32_e32 v99, v71
	s_delay_alu instid0(VALU_DEP_1) | instskip(NEXT) | instid1(VALU_DEP_1)
	v_dual_fmamk_f32 v80, v69, 0x32a5705f, v80 :: v_dual_sub_f32 v71, v71, v99
	v_add_f32_e32 v71, v71, v80
	v_cvt_i32_f32_e32 v80, v99
	s_delay_alu instid0(VALU_DEP_2) | instskip(SKIP_2) | instid1(VALU_DEP_1)
	v_exp_f32_e32 v71, v71
	s_waitcnt_depctr 0xfff
	v_ldexp_f32 v71, v71, v80
	v_cndmask_b32_e32 v71, 0, v71, vcc_lo
	v_cmp_nlt_f32_e32 vcc_lo, 0x42b17218, v69
	s_delay_alu instid0(VALU_DEP_2) | instskip(NEXT) | instid1(VALU_DEP_1)
	v_cndmask_b32_e32 v69, 0x7f800000, v71, vcc_lo
	v_add_f32_e32 v71, 1.0, v69
	s_delay_alu instid0(VALU_DEP_1) | instskip(NEXT) | instid1(VALU_DEP_1)
	v_cvt_f64_f32_e32 v[99:100], v71
	v_frexp_exp_i32_f64_e32 v80, v[99:100]
	v_frexp_mant_f32_e32 v99, v71
	s_delay_alu instid0(VALU_DEP_1) | instskip(SKIP_1) | instid1(VALU_DEP_1)
	v_cmp_gt_f32_e32 vcc_lo, 0x3f2aaaab, v99
	v_add_f32_e32 v99, -1.0, v71
	v_sub_f32_e32 v102, v99, v71
	s_delay_alu instid0(VALU_DEP_1) | instskip(SKIP_1) | instid1(VALU_DEP_1)
	v_dual_sub_f32 v99, v69, v99 :: v_dual_add_f32 v102, 1.0, v102
	v_subrev_co_ci_u32_e32 v80, vcc_lo, 0, v80, vcc_lo
	v_sub_nc_u32_e32 v100, 0, v80
	v_cvt_f32_i32_e32 v80, v80
	s_delay_alu instid0(VALU_DEP_2) | instskip(SKIP_1) | instid1(VALU_DEP_2)
	v_ldexp_f32 v71, v71, v100
	v_add_f32_e32 v99, v99, v102
	v_add_f32_e32 v103, 1.0, v71
	s_delay_alu instid0(VALU_DEP_2) | instskip(SKIP_1) | instid1(VALU_DEP_3)
	v_ldexp_f32 v99, v99, v100
	v_add_f32_e32 v100, -1.0, v71
	v_add_f32_e32 v102, -1.0, v103
	s_delay_alu instid0(VALU_DEP_2) | instskip(NEXT) | instid1(VALU_DEP_2)
	v_add_f32_e32 v112, 1.0, v100
	v_sub_f32_e32 v102, v71, v102
	v_cmp_eq_f32_e32 vcc_lo, 0x7f800000, v69
	s_delay_alu instid0(VALU_DEP_2) | instskip(NEXT) | instid1(VALU_DEP_4)
	v_add_f32_e32 v102, v99, v102
	v_sub_f32_e32 v71, v71, v112
	s_delay_alu instid0(VALU_DEP_2) | instskip(NEXT) | instid1(VALU_DEP_1)
	v_add_f32_e32 v112, v103, v102
	v_sub_f32_e32 v103, v103, v112
	s_delay_alu instid0(VALU_DEP_1) | instskip(NEXT) | instid1(VALU_DEP_4)
	v_add_f32_e32 v102, v102, v103
	v_add_f32_e32 v71, v99, v71
	v_rcp_f32_e32 v99, v112
	s_delay_alu instid0(VALU_DEP_1) | instskip(NEXT) | instid1(VALU_DEP_1)
	v_add_f32_e32 v113, v100, v71
	v_sub_f32_e32 v100, v100, v113
	s_waitcnt_depctr 0xfff
	v_dual_mul_f32 v114, v113, v99 :: v_dual_add_f32 v71, v71, v100
	s_delay_alu instid0(VALU_DEP_1) | instskip(NEXT) | instid1(VALU_DEP_1)
	v_mul_f32_e32 v115, v112, v114
	v_fma_f32 v103, v114, v112, -v115
	s_delay_alu instid0(VALU_DEP_1) | instskip(NEXT) | instid1(VALU_DEP_1)
	v_fmac_f32_e32 v103, v114, v102
	v_add_f32_e32 v116, v115, v103
	s_delay_alu instid0(VALU_DEP_1) | instskip(NEXT) | instid1(VALU_DEP_1)
	v_sub_f32_e32 v117, v113, v116
	v_dual_sub_f32 v113, v113, v117 :: v_dual_sub_f32 v100, v116, v115
	s_delay_alu instid0(VALU_DEP_1) | instskip(NEXT) | instid1(VALU_DEP_1)
	v_dual_sub_f32 v113, v113, v116 :: v_dual_sub_f32 v100, v100, v103
	v_add_f32_e32 v71, v71, v113
	s_delay_alu instid0(VALU_DEP_1) | instskip(NEXT) | instid1(VALU_DEP_1)
	v_add_f32_e32 v71, v100, v71
	v_add_f32_e32 v100, v117, v71
	s_delay_alu instid0(VALU_DEP_1) | instskip(NEXT) | instid1(VALU_DEP_1)
	v_mul_f32_e32 v103, v99, v100
	v_dual_sub_f32 v116, v117, v100 :: v_dual_mul_f32 v113, v112, v103
	s_delay_alu instid0(VALU_DEP_1) | instskip(NEXT) | instid1(VALU_DEP_2)
	v_add_f32_e32 v71, v71, v116
	v_fma_f32 v112, v103, v112, -v113
	s_delay_alu instid0(VALU_DEP_1) | instskip(NEXT) | instid1(VALU_DEP_1)
	v_fmac_f32_e32 v112, v103, v102
	v_add_f32_e32 v102, v113, v112
	s_delay_alu instid0(VALU_DEP_1) | instskip(NEXT) | instid1(VALU_DEP_1)
	v_sub_f32_e32 v115, v100, v102
	v_dual_sub_f32 v113, v102, v113 :: v_dual_sub_f32 v100, v100, v115
	s_delay_alu instid0(VALU_DEP_1) | instskip(NEXT) | instid1(VALU_DEP_2)
	v_sub_f32_e32 v100, v100, v102
	v_sub_f32_e32 v102, v113, v112
	s_delay_alu instid0(VALU_DEP_2) | instskip(NEXT) | instid1(VALU_DEP_1)
	v_dual_add_f32 v71, v71, v100 :: v_dual_add_f32 v100, v114, v103
	v_dual_add_f32 v71, v102, v71 :: v_dual_sub_f32 v102, v100, v114
	s_delay_alu instid0(VALU_DEP_1) | instskip(NEXT) | instid1(VALU_DEP_2)
	v_add_f32_e32 v71, v115, v71
	v_sub_f32_e32 v102, v103, v102
	s_delay_alu instid0(VALU_DEP_2) | instskip(NEXT) | instid1(VALU_DEP_1)
	v_mul_f32_e32 v71, v99, v71
	v_add_f32_e32 v71, v102, v71
	s_delay_alu instid0(VALU_DEP_1) | instskip(NEXT) | instid1(VALU_DEP_1)
	v_add_f32_e32 v99, v100, v71
	v_mul_f32_e32 v102, v99, v99
	s_delay_alu instid0(VALU_DEP_1) | instskip(SKIP_2) | instid1(VALU_DEP_3)
	v_fmaak_f32 v103, s2, v102, 0x3ecc95a3
	v_mul_f32_e32 v112, v99, v102
	v_cmp_gt_f32_e64 s2, 0x33800000, |v69|
	v_fmaak_f32 v102, v102, v103, 0x3f2aaada
	v_ldexp_f32 v103, v99, 1
	v_sub_f32_e32 v99, v99, v100
	s_delay_alu instid0(VALU_DEP_4) | instskip(NEXT) | instid1(VALU_DEP_3)
	s_or_b32 vcc_lo, vcc_lo, s2
	v_mul_f32_e32 v102, v112, v102
	s_delay_alu instid0(VALU_DEP_2) | instskip(NEXT) | instid1(VALU_DEP_2)
	v_dual_mul_f32 v112, 0x3f317218, v80 :: v_dual_sub_f32 v71, v71, v99
	v_add_f32_e32 v100, v103, v102
	s_delay_alu instid0(VALU_DEP_2) | instskip(NEXT) | instid1(VALU_DEP_2)
	v_ldexp_f32 v71, v71, 1
	v_sub_f32_e32 v99, v100, v103
	s_delay_alu instid0(VALU_DEP_4) | instskip(NEXT) | instid1(VALU_DEP_1)
	v_fma_f32 v103, 0x3f317218, v80, -v112
	v_dual_sub_f32 v99, v102, v99 :: v_dual_fmamk_f32 v80, v80, 0xb102e308, v103
	s_delay_alu instid0(VALU_DEP_1) | instskip(NEXT) | instid1(VALU_DEP_2)
	v_add_f32_e32 v71, v71, v99
	v_add_f32_e32 v99, v112, v80
	s_delay_alu instid0(VALU_DEP_2) | instskip(NEXT) | instid1(VALU_DEP_2)
	v_add_f32_e32 v102, v100, v71
	v_sub_f32_e32 v112, v99, v112
	s_delay_alu instid0(VALU_DEP_2) | instskip(NEXT) | instid1(VALU_DEP_2)
	v_sub_f32_e32 v100, v102, v100
	v_sub_f32_e32 v80, v80, v112
	s_delay_alu instid0(VALU_DEP_2) | instskip(SKIP_1) | instid1(VALU_DEP_1)
	v_sub_f32_e32 v71, v71, v100
	v_add_f32_e32 v103, v99, v102
	v_sub_f32_e32 v113, v103, v99
	s_delay_alu instid0(VALU_DEP_1) | instskip(NEXT) | instid1(VALU_DEP_4)
	v_sub_f32_e32 v100, v102, v113
	v_add_f32_e32 v102, v80, v71
	v_sub_f32_e32 v114, v103, v113
	s_delay_alu instid0(VALU_DEP_1) | instskip(NEXT) | instid1(VALU_DEP_1)
	v_sub_f32_e32 v99, v99, v114
	v_dual_add_f32 v99, v100, v99 :: v_dual_sub_f32 v100, v102, v80
	s_delay_alu instid0(VALU_DEP_1) | instskip(NEXT) | instid1(VALU_DEP_2)
	v_add_f32_e32 v99, v102, v99
	v_sub_f32_e32 v102, v102, v100
	v_sub_f32_e32 v71, v71, v100
	s_delay_alu instid0(VALU_DEP_3) | instskip(NEXT) | instid1(VALU_DEP_3)
	v_add_f32_e32 v112, v103, v99
	v_sub_f32_e32 v80, v80, v102
	s_delay_alu instid0(VALU_DEP_1) | instskip(NEXT) | instid1(VALU_DEP_1)
	v_dual_sub_f32 v100, v112, v103 :: v_dual_add_f32 v71, v71, v80
	v_sub_f32_e32 v80, v99, v100
	s_delay_alu instid0(VALU_DEP_1) | instskip(NEXT) | instid1(VALU_DEP_1)
	v_add_f32_e32 v71, v71, v80
	v_add_f32_e32 v71, v112, v71
	s_delay_alu instid0(VALU_DEP_1) | instskip(NEXT) | instid1(VALU_DEP_1)
	v_cndmask_b32_e32 v69, v71, v69, vcc_lo
	v_add_f32_e32 v69, v70, v69
	s_delay_alu instid0(VALU_DEP_1) | instskip(NEXT) | instid1(VALU_DEP_1)
	v_cvt_f16_f32_e32 v99, v69
	v_cvt_f32_f16_e32 v100, v99
	v_mov_b32_e32 v69, v99
.LBB362_212:
	s_or_b32 exec_lo, exec_lo, s1
	s_delay_alu instid0(VALU_DEP_2) | instskip(SKIP_1) | instid1(VALU_DEP_2)
	v_dual_max_f32 v70, v81, v81 :: v_dual_max_f32 v71, v100, v100
	v_cmp_u_f16_e32 vcc_lo, v99, v99
	v_min_f32_e32 v80, v71, v70
	s_delay_alu instid0(VALU_DEP_1) | instskip(NEXT) | instid1(VALU_DEP_1)
	v_dual_max_f32 v70, v71, v70 :: v_dual_cndmask_b32 v71, v80, v100
	v_cndmask_b32_e32 v70, v70, v100, vcc_lo
	s_delay_alu instid0(VALU_DEP_2) | instskip(NEXT) | instid1(VALU_DEP_2)
	v_cndmask_b32_e64 v80, v71, v81, s13
	v_cndmask_b32_e64 v71, v70, v81, s13
	v_mov_b32_e32 v70, v69
	s_delay_alu instid0(VALU_DEP_3) | instskip(NEXT) | instid1(VALU_DEP_3)
	v_cmp_class_f32_e64 s1, v80, 0x1f8
	v_cmp_neq_f32_e32 vcc_lo, v80, v71
	s_delay_alu instid0(VALU_DEP_2) | instskip(NEXT) | instid1(SALU_CYCLE_1)
	s_or_b32 s2, vcc_lo, s1
	s_and_saveexec_b32 s1, s2
	s_cbranch_execz .LBB362_214
; %bb.213:
	v_sub_f32_e32 v70, v80, v71
	s_mov_b32 s2, 0x3e9b6dac
	s_delay_alu instid0(VALU_DEP_1) | instskip(SKIP_1) | instid1(VALU_DEP_2)
	v_mul_f32_e32 v80, 0x3fb8aa3b, v70
	v_cmp_ngt_f32_e32 vcc_lo, 0xc2ce8ed0, v70
	v_fma_f32 v81, 0x3fb8aa3b, v70, -v80
	v_rndne_f32_e32 v99, v80
	s_delay_alu instid0(VALU_DEP_1) | instskip(NEXT) | instid1(VALU_DEP_1)
	v_dual_fmamk_f32 v81, v70, 0x32a5705f, v81 :: v_dual_sub_f32 v80, v80, v99
	v_add_f32_e32 v80, v80, v81
	v_cvt_i32_f32_e32 v81, v99
	s_delay_alu instid0(VALU_DEP_2) | instskip(SKIP_2) | instid1(VALU_DEP_1)
	v_exp_f32_e32 v80, v80
	s_waitcnt_depctr 0xfff
	v_ldexp_f32 v80, v80, v81
	v_cndmask_b32_e32 v80, 0, v80, vcc_lo
	v_cmp_nlt_f32_e32 vcc_lo, 0x42b17218, v70
	s_delay_alu instid0(VALU_DEP_2) | instskip(NEXT) | instid1(VALU_DEP_1)
	v_cndmask_b32_e32 v70, 0x7f800000, v80, vcc_lo
	v_add_f32_e32 v99, 1.0, v70
	s_delay_alu instid0(VALU_DEP_1) | instskip(NEXT) | instid1(VALU_DEP_1)
	v_cvt_f64_f32_e32 v[80:81], v99
	v_frexp_exp_i32_f64_e32 v80, v[80:81]
	v_frexp_mant_f32_e32 v81, v99
	s_delay_alu instid0(VALU_DEP_1) | instskip(SKIP_1) | instid1(VALU_DEP_1)
	v_cmp_gt_f32_e32 vcc_lo, 0x3f2aaaab, v81
	v_add_f32_e32 v81, -1.0, v99
	v_sub_f32_e32 v102, v81, v99
	s_delay_alu instid0(VALU_DEP_1) | instskip(SKIP_1) | instid1(VALU_DEP_1)
	v_add_f32_e32 v102, 1.0, v102
	v_subrev_co_ci_u32_e32 v80, vcc_lo, 0, v80, vcc_lo
	v_sub_nc_u32_e32 v100, 0, v80
	v_cvt_f32_i32_e32 v80, v80
	s_delay_alu instid0(VALU_DEP_2) | instskip(NEXT) | instid1(VALU_DEP_1)
	v_ldexp_f32 v99, v99, v100
	v_add_f32_e32 v103, 1.0, v99
	v_sub_f32_e32 v81, v70, v81
	v_cmp_eq_f32_e32 vcc_lo, 0x7f800000, v70
	s_delay_alu instid0(VALU_DEP_2) | instskip(NEXT) | instid1(VALU_DEP_1)
	v_add_f32_e32 v81, v81, v102
	v_ldexp_f32 v81, v81, v100
	v_add_f32_e32 v100, -1.0, v99
	v_add_f32_e32 v102, -1.0, v103
	s_delay_alu instid0(VALU_DEP_2) | instskip(NEXT) | instid1(VALU_DEP_2)
	v_add_f32_e32 v112, 1.0, v100
	v_sub_f32_e32 v102, v99, v102
	s_delay_alu instid0(VALU_DEP_1) | instskip(NEXT) | instid1(VALU_DEP_1)
	v_dual_sub_f32 v99, v99, v112 :: v_dual_add_f32 v102, v81, v102
	v_dual_add_f32 v81, v81, v99 :: v_dual_add_f32 v112, v103, v102
	s_delay_alu instid0(VALU_DEP_1) | instskip(SKIP_1) | instid1(VALU_DEP_1)
	v_rcp_f32_e32 v99, v112
	v_sub_f32_e32 v103, v103, v112
	v_dual_add_f32 v113, v100, v81 :: v_dual_add_f32 v102, v102, v103
	s_delay_alu instid0(VALU_DEP_1) | instskip(SKIP_3) | instid1(VALU_DEP_2)
	v_sub_f32_e32 v100, v100, v113
	s_waitcnt_depctr 0xfff
	v_mul_f32_e32 v114, v113, v99
	v_add_f32_e32 v81, v81, v100
	v_mul_f32_e32 v115, v112, v114
	s_delay_alu instid0(VALU_DEP_1) | instskip(NEXT) | instid1(VALU_DEP_1)
	v_fma_f32 v103, v114, v112, -v115
	v_fmac_f32_e32 v103, v114, v102
	s_delay_alu instid0(VALU_DEP_1) | instskip(NEXT) | instid1(VALU_DEP_1)
	v_add_f32_e32 v116, v115, v103
	v_sub_f32_e32 v117, v113, v116
	s_delay_alu instid0(VALU_DEP_1) | instskip(NEXT) | instid1(VALU_DEP_1)
	v_sub_f32_e32 v113, v113, v117
	v_dual_sub_f32 v113, v113, v116 :: v_dual_sub_f32 v100, v116, v115
	s_delay_alu instid0(VALU_DEP_1) | instskip(NEXT) | instid1(VALU_DEP_1)
	v_dual_add_f32 v81, v81, v113 :: v_dual_sub_f32 v100, v100, v103
	v_add_f32_e32 v81, v100, v81
	s_delay_alu instid0(VALU_DEP_1) | instskip(NEXT) | instid1(VALU_DEP_1)
	v_add_f32_e32 v100, v117, v81
	v_mul_f32_e32 v103, v99, v100
	s_delay_alu instid0(VALU_DEP_1) | instskip(NEXT) | instid1(VALU_DEP_1)
	v_dual_mul_f32 v113, v112, v103 :: v_dual_sub_f32 v116, v117, v100
	v_fma_f32 v112, v103, v112, -v113
	s_delay_alu instid0(VALU_DEP_1) | instskip(NEXT) | instid1(VALU_DEP_1)
	v_dual_add_f32 v81, v81, v116 :: v_dual_fmac_f32 v112, v103, v102
	v_add_f32_e32 v102, v113, v112
	s_delay_alu instid0(VALU_DEP_1) | instskip(NEXT) | instid1(VALU_DEP_1)
	v_sub_f32_e32 v115, v100, v102
	v_dual_sub_f32 v113, v102, v113 :: v_dual_sub_f32 v100, v100, v115
	s_delay_alu instid0(VALU_DEP_1) | instskip(NEXT) | instid1(VALU_DEP_1)
	v_sub_f32_e32 v100, v100, v102
	v_dual_add_f32 v81, v81, v100 :: v_dual_add_f32 v100, v114, v103
	s_delay_alu instid0(VALU_DEP_3) | instskip(NEXT) | instid1(VALU_DEP_1)
	v_sub_f32_e32 v102, v113, v112
	v_dual_add_f32 v81, v102, v81 :: v_dual_sub_f32 v102, v100, v114
	s_delay_alu instid0(VALU_DEP_1) | instskip(NEXT) | instid1(VALU_DEP_2)
	v_add_f32_e32 v81, v115, v81
	v_sub_f32_e32 v102, v103, v102
	s_delay_alu instid0(VALU_DEP_2) | instskip(NEXT) | instid1(VALU_DEP_1)
	v_mul_f32_e32 v81, v99, v81
	v_add_f32_e32 v81, v102, v81
	s_delay_alu instid0(VALU_DEP_1) | instskip(NEXT) | instid1(VALU_DEP_1)
	v_add_f32_e32 v99, v100, v81
	v_mul_f32_e32 v102, v99, v99
	s_delay_alu instid0(VALU_DEP_1) | instskip(SKIP_2) | instid1(VALU_DEP_3)
	v_fmaak_f32 v103, s2, v102, 0x3ecc95a3
	v_mul_f32_e32 v112, v99, v102
	v_cmp_gt_f32_e64 s2, 0x33800000, |v70|
	v_fmaak_f32 v102, v102, v103, 0x3f2aaada
	v_ldexp_f32 v103, v99, 1
	v_sub_f32_e32 v99, v99, v100
	s_delay_alu instid0(VALU_DEP_4) | instskip(NEXT) | instid1(VALU_DEP_1)
	s_or_b32 vcc_lo, vcc_lo, s2
	v_sub_f32_e32 v81, v81, v99
	s_delay_alu instid0(VALU_DEP_1) | instskip(SKIP_1) | instid1(VALU_DEP_1)
	v_ldexp_f32 v81, v81, 1
	v_mul_f32_e32 v102, v112, v102
	v_add_f32_e32 v100, v103, v102
	s_delay_alu instid0(VALU_DEP_1) | instskip(NEXT) | instid1(VALU_DEP_1)
	v_sub_f32_e32 v99, v100, v103
	v_sub_f32_e32 v99, v102, v99
	s_delay_alu instid0(VALU_DEP_1) | instskip(NEXT) | instid1(VALU_DEP_1)
	v_add_f32_e32 v81, v81, v99
	v_add_f32_e32 v102, v100, v81
	v_mul_f32_e32 v112, 0x3f317218, v80
	s_delay_alu instid0(VALU_DEP_1) | instskip(NEXT) | instid1(VALU_DEP_1)
	v_fma_f32 v103, 0x3f317218, v80, -v112
	v_fmamk_f32 v80, v80, 0xb102e308, v103
	s_delay_alu instid0(VALU_DEP_1) | instskip(NEXT) | instid1(VALU_DEP_1)
	v_add_f32_e32 v99, v112, v80
	v_add_f32_e32 v103, v99, v102
	s_delay_alu instid0(VALU_DEP_1) | instskip(NEXT) | instid1(VALU_DEP_1)
	v_sub_f32_e32 v113, v103, v99
	v_sub_f32_e32 v114, v103, v113
	;; [unrolled: 1-line block ×3, first 2 shown]
	s_delay_alu instid0(VALU_DEP_1) | instskip(SKIP_1) | instid1(VALU_DEP_4)
	v_dual_sub_f32 v81, v81, v100 :: v_dual_sub_f32 v100, v102, v113
	v_sub_f32_e32 v112, v99, v112
	v_sub_f32_e32 v99, v99, v114
	s_delay_alu instid0(VALU_DEP_1) | instskip(NEXT) | instid1(VALU_DEP_3)
	v_add_f32_e32 v99, v100, v99
	v_sub_f32_e32 v80, v80, v112
	s_delay_alu instid0(VALU_DEP_1) | instskip(NEXT) | instid1(VALU_DEP_1)
	v_add_f32_e32 v102, v80, v81
	v_add_f32_e32 v99, v102, v99
	v_sub_f32_e32 v100, v102, v80
	s_delay_alu instid0(VALU_DEP_1) | instskip(SKIP_1) | instid1(VALU_DEP_2)
	v_dual_add_f32 v112, v103, v99 :: v_dual_sub_f32 v81, v81, v100
	v_sub_f32_e32 v102, v102, v100
	v_sub_f32_e32 v100, v112, v103
	s_delay_alu instid0(VALU_DEP_2) | instskip(NEXT) | instid1(VALU_DEP_1)
	v_sub_f32_e32 v80, v80, v102
	v_add_f32_e32 v80, v81, v80
	s_delay_alu instid0(VALU_DEP_3) | instskip(NEXT) | instid1(VALU_DEP_1)
	v_sub_f32_e32 v81, v99, v100
	v_add_f32_e32 v80, v80, v81
	s_delay_alu instid0(VALU_DEP_1) | instskip(NEXT) | instid1(VALU_DEP_1)
	v_add_f32_e32 v80, v112, v80
	v_cndmask_b32_e32 v70, v80, v70, vcc_lo
	s_delay_alu instid0(VALU_DEP_1) | instskip(NEXT) | instid1(VALU_DEP_1)
	v_add_f32_e32 v70, v71, v70
	v_cvt_f16_f32_e32 v99, v70
	s_delay_alu instid0(VALU_DEP_1)
	v_cvt_f32_f16_e32 v100, v99
	v_mov_b32_e32 v70, v99
.LBB362_214:
	s_or_b32 exec_lo, exec_lo, s1
	s_delay_alu instid0(VALU_DEP_2) | instskip(SKIP_1) | instid1(VALU_DEP_2)
	v_dual_max_f32 v71, v82, v82 :: v_dual_max_f32 v80, v100, v100
	v_cmp_u_f16_e32 vcc_lo, v99, v99
	v_min_f32_e32 v81, v80, v71
	s_delay_alu instid0(VALU_DEP_1) | instskip(NEXT) | instid1(VALU_DEP_1)
	v_dual_max_f32 v71, v80, v71 :: v_dual_cndmask_b32 v80, v81, v100
	v_cndmask_b32_e32 v71, v71, v100, vcc_lo
	s_delay_alu instid0(VALU_DEP_2) | instskip(NEXT) | instid1(VALU_DEP_2)
	v_cndmask_b32_e64 v81, v80, v82, s14
	v_cndmask_b32_e64 v80, v71, v82, s14
	v_mov_b32_e32 v71, v70
	s_delay_alu instid0(VALU_DEP_3) | instskip(NEXT) | instid1(VALU_DEP_3)
	v_cmp_class_f32_e64 s1, v81, 0x1f8
	v_cmp_neq_f32_e32 vcc_lo, v81, v80
	s_delay_alu instid0(VALU_DEP_2) | instskip(NEXT) | instid1(SALU_CYCLE_1)
	s_or_b32 s2, vcc_lo, s1
	s_and_saveexec_b32 s1, s2
	s_cbranch_execz .LBB362_216
; %bb.215:
	v_sub_f32_e32 v71, v81, v80
	s_mov_b32 s2, 0x3e9b6dac
	s_delay_alu instid0(VALU_DEP_1) | instskip(SKIP_1) | instid1(VALU_DEP_2)
	v_mul_f32_e32 v81, 0x3fb8aa3b, v71
	v_cmp_ngt_f32_e32 vcc_lo, 0xc2ce8ed0, v71
	v_fma_f32 v82, 0x3fb8aa3b, v71, -v81
	v_rndne_f32_e32 v99, v81
	s_delay_alu instid0(VALU_DEP_1) | instskip(NEXT) | instid1(VALU_DEP_1)
	v_dual_fmamk_f32 v82, v71, 0x32a5705f, v82 :: v_dual_sub_f32 v81, v81, v99
	v_add_f32_e32 v81, v81, v82
	v_cvt_i32_f32_e32 v82, v99
	s_delay_alu instid0(VALU_DEP_2) | instskip(SKIP_2) | instid1(VALU_DEP_1)
	v_exp_f32_e32 v81, v81
	s_waitcnt_depctr 0xfff
	v_ldexp_f32 v81, v81, v82
	v_cndmask_b32_e32 v81, 0, v81, vcc_lo
	v_cmp_nlt_f32_e32 vcc_lo, 0x42b17218, v71
	s_delay_alu instid0(VALU_DEP_2) | instskip(NEXT) | instid1(VALU_DEP_1)
	v_cndmask_b32_e32 v71, 0x7f800000, v81, vcc_lo
	v_add_f32_e32 v99, 1.0, v71
	s_delay_alu instid0(VALU_DEP_1) | instskip(NEXT) | instid1(VALU_DEP_1)
	v_cvt_f64_f32_e32 v[81:82], v99
	v_frexp_exp_i32_f64_e32 v81, v[81:82]
	v_frexp_mant_f32_e32 v82, v99
	s_delay_alu instid0(VALU_DEP_1) | instskip(SKIP_1) | instid1(VALU_DEP_1)
	v_cmp_gt_f32_e32 vcc_lo, 0x3f2aaaab, v82
	v_add_f32_e32 v82, -1.0, v99
	v_sub_f32_e32 v102, v82, v99
	v_sub_f32_e32 v82, v71, v82
	s_delay_alu instid0(VALU_DEP_2) | instskip(NEXT) | instid1(VALU_DEP_1)
	v_add_f32_e32 v102, 1.0, v102
	v_add_f32_e32 v82, v82, v102
	v_subrev_co_ci_u32_e32 v81, vcc_lo, 0, v81, vcc_lo
	v_cmp_eq_f32_e32 vcc_lo, 0x7f800000, v71
	s_delay_alu instid0(VALU_DEP_2) | instskip(SKIP_1) | instid1(VALU_DEP_2)
	v_sub_nc_u32_e32 v100, 0, v81
	v_cvt_f32_i32_e32 v81, v81
	v_ldexp_f32 v99, v99, v100
	v_ldexp_f32 v82, v82, v100
	s_delay_alu instid0(VALU_DEP_2) | instskip(SKIP_1) | instid1(VALU_DEP_1)
	v_add_f32_e32 v103, 1.0, v99
	v_add_f32_e32 v100, -1.0, v99
	v_add_f32_e32 v112, 1.0, v100
	s_delay_alu instid0(VALU_DEP_3) | instskip(NEXT) | instid1(VALU_DEP_1)
	v_add_f32_e32 v102, -1.0, v103
	v_sub_f32_e32 v102, v99, v102
	s_delay_alu instid0(VALU_DEP_1) | instskip(NEXT) | instid1(VALU_DEP_1)
	v_dual_sub_f32 v99, v99, v112 :: v_dual_add_f32 v102, v82, v102
	v_add_f32_e32 v112, v103, v102
	s_delay_alu instid0(VALU_DEP_2) | instskip(NEXT) | instid1(VALU_DEP_2)
	v_add_f32_e32 v82, v82, v99
	v_rcp_f32_e32 v99, v112
	v_sub_f32_e32 v103, v103, v112
	s_delay_alu instid0(VALU_DEP_1) | instskip(NEXT) | instid1(VALU_DEP_1)
	v_dual_add_f32 v113, v100, v82 :: v_dual_add_f32 v102, v102, v103
	v_sub_f32_e32 v100, v100, v113
	s_waitcnt_depctr 0xfff
	v_mul_f32_e32 v114, v113, v99
	s_delay_alu instid0(VALU_DEP_1) | instskip(NEXT) | instid1(VALU_DEP_1)
	v_mul_f32_e32 v115, v112, v114
	v_fma_f32 v103, v114, v112, -v115
	s_delay_alu instid0(VALU_DEP_1) | instskip(NEXT) | instid1(VALU_DEP_1)
	v_fmac_f32_e32 v103, v114, v102
	v_add_f32_e32 v116, v115, v103
	s_delay_alu instid0(VALU_DEP_1) | instskip(NEXT) | instid1(VALU_DEP_1)
	v_sub_f32_e32 v117, v113, v116
	v_dual_sub_f32 v113, v113, v117 :: v_dual_add_f32 v82, v82, v100
	s_delay_alu instid0(VALU_DEP_1) | instskip(NEXT) | instid1(VALU_DEP_1)
	v_dual_sub_f32 v100, v116, v115 :: v_dual_sub_f32 v113, v113, v116
	v_sub_f32_e32 v100, v100, v103
	s_delay_alu instid0(VALU_DEP_2) | instskip(NEXT) | instid1(VALU_DEP_1)
	v_add_f32_e32 v82, v82, v113
	v_add_f32_e32 v82, v100, v82
	s_delay_alu instid0(VALU_DEP_1) | instskip(NEXT) | instid1(VALU_DEP_1)
	v_add_f32_e32 v100, v117, v82
	v_mul_f32_e32 v103, v99, v100
	s_delay_alu instid0(VALU_DEP_1) | instskip(NEXT) | instid1(VALU_DEP_1)
	v_dual_sub_f32 v116, v117, v100 :: v_dual_mul_f32 v113, v112, v103
	v_add_f32_e32 v82, v82, v116
	s_delay_alu instid0(VALU_DEP_2) | instskip(NEXT) | instid1(VALU_DEP_1)
	v_fma_f32 v112, v103, v112, -v113
	v_fmac_f32_e32 v112, v103, v102
	s_delay_alu instid0(VALU_DEP_1) | instskip(NEXT) | instid1(VALU_DEP_1)
	v_add_f32_e32 v102, v113, v112
	v_sub_f32_e32 v115, v100, v102
	s_delay_alu instid0(VALU_DEP_1) | instskip(NEXT) | instid1(VALU_DEP_1)
	v_dual_sub_f32 v113, v102, v113 :: v_dual_sub_f32 v100, v100, v115
	v_sub_f32_e32 v100, v100, v102
	s_delay_alu instid0(VALU_DEP_2) | instskip(NEXT) | instid1(VALU_DEP_2)
	v_sub_f32_e32 v102, v113, v112
	v_add_f32_e32 v82, v82, v100
	v_add_f32_e32 v100, v114, v103
	s_delay_alu instid0(VALU_DEP_2) | instskip(NEXT) | instid1(VALU_DEP_2)
	v_add_f32_e32 v82, v102, v82
	v_sub_f32_e32 v102, v100, v114
	s_delay_alu instid0(VALU_DEP_2) | instskip(NEXT) | instid1(VALU_DEP_2)
	v_add_f32_e32 v82, v115, v82
	v_sub_f32_e32 v102, v103, v102
	s_delay_alu instid0(VALU_DEP_2) | instskip(NEXT) | instid1(VALU_DEP_1)
	v_mul_f32_e32 v82, v99, v82
	v_add_f32_e32 v82, v102, v82
	s_delay_alu instid0(VALU_DEP_1) | instskip(NEXT) | instid1(VALU_DEP_1)
	v_add_f32_e32 v99, v100, v82
	v_mul_f32_e32 v102, v99, v99
	s_delay_alu instid0(VALU_DEP_1) | instskip(SKIP_2) | instid1(VALU_DEP_3)
	v_fmaak_f32 v103, s2, v102, 0x3ecc95a3
	v_mul_f32_e32 v112, v99, v102
	v_cmp_gt_f32_e64 s2, 0x33800000, |v71|
	v_fmaak_f32 v102, v102, v103, 0x3f2aaada
	v_ldexp_f32 v103, v99, 1
	v_sub_f32_e32 v99, v99, v100
	s_delay_alu instid0(VALU_DEP_4) | instskip(NEXT) | instid1(VALU_DEP_3)
	s_or_b32 vcc_lo, vcc_lo, s2
	v_mul_f32_e32 v102, v112, v102
	v_mul_f32_e32 v112, 0x3f317218, v81
	s_delay_alu instid0(VALU_DEP_3) | instskip(NEXT) | instid1(VALU_DEP_3)
	v_sub_f32_e32 v82, v82, v99
	v_add_f32_e32 v100, v103, v102
	s_delay_alu instid0(VALU_DEP_2) | instskip(NEXT) | instid1(VALU_DEP_2)
	v_ldexp_f32 v82, v82, 1
	v_sub_f32_e32 v99, v100, v103
	v_fma_f32 v103, 0x3f317218, v81, -v112
	s_delay_alu instid0(VALU_DEP_2) | instskip(NEXT) | instid1(VALU_DEP_1)
	v_sub_f32_e32 v99, v102, v99
	v_dual_fmamk_f32 v81, v81, 0xb102e308, v103 :: v_dual_add_f32 v82, v82, v99
	s_delay_alu instid0(VALU_DEP_1) | instskip(NEXT) | instid1(VALU_DEP_2)
	v_add_f32_e32 v99, v112, v81
	v_add_f32_e32 v102, v100, v82
	s_delay_alu instid0(VALU_DEP_2) | instskip(NEXT) | instid1(VALU_DEP_2)
	v_sub_f32_e32 v112, v99, v112
	v_dual_add_f32 v103, v99, v102 :: v_dual_sub_f32 v100, v102, v100
	s_delay_alu instid0(VALU_DEP_2) | instskip(NEXT) | instid1(VALU_DEP_2)
	v_sub_f32_e32 v81, v81, v112
	v_dual_sub_f32 v113, v103, v99 :: v_dual_sub_f32 v82, v82, v100
	s_delay_alu instid0(VALU_DEP_1) | instskip(SKIP_1) | instid1(VALU_DEP_3)
	v_sub_f32_e32 v114, v103, v113
	v_sub_f32_e32 v100, v102, v113
	v_add_f32_e32 v102, v81, v82
	s_delay_alu instid0(VALU_DEP_3) | instskip(NEXT) | instid1(VALU_DEP_1)
	v_sub_f32_e32 v99, v99, v114
	v_dual_add_f32 v99, v100, v99 :: v_dual_sub_f32 v100, v102, v81
	s_delay_alu instid0(VALU_DEP_1) | instskip(NEXT) | instid1(VALU_DEP_2)
	v_add_f32_e32 v99, v102, v99
	v_sub_f32_e32 v102, v102, v100
	v_sub_f32_e32 v82, v82, v100
	s_delay_alu instid0(VALU_DEP_2) | instskip(NEXT) | instid1(VALU_DEP_1)
	v_dual_add_f32 v112, v103, v99 :: v_dual_sub_f32 v81, v81, v102
	v_dual_sub_f32 v100, v112, v103 :: v_dual_add_f32 v81, v82, v81
	s_delay_alu instid0(VALU_DEP_1) | instskip(NEXT) | instid1(VALU_DEP_1)
	v_sub_f32_e32 v82, v99, v100
	v_add_f32_e32 v81, v81, v82
	s_delay_alu instid0(VALU_DEP_1) | instskip(NEXT) | instid1(VALU_DEP_1)
	v_add_f32_e32 v81, v112, v81
	v_cndmask_b32_e32 v71, v81, v71, vcc_lo
	s_delay_alu instid0(VALU_DEP_1) | instskip(NEXT) | instid1(VALU_DEP_1)
	v_add_f32_e32 v71, v80, v71
	v_cvt_f16_f32_e32 v99, v71
	s_delay_alu instid0(VALU_DEP_1)
	v_cvt_f32_f16_e32 v100, v99
	v_mov_b32_e32 v71, v99
.LBB362_216:
	s_or_b32 exec_lo, exec_lo, s1
	s_delay_alu instid0(VALU_DEP_2) | instskip(SKIP_1) | instid1(VALU_DEP_2)
	v_dual_max_f32 v80, v83, v83 :: v_dual_max_f32 v81, v100, v100
	v_cmp_u_f16_e32 vcc_lo, v99, v99
	v_min_f32_e32 v82, v81, v80
	v_max_f32_e32 v80, v81, v80
	s_delay_alu instid0(VALU_DEP_2) | instskip(NEXT) | instid1(VALU_DEP_2)
	v_cndmask_b32_e32 v81, v82, v100, vcc_lo
	v_cndmask_b32_e32 v80, v80, v100, vcc_lo
	s_delay_alu instid0(VALU_DEP_2) | instskip(NEXT) | instid1(VALU_DEP_2)
	v_cndmask_b32_e64 v82, v81, v83, s15
	v_cndmask_b32_e64 v81, v80, v83, s15
	v_mov_b32_e32 v80, v71
	s_delay_alu instid0(VALU_DEP_3) | instskip(NEXT) | instid1(VALU_DEP_3)
	v_cmp_class_f32_e64 s1, v82, 0x1f8
	v_cmp_neq_f32_e32 vcc_lo, v82, v81
	s_delay_alu instid0(VALU_DEP_2) | instskip(NEXT) | instid1(SALU_CYCLE_1)
	s_or_b32 s2, vcc_lo, s1
	s_and_saveexec_b32 s1, s2
	s_cbranch_execz .LBB362_218
; %bb.217:
	v_sub_f32_e32 v80, v82, v81
	s_mov_b32 s2, 0x3e9b6dac
	s_delay_alu instid0(VALU_DEP_1) | instskip(SKIP_1) | instid1(VALU_DEP_2)
	v_mul_f32_e32 v82, 0x3fb8aa3b, v80
	v_cmp_ngt_f32_e32 vcc_lo, 0xc2ce8ed0, v80
	v_fma_f32 v83, 0x3fb8aa3b, v80, -v82
	v_rndne_f32_e32 v99, v82
	s_delay_alu instid0(VALU_DEP_1) | instskip(NEXT) | instid1(VALU_DEP_1)
	v_dual_fmamk_f32 v83, v80, 0x32a5705f, v83 :: v_dual_sub_f32 v82, v82, v99
	v_add_f32_e32 v82, v82, v83
	v_cvt_i32_f32_e32 v83, v99
	s_delay_alu instid0(VALU_DEP_2) | instskip(SKIP_2) | instid1(VALU_DEP_1)
	v_exp_f32_e32 v82, v82
	s_waitcnt_depctr 0xfff
	v_ldexp_f32 v82, v82, v83
	v_cndmask_b32_e32 v82, 0, v82, vcc_lo
	v_cmp_nlt_f32_e32 vcc_lo, 0x42b17218, v80
	s_delay_alu instid0(VALU_DEP_2) | instskip(NEXT) | instid1(VALU_DEP_1)
	v_cndmask_b32_e32 v80, 0x7f800000, v82, vcc_lo
	v_add_f32_e32 v99, 1.0, v80
	s_delay_alu instid0(VALU_DEP_1) | instskip(NEXT) | instid1(VALU_DEP_1)
	v_cvt_f64_f32_e32 v[82:83], v99
	v_frexp_exp_i32_f64_e32 v82, v[82:83]
	v_frexp_mant_f32_e32 v83, v99
	s_delay_alu instid0(VALU_DEP_1) | instskip(SKIP_1) | instid1(VALU_DEP_1)
	v_cmp_gt_f32_e32 vcc_lo, 0x3f2aaaab, v83
	v_add_f32_e32 v83, -1.0, v99
	v_sub_f32_e32 v102, v83, v99
	s_delay_alu instid0(VALU_DEP_1) | instskip(SKIP_1) | instid1(VALU_DEP_1)
	v_dual_sub_f32 v83, v80, v83 :: v_dual_add_f32 v102, 1.0, v102
	v_subrev_co_ci_u32_e32 v82, vcc_lo, 0, v82, vcc_lo
	v_sub_nc_u32_e32 v100, 0, v82
	v_cvt_f32_i32_e32 v82, v82
	s_delay_alu instid0(VALU_DEP_2) | instskip(NEXT) | instid1(VALU_DEP_1)
	v_ldexp_f32 v99, v99, v100
	v_add_f32_e32 v103, 1.0, v99
	s_delay_alu instid0(VALU_DEP_1) | instskip(NEXT) | instid1(VALU_DEP_1)
	v_dual_add_f32 v83, v83, v102 :: v_dual_add_f32 v102, -1.0, v103
	v_ldexp_f32 v83, v83, v100
	v_add_f32_e32 v100, -1.0, v99
	s_delay_alu instid0(VALU_DEP_3) | instskip(NEXT) | instid1(VALU_DEP_2)
	v_sub_f32_e32 v102, v99, v102
	v_add_f32_e32 v112, 1.0, v100
	s_delay_alu instid0(VALU_DEP_2) | instskip(NEXT) | instid1(VALU_DEP_2)
	v_add_f32_e32 v102, v83, v102
	v_sub_f32_e32 v99, v99, v112
	v_cmp_eq_f32_e32 vcc_lo, 0x7f800000, v80
	s_delay_alu instid0(VALU_DEP_3) | instskip(NEXT) | instid1(VALU_DEP_3)
	v_add_f32_e32 v112, v103, v102
	v_add_f32_e32 v83, v83, v99
	s_delay_alu instid0(VALU_DEP_2) | instskip(SKIP_1) | instid1(VALU_DEP_2)
	v_rcp_f32_e32 v99, v112
	v_sub_f32_e32 v103, v103, v112
	v_add_f32_e32 v113, v100, v83
	s_delay_alu instid0(VALU_DEP_2) | instskip(NEXT) | instid1(VALU_DEP_2)
	v_add_f32_e32 v102, v102, v103
	v_sub_f32_e32 v100, v100, v113
	s_waitcnt_depctr 0xfff
	v_dual_mul_f32 v114, v113, v99 :: v_dual_add_f32 v83, v83, v100
	s_delay_alu instid0(VALU_DEP_1) | instskip(NEXT) | instid1(VALU_DEP_1)
	v_mul_f32_e32 v115, v112, v114
	v_fma_f32 v103, v114, v112, -v115
	s_delay_alu instid0(VALU_DEP_1) | instskip(NEXT) | instid1(VALU_DEP_1)
	v_fmac_f32_e32 v103, v114, v102
	v_add_f32_e32 v116, v115, v103
	s_delay_alu instid0(VALU_DEP_1) | instskip(NEXT) | instid1(VALU_DEP_1)
	v_sub_f32_e32 v117, v113, v116
	v_sub_f32_e32 v113, v113, v117
	s_delay_alu instid0(VALU_DEP_1) | instskip(NEXT) | instid1(VALU_DEP_1)
	v_dual_sub_f32 v113, v113, v116 :: v_dual_sub_f32 v100, v116, v115
	v_dual_add_f32 v83, v83, v113 :: v_dual_sub_f32 v100, v100, v103
	s_delay_alu instid0(VALU_DEP_1) | instskip(NEXT) | instid1(VALU_DEP_1)
	v_add_f32_e32 v83, v100, v83
	v_add_f32_e32 v100, v117, v83
	s_delay_alu instid0(VALU_DEP_1) | instskip(NEXT) | instid1(VALU_DEP_1)
	v_mul_f32_e32 v103, v99, v100
	v_dual_sub_f32 v116, v117, v100 :: v_dual_mul_f32 v113, v112, v103
	s_delay_alu instid0(VALU_DEP_1) | instskip(NEXT) | instid1(VALU_DEP_1)
	v_fma_f32 v112, v103, v112, -v113
	v_fmac_f32_e32 v112, v103, v102
	s_delay_alu instid0(VALU_DEP_3) | instskip(NEXT) | instid1(VALU_DEP_2)
	v_add_f32_e32 v83, v83, v116
	v_add_f32_e32 v102, v113, v112
	s_delay_alu instid0(VALU_DEP_1) | instskip(NEXT) | instid1(VALU_DEP_1)
	v_sub_f32_e32 v115, v100, v102
	v_dual_sub_f32 v113, v102, v113 :: v_dual_sub_f32 v100, v100, v115
	s_delay_alu instid0(VALU_DEP_1) | instskip(NEXT) | instid1(VALU_DEP_2)
	v_sub_f32_e32 v100, v100, v102
	v_sub_f32_e32 v102, v113, v112
	s_delay_alu instid0(VALU_DEP_2) | instskip(NEXT) | instid1(VALU_DEP_1)
	v_dual_add_f32 v83, v83, v100 :: v_dual_add_f32 v100, v114, v103
	v_dual_add_f32 v83, v102, v83 :: v_dual_sub_f32 v102, v100, v114
	s_delay_alu instid0(VALU_DEP_1) | instskip(NEXT) | instid1(VALU_DEP_2)
	v_add_f32_e32 v83, v115, v83
	v_sub_f32_e32 v102, v103, v102
	s_delay_alu instid0(VALU_DEP_2) | instskip(NEXT) | instid1(VALU_DEP_1)
	v_mul_f32_e32 v83, v99, v83
	v_add_f32_e32 v83, v102, v83
	s_delay_alu instid0(VALU_DEP_1) | instskip(NEXT) | instid1(VALU_DEP_1)
	v_add_f32_e32 v99, v100, v83
	v_mul_f32_e32 v102, v99, v99
	s_delay_alu instid0(VALU_DEP_1) | instskip(SKIP_2) | instid1(VALU_DEP_3)
	v_fmaak_f32 v103, s2, v102, 0x3ecc95a3
	v_mul_f32_e32 v112, v99, v102
	v_cmp_gt_f32_e64 s2, 0x33800000, |v80|
	v_fmaak_f32 v102, v102, v103, 0x3f2aaada
	v_ldexp_f32 v103, v99, 1
	v_sub_f32_e32 v99, v99, v100
	s_delay_alu instid0(VALU_DEP_4) | instskip(NEXT) | instid1(VALU_DEP_1)
	s_or_b32 vcc_lo, vcc_lo, s2
	v_dual_mul_f32 v102, v112, v102 :: v_dual_sub_f32 v83, v83, v99
	s_delay_alu instid0(VALU_DEP_1) | instskip(SKIP_1) | instid1(VALU_DEP_3)
	v_add_f32_e32 v100, v103, v102
	v_mul_f32_e32 v112, 0x3f317218, v82
	v_ldexp_f32 v83, v83, 1
	s_delay_alu instid0(VALU_DEP_3) | instskip(NEXT) | instid1(VALU_DEP_3)
	v_sub_f32_e32 v99, v100, v103
	v_fma_f32 v103, 0x3f317218, v82, -v112
	s_delay_alu instid0(VALU_DEP_2) | instskip(NEXT) | instid1(VALU_DEP_1)
	v_sub_f32_e32 v99, v102, v99
	v_dual_fmamk_f32 v82, v82, 0xb102e308, v103 :: v_dual_add_f32 v83, v83, v99
	s_delay_alu instid0(VALU_DEP_1) | instskip(NEXT) | instid1(VALU_DEP_2)
	v_add_f32_e32 v99, v112, v82
	v_add_f32_e32 v102, v100, v83
	s_delay_alu instid0(VALU_DEP_2) | instskip(NEXT) | instid1(VALU_DEP_1)
	v_sub_f32_e32 v112, v99, v112
	v_dual_add_f32 v103, v99, v102 :: v_dual_sub_f32 v82, v82, v112
	s_delay_alu instid0(VALU_DEP_1) | instskip(NEXT) | instid1(VALU_DEP_1)
	v_sub_f32_e32 v113, v103, v99
	v_sub_f32_e32 v114, v103, v113
	s_delay_alu instid0(VALU_DEP_1) | instskip(NEXT) | instid1(VALU_DEP_1)
	v_dual_sub_f32 v99, v99, v114 :: v_dual_sub_f32 v100, v102, v100
	v_dual_sub_f32 v83, v83, v100 :: v_dual_sub_f32 v100, v102, v113
	s_delay_alu instid0(VALU_DEP_1) | instskip(NEXT) | instid1(VALU_DEP_1)
	v_add_f32_e32 v102, v82, v83
	v_dual_add_f32 v99, v100, v99 :: v_dual_sub_f32 v100, v102, v82
	s_delay_alu instid0(VALU_DEP_1) | instskip(NEXT) | instid1(VALU_DEP_2)
	v_sub_f32_e32 v83, v83, v100
	v_add_f32_e32 v99, v102, v99
	v_sub_f32_e32 v102, v102, v100
	s_delay_alu instid0(VALU_DEP_2) | instskip(NEXT) | instid1(VALU_DEP_1)
	v_add_f32_e32 v112, v103, v99
	v_sub_f32_e32 v100, v112, v103
	s_delay_alu instid0(VALU_DEP_3) | instskip(NEXT) | instid1(VALU_DEP_1)
	v_sub_f32_e32 v82, v82, v102
	v_add_f32_e32 v82, v83, v82
	s_delay_alu instid0(VALU_DEP_3) | instskip(NEXT) | instid1(VALU_DEP_1)
	v_sub_f32_e32 v83, v99, v100
	v_add_f32_e32 v82, v82, v83
	s_delay_alu instid0(VALU_DEP_1) | instskip(NEXT) | instid1(VALU_DEP_1)
	v_add_f32_e32 v82, v112, v82
	v_cndmask_b32_e32 v80, v82, v80, vcc_lo
	s_delay_alu instid0(VALU_DEP_1) | instskip(NEXT) | instid1(VALU_DEP_1)
	v_add_f32_e32 v80, v81, v80
	v_cvt_f16_f32_e32 v99, v80
	s_delay_alu instid0(VALU_DEP_1)
	v_cvt_f32_f16_e32 v100, v99
	v_mov_b32_e32 v80, v99
.LBB362_218:
	s_or_b32 exec_lo, exec_lo, s1
	v_max_f32_e32 v81, v84, v84
	s_delay_alu instid0(VALU_DEP_3) | instskip(SKIP_1) | instid1(VALU_DEP_2)
	v_max_f32_e32 v82, v100, v100
	v_cmp_u_f16_e32 vcc_lo, v99, v99
	v_min_f32_e32 v83, v82, v81
	s_delay_alu instid0(VALU_DEP_1) | instskip(NEXT) | instid1(VALU_DEP_1)
	v_dual_max_f32 v81, v82, v81 :: v_dual_cndmask_b32 v82, v83, v100
	v_cndmask_b32_e32 v81, v81, v100, vcc_lo
	s_delay_alu instid0(VALU_DEP_2) | instskip(NEXT) | instid1(VALU_DEP_2)
	v_cndmask_b32_e64 v83, v82, v84, s16
	v_cndmask_b32_e64 v82, v81, v84, s16
	v_mov_b32_e32 v81, v80
	s_delay_alu instid0(VALU_DEP_3) | instskip(NEXT) | instid1(VALU_DEP_3)
	v_cmp_class_f32_e64 s1, v83, 0x1f8
	v_cmp_neq_f32_e32 vcc_lo, v83, v82
	s_delay_alu instid0(VALU_DEP_2) | instskip(NEXT) | instid1(SALU_CYCLE_1)
	s_or_b32 s2, vcc_lo, s1
	s_and_saveexec_b32 s1, s2
	s_cbranch_execz .LBB362_220
; %bb.219:
	v_sub_f32_e32 v81, v83, v82
	s_mov_b32 s2, 0x3e9b6dac
	s_delay_alu instid0(VALU_DEP_1) | instskip(SKIP_1) | instid1(VALU_DEP_2)
	v_mul_f32_e32 v83, 0x3fb8aa3b, v81
	v_cmp_ngt_f32_e32 vcc_lo, 0xc2ce8ed0, v81
	v_fma_f32 v84, 0x3fb8aa3b, v81, -v83
	v_rndne_f32_e32 v99, v83
	s_delay_alu instid0(VALU_DEP_1) | instskip(NEXT) | instid1(VALU_DEP_1)
	v_dual_fmamk_f32 v84, v81, 0x32a5705f, v84 :: v_dual_sub_f32 v83, v83, v99
	v_add_f32_e32 v83, v83, v84
	v_cvt_i32_f32_e32 v84, v99
	s_delay_alu instid0(VALU_DEP_2) | instskip(SKIP_2) | instid1(VALU_DEP_1)
	v_exp_f32_e32 v83, v83
	s_waitcnt_depctr 0xfff
	v_ldexp_f32 v83, v83, v84
	v_cndmask_b32_e32 v83, 0, v83, vcc_lo
	v_cmp_nlt_f32_e32 vcc_lo, 0x42b17218, v81
	s_delay_alu instid0(VALU_DEP_2) | instskip(NEXT) | instid1(VALU_DEP_1)
	v_cndmask_b32_e32 v81, 0x7f800000, v83, vcc_lo
	v_add_f32_e32 v99, 1.0, v81
	s_delay_alu instid0(VALU_DEP_1) | instskip(NEXT) | instid1(VALU_DEP_1)
	v_cvt_f64_f32_e32 v[83:84], v99
	v_frexp_exp_i32_f64_e32 v83, v[83:84]
	v_frexp_mant_f32_e32 v84, v99
	s_delay_alu instid0(VALU_DEP_1) | instskip(SKIP_1) | instid1(VALU_DEP_1)
	v_cmp_gt_f32_e32 vcc_lo, 0x3f2aaaab, v84
	v_add_f32_e32 v84, -1.0, v99
	v_sub_f32_e32 v102, v84, v99
	v_sub_f32_e32 v84, v81, v84
	s_delay_alu instid0(VALU_DEP_2) | instskip(NEXT) | instid1(VALU_DEP_1)
	v_add_f32_e32 v102, 1.0, v102
	v_add_f32_e32 v84, v84, v102
	v_subrev_co_ci_u32_e32 v83, vcc_lo, 0, v83, vcc_lo
	v_cmp_eq_f32_e32 vcc_lo, 0x7f800000, v81
	s_delay_alu instid0(VALU_DEP_2) | instskip(SKIP_1) | instid1(VALU_DEP_2)
	v_sub_nc_u32_e32 v100, 0, v83
	v_cvt_f32_i32_e32 v83, v83
	v_ldexp_f32 v99, v99, v100
	v_ldexp_f32 v84, v84, v100
	s_delay_alu instid0(VALU_DEP_2) | instskip(SKIP_1) | instid1(VALU_DEP_2)
	v_add_f32_e32 v103, 1.0, v99
	v_add_f32_e32 v100, -1.0, v99
	v_add_f32_e32 v102, -1.0, v103
	s_delay_alu instid0(VALU_DEP_2) | instskip(NEXT) | instid1(VALU_DEP_2)
	v_add_f32_e32 v112, 1.0, v100
	v_sub_f32_e32 v102, v99, v102
	s_delay_alu instid0(VALU_DEP_1) | instskip(NEXT) | instid1(VALU_DEP_1)
	v_dual_sub_f32 v99, v99, v112 :: v_dual_add_f32 v102, v84, v102
	v_add_f32_e32 v84, v84, v99
	s_delay_alu instid0(VALU_DEP_1) | instskip(NEXT) | instid1(VALU_DEP_1)
	v_dual_add_f32 v112, v103, v102 :: v_dual_add_f32 v113, v100, v84
	v_rcp_f32_e32 v99, v112
	v_sub_f32_e32 v103, v103, v112
	s_delay_alu instid0(VALU_DEP_1) | instskip(SKIP_2) | instid1(VALU_DEP_1)
	v_add_f32_e32 v102, v102, v103
	s_waitcnt_depctr 0xfff
	v_mul_f32_e32 v114, v113, v99
	v_mul_f32_e32 v115, v112, v114
	s_delay_alu instid0(VALU_DEP_1) | instskip(NEXT) | instid1(VALU_DEP_1)
	v_fma_f32 v103, v114, v112, -v115
	v_fmac_f32_e32 v103, v114, v102
	s_delay_alu instid0(VALU_DEP_1) | instskip(NEXT) | instid1(VALU_DEP_1)
	v_add_f32_e32 v116, v115, v103
	v_dual_sub_f32 v100, v100, v113 :: v_dual_sub_f32 v117, v113, v116
	s_delay_alu instid0(VALU_DEP_1) | instskip(NEXT) | instid1(VALU_DEP_1)
	v_sub_f32_e32 v113, v113, v117
	v_sub_f32_e32 v113, v113, v116
	s_delay_alu instid0(VALU_DEP_3) | instskip(SKIP_1) | instid1(VALU_DEP_2)
	v_add_f32_e32 v84, v84, v100
	v_sub_f32_e32 v100, v116, v115
	v_add_f32_e32 v84, v84, v113
	s_delay_alu instid0(VALU_DEP_2) | instskip(NEXT) | instid1(VALU_DEP_1)
	v_sub_f32_e32 v100, v100, v103
	v_add_f32_e32 v84, v100, v84
	s_delay_alu instid0(VALU_DEP_1) | instskip(NEXT) | instid1(VALU_DEP_1)
	v_add_f32_e32 v100, v117, v84
	v_mul_f32_e32 v103, v99, v100
	s_delay_alu instid0(VALU_DEP_1) | instskip(NEXT) | instid1(VALU_DEP_1)
	v_dual_mul_f32 v113, v112, v103 :: v_dual_sub_f32 v116, v117, v100
	v_fma_f32 v112, v103, v112, -v113
	s_delay_alu instid0(VALU_DEP_2) | instskip(NEXT) | instid1(VALU_DEP_2)
	v_add_f32_e32 v84, v84, v116
	v_fmac_f32_e32 v112, v103, v102
	s_delay_alu instid0(VALU_DEP_1) | instskip(NEXT) | instid1(VALU_DEP_1)
	v_add_f32_e32 v102, v113, v112
	v_sub_f32_e32 v115, v100, v102
	s_delay_alu instid0(VALU_DEP_1) | instskip(NEXT) | instid1(VALU_DEP_1)
	v_dual_sub_f32 v113, v102, v113 :: v_dual_sub_f32 v100, v100, v115
	v_sub_f32_e32 v100, v100, v102
	s_delay_alu instid0(VALU_DEP_2) | instskip(NEXT) | instid1(VALU_DEP_2)
	v_sub_f32_e32 v102, v113, v112
	v_add_f32_e32 v84, v84, v100
	v_add_f32_e32 v100, v114, v103
	s_delay_alu instid0(VALU_DEP_2) | instskip(NEXT) | instid1(VALU_DEP_2)
	v_add_f32_e32 v84, v102, v84
	v_sub_f32_e32 v102, v100, v114
	s_delay_alu instid0(VALU_DEP_2) | instskip(NEXT) | instid1(VALU_DEP_2)
	v_add_f32_e32 v84, v115, v84
	v_sub_f32_e32 v102, v103, v102
	s_delay_alu instid0(VALU_DEP_2) | instskip(NEXT) | instid1(VALU_DEP_1)
	v_mul_f32_e32 v84, v99, v84
	v_add_f32_e32 v84, v102, v84
	s_delay_alu instid0(VALU_DEP_1) | instskip(NEXT) | instid1(VALU_DEP_1)
	v_add_f32_e32 v99, v100, v84
	v_mul_f32_e32 v102, v99, v99
	s_delay_alu instid0(VALU_DEP_1) | instskip(SKIP_2) | instid1(VALU_DEP_3)
	v_fmaak_f32 v103, s2, v102, 0x3ecc95a3
	v_mul_f32_e32 v112, v99, v102
	v_cmp_gt_f32_e64 s2, 0x33800000, |v81|
	v_fmaak_f32 v102, v102, v103, 0x3f2aaada
	v_ldexp_f32 v103, v99, 1
	v_sub_f32_e32 v99, v99, v100
	s_delay_alu instid0(VALU_DEP_4) | instskip(NEXT) | instid1(VALU_DEP_3)
	s_or_b32 vcc_lo, vcc_lo, s2
	v_mul_f32_e32 v102, v112, v102
	v_mul_f32_e32 v112, 0x3f317218, v83
	s_delay_alu instid0(VALU_DEP_3) | instskip(NEXT) | instid1(VALU_DEP_3)
	v_sub_f32_e32 v84, v84, v99
	v_add_f32_e32 v100, v103, v102
	s_delay_alu instid0(VALU_DEP_2) | instskip(NEXT) | instid1(VALU_DEP_2)
	v_ldexp_f32 v84, v84, 1
	v_sub_f32_e32 v99, v100, v103
	v_fma_f32 v103, 0x3f317218, v83, -v112
	s_delay_alu instid0(VALU_DEP_2) | instskip(NEXT) | instid1(VALU_DEP_1)
	v_sub_f32_e32 v99, v102, v99
	v_dual_fmamk_f32 v83, v83, 0xb102e308, v103 :: v_dual_add_f32 v84, v84, v99
	s_delay_alu instid0(VALU_DEP_1) | instskip(NEXT) | instid1(VALU_DEP_2)
	v_add_f32_e32 v99, v112, v83
	v_add_f32_e32 v102, v100, v84
	s_delay_alu instid0(VALU_DEP_2) | instskip(NEXT) | instid1(VALU_DEP_2)
	v_sub_f32_e32 v112, v99, v112
	v_dual_add_f32 v103, v99, v102 :: v_dual_sub_f32 v100, v102, v100
	s_delay_alu instid0(VALU_DEP_2) | instskip(NEXT) | instid1(VALU_DEP_2)
	v_sub_f32_e32 v83, v83, v112
	v_dual_sub_f32 v113, v103, v99 :: v_dual_sub_f32 v84, v84, v100
	s_delay_alu instid0(VALU_DEP_1) | instskip(SKIP_1) | instid1(VALU_DEP_3)
	v_sub_f32_e32 v114, v103, v113
	v_sub_f32_e32 v100, v102, v113
	v_add_f32_e32 v102, v83, v84
	s_delay_alu instid0(VALU_DEP_3) | instskip(NEXT) | instid1(VALU_DEP_1)
	v_sub_f32_e32 v99, v99, v114
	v_add_f32_e32 v99, v100, v99
	s_delay_alu instid0(VALU_DEP_3) | instskip(NEXT) | instid1(VALU_DEP_2)
	v_sub_f32_e32 v100, v102, v83
	v_add_f32_e32 v99, v102, v99
	s_delay_alu instid0(VALU_DEP_2) | instskip(SKIP_1) | instid1(VALU_DEP_3)
	v_sub_f32_e32 v102, v102, v100
	v_sub_f32_e32 v84, v84, v100
	v_add_f32_e32 v112, v103, v99
	s_delay_alu instid0(VALU_DEP_1) | instskip(NEXT) | instid1(VALU_DEP_1)
	v_dual_sub_f32 v83, v83, v102 :: v_dual_sub_f32 v100, v112, v103
	v_dual_add_f32 v83, v84, v83 :: v_dual_sub_f32 v84, v99, v100
	s_delay_alu instid0(VALU_DEP_1) | instskip(NEXT) | instid1(VALU_DEP_1)
	v_add_f32_e32 v83, v83, v84
	v_add_f32_e32 v83, v112, v83
	s_delay_alu instid0(VALU_DEP_1) | instskip(NEXT) | instid1(VALU_DEP_1)
	v_cndmask_b32_e32 v81, v83, v81, vcc_lo
	v_add_f32_e32 v81, v82, v81
	s_delay_alu instid0(VALU_DEP_1) | instskip(NEXT) | instid1(VALU_DEP_1)
	v_cvt_f16_f32_e32 v99, v81
	v_mov_b32_e32 v81, v99
	v_cvt_f32_f16_e32 v100, v99
.LBB362_220:
	s_or_b32 exec_lo, exec_lo, s1
	s_delay_alu instid0(VALU_DEP_1) | instskip(SKIP_1) | instid1(VALU_DEP_2)
	v_dual_max_f32 v82, v85, v85 :: v_dual_max_f32 v83, v100, v100
	v_cmp_u_f16_e32 vcc_lo, v99, v99
	v_min_f32_e32 v84, v83, v82
	s_delay_alu instid0(VALU_DEP_1) | instskip(NEXT) | instid1(VALU_DEP_1)
	v_dual_max_f32 v82, v83, v82 :: v_dual_cndmask_b32 v83, v84, v100
	v_cndmask_b32_e32 v82, v82, v100, vcc_lo
	s_delay_alu instid0(VALU_DEP_2) | instskip(NEXT) | instid1(VALU_DEP_2)
	v_cndmask_b32_e64 v84, v83, v85, s17
	v_cndmask_b32_e64 v83, v82, v85, s17
	v_mov_b32_e32 v82, v81
	s_delay_alu instid0(VALU_DEP_3) | instskip(NEXT) | instid1(VALU_DEP_3)
	v_cmp_class_f32_e64 s1, v84, 0x1f8
	v_cmp_neq_f32_e32 vcc_lo, v84, v83
	s_delay_alu instid0(VALU_DEP_2) | instskip(NEXT) | instid1(SALU_CYCLE_1)
	s_or_b32 s2, vcc_lo, s1
	s_and_saveexec_b32 s1, s2
	s_cbranch_execz .LBB362_222
; %bb.221:
	v_sub_f32_e32 v82, v84, v83
	s_mov_b32 s2, 0x3e9b6dac
	s_delay_alu instid0(VALU_DEP_1) | instskip(SKIP_1) | instid1(VALU_DEP_2)
	v_mul_f32_e32 v84, 0x3fb8aa3b, v82
	v_cmp_ngt_f32_e32 vcc_lo, 0xc2ce8ed0, v82
	v_fma_f32 v85, 0x3fb8aa3b, v82, -v84
	v_rndne_f32_e32 v99, v84
	s_delay_alu instid0(VALU_DEP_1) | instskip(NEXT) | instid1(VALU_DEP_1)
	v_dual_fmamk_f32 v85, v82, 0x32a5705f, v85 :: v_dual_sub_f32 v84, v84, v99
	v_add_f32_e32 v84, v84, v85
	v_cvt_i32_f32_e32 v85, v99
	s_delay_alu instid0(VALU_DEP_2) | instskip(SKIP_2) | instid1(VALU_DEP_1)
	v_exp_f32_e32 v84, v84
	s_waitcnt_depctr 0xfff
	v_ldexp_f32 v84, v84, v85
	v_cndmask_b32_e32 v84, 0, v84, vcc_lo
	v_cmp_nlt_f32_e32 vcc_lo, 0x42b17218, v82
	s_delay_alu instid0(VALU_DEP_2) | instskip(NEXT) | instid1(VALU_DEP_1)
	v_cndmask_b32_e32 v82, 0x7f800000, v84, vcc_lo
	v_add_f32_e32 v99, 1.0, v82
	s_delay_alu instid0(VALU_DEP_1) | instskip(NEXT) | instid1(VALU_DEP_1)
	v_cvt_f64_f32_e32 v[84:85], v99
	v_frexp_exp_i32_f64_e32 v84, v[84:85]
	v_frexp_mant_f32_e32 v85, v99
	s_delay_alu instid0(VALU_DEP_1) | instskip(SKIP_1) | instid1(VALU_DEP_1)
	v_cmp_gt_f32_e32 vcc_lo, 0x3f2aaaab, v85
	v_add_f32_e32 v85, -1.0, v99
	v_sub_f32_e32 v102, v85, v99
	s_delay_alu instid0(VALU_DEP_1) | instskip(SKIP_1) | instid1(VALU_DEP_1)
	v_add_f32_e32 v102, 1.0, v102
	v_subrev_co_ci_u32_e32 v84, vcc_lo, 0, v84, vcc_lo
	v_sub_nc_u32_e32 v100, 0, v84
	v_cvt_f32_i32_e32 v84, v84
	s_delay_alu instid0(VALU_DEP_2) | instskip(NEXT) | instid1(VALU_DEP_1)
	v_ldexp_f32 v99, v99, v100
	v_add_f32_e32 v103, 1.0, v99
	v_sub_f32_e32 v85, v82, v85
	v_cmp_eq_f32_e32 vcc_lo, 0x7f800000, v82
	s_delay_alu instid0(VALU_DEP_2) | instskip(NEXT) | instid1(VALU_DEP_1)
	v_add_f32_e32 v85, v85, v102
	v_ldexp_f32 v85, v85, v100
	v_add_f32_e32 v100, -1.0, v99
	v_add_f32_e32 v102, -1.0, v103
	s_delay_alu instid0(VALU_DEP_2) | instskip(NEXT) | instid1(VALU_DEP_2)
	v_add_f32_e32 v112, 1.0, v100
	v_sub_f32_e32 v102, v99, v102
	s_delay_alu instid0(VALU_DEP_1) | instskip(NEXT) | instid1(VALU_DEP_1)
	v_dual_sub_f32 v99, v99, v112 :: v_dual_add_f32 v102, v85, v102
	v_dual_add_f32 v85, v85, v99 :: v_dual_add_f32 v112, v103, v102
	s_delay_alu instid0(VALU_DEP_1) | instskip(SKIP_1) | instid1(VALU_DEP_1)
	v_rcp_f32_e32 v99, v112
	v_sub_f32_e32 v103, v103, v112
	v_dual_add_f32 v113, v100, v85 :: v_dual_add_f32 v102, v102, v103
	s_delay_alu instid0(VALU_DEP_1) | instskip(SKIP_3) | instid1(VALU_DEP_2)
	v_sub_f32_e32 v100, v100, v113
	s_waitcnt_depctr 0xfff
	v_mul_f32_e32 v114, v113, v99
	v_add_f32_e32 v85, v85, v100
	v_mul_f32_e32 v115, v112, v114
	s_delay_alu instid0(VALU_DEP_1) | instskip(NEXT) | instid1(VALU_DEP_1)
	v_fma_f32 v103, v114, v112, -v115
	v_fmac_f32_e32 v103, v114, v102
	s_delay_alu instid0(VALU_DEP_1) | instskip(NEXT) | instid1(VALU_DEP_1)
	v_add_f32_e32 v116, v115, v103
	v_sub_f32_e32 v117, v113, v116
	s_delay_alu instid0(VALU_DEP_1) | instskip(NEXT) | instid1(VALU_DEP_1)
	v_sub_f32_e32 v113, v113, v117
	v_dual_sub_f32 v113, v113, v116 :: v_dual_sub_f32 v100, v116, v115
	s_delay_alu instid0(VALU_DEP_1) | instskip(NEXT) | instid1(VALU_DEP_1)
	v_dual_add_f32 v85, v85, v113 :: v_dual_sub_f32 v100, v100, v103
	v_add_f32_e32 v85, v100, v85
	s_delay_alu instid0(VALU_DEP_1) | instskip(NEXT) | instid1(VALU_DEP_1)
	v_add_f32_e32 v100, v117, v85
	v_mul_f32_e32 v103, v99, v100
	s_delay_alu instid0(VALU_DEP_1) | instskip(NEXT) | instid1(VALU_DEP_1)
	v_dual_mul_f32 v113, v112, v103 :: v_dual_sub_f32 v116, v117, v100
	v_fma_f32 v112, v103, v112, -v113
	s_delay_alu instid0(VALU_DEP_1) | instskip(NEXT) | instid1(VALU_DEP_1)
	v_dual_add_f32 v85, v85, v116 :: v_dual_fmac_f32 v112, v103, v102
	v_add_f32_e32 v102, v113, v112
	s_delay_alu instid0(VALU_DEP_1) | instskip(NEXT) | instid1(VALU_DEP_1)
	v_sub_f32_e32 v115, v100, v102
	v_dual_sub_f32 v113, v102, v113 :: v_dual_sub_f32 v100, v100, v115
	s_delay_alu instid0(VALU_DEP_1) | instskip(NEXT) | instid1(VALU_DEP_1)
	v_sub_f32_e32 v100, v100, v102
	v_dual_add_f32 v85, v85, v100 :: v_dual_add_f32 v100, v114, v103
	s_delay_alu instid0(VALU_DEP_3) | instskip(NEXT) | instid1(VALU_DEP_1)
	v_sub_f32_e32 v102, v113, v112
	v_dual_add_f32 v85, v102, v85 :: v_dual_sub_f32 v102, v100, v114
	s_delay_alu instid0(VALU_DEP_1) | instskip(NEXT) | instid1(VALU_DEP_2)
	v_add_f32_e32 v85, v115, v85
	v_sub_f32_e32 v102, v103, v102
	s_delay_alu instid0(VALU_DEP_2) | instskip(NEXT) | instid1(VALU_DEP_1)
	v_mul_f32_e32 v85, v99, v85
	v_add_f32_e32 v85, v102, v85
	s_delay_alu instid0(VALU_DEP_1) | instskip(NEXT) | instid1(VALU_DEP_1)
	v_add_f32_e32 v99, v100, v85
	v_mul_f32_e32 v102, v99, v99
	s_delay_alu instid0(VALU_DEP_1) | instskip(SKIP_2) | instid1(VALU_DEP_3)
	v_fmaak_f32 v103, s2, v102, 0x3ecc95a3
	v_mul_f32_e32 v112, v99, v102
	v_cmp_gt_f32_e64 s2, 0x33800000, |v82|
	v_fmaak_f32 v102, v102, v103, 0x3f2aaada
	v_ldexp_f32 v103, v99, 1
	v_sub_f32_e32 v99, v99, v100
	s_delay_alu instid0(VALU_DEP_4) | instskip(NEXT) | instid1(VALU_DEP_1)
	s_or_b32 vcc_lo, vcc_lo, s2
	v_sub_f32_e32 v85, v85, v99
	s_delay_alu instid0(VALU_DEP_1) | instskip(SKIP_1) | instid1(VALU_DEP_1)
	v_ldexp_f32 v85, v85, 1
	v_mul_f32_e32 v102, v112, v102
	v_add_f32_e32 v100, v103, v102
	s_delay_alu instid0(VALU_DEP_1) | instskip(NEXT) | instid1(VALU_DEP_1)
	v_sub_f32_e32 v99, v100, v103
	v_sub_f32_e32 v99, v102, v99
	s_delay_alu instid0(VALU_DEP_1) | instskip(NEXT) | instid1(VALU_DEP_1)
	v_add_f32_e32 v85, v85, v99
	v_add_f32_e32 v102, v100, v85
	v_mul_f32_e32 v112, 0x3f317218, v84
	s_delay_alu instid0(VALU_DEP_1) | instskip(NEXT) | instid1(VALU_DEP_1)
	v_fma_f32 v103, 0x3f317218, v84, -v112
	v_fmamk_f32 v84, v84, 0xb102e308, v103
	s_delay_alu instid0(VALU_DEP_1) | instskip(NEXT) | instid1(VALU_DEP_1)
	v_add_f32_e32 v99, v112, v84
	v_add_f32_e32 v103, v99, v102
	s_delay_alu instid0(VALU_DEP_1) | instskip(NEXT) | instid1(VALU_DEP_1)
	v_sub_f32_e32 v113, v103, v99
	v_sub_f32_e32 v114, v103, v113
	;; [unrolled: 1-line block ×3, first 2 shown]
	s_delay_alu instid0(VALU_DEP_1) | instskip(SKIP_1) | instid1(VALU_DEP_4)
	v_dual_sub_f32 v85, v85, v100 :: v_dual_sub_f32 v100, v102, v113
	v_sub_f32_e32 v112, v99, v112
	v_sub_f32_e32 v99, v99, v114
	s_delay_alu instid0(VALU_DEP_1) | instskip(NEXT) | instid1(VALU_DEP_3)
	v_add_f32_e32 v99, v100, v99
	v_sub_f32_e32 v84, v84, v112
	s_delay_alu instid0(VALU_DEP_1) | instskip(NEXT) | instid1(VALU_DEP_1)
	v_add_f32_e32 v102, v84, v85
	v_add_f32_e32 v99, v102, v99
	v_sub_f32_e32 v100, v102, v84
	s_delay_alu instid0(VALU_DEP_1) | instskip(SKIP_1) | instid1(VALU_DEP_2)
	v_dual_add_f32 v112, v103, v99 :: v_dual_sub_f32 v85, v85, v100
	v_sub_f32_e32 v102, v102, v100
	v_sub_f32_e32 v100, v112, v103
	s_delay_alu instid0(VALU_DEP_2) | instskip(NEXT) | instid1(VALU_DEP_1)
	v_sub_f32_e32 v84, v84, v102
	v_add_f32_e32 v84, v85, v84
	s_delay_alu instid0(VALU_DEP_3) | instskip(NEXT) | instid1(VALU_DEP_1)
	v_sub_f32_e32 v85, v99, v100
	v_add_f32_e32 v84, v84, v85
	s_delay_alu instid0(VALU_DEP_1) | instskip(NEXT) | instid1(VALU_DEP_1)
	v_add_f32_e32 v84, v112, v84
	v_cndmask_b32_e32 v82, v84, v82, vcc_lo
	s_delay_alu instid0(VALU_DEP_1) | instskip(NEXT) | instid1(VALU_DEP_1)
	v_add_f32_e32 v82, v83, v82
	v_cvt_f16_f32_e32 v99, v82
	s_delay_alu instid0(VALU_DEP_1)
	v_cvt_f32_f16_e32 v100, v99
	v_mov_b32_e32 v82, v99
.LBB362_222:
	s_or_b32 exec_lo, exec_lo, s1
	s_delay_alu instid0(VALU_DEP_2) | instskip(SKIP_1) | instid1(VALU_DEP_2)
	v_dual_max_f32 v83, v86, v86 :: v_dual_max_f32 v84, v100, v100
	v_cmp_u_f16_e32 vcc_lo, v99, v99
	v_min_f32_e32 v85, v84, v83
	s_delay_alu instid0(VALU_DEP_1) | instskip(NEXT) | instid1(VALU_DEP_1)
	v_dual_max_f32 v83, v84, v83 :: v_dual_cndmask_b32 v84, v85, v100
	v_cndmask_b32_e32 v83, v83, v100, vcc_lo
	s_delay_alu instid0(VALU_DEP_2) | instskip(NEXT) | instid1(VALU_DEP_2)
	v_cndmask_b32_e64 v85, v84, v86, s18
	v_cndmask_b32_e64 v84, v83, v86, s18
	v_mov_b32_e32 v83, v82
	s_delay_alu instid0(VALU_DEP_3) | instskip(NEXT) | instid1(VALU_DEP_3)
	v_cmp_class_f32_e64 s1, v85, 0x1f8
	v_cmp_neq_f32_e32 vcc_lo, v85, v84
	s_delay_alu instid0(VALU_DEP_2) | instskip(NEXT) | instid1(SALU_CYCLE_1)
	s_or_b32 s2, vcc_lo, s1
	s_and_saveexec_b32 s1, s2
	s_cbranch_execz .LBB362_224
; %bb.223:
	v_sub_f32_e32 v83, v85, v84
	s_mov_b32 s2, 0x3e9b6dac
	s_delay_alu instid0(VALU_DEP_1) | instskip(SKIP_1) | instid1(VALU_DEP_2)
	v_mul_f32_e32 v85, 0x3fb8aa3b, v83
	v_cmp_ngt_f32_e32 vcc_lo, 0xc2ce8ed0, v83
	v_fma_f32 v86, 0x3fb8aa3b, v83, -v85
	v_rndne_f32_e32 v99, v85
	s_delay_alu instid0(VALU_DEP_1) | instskip(NEXT) | instid1(VALU_DEP_1)
	v_dual_fmamk_f32 v86, v83, 0x32a5705f, v86 :: v_dual_sub_f32 v85, v85, v99
	v_add_f32_e32 v85, v85, v86
	v_cvt_i32_f32_e32 v86, v99
	s_delay_alu instid0(VALU_DEP_2) | instskip(SKIP_2) | instid1(VALU_DEP_1)
	v_exp_f32_e32 v85, v85
	s_waitcnt_depctr 0xfff
	v_ldexp_f32 v85, v85, v86
	v_cndmask_b32_e32 v85, 0, v85, vcc_lo
	v_cmp_nlt_f32_e32 vcc_lo, 0x42b17218, v83
	s_delay_alu instid0(VALU_DEP_2) | instskip(NEXT) | instid1(VALU_DEP_1)
	v_cndmask_b32_e32 v83, 0x7f800000, v85, vcc_lo
	v_add_f32_e32 v99, 1.0, v83
	s_delay_alu instid0(VALU_DEP_1) | instskip(NEXT) | instid1(VALU_DEP_1)
	v_cvt_f64_f32_e32 v[85:86], v99
	v_frexp_exp_i32_f64_e32 v85, v[85:86]
	v_frexp_mant_f32_e32 v86, v99
	s_delay_alu instid0(VALU_DEP_1) | instskip(SKIP_1) | instid1(VALU_DEP_1)
	v_cmp_gt_f32_e32 vcc_lo, 0x3f2aaaab, v86
	v_add_f32_e32 v86, -1.0, v99
	v_sub_f32_e32 v102, v86, v99
	v_sub_f32_e32 v86, v83, v86
	s_delay_alu instid0(VALU_DEP_2) | instskip(NEXT) | instid1(VALU_DEP_1)
	v_add_f32_e32 v102, 1.0, v102
	v_add_f32_e32 v86, v86, v102
	v_subrev_co_ci_u32_e32 v85, vcc_lo, 0, v85, vcc_lo
	v_cmp_eq_f32_e32 vcc_lo, 0x7f800000, v83
	s_delay_alu instid0(VALU_DEP_2) | instskip(SKIP_1) | instid1(VALU_DEP_2)
	v_sub_nc_u32_e32 v100, 0, v85
	v_cvt_f32_i32_e32 v85, v85
	v_ldexp_f32 v99, v99, v100
	v_ldexp_f32 v86, v86, v100
	s_delay_alu instid0(VALU_DEP_2) | instskip(SKIP_1) | instid1(VALU_DEP_1)
	v_add_f32_e32 v103, 1.0, v99
	v_add_f32_e32 v100, -1.0, v99
	v_add_f32_e32 v112, 1.0, v100
	s_delay_alu instid0(VALU_DEP_3) | instskip(NEXT) | instid1(VALU_DEP_1)
	v_add_f32_e32 v102, -1.0, v103
	v_sub_f32_e32 v102, v99, v102
	s_delay_alu instid0(VALU_DEP_1) | instskip(NEXT) | instid1(VALU_DEP_1)
	v_dual_sub_f32 v99, v99, v112 :: v_dual_add_f32 v102, v86, v102
	v_add_f32_e32 v112, v103, v102
	s_delay_alu instid0(VALU_DEP_2) | instskip(NEXT) | instid1(VALU_DEP_2)
	v_add_f32_e32 v86, v86, v99
	v_rcp_f32_e32 v99, v112
	v_sub_f32_e32 v103, v103, v112
	s_delay_alu instid0(VALU_DEP_1) | instskip(NEXT) | instid1(VALU_DEP_1)
	v_dual_add_f32 v113, v100, v86 :: v_dual_add_f32 v102, v102, v103
	v_sub_f32_e32 v100, v100, v113
	s_waitcnt_depctr 0xfff
	v_mul_f32_e32 v114, v113, v99
	s_delay_alu instid0(VALU_DEP_1) | instskip(NEXT) | instid1(VALU_DEP_1)
	v_mul_f32_e32 v115, v112, v114
	v_fma_f32 v103, v114, v112, -v115
	s_delay_alu instid0(VALU_DEP_1) | instskip(NEXT) | instid1(VALU_DEP_1)
	v_fmac_f32_e32 v103, v114, v102
	v_add_f32_e32 v116, v115, v103
	s_delay_alu instid0(VALU_DEP_1) | instskip(NEXT) | instid1(VALU_DEP_1)
	v_sub_f32_e32 v117, v113, v116
	v_dual_sub_f32 v113, v113, v117 :: v_dual_add_f32 v86, v86, v100
	s_delay_alu instid0(VALU_DEP_1) | instskip(NEXT) | instid1(VALU_DEP_1)
	v_dual_sub_f32 v100, v116, v115 :: v_dual_sub_f32 v113, v113, v116
	v_sub_f32_e32 v100, v100, v103
	s_delay_alu instid0(VALU_DEP_2) | instskip(NEXT) | instid1(VALU_DEP_1)
	v_add_f32_e32 v86, v86, v113
	v_add_f32_e32 v86, v100, v86
	s_delay_alu instid0(VALU_DEP_1) | instskip(NEXT) | instid1(VALU_DEP_1)
	v_add_f32_e32 v100, v117, v86
	v_mul_f32_e32 v103, v99, v100
	s_delay_alu instid0(VALU_DEP_1) | instskip(NEXT) | instid1(VALU_DEP_1)
	v_dual_sub_f32 v116, v117, v100 :: v_dual_mul_f32 v113, v112, v103
	v_add_f32_e32 v86, v86, v116
	s_delay_alu instid0(VALU_DEP_2) | instskip(NEXT) | instid1(VALU_DEP_1)
	v_fma_f32 v112, v103, v112, -v113
	v_fmac_f32_e32 v112, v103, v102
	s_delay_alu instid0(VALU_DEP_1) | instskip(NEXT) | instid1(VALU_DEP_1)
	v_add_f32_e32 v102, v113, v112
	v_sub_f32_e32 v115, v100, v102
	s_delay_alu instid0(VALU_DEP_1) | instskip(NEXT) | instid1(VALU_DEP_1)
	v_dual_sub_f32 v113, v102, v113 :: v_dual_sub_f32 v100, v100, v115
	v_sub_f32_e32 v100, v100, v102
	s_delay_alu instid0(VALU_DEP_2) | instskip(NEXT) | instid1(VALU_DEP_2)
	v_sub_f32_e32 v102, v113, v112
	v_add_f32_e32 v86, v86, v100
	v_add_f32_e32 v100, v114, v103
	s_delay_alu instid0(VALU_DEP_2) | instskip(NEXT) | instid1(VALU_DEP_2)
	v_add_f32_e32 v86, v102, v86
	v_sub_f32_e32 v102, v100, v114
	s_delay_alu instid0(VALU_DEP_2) | instskip(NEXT) | instid1(VALU_DEP_2)
	v_add_f32_e32 v86, v115, v86
	v_sub_f32_e32 v102, v103, v102
	s_delay_alu instid0(VALU_DEP_2) | instskip(NEXT) | instid1(VALU_DEP_1)
	v_mul_f32_e32 v86, v99, v86
	v_add_f32_e32 v86, v102, v86
	s_delay_alu instid0(VALU_DEP_1) | instskip(NEXT) | instid1(VALU_DEP_1)
	v_add_f32_e32 v99, v100, v86
	v_mul_f32_e32 v102, v99, v99
	s_delay_alu instid0(VALU_DEP_1) | instskip(SKIP_2) | instid1(VALU_DEP_3)
	v_fmaak_f32 v103, s2, v102, 0x3ecc95a3
	v_mul_f32_e32 v112, v99, v102
	v_cmp_gt_f32_e64 s2, 0x33800000, |v83|
	v_fmaak_f32 v102, v102, v103, 0x3f2aaada
	v_ldexp_f32 v103, v99, 1
	v_sub_f32_e32 v99, v99, v100
	s_delay_alu instid0(VALU_DEP_4) | instskip(NEXT) | instid1(VALU_DEP_3)
	s_or_b32 vcc_lo, vcc_lo, s2
	v_mul_f32_e32 v102, v112, v102
	v_mul_f32_e32 v112, 0x3f317218, v85
	s_delay_alu instid0(VALU_DEP_3) | instskip(NEXT) | instid1(VALU_DEP_3)
	v_sub_f32_e32 v86, v86, v99
	v_add_f32_e32 v100, v103, v102
	s_delay_alu instid0(VALU_DEP_2) | instskip(NEXT) | instid1(VALU_DEP_2)
	v_ldexp_f32 v86, v86, 1
	v_sub_f32_e32 v99, v100, v103
	v_fma_f32 v103, 0x3f317218, v85, -v112
	s_delay_alu instid0(VALU_DEP_2) | instskip(NEXT) | instid1(VALU_DEP_1)
	v_sub_f32_e32 v99, v102, v99
	v_dual_fmamk_f32 v85, v85, 0xb102e308, v103 :: v_dual_add_f32 v86, v86, v99
	s_delay_alu instid0(VALU_DEP_1) | instskip(NEXT) | instid1(VALU_DEP_2)
	v_add_f32_e32 v99, v112, v85
	v_add_f32_e32 v102, v100, v86
	s_delay_alu instid0(VALU_DEP_2) | instskip(NEXT) | instid1(VALU_DEP_2)
	v_sub_f32_e32 v112, v99, v112
	v_dual_add_f32 v103, v99, v102 :: v_dual_sub_f32 v100, v102, v100
	s_delay_alu instid0(VALU_DEP_2) | instskip(NEXT) | instid1(VALU_DEP_2)
	v_sub_f32_e32 v85, v85, v112
	v_dual_sub_f32 v113, v103, v99 :: v_dual_sub_f32 v86, v86, v100
	s_delay_alu instid0(VALU_DEP_1) | instskip(SKIP_1) | instid1(VALU_DEP_3)
	v_sub_f32_e32 v114, v103, v113
	v_sub_f32_e32 v100, v102, v113
	v_add_f32_e32 v102, v85, v86
	s_delay_alu instid0(VALU_DEP_3) | instskip(NEXT) | instid1(VALU_DEP_1)
	v_sub_f32_e32 v99, v99, v114
	v_dual_add_f32 v99, v100, v99 :: v_dual_sub_f32 v100, v102, v85
	s_delay_alu instid0(VALU_DEP_1) | instskip(NEXT) | instid1(VALU_DEP_2)
	v_add_f32_e32 v99, v102, v99
	v_sub_f32_e32 v102, v102, v100
	v_sub_f32_e32 v86, v86, v100
	s_delay_alu instid0(VALU_DEP_2) | instskip(NEXT) | instid1(VALU_DEP_1)
	v_dual_add_f32 v112, v103, v99 :: v_dual_sub_f32 v85, v85, v102
	v_dual_sub_f32 v100, v112, v103 :: v_dual_add_f32 v85, v86, v85
	s_delay_alu instid0(VALU_DEP_1) | instskip(NEXT) | instid1(VALU_DEP_1)
	v_sub_f32_e32 v86, v99, v100
	v_add_f32_e32 v85, v85, v86
	s_delay_alu instid0(VALU_DEP_1) | instskip(NEXT) | instid1(VALU_DEP_1)
	v_add_f32_e32 v85, v112, v85
	v_cndmask_b32_e32 v83, v85, v83, vcc_lo
	s_delay_alu instid0(VALU_DEP_1) | instskip(NEXT) | instid1(VALU_DEP_1)
	v_add_f32_e32 v83, v84, v83
	v_cvt_f16_f32_e32 v99, v83
	s_delay_alu instid0(VALU_DEP_1)
	v_cvt_f32_f16_e32 v100, v99
	v_mov_b32_e32 v83, v99
.LBB362_224:
	s_or_b32 exec_lo, exec_lo, s1
	s_delay_alu instid0(VALU_DEP_2) | instskip(SKIP_1) | instid1(VALU_DEP_2)
	v_dual_max_f32 v84, v87, v87 :: v_dual_max_f32 v85, v100, v100
	v_cmp_u_f16_e32 vcc_lo, v99, v99
	v_min_f32_e32 v86, v85, v84
	v_max_f32_e32 v84, v85, v84
	s_delay_alu instid0(VALU_DEP_2) | instskip(NEXT) | instid1(VALU_DEP_2)
	v_cndmask_b32_e32 v85, v86, v100, vcc_lo
	v_cndmask_b32_e32 v84, v84, v100, vcc_lo
	s_delay_alu instid0(VALU_DEP_2) | instskip(NEXT) | instid1(VALU_DEP_2)
	v_cndmask_b32_e64 v86, v85, v87, s19
	v_cndmask_b32_e64 v85, v84, v87, s19
	v_mov_b32_e32 v84, v83
	s_delay_alu instid0(VALU_DEP_3) | instskip(NEXT) | instid1(VALU_DEP_3)
	v_cmp_class_f32_e64 s1, v86, 0x1f8
	v_cmp_neq_f32_e32 vcc_lo, v86, v85
	s_delay_alu instid0(VALU_DEP_2) | instskip(NEXT) | instid1(SALU_CYCLE_1)
	s_or_b32 s2, vcc_lo, s1
	s_and_saveexec_b32 s1, s2
	s_cbranch_execz .LBB362_226
; %bb.225:
	v_sub_f32_e32 v84, v86, v85
	s_mov_b32 s2, 0x3e9b6dac
	s_delay_alu instid0(VALU_DEP_1) | instskip(SKIP_1) | instid1(VALU_DEP_2)
	v_mul_f32_e32 v86, 0x3fb8aa3b, v84
	v_cmp_ngt_f32_e32 vcc_lo, 0xc2ce8ed0, v84
	v_fma_f32 v87, 0x3fb8aa3b, v84, -v86
	v_rndne_f32_e32 v99, v86
	s_delay_alu instid0(VALU_DEP_1) | instskip(NEXT) | instid1(VALU_DEP_1)
	v_dual_fmamk_f32 v87, v84, 0x32a5705f, v87 :: v_dual_sub_f32 v86, v86, v99
	v_add_f32_e32 v86, v86, v87
	v_cvt_i32_f32_e32 v87, v99
	s_delay_alu instid0(VALU_DEP_2) | instskip(SKIP_2) | instid1(VALU_DEP_1)
	v_exp_f32_e32 v86, v86
	s_waitcnt_depctr 0xfff
	v_ldexp_f32 v86, v86, v87
	v_cndmask_b32_e32 v86, 0, v86, vcc_lo
	v_cmp_nlt_f32_e32 vcc_lo, 0x42b17218, v84
	s_delay_alu instid0(VALU_DEP_2) | instskip(NEXT) | instid1(VALU_DEP_1)
	v_cndmask_b32_e32 v84, 0x7f800000, v86, vcc_lo
	v_add_f32_e32 v99, 1.0, v84
	s_delay_alu instid0(VALU_DEP_1) | instskip(NEXT) | instid1(VALU_DEP_1)
	v_cvt_f64_f32_e32 v[86:87], v99
	v_frexp_exp_i32_f64_e32 v86, v[86:87]
	v_frexp_mant_f32_e32 v87, v99
	s_delay_alu instid0(VALU_DEP_1) | instskip(SKIP_1) | instid1(VALU_DEP_1)
	v_cmp_gt_f32_e32 vcc_lo, 0x3f2aaaab, v87
	v_add_f32_e32 v87, -1.0, v99
	v_sub_f32_e32 v102, v87, v99
	s_delay_alu instid0(VALU_DEP_1) | instskip(SKIP_1) | instid1(VALU_DEP_1)
	v_dual_sub_f32 v87, v84, v87 :: v_dual_add_f32 v102, 1.0, v102
	v_subrev_co_ci_u32_e32 v86, vcc_lo, 0, v86, vcc_lo
	v_sub_nc_u32_e32 v100, 0, v86
	v_cvt_f32_i32_e32 v86, v86
	s_delay_alu instid0(VALU_DEP_2) | instskip(NEXT) | instid1(VALU_DEP_1)
	v_ldexp_f32 v99, v99, v100
	v_add_f32_e32 v103, 1.0, v99
	s_delay_alu instid0(VALU_DEP_1) | instskip(NEXT) | instid1(VALU_DEP_1)
	v_dual_add_f32 v87, v87, v102 :: v_dual_add_f32 v102, -1.0, v103
	v_ldexp_f32 v87, v87, v100
	v_add_f32_e32 v100, -1.0, v99
	s_delay_alu instid0(VALU_DEP_3) | instskip(NEXT) | instid1(VALU_DEP_2)
	v_sub_f32_e32 v102, v99, v102
	v_add_f32_e32 v112, 1.0, v100
	s_delay_alu instid0(VALU_DEP_2) | instskip(NEXT) | instid1(VALU_DEP_2)
	v_add_f32_e32 v102, v87, v102
	v_sub_f32_e32 v99, v99, v112
	v_cmp_eq_f32_e32 vcc_lo, 0x7f800000, v84
	s_delay_alu instid0(VALU_DEP_3) | instskip(NEXT) | instid1(VALU_DEP_3)
	v_add_f32_e32 v112, v103, v102
	v_add_f32_e32 v87, v87, v99
	s_delay_alu instid0(VALU_DEP_2) | instskip(SKIP_1) | instid1(VALU_DEP_2)
	v_rcp_f32_e32 v99, v112
	v_sub_f32_e32 v103, v103, v112
	v_add_f32_e32 v113, v100, v87
	s_delay_alu instid0(VALU_DEP_2) | instskip(NEXT) | instid1(VALU_DEP_2)
	v_add_f32_e32 v102, v102, v103
	v_sub_f32_e32 v100, v100, v113
	s_waitcnt_depctr 0xfff
	v_dual_mul_f32 v114, v113, v99 :: v_dual_add_f32 v87, v87, v100
	s_delay_alu instid0(VALU_DEP_1) | instskip(NEXT) | instid1(VALU_DEP_1)
	v_mul_f32_e32 v115, v112, v114
	v_fma_f32 v103, v114, v112, -v115
	s_delay_alu instid0(VALU_DEP_1) | instskip(NEXT) | instid1(VALU_DEP_1)
	v_fmac_f32_e32 v103, v114, v102
	v_add_f32_e32 v116, v115, v103
	s_delay_alu instid0(VALU_DEP_1) | instskip(NEXT) | instid1(VALU_DEP_1)
	v_sub_f32_e32 v117, v113, v116
	v_sub_f32_e32 v113, v113, v117
	s_delay_alu instid0(VALU_DEP_1) | instskip(NEXT) | instid1(VALU_DEP_1)
	v_dual_sub_f32 v113, v113, v116 :: v_dual_sub_f32 v100, v116, v115
	v_dual_add_f32 v87, v87, v113 :: v_dual_sub_f32 v100, v100, v103
	s_delay_alu instid0(VALU_DEP_1) | instskip(NEXT) | instid1(VALU_DEP_1)
	v_add_f32_e32 v87, v100, v87
	v_add_f32_e32 v100, v117, v87
	s_delay_alu instid0(VALU_DEP_1) | instskip(NEXT) | instid1(VALU_DEP_1)
	v_mul_f32_e32 v103, v99, v100
	v_dual_sub_f32 v116, v117, v100 :: v_dual_mul_f32 v113, v112, v103
	s_delay_alu instid0(VALU_DEP_1) | instskip(NEXT) | instid1(VALU_DEP_1)
	v_fma_f32 v112, v103, v112, -v113
	v_fmac_f32_e32 v112, v103, v102
	s_delay_alu instid0(VALU_DEP_3) | instskip(NEXT) | instid1(VALU_DEP_2)
	v_add_f32_e32 v87, v87, v116
	v_add_f32_e32 v102, v113, v112
	s_delay_alu instid0(VALU_DEP_1) | instskip(NEXT) | instid1(VALU_DEP_1)
	v_sub_f32_e32 v115, v100, v102
	v_dual_sub_f32 v113, v102, v113 :: v_dual_sub_f32 v100, v100, v115
	s_delay_alu instid0(VALU_DEP_1) | instskip(NEXT) | instid1(VALU_DEP_2)
	v_sub_f32_e32 v100, v100, v102
	v_sub_f32_e32 v102, v113, v112
	s_delay_alu instid0(VALU_DEP_2) | instskip(NEXT) | instid1(VALU_DEP_1)
	v_dual_add_f32 v87, v87, v100 :: v_dual_add_f32 v100, v114, v103
	v_dual_add_f32 v87, v102, v87 :: v_dual_sub_f32 v102, v100, v114
	s_delay_alu instid0(VALU_DEP_1) | instskip(NEXT) | instid1(VALU_DEP_2)
	v_add_f32_e32 v87, v115, v87
	v_sub_f32_e32 v102, v103, v102
	s_delay_alu instid0(VALU_DEP_2) | instskip(NEXT) | instid1(VALU_DEP_1)
	v_mul_f32_e32 v87, v99, v87
	v_add_f32_e32 v87, v102, v87
	s_delay_alu instid0(VALU_DEP_1) | instskip(NEXT) | instid1(VALU_DEP_1)
	v_add_f32_e32 v99, v100, v87
	v_mul_f32_e32 v102, v99, v99
	s_delay_alu instid0(VALU_DEP_1) | instskip(SKIP_2) | instid1(VALU_DEP_3)
	v_fmaak_f32 v103, s2, v102, 0x3ecc95a3
	v_mul_f32_e32 v112, v99, v102
	v_cmp_gt_f32_e64 s2, 0x33800000, |v84|
	v_fmaak_f32 v102, v102, v103, 0x3f2aaada
	v_ldexp_f32 v103, v99, 1
	v_sub_f32_e32 v99, v99, v100
	s_delay_alu instid0(VALU_DEP_4) | instskip(NEXT) | instid1(VALU_DEP_1)
	s_or_b32 vcc_lo, vcc_lo, s2
	v_dual_mul_f32 v102, v112, v102 :: v_dual_sub_f32 v87, v87, v99
	s_delay_alu instid0(VALU_DEP_1) | instskip(SKIP_1) | instid1(VALU_DEP_3)
	v_add_f32_e32 v100, v103, v102
	v_mul_f32_e32 v112, 0x3f317218, v86
	v_ldexp_f32 v87, v87, 1
	s_delay_alu instid0(VALU_DEP_3) | instskip(NEXT) | instid1(VALU_DEP_3)
	v_sub_f32_e32 v99, v100, v103
	v_fma_f32 v103, 0x3f317218, v86, -v112
	s_delay_alu instid0(VALU_DEP_2) | instskip(NEXT) | instid1(VALU_DEP_1)
	v_sub_f32_e32 v99, v102, v99
	v_dual_fmamk_f32 v86, v86, 0xb102e308, v103 :: v_dual_add_f32 v87, v87, v99
	s_delay_alu instid0(VALU_DEP_1) | instskip(NEXT) | instid1(VALU_DEP_2)
	v_add_f32_e32 v99, v112, v86
	v_add_f32_e32 v102, v100, v87
	s_delay_alu instid0(VALU_DEP_2) | instskip(NEXT) | instid1(VALU_DEP_1)
	v_sub_f32_e32 v112, v99, v112
	v_dual_add_f32 v103, v99, v102 :: v_dual_sub_f32 v86, v86, v112
	s_delay_alu instid0(VALU_DEP_1) | instskip(NEXT) | instid1(VALU_DEP_1)
	v_sub_f32_e32 v113, v103, v99
	v_sub_f32_e32 v114, v103, v113
	s_delay_alu instid0(VALU_DEP_1) | instskip(NEXT) | instid1(VALU_DEP_1)
	v_dual_sub_f32 v99, v99, v114 :: v_dual_sub_f32 v100, v102, v100
	v_dual_sub_f32 v87, v87, v100 :: v_dual_sub_f32 v100, v102, v113
	s_delay_alu instid0(VALU_DEP_1) | instskip(NEXT) | instid1(VALU_DEP_1)
	v_add_f32_e32 v102, v86, v87
	v_dual_add_f32 v99, v100, v99 :: v_dual_sub_f32 v100, v102, v86
	s_delay_alu instid0(VALU_DEP_1) | instskip(NEXT) | instid1(VALU_DEP_2)
	v_sub_f32_e32 v87, v87, v100
	v_add_f32_e32 v99, v102, v99
	v_sub_f32_e32 v102, v102, v100
	s_delay_alu instid0(VALU_DEP_2) | instskip(NEXT) | instid1(VALU_DEP_1)
	v_add_f32_e32 v112, v103, v99
	v_sub_f32_e32 v100, v112, v103
	s_delay_alu instid0(VALU_DEP_3) | instskip(NEXT) | instid1(VALU_DEP_1)
	v_sub_f32_e32 v86, v86, v102
	v_add_f32_e32 v86, v87, v86
	s_delay_alu instid0(VALU_DEP_3) | instskip(NEXT) | instid1(VALU_DEP_1)
	v_sub_f32_e32 v87, v99, v100
	v_add_f32_e32 v86, v86, v87
	s_delay_alu instid0(VALU_DEP_1) | instskip(NEXT) | instid1(VALU_DEP_1)
	v_add_f32_e32 v86, v112, v86
	v_cndmask_b32_e32 v84, v86, v84, vcc_lo
	s_delay_alu instid0(VALU_DEP_1) | instskip(NEXT) | instid1(VALU_DEP_1)
	v_add_f32_e32 v84, v85, v84
	v_cvt_f16_f32_e32 v99, v84
	s_delay_alu instid0(VALU_DEP_1)
	v_cvt_f32_f16_e32 v100, v99
	v_mov_b32_e32 v84, v99
.LBB362_226:
	s_or_b32 exec_lo, exec_lo, s1
	v_max_f32_e32 v85, v96, v96
	s_delay_alu instid0(VALU_DEP_3) | instskip(SKIP_1) | instid1(VALU_DEP_2)
	v_max_f32_e32 v86, v100, v100
	v_cmp_u_f16_e32 vcc_lo, v99, v99
	v_min_f32_e32 v87, v86, v85
	s_delay_alu instid0(VALU_DEP_1) | instskip(NEXT) | instid1(VALU_DEP_1)
	v_dual_max_f32 v85, v86, v85 :: v_dual_cndmask_b32 v86, v87, v100
	v_cndmask_b32_e32 v85, v85, v100, vcc_lo
	s_delay_alu instid0(VALU_DEP_2) | instskip(NEXT) | instid1(VALU_DEP_2)
	v_cndmask_b32_e64 v87, v86, v96, s20
	v_cndmask_b32_e64 v86, v85, v96, s20
	v_mov_b32_e32 v85, v84
	s_delay_alu instid0(VALU_DEP_3) | instskip(NEXT) | instid1(VALU_DEP_3)
	v_cmp_class_f32_e64 s1, v87, 0x1f8
	v_cmp_neq_f32_e32 vcc_lo, v87, v86
	s_delay_alu instid0(VALU_DEP_2) | instskip(NEXT) | instid1(SALU_CYCLE_1)
	s_or_b32 s2, vcc_lo, s1
	s_and_saveexec_b32 s1, s2
	s_cbranch_execz .LBB362_228
; %bb.227:
	v_sub_f32_e32 v85, v87, v86
	s_mov_b32 s2, 0x3e9b6dac
	s_delay_alu instid0(VALU_DEP_1) | instskip(SKIP_1) | instid1(VALU_DEP_2)
	v_mul_f32_e32 v87, 0x3fb8aa3b, v85
	v_cmp_ngt_f32_e32 vcc_lo, 0xc2ce8ed0, v85
	v_fma_f32 v96, 0x3fb8aa3b, v85, -v87
	v_rndne_f32_e32 v99, v87
	s_delay_alu instid0(VALU_DEP_1) | instskip(NEXT) | instid1(VALU_DEP_1)
	v_dual_fmamk_f32 v96, v85, 0x32a5705f, v96 :: v_dual_sub_f32 v87, v87, v99
	v_add_f32_e32 v87, v87, v96
	v_cvt_i32_f32_e32 v96, v99
	s_delay_alu instid0(VALU_DEP_2) | instskip(SKIP_2) | instid1(VALU_DEP_1)
	v_exp_f32_e32 v87, v87
	s_waitcnt_depctr 0xfff
	v_ldexp_f32 v87, v87, v96
	v_cndmask_b32_e32 v87, 0, v87, vcc_lo
	v_cmp_nlt_f32_e32 vcc_lo, 0x42b17218, v85
	s_delay_alu instid0(VALU_DEP_2) | instskip(NEXT) | instid1(VALU_DEP_1)
	v_cndmask_b32_e32 v85, 0x7f800000, v87, vcc_lo
	v_add_f32_e32 v87, 1.0, v85
	s_delay_alu instid0(VALU_DEP_1) | instskip(NEXT) | instid1(VALU_DEP_1)
	v_cvt_f64_f32_e32 v[99:100], v87
	v_frexp_exp_i32_f64_e32 v96, v[99:100]
	v_frexp_mant_f32_e32 v99, v87
	s_delay_alu instid0(VALU_DEP_1) | instskip(SKIP_1) | instid1(VALU_DEP_1)
	v_cmp_gt_f32_e32 vcc_lo, 0x3f2aaaab, v99
	v_add_f32_e32 v99, -1.0, v87
	v_sub_f32_e32 v102, v99, v87
	s_delay_alu instid0(VALU_DEP_1) | instskip(SKIP_1) | instid1(VALU_DEP_1)
	v_dual_sub_f32 v99, v85, v99 :: v_dual_add_f32 v102, 1.0, v102
	v_subrev_co_ci_u32_e32 v96, vcc_lo, 0, v96, vcc_lo
	v_sub_nc_u32_e32 v100, 0, v96
	v_cvt_f32_i32_e32 v96, v96
	s_delay_alu instid0(VALU_DEP_2) | instskip(SKIP_1) | instid1(VALU_DEP_2)
	v_ldexp_f32 v87, v87, v100
	v_add_f32_e32 v99, v99, v102
	v_add_f32_e32 v103, 1.0, v87
	s_delay_alu instid0(VALU_DEP_2) | instskip(SKIP_1) | instid1(VALU_DEP_3)
	v_ldexp_f32 v99, v99, v100
	v_add_f32_e32 v100, -1.0, v87
	v_add_f32_e32 v102, -1.0, v103
	s_delay_alu instid0(VALU_DEP_2) | instskip(NEXT) | instid1(VALU_DEP_2)
	v_add_f32_e32 v112, 1.0, v100
	v_sub_f32_e32 v102, v87, v102
	v_cmp_eq_f32_e32 vcc_lo, 0x7f800000, v85
	s_delay_alu instid0(VALU_DEP_2) | instskip(NEXT) | instid1(VALU_DEP_4)
	v_add_f32_e32 v102, v99, v102
	v_sub_f32_e32 v87, v87, v112
	s_delay_alu instid0(VALU_DEP_2) | instskip(NEXT) | instid1(VALU_DEP_1)
	v_add_f32_e32 v112, v103, v102
	v_sub_f32_e32 v103, v103, v112
	s_delay_alu instid0(VALU_DEP_1) | instskip(NEXT) | instid1(VALU_DEP_4)
	v_add_f32_e32 v102, v102, v103
	v_add_f32_e32 v87, v99, v87
	v_rcp_f32_e32 v99, v112
	s_delay_alu instid0(VALU_DEP_1) | instskip(NEXT) | instid1(VALU_DEP_1)
	v_add_f32_e32 v113, v100, v87
	v_sub_f32_e32 v100, v100, v113
	s_waitcnt_depctr 0xfff
	v_dual_mul_f32 v114, v113, v99 :: v_dual_add_f32 v87, v87, v100
	s_delay_alu instid0(VALU_DEP_1) | instskip(NEXT) | instid1(VALU_DEP_1)
	v_mul_f32_e32 v115, v112, v114
	v_fma_f32 v103, v114, v112, -v115
	s_delay_alu instid0(VALU_DEP_1) | instskip(NEXT) | instid1(VALU_DEP_1)
	v_fmac_f32_e32 v103, v114, v102
	v_add_f32_e32 v116, v115, v103
	s_delay_alu instid0(VALU_DEP_1) | instskip(NEXT) | instid1(VALU_DEP_1)
	v_sub_f32_e32 v117, v113, v116
	v_dual_sub_f32 v113, v113, v117 :: v_dual_sub_f32 v100, v116, v115
	s_delay_alu instid0(VALU_DEP_1) | instskip(NEXT) | instid1(VALU_DEP_1)
	v_dual_sub_f32 v113, v113, v116 :: v_dual_sub_f32 v100, v100, v103
	v_add_f32_e32 v87, v87, v113
	s_delay_alu instid0(VALU_DEP_1) | instskip(NEXT) | instid1(VALU_DEP_1)
	v_add_f32_e32 v87, v100, v87
	v_add_f32_e32 v100, v117, v87
	s_delay_alu instid0(VALU_DEP_1) | instskip(NEXT) | instid1(VALU_DEP_1)
	v_mul_f32_e32 v103, v99, v100
	v_dual_sub_f32 v116, v117, v100 :: v_dual_mul_f32 v113, v112, v103
	s_delay_alu instid0(VALU_DEP_1) | instskip(NEXT) | instid1(VALU_DEP_2)
	v_add_f32_e32 v87, v87, v116
	v_fma_f32 v112, v103, v112, -v113
	s_delay_alu instid0(VALU_DEP_1) | instskip(NEXT) | instid1(VALU_DEP_1)
	v_fmac_f32_e32 v112, v103, v102
	v_add_f32_e32 v102, v113, v112
	s_delay_alu instid0(VALU_DEP_1) | instskip(NEXT) | instid1(VALU_DEP_1)
	v_sub_f32_e32 v115, v100, v102
	v_dual_sub_f32 v113, v102, v113 :: v_dual_sub_f32 v100, v100, v115
	s_delay_alu instid0(VALU_DEP_1) | instskip(NEXT) | instid1(VALU_DEP_2)
	v_sub_f32_e32 v100, v100, v102
	v_sub_f32_e32 v102, v113, v112
	s_delay_alu instid0(VALU_DEP_2) | instskip(NEXT) | instid1(VALU_DEP_1)
	v_dual_add_f32 v87, v87, v100 :: v_dual_add_f32 v100, v114, v103
	v_dual_add_f32 v87, v102, v87 :: v_dual_sub_f32 v102, v100, v114
	s_delay_alu instid0(VALU_DEP_1) | instskip(NEXT) | instid1(VALU_DEP_2)
	v_add_f32_e32 v87, v115, v87
	v_sub_f32_e32 v102, v103, v102
	s_delay_alu instid0(VALU_DEP_2) | instskip(NEXT) | instid1(VALU_DEP_1)
	v_mul_f32_e32 v87, v99, v87
	v_add_f32_e32 v87, v102, v87
	s_delay_alu instid0(VALU_DEP_1) | instskip(NEXT) | instid1(VALU_DEP_1)
	v_add_f32_e32 v99, v100, v87
	v_mul_f32_e32 v102, v99, v99
	s_delay_alu instid0(VALU_DEP_1) | instskip(SKIP_2) | instid1(VALU_DEP_3)
	v_fmaak_f32 v103, s2, v102, 0x3ecc95a3
	v_mul_f32_e32 v112, v99, v102
	v_cmp_gt_f32_e64 s2, 0x33800000, |v85|
	v_fmaak_f32 v102, v102, v103, 0x3f2aaada
	v_ldexp_f32 v103, v99, 1
	v_sub_f32_e32 v99, v99, v100
	s_delay_alu instid0(VALU_DEP_4) | instskip(NEXT) | instid1(VALU_DEP_3)
	s_or_b32 vcc_lo, vcc_lo, s2
	v_mul_f32_e32 v102, v112, v102
	s_delay_alu instid0(VALU_DEP_2) | instskip(NEXT) | instid1(VALU_DEP_2)
	v_dual_mul_f32 v112, 0x3f317218, v96 :: v_dual_sub_f32 v87, v87, v99
	v_add_f32_e32 v100, v103, v102
	s_delay_alu instid0(VALU_DEP_2) | instskip(NEXT) | instid1(VALU_DEP_2)
	v_ldexp_f32 v87, v87, 1
	v_sub_f32_e32 v99, v100, v103
	s_delay_alu instid0(VALU_DEP_4) | instskip(NEXT) | instid1(VALU_DEP_1)
	v_fma_f32 v103, 0x3f317218, v96, -v112
	v_dual_sub_f32 v99, v102, v99 :: v_dual_fmamk_f32 v96, v96, 0xb102e308, v103
	s_delay_alu instid0(VALU_DEP_1) | instskip(NEXT) | instid1(VALU_DEP_2)
	v_add_f32_e32 v87, v87, v99
	v_add_f32_e32 v99, v112, v96
	s_delay_alu instid0(VALU_DEP_2) | instskip(NEXT) | instid1(VALU_DEP_2)
	v_add_f32_e32 v102, v100, v87
	v_sub_f32_e32 v112, v99, v112
	s_delay_alu instid0(VALU_DEP_2) | instskip(NEXT) | instid1(VALU_DEP_2)
	v_sub_f32_e32 v100, v102, v100
	v_sub_f32_e32 v96, v96, v112
	s_delay_alu instid0(VALU_DEP_2) | instskip(SKIP_1) | instid1(VALU_DEP_1)
	v_sub_f32_e32 v87, v87, v100
	v_add_f32_e32 v103, v99, v102
	v_sub_f32_e32 v113, v103, v99
	s_delay_alu instid0(VALU_DEP_1) | instskip(NEXT) | instid1(VALU_DEP_4)
	v_sub_f32_e32 v100, v102, v113
	v_add_f32_e32 v102, v96, v87
	v_sub_f32_e32 v114, v103, v113
	s_delay_alu instid0(VALU_DEP_1) | instskip(NEXT) | instid1(VALU_DEP_1)
	v_sub_f32_e32 v99, v99, v114
	v_dual_add_f32 v99, v100, v99 :: v_dual_sub_f32 v100, v102, v96
	s_delay_alu instid0(VALU_DEP_1) | instskip(NEXT) | instid1(VALU_DEP_2)
	v_add_f32_e32 v99, v102, v99
	v_sub_f32_e32 v102, v102, v100
	v_sub_f32_e32 v87, v87, v100
	s_delay_alu instid0(VALU_DEP_3) | instskip(NEXT) | instid1(VALU_DEP_3)
	v_add_f32_e32 v112, v103, v99
	v_sub_f32_e32 v96, v96, v102
	s_delay_alu instid0(VALU_DEP_1) | instskip(NEXT) | instid1(VALU_DEP_1)
	v_dual_sub_f32 v100, v112, v103 :: v_dual_add_f32 v87, v87, v96
	v_sub_f32_e32 v96, v99, v100
	s_delay_alu instid0(VALU_DEP_1) | instskip(NEXT) | instid1(VALU_DEP_1)
	v_add_f32_e32 v87, v87, v96
	v_add_f32_e32 v87, v112, v87
	s_delay_alu instid0(VALU_DEP_1) | instskip(NEXT) | instid1(VALU_DEP_1)
	v_cndmask_b32_e32 v85, v87, v85, vcc_lo
	v_add_f32_e32 v85, v86, v85
	s_delay_alu instid0(VALU_DEP_1) | instskip(NEXT) | instid1(VALU_DEP_1)
	v_cvt_f16_f32_e32 v99, v85
	v_cvt_f32_f16_e32 v100, v99
	v_mov_b32_e32 v85, v99
.LBB362_228:
	s_or_b32 exec_lo, exec_lo, s1
	s_delay_alu instid0(VALU_DEP_2) | instskip(SKIP_1) | instid1(VALU_DEP_2)
	v_dual_max_f32 v86, v97, v97 :: v_dual_max_f32 v87, v100, v100
	v_cmp_u_f16_e32 vcc_lo, v99, v99
	v_min_f32_e32 v96, v87, v86
	s_delay_alu instid0(VALU_DEP_1) | instskip(NEXT) | instid1(VALU_DEP_1)
	v_dual_max_f32 v86, v87, v86 :: v_dual_cndmask_b32 v87, v96, v100
	v_cndmask_b32_e32 v86, v86, v100, vcc_lo
	s_delay_alu instid0(VALU_DEP_2) | instskip(NEXT) | instid1(VALU_DEP_2)
	v_cndmask_b32_e64 v96, v87, v97, s21
	v_cndmask_b32_e64 v87, v86, v97, s21
	v_mov_b32_e32 v86, v85
	s_delay_alu instid0(VALU_DEP_3) | instskip(NEXT) | instid1(VALU_DEP_3)
	v_cmp_class_f32_e64 s1, v96, 0x1f8
	v_cmp_neq_f32_e32 vcc_lo, v96, v87
	s_delay_alu instid0(VALU_DEP_2) | instskip(NEXT) | instid1(SALU_CYCLE_1)
	s_or_b32 s2, vcc_lo, s1
	s_and_saveexec_b32 s1, s2
	s_cbranch_execz .LBB362_230
; %bb.229:
	v_sub_f32_e32 v86, v96, v87
	s_mov_b32 s2, 0x3e9b6dac
	s_delay_alu instid0(VALU_DEP_1) | instskip(SKIP_1) | instid1(VALU_DEP_2)
	v_mul_f32_e32 v96, 0x3fb8aa3b, v86
	v_cmp_ngt_f32_e32 vcc_lo, 0xc2ce8ed0, v86
	v_fma_f32 v97, 0x3fb8aa3b, v86, -v96
	v_rndne_f32_e32 v99, v96
	s_delay_alu instid0(VALU_DEP_1) | instskip(NEXT) | instid1(VALU_DEP_1)
	v_dual_fmamk_f32 v97, v86, 0x32a5705f, v97 :: v_dual_sub_f32 v96, v96, v99
	v_add_f32_e32 v96, v96, v97
	v_cvt_i32_f32_e32 v97, v99
	s_delay_alu instid0(VALU_DEP_2) | instskip(SKIP_2) | instid1(VALU_DEP_1)
	v_exp_f32_e32 v96, v96
	s_waitcnt_depctr 0xfff
	v_ldexp_f32 v96, v96, v97
	v_cndmask_b32_e32 v96, 0, v96, vcc_lo
	v_cmp_nlt_f32_e32 vcc_lo, 0x42b17218, v86
	s_delay_alu instid0(VALU_DEP_2) | instskip(NEXT) | instid1(VALU_DEP_1)
	v_cndmask_b32_e32 v86, 0x7f800000, v96, vcc_lo
	v_add_f32_e32 v99, 1.0, v86
	s_delay_alu instid0(VALU_DEP_1) | instskip(NEXT) | instid1(VALU_DEP_1)
	v_cvt_f64_f32_e32 v[96:97], v99
	v_frexp_exp_i32_f64_e32 v96, v[96:97]
	v_frexp_mant_f32_e32 v97, v99
	s_delay_alu instid0(VALU_DEP_1) | instskip(SKIP_1) | instid1(VALU_DEP_1)
	v_cmp_gt_f32_e32 vcc_lo, 0x3f2aaaab, v97
	v_add_f32_e32 v97, -1.0, v99
	v_sub_f32_e32 v102, v97, v99
	s_delay_alu instid0(VALU_DEP_1) | instskip(SKIP_1) | instid1(VALU_DEP_1)
	v_add_f32_e32 v102, 1.0, v102
	v_subrev_co_ci_u32_e32 v96, vcc_lo, 0, v96, vcc_lo
	v_sub_nc_u32_e32 v100, 0, v96
	v_cvt_f32_i32_e32 v96, v96
	s_delay_alu instid0(VALU_DEP_2) | instskip(NEXT) | instid1(VALU_DEP_1)
	v_ldexp_f32 v99, v99, v100
	v_add_f32_e32 v103, 1.0, v99
	v_sub_f32_e32 v97, v86, v97
	v_cmp_eq_f32_e32 vcc_lo, 0x7f800000, v86
	s_delay_alu instid0(VALU_DEP_2) | instskip(NEXT) | instid1(VALU_DEP_1)
	v_add_f32_e32 v97, v97, v102
	v_ldexp_f32 v97, v97, v100
	v_add_f32_e32 v100, -1.0, v99
	v_add_f32_e32 v102, -1.0, v103
	s_delay_alu instid0(VALU_DEP_2) | instskip(NEXT) | instid1(VALU_DEP_2)
	v_add_f32_e32 v112, 1.0, v100
	v_sub_f32_e32 v102, v99, v102
	s_delay_alu instid0(VALU_DEP_1) | instskip(NEXT) | instid1(VALU_DEP_1)
	v_dual_sub_f32 v99, v99, v112 :: v_dual_add_f32 v102, v97, v102
	v_dual_add_f32 v97, v97, v99 :: v_dual_add_f32 v112, v103, v102
	s_delay_alu instid0(VALU_DEP_1) | instskip(SKIP_1) | instid1(VALU_DEP_1)
	v_rcp_f32_e32 v99, v112
	v_sub_f32_e32 v103, v103, v112
	v_dual_add_f32 v113, v100, v97 :: v_dual_add_f32 v102, v102, v103
	s_delay_alu instid0(VALU_DEP_1) | instskip(SKIP_3) | instid1(VALU_DEP_2)
	v_sub_f32_e32 v100, v100, v113
	s_waitcnt_depctr 0xfff
	v_mul_f32_e32 v114, v113, v99
	v_add_f32_e32 v97, v97, v100
	v_mul_f32_e32 v115, v112, v114
	s_delay_alu instid0(VALU_DEP_1) | instskip(NEXT) | instid1(VALU_DEP_1)
	v_fma_f32 v103, v114, v112, -v115
	v_fmac_f32_e32 v103, v114, v102
	s_delay_alu instid0(VALU_DEP_1) | instskip(NEXT) | instid1(VALU_DEP_1)
	v_add_f32_e32 v116, v115, v103
	v_sub_f32_e32 v117, v113, v116
	s_delay_alu instid0(VALU_DEP_1) | instskip(NEXT) | instid1(VALU_DEP_1)
	v_sub_f32_e32 v113, v113, v117
	v_dual_sub_f32 v113, v113, v116 :: v_dual_sub_f32 v100, v116, v115
	s_delay_alu instid0(VALU_DEP_1) | instskip(NEXT) | instid1(VALU_DEP_1)
	v_dual_add_f32 v97, v97, v113 :: v_dual_sub_f32 v100, v100, v103
	v_add_f32_e32 v97, v100, v97
	s_delay_alu instid0(VALU_DEP_1) | instskip(NEXT) | instid1(VALU_DEP_1)
	v_add_f32_e32 v100, v117, v97
	v_mul_f32_e32 v103, v99, v100
	s_delay_alu instid0(VALU_DEP_1) | instskip(NEXT) | instid1(VALU_DEP_1)
	v_dual_mul_f32 v113, v112, v103 :: v_dual_sub_f32 v116, v117, v100
	v_fma_f32 v112, v103, v112, -v113
	s_delay_alu instid0(VALU_DEP_1) | instskip(NEXT) | instid1(VALU_DEP_1)
	v_dual_add_f32 v97, v97, v116 :: v_dual_fmac_f32 v112, v103, v102
	v_add_f32_e32 v102, v113, v112
	s_delay_alu instid0(VALU_DEP_1) | instskip(NEXT) | instid1(VALU_DEP_1)
	v_sub_f32_e32 v115, v100, v102
	v_dual_sub_f32 v113, v102, v113 :: v_dual_sub_f32 v100, v100, v115
	s_delay_alu instid0(VALU_DEP_1) | instskip(NEXT) | instid1(VALU_DEP_1)
	v_sub_f32_e32 v100, v100, v102
	v_dual_add_f32 v97, v97, v100 :: v_dual_add_f32 v100, v114, v103
	s_delay_alu instid0(VALU_DEP_3) | instskip(NEXT) | instid1(VALU_DEP_1)
	v_sub_f32_e32 v102, v113, v112
	v_dual_add_f32 v97, v102, v97 :: v_dual_sub_f32 v102, v100, v114
	s_delay_alu instid0(VALU_DEP_1) | instskip(NEXT) | instid1(VALU_DEP_2)
	v_add_f32_e32 v97, v115, v97
	v_sub_f32_e32 v102, v103, v102
	s_delay_alu instid0(VALU_DEP_2) | instskip(NEXT) | instid1(VALU_DEP_1)
	v_mul_f32_e32 v97, v99, v97
	v_add_f32_e32 v97, v102, v97
	s_delay_alu instid0(VALU_DEP_1) | instskip(NEXT) | instid1(VALU_DEP_1)
	v_add_f32_e32 v99, v100, v97
	v_mul_f32_e32 v102, v99, v99
	s_delay_alu instid0(VALU_DEP_1) | instskip(SKIP_2) | instid1(VALU_DEP_3)
	v_fmaak_f32 v103, s2, v102, 0x3ecc95a3
	v_mul_f32_e32 v112, v99, v102
	v_cmp_gt_f32_e64 s2, 0x33800000, |v86|
	v_fmaak_f32 v102, v102, v103, 0x3f2aaada
	v_ldexp_f32 v103, v99, 1
	v_sub_f32_e32 v99, v99, v100
	s_delay_alu instid0(VALU_DEP_4) | instskip(NEXT) | instid1(VALU_DEP_1)
	s_or_b32 vcc_lo, vcc_lo, s2
	v_sub_f32_e32 v97, v97, v99
	s_delay_alu instid0(VALU_DEP_1) | instskip(SKIP_1) | instid1(VALU_DEP_1)
	v_ldexp_f32 v97, v97, 1
	v_mul_f32_e32 v102, v112, v102
	v_add_f32_e32 v100, v103, v102
	s_delay_alu instid0(VALU_DEP_1) | instskip(NEXT) | instid1(VALU_DEP_1)
	v_sub_f32_e32 v99, v100, v103
	v_sub_f32_e32 v99, v102, v99
	s_delay_alu instid0(VALU_DEP_1) | instskip(NEXT) | instid1(VALU_DEP_1)
	v_add_f32_e32 v97, v97, v99
	v_add_f32_e32 v102, v100, v97
	v_mul_f32_e32 v112, 0x3f317218, v96
	s_delay_alu instid0(VALU_DEP_1) | instskip(NEXT) | instid1(VALU_DEP_1)
	v_fma_f32 v103, 0x3f317218, v96, -v112
	v_fmamk_f32 v96, v96, 0xb102e308, v103
	s_delay_alu instid0(VALU_DEP_1) | instskip(NEXT) | instid1(VALU_DEP_1)
	v_add_f32_e32 v99, v112, v96
	v_add_f32_e32 v103, v99, v102
	s_delay_alu instid0(VALU_DEP_1) | instskip(NEXT) | instid1(VALU_DEP_1)
	v_sub_f32_e32 v113, v103, v99
	v_sub_f32_e32 v114, v103, v113
	;; [unrolled: 1-line block ×3, first 2 shown]
	s_delay_alu instid0(VALU_DEP_1) | instskip(SKIP_1) | instid1(VALU_DEP_4)
	v_dual_sub_f32 v97, v97, v100 :: v_dual_sub_f32 v100, v102, v113
	v_sub_f32_e32 v112, v99, v112
	v_sub_f32_e32 v99, v99, v114
	s_delay_alu instid0(VALU_DEP_1) | instskip(NEXT) | instid1(VALU_DEP_3)
	v_add_f32_e32 v99, v100, v99
	v_sub_f32_e32 v96, v96, v112
	s_delay_alu instid0(VALU_DEP_1) | instskip(NEXT) | instid1(VALU_DEP_1)
	v_add_f32_e32 v102, v96, v97
	v_add_f32_e32 v99, v102, v99
	v_sub_f32_e32 v100, v102, v96
	s_delay_alu instid0(VALU_DEP_1) | instskip(SKIP_1) | instid1(VALU_DEP_2)
	v_dual_add_f32 v112, v103, v99 :: v_dual_sub_f32 v97, v97, v100
	v_sub_f32_e32 v102, v102, v100
	v_sub_f32_e32 v100, v112, v103
	s_delay_alu instid0(VALU_DEP_2) | instskip(NEXT) | instid1(VALU_DEP_1)
	v_sub_f32_e32 v96, v96, v102
	v_add_f32_e32 v96, v97, v96
	s_delay_alu instid0(VALU_DEP_3) | instskip(NEXT) | instid1(VALU_DEP_1)
	v_sub_f32_e32 v97, v99, v100
	v_add_f32_e32 v96, v96, v97
	s_delay_alu instid0(VALU_DEP_1) | instskip(NEXT) | instid1(VALU_DEP_1)
	v_add_f32_e32 v96, v112, v96
	v_cndmask_b32_e32 v86, v96, v86, vcc_lo
	s_delay_alu instid0(VALU_DEP_1) | instskip(NEXT) | instid1(VALU_DEP_1)
	v_add_f32_e32 v86, v87, v86
	v_cvt_f16_f32_e32 v99, v86
	s_delay_alu instid0(VALU_DEP_1)
	v_cvt_f32_f16_e32 v100, v99
	v_mov_b32_e32 v86, v99
.LBB362_230:
	s_or_b32 exec_lo, exec_lo, s1
	s_delay_alu instid0(VALU_DEP_2) | instskip(SKIP_1) | instid1(VALU_DEP_2)
	v_dual_max_f32 v87, v98, v98 :: v_dual_max_f32 v96, v100, v100
	v_cmp_u_f16_e32 vcc_lo, v99, v99
	v_min_f32_e32 v97, v96, v87
	s_delay_alu instid0(VALU_DEP_1) | instskip(NEXT) | instid1(VALU_DEP_1)
	v_dual_max_f32 v87, v96, v87 :: v_dual_cndmask_b32 v96, v97, v100
	v_cndmask_b32_e32 v87, v87, v100, vcc_lo
	s_delay_alu instid0(VALU_DEP_2) | instskip(NEXT) | instid1(VALU_DEP_2)
	v_cndmask_b32_e64 v97, v96, v98, s22
	v_cndmask_b32_e64 v87, v87, v98, s22
	v_mov_b32_e32 v96, v86
	s_delay_alu instid0(VALU_DEP_3) | instskip(NEXT) | instid1(VALU_DEP_3)
	v_cmp_class_f32_e64 s1, v97, 0x1f8
	v_cmp_neq_f32_e32 vcc_lo, v97, v87
	s_delay_alu instid0(VALU_DEP_2) | instskip(NEXT) | instid1(SALU_CYCLE_1)
	s_or_b32 s2, vcc_lo, s1
	s_and_saveexec_b32 s1, s2
	s_cbranch_execz .LBB362_232
; %bb.231:
	v_sub_f32_e32 v96, v97, v87
	s_mov_b32 s2, 0x3e9b6dac
	s_delay_alu instid0(VALU_DEP_1) | instskip(SKIP_1) | instid1(VALU_DEP_2)
	v_mul_f32_e32 v97, 0x3fb8aa3b, v96
	v_cmp_ngt_f32_e32 vcc_lo, 0xc2ce8ed0, v96
	v_fma_f32 v98, 0x3fb8aa3b, v96, -v97
	v_rndne_f32_e32 v99, v97
	s_delay_alu instid0(VALU_DEP_1) | instskip(NEXT) | instid1(VALU_DEP_1)
	v_dual_fmamk_f32 v98, v96, 0x32a5705f, v98 :: v_dual_sub_f32 v97, v97, v99
	v_add_f32_e32 v97, v97, v98
	v_cvt_i32_f32_e32 v98, v99
	s_delay_alu instid0(VALU_DEP_2) | instskip(SKIP_2) | instid1(VALU_DEP_1)
	v_exp_f32_e32 v97, v97
	s_waitcnt_depctr 0xfff
	v_ldexp_f32 v97, v97, v98
	v_cndmask_b32_e32 v97, 0, v97, vcc_lo
	v_cmp_nlt_f32_e32 vcc_lo, 0x42b17218, v96
	s_delay_alu instid0(VALU_DEP_2) | instskip(NEXT) | instid1(VALU_DEP_1)
	v_cndmask_b32_e32 v98, 0x7f800000, v97, vcc_lo
	v_add_f32_e32 v99, 1.0, v98
	s_delay_alu instid0(VALU_DEP_1) | instskip(NEXT) | instid1(VALU_DEP_1)
	v_cvt_f64_f32_e32 v[96:97], v99
	v_frexp_exp_i32_f64_e32 v96, v[96:97]
	v_frexp_mant_f32_e32 v97, v99
	s_delay_alu instid0(VALU_DEP_1) | instskip(SKIP_1) | instid1(VALU_DEP_1)
	v_cmp_gt_f32_e32 vcc_lo, 0x3f2aaaab, v97
	v_add_f32_e32 v97, -1.0, v99
	v_dual_sub_f32 v102, v97, v99 :: v_dual_sub_f32 v97, v98, v97
	s_delay_alu instid0(VALU_DEP_1) | instskip(SKIP_2) | instid1(VALU_DEP_2)
	v_add_f32_e32 v102, 1.0, v102
	v_subrev_co_ci_u32_e32 v96, vcc_lo, 0, v96, vcc_lo
	v_cmp_eq_f32_e32 vcc_lo, 0x7f800000, v98
	v_sub_nc_u32_e32 v100, 0, v96
	v_cvt_f32_i32_e32 v96, v96
	s_delay_alu instid0(VALU_DEP_2) | instskip(SKIP_1) | instid1(VALU_DEP_2)
	v_ldexp_f32 v99, v99, v100
	v_add_f32_e32 v97, v97, v102
	v_add_f32_e32 v103, 1.0, v99
	s_delay_alu instid0(VALU_DEP_2) | instskip(SKIP_1) | instid1(VALU_DEP_3)
	v_ldexp_f32 v97, v97, v100
	v_add_f32_e32 v100, -1.0, v99
	v_add_f32_e32 v102, -1.0, v103
	s_delay_alu instid0(VALU_DEP_2) | instskip(NEXT) | instid1(VALU_DEP_2)
	v_add_f32_e32 v112, 1.0, v100
	v_sub_f32_e32 v102, v99, v102
	s_delay_alu instid0(VALU_DEP_1) | instskip(NEXT) | instid1(VALU_DEP_1)
	v_dual_sub_f32 v99, v99, v112 :: v_dual_add_f32 v102, v97, v102
	v_dual_add_f32 v97, v97, v99 :: v_dual_add_f32 v112, v103, v102
	s_delay_alu instid0(VALU_DEP_1) | instskip(SKIP_1) | instid1(VALU_DEP_1)
	v_rcp_f32_e32 v99, v112
	v_sub_f32_e32 v103, v103, v112
	v_dual_add_f32 v113, v100, v97 :: v_dual_add_f32 v102, v102, v103
	s_delay_alu instid0(VALU_DEP_1) | instskip(SKIP_3) | instid1(VALU_DEP_2)
	v_sub_f32_e32 v100, v100, v113
	s_waitcnt_depctr 0xfff
	v_mul_f32_e32 v114, v113, v99
	v_add_f32_e32 v97, v97, v100
	v_mul_f32_e32 v115, v112, v114
	s_delay_alu instid0(VALU_DEP_1) | instskip(NEXT) | instid1(VALU_DEP_1)
	v_fma_f32 v103, v114, v112, -v115
	v_fmac_f32_e32 v103, v114, v102
	s_delay_alu instid0(VALU_DEP_1) | instskip(NEXT) | instid1(VALU_DEP_1)
	v_add_f32_e32 v116, v115, v103
	v_sub_f32_e32 v117, v113, v116
	s_delay_alu instid0(VALU_DEP_1) | instskip(NEXT) | instid1(VALU_DEP_1)
	v_dual_sub_f32 v113, v113, v117 :: v_dual_sub_f32 v100, v116, v115
	v_dual_sub_f32 v113, v113, v116 :: v_dual_sub_f32 v100, v100, v103
	s_delay_alu instid0(VALU_DEP_1) | instskip(NEXT) | instid1(VALU_DEP_1)
	v_add_f32_e32 v97, v97, v113
	v_add_f32_e32 v97, v100, v97
	s_delay_alu instid0(VALU_DEP_1) | instskip(NEXT) | instid1(VALU_DEP_1)
	v_add_f32_e32 v100, v117, v97
	v_mul_f32_e32 v103, v99, v100
	s_delay_alu instid0(VALU_DEP_1) | instskip(NEXT) | instid1(VALU_DEP_1)
	v_dual_sub_f32 v116, v117, v100 :: v_dual_mul_f32 v113, v112, v103
	v_add_f32_e32 v97, v97, v116
	s_delay_alu instid0(VALU_DEP_2) | instskip(NEXT) | instid1(VALU_DEP_1)
	v_fma_f32 v112, v103, v112, -v113
	v_fmac_f32_e32 v112, v103, v102
	s_delay_alu instid0(VALU_DEP_1) | instskip(NEXT) | instid1(VALU_DEP_1)
	v_add_f32_e32 v102, v113, v112
	v_sub_f32_e32 v113, v102, v113
	v_sub_f32_e32 v115, v100, v102
	s_delay_alu instid0(VALU_DEP_1) | instskip(NEXT) | instid1(VALU_DEP_1)
	v_sub_f32_e32 v100, v100, v115
	v_sub_f32_e32 v100, v100, v102
	s_delay_alu instid0(VALU_DEP_4) | instskip(NEXT) | instid1(VALU_DEP_2)
	v_sub_f32_e32 v102, v113, v112
	v_dual_add_f32 v97, v97, v100 :: v_dual_add_f32 v100, v114, v103
	s_delay_alu instid0(VALU_DEP_1) | instskip(NEXT) | instid1(VALU_DEP_1)
	v_dual_add_f32 v97, v102, v97 :: v_dual_sub_f32 v102, v100, v114
	v_add_f32_e32 v97, v115, v97
	s_delay_alu instid0(VALU_DEP_2) | instskip(NEXT) | instid1(VALU_DEP_2)
	v_sub_f32_e32 v102, v103, v102
	v_mul_f32_e32 v97, v99, v97
	s_delay_alu instid0(VALU_DEP_1) | instskip(NEXT) | instid1(VALU_DEP_1)
	v_add_f32_e32 v97, v102, v97
	v_add_f32_e32 v99, v100, v97
	s_delay_alu instid0(VALU_DEP_1) | instskip(NEXT) | instid1(VALU_DEP_1)
	v_mul_f32_e32 v102, v99, v99
	v_fmaak_f32 v103, s2, v102, 0x3ecc95a3
	v_mul_f32_e32 v112, v99, v102
	v_cmp_gt_f32_e64 s2, 0x33800000, |v98|
	s_delay_alu instid0(VALU_DEP_3) | instskip(SKIP_2) | instid1(VALU_DEP_4)
	v_fmaak_f32 v102, v102, v103, 0x3f2aaada
	v_ldexp_f32 v103, v99, 1
	v_sub_f32_e32 v99, v99, v100
	s_or_b32 vcc_lo, vcc_lo, s2
	s_delay_alu instid0(VALU_DEP_3) | instskip(NEXT) | instid1(VALU_DEP_2)
	v_mul_f32_e32 v102, v112, v102
	v_dual_mul_f32 v112, 0x3f317218, v96 :: v_dual_sub_f32 v97, v97, v99
	s_delay_alu instid0(VALU_DEP_2) | instskip(NEXT) | instid1(VALU_DEP_2)
	v_add_f32_e32 v100, v103, v102
	v_ldexp_f32 v97, v97, 1
	s_delay_alu instid0(VALU_DEP_2) | instskip(NEXT) | instid1(VALU_DEP_4)
	v_sub_f32_e32 v99, v100, v103
	v_fma_f32 v103, 0x3f317218, v96, -v112
	s_delay_alu instid0(VALU_DEP_1) | instskip(NEXT) | instid1(VALU_DEP_1)
	v_dual_sub_f32 v99, v102, v99 :: v_dual_fmamk_f32 v96, v96, 0xb102e308, v103
	v_add_f32_e32 v97, v97, v99
	s_delay_alu instid0(VALU_DEP_2) | instskip(NEXT) | instid1(VALU_DEP_1)
	v_add_f32_e32 v99, v112, v96
	v_sub_f32_e32 v112, v99, v112
	s_delay_alu instid0(VALU_DEP_3) | instskip(NEXT) | instid1(VALU_DEP_1)
	v_add_f32_e32 v102, v100, v97
	v_dual_sub_f32 v96, v96, v112 :: v_dual_add_f32 v103, v99, v102
	v_sub_f32_e32 v100, v102, v100
	s_delay_alu instid0(VALU_DEP_1) | instskip(NEXT) | instid1(VALU_DEP_3)
	v_sub_f32_e32 v97, v97, v100
	v_sub_f32_e32 v113, v103, v99
	s_delay_alu instid0(VALU_DEP_1) | instskip(NEXT) | instid1(VALU_DEP_3)
	v_sub_f32_e32 v100, v102, v113
	v_add_f32_e32 v102, v96, v97
	v_sub_f32_e32 v114, v103, v113
	s_delay_alu instid0(VALU_DEP_1) | instskip(NEXT) | instid1(VALU_DEP_1)
	v_sub_f32_e32 v99, v99, v114
	v_dual_add_f32 v99, v100, v99 :: v_dual_sub_f32 v100, v102, v96
	s_delay_alu instid0(VALU_DEP_1) | instskip(NEXT) | instid1(VALU_DEP_2)
	v_add_f32_e32 v99, v102, v99
	v_sub_f32_e32 v102, v102, v100
	s_delay_alu instid0(VALU_DEP_1) | instskip(NEXT) | instid1(VALU_DEP_3)
	v_sub_f32_e32 v96, v96, v102
	v_dual_add_f32 v112, v103, v99 :: v_dual_sub_f32 v97, v97, v100
	s_delay_alu instid0(VALU_DEP_1) | instskip(NEXT) | instid1(VALU_DEP_2)
	v_sub_f32_e32 v100, v112, v103
	v_add_f32_e32 v96, v97, v96
	s_delay_alu instid0(VALU_DEP_2) | instskip(NEXT) | instid1(VALU_DEP_1)
	v_sub_f32_e32 v97, v99, v100
	v_add_f32_e32 v96, v96, v97
	s_delay_alu instid0(VALU_DEP_1) | instskip(NEXT) | instid1(VALU_DEP_1)
	v_add_f32_e32 v96, v112, v96
	v_cndmask_b32_e32 v96, v96, v98, vcc_lo
	s_delay_alu instid0(VALU_DEP_1) | instskip(NEXT) | instid1(VALU_DEP_1)
	v_add_f32_e32 v87, v87, v96
	v_cvt_f16_f32_e32 v96, v87
.LBB362_232:
	s_or_b32 exec_lo, exec_lo, s1
	s_branch .LBB362_359
.LBB362_233:
                                        ; implicit-def: $vgpr101
                                        ; implicit-def: $vgpr26
                                        ; implicit-def: $vgpr27
                                        ; implicit-def: $vgpr28
                                        ; implicit-def: $vgpr29
                                        ; implicit-def: $vgpr55
                                        ; implicit-def: $vgpr64
                                        ; implicit-def: $vgpr65
                                        ; implicit-def: $vgpr66
                                        ; implicit-def: $vgpr67
                                        ; implicit-def: $vgpr68
                                        ; implicit-def: $vgpr69
                                        ; implicit-def: $vgpr70
                                        ; implicit-def: $vgpr71
                                        ; implicit-def: $vgpr80
                                        ; implicit-def: $vgpr81
                                        ; implicit-def: $vgpr82
                                        ; implicit-def: $vgpr83
                                        ; implicit-def: $vgpr84
                                        ; implicit-def: $vgpr85
                                        ; implicit-def: $vgpr86
                                        ; implicit-def: $vgpr96
	s_cbranch_execz .LBB362_359
; %bb.234:
	v_cmp_ne_u64_e32 vcc_lo, 0, v[6:7]
	v_cmp_eq_u32_e64 s23, 0, v0
	v_cmp_ne_u32_e64 s9, 0, v0
	s_delay_alu instid0(VALU_DEP_2) | instskip(NEXT) | instid1(SALU_CYCLE_1)
	s_and_b32 s2, s23, vcc_lo
	s_and_saveexec_b32 s1, s2
	s_cbranch_execz .LBB362_238
; %bb.235:
	flat_load_u16 v3, v[2:3]
	v_cvt_f32_f16_e32 v2, v12
	s_waitcnt vmcnt(0) lgkmcnt(0)
	v_cvt_f32_f16_e32 v6, v3
	v_cmp_u_f16_e32 vcc_lo, v3, v3
	s_delay_alu instid0(VALU_DEP_2) | instskip(SKIP_1) | instid1(VALU_DEP_2)
	v_min_f32_e32 v7, v6, v2
	v_max_f32_e32 v26, v6, v2
	v_cndmask_b32_e32 v7, v7, v6, vcc_lo
	s_delay_alu instid0(VALU_DEP_2) | instskip(SKIP_1) | instid1(VALU_DEP_3)
	v_cndmask_b32_e32 v26, v26, v6, vcc_lo
	v_cmp_u_f16_e32 vcc_lo, v12, v12
	v_cndmask_b32_e32 v6, v7, v2, vcc_lo
	s_delay_alu instid0(VALU_DEP_3) | instskip(NEXT) | instid1(VALU_DEP_2)
	v_cndmask_b32_e32 v2, v26, v2, vcc_lo
	v_cmp_class_f32_e64 s2, v6, 0x1f8
	s_delay_alu instid0(VALU_DEP_2) | instskip(NEXT) | instid1(VALU_DEP_2)
	v_cmp_neq_f32_e32 vcc_lo, v6, v2
	s_or_b32 s3, vcc_lo, s2
	s_delay_alu instid0(SALU_CYCLE_1)
	s_and_saveexec_b32 s2, s3
	s_cbranch_execz .LBB362_237
; %bb.236:
	v_sub_f32_e32 v3, v6, v2
	s_mov_b32 s3, 0x3e9b6dac
	s_delay_alu instid0(VALU_DEP_1) | instskip(SKIP_1) | instid1(VALU_DEP_2)
	v_mul_f32_e32 v6, 0x3fb8aa3b, v3
	v_cmp_ngt_f32_e32 vcc_lo, 0xc2ce8ed0, v3
	v_fma_f32 v7, 0x3fb8aa3b, v3, -v6
	v_rndne_f32_e32 v12, v6
	s_delay_alu instid0(VALU_DEP_1) | instskip(NEXT) | instid1(VALU_DEP_1)
	v_dual_fmamk_f32 v7, v3, 0x32a5705f, v7 :: v_dual_sub_f32 v6, v6, v12
	v_add_f32_e32 v6, v6, v7
	v_cvt_i32_f32_e32 v7, v12
	s_delay_alu instid0(VALU_DEP_2) | instskip(SKIP_2) | instid1(VALU_DEP_1)
	v_exp_f32_e32 v6, v6
	s_waitcnt_depctr 0xfff
	v_ldexp_f32 v6, v6, v7
	v_cndmask_b32_e32 v6, 0, v6, vcc_lo
	v_cmp_nlt_f32_e32 vcc_lo, 0x42b17218, v3
	s_delay_alu instid0(VALU_DEP_2) | instskip(NEXT) | instid1(VALU_DEP_1)
	v_cndmask_b32_e32 v3, 0x7f800000, v6, vcc_lo
	v_add_f32_e32 v12, 1.0, v3
	s_delay_alu instid0(VALU_DEP_1) | instskip(NEXT) | instid1(VALU_DEP_1)
	v_cvt_f64_f32_e32 v[6:7], v12
	v_frexp_exp_i32_f64_e32 v6, v[6:7]
	v_frexp_mant_f32_e32 v7, v12
	s_delay_alu instid0(VALU_DEP_1) | instskip(SKIP_1) | instid1(VALU_DEP_1)
	v_cmp_gt_f32_e32 vcc_lo, 0x3f2aaaab, v7
	v_add_f32_e32 v7, -1.0, v12
	v_sub_f32_e32 v27, v7, v12
	v_sub_f32_e32 v7, v3, v7
	v_subrev_co_ci_u32_e32 v6, vcc_lo, 0, v6, vcc_lo
	s_delay_alu instid0(VALU_DEP_1) | instskip(SKIP_1) | instid1(VALU_DEP_2)
	v_sub_nc_u32_e32 v26, 0, v6
	v_cvt_f32_i32_e32 v6, v6
	v_ldexp_f32 v12, v12, v26
	s_delay_alu instid0(VALU_DEP_1) | instskip(NEXT) | instid1(VALU_DEP_1)
	v_dual_add_f32 v27, 1.0, v27 :: v_dual_add_f32 v28, 1.0, v12
	v_add_f32_e32 v7, v7, v27
	s_delay_alu instid0(VALU_DEP_2) | instskip(NEXT) | instid1(VALU_DEP_2)
	v_add_f32_e32 v27, -1.0, v28
	v_ldexp_f32 v7, v7, v26
	v_add_f32_e32 v26, -1.0, v12
	v_cmp_eq_f32_e32 vcc_lo, 0x7f800000, v3
	s_delay_alu instid0(VALU_DEP_4) | instskip(NEXT) | instid1(VALU_DEP_3)
	v_sub_f32_e32 v27, v12, v27
	v_add_f32_e32 v29, 1.0, v26
	s_delay_alu instid0(VALU_DEP_1) | instskip(NEXT) | instid1(VALU_DEP_1)
	v_dual_add_f32 v27, v7, v27 :: v_dual_sub_f32 v12, v12, v29
	v_add_f32_e32 v29, v28, v27
	s_delay_alu instid0(VALU_DEP_2) | instskip(NEXT) | instid1(VALU_DEP_2)
	v_add_f32_e32 v7, v7, v12
	v_rcp_f32_e32 v12, v29
	s_delay_alu instid0(VALU_DEP_1) | instskip(NEXT) | instid1(VALU_DEP_1)
	v_dual_sub_f32 v28, v28, v29 :: v_dual_add_f32 v55, v26, v7
	v_dual_add_f32 v27, v27, v28 :: v_dual_sub_f32 v26, v26, v55
	s_waitcnt_depctr 0xfff
	v_mul_f32_e32 v64, v55, v12
	v_add_f32_e32 v7, v7, v26
	s_delay_alu instid0(VALU_DEP_2) | instskip(NEXT) | instid1(VALU_DEP_1)
	v_mul_f32_e32 v65, v29, v64
	v_fma_f32 v28, v64, v29, -v65
	s_delay_alu instid0(VALU_DEP_1) | instskip(NEXT) | instid1(VALU_DEP_1)
	v_fmac_f32_e32 v28, v64, v27
	v_add_f32_e32 v66, v65, v28
	s_delay_alu instid0(VALU_DEP_1) | instskip(NEXT) | instid1(VALU_DEP_1)
	v_dual_sub_f32 v26, v66, v65 :: v_dual_sub_f32 v67, v55, v66
	v_dual_sub_f32 v26, v26, v28 :: v_dual_sub_f32 v55, v55, v67
	s_delay_alu instid0(VALU_DEP_1) | instskip(NEXT) | instid1(VALU_DEP_1)
	v_sub_f32_e32 v55, v55, v66
	v_add_f32_e32 v7, v7, v55
	s_delay_alu instid0(VALU_DEP_1) | instskip(NEXT) | instid1(VALU_DEP_1)
	v_add_f32_e32 v7, v26, v7
	v_add_f32_e32 v26, v67, v7
	s_delay_alu instid0(VALU_DEP_1) | instskip(SKIP_1) | instid1(VALU_DEP_2)
	v_sub_f32_e32 v66, v67, v26
	v_mul_f32_e32 v28, v12, v26
	v_add_f32_e32 v7, v7, v66
	s_delay_alu instid0(VALU_DEP_2) | instskip(NEXT) | instid1(VALU_DEP_1)
	v_mul_f32_e32 v55, v29, v28
	v_fma_f32 v29, v28, v29, -v55
	s_delay_alu instid0(VALU_DEP_1) | instskip(NEXT) | instid1(VALU_DEP_1)
	v_fmac_f32_e32 v29, v28, v27
	v_add_f32_e32 v27, v55, v29
	s_delay_alu instid0(VALU_DEP_1) | instskip(NEXT) | instid1(VALU_DEP_1)
	v_sub_f32_e32 v65, v26, v27
	v_dual_sub_f32 v55, v27, v55 :: v_dual_sub_f32 v26, v26, v65
	s_delay_alu instid0(VALU_DEP_1) | instskip(NEXT) | instid1(VALU_DEP_1)
	v_dual_sub_f32 v26, v26, v27 :: v_dual_sub_f32 v27, v55, v29
	v_dual_add_f32 v7, v7, v26 :: v_dual_add_f32 v26, v64, v28
	s_delay_alu instid0(VALU_DEP_1) | instskip(NEXT) | instid1(VALU_DEP_2)
	v_add_f32_e32 v7, v27, v7
	v_sub_f32_e32 v27, v26, v64
	s_delay_alu instid0(VALU_DEP_2) | instskip(NEXT) | instid1(VALU_DEP_2)
	v_add_f32_e32 v7, v65, v7
	v_sub_f32_e32 v27, v28, v27
	s_delay_alu instid0(VALU_DEP_2) | instskip(NEXT) | instid1(VALU_DEP_1)
	v_mul_f32_e32 v7, v12, v7
	v_add_f32_e32 v7, v27, v7
	s_delay_alu instid0(VALU_DEP_1) | instskip(NEXT) | instid1(VALU_DEP_1)
	v_add_f32_e32 v12, v26, v7
	v_mul_f32_e32 v27, v12, v12
	s_delay_alu instid0(VALU_DEP_1) | instskip(SKIP_2) | instid1(VALU_DEP_3)
	v_fmaak_f32 v28, s3, v27, 0x3ecc95a3
	v_mul_f32_e32 v29, v12, v27
	v_cmp_gt_f32_e64 s3, 0x33800000, |v3|
	v_fmaak_f32 v27, v27, v28, 0x3f2aaada
	v_ldexp_f32 v28, v12, 1
	v_sub_f32_e32 v12, v12, v26
	s_delay_alu instid0(VALU_DEP_4) | instskip(NEXT) | instid1(VALU_DEP_3)
	s_or_b32 vcc_lo, vcc_lo, s3
	v_mul_f32_e32 v27, v29, v27
	s_delay_alu instid0(VALU_DEP_1) | instskip(NEXT) | instid1(VALU_DEP_1)
	v_dual_sub_f32 v7, v7, v12 :: v_dual_add_f32 v26, v28, v27
	v_ldexp_f32 v7, v7, 1
	s_delay_alu instid0(VALU_DEP_2) | instskip(NEXT) | instid1(VALU_DEP_1)
	v_sub_f32_e32 v12, v26, v28
	v_sub_f32_e32 v12, v27, v12
	s_delay_alu instid0(VALU_DEP_1) | instskip(NEXT) | instid1(VALU_DEP_1)
	v_add_f32_e32 v7, v7, v12
	v_add_f32_e32 v27, v26, v7
	v_mul_f32_e32 v29, 0x3f317218, v6
	s_delay_alu instid0(VALU_DEP_2) | instskip(NEXT) | instid1(VALU_DEP_2)
	v_sub_f32_e32 v26, v27, v26
	v_fma_f32 v28, 0x3f317218, v6, -v29
	s_delay_alu instid0(VALU_DEP_1) | instskip(NEXT) | instid1(VALU_DEP_1)
	v_dual_sub_f32 v7, v7, v26 :: v_dual_fmamk_f32 v6, v6, 0xb102e308, v28
	v_add_f32_e32 v12, v29, v6
	s_delay_alu instid0(VALU_DEP_1) | instskip(NEXT) | instid1(VALU_DEP_1)
	v_add_f32_e32 v28, v12, v27
	v_sub_f32_e32 v55, v28, v12
	s_delay_alu instid0(VALU_DEP_1) | instskip(SKIP_1) | instid1(VALU_DEP_2)
	v_dual_sub_f32 v26, v27, v55 :: v_dual_sub_f32 v29, v12, v29
	v_sub_f32_e32 v64, v28, v55
	v_sub_f32_e32 v6, v6, v29
	s_delay_alu instid0(VALU_DEP_1) | instskip(NEXT) | instid1(VALU_DEP_1)
	v_dual_sub_f32 v12, v12, v64 :: v_dual_add_f32 v27, v6, v7
	v_add_f32_e32 v12, v26, v12
	s_delay_alu instid0(VALU_DEP_2) | instskip(NEXT) | instid1(VALU_DEP_2)
	v_sub_f32_e32 v26, v27, v6
	v_add_f32_e32 v12, v27, v12
	s_delay_alu instid0(VALU_DEP_2) | instskip(NEXT) | instid1(VALU_DEP_2)
	v_sub_f32_e32 v27, v27, v26
	v_add_f32_e32 v29, v28, v12
	s_delay_alu instid0(VALU_DEP_2) | instskip(NEXT) | instid1(VALU_DEP_2)
	v_dual_sub_f32 v7, v7, v26 :: v_dual_sub_f32 v6, v6, v27
	v_sub_f32_e32 v26, v29, v28
	s_delay_alu instid0(VALU_DEP_2) | instskip(NEXT) | instid1(VALU_DEP_2)
	v_add_f32_e32 v6, v7, v6
	v_sub_f32_e32 v7, v12, v26
	s_delay_alu instid0(VALU_DEP_1) | instskip(NEXT) | instid1(VALU_DEP_1)
	v_add_f32_e32 v6, v6, v7
	v_add_f32_e32 v6, v29, v6
	s_delay_alu instid0(VALU_DEP_1) | instskip(NEXT) | instid1(VALU_DEP_1)
	v_cndmask_b32_e32 v3, v6, v3, vcc_lo
	v_add_f32_e32 v2, v2, v3
	s_delay_alu instid0(VALU_DEP_1)
	v_cvt_f16_f32_e32 v3, v2
.LBB362_237:
	s_or_b32 exec_lo, exec_lo, s2
	s_delay_alu instid0(VALU_DEP_1)
	v_mov_b32_e32 v12, v3
.LBB362_238:
	s_or_b32 exec_lo, exec_lo, s1
	s_delay_alu instid0(VALU_DEP_1)
	v_cvt_f32_f16_e32 v2, v12
	v_cmp_u_f16_e64 s22, v12, v12
	v_cmp_u_f16_e32 vcc_lo, v54, v54
	v_mov_b32_e32 v29, v12
	v_mov_b32_e32 v28, v12
	v_min_f32_e32 v26, v2, v34
	v_max_f32_e32 v27, v2, v34
	v_mov_b32_e32 v54, v2
	s_delay_alu instid0(VALU_DEP_3) | instskip(NEXT) | instid1(VALU_DEP_3)
	v_cndmask_b32_e64 v3, v26, v2, s22
	v_cndmask_b32_e64 v7, v27, v2, s22
	s_delay_alu instid0(VALU_DEP_2) | instskip(NEXT) | instid1(VALU_DEP_2)
	v_cndmask_b32_e32 v6, v3, v34, vcc_lo
	v_cndmask_b32_e32 v3, v7, v34, vcc_lo
	s_delay_alu instid0(VALU_DEP_2) | instskip(NEXT) | instid1(VALU_DEP_2)
	v_cmp_class_f32_e64 s2, v6, 0x1f8
	v_cmp_neq_f32_e64 s1, v6, v3
	s_delay_alu instid0(VALU_DEP_1) | instskip(NEXT) | instid1(SALU_CYCLE_1)
	s_or_b32 s1, s1, s2
	s_and_saveexec_b32 s2, s1
	s_cbranch_execz .LBB362_240
; %bb.239:
	v_sub_f32_e32 v6, v6, v3
	s_delay_alu instid0(VALU_DEP_1) | instskip(NEXT) | instid1(VALU_DEP_1)
	v_mul_f32_e32 v7, 0x3fb8aa3b, v6
	v_fma_f32 v28, 0x3fb8aa3b, v6, -v7
	v_rndne_f32_e32 v29, v7
	s_delay_alu instid0(VALU_DEP_1) | instskip(SKIP_1) | instid1(VALU_DEP_2)
	v_dual_sub_f32 v7, v7, v29 :: v_dual_fmamk_f32 v28, v6, 0x32a5705f, v28
	v_cmp_ngt_f32_e64 s1, 0xc2ce8ed0, v6
	v_add_f32_e32 v7, v7, v28
	v_cvt_i32_f32_e32 v28, v29
	s_delay_alu instid0(VALU_DEP_2) | instskip(SKIP_2) | instid1(VALU_DEP_1)
	v_exp_f32_e32 v7, v7
	s_waitcnt_depctr 0xfff
	v_ldexp_f32 v7, v7, v28
	v_cndmask_b32_e64 v7, 0, v7, s1
	v_cmp_nlt_f32_e64 s1, 0x42b17218, v6
	s_delay_alu instid0(VALU_DEP_1) | instskip(NEXT) | instid1(VALU_DEP_1)
	v_cndmask_b32_e64 v28, 0x7f800000, v7, s1
	v_add_f32_e32 v29, 1.0, v28
	v_cmp_gt_f32_e64 s3, 0x33800000, |v28|
	s_delay_alu instid0(VALU_DEP_2) | instskip(NEXT) | instid1(VALU_DEP_1)
	v_cvt_f64_f32_e32 v[6:7], v29
	v_frexp_exp_i32_f64_e32 v6, v[6:7]
	v_frexp_mant_f32_e32 v7, v29
	s_delay_alu instid0(VALU_DEP_1) | instskip(SKIP_1) | instid1(VALU_DEP_1)
	v_cmp_gt_f32_e64 s1, 0x3f2aaaab, v7
	v_add_f32_e32 v7, -1.0, v29
	v_sub_f32_e32 v55, v7, v29
	v_sub_f32_e32 v7, v28, v7
	s_delay_alu instid0(VALU_DEP_4) | instskip(SKIP_1) | instid1(VALU_DEP_1)
	v_subrev_co_ci_u32_e64 v6, s1, 0, v6, s1
	s_mov_b32 s1, 0x3e9b6dac
	v_sub_nc_u32_e32 v54, 0, v6
	v_cvt_f32_i32_e32 v6, v6
	s_delay_alu instid0(VALU_DEP_2) | instskip(NEXT) | instid1(VALU_DEP_1)
	v_ldexp_f32 v29, v29, v54
	v_dual_add_f32 v64, 1.0, v29 :: v_dual_add_f32 v55, 1.0, v55
	s_delay_alu instid0(VALU_DEP_1) | instskip(NEXT) | instid1(VALU_DEP_2)
	v_add_f32_e32 v7, v7, v55
	v_add_f32_e32 v55, -1.0, v64
	s_delay_alu instid0(VALU_DEP_2) | instskip(NEXT) | instid1(VALU_DEP_2)
	v_ldexp_f32 v7, v7, v54
	v_dual_add_f32 v54, -1.0, v29 :: v_dual_sub_f32 v55, v29, v55
	s_delay_alu instid0(VALU_DEP_1) | instskip(NEXT) | instid1(VALU_DEP_2)
	v_add_f32_e32 v65, 1.0, v54
	v_add_f32_e32 v55, v7, v55
	s_delay_alu instid0(VALU_DEP_2) | instskip(NEXT) | instid1(VALU_DEP_2)
	v_sub_f32_e32 v29, v29, v65
	v_add_f32_e32 v65, v64, v55
	s_delay_alu instid0(VALU_DEP_2) | instskip(NEXT) | instid1(VALU_DEP_2)
	v_add_f32_e32 v7, v7, v29
	v_rcp_f32_e32 v29, v65
	v_sub_f32_e32 v64, v64, v65
	s_delay_alu instid0(VALU_DEP_1) | instskip(NEXT) | instid1(VALU_DEP_1)
	v_dual_add_f32 v66, v54, v7 :: v_dual_add_f32 v55, v55, v64
	v_sub_f32_e32 v54, v54, v66
	s_waitcnt_depctr 0xfff
	v_mul_f32_e32 v67, v66, v29
	s_delay_alu instid0(VALU_DEP_1) | instskip(NEXT) | instid1(VALU_DEP_1)
	v_dual_add_f32 v7, v7, v54 :: v_dual_mul_f32 v68, v65, v67
	v_fma_f32 v64, v67, v65, -v68
	s_delay_alu instid0(VALU_DEP_1) | instskip(NEXT) | instid1(VALU_DEP_1)
	v_fmac_f32_e32 v64, v67, v55
	v_add_f32_e32 v69, v68, v64
	s_delay_alu instid0(VALU_DEP_1) | instskip(SKIP_1) | instid1(VALU_DEP_2)
	v_sub_f32_e32 v70, v66, v69
	v_sub_f32_e32 v54, v69, v68
	;; [unrolled: 1-line block ×3, first 2 shown]
	s_delay_alu instid0(VALU_DEP_2) | instskip(NEXT) | instid1(VALU_DEP_2)
	v_sub_f32_e32 v54, v54, v64
	v_sub_f32_e32 v66, v66, v69
	s_delay_alu instid0(VALU_DEP_1) | instskip(NEXT) | instid1(VALU_DEP_1)
	v_add_f32_e32 v7, v7, v66
	v_add_f32_e32 v7, v54, v7
	s_delay_alu instid0(VALU_DEP_1) | instskip(NEXT) | instid1(VALU_DEP_1)
	v_add_f32_e32 v54, v70, v7
	v_mul_f32_e32 v64, v29, v54
	s_delay_alu instid0(VALU_DEP_1) | instskip(NEXT) | instid1(VALU_DEP_1)
	v_dual_sub_f32 v69, v70, v54 :: v_dual_mul_f32 v66, v65, v64
	v_add_f32_e32 v7, v7, v69
	s_delay_alu instid0(VALU_DEP_2) | instskip(NEXT) | instid1(VALU_DEP_1)
	v_fma_f32 v65, v64, v65, -v66
	v_fmac_f32_e32 v65, v64, v55
	s_delay_alu instid0(VALU_DEP_1) | instskip(NEXT) | instid1(VALU_DEP_1)
	v_add_f32_e32 v55, v66, v65
	v_sub_f32_e32 v68, v54, v55
	v_sub_f32_e32 v66, v55, v66
	s_delay_alu instid0(VALU_DEP_2) | instskip(NEXT) | instid1(VALU_DEP_1)
	v_sub_f32_e32 v54, v54, v68
	v_sub_f32_e32 v54, v54, v55
	s_delay_alu instid0(VALU_DEP_3) | instskip(NEXT) | instid1(VALU_DEP_2)
	v_sub_f32_e32 v55, v66, v65
	v_add_f32_e32 v7, v7, v54
	v_add_f32_e32 v54, v67, v64
	s_delay_alu instid0(VALU_DEP_2) | instskip(NEXT) | instid1(VALU_DEP_2)
	v_add_f32_e32 v7, v55, v7
	v_sub_f32_e32 v55, v54, v67
	s_delay_alu instid0(VALU_DEP_2) | instskip(NEXT) | instid1(VALU_DEP_2)
	v_add_f32_e32 v7, v68, v7
	v_sub_f32_e32 v55, v64, v55
	s_delay_alu instid0(VALU_DEP_2) | instskip(NEXT) | instid1(VALU_DEP_1)
	v_mul_f32_e32 v7, v29, v7
	v_add_f32_e32 v7, v55, v7
	s_delay_alu instid0(VALU_DEP_1) | instskip(NEXT) | instid1(VALU_DEP_1)
	v_add_f32_e32 v29, v54, v7
	v_mul_f32_e32 v55, v29, v29
	s_delay_alu instid0(VALU_DEP_1) | instskip(SKIP_2) | instid1(VALU_DEP_3)
	v_fmaak_f32 v64, s1, v55, 0x3ecc95a3
	v_mul_f32_e32 v65, v29, v55
	v_cmp_eq_f32_e64 s1, 0x7f800000, v28
	v_fmaak_f32 v55, v55, v64, 0x3f2aaada
	v_ldexp_f32 v64, v29, 1
	v_sub_f32_e32 v29, v29, v54
	s_delay_alu instid0(VALU_DEP_4) | instskip(NEXT) | instid1(VALU_DEP_3)
	s_or_b32 s1, s1, s3
	v_mul_f32_e32 v55, v65, v55
	v_mul_f32_e32 v65, 0x3f317218, v6
	s_delay_alu instid0(VALU_DEP_2) | instskip(NEXT) | instid1(VALU_DEP_1)
	v_dual_sub_f32 v7, v7, v29 :: v_dual_add_f32 v54, v64, v55
	v_ldexp_f32 v7, v7, 1
	s_delay_alu instid0(VALU_DEP_2) | instskip(NEXT) | instid1(VALU_DEP_4)
	v_sub_f32_e32 v29, v54, v64
	v_fma_f32 v64, 0x3f317218, v6, -v65
	s_delay_alu instid0(VALU_DEP_1) | instskip(NEXT) | instid1(VALU_DEP_1)
	v_dual_sub_f32 v29, v55, v29 :: v_dual_fmamk_f32 v6, v6, 0xb102e308, v64
	v_add_f32_e32 v7, v7, v29
	s_delay_alu instid0(VALU_DEP_2) | instskip(NEXT) | instid1(VALU_DEP_2)
	v_add_f32_e32 v29, v65, v6
	v_add_f32_e32 v55, v54, v7
	s_delay_alu instid0(VALU_DEP_2) | instskip(NEXT) | instid1(VALU_DEP_2)
	v_sub_f32_e32 v65, v29, v65
	v_add_f32_e32 v64, v29, v55
	v_sub_f32_e32 v54, v55, v54
	s_delay_alu instid0(VALU_DEP_3) | instskip(NEXT) | instid1(VALU_DEP_2)
	v_sub_f32_e32 v6, v6, v65
	v_dual_sub_f32 v66, v64, v29 :: v_dual_sub_f32 v7, v7, v54
	s_delay_alu instid0(VALU_DEP_1) | instskip(NEXT) | instid1(VALU_DEP_2)
	v_sub_f32_e32 v67, v64, v66
	v_dual_sub_f32 v54, v55, v66 :: v_dual_add_f32 v55, v6, v7
	s_delay_alu instid0(VALU_DEP_2) | instskip(NEXT) | instid1(VALU_DEP_1)
	v_sub_f32_e32 v29, v29, v67
	v_dual_add_f32 v29, v54, v29 :: v_dual_sub_f32 v54, v55, v6
	s_delay_alu instid0(VALU_DEP_1) | instskip(NEXT) | instid1(VALU_DEP_2)
	v_add_f32_e32 v29, v55, v29
	v_sub_f32_e32 v55, v55, v54
	v_sub_f32_e32 v7, v7, v54
	s_delay_alu instid0(VALU_DEP_2) | instskip(NEXT) | instid1(VALU_DEP_1)
	v_dual_add_f32 v65, v64, v29 :: v_dual_sub_f32 v6, v6, v55
	v_sub_f32_e32 v54, v65, v64
	s_delay_alu instid0(VALU_DEP_2) | instskip(NEXT) | instid1(VALU_DEP_2)
	v_add_f32_e32 v6, v7, v6
	v_sub_f32_e32 v7, v29, v54
	s_delay_alu instid0(VALU_DEP_1) | instskip(NEXT) | instid1(VALU_DEP_1)
	v_add_f32_e32 v6, v6, v7
	v_add_f32_e32 v6, v65, v6
	s_delay_alu instid0(VALU_DEP_1) | instskip(NEXT) | instid1(VALU_DEP_1)
	v_cndmask_b32_e64 v6, v6, v28, s1
	v_add_f32_e32 v3, v3, v6
	s_delay_alu instid0(VALU_DEP_1) | instskip(NEXT) | instid1(VALU_DEP_1)
	v_cvt_f16_f32_e32 v29, v3
	v_cvt_f32_f16_e32 v54, v29
	v_mov_b32_e32 v28, v29
.LBB362_240:
	s_or_b32 exec_lo, exec_lo, s2
	v_cvt_f32_f16_e32 v3, v13
	s_delay_alu instid0(VALU_DEP_3) | instskip(SKIP_1) | instid1(VALU_DEP_2)
	v_max_f32_e32 v6, v54, v54
	v_cmp_u_f16_e64 s1, v29, v29
	v_min_f32_e32 v7, v6, v3
	v_max_f32_e32 v6, v6, v3
	s_delay_alu instid0(VALU_DEP_2) | instskip(NEXT) | instid1(VALU_DEP_2)
	v_cndmask_b32_e64 v7, v7, v54, s1
	v_cndmask_b32_e64 v6, v6, v54, s1
	v_cmp_u_f16_e64 s1, v13, v13
	s_delay_alu instid0(VALU_DEP_1) | instskip(NEXT) | instid1(VALU_DEP_3)
	v_cndmask_b32_e64 v7, v7, v3, s1
	v_cndmask_b32_e64 v6, v6, v3, s1
	s_delay_alu instid0(VALU_DEP_2) | instskip(NEXT) | instid1(VALU_DEP_2)
	v_cmp_class_f32_e64 s3, v7, 0x1f8
	v_cmp_neq_f32_e64 s2, v7, v6
	s_delay_alu instid0(VALU_DEP_1) | instskip(NEXT) | instid1(SALU_CYCLE_1)
	s_or_b32 s2, s2, s3
	s_and_saveexec_b32 s3, s2
	s_cbranch_execz .LBB362_242
; %bb.241:
	v_sub_f32_e32 v7, v7, v6
	s_delay_alu instid0(VALU_DEP_1) | instskip(SKIP_1) | instid1(VALU_DEP_2)
	v_mul_f32_e32 v13, 0x3fb8aa3b, v7
	v_cmp_ngt_f32_e64 s2, 0xc2ce8ed0, v7
	v_fma_f32 v28, 0x3fb8aa3b, v7, -v13
	v_rndne_f32_e32 v29, v13
	s_delay_alu instid0(VALU_DEP_1) | instskip(NEXT) | instid1(VALU_DEP_1)
	v_dual_fmamk_f32 v28, v7, 0x32a5705f, v28 :: v_dual_sub_f32 v13, v13, v29
	v_add_f32_e32 v13, v13, v28
	v_cvt_i32_f32_e32 v28, v29
	s_delay_alu instid0(VALU_DEP_2) | instskip(SKIP_2) | instid1(VALU_DEP_1)
	v_exp_f32_e32 v13, v13
	s_waitcnt_depctr 0xfff
	v_ldexp_f32 v13, v13, v28
	v_cndmask_b32_e64 v13, 0, v13, s2
	v_cmp_nlt_f32_e64 s2, 0x42b17218, v7
	s_delay_alu instid0(VALU_DEP_1) | instskip(NEXT) | instid1(VALU_DEP_1)
	v_cndmask_b32_e64 v7, 0x7f800000, v13, s2
	v_add_f32_e32 v13, 1.0, v7
	v_cmp_gt_f32_e64 s4, 0x33800000, |v7|
	s_delay_alu instid0(VALU_DEP_2) | instskip(NEXT) | instid1(VALU_DEP_1)
	v_cvt_f64_f32_e32 v[28:29], v13
	v_frexp_exp_i32_f64_e32 v28, v[28:29]
	v_frexp_mant_f32_e32 v29, v13
	s_delay_alu instid0(VALU_DEP_1) | instskip(SKIP_1) | instid1(VALU_DEP_1)
	v_cmp_gt_f32_e64 s2, 0x3f2aaaab, v29
	v_add_f32_e32 v29, -1.0, v13
	v_sub_f32_e32 v55, v29, v13
	v_sub_f32_e32 v29, v7, v29
	s_delay_alu instid0(VALU_DEP_4) | instskip(SKIP_1) | instid1(VALU_DEP_1)
	v_subrev_co_ci_u32_e64 v28, s2, 0, v28, s2
	s_mov_b32 s2, 0x3e9b6dac
	v_sub_nc_u32_e32 v54, 0, v28
	v_cvt_f32_i32_e32 v28, v28
	s_delay_alu instid0(VALU_DEP_2) | instskip(NEXT) | instid1(VALU_DEP_1)
	v_ldexp_f32 v13, v13, v54
	v_dual_add_f32 v55, 1.0, v55 :: v_dual_add_f32 v64, 1.0, v13
	s_delay_alu instid0(VALU_DEP_1) | instskip(NEXT) | instid1(VALU_DEP_2)
	v_add_f32_e32 v29, v29, v55
	v_add_f32_e32 v55, -1.0, v64
	s_delay_alu instid0(VALU_DEP_2) | instskip(NEXT) | instid1(VALU_DEP_2)
	v_ldexp_f32 v29, v29, v54
	v_dual_add_f32 v54, -1.0, v13 :: v_dual_sub_f32 v55, v13, v55
	s_delay_alu instid0(VALU_DEP_1) | instskip(NEXT) | instid1(VALU_DEP_2)
	v_add_f32_e32 v65, 1.0, v54
	v_add_f32_e32 v55, v29, v55
	s_delay_alu instid0(VALU_DEP_2) | instskip(NEXT) | instid1(VALU_DEP_2)
	v_sub_f32_e32 v13, v13, v65
	v_add_f32_e32 v65, v64, v55
	s_delay_alu instid0(VALU_DEP_2) | instskip(NEXT) | instid1(VALU_DEP_2)
	v_add_f32_e32 v13, v29, v13
	v_rcp_f32_e32 v29, v65
	v_sub_f32_e32 v64, v64, v65
	s_delay_alu instid0(VALU_DEP_1) | instskip(NEXT) | instid1(VALU_DEP_1)
	v_dual_add_f32 v66, v54, v13 :: v_dual_add_f32 v55, v55, v64
	v_sub_f32_e32 v54, v54, v66
	s_waitcnt_depctr 0xfff
	v_mul_f32_e32 v67, v66, v29
	v_add_f32_e32 v13, v13, v54
	s_delay_alu instid0(VALU_DEP_2) | instskip(NEXT) | instid1(VALU_DEP_1)
	v_mul_f32_e32 v68, v65, v67
	v_fma_f32 v64, v67, v65, -v68
	s_delay_alu instid0(VALU_DEP_1) | instskip(NEXT) | instid1(VALU_DEP_1)
	v_fmac_f32_e32 v64, v67, v55
	v_add_f32_e32 v69, v68, v64
	s_delay_alu instid0(VALU_DEP_1) | instskip(SKIP_1) | instid1(VALU_DEP_2)
	v_sub_f32_e32 v70, v66, v69
	v_sub_f32_e32 v54, v69, v68
	v_sub_f32_e32 v66, v66, v70
	s_delay_alu instid0(VALU_DEP_2) | instskip(NEXT) | instid1(VALU_DEP_2)
	v_sub_f32_e32 v54, v54, v64
	v_sub_f32_e32 v66, v66, v69
	s_delay_alu instid0(VALU_DEP_1) | instskip(NEXT) | instid1(VALU_DEP_1)
	v_add_f32_e32 v13, v13, v66
	v_add_f32_e32 v13, v54, v13
	s_delay_alu instid0(VALU_DEP_1) | instskip(NEXT) | instid1(VALU_DEP_1)
	v_add_f32_e32 v54, v70, v13
	v_mul_f32_e32 v64, v29, v54
	s_delay_alu instid0(VALU_DEP_1) | instskip(NEXT) | instid1(VALU_DEP_1)
	v_dual_sub_f32 v69, v70, v54 :: v_dual_mul_f32 v66, v65, v64
	v_add_f32_e32 v13, v13, v69
	s_delay_alu instid0(VALU_DEP_2) | instskip(NEXT) | instid1(VALU_DEP_1)
	v_fma_f32 v65, v64, v65, -v66
	v_fmac_f32_e32 v65, v64, v55
	s_delay_alu instid0(VALU_DEP_1) | instskip(NEXT) | instid1(VALU_DEP_1)
	v_add_f32_e32 v55, v66, v65
	v_sub_f32_e32 v68, v54, v55
	v_sub_f32_e32 v66, v55, v66
	s_delay_alu instid0(VALU_DEP_2) | instskip(NEXT) | instid1(VALU_DEP_1)
	v_sub_f32_e32 v54, v54, v68
	v_sub_f32_e32 v54, v54, v55
	s_delay_alu instid0(VALU_DEP_3) | instskip(NEXT) | instid1(VALU_DEP_2)
	v_sub_f32_e32 v55, v66, v65
	v_dual_add_f32 v13, v13, v54 :: v_dual_add_f32 v54, v67, v64
	s_delay_alu instid0(VALU_DEP_1) | instskip(NEXT) | instid1(VALU_DEP_2)
	v_add_f32_e32 v13, v55, v13
	v_sub_f32_e32 v55, v54, v67
	s_delay_alu instid0(VALU_DEP_2) | instskip(NEXT) | instid1(VALU_DEP_2)
	v_add_f32_e32 v13, v68, v13
	v_sub_f32_e32 v55, v64, v55
	s_delay_alu instid0(VALU_DEP_2) | instskip(NEXT) | instid1(VALU_DEP_1)
	v_mul_f32_e32 v13, v29, v13
	v_add_f32_e32 v13, v55, v13
	s_delay_alu instid0(VALU_DEP_1) | instskip(NEXT) | instid1(VALU_DEP_1)
	v_add_f32_e32 v29, v54, v13
	v_mul_f32_e32 v55, v29, v29
	s_delay_alu instid0(VALU_DEP_1) | instskip(SKIP_2) | instid1(VALU_DEP_3)
	v_fmaak_f32 v64, s2, v55, 0x3ecc95a3
	v_mul_f32_e32 v65, v29, v55
	v_cmp_eq_f32_e64 s2, 0x7f800000, v7
	v_fmaak_f32 v55, v55, v64, 0x3f2aaada
	v_ldexp_f32 v64, v29, 1
	v_sub_f32_e32 v29, v29, v54
	s_delay_alu instid0(VALU_DEP_4) | instskip(NEXT) | instid1(VALU_DEP_3)
	s_or_b32 s2, s2, s4
	v_mul_f32_e32 v55, v65, v55
	v_mul_f32_e32 v65, 0x3f317218, v28
	s_delay_alu instid0(VALU_DEP_2) | instskip(NEXT) | instid1(VALU_DEP_1)
	v_dual_sub_f32 v13, v13, v29 :: v_dual_add_f32 v54, v64, v55
	v_ldexp_f32 v13, v13, 1
	s_delay_alu instid0(VALU_DEP_2) | instskip(NEXT) | instid1(VALU_DEP_4)
	v_sub_f32_e32 v29, v54, v64
	v_fma_f32 v64, 0x3f317218, v28, -v65
	s_delay_alu instid0(VALU_DEP_1) | instskip(NEXT) | instid1(VALU_DEP_1)
	v_dual_sub_f32 v29, v55, v29 :: v_dual_fmamk_f32 v28, v28, 0xb102e308, v64
	v_add_f32_e32 v13, v13, v29
	s_delay_alu instid0(VALU_DEP_2) | instskip(NEXT) | instid1(VALU_DEP_2)
	v_add_f32_e32 v29, v65, v28
	v_add_f32_e32 v55, v54, v13
	s_delay_alu instid0(VALU_DEP_2) | instskip(NEXT) | instid1(VALU_DEP_2)
	v_sub_f32_e32 v65, v29, v65
	v_add_f32_e32 v64, v29, v55
	v_sub_f32_e32 v54, v55, v54
	s_delay_alu instid0(VALU_DEP_3) | instskip(NEXT) | instid1(VALU_DEP_2)
	v_sub_f32_e32 v28, v28, v65
	v_dual_sub_f32 v66, v64, v29 :: v_dual_sub_f32 v13, v13, v54
	s_delay_alu instid0(VALU_DEP_1) | instskip(NEXT) | instid1(VALU_DEP_2)
	v_sub_f32_e32 v67, v64, v66
	v_dual_sub_f32 v54, v55, v66 :: v_dual_add_f32 v55, v28, v13
	s_delay_alu instid0(VALU_DEP_2) | instskip(NEXT) | instid1(VALU_DEP_1)
	v_sub_f32_e32 v29, v29, v67
	v_dual_add_f32 v29, v54, v29 :: v_dual_sub_f32 v54, v55, v28
	s_delay_alu instid0(VALU_DEP_1) | instskip(NEXT) | instid1(VALU_DEP_2)
	v_add_f32_e32 v29, v55, v29
	v_sub_f32_e32 v55, v55, v54
	v_sub_f32_e32 v13, v13, v54
	s_delay_alu instid0(VALU_DEP_3) | instskip(NEXT) | instid1(VALU_DEP_3)
	v_add_f32_e32 v65, v64, v29
	v_sub_f32_e32 v28, v28, v55
	s_delay_alu instid0(VALU_DEP_2) | instskip(NEXT) | instid1(VALU_DEP_2)
	v_sub_f32_e32 v54, v65, v64
	v_add_f32_e32 v13, v13, v28
	s_delay_alu instid0(VALU_DEP_2) | instskip(NEXT) | instid1(VALU_DEP_1)
	v_sub_f32_e32 v28, v29, v54
	v_add_f32_e32 v13, v13, v28
	s_delay_alu instid0(VALU_DEP_1) | instskip(NEXT) | instid1(VALU_DEP_1)
	v_add_f32_e32 v13, v65, v13
	v_cndmask_b32_e64 v7, v13, v7, s2
	s_delay_alu instid0(VALU_DEP_1) | instskip(NEXT) | instid1(VALU_DEP_1)
	v_add_f32_e32 v6, v6, v7
	v_cvt_f16_f32_e32 v29, v6
	s_delay_alu instid0(VALU_DEP_1)
	v_cvt_f32_f16_e32 v54, v29
	v_mov_b32_e32 v28, v29
.LBB362_242:
	s_or_b32 exec_lo, exec_lo, s3
	v_cvt_f32_f16_e32 v6, v53
	s_delay_alu instid0(VALU_DEP_3) | instskip(SKIP_1) | instid1(VALU_DEP_2)
	v_max_f32_e32 v7, v54, v54
	v_cmp_u_f16_e64 s2, v29, v29
	v_min_f32_e32 v13, v7, v6
	v_max_f32_e32 v7, v7, v6
	s_delay_alu instid0(VALU_DEP_2) | instskip(NEXT) | instid1(VALU_DEP_2)
	v_cndmask_b32_e64 v13, v13, v54, s2
	v_cndmask_b32_e64 v7, v7, v54, s2
	v_cmp_u_f16_e64 s2, v53, v53
	s_delay_alu instid0(VALU_DEP_1) | instskip(NEXT) | instid1(VALU_DEP_3)
	v_cndmask_b32_e64 v13, v13, v6, s2
	v_cndmask_b32_e64 v7, v7, v6, s2
	s_delay_alu instid0(VALU_DEP_2) | instskip(NEXT) | instid1(VALU_DEP_2)
	v_cmp_class_f32_e64 s4, v13, 0x1f8
	v_cmp_neq_f32_e64 s3, v13, v7
	s_delay_alu instid0(VALU_DEP_1) | instskip(NEXT) | instid1(SALU_CYCLE_1)
	s_or_b32 s3, s3, s4
	s_and_saveexec_b32 s4, s3
	s_cbranch_execz .LBB362_244
; %bb.243:
	v_sub_f32_e32 v13, v13, v7
	s_delay_alu instid0(VALU_DEP_1) | instskip(NEXT) | instid1(VALU_DEP_1)
	v_mul_f32_e32 v28, 0x3fb8aa3b, v13
	v_fma_f32 v29, 0x3fb8aa3b, v13, -v28
	v_rndne_f32_e32 v53, v28
	s_delay_alu instid0(VALU_DEP_1) | instskip(SKIP_1) | instid1(VALU_DEP_2)
	v_dual_sub_f32 v28, v28, v53 :: v_dual_fmamk_f32 v29, v13, 0x32a5705f, v29
	v_cmp_ngt_f32_e64 s3, 0xc2ce8ed0, v13
	v_add_f32_e32 v28, v28, v29
	v_cvt_i32_f32_e32 v29, v53
	s_delay_alu instid0(VALU_DEP_2) | instskip(SKIP_2) | instid1(VALU_DEP_1)
	v_exp_f32_e32 v28, v28
	s_waitcnt_depctr 0xfff
	v_ldexp_f32 v28, v28, v29
	v_cndmask_b32_e64 v28, 0, v28, s3
	v_cmp_nlt_f32_e64 s3, 0x42b17218, v13
	s_delay_alu instid0(VALU_DEP_1) | instskip(NEXT) | instid1(VALU_DEP_1)
	v_cndmask_b32_e64 v13, 0x7f800000, v28, s3
	v_add_f32_e32 v53, 1.0, v13
	v_cmp_gt_f32_e64 s5, 0x33800000, |v13|
	s_delay_alu instid0(VALU_DEP_2) | instskip(NEXT) | instid1(VALU_DEP_1)
	v_cvt_f64_f32_e32 v[28:29], v53
	v_frexp_exp_i32_f64_e32 v28, v[28:29]
	v_frexp_mant_f32_e32 v29, v53
	s_delay_alu instid0(VALU_DEP_1) | instskip(SKIP_1) | instid1(VALU_DEP_1)
	v_cmp_gt_f32_e64 s3, 0x3f2aaaab, v29
	v_add_f32_e32 v29, -1.0, v53
	v_sub_f32_e32 v55, v29, v53
	v_sub_f32_e32 v29, v13, v29
	s_delay_alu instid0(VALU_DEP_2) | instskip(NEXT) | instid1(VALU_DEP_1)
	v_add_f32_e32 v55, 1.0, v55
	v_add_f32_e32 v29, v29, v55
	v_subrev_co_ci_u32_e64 v28, s3, 0, v28, s3
	s_mov_b32 s3, 0x3e9b6dac
	s_delay_alu instid0(VALU_DEP_1) | instskip(SKIP_1) | instid1(VALU_DEP_2)
	v_sub_nc_u32_e32 v54, 0, v28
	v_cvt_f32_i32_e32 v28, v28
	v_ldexp_f32 v53, v53, v54
	v_ldexp_f32 v29, v29, v54
	s_delay_alu instid0(VALU_DEP_2) | instskip(NEXT) | instid1(VALU_DEP_1)
	v_add_f32_e32 v64, 1.0, v53
	v_dual_add_f32 v54, -1.0, v53 :: v_dual_add_f32 v55, -1.0, v64
	s_delay_alu instid0(VALU_DEP_1) | instskip(NEXT) | instid1(VALU_DEP_2)
	v_add_f32_e32 v65, 1.0, v54
	v_sub_f32_e32 v55, v53, v55
	s_delay_alu instid0(VALU_DEP_2) | instskip(NEXT) | instid1(VALU_DEP_2)
	v_sub_f32_e32 v53, v53, v65
	v_add_f32_e32 v55, v29, v55
	s_delay_alu instid0(VALU_DEP_2) | instskip(NEXT) | instid1(VALU_DEP_1)
	v_add_f32_e32 v29, v29, v53
	v_dual_add_f32 v65, v64, v55 :: v_dual_add_f32 v66, v54, v29
	s_delay_alu instid0(VALU_DEP_1) | instskip(SKIP_1) | instid1(VALU_DEP_1)
	v_rcp_f32_e32 v53, v65
	v_sub_f32_e32 v64, v64, v65
	v_dual_sub_f32 v54, v54, v66 :: v_dual_add_f32 v55, v55, v64
	s_delay_alu instid0(VALU_DEP_1) | instskip(SKIP_2) | instid1(VALU_DEP_1)
	v_add_f32_e32 v29, v29, v54
	s_waitcnt_depctr 0xfff
	v_mul_f32_e32 v67, v66, v53
	v_mul_f32_e32 v68, v65, v67
	s_delay_alu instid0(VALU_DEP_1) | instskip(NEXT) | instid1(VALU_DEP_1)
	v_fma_f32 v64, v67, v65, -v68
	v_fmac_f32_e32 v64, v67, v55
	s_delay_alu instid0(VALU_DEP_1) | instskip(NEXT) | instid1(VALU_DEP_1)
	v_add_f32_e32 v69, v68, v64
	v_sub_f32_e32 v70, v66, v69
	v_sub_f32_e32 v54, v69, v68
	s_delay_alu instid0(VALU_DEP_2) | instskip(NEXT) | instid1(VALU_DEP_2)
	v_sub_f32_e32 v66, v66, v70
	v_sub_f32_e32 v54, v54, v64
	s_delay_alu instid0(VALU_DEP_2) | instskip(NEXT) | instid1(VALU_DEP_1)
	v_sub_f32_e32 v66, v66, v69
	v_add_f32_e32 v29, v29, v66
	s_delay_alu instid0(VALU_DEP_1) | instskip(NEXT) | instid1(VALU_DEP_1)
	v_add_f32_e32 v29, v54, v29
	v_add_f32_e32 v54, v70, v29
	s_delay_alu instid0(VALU_DEP_1) | instskip(NEXT) | instid1(VALU_DEP_1)
	v_mul_f32_e32 v64, v53, v54
	v_dual_sub_f32 v69, v70, v54 :: v_dual_mul_f32 v66, v65, v64
	s_delay_alu instid0(VALU_DEP_1) | instskip(NEXT) | instid1(VALU_DEP_2)
	v_add_f32_e32 v29, v29, v69
	v_fma_f32 v65, v64, v65, -v66
	s_delay_alu instid0(VALU_DEP_1) | instskip(NEXT) | instid1(VALU_DEP_1)
	v_fmac_f32_e32 v65, v64, v55
	v_add_f32_e32 v55, v66, v65
	s_delay_alu instid0(VALU_DEP_1) | instskip(NEXT) | instid1(VALU_DEP_1)
	v_sub_f32_e32 v68, v54, v55
	v_sub_f32_e32 v54, v54, v68
	s_delay_alu instid0(VALU_DEP_1) | instskip(NEXT) | instid1(VALU_DEP_1)
	v_sub_f32_e32 v54, v54, v55
	v_dual_add_f32 v29, v29, v54 :: v_dual_add_f32 v54, v67, v64
	v_sub_f32_e32 v66, v55, v66
	s_delay_alu instid0(VALU_DEP_1) | instskip(NEXT) | instid1(VALU_DEP_1)
	v_sub_f32_e32 v55, v66, v65
	v_add_f32_e32 v29, v55, v29
	s_delay_alu instid0(VALU_DEP_4) | instskip(NEXT) | instid1(VALU_DEP_2)
	v_sub_f32_e32 v55, v54, v67
	v_add_f32_e32 v29, v68, v29
	s_delay_alu instid0(VALU_DEP_2) | instskip(NEXT) | instid1(VALU_DEP_2)
	v_sub_f32_e32 v55, v64, v55
	v_mul_f32_e32 v29, v53, v29
	s_delay_alu instid0(VALU_DEP_1) | instskip(NEXT) | instid1(VALU_DEP_1)
	v_add_f32_e32 v29, v55, v29
	v_add_f32_e32 v53, v54, v29
	s_delay_alu instid0(VALU_DEP_1) | instskip(NEXT) | instid1(VALU_DEP_1)
	v_mul_f32_e32 v55, v53, v53
	v_fmaak_f32 v64, s3, v55, 0x3ecc95a3
	v_mul_f32_e32 v65, v53, v55
	v_cmp_eq_f32_e64 s3, 0x7f800000, v13
	s_delay_alu instid0(VALU_DEP_3) | instskip(SKIP_2) | instid1(VALU_DEP_4)
	v_fmaak_f32 v55, v55, v64, 0x3f2aaada
	v_ldexp_f32 v64, v53, 1
	v_sub_f32_e32 v53, v53, v54
	s_or_b32 s3, s3, s5
	s_delay_alu instid0(VALU_DEP_3) | instskip(SKIP_1) | instid1(VALU_DEP_2)
	v_mul_f32_e32 v55, v65, v55
	v_mul_f32_e32 v65, 0x3f317218, v28
	v_dual_sub_f32 v29, v29, v53 :: v_dual_add_f32 v54, v64, v55
	s_delay_alu instid0(VALU_DEP_1) | instskip(NEXT) | instid1(VALU_DEP_2)
	v_ldexp_f32 v29, v29, 1
	v_sub_f32_e32 v53, v54, v64
	s_delay_alu instid0(VALU_DEP_4) | instskip(NEXT) | instid1(VALU_DEP_1)
	v_fma_f32 v64, 0x3f317218, v28, -v65
	v_dual_sub_f32 v53, v55, v53 :: v_dual_fmamk_f32 v28, v28, 0xb102e308, v64
	s_delay_alu instid0(VALU_DEP_1) | instskip(NEXT) | instid1(VALU_DEP_2)
	v_add_f32_e32 v29, v29, v53
	v_add_f32_e32 v53, v65, v28
	s_delay_alu instid0(VALU_DEP_2) | instskip(NEXT) | instid1(VALU_DEP_2)
	v_add_f32_e32 v55, v54, v29
	v_sub_f32_e32 v65, v53, v65
	s_delay_alu instid0(VALU_DEP_2) | instskip(SKIP_1) | instid1(VALU_DEP_3)
	v_add_f32_e32 v64, v53, v55
	v_sub_f32_e32 v54, v55, v54
	v_sub_f32_e32 v28, v28, v65
	s_delay_alu instid0(VALU_DEP_2) | instskip(NEXT) | instid1(VALU_DEP_1)
	v_dual_sub_f32 v66, v64, v53 :: v_dual_sub_f32 v29, v29, v54
	v_sub_f32_e32 v67, v64, v66
	s_delay_alu instid0(VALU_DEP_2) | instskip(NEXT) | instid1(VALU_DEP_2)
	v_dual_sub_f32 v54, v55, v66 :: v_dual_add_f32 v55, v28, v29
	v_sub_f32_e32 v53, v53, v67
	s_delay_alu instid0(VALU_DEP_1) | instskip(NEXT) | instid1(VALU_DEP_1)
	v_dual_add_f32 v53, v54, v53 :: v_dual_sub_f32 v54, v55, v28
	v_add_f32_e32 v53, v55, v53
	s_delay_alu instid0(VALU_DEP_2) | instskip(SKIP_1) | instid1(VALU_DEP_3)
	v_sub_f32_e32 v55, v55, v54
	v_sub_f32_e32 v29, v29, v54
	v_add_f32_e32 v65, v64, v53
	s_delay_alu instid0(VALU_DEP_3) | instskip(NEXT) | instid1(VALU_DEP_2)
	v_sub_f32_e32 v28, v28, v55
	v_sub_f32_e32 v54, v65, v64
	s_delay_alu instid0(VALU_DEP_2) | instskip(NEXT) | instid1(VALU_DEP_2)
	v_add_f32_e32 v28, v29, v28
	v_sub_f32_e32 v29, v53, v54
	s_delay_alu instid0(VALU_DEP_1) | instskip(NEXT) | instid1(VALU_DEP_1)
	v_add_f32_e32 v28, v28, v29
	v_add_f32_e32 v28, v65, v28
	s_delay_alu instid0(VALU_DEP_1) | instskip(NEXT) | instid1(VALU_DEP_1)
	v_cndmask_b32_e64 v13, v28, v13, s3
	v_add_f32_e32 v7, v7, v13
	s_delay_alu instid0(VALU_DEP_1) | instskip(NEXT) | instid1(VALU_DEP_1)
	v_cvt_f16_f32_e32 v29, v7
	v_cvt_f32_f16_e32 v54, v29
	v_mov_b32_e32 v28, v29
.LBB362_244:
	s_or_b32 exec_lo, exec_lo, s4
	v_cvt_f32_f16_e32 v7, v24
	s_delay_alu instid0(VALU_DEP_3) | instskip(SKIP_1) | instid1(VALU_DEP_2)
	v_max_f32_e32 v13, v54, v54
	v_cmp_u_f16_e64 s3, v29, v29
	v_min_f32_e32 v53, v13, v7
	v_max_f32_e32 v13, v13, v7
	s_delay_alu instid0(VALU_DEP_2) | instskip(NEXT) | instid1(VALU_DEP_2)
	v_cndmask_b32_e64 v53, v53, v54, s3
	v_cndmask_b32_e64 v13, v13, v54, s3
	v_cmp_u_f16_e64 s3, v24, v24
	s_delay_alu instid0(VALU_DEP_1) | instskip(NEXT) | instid1(VALU_DEP_3)
	v_cndmask_b32_e64 v24, v53, v7, s3
	v_cndmask_b32_e64 v13, v13, v7, s3
	s_delay_alu instid0(VALU_DEP_2) | instskip(NEXT) | instid1(VALU_DEP_2)
	v_cmp_class_f32_e64 s5, v24, 0x1f8
	v_cmp_neq_f32_e64 s4, v24, v13
	s_delay_alu instid0(VALU_DEP_1) | instskip(NEXT) | instid1(SALU_CYCLE_1)
	s_or_b32 s4, s4, s5
	s_and_saveexec_b32 s5, s4
	s_cbranch_execz .LBB362_246
; %bb.245:
	v_sub_f32_e32 v24, v24, v13
	s_delay_alu instid0(VALU_DEP_1) | instskip(SKIP_1) | instid1(VALU_DEP_2)
	v_mul_f32_e32 v28, 0x3fb8aa3b, v24
	v_cmp_ngt_f32_e64 s4, 0xc2ce8ed0, v24
	v_fma_f32 v29, 0x3fb8aa3b, v24, -v28
	v_rndne_f32_e32 v53, v28
	s_delay_alu instid0(VALU_DEP_2) | instskip(NEXT) | instid1(VALU_DEP_2)
	v_fmamk_f32 v29, v24, 0x32a5705f, v29
	v_sub_f32_e32 v28, v28, v53
	s_delay_alu instid0(VALU_DEP_1) | instskip(SKIP_1) | instid1(VALU_DEP_2)
	v_add_f32_e32 v28, v28, v29
	v_cvt_i32_f32_e32 v29, v53
	v_exp_f32_e32 v28, v28
	s_waitcnt_depctr 0xfff
	v_ldexp_f32 v28, v28, v29
	s_delay_alu instid0(VALU_DEP_1) | instskip(SKIP_1) | instid1(VALU_DEP_1)
	v_cndmask_b32_e64 v28, 0, v28, s4
	v_cmp_nlt_f32_e64 s4, 0x42b17218, v24
	v_cndmask_b32_e64 v24, 0x7f800000, v28, s4
	s_delay_alu instid0(VALU_DEP_1) | instskip(SKIP_1) | instid1(VALU_DEP_2)
	v_add_f32_e32 v53, 1.0, v24
	v_cmp_gt_f32_e64 s6, 0x33800000, |v24|
	v_cvt_f64_f32_e32 v[28:29], v53
	s_delay_alu instid0(VALU_DEP_1) | instskip(SKIP_1) | instid1(VALU_DEP_1)
	v_frexp_exp_i32_f64_e32 v28, v[28:29]
	v_frexp_mant_f32_e32 v29, v53
	v_cmp_gt_f32_e64 s4, 0x3f2aaaab, v29
	v_add_f32_e32 v29, -1.0, v53
	s_delay_alu instid0(VALU_DEP_1) | instskip(SKIP_1) | instid1(VALU_DEP_2)
	v_sub_f32_e32 v55, v29, v53
	v_sub_f32_e32 v29, v24, v29
	v_add_f32_e32 v55, 1.0, v55
	s_delay_alu instid0(VALU_DEP_1) | instskip(SKIP_2) | instid1(VALU_DEP_1)
	v_add_f32_e32 v29, v29, v55
	v_subrev_co_ci_u32_e64 v28, s4, 0, v28, s4
	s_mov_b32 s4, 0x3e9b6dac
	v_sub_nc_u32_e32 v54, 0, v28
	v_cvt_f32_i32_e32 v28, v28
	s_delay_alu instid0(VALU_DEP_2) | instskip(SKIP_1) | instid1(VALU_DEP_2)
	v_ldexp_f32 v53, v53, v54
	v_ldexp_f32 v29, v29, v54
	v_add_f32_e32 v64, 1.0, v53
	s_delay_alu instid0(VALU_DEP_1) | instskip(NEXT) | instid1(VALU_DEP_1)
	v_dual_add_f32 v54, -1.0, v53 :: v_dual_add_f32 v55, -1.0, v64
	v_add_f32_e32 v65, 1.0, v54
	s_delay_alu instid0(VALU_DEP_2) | instskip(NEXT) | instid1(VALU_DEP_2)
	v_sub_f32_e32 v55, v53, v55
	v_sub_f32_e32 v53, v53, v65
	s_delay_alu instid0(VALU_DEP_2) | instskip(NEXT) | instid1(VALU_DEP_2)
	v_add_f32_e32 v55, v29, v55
	v_add_f32_e32 v29, v29, v53
	s_delay_alu instid0(VALU_DEP_1) | instskip(NEXT) | instid1(VALU_DEP_1)
	v_dual_add_f32 v66, v54, v29 :: v_dual_add_f32 v65, v64, v55
	v_sub_f32_e32 v54, v54, v66
	s_delay_alu instid0(VALU_DEP_2) | instskip(NEXT) | instid1(VALU_DEP_1)
	v_rcp_f32_e32 v53, v65
	v_dual_sub_f32 v64, v64, v65 :: v_dual_add_f32 v29, v29, v54
	s_delay_alu instid0(VALU_DEP_1) | instskip(SKIP_2) | instid1(VALU_DEP_1)
	v_add_f32_e32 v55, v55, v64
	s_waitcnt_depctr 0xfff
	v_mul_f32_e32 v67, v66, v53
	v_mul_f32_e32 v68, v65, v67
	s_delay_alu instid0(VALU_DEP_1) | instskip(NEXT) | instid1(VALU_DEP_1)
	v_fma_f32 v64, v67, v65, -v68
	v_fmac_f32_e32 v64, v67, v55
	s_delay_alu instid0(VALU_DEP_1) | instskip(NEXT) | instid1(VALU_DEP_1)
	v_add_f32_e32 v69, v68, v64
	v_sub_f32_e32 v70, v66, v69
	v_sub_f32_e32 v54, v69, v68
	s_delay_alu instid0(VALU_DEP_2) | instskip(NEXT) | instid1(VALU_DEP_2)
	v_sub_f32_e32 v66, v66, v70
	v_sub_f32_e32 v54, v54, v64
	s_delay_alu instid0(VALU_DEP_2) | instskip(NEXT) | instid1(VALU_DEP_1)
	v_sub_f32_e32 v66, v66, v69
	v_add_f32_e32 v29, v29, v66
	s_delay_alu instid0(VALU_DEP_1) | instskip(NEXT) | instid1(VALU_DEP_1)
	v_add_f32_e32 v29, v54, v29
	v_add_f32_e32 v54, v70, v29
	s_delay_alu instid0(VALU_DEP_1) | instskip(NEXT) | instid1(VALU_DEP_1)
	v_mul_f32_e32 v64, v53, v54
	v_dual_sub_f32 v69, v70, v54 :: v_dual_mul_f32 v66, v65, v64
	s_delay_alu instid0(VALU_DEP_1) | instskip(NEXT) | instid1(VALU_DEP_1)
	v_fma_f32 v65, v64, v65, -v66
	v_fmac_f32_e32 v65, v64, v55
	s_delay_alu instid0(VALU_DEP_1) | instskip(NEXT) | instid1(VALU_DEP_1)
	v_add_f32_e32 v55, v66, v65
	v_dual_add_f32 v29, v29, v69 :: v_dual_sub_f32 v68, v54, v55
	s_delay_alu instid0(VALU_DEP_1) | instskip(NEXT) | instid1(VALU_DEP_1)
	v_sub_f32_e32 v54, v54, v68
	v_sub_f32_e32 v54, v54, v55
	s_delay_alu instid0(VALU_DEP_1) | instskip(SKIP_1) | instid1(VALU_DEP_1)
	v_dual_add_f32 v29, v29, v54 :: v_dual_add_f32 v54, v67, v64
	v_sub_f32_e32 v66, v55, v66
	v_sub_f32_e32 v55, v66, v65
	s_delay_alu instid0(VALU_DEP_1) | instskip(NEXT) | instid1(VALU_DEP_4)
	v_add_f32_e32 v29, v55, v29
	v_sub_f32_e32 v55, v54, v67
	s_delay_alu instid0(VALU_DEP_2) | instskip(NEXT) | instid1(VALU_DEP_2)
	v_add_f32_e32 v29, v68, v29
	v_sub_f32_e32 v55, v64, v55
	s_delay_alu instid0(VALU_DEP_2) | instskip(NEXT) | instid1(VALU_DEP_1)
	v_mul_f32_e32 v29, v53, v29
	v_add_f32_e32 v29, v55, v29
	s_delay_alu instid0(VALU_DEP_1) | instskip(NEXT) | instid1(VALU_DEP_1)
	v_add_f32_e32 v53, v54, v29
	v_mul_f32_e32 v55, v53, v53
	s_delay_alu instid0(VALU_DEP_1) | instskip(SKIP_2) | instid1(VALU_DEP_3)
	v_fmaak_f32 v64, s4, v55, 0x3ecc95a3
	v_mul_f32_e32 v65, v53, v55
	v_cmp_eq_f32_e64 s4, 0x7f800000, v24
	v_fmaak_f32 v55, v55, v64, 0x3f2aaada
	v_ldexp_f32 v64, v53, 1
	v_sub_f32_e32 v53, v53, v54
	s_delay_alu instid0(VALU_DEP_4) | instskip(NEXT) | instid1(VALU_DEP_3)
	s_or_b32 s4, s4, s6
	v_mul_f32_e32 v55, v65, v55
	v_mul_f32_e32 v65, 0x3f317218, v28
	s_delay_alu instid0(VALU_DEP_2) | instskip(NEXT) | instid1(VALU_DEP_1)
	v_dual_sub_f32 v29, v29, v53 :: v_dual_add_f32 v54, v64, v55
	v_ldexp_f32 v29, v29, 1
	s_delay_alu instid0(VALU_DEP_2) | instskip(NEXT) | instid1(VALU_DEP_4)
	v_sub_f32_e32 v53, v54, v64
	v_fma_f32 v64, 0x3f317218, v28, -v65
	s_delay_alu instid0(VALU_DEP_1) | instskip(NEXT) | instid1(VALU_DEP_1)
	v_dual_sub_f32 v53, v55, v53 :: v_dual_fmamk_f32 v28, v28, 0xb102e308, v64
	v_add_f32_e32 v29, v29, v53
	s_delay_alu instid0(VALU_DEP_2) | instskip(NEXT) | instid1(VALU_DEP_2)
	v_add_f32_e32 v53, v65, v28
	v_add_f32_e32 v55, v54, v29
	s_delay_alu instid0(VALU_DEP_2) | instskip(NEXT) | instid1(VALU_DEP_2)
	v_sub_f32_e32 v65, v53, v65
	v_add_f32_e32 v64, v53, v55
	v_sub_f32_e32 v54, v55, v54
	s_delay_alu instid0(VALU_DEP_3) | instskip(NEXT) | instid1(VALU_DEP_2)
	v_sub_f32_e32 v28, v28, v65
	v_dual_sub_f32 v66, v64, v53 :: v_dual_sub_f32 v29, v29, v54
	s_delay_alu instid0(VALU_DEP_1) | instskip(NEXT) | instid1(VALU_DEP_2)
	v_sub_f32_e32 v67, v64, v66
	v_dual_sub_f32 v54, v55, v66 :: v_dual_add_f32 v55, v28, v29
	s_delay_alu instid0(VALU_DEP_2) | instskip(NEXT) | instid1(VALU_DEP_1)
	v_sub_f32_e32 v53, v53, v67
	v_dual_add_f32 v53, v54, v53 :: v_dual_sub_f32 v54, v55, v28
	s_delay_alu instid0(VALU_DEP_1) | instskip(NEXT) | instid1(VALU_DEP_2)
	v_add_f32_e32 v53, v55, v53
	v_sub_f32_e32 v55, v55, v54
	v_sub_f32_e32 v29, v29, v54
	s_delay_alu instid0(VALU_DEP_3) | instskip(NEXT) | instid1(VALU_DEP_3)
	v_add_f32_e32 v65, v64, v53
	v_sub_f32_e32 v28, v28, v55
	s_delay_alu instid0(VALU_DEP_2) | instskip(NEXT) | instid1(VALU_DEP_2)
	v_sub_f32_e32 v54, v65, v64
	v_add_f32_e32 v28, v29, v28
	s_delay_alu instid0(VALU_DEP_2) | instskip(NEXT) | instid1(VALU_DEP_1)
	v_sub_f32_e32 v29, v53, v54
	v_add_f32_e32 v28, v28, v29
	s_delay_alu instid0(VALU_DEP_1) | instskip(NEXT) | instid1(VALU_DEP_1)
	v_add_f32_e32 v28, v65, v28
	v_cndmask_b32_e64 v24, v28, v24, s4
	s_delay_alu instid0(VALU_DEP_1) | instskip(NEXT) | instid1(VALU_DEP_1)
	v_add_f32_e32 v13, v13, v24
	v_cvt_f16_f32_e32 v29, v13
	s_delay_alu instid0(VALU_DEP_1)
	v_cvt_f32_f16_e32 v54, v29
	v_mov_b32_e32 v28, v29
.LBB362_246:
	s_or_b32 exec_lo, exec_lo, s5
	v_cvt_f32_f16_e32 v13, v52
	s_delay_alu instid0(VALU_DEP_3) | instskip(SKIP_1) | instid1(VALU_DEP_2)
	v_max_f32_e32 v24, v54, v54
	v_cmp_u_f16_e64 s4, v29, v29
	v_min_f32_e32 v53, v24, v13
	v_max_f32_e32 v24, v24, v13
	s_delay_alu instid0(VALU_DEP_2) | instskip(NEXT) | instid1(VALU_DEP_2)
	v_cndmask_b32_e64 v53, v53, v54, s4
	v_cndmask_b32_e64 v24, v24, v54, s4
	v_cmp_u_f16_e64 s4, v52, v52
	s_delay_alu instid0(VALU_DEP_1) | instskip(NEXT) | instid1(VALU_DEP_3)
	v_cndmask_b32_e64 v52, v53, v13, s4
	v_cndmask_b32_e64 v24, v24, v13, s4
	s_delay_alu instid0(VALU_DEP_2) | instskip(NEXT) | instid1(VALU_DEP_2)
	v_cmp_class_f32_e64 s6, v52, 0x1f8
	v_cmp_neq_f32_e64 s5, v52, v24
	s_delay_alu instid0(VALU_DEP_1) | instskip(NEXT) | instid1(SALU_CYCLE_1)
	s_or_b32 s5, s5, s6
	s_and_saveexec_b32 s6, s5
	s_cbranch_execz .LBB362_248
; %bb.247:
	v_sub_f32_e32 v28, v52, v24
	s_delay_alu instid0(VALU_DEP_1) | instskip(NEXT) | instid1(VALU_DEP_1)
	v_mul_f32_e32 v29, 0x3fb8aa3b, v28
	v_fma_f32 v52, 0x3fb8aa3b, v28, -v29
	v_rndne_f32_e32 v53, v29
	s_delay_alu instid0(VALU_DEP_1) | instskip(SKIP_1) | instid1(VALU_DEP_2)
	v_dual_sub_f32 v29, v29, v53 :: v_dual_fmamk_f32 v52, v28, 0x32a5705f, v52
	v_cmp_ngt_f32_e64 s5, 0xc2ce8ed0, v28
	v_add_f32_e32 v29, v29, v52
	v_cvt_i32_f32_e32 v52, v53
	s_delay_alu instid0(VALU_DEP_2) | instskip(SKIP_2) | instid1(VALU_DEP_1)
	v_exp_f32_e32 v29, v29
	s_waitcnt_depctr 0xfff
	v_ldexp_f32 v29, v29, v52
	v_cndmask_b32_e64 v29, 0, v29, s5
	v_cmp_nlt_f32_e64 s5, 0x42b17218, v28
	s_delay_alu instid0(VALU_DEP_1) | instskip(NEXT) | instid1(VALU_DEP_1)
	v_cndmask_b32_e64 v52, 0x7f800000, v29, s5
	v_add_f32_e32 v53, 1.0, v52
	v_cmp_gt_f32_e64 s7, 0x33800000, |v52|
	s_delay_alu instid0(VALU_DEP_2) | instskip(NEXT) | instid1(VALU_DEP_1)
	v_cvt_f64_f32_e32 v[28:29], v53
	v_frexp_exp_i32_f64_e32 v28, v[28:29]
	v_frexp_mant_f32_e32 v29, v53
	s_delay_alu instid0(VALU_DEP_1) | instskip(SKIP_1) | instid1(VALU_DEP_1)
	v_cmp_gt_f32_e64 s5, 0x3f2aaaab, v29
	v_add_f32_e32 v29, -1.0, v53
	v_sub_f32_e32 v55, v29, v53
	v_sub_f32_e32 v29, v52, v29
	s_delay_alu instid0(VALU_DEP_4) | instskip(SKIP_1) | instid1(VALU_DEP_1)
	v_subrev_co_ci_u32_e64 v28, s5, 0, v28, s5
	s_mov_b32 s5, 0x3e9b6dac
	v_sub_nc_u32_e32 v54, 0, v28
	v_cvt_f32_i32_e32 v28, v28
	s_delay_alu instid0(VALU_DEP_2) | instskip(NEXT) | instid1(VALU_DEP_1)
	v_ldexp_f32 v53, v53, v54
	v_dual_add_f32 v64, 1.0, v53 :: v_dual_add_f32 v55, 1.0, v55
	s_delay_alu instid0(VALU_DEP_1) | instskip(NEXT) | instid1(VALU_DEP_2)
	v_add_f32_e32 v29, v29, v55
	v_add_f32_e32 v55, -1.0, v64
	s_delay_alu instid0(VALU_DEP_2) | instskip(NEXT) | instid1(VALU_DEP_2)
	v_ldexp_f32 v29, v29, v54
	v_dual_add_f32 v54, -1.0, v53 :: v_dual_sub_f32 v55, v53, v55
	s_delay_alu instid0(VALU_DEP_1) | instskip(NEXT) | instid1(VALU_DEP_2)
	v_add_f32_e32 v65, 1.0, v54
	v_add_f32_e32 v55, v29, v55
	s_delay_alu instid0(VALU_DEP_2) | instskip(NEXT) | instid1(VALU_DEP_2)
	v_sub_f32_e32 v53, v53, v65
	v_add_f32_e32 v65, v64, v55
	s_delay_alu instid0(VALU_DEP_2) | instskip(NEXT) | instid1(VALU_DEP_2)
	v_add_f32_e32 v29, v29, v53
	v_rcp_f32_e32 v53, v65
	v_sub_f32_e32 v64, v64, v65
	s_delay_alu instid0(VALU_DEP_1) | instskip(NEXT) | instid1(VALU_DEP_1)
	v_dual_add_f32 v66, v54, v29 :: v_dual_add_f32 v55, v55, v64
	v_sub_f32_e32 v54, v54, v66
	s_waitcnt_depctr 0xfff
	v_mul_f32_e32 v67, v66, v53
	v_add_f32_e32 v29, v29, v54
	s_delay_alu instid0(VALU_DEP_2) | instskip(NEXT) | instid1(VALU_DEP_1)
	v_mul_f32_e32 v68, v65, v67
	v_fma_f32 v64, v67, v65, -v68
	s_delay_alu instid0(VALU_DEP_1) | instskip(NEXT) | instid1(VALU_DEP_1)
	v_fmac_f32_e32 v64, v67, v55
	v_add_f32_e32 v69, v68, v64
	s_delay_alu instid0(VALU_DEP_1) | instskip(SKIP_1) | instid1(VALU_DEP_2)
	v_sub_f32_e32 v70, v66, v69
	v_sub_f32_e32 v54, v69, v68
	;; [unrolled: 1-line block ×3, first 2 shown]
	s_delay_alu instid0(VALU_DEP_2) | instskip(NEXT) | instid1(VALU_DEP_2)
	v_sub_f32_e32 v54, v54, v64
	v_sub_f32_e32 v66, v66, v69
	s_delay_alu instid0(VALU_DEP_1) | instskip(NEXT) | instid1(VALU_DEP_1)
	v_add_f32_e32 v29, v29, v66
	v_add_f32_e32 v29, v54, v29
	s_delay_alu instid0(VALU_DEP_1) | instskip(NEXT) | instid1(VALU_DEP_1)
	v_add_f32_e32 v54, v70, v29
	v_mul_f32_e32 v64, v53, v54
	s_delay_alu instid0(VALU_DEP_1) | instskip(NEXT) | instid1(VALU_DEP_1)
	v_dual_sub_f32 v69, v70, v54 :: v_dual_mul_f32 v66, v65, v64
	v_add_f32_e32 v29, v29, v69
	s_delay_alu instid0(VALU_DEP_2) | instskip(NEXT) | instid1(VALU_DEP_1)
	v_fma_f32 v65, v64, v65, -v66
	v_fmac_f32_e32 v65, v64, v55
	s_delay_alu instid0(VALU_DEP_1) | instskip(NEXT) | instid1(VALU_DEP_1)
	v_add_f32_e32 v55, v66, v65
	v_sub_f32_e32 v68, v54, v55
	v_sub_f32_e32 v66, v55, v66
	s_delay_alu instid0(VALU_DEP_2) | instskip(NEXT) | instid1(VALU_DEP_1)
	v_sub_f32_e32 v54, v54, v68
	v_sub_f32_e32 v54, v54, v55
	s_delay_alu instid0(VALU_DEP_3) | instskip(NEXT) | instid1(VALU_DEP_2)
	v_sub_f32_e32 v55, v66, v65
	v_dual_add_f32 v29, v29, v54 :: v_dual_add_f32 v54, v67, v64
	s_delay_alu instid0(VALU_DEP_1) | instskip(NEXT) | instid1(VALU_DEP_2)
	v_add_f32_e32 v29, v55, v29
	v_sub_f32_e32 v55, v54, v67
	s_delay_alu instid0(VALU_DEP_2) | instskip(NEXT) | instid1(VALU_DEP_2)
	v_add_f32_e32 v29, v68, v29
	v_sub_f32_e32 v55, v64, v55
	s_delay_alu instid0(VALU_DEP_2) | instskip(NEXT) | instid1(VALU_DEP_1)
	v_mul_f32_e32 v29, v53, v29
	v_add_f32_e32 v29, v55, v29
	s_delay_alu instid0(VALU_DEP_1) | instskip(NEXT) | instid1(VALU_DEP_1)
	v_add_f32_e32 v53, v54, v29
	v_mul_f32_e32 v55, v53, v53
	s_delay_alu instid0(VALU_DEP_1) | instskip(SKIP_2) | instid1(VALU_DEP_3)
	v_fmaak_f32 v64, s5, v55, 0x3ecc95a3
	v_mul_f32_e32 v65, v53, v55
	v_cmp_eq_f32_e64 s5, 0x7f800000, v52
	v_fmaak_f32 v55, v55, v64, 0x3f2aaada
	v_ldexp_f32 v64, v53, 1
	v_sub_f32_e32 v53, v53, v54
	s_delay_alu instid0(VALU_DEP_4) | instskip(NEXT) | instid1(VALU_DEP_3)
	s_or_b32 s5, s5, s7
	v_mul_f32_e32 v55, v65, v55
	v_mul_f32_e32 v65, 0x3f317218, v28
	s_delay_alu instid0(VALU_DEP_2) | instskip(NEXT) | instid1(VALU_DEP_1)
	v_dual_sub_f32 v29, v29, v53 :: v_dual_add_f32 v54, v64, v55
	v_ldexp_f32 v29, v29, 1
	s_delay_alu instid0(VALU_DEP_2) | instskip(NEXT) | instid1(VALU_DEP_4)
	v_sub_f32_e32 v53, v54, v64
	v_fma_f32 v64, 0x3f317218, v28, -v65
	s_delay_alu instid0(VALU_DEP_1) | instskip(NEXT) | instid1(VALU_DEP_1)
	v_dual_sub_f32 v53, v55, v53 :: v_dual_fmamk_f32 v28, v28, 0xb102e308, v64
	v_add_f32_e32 v29, v29, v53
	s_delay_alu instid0(VALU_DEP_2) | instskip(NEXT) | instid1(VALU_DEP_2)
	v_add_f32_e32 v53, v65, v28
	v_add_f32_e32 v55, v54, v29
	s_delay_alu instid0(VALU_DEP_2) | instskip(NEXT) | instid1(VALU_DEP_2)
	v_sub_f32_e32 v65, v53, v65
	v_add_f32_e32 v64, v53, v55
	v_sub_f32_e32 v54, v55, v54
	s_delay_alu instid0(VALU_DEP_3) | instskip(NEXT) | instid1(VALU_DEP_2)
	v_sub_f32_e32 v28, v28, v65
	v_dual_sub_f32 v66, v64, v53 :: v_dual_sub_f32 v29, v29, v54
	s_delay_alu instid0(VALU_DEP_1) | instskip(NEXT) | instid1(VALU_DEP_2)
	v_sub_f32_e32 v67, v64, v66
	v_dual_sub_f32 v54, v55, v66 :: v_dual_add_f32 v55, v28, v29
	s_delay_alu instid0(VALU_DEP_2) | instskip(NEXT) | instid1(VALU_DEP_1)
	v_sub_f32_e32 v53, v53, v67
	v_dual_add_f32 v53, v54, v53 :: v_dual_sub_f32 v54, v55, v28
	s_delay_alu instid0(VALU_DEP_1) | instskip(NEXT) | instid1(VALU_DEP_2)
	v_add_f32_e32 v53, v55, v53
	v_sub_f32_e32 v55, v55, v54
	v_sub_f32_e32 v29, v29, v54
	s_delay_alu instid0(VALU_DEP_3) | instskip(NEXT) | instid1(VALU_DEP_3)
	v_add_f32_e32 v65, v64, v53
	v_sub_f32_e32 v28, v28, v55
	s_delay_alu instid0(VALU_DEP_2) | instskip(NEXT) | instid1(VALU_DEP_2)
	v_sub_f32_e32 v54, v65, v64
	v_add_f32_e32 v28, v29, v28
	s_delay_alu instid0(VALU_DEP_2) | instskip(NEXT) | instid1(VALU_DEP_1)
	v_sub_f32_e32 v29, v53, v54
	v_add_f32_e32 v28, v28, v29
	s_delay_alu instid0(VALU_DEP_1) | instskip(NEXT) | instid1(VALU_DEP_1)
	v_add_f32_e32 v28, v65, v28
	v_cndmask_b32_e64 v28, v28, v52, s5
	s_delay_alu instid0(VALU_DEP_1) | instskip(NEXT) | instid1(VALU_DEP_1)
	v_add_f32_e32 v24, v24, v28
	v_cvt_f16_f32_e32 v29, v24
	s_delay_alu instid0(VALU_DEP_1)
	v_mov_b32_e32 v28, v29
	v_cvt_f32_f16_e32 v54, v29
.LBB362_248:
	s_or_b32 exec_lo, exec_lo, s6
	v_cvt_f32_f16_e32 v24, v25
	s_delay_alu instid0(VALU_DEP_2) | instskip(SKIP_1) | instid1(VALU_DEP_2)
	v_max_f32_e32 v52, v54, v54
	v_cmp_u_f16_e64 s5, v29, v29
	v_min_f32_e32 v53, v52, v24
	v_max_f32_e32 v52, v52, v24
	s_delay_alu instid0(VALU_DEP_2) | instskip(NEXT) | instid1(VALU_DEP_2)
	v_cndmask_b32_e64 v53, v53, v54, s5
	v_cndmask_b32_e64 v55, v52, v54, s5
	v_cmp_u_f16_e64 s5, v25, v25
	s_delay_alu instid0(VALU_DEP_1) | instskip(NEXT) | instid1(VALU_DEP_3)
	v_cndmask_b32_e64 v52, v53, v24, s5
	v_cndmask_b32_e64 v25, v55, v24, s5
	s_delay_alu instid0(VALU_DEP_2) | instskip(NEXT) | instid1(VALU_DEP_2)
	v_cmp_class_f32_e64 s7, v52, 0x1f8
	v_cmp_neq_f32_e64 s6, v52, v25
	s_delay_alu instid0(VALU_DEP_1) | instskip(NEXT) | instid1(SALU_CYCLE_1)
	s_or_b32 s6, s6, s7
	s_and_saveexec_b32 s7, s6
	s_cbranch_execz .LBB362_250
; %bb.249:
	v_sub_f32_e32 v28, v52, v25
	s_delay_alu instid0(VALU_DEP_1) | instskip(NEXT) | instid1(VALU_DEP_1)
	v_mul_f32_e32 v29, 0x3fb8aa3b, v28
	v_fma_f32 v52, 0x3fb8aa3b, v28, -v29
	v_rndne_f32_e32 v53, v29
	s_delay_alu instid0(VALU_DEP_1) | instskip(NEXT) | instid1(VALU_DEP_1)
	v_dual_fmamk_f32 v52, v28, 0x32a5705f, v52 :: v_dual_sub_f32 v29, v29, v53
	v_add_f32_e32 v29, v29, v52
	v_cvt_i32_f32_e32 v52, v53
	v_cmp_ngt_f32_e64 s6, 0xc2ce8ed0, v28
	s_delay_alu instid0(VALU_DEP_3) | instskip(SKIP_2) | instid1(VALU_DEP_1)
	v_exp_f32_e32 v29, v29
	s_waitcnt_depctr 0xfff
	v_ldexp_f32 v29, v29, v52
	v_cndmask_b32_e64 v29, 0, v29, s6
	v_cmp_nlt_f32_e64 s6, 0x42b17218, v28
	s_delay_alu instid0(VALU_DEP_1) | instskip(NEXT) | instid1(VALU_DEP_1)
	v_cndmask_b32_e64 v52, 0x7f800000, v29, s6
	v_add_f32_e32 v53, 1.0, v52
	v_cmp_gt_f32_e64 s8, 0x33800000, |v52|
	s_delay_alu instid0(VALU_DEP_2) | instskip(NEXT) | instid1(VALU_DEP_1)
	v_cvt_f64_f32_e32 v[28:29], v53
	v_frexp_exp_i32_f64_e32 v28, v[28:29]
	v_frexp_mant_f32_e32 v29, v53
	s_delay_alu instid0(VALU_DEP_1) | instskip(SKIP_1) | instid1(VALU_DEP_1)
	v_cmp_gt_f32_e64 s6, 0x3f2aaaab, v29
	v_add_f32_e32 v29, -1.0, v53
	v_sub_f32_e32 v55, v29, v53
	v_sub_f32_e32 v29, v52, v29
	s_delay_alu instid0(VALU_DEP_4) | instskip(SKIP_1) | instid1(VALU_DEP_1)
	v_subrev_co_ci_u32_e64 v28, s6, 0, v28, s6
	s_mov_b32 s6, 0x3e9b6dac
	v_sub_nc_u32_e32 v54, 0, v28
	v_cvt_f32_i32_e32 v28, v28
	s_delay_alu instid0(VALU_DEP_2) | instskip(NEXT) | instid1(VALU_DEP_1)
	v_ldexp_f32 v53, v53, v54
	v_dual_add_f32 v55, 1.0, v55 :: v_dual_add_f32 v64, 1.0, v53
	s_delay_alu instid0(VALU_DEP_1) | instskip(NEXT) | instid1(VALU_DEP_2)
	v_add_f32_e32 v29, v29, v55
	v_add_f32_e32 v55, -1.0, v64
	s_delay_alu instid0(VALU_DEP_2) | instskip(NEXT) | instid1(VALU_DEP_2)
	v_ldexp_f32 v29, v29, v54
	v_dual_add_f32 v54, -1.0, v53 :: v_dual_sub_f32 v55, v53, v55
	s_delay_alu instid0(VALU_DEP_1) | instskip(NEXT) | instid1(VALU_DEP_2)
	v_add_f32_e32 v65, 1.0, v54
	v_add_f32_e32 v55, v29, v55
	s_delay_alu instid0(VALU_DEP_2) | instskip(NEXT) | instid1(VALU_DEP_2)
	v_sub_f32_e32 v53, v53, v65
	v_add_f32_e32 v65, v64, v55
	s_delay_alu instid0(VALU_DEP_2) | instskip(NEXT) | instid1(VALU_DEP_2)
	v_add_f32_e32 v29, v29, v53
	v_rcp_f32_e32 v53, v65
	v_sub_f32_e32 v64, v64, v65
	s_delay_alu instid0(VALU_DEP_1) | instskip(NEXT) | instid1(VALU_DEP_1)
	v_dual_add_f32 v66, v54, v29 :: v_dual_add_f32 v55, v55, v64
	v_sub_f32_e32 v54, v54, v66
	s_waitcnt_depctr 0xfff
	v_mul_f32_e32 v67, v66, v53
	v_add_f32_e32 v29, v29, v54
	s_delay_alu instid0(VALU_DEP_2) | instskip(NEXT) | instid1(VALU_DEP_1)
	v_mul_f32_e32 v68, v65, v67
	v_fma_f32 v64, v67, v65, -v68
	s_delay_alu instid0(VALU_DEP_1) | instskip(NEXT) | instid1(VALU_DEP_1)
	v_fmac_f32_e32 v64, v67, v55
	v_add_f32_e32 v69, v68, v64
	s_delay_alu instid0(VALU_DEP_1) | instskip(SKIP_1) | instid1(VALU_DEP_2)
	v_sub_f32_e32 v70, v66, v69
	v_sub_f32_e32 v54, v69, v68
	;; [unrolled: 1-line block ×3, first 2 shown]
	s_delay_alu instid0(VALU_DEP_2) | instskip(NEXT) | instid1(VALU_DEP_2)
	v_sub_f32_e32 v54, v54, v64
	v_sub_f32_e32 v66, v66, v69
	s_delay_alu instid0(VALU_DEP_1) | instskip(NEXT) | instid1(VALU_DEP_1)
	v_add_f32_e32 v29, v29, v66
	v_add_f32_e32 v29, v54, v29
	s_delay_alu instid0(VALU_DEP_1) | instskip(NEXT) | instid1(VALU_DEP_1)
	v_add_f32_e32 v54, v70, v29
	v_mul_f32_e32 v64, v53, v54
	s_delay_alu instid0(VALU_DEP_1) | instskip(NEXT) | instid1(VALU_DEP_1)
	v_dual_sub_f32 v69, v70, v54 :: v_dual_mul_f32 v66, v65, v64
	v_add_f32_e32 v29, v29, v69
	s_delay_alu instid0(VALU_DEP_2) | instskip(NEXT) | instid1(VALU_DEP_1)
	v_fma_f32 v65, v64, v65, -v66
	v_fmac_f32_e32 v65, v64, v55
	s_delay_alu instid0(VALU_DEP_1) | instskip(NEXT) | instid1(VALU_DEP_1)
	v_add_f32_e32 v55, v66, v65
	v_sub_f32_e32 v68, v54, v55
	v_sub_f32_e32 v66, v55, v66
	s_delay_alu instid0(VALU_DEP_2) | instskip(NEXT) | instid1(VALU_DEP_1)
	v_sub_f32_e32 v54, v54, v68
	v_sub_f32_e32 v54, v54, v55
	s_delay_alu instid0(VALU_DEP_1) | instskip(NEXT) | instid1(VALU_DEP_4)
	v_dual_add_f32 v29, v29, v54 :: v_dual_add_f32 v54, v67, v64
	v_sub_f32_e32 v55, v66, v65
	s_delay_alu instid0(VALU_DEP_1) | instskip(NEXT) | instid1(VALU_DEP_3)
	v_add_f32_e32 v29, v55, v29
	v_sub_f32_e32 v55, v54, v67
	s_delay_alu instid0(VALU_DEP_2) | instskip(NEXT) | instid1(VALU_DEP_2)
	v_add_f32_e32 v29, v68, v29
	v_sub_f32_e32 v55, v64, v55
	s_delay_alu instid0(VALU_DEP_2) | instskip(NEXT) | instid1(VALU_DEP_1)
	v_mul_f32_e32 v29, v53, v29
	v_add_f32_e32 v29, v55, v29
	s_delay_alu instid0(VALU_DEP_1) | instskip(NEXT) | instid1(VALU_DEP_1)
	v_add_f32_e32 v53, v54, v29
	v_mul_f32_e32 v55, v53, v53
	s_delay_alu instid0(VALU_DEP_1) | instskip(SKIP_2) | instid1(VALU_DEP_3)
	v_fmaak_f32 v64, s6, v55, 0x3ecc95a3
	v_mul_f32_e32 v65, v53, v55
	v_cmp_eq_f32_e64 s6, 0x7f800000, v52
	v_fmaak_f32 v55, v55, v64, 0x3f2aaada
	v_ldexp_f32 v64, v53, 1
	v_sub_f32_e32 v53, v53, v54
	s_delay_alu instid0(VALU_DEP_4) | instskip(NEXT) | instid1(VALU_DEP_3)
	s_or_b32 s6, s6, s8
	v_mul_f32_e32 v55, v65, v55
	v_mul_f32_e32 v65, 0x3f317218, v28
	s_delay_alu instid0(VALU_DEP_2) | instskip(NEXT) | instid1(VALU_DEP_1)
	v_dual_sub_f32 v29, v29, v53 :: v_dual_add_f32 v54, v64, v55
	v_ldexp_f32 v29, v29, 1
	s_delay_alu instid0(VALU_DEP_2) | instskip(NEXT) | instid1(VALU_DEP_4)
	v_sub_f32_e32 v53, v54, v64
	v_fma_f32 v64, 0x3f317218, v28, -v65
	s_delay_alu instid0(VALU_DEP_1) | instskip(NEXT) | instid1(VALU_DEP_1)
	v_dual_sub_f32 v53, v55, v53 :: v_dual_fmamk_f32 v28, v28, 0xb102e308, v64
	v_add_f32_e32 v29, v29, v53
	s_delay_alu instid0(VALU_DEP_2) | instskip(NEXT) | instid1(VALU_DEP_2)
	v_add_f32_e32 v53, v65, v28
	v_add_f32_e32 v55, v54, v29
	s_delay_alu instid0(VALU_DEP_2) | instskip(NEXT) | instid1(VALU_DEP_2)
	v_sub_f32_e32 v65, v53, v65
	v_add_f32_e32 v64, v53, v55
	v_sub_f32_e32 v54, v55, v54
	s_delay_alu instid0(VALU_DEP_3) | instskip(NEXT) | instid1(VALU_DEP_2)
	v_sub_f32_e32 v28, v28, v65
	v_dual_sub_f32 v66, v64, v53 :: v_dual_sub_f32 v29, v29, v54
	s_delay_alu instid0(VALU_DEP_1) | instskip(NEXT) | instid1(VALU_DEP_2)
	v_sub_f32_e32 v67, v64, v66
	v_dual_sub_f32 v54, v55, v66 :: v_dual_add_f32 v55, v28, v29
	s_delay_alu instid0(VALU_DEP_2) | instskip(NEXT) | instid1(VALU_DEP_1)
	v_sub_f32_e32 v53, v53, v67
	v_dual_add_f32 v53, v54, v53 :: v_dual_sub_f32 v54, v55, v28
	s_delay_alu instid0(VALU_DEP_1) | instskip(NEXT) | instid1(VALU_DEP_2)
	v_add_f32_e32 v53, v55, v53
	v_sub_f32_e32 v55, v55, v54
	v_sub_f32_e32 v29, v29, v54
	s_delay_alu instid0(VALU_DEP_3) | instskip(NEXT) | instid1(VALU_DEP_3)
	v_add_f32_e32 v65, v64, v53
	v_sub_f32_e32 v28, v28, v55
	s_delay_alu instid0(VALU_DEP_2) | instskip(NEXT) | instid1(VALU_DEP_2)
	v_sub_f32_e32 v54, v65, v64
	v_add_f32_e32 v28, v29, v28
	s_delay_alu instid0(VALU_DEP_2) | instskip(NEXT) | instid1(VALU_DEP_1)
	v_sub_f32_e32 v29, v53, v54
	v_add_f32_e32 v28, v28, v29
	s_delay_alu instid0(VALU_DEP_1) | instskip(NEXT) | instid1(VALU_DEP_1)
	v_add_f32_e32 v28, v65, v28
	v_cndmask_b32_e64 v28, v28, v52, s6
	s_delay_alu instid0(VALU_DEP_1) | instskip(NEXT) | instid1(VALU_DEP_1)
	v_add_f32_e32 v25, v25, v28
	v_cvt_f16_f32_e32 v29, v25
	s_delay_alu instid0(VALU_DEP_1)
	v_mov_b32_e32 v28, v29
	v_cvt_f32_f16_e32 v54, v29
.LBB362_250:
	s_or_b32 exec_lo, exec_lo, s7
	v_cvt_f32_f16_e32 v25, v51
	s_delay_alu instid0(VALU_DEP_2) | instskip(SKIP_1) | instid1(VALU_DEP_2)
	v_max_f32_e32 v52, v54, v54
	v_cmp_u_f16_e64 s6, v29, v29
	v_min_f32_e32 v53, v52, v25
	v_max_f32_e32 v52, v52, v25
	s_delay_alu instid0(VALU_DEP_2) | instskip(NEXT) | instid1(VALU_DEP_2)
	v_cndmask_b32_e64 v53, v53, v54, s6
	v_cndmask_b32_e64 v55, v52, v54, s6
	v_cmp_u_f16_e64 s6, v51, v51
	s_delay_alu instid0(VALU_DEP_1) | instskip(NEXT) | instid1(VALU_DEP_3)
	v_cndmask_b32_e64 v52, v53, v25, s6
	v_cndmask_b32_e64 v51, v55, v25, s6
	s_delay_alu instid0(VALU_DEP_2) | instskip(NEXT) | instid1(VALU_DEP_2)
	v_cmp_class_f32_e64 s8, v52, 0x1f8
	v_cmp_neq_f32_e64 s7, v52, v51
	s_delay_alu instid0(VALU_DEP_1) | instskip(NEXT) | instid1(SALU_CYCLE_1)
	s_or_b32 s7, s7, s8
	s_and_saveexec_b32 s8, s7
	s_cbranch_execz .LBB362_252
; %bb.251:
	v_sub_f32_e32 v28, v52, v51
	s_delay_alu instid0(VALU_DEP_1) | instskip(NEXT) | instid1(VALU_DEP_1)
	v_mul_f32_e32 v29, 0x3fb8aa3b, v28
	v_fma_f32 v52, 0x3fb8aa3b, v28, -v29
	v_rndne_f32_e32 v53, v29
	s_delay_alu instid0(VALU_DEP_1) | instskip(SKIP_1) | instid1(VALU_DEP_2)
	v_dual_sub_f32 v29, v29, v53 :: v_dual_fmamk_f32 v52, v28, 0x32a5705f, v52
	v_cmp_ngt_f32_e64 s7, 0xc2ce8ed0, v28
	v_add_f32_e32 v29, v29, v52
	v_cvt_i32_f32_e32 v52, v53
	s_delay_alu instid0(VALU_DEP_2) | instskip(SKIP_2) | instid1(VALU_DEP_1)
	v_exp_f32_e32 v29, v29
	s_waitcnt_depctr 0xfff
	v_ldexp_f32 v29, v29, v52
	v_cndmask_b32_e64 v29, 0, v29, s7
	v_cmp_nlt_f32_e64 s7, 0x42b17218, v28
	s_delay_alu instid0(VALU_DEP_1) | instskip(NEXT) | instid1(VALU_DEP_1)
	v_cndmask_b32_e64 v52, 0x7f800000, v29, s7
	v_add_f32_e32 v53, 1.0, v52
	v_cmp_gt_f32_e64 s10, 0x33800000, |v52|
	s_delay_alu instid0(VALU_DEP_2) | instskip(NEXT) | instid1(VALU_DEP_1)
	v_cvt_f64_f32_e32 v[28:29], v53
	v_frexp_exp_i32_f64_e32 v28, v[28:29]
	v_frexp_mant_f32_e32 v29, v53
	s_delay_alu instid0(VALU_DEP_1) | instskip(SKIP_1) | instid1(VALU_DEP_1)
	v_cmp_gt_f32_e64 s7, 0x3f2aaaab, v29
	v_add_f32_e32 v29, -1.0, v53
	v_sub_f32_e32 v55, v29, v53
	v_sub_f32_e32 v29, v52, v29
	s_delay_alu instid0(VALU_DEP_4) | instskip(SKIP_1) | instid1(VALU_DEP_1)
	v_subrev_co_ci_u32_e64 v28, s7, 0, v28, s7
	s_mov_b32 s7, 0x3e9b6dac
	v_sub_nc_u32_e32 v54, 0, v28
	v_cvt_f32_i32_e32 v28, v28
	s_delay_alu instid0(VALU_DEP_2) | instskip(NEXT) | instid1(VALU_DEP_1)
	v_ldexp_f32 v53, v53, v54
	v_dual_add_f32 v64, 1.0, v53 :: v_dual_add_f32 v55, 1.0, v55
	s_delay_alu instid0(VALU_DEP_1) | instskip(NEXT) | instid1(VALU_DEP_2)
	v_add_f32_e32 v29, v29, v55
	v_add_f32_e32 v55, -1.0, v64
	s_delay_alu instid0(VALU_DEP_2) | instskip(NEXT) | instid1(VALU_DEP_2)
	v_ldexp_f32 v29, v29, v54
	v_dual_add_f32 v54, -1.0, v53 :: v_dual_sub_f32 v55, v53, v55
	s_delay_alu instid0(VALU_DEP_1) | instskip(NEXT) | instid1(VALU_DEP_2)
	v_add_f32_e32 v65, 1.0, v54
	v_add_f32_e32 v55, v29, v55
	s_delay_alu instid0(VALU_DEP_2) | instskip(NEXT) | instid1(VALU_DEP_2)
	v_sub_f32_e32 v53, v53, v65
	v_add_f32_e32 v65, v64, v55
	s_delay_alu instid0(VALU_DEP_2) | instskip(NEXT) | instid1(VALU_DEP_2)
	v_add_f32_e32 v29, v29, v53
	v_rcp_f32_e32 v53, v65
	v_sub_f32_e32 v64, v64, v65
	s_delay_alu instid0(VALU_DEP_1) | instskip(NEXT) | instid1(VALU_DEP_1)
	v_dual_add_f32 v66, v54, v29 :: v_dual_add_f32 v55, v55, v64
	v_sub_f32_e32 v54, v54, v66
	s_waitcnt_depctr 0xfff
	v_mul_f32_e32 v67, v66, v53
	v_add_f32_e32 v29, v29, v54
	s_delay_alu instid0(VALU_DEP_2) | instskip(NEXT) | instid1(VALU_DEP_1)
	v_mul_f32_e32 v68, v65, v67
	v_fma_f32 v64, v67, v65, -v68
	s_delay_alu instid0(VALU_DEP_1) | instskip(NEXT) | instid1(VALU_DEP_1)
	v_fmac_f32_e32 v64, v67, v55
	v_add_f32_e32 v69, v68, v64
	s_delay_alu instid0(VALU_DEP_1) | instskip(SKIP_1) | instid1(VALU_DEP_2)
	v_sub_f32_e32 v70, v66, v69
	v_sub_f32_e32 v54, v69, v68
	;; [unrolled: 1-line block ×3, first 2 shown]
	s_delay_alu instid0(VALU_DEP_2) | instskip(NEXT) | instid1(VALU_DEP_2)
	v_sub_f32_e32 v54, v54, v64
	v_sub_f32_e32 v66, v66, v69
	s_delay_alu instid0(VALU_DEP_1) | instskip(NEXT) | instid1(VALU_DEP_1)
	v_add_f32_e32 v29, v29, v66
	v_add_f32_e32 v29, v54, v29
	s_delay_alu instid0(VALU_DEP_1) | instskip(NEXT) | instid1(VALU_DEP_1)
	v_add_f32_e32 v54, v70, v29
	v_mul_f32_e32 v64, v53, v54
	s_delay_alu instid0(VALU_DEP_1) | instskip(NEXT) | instid1(VALU_DEP_1)
	v_dual_sub_f32 v69, v70, v54 :: v_dual_mul_f32 v66, v65, v64
	v_add_f32_e32 v29, v29, v69
	s_delay_alu instid0(VALU_DEP_2) | instskip(NEXT) | instid1(VALU_DEP_1)
	v_fma_f32 v65, v64, v65, -v66
	v_fmac_f32_e32 v65, v64, v55
	s_delay_alu instid0(VALU_DEP_1) | instskip(NEXT) | instid1(VALU_DEP_1)
	v_add_f32_e32 v55, v66, v65
	v_sub_f32_e32 v68, v54, v55
	v_sub_f32_e32 v66, v55, v66
	s_delay_alu instid0(VALU_DEP_2) | instskip(NEXT) | instid1(VALU_DEP_1)
	v_sub_f32_e32 v54, v54, v68
	v_sub_f32_e32 v54, v54, v55
	s_delay_alu instid0(VALU_DEP_3) | instskip(NEXT) | instid1(VALU_DEP_2)
	v_sub_f32_e32 v55, v66, v65
	v_dual_add_f32 v29, v29, v54 :: v_dual_add_f32 v54, v67, v64
	s_delay_alu instid0(VALU_DEP_1) | instskip(NEXT) | instid1(VALU_DEP_2)
	v_add_f32_e32 v29, v55, v29
	v_sub_f32_e32 v55, v54, v67
	s_delay_alu instid0(VALU_DEP_2) | instskip(NEXT) | instid1(VALU_DEP_2)
	v_add_f32_e32 v29, v68, v29
	v_sub_f32_e32 v55, v64, v55
	s_delay_alu instid0(VALU_DEP_2) | instskip(NEXT) | instid1(VALU_DEP_1)
	v_mul_f32_e32 v29, v53, v29
	v_add_f32_e32 v29, v55, v29
	s_delay_alu instid0(VALU_DEP_1) | instskip(NEXT) | instid1(VALU_DEP_1)
	v_add_f32_e32 v53, v54, v29
	v_mul_f32_e32 v55, v53, v53
	s_delay_alu instid0(VALU_DEP_1) | instskip(SKIP_2) | instid1(VALU_DEP_3)
	v_fmaak_f32 v64, s7, v55, 0x3ecc95a3
	v_mul_f32_e32 v65, v53, v55
	v_cmp_eq_f32_e64 s7, 0x7f800000, v52
	v_fmaak_f32 v55, v55, v64, 0x3f2aaada
	v_ldexp_f32 v64, v53, 1
	v_sub_f32_e32 v53, v53, v54
	s_delay_alu instid0(VALU_DEP_4) | instskip(NEXT) | instid1(VALU_DEP_3)
	s_or_b32 s7, s7, s10
	v_mul_f32_e32 v55, v65, v55
	v_mul_f32_e32 v65, 0x3f317218, v28
	s_delay_alu instid0(VALU_DEP_2) | instskip(NEXT) | instid1(VALU_DEP_1)
	v_dual_sub_f32 v29, v29, v53 :: v_dual_add_f32 v54, v64, v55
	v_ldexp_f32 v29, v29, 1
	s_delay_alu instid0(VALU_DEP_2) | instskip(NEXT) | instid1(VALU_DEP_4)
	v_sub_f32_e32 v53, v54, v64
	v_fma_f32 v64, 0x3f317218, v28, -v65
	s_delay_alu instid0(VALU_DEP_1) | instskip(NEXT) | instid1(VALU_DEP_1)
	v_dual_sub_f32 v53, v55, v53 :: v_dual_fmamk_f32 v28, v28, 0xb102e308, v64
	v_add_f32_e32 v29, v29, v53
	s_delay_alu instid0(VALU_DEP_2) | instskip(NEXT) | instid1(VALU_DEP_2)
	v_add_f32_e32 v53, v65, v28
	v_add_f32_e32 v55, v54, v29
	s_delay_alu instid0(VALU_DEP_2) | instskip(NEXT) | instid1(VALU_DEP_2)
	v_sub_f32_e32 v65, v53, v65
	v_add_f32_e32 v64, v53, v55
	v_sub_f32_e32 v54, v55, v54
	s_delay_alu instid0(VALU_DEP_3) | instskip(NEXT) | instid1(VALU_DEP_2)
	v_sub_f32_e32 v28, v28, v65
	v_dual_sub_f32 v66, v64, v53 :: v_dual_sub_f32 v29, v29, v54
	s_delay_alu instid0(VALU_DEP_1) | instskip(NEXT) | instid1(VALU_DEP_2)
	v_sub_f32_e32 v67, v64, v66
	v_dual_sub_f32 v54, v55, v66 :: v_dual_add_f32 v55, v28, v29
	s_delay_alu instid0(VALU_DEP_2) | instskip(NEXT) | instid1(VALU_DEP_1)
	v_sub_f32_e32 v53, v53, v67
	v_dual_add_f32 v53, v54, v53 :: v_dual_sub_f32 v54, v55, v28
	s_delay_alu instid0(VALU_DEP_1) | instskip(NEXT) | instid1(VALU_DEP_2)
	v_add_f32_e32 v53, v55, v53
	v_sub_f32_e32 v55, v55, v54
	v_sub_f32_e32 v29, v29, v54
	s_delay_alu instid0(VALU_DEP_3) | instskip(NEXT) | instid1(VALU_DEP_3)
	v_add_f32_e32 v65, v64, v53
	v_sub_f32_e32 v28, v28, v55
	s_delay_alu instid0(VALU_DEP_2) | instskip(NEXT) | instid1(VALU_DEP_2)
	v_sub_f32_e32 v54, v65, v64
	v_add_f32_e32 v28, v29, v28
	s_delay_alu instid0(VALU_DEP_2) | instskip(NEXT) | instid1(VALU_DEP_1)
	v_sub_f32_e32 v29, v53, v54
	v_add_f32_e32 v28, v28, v29
	s_delay_alu instid0(VALU_DEP_1) | instskip(NEXT) | instid1(VALU_DEP_1)
	v_add_f32_e32 v28, v65, v28
	v_cndmask_b32_e64 v28, v28, v52, s7
	s_delay_alu instid0(VALU_DEP_1) | instskip(NEXT) | instid1(VALU_DEP_1)
	v_add_f32_e32 v28, v51, v28
	v_cvt_f16_f32_e32 v29, v28
	s_delay_alu instid0(VALU_DEP_1)
	v_mov_b32_e32 v28, v29
	v_cvt_f32_f16_e32 v54, v29
.LBB362_252:
	s_or_b32 exec_lo, exec_lo, s8
	v_cvt_f32_f16_e32 v51, v22
	s_delay_alu instid0(VALU_DEP_2) | instskip(SKIP_1) | instid1(VALU_DEP_2)
	v_max_f32_e32 v52, v54, v54
	v_cmp_u_f16_e64 s7, v29, v29
	v_min_f32_e32 v53, v52, v51
	v_max_f32_e32 v52, v52, v51
	s_delay_alu instid0(VALU_DEP_2) | instskip(NEXT) | instid1(VALU_DEP_2)
	v_cndmask_b32_e64 v53, v53, v54, s7
	v_cndmask_b32_e64 v55, v52, v54, s7
	v_cmp_u_f16_e64 s7, v22, v22
	s_delay_alu instid0(VALU_DEP_1) | instskip(NEXT) | instid1(VALU_DEP_3)
	v_cndmask_b32_e64 v52, v53, v51, s7
	v_cndmask_b32_e64 v22, v55, v51, s7
	s_delay_alu instid0(VALU_DEP_2) | instskip(NEXT) | instid1(VALU_DEP_2)
	v_cmp_class_f32_e64 s10, v52, 0x1f8
	v_cmp_neq_f32_e64 s8, v52, v22
	s_delay_alu instid0(VALU_DEP_1) | instskip(NEXT) | instid1(SALU_CYCLE_1)
	s_or_b32 s8, s8, s10
	s_and_saveexec_b32 s10, s8
	s_cbranch_execz .LBB362_254
; %bb.253:
	v_sub_f32_e32 v28, v52, v22
	s_delay_alu instid0(VALU_DEP_1) | instskip(NEXT) | instid1(VALU_DEP_1)
	v_mul_f32_e32 v29, 0x3fb8aa3b, v28
	v_fma_f32 v52, 0x3fb8aa3b, v28, -v29
	v_rndne_f32_e32 v53, v29
	s_delay_alu instid0(VALU_DEP_1) | instskip(SKIP_1) | instid1(VALU_DEP_2)
	v_dual_sub_f32 v29, v29, v53 :: v_dual_fmamk_f32 v52, v28, 0x32a5705f, v52
	v_cmp_ngt_f32_e64 s8, 0xc2ce8ed0, v28
	v_add_f32_e32 v29, v29, v52
	v_cvt_i32_f32_e32 v52, v53
	s_delay_alu instid0(VALU_DEP_2) | instskip(SKIP_2) | instid1(VALU_DEP_1)
	v_exp_f32_e32 v29, v29
	s_waitcnt_depctr 0xfff
	v_ldexp_f32 v29, v29, v52
	v_cndmask_b32_e64 v29, 0, v29, s8
	v_cmp_nlt_f32_e64 s8, 0x42b17218, v28
	s_delay_alu instid0(VALU_DEP_1) | instskip(NEXT) | instid1(VALU_DEP_1)
	v_cndmask_b32_e64 v52, 0x7f800000, v29, s8
	v_add_f32_e32 v53, 1.0, v52
	v_cmp_gt_f32_e64 s11, 0x33800000, |v52|
	s_delay_alu instid0(VALU_DEP_2) | instskip(NEXT) | instid1(VALU_DEP_1)
	v_cvt_f64_f32_e32 v[28:29], v53
	v_frexp_exp_i32_f64_e32 v28, v[28:29]
	v_frexp_mant_f32_e32 v29, v53
	s_delay_alu instid0(VALU_DEP_1) | instskip(SKIP_1) | instid1(VALU_DEP_1)
	v_cmp_gt_f32_e64 s8, 0x3f2aaaab, v29
	v_add_f32_e32 v29, -1.0, v53
	v_sub_f32_e32 v55, v29, v53
	v_sub_f32_e32 v29, v52, v29
	s_delay_alu instid0(VALU_DEP_4) | instskip(SKIP_1) | instid1(VALU_DEP_1)
	v_subrev_co_ci_u32_e64 v28, s8, 0, v28, s8
	s_mov_b32 s8, 0x3e9b6dac
	v_sub_nc_u32_e32 v54, 0, v28
	v_cvt_f32_i32_e32 v28, v28
	s_delay_alu instid0(VALU_DEP_2) | instskip(NEXT) | instid1(VALU_DEP_1)
	v_ldexp_f32 v53, v53, v54
	v_dual_add_f32 v64, 1.0, v53 :: v_dual_add_f32 v55, 1.0, v55
	s_delay_alu instid0(VALU_DEP_1) | instskip(NEXT) | instid1(VALU_DEP_2)
	v_add_f32_e32 v29, v29, v55
	v_add_f32_e32 v55, -1.0, v64
	s_delay_alu instid0(VALU_DEP_2) | instskip(NEXT) | instid1(VALU_DEP_2)
	v_ldexp_f32 v29, v29, v54
	v_dual_add_f32 v54, -1.0, v53 :: v_dual_sub_f32 v55, v53, v55
	s_delay_alu instid0(VALU_DEP_1) | instskip(NEXT) | instid1(VALU_DEP_2)
	v_add_f32_e32 v65, 1.0, v54
	v_add_f32_e32 v55, v29, v55
	s_delay_alu instid0(VALU_DEP_2) | instskip(NEXT) | instid1(VALU_DEP_2)
	v_sub_f32_e32 v53, v53, v65
	v_add_f32_e32 v65, v64, v55
	s_delay_alu instid0(VALU_DEP_2) | instskip(NEXT) | instid1(VALU_DEP_2)
	v_add_f32_e32 v29, v29, v53
	v_rcp_f32_e32 v53, v65
	v_sub_f32_e32 v64, v64, v65
	s_delay_alu instid0(VALU_DEP_1) | instskip(NEXT) | instid1(VALU_DEP_1)
	v_dual_add_f32 v66, v54, v29 :: v_dual_add_f32 v55, v55, v64
	v_sub_f32_e32 v54, v54, v66
	s_waitcnt_depctr 0xfff
	v_mul_f32_e32 v67, v66, v53
	v_add_f32_e32 v29, v29, v54
	s_delay_alu instid0(VALU_DEP_2) | instskip(NEXT) | instid1(VALU_DEP_1)
	v_mul_f32_e32 v68, v65, v67
	v_fma_f32 v64, v67, v65, -v68
	s_delay_alu instid0(VALU_DEP_1) | instskip(NEXT) | instid1(VALU_DEP_1)
	v_fmac_f32_e32 v64, v67, v55
	v_add_f32_e32 v69, v68, v64
	s_delay_alu instid0(VALU_DEP_1) | instskip(SKIP_1) | instid1(VALU_DEP_2)
	v_sub_f32_e32 v70, v66, v69
	v_sub_f32_e32 v54, v69, v68
	;; [unrolled: 1-line block ×3, first 2 shown]
	s_delay_alu instid0(VALU_DEP_2) | instskip(NEXT) | instid1(VALU_DEP_2)
	v_sub_f32_e32 v54, v54, v64
	v_sub_f32_e32 v66, v66, v69
	s_delay_alu instid0(VALU_DEP_1) | instskip(NEXT) | instid1(VALU_DEP_1)
	v_add_f32_e32 v29, v29, v66
	v_add_f32_e32 v29, v54, v29
	s_delay_alu instid0(VALU_DEP_1) | instskip(NEXT) | instid1(VALU_DEP_1)
	v_add_f32_e32 v54, v70, v29
	v_mul_f32_e32 v64, v53, v54
	s_delay_alu instid0(VALU_DEP_1) | instskip(NEXT) | instid1(VALU_DEP_1)
	v_dual_sub_f32 v69, v70, v54 :: v_dual_mul_f32 v66, v65, v64
	v_add_f32_e32 v29, v29, v69
	s_delay_alu instid0(VALU_DEP_2) | instskip(NEXT) | instid1(VALU_DEP_1)
	v_fma_f32 v65, v64, v65, -v66
	v_fmac_f32_e32 v65, v64, v55
	s_delay_alu instid0(VALU_DEP_1) | instskip(NEXT) | instid1(VALU_DEP_1)
	v_add_f32_e32 v55, v66, v65
	v_sub_f32_e32 v68, v54, v55
	v_sub_f32_e32 v66, v55, v66
	s_delay_alu instid0(VALU_DEP_2) | instskip(NEXT) | instid1(VALU_DEP_1)
	v_sub_f32_e32 v54, v54, v68
	v_sub_f32_e32 v54, v54, v55
	s_delay_alu instid0(VALU_DEP_3) | instskip(NEXT) | instid1(VALU_DEP_2)
	v_sub_f32_e32 v55, v66, v65
	v_dual_add_f32 v29, v29, v54 :: v_dual_add_f32 v54, v67, v64
	s_delay_alu instid0(VALU_DEP_1) | instskip(NEXT) | instid1(VALU_DEP_2)
	v_add_f32_e32 v29, v55, v29
	v_sub_f32_e32 v55, v54, v67
	s_delay_alu instid0(VALU_DEP_2) | instskip(NEXT) | instid1(VALU_DEP_2)
	v_add_f32_e32 v29, v68, v29
	v_sub_f32_e32 v55, v64, v55
	s_delay_alu instid0(VALU_DEP_2) | instskip(NEXT) | instid1(VALU_DEP_1)
	v_mul_f32_e32 v29, v53, v29
	v_add_f32_e32 v29, v55, v29
	s_delay_alu instid0(VALU_DEP_1) | instskip(NEXT) | instid1(VALU_DEP_1)
	v_add_f32_e32 v53, v54, v29
	v_mul_f32_e32 v55, v53, v53
	s_delay_alu instid0(VALU_DEP_1) | instskip(SKIP_2) | instid1(VALU_DEP_3)
	v_fmaak_f32 v64, s8, v55, 0x3ecc95a3
	v_mul_f32_e32 v65, v53, v55
	v_cmp_eq_f32_e64 s8, 0x7f800000, v52
	v_fmaak_f32 v55, v55, v64, 0x3f2aaada
	v_ldexp_f32 v64, v53, 1
	v_sub_f32_e32 v53, v53, v54
	s_delay_alu instid0(VALU_DEP_4) | instskip(NEXT) | instid1(VALU_DEP_3)
	s_or_b32 s8, s8, s11
	v_mul_f32_e32 v55, v65, v55
	v_mul_f32_e32 v65, 0x3f317218, v28
	s_delay_alu instid0(VALU_DEP_2) | instskip(NEXT) | instid1(VALU_DEP_1)
	v_dual_sub_f32 v29, v29, v53 :: v_dual_add_f32 v54, v64, v55
	v_ldexp_f32 v29, v29, 1
	s_delay_alu instid0(VALU_DEP_2) | instskip(NEXT) | instid1(VALU_DEP_4)
	v_sub_f32_e32 v53, v54, v64
	v_fma_f32 v64, 0x3f317218, v28, -v65
	s_delay_alu instid0(VALU_DEP_1) | instskip(NEXT) | instid1(VALU_DEP_1)
	v_dual_sub_f32 v53, v55, v53 :: v_dual_fmamk_f32 v28, v28, 0xb102e308, v64
	v_add_f32_e32 v29, v29, v53
	s_delay_alu instid0(VALU_DEP_2) | instskip(NEXT) | instid1(VALU_DEP_2)
	v_add_f32_e32 v53, v65, v28
	v_add_f32_e32 v55, v54, v29
	s_delay_alu instid0(VALU_DEP_2) | instskip(NEXT) | instid1(VALU_DEP_2)
	v_sub_f32_e32 v65, v53, v65
	v_add_f32_e32 v64, v53, v55
	v_sub_f32_e32 v54, v55, v54
	s_delay_alu instid0(VALU_DEP_3) | instskip(NEXT) | instid1(VALU_DEP_2)
	v_sub_f32_e32 v28, v28, v65
	v_dual_sub_f32 v66, v64, v53 :: v_dual_sub_f32 v29, v29, v54
	s_delay_alu instid0(VALU_DEP_1) | instskip(NEXT) | instid1(VALU_DEP_2)
	v_sub_f32_e32 v67, v64, v66
	v_dual_sub_f32 v54, v55, v66 :: v_dual_add_f32 v55, v28, v29
	s_delay_alu instid0(VALU_DEP_2) | instskip(NEXT) | instid1(VALU_DEP_1)
	v_sub_f32_e32 v53, v53, v67
	v_dual_add_f32 v53, v54, v53 :: v_dual_sub_f32 v54, v55, v28
	s_delay_alu instid0(VALU_DEP_1) | instskip(NEXT) | instid1(VALU_DEP_2)
	v_add_f32_e32 v53, v55, v53
	v_sub_f32_e32 v55, v55, v54
	v_sub_f32_e32 v29, v29, v54
	s_delay_alu instid0(VALU_DEP_3) | instskip(NEXT) | instid1(VALU_DEP_3)
	v_add_f32_e32 v65, v64, v53
	v_sub_f32_e32 v28, v28, v55
	s_delay_alu instid0(VALU_DEP_2) | instskip(NEXT) | instid1(VALU_DEP_2)
	v_sub_f32_e32 v54, v65, v64
	v_add_f32_e32 v28, v29, v28
	s_delay_alu instid0(VALU_DEP_2) | instskip(NEXT) | instid1(VALU_DEP_1)
	v_sub_f32_e32 v29, v53, v54
	v_add_f32_e32 v28, v28, v29
	s_delay_alu instid0(VALU_DEP_1) | instskip(NEXT) | instid1(VALU_DEP_1)
	v_add_f32_e32 v28, v65, v28
	v_cndmask_b32_e64 v28, v28, v52, s8
	s_delay_alu instid0(VALU_DEP_1) | instskip(NEXT) | instid1(VALU_DEP_1)
	v_add_f32_e32 v22, v22, v28
	v_cvt_f16_f32_e32 v29, v22
	s_delay_alu instid0(VALU_DEP_1)
	v_mov_b32_e32 v28, v29
	v_cvt_f32_f16_e32 v54, v29
.LBB362_254:
	s_or_b32 exec_lo, exec_lo, s10
	v_cvt_f32_f16_e32 v22, v50
	s_delay_alu instid0(VALU_DEP_2) | instskip(SKIP_1) | instid1(VALU_DEP_2)
	v_max_f32_e32 v52, v54, v54
	v_cmp_u_f16_e64 s8, v29, v29
	v_min_f32_e32 v53, v52, v22
	v_max_f32_e32 v52, v52, v22
	s_delay_alu instid0(VALU_DEP_2) | instskip(NEXT) | instid1(VALU_DEP_2)
	v_cndmask_b32_e64 v53, v53, v54, s8
	v_cndmask_b32_e64 v55, v52, v54, s8
	v_cmp_u_f16_e64 s8, v50, v50
	s_delay_alu instid0(VALU_DEP_1) | instskip(NEXT) | instid1(VALU_DEP_3)
	v_cndmask_b32_e64 v52, v53, v22, s8
	v_cndmask_b32_e64 v50, v55, v22, s8
	s_delay_alu instid0(VALU_DEP_2) | instskip(NEXT) | instid1(VALU_DEP_2)
	v_cmp_class_f32_e64 s11, v52, 0x1f8
	v_cmp_neq_f32_e64 s10, v52, v50
	s_delay_alu instid0(VALU_DEP_1) | instskip(NEXT) | instid1(SALU_CYCLE_1)
	s_or_b32 s10, s10, s11
	s_and_saveexec_b32 s11, s10
	s_cbranch_execz .LBB362_256
; %bb.255:
	v_sub_f32_e32 v28, v52, v50
	s_delay_alu instid0(VALU_DEP_1) | instskip(NEXT) | instid1(VALU_DEP_1)
	v_mul_f32_e32 v29, 0x3fb8aa3b, v28
	v_fma_f32 v52, 0x3fb8aa3b, v28, -v29
	v_rndne_f32_e32 v53, v29
	s_delay_alu instid0(VALU_DEP_1) | instskip(SKIP_1) | instid1(VALU_DEP_2)
	v_dual_sub_f32 v29, v29, v53 :: v_dual_fmamk_f32 v52, v28, 0x32a5705f, v52
	v_cmp_ngt_f32_e64 s10, 0xc2ce8ed0, v28
	v_add_f32_e32 v29, v29, v52
	v_cvt_i32_f32_e32 v52, v53
	s_delay_alu instid0(VALU_DEP_2) | instskip(SKIP_2) | instid1(VALU_DEP_1)
	v_exp_f32_e32 v29, v29
	s_waitcnt_depctr 0xfff
	v_ldexp_f32 v29, v29, v52
	v_cndmask_b32_e64 v29, 0, v29, s10
	v_cmp_nlt_f32_e64 s10, 0x42b17218, v28
	s_delay_alu instid0(VALU_DEP_1) | instskip(NEXT) | instid1(VALU_DEP_1)
	v_cndmask_b32_e64 v52, 0x7f800000, v29, s10
	v_add_f32_e32 v53, 1.0, v52
	v_cmp_gt_f32_e64 s12, 0x33800000, |v52|
	s_delay_alu instid0(VALU_DEP_2) | instskip(NEXT) | instid1(VALU_DEP_1)
	v_cvt_f64_f32_e32 v[28:29], v53
	v_frexp_exp_i32_f64_e32 v28, v[28:29]
	v_frexp_mant_f32_e32 v29, v53
	s_delay_alu instid0(VALU_DEP_1) | instskip(SKIP_1) | instid1(VALU_DEP_1)
	v_cmp_gt_f32_e64 s10, 0x3f2aaaab, v29
	v_add_f32_e32 v29, -1.0, v53
	v_sub_f32_e32 v55, v29, v53
	v_sub_f32_e32 v29, v52, v29
	s_delay_alu instid0(VALU_DEP_4) | instskip(SKIP_1) | instid1(VALU_DEP_1)
	v_subrev_co_ci_u32_e64 v28, s10, 0, v28, s10
	s_mov_b32 s10, 0x3e9b6dac
	v_sub_nc_u32_e32 v54, 0, v28
	v_cvt_f32_i32_e32 v28, v28
	s_delay_alu instid0(VALU_DEP_2) | instskip(NEXT) | instid1(VALU_DEP_1)
	v_ldexp_f32 v53, v53, v54
	v_dual_add_f32 v64, 1.0, v53 :: v_dual_add_f32 v55, 1.0, v55
	s_delay_alu instid0(VALU_DEP_1) | instskip(NEXT) | instid1(VALU_DEP_2)
	v_add_f32_e32 v29, v29, v55
	v_add_f32_e32 v55, -1.0, v64
	s_delay_alu instid0(VALU_DEP_2) | instskip(NEXT) | instid1(VALU_DEP_2)
	v_ldexp_f32 v29, v29, v54
	v_dual_add_f32 v54, -1.0, v53 :: v_dual_sub_f32 v55, v53, v55
	s_delay_alu instid0(VALU_DEP_1) | instskip(NEXT) | instid1(VALU_DEP_2)
	v_add_f32_e32 v65, 1.0, v54
	v_add_f32_e32 v55, v29, v55
	s_delay_alu instid0(VALU_DEP_2) | instskip(NEXT) | instid1(VALU_DEP_2)
	v_sub_f32_e32 v53, v53, v65
	v_add_f32_e32 v65, v64, v55
	s_delay_alu instid0(VALU_DEP_2) | instskip(NEXT) | instid1(VALU_DEP_2)
	v_add_f32_e32 v29, v29, v53
	v_rcp_f32_e32 v53, v65
	v_sub_f32_e32 v64, v64, v65
	s_delay_alu instid0(VALU_DEP_1) | instskip(NEXT) | instid1(VALU_DEP_1)
	v_dual_add_f32 v66, v54, v29 :: v_dual_add_f32 v55, v55, v64
	v_sub_f32_e32 v54, v54, v66
	s_waitcnt_depctr 0xfff
	v_mul_f32_e32 v67, v66, v53
	v_add_f32_e32 v29, v29, v54
	s_delay_alu instid0(VALU_DEP_2) | instskip(NEXT) | instid1(VALU_DEP_1)
	v_mul_f32_e32 v68, v65, v67
	v_fma_f32 v64, v67, v65, -v68
	s_delay_alu instid0(VALU_DEP_1) | instskip(NEXT) | instid1(VALU_DEP_1)
	v_fmac_f32_e32 v64, v67, v55
	v_add_f32_e32 v69, v68, v64
	s_delay_alu instid0(VALU_DEP_1) | instskip(SKIP_1) | instid1(VALU_DEP_2)
	v_sub_f32_e32 v70, v66, v69
	v_sub_f32_e32 v54, v69, v68
	;; [unrolled: 1-line block ×3, first 2 shown]
	s_delay_alu instid0(VALU_DEP_2) | instskip(NEXT) | instid1(VALU_DEP_2)
	v_sub_f32_e32 v54, v54, v64
	v_sub_f32_e32 v66, v66, v69
	s_delay_alu instid0(VALU_DEP_1) | instskip(NEXT) | instid1(VALU_DEP_1)
	v_add_f32_e32 v29, v29, v66
	v_add_f32_e32 v29, v54, v29
	s_delay_alu instid0(VALU_DEP_1) | instskip(NEXT) | instid1(VALU_DEP_1)
	v_add_f32_e32 v54, v70, v29
	v_mul_f32_e32 v64, v53, v54
	s_delay_alu instid0(VALU_DEP_1) | instskip(NEXT) | instid1(VALU_DEP_1)
	v_dual_sub_f32 v69, v70, v54 :: v_dual_mul_f32 v66, v65, v64
	v_add_f32_e32 v29, v29, v69
	s_delay_alu instid0(VALU_DEP_2) | instskip(NEXT) | instid1(VALU_DEP_1)
	v_fma_f32 v65, v64, v65, -v66
	v_fmac_f32_e32 v65, v64, v55
	s_delay_alu instid0(VALU_DEP_1) | instskip(NEXT) | instid1(VALU_DEP_1)
	v_add_f32_e32 v55, v66, v65
	v_sub_f32_e32 v68, v54, v55
	v_sub_f32_e32 v66, v55, v66
	s_delay_alu instid0(VALU_DEP_2) | instskip(NEXT) | instid1(VALU_DEP_1)
	v_sub_f32_e32 v54, v54, v68
	v_sub_f32_e32 v54, v54, v55
	s_delay_alu instid0(VALU_DEP_3) | instskip(NEXT) | instid1(VALU_DEP_2)
	v_sub_f32_e32 v55, v66, v65
	v_dual_add_f32 v29, v29, v54 :: v_dual_add_f32 v54, v67, v64
	s_delay_alu instid0(VALU_DEP_1) | instskip(NEXT) | instid1(VALU_DEP_2)
	v_add_f32_e32 v29, v55, v29
	v_sub_f32_e32 v55, v54, v67
	s_delay_alu instid0(VALU_DEP_2) | instskip(NEXT) | instid1(VALU_DEP_2)
	v_add_f32_e32 v29, v68, v29
	v_sub_f32_e32 v55, v64, v55
	s_delay_alu instid0(VALU_DEP_2) | instskip(NEXT) | instid1(VALU_DEP_1)
	v_mul_f32_e32 v29, v53, v29
	v_add_f32_e32 v29, v55, v29
	s_delay_alu instid0(VALU_DEP_1) | instskip(NEXT) | instid1(VALU_DEP_1)
	v_add_f32_e32 v53, v54, v29
	v_mul_f32_e32 v55, v53, v53
	s_delay_alu instid0(VALU_DEP_1) | instskip(SKIP_2) | instid1(VALU_DEP_3)
	v_fmaak_f32 v64, s10, v55, 0x3ecc95a3
	v_mul_f32_e32 v65, v53, v55
	v_cmp_eq_f32_e64 s10, 0x7f800000, v52
	v_fmaak_f32 v55, v55, v64, 0x3f2aaada
	v_ldexp_f32 v64, v53, 1
	v_sub_f32_e32 v53, v53, v54
	s_delay_alu instid0(VALU_DEP_4) | instskip(NEXT) | instid1(VALU_DEP_3)
	s_or_b32 s10, s10, s12
	v_mul_f32_e32 v55, v65, v55
	v_mul_f32_e32 v65, 0x3f317218, v28
	s_delay_alu instid0(VALU_DEP_2) | instskip(NEXT) | instid1(VALU_DEP_1)
	v_dual_sub_f32 v29, v29, v53 :: v_dual_add_f32 v54, v64, v55
	v_ldexp_f32 v29, v29, 1
	s_delay_alu instid0(VALU_DEP_2) | instskip(NEXT) | instid1(VALU_DEP_4)
	v_sub_f32_e32 v53, v54, v64
	v_fma_f32 v64, 0x3f317218, v28, -v65
	s_delay_alu instid0(VALU_DEP_1) | instskip(NEXT) | instid1(VALU_DEP_1)
	v_dual_sub_f32 v53, v55, v53 :: v_dual_fmamk_f32 v28, v28, 0xb102e308, v64
	v_add_f32_e32 v29, v29, v53
	s_delay_alu instid0(VALU_DEP_2) | instskip(NEXT) | instid1(VALU_DEP_2)
	v_add_f32_e32 v53, v65, v28
	v_add_f32_e32 v55, v54, v29
	s_delay_alu instid0(VALU_DEP_2) | instskip(NEXT) | instid1(VALU_DEP_2)
	v_sub_f32_e32 v65, v53, v65
	v_add_f32_e32 v64, v53, v55
	v_sub_f32_e32 v54, v55, v54
	s_delay_alu instid0(VALU_DEP_3) | instskip(NEXT) | instid1(VALU_DEP_2)
	v_sub_f32_e32 v28, v28, v65
	v_dual_sub_f32 v66, v64, v53 :: v_dual_sub_f32 v29, v29, v54
	s_delay_alu instid0(VALU_DEP_1) | instskip(NEXT) | instid1(VALU_DEP_2)
	v_sub_f32_e32 v67, v64, v66
	v_dual_sub_f32 v54, v55, v66 :: v_dual_add_f32 v55, v28, v29
	s_delay_alu instid0(VALU_DEP_2) | instskip(NEXT) | instid1(VALU_DEP_1)
	v_sub_f32_e32 v53, v53, v67
	v_dual_add_f32 v53, v54, v53 :: v_dual_sub_f32 v54, v55, v28
	s_delay_alu instid0(VALU_DEP_1) | instskip(NEXT) | instid1(VALU_DEP_2)
	v_add_f32_e32 v53, v55, v53
	v_sub_f32_e32 v55, v55, v54
	v_sub_f32_e32 v29, v29, v54
	s_delay_alu instid0(VALU_DEP_3) | instskip(NEXT) | instid1(VALU_DEP_3)
	v_add_f32_e32 v65, v64, v53
	v_sub_f32_e32 v28, v28, v55
	s_delay_alu instid0(VALU_DEP_2) | instskip(NEXT) | instid1(VALU_DEP_2)
	v_sub_f32_e32 v54, v65, v64
	v_add_f32_e32 v28, v29, v28
	s_delay_alu instid0(VALU_DEP_2) | instskip(NEXT) | instid1(VALU_DEP_1)
	v_sub_f32_e32 v29, v53, v54
	v_add_f32_e32 v28, v28, v29
	s_delay_alu instid0(VALU_DEP_1) | instskip(NEXT) | instid1(VALU_DEP_1)
	v_add_f32_e32 v28, v65, v28
	v_cndmask_b32_e64 v28, v28, v52, s10
	s_delay_alu instid0(VALU_DEP_1) | instskip(NEXT) | instid1(VALU_DEP_1)
	v_add_f32_e32 v28, v50, v28
	v_cvt_f16_f32_e32 v29, v28
	s_delay_alu instid0(VALU_DEP_1)
	v_mov_b32_e32 v28, v29
	v_cvt_f32_f16_e32 v54, v29
.LBB362_256:
	s_or_b32 exec_lo, exec_lo, s11
	v_cvt_f32_f16_e32 v50, v23
	s_delay_alu instid0(VALU_DEP_2) | instskip(SKIP_1) | instid1(VALU_DEP_2)
	v_max_f32_e32 v52, v54, v54
	v_cmp_u_f16_e64 s10, v29, v29
	v_min_f32_e32 v53, v52, v50
	v_max_f32_e32 v52, v52, v50
	s_delay_alu instid0(VALU_DEP_2) | instskip(NEXT) | instid1(VALU_DEP_2)
	v_cndmask_b32_e64 v53, v53, v54, s10
	v_cndmask_b32_e64 v55, v52, v54, s10
	v_cmp_u_f16_e64 s10, v23, v23
	s_delay_alu instid0(VALU_DEP_1) | instskip(NEXT) | instid1(VALU_DEP_3)
	v_cndmask_b32_e64 v52, v53, v50, s10
	v_cndmask_b32_e64 v23, v55, v50, s10
	s_delay_alu instid0(VALU_DEP_2) | instskip(NEXT) | instid1(VALU_DEP_2)
	v_cmp_class_f32_e64 s12, v52, 0x1f8
	v_cmp_neq_f32_e64 s11, v52, v23
	s_delay_alu instid0(VALU_DEP_1) | instskip(NEXT) | instid1(SALU_CYCLE_1)
	s_or_b32 s11, s11, s12
	s_and_saveexec_b32 s12, s11
	s_cbranch_execz .LBB362_258
; %bb.257:
	v_sub_f32_e32 v28, v52, v23
	s_delay_alu instid0(VALU_DEP_1) | instskip(NEXT) | instid1(VALU_DEP_1)
	v_mul_f32_e32 v29, 0x3fb8aa3b, v28
	v_fma_f32 v52, 0x3fb8aa3b, v28, -v29
	v_rndne_f32_e32 v53, v29
	s_delay_alu instid0(VALU_DEP_1) | instskip(SKIP_1) | instid1(VALU_DEP_2)
	v_dual_sub_f32 v29, v29, v53 :: v_dual_fmamk_f32 v52, v28, 0x32a5705f, v52
	v_cmp_ngt_f32_e64 s11, 0xc2ce8ed0, v28
	v_add_f32_e32 v29, v29, v52
	v_cvt_i32_f32_e32 v52, v53
	s_delay_alu instid0(VALU_DEP_2) | instskip(SKIP_2) | instid1(VALU_DEP_1)
	v_exp_f32_e32 v29, v29
	s_waitcnt_depctr 0xfff
	v_ldexp_f32 v29, v29, v52
	v_cndmask_b32_e64 v29, 0, v29, s11
	v_cmp_nlt_f32_e64 s11, 0x42b17218, v28
	s_delay_alu instid0(VALU_DEP_1) | instskip(NEXT) | instid1(VALU_DEP_1)
	v_cndmask_b32_e64 v52, 0x7f800000, v29, s11
	v_add_f32_e32 v53, 1.0, v52
	v_cmp_gt_f32_e64 s13, 0x33800000, |v52|
	s_delay_alu instid0(VALU_DEP_2) | instskip(NEXT) | instid1(VALU_DEP_1)
	v_cvt_f64_f32_e32 v[28:29], v53
	v_frexp_exp_i32_f64_e32 v28, v[28:29]
	v_frexp_mant_f32_e32 v29, v53
	s_delay_alu instid0(VALU_DEP_1) | instskip(SKIP_1) | instid1(VALU_DEP_1)
	v_cmp_gt_f32_e64 s11, 0x3f2aaaab, v29
	v_add_f32_e32 v29, -1.0, v53
	v_sub_f32_e32 v55, v29, v53
	v_sub_f32_e32 v29, v52, v29
	s_delay_alu instid0(VALU_DEP_4) | instskip(SKIP_1) | instid1(VALU_DEP_1)
	v_subrev_co_ci_u32_e64 v28, s11, 0, v28, s11
	s_mov_b32 s11, 0x3e9b6dac
	v_sub_nc_u32_e32 v54, 0, v28
	v_cvt_f32_i32_e32 v28, v28
	s_delay_alu instid0(VALU_DEP_2) | instskip(NEXT) | instid1(VALU_DEP_1)
	v_ldexp_f32 v53, v53, v54
	v_dual_add_f32 v64, 1.0, v53 :: v_dual_add_f32 v55, 1.0, v55
	s_delay_alu instid0(VALU_DEP_1) | instskip(NEXT) | instid1(VALU_DEP_2)
	v_add_f32_e32 v29, v29, v55
	v_add_f32_e32 v55, -1.0, v64
	s_delay_alu instid0(VALU_DEP_2) | instskip(NEXT) | instid1(VALU_DEP_2)
	v_ldexp_f32 v29, v29, v54
	v_dual_add_f32 v54, -1.0, v53 :: v_dual_sub_f32 v55, v53, v55
	s_delay_alu instid0(VALU_DEP_1) | instskip(NEXT) | instid1(VALU_DEP_2)
	v_add_f32_e32 v65, 1.0, v54
	v_add_f32_e32 v55, v29, v55
	s_delay_alu instid0(VALU_DEP_2) | instskip(NEXT) | instid1(VALU_DEP_2)
	v_sub_f32_e32 v53, v53, v65
	v_add_f32_e32 v65, v64, v55
	s_delay_alu instid0(VALU_DEP_2) | instskip(NEXT) | instid1(VALU_DEP_2)
	v_add_f32_e32 v29, v29, v53
	v_rcp_f32_e32 v53, v65
	v_sub_f32_e32 v64, v64, v65
	s_delay_alu instid0(VALU_DEP_1) | instskip(NEXT) | instid1(VALU_DEP_1)
	v_dual_add_f32 v66, v54, v29 :: v_dual_add_f32 v55, v55, v64
	v_sub_f32_e32 v54, v54, v66
	s_waitcnt_depctr 0xfff
	v_mul_f32_e32 v67, v66, v53
	v_add_f32_e32 v29, v29, v54
	s_delay_alu instid0(VALU_DEP_2) | instskip(NEXT) | instid1(VALU_DEP_1)
	v_mul_f32_e32 v68, v65, v67
	v_fma_f32 v64, v67, v65, -v68
	s_delay_alu instid0(VALU_DEP_1) | instskip(NEXT) | instid1(VALU_DEP_1)
	v_fmac_f32_e32 v64, v67, v55
	v_add_f32_e32 v69, v68, v64
	s_delay_alu instid0(VALU_DEP_1) | instskip(SKIP_1) | instid1(VALU_DEP_2)
	v_sub_f32_e32 v70, v66, v69
	v_sub_f32_e32 v54, v69, v68
	v_sub_f32_e32 v66, v66, v70
	s_delay_alu instid0(VALU_DEP_2) | instskip(NEXT) | instid1(VALU_DEP_2)
	v_sub_f32_e32 v54, v54, v64
	v_sub_f32_e32 v66, v66, v69
	s_delay_alu instid0(VALU_DEP_1) | instskip(NEXT) | instid1(VALU_DEP_1)
	v_add_f32_e32 v29, v29, v66
	v_add_f32_e32 v29, v54, v29
	s_delay_alu instid0(VALU_DEP_1) | instskip(NEXT) | instid1(VALU_DEP_1)
	v_add_f32_e32 v54, v70, v29
	v_mul_f32_e32 v64, v53, v54
	s_delay_alu instid0(VALU_DEP_1) | instskip(NEXT) | instid1(VALU_DEP_1)
	v_dual_sub_f32 v69, v70, v54 :: v_dual_mul_f32 v66, v65, v64
	v_add_f32_e32 v29, v29, v69
	s_delay_alu instid0(VALU_DEP_2) | instskip(NEXT) | instid1(VALU_DEP_1)
	v_fma_f32 v65, v64, v65, -v66
	v_fmac_f32_e32 v65, v64, v55
	s_delay_alu instid0(VALU_DEP_1) | instskip(NEXT) | instid1(VALU_DEP_1)
	v_add_f32_e32 v55, v66, v65
	v_sub_f32_e32 v68, v54, v55
	v_sub_f32_e32 v66, v55, v66
	s_delay_alu instid0(VALU_DEP_2) | instskip(NEXT) | instid1(VALU_DEP_1)
	v_sub_f32_e32 v54, v54, v68
	v_sub_f32_e32 v54, v54, v55
	s_delay_alu instid0(VALU_DEP_3) | instskip(NEXT) | instid1(VALU_DEP_2)
	v_sub_f32_e32 v55, v66, v65
	v_dual_add_f32 v29, v29, v54 :: v_dual_add_f32 v54, v67, v64
	s_delay_alu instid0(VALU_DEP_1) | instskip(NEXT) | instid1(VALU_DEP_2)
	v_add_f32_e32 v29, v55, v29
	v_sub_f32_e32 v55, v54, v67
	s_delay_alu instid0(VALU_DEP_2) | instskip(NEXT) | instid1(VALU_DEP_2)
	v_add_f32_e32 v29, v68, v29
	v_sub_f32_e32 v55, v64, v55
	s_delay_alu instid0(VALU_DEP_2) | instskip(NEXT) | instid1(VALU_DEP_1)
	v_mul_f32_e32 v29, v53, v29
	v_add_f32_e32 v29, v55, v29
	s_delay_alu instid0(VALU_DEP_1) | instskip(NEXT) | instid1(VALU_DEP_1)
	v_add_f32_e32 v53, v54, v29
	v_mul_f32_e32 v55, v53, v53
	s_delay_alu instid0(VALU_DEP_1) | instskip(SKIP_2) | instid1(VALU_DEP_3)
	v_fmaak_f32 v64, s11, v55, 0x3ecc95a3
	v_mul_f32_e32 v65, v53, v55
	v_cmp_eq_f32_e64 s11, 0x7f800000, v52
	v_fmaak_f32 v55, v55, v64, 0x3f2aaada
	v_ldexp_f32 v64, v53, 1
	v_sub_f32_e32 v53, v53, v54
	s_delay_alu instid0(VALU_DEP_4) | instskip(NEXT) | instid1(VALU_DEP_3)
	s_or_b32 s11, s11, s13
	v_mul_f32_e32 v55, v65, v55
	v_mul_f32_e32 v65, 0x3f317218, v28
	s_delay_alu instid0(VALU_DEP_2) | instskip(NEXT) | instid1(VALU_DEP_1)
	v_dual_sub_f32 v29, v29, v53 :: v_dual_add_f32 v54, v64, v55
	v_ldexp_f32 v29, v29, 1
	s_delay_alu instid0(VALU_DEP_2) | instskip(NEXT) | instid1(VALU_DEP_4)
	v_sub_f32_e32 v53, v54, v64
	v_fma_f32 v64, 0x3f317218, v28, -v65
	s_delay_alu instid0(VALU_DEP_1) | instskip(NEXT) | instid1(VALU_DEP_1)
	v_dual_sub_f32 v53, v55, v53 :: v_dual_fmamk_f32 v28, v28, 0xb102e308, v64
	v_add_f32_e32 v29, v29, v53
	s_delay_alu instid0(VALU_DEP_2) | instskip(NEXT) | instid1(VALU_DEP_2)
	v_add_f32_e32 v53, v65, v28
	v_add_f32_e32 v55, v54, v29
	s_delay_alu instid0(VALU_DEP_2) | instskip(NEXT) | instid1(VALU_DEP_2)
	v_sub_f32_e32 v65, v53, v65
	v_add_f32_e32 v64, v53, v55
	v_sub_f32_e32 v54, v55, v54
	s_delay_alu instid0(VALU_DEP_3) | instskip(NEXT) | instid1(VALU_DEP_2)
	v_sub_f32_e32 v28, v28, v65
	v_dual_sub_f32 v66, v64, v53 :: v_dual_sub_f32 v29, v29, v54
	s_delay_alu instid0(VALU_DEP_1) | instskip(NEXT) | instid1(VALU_DEP_2)
	v_sub_f32_e32 v67, v64, v66
	v_dual_sub_f32 v54, v55, v66 :: v_dual_add_f32 v55, v28, v29
	s_delay_alu instid0(VALU_DEP_2) | instskip(NEXT) | instid1(VALU_DEP_1)
	v_sub_f32_e32 v53, v53, v67
	v_dual_add_f32 v53, v54, v53 :: v_dual_sub_f32 v54, v55, v28
	s_delay_alu instid0(VALU_DEP_1) | instskip(NEXT) | instid1(VALU_DEP_2)
	v_add_f32_e32 v53, v55, v53
	v_sub_f32_e32 v55, v55, v54
	v_sub_f32_e32 v29, v29, v54
	s_delay_alu instid0(VALU_DEP_3) | instskip(NEXT) | instid1(VALU_DEP_3)
	v_add_f32_e32 v65, v64, v53
	v_sub_f32_e32 v28, v28, v55
	s_delay_alu instid0(VALU_DEP_2) | instskip(NEXT) | instid1(VALU_DEP_2)
	v_sub_f32_e32 v54, v65, v64
	v_add_f32_e32 v28, v29, v28
	s_delay_alu instid0(VALU_DEP_2) | instskip(NEXT) | instid1(VALU_DEP_1)
	v_sub_f32_e32 v29, v53, v54
	v_add_f32_e32 v28, v28, v29
	s_delay_alu instid0(VALU_DEP_1) | instskip(NEXT) | instid1(VALU_DEP_1)
	v_add_f32_e32 v28, v65, v28
	v_cndmask_b32_e64 v28, v28, v52, s11
	s_delay_alu instid0(VALU_DEP_1) | instskip(NEXT) | instid1(VALU_DEP_1)
	v_add_f32_e32 v23, v23, v28
	v_cvt_f16_f32_e32 v29, v23
	s_delay_alu instid0(VALU_DEP_1)
	v_mov_b32_e32 v28, v29
	v_cvt_f32_f16_e32 v54, v29
.LBB362_258:
	s_or_b32 exec_lo, exec_lo, s12
	v_cvt_f32_f16_e32 v23, v49
	s_delay_alu instid0(VALU_DEP_2) | instskip(SKIP_1) | instid1(VALU_DEP_2)
	v_max_f32_e32 v52, v54, v54
	v_cmp_u_f16_e64 s11, v29, v29
	v_min_f32_e32 v53, v52, v23
	v_max_f32_e32 v52, v52, v23
	s_delay_alu instid0(VALU_DEP_2) | instskip(NEXT) | instid1(VALU_DEP_2)
	v_cndmask_b32_e64 v53, v53, v54, s11
	v_cndmask_b32_e64 v55, v52, v54, s11
	v_cmp_u_f16_e64 s11, v49, v49
	s_delay_alu instid0(VALU_DEP_1) | instskip(NEXT) | instid1(VALU_DEP_3)
	v_cndmask_b32_e64 v52, v53, v23, s11
	v_cndmask_b32_e64 v49, v55, v23, s11
	s_delay_alu instid0(VALU_DEP_2) | instskip(NEXT) | instid1(VALU_DEP_2)
	v_cmp_class_f32_e64 s13, v52, 0x1f8
	v_cmp_neq_f32_e64 s12, v52, v49
	s_delay_alu instid0(VALU_DEP_1) | instskip(NEXT) | instid1(SALU_CYCLE_1)
	s_or_b32 s12, s12, s13
	s_and_saveexec_b32 s13, s12
	s_cbranch_execz .LBB362_260
; %bb.259:
	v_sub_f32_e32 v28, v52, v49
	s_delay_alu instid0(VALU_DEP_1) | instskip(NEXT) | instid1(VALU_DEP_1)
	v_mul_f32_e32 v29, 0x3fb8aa3b, v28
	v_fma_f32 v52, 0x3fb8aa3b, v28, -v29
	v_rndne_f32_e32 v53, v29
	s_delay_alu instid0(VALU_DEP_1) | instskip(NEXT) | instid1(VALU_DEP_1)
	v_dual_fmamk_f32 v52, v28, 0x32a5705f, v52 :: v_dual_sub_f32 v29, v29, v53
	v_add_f32_e32 v29, v29, v52
	v_cvt_i32_f32_e32 v52, v53
	v_cmp_ngt_f32_e64 s12, 0xc2ce8ed0, v28
	s_delay_alu instid0(VALU_DEP_3) | instskip(SKIP_2) | instid1(VALU_DEP_1)
	v_exp_f32_e32 v29, v29
	s_waitcnt_depctr 0xfff
	v_ldexp_f32 v29, v29, v52
	v_cndmask_b32_e64 v29, 0, v29, s12
	v_cmp_nlt_f32_e64 s12, 0x42b17218, v28
	s_delay_alu instid0(VALU_DEP_1) | instskip(NEXT) | instid1(VALU_DEP_1)
	v_cndmask_b32_e64 v52, 0x7f800000, v29, s12
	v_add_f32_e32 v53, 1.0, v52
	v_cmp_gt_f32_e64 s14, 0x33800000, |v52|
	s_delay_alu instid0(VALU_DEP_2) | instskip(NEXT) | instid1(VALU_DEP_1)
	v_cvt_f64_f32_e32 v[28:29], v53
	v_frexp_exp_i32_f64_e32 v28, v[28:29]
	v_frexp_mant_f32_e32 v29, v53
	s_delay_alu instid0(VALU_DEP_1) | instskip(SKIP_1) | instid1(VALU_DEP_1)
	v_cmp_gt_f32_e64 s12, 0x3f2aaaab, v29
	v_add_f32_e32 v29, -1.0, v53
	v_sub_f32_e32 v55, v29, v53
	v_sub_f32_e32 v29, v52, v29
	s_delay_alu instid0(VALU_DEP_4) | instskip(SKIP_1) | instid1(VALU_DEP_1)
	v_subrev_co_ci_u32_e64 v28, s12, 0, v28, s12
	s_mov_b32 s12, 0x3e9b6dac
	v_sub_nc_u32_e32 v54, 0, v28
	v_cvt_f32_i32_e32 v28, v28
	s_delay_alu instid0(VALU_DEP_2) | instskip(NEXT) | instid1(VALU_DEP_1)
	v_ldexp_f32 v53, v53, v54
	v_dual_add_f32 v55, 1.0, v55 :: v_dual_add_f32 v64, 1.0, v53
	s_delay_alu instid0(VALU_DEP_1) | instskip(NEXT) | instid1(VALU_DEP_2)
	v_add_f32_e32 v29, v29, v55
	v_add_f32_e32 v55, -1.0, v64
	s_delay_alu instid0(VALU_DEP_2) | instskip(NEXT) | instid1(VALU_DEP_2)
	v_ldexp_f32 v29, v29, v54
	v_dual_add_f32 v54, -1.0, v53 :: v_dual_sub_f32 v55, v53, v55
	s_delay_alu instid0(VALU_DEP_1) | instskip(NEXT) | instid1(VALU_DEP_2)
	v_add_f32_e32 v65, 1.0, v54
	v_add_f32_e32 v55, v29, v55
	s_delay_alu instid0(VALU_DEP_2) | instskip(NEXT) | instid1(VALU_DEP_2)
	v_sub_f32_e32 v53, v53, v65
	v_add_f32_e32 v65, v64, v55
	s_delay_alu instid0(VALU_DEP_2) | instskip(NEXT) | instid1(VALU_DEP_2)
	v_add_f32_e32 v29, v29, v53
	v_rcp_f32_e32 v53, v65
	v_sub_f32_e32 v64, v64, v65
	s_delay_alu instid0(VALU_DEP_1) | instskip(NEXT) | instid1(VALU_DEP_1)
	v_dual_add_f32 v66, v54, v29 :: v_dual_add_f32 v55, v55, v64
	v_sub_f32_e32 v54, v54, v66
	s_waitcnt_depctr 0xfff
	v_mul_f32_e32 v67, v66, v53
	v_add_f32_e32 v29, v29, v54
	s_delay_alu instid0(VALU_DEP_2) | instskip(NEXT) | instid1(VALU_DEP_1)
	v_mul_f32_e32 v68, v65, v67
	v_fma_f32 v64, v67, v65, -v68
	s_delay_alu instid0(VALU_DEP_1) | instskip(NEXT) | instid1(VALU_DEP_1)
	v_fmac_f32_e32 v64, v67, v55
	v_add_f32_e32 v69, v68, v64
	s_delay_alu instid0(VALU_DEP_1) | instskip(SKIP_1) | instid1(VALU_DEP_2)
	v_sub_f32_e32 v70, v66, v69
	v_sub_f32_e32 v54, v69, v68
	;; [unrolled: 1-line block ×3, first 2 shown]
	s_delay_alu instid0(VALU_DEP_2) | instskip(NEXT) | instid1(VALU_DEP_2)
	v_sub_f32_e32 v54, v54, v64
	v_sub_f32_e32 v66, v66, v69
	s_delay_alu instid0(VALU_DEP_1) | instskip(NEXT) | instid1(VALU_DEP_1)
	v_add_f32_e32 v29, v29, v66
	v_add_f32_e32 v29, v54, v29
	s_delay_alu instid0(VALU_DEP_1) | instskip(NEXT) | instid1(VALU_DEP_1)
	v_add_f32_e32 v54, v70, v29
	v_mul_f32_e32 v64, v53, v54
	s_delay_alu instid0(VALU_DEP_1) | instskip(NEXT) | instid1(VALU_DEP_1)
	v_dual_sub_f32 v69, v70, v54 :: v_dual_mul_f32 v66, v65, v64
	v_add_f32_e32 v29, v29, v69
	s_delay_alu instid0(VALU_DEP_2) | instskip(NEXT) | instid1(VALU_DEP_1)
	v_fma_f32 v65, v64, v65, -v66
	v_fmac_f32_e32 v65, v64, v55
	s_delay_alu instid0(VALU_DEP_1) | instskip(NEXT) | instid1(VALU_DEP_1)
	v_add_f32_e32 v55, v66, v65
	v_sub_f32_e32 v68, v54, v55
	v_sub_f32_e32 v66, v55, v66
	s_delay_alu instid0(VALU_DEP_2) | instskip(NEXT) | instid1(VALU_DEP_1)
	v_sub_f32_e32 v54, v54, v68
	v_sub_f32_e32 v54, v54, v55
	s_delay_alu instid0(VALU_DEP_1) | instskip(NEXT) | instid1(VALU_DEP_4)
	v_dual_add_f32 v29, v29, v54 :: v_dual_add_f32 v54, v67, v64
	v_sub_f32_e32 v55, v66, v65
	s_delay_alu instid0(VALU_DEP_1) | instskip(NEXT) | instid1(VALU_DEP_3)
	v_add_f32_e32 v29, v55, v29
	v_sub_f32_e32 v55, v54, v67
	s_delay_alu instid0(VALU_DEP_2) | instskip(NEXT) | instid1(VALU_DEP_2)
	v_add_f32_e32 v29, v68, v29
	v_sub_f32_e32 v55, v64, v55
	s_delay_alu instid0(VALU_DEP_2) | instskip(NEXT) | instid1(VALU_DEP_1)
	v_mul_f32_e32 v29, v53, v29
	v_add_f32_e32 v29, v55, v29
	s_delay_alu instid0(VALU_DEP_1) | instskip(NEXT) | instid1(VALU_DEP_1)
	v_add_f32_e32 v53, v54, v29
	v_mul_f32_e32 v55, v53, v53
	s_delay_alu instid0(VALU_DEP_1) | instskip(SKIP_2) | instid1(VALU_DEP_3)
	v_fmaak_f32 v64, s12, v55, 0x3ecc95a3
	v_mul_f32_e32 v65, v53, v55
	v_cmp_eq_f32_e64 s12, 0x7f800000, v52
	v_fmaak_f32 v55, v55, v64, 0x3f2aaada
	v_ldexp_f32 v64, v53, 1
	v_sub_f32_e32 v53, v53, v54
	s_delay_alu instid0(VALU_DEP_4) | instskip(NEXT) | instid1(VALU_DEP_3)
	s_or_b32 s12, s12, s14
	v_mul_f32_e32 v55, v65, v55
	v_mul_f32_e32 v65, 0x3f317218, v28
	s_delay_alu instid0(VALU_DEP_2) | instskip(NEXT) | instid1(VALU_DEP_1)
	v_dual_sub_f32 v29, v29, v53 :: v_dual_add_f32 v54, v64, v55
	v_ldexp_f32 v29, v29, 1
	s_delay_alu instid0(VALU_DEP_2) | instskip(NEXT) | instid1(VALU_DEP_4)
	v_sub_f32_e32 v53, v54, v64
	v_fma_f32 v64, 0x3f317218, v28, -v65
	s_delay_alu instid0(VALU_DEP_1) | instskip(NEXT) | instid1(VALU_DEP_1)
	v_dual_sub_f32 v53, v55, v53 :: v_dual_fmamk_f32 v28, v28, 0xb102e308, v64
	v_add_f32_e32 v29, v29, v53
	s_delay_alu instid0(VALU_DEP_2) | instskip(NEXT) | instid1(VALU_DEP_2)
	v_add_f32_e32 v53, v65, v28
	v_add_f32_e32 v55, v54, v29
	s_delay_alu instid0(VALU_DEP_2) | instskip(NEXT) | instid1(VALU_DEP_2)
	v_sub_f32_e32 v65, v53, v65
	v_add_f32_e32 v64, v53, v55
	v_sub_f32_e32 v54, v55, v54
	s_delay_alu instid0(VALU_DEP_3) | instskip(NEXT) | instid1(VALU_DEP_2)
	v_sub_f32_e32 v28, v28, v65
	v_dual_sub_f32 v66, v64, v53 :: v_dual_sub_f32 v29, v29, v54
	s_delay_alu instid0(VALU_DEP_1) | instskip(NEXT) | instid1(VALU_DEP_2)
	v_sub_f32_e32 v67, v64, v66
	v_dual_sub_f32 v54, v55, v66 :: v_dual_add_f32 v55, v28, v29
	s_delay_alu instid0(VALU_DEP_2) | instskip(NEXT) | instid1(VALU_DEP_1)
	v_sub_f32_e32 v53, v53, v67
	v_dual_add_f32 v53, v54, v53 :: v_dual_sub_f32 v54, v55, v28
	s_delay_alu instid0(VALU_DEP_1) | instskip(NEXT) | instid1(VALU_DEP_2)
	v_add_f32_e32 v53, v55, v53
	v_sub_f32_e32 v55, v55, v54
	v_sub_f32_e32 v29, v29, v54
	s_delay_alu instid0(VALU_DEP_3) | instskip(NEXT) | instid1(VALU_DEP_3)
	v_add_f32_e32 v65, v64, v53
	v_sub_f32_e32 v28, v28, v55
	s_delay_alu instid0(VALU_DEP_2) | instskip(NEXT) | instid1(VALU_DEP_2)
	v_sub_f32_e32 v54, v65, v64
	v_add_f32_e32 v28, v29, v28
	s_delay_alu instid0(VALU_DEP_2) | instskip(NEXT) | instid1(VALU_DEP_1)
	v_sub_f32_e32 v29, v53, v54
	v_add_f32_e32 v28, v28, v29
	s_delay_alu instid0(VALU_DEP_1) | instskip(NEXT) | instid1(VALU_DEP_1)
	v_add_f32_e32 v28, v65, v28
	v_cndmask_b32_e64 v28, v28, v52, s12
	s_delay_alu instid0(VALU_DEP_1) | instskip(NEXT) | instid1(VALU_DEP_1)
	v_add_f32_e32 v28, v49, v28
	v_cvt_f16_f32_e32 v29, v28
	s_delay_alu instid0(VALU_DEP_1)
	v_cvt_f32_f16_e32 v54, v29
	v_mov_b32_e32 v28, v29
.LBB362_260:
	s_or_b32 exec_lo, exec_lo, s13
	v_cvt_f32_f16_e32 v49, v20
	s_delay_alu instid0(VALU_DEP_3) | instskip(SKIP_1) | instid1(VALU_DEP_2)
	v_max_f32_e32 v52, v54, v54
	v_cmp_u_f16_e64 s12, v29, v29
	v_min_f32_e32 v53, v52, v49
	v_max_f32_e32 v52, v52, v49
	s_delay_alu instid0(VALU_DEP_2) | instskip(NEXT) | instid1(VALU_DEP_2)
	v_cndmask_b32_e64 v53, v53, v54, s12
	v_cndmask_b32_e64 v55, v52, v54, s12
	v_cmp_u_f16_e64 s12, v20, v20
	s_delay_alu instid0(VALU_DEP_1) | instskip(NEXT) | instid1(VALU_DEP_3)
	v_cndmask_b32_e64 v52, v53, v49, s12
	v_cndmask_b32_e64 v20, v55, v49, s12
	s_delay_alu instid0(VALU_DEP_2) | instskip(NEXT) | instid1(VALU_DEP_2)
	v_cmp_class_f32_e64 s14, v52, 0x1f8
	v_cmp_neq_f32_e64 s13, v52, v20
	s_delay_alu instid0(VALU_DEP_1) | instskip(NEXT) | instid1(SALU_CYCLE_1)
	s_or_b32 s13, s13, s14
	s_and_saveexec_b32 s14, s13
	s_cbranch_execz .LBB362_262
; %bb.261:
	v_sub_f32_e32 v28, v52, v20
	s_delay_alu instid0(VALU_DEP_1) | instskip(NEXT) | instid1(VALU_DEP_1)
	v_mul_f32_e32 v29, 0x3fb8aa3b, v28
	v_fma_f32 v52, 0x3fb8aa3b, v28, -v29
	v_rndne_f32_e32 v53, v29
	s_delay_alu instid0(VALU_DEP_1) | instskip(SKIP_1) | instid1(VALU_DEP_2)
	v_dual_sub_f32 v29, v29, v53 :: v_dual_fmamk_f32 v52, v28, 0x32a5705f, v52
	v_cmp_ngt_f32_e64 s13, 0xc2ce8ed0, v28
	v_add_f32_e32 v29, v29, v52
	v_cvt_i32_f32_e32 v52, v53
	s_delay_alu instid0(VALU_DEP_2) | instskip(SKIP_2) | instid1(VALU_DEP_1)
	v_exp_f32_e32 v29, v29
	s_waitcnt_depctr 0xfff
	v_ldexp_f32 v29, v29, v52
	v_cndmask_b32_e64 v29, 0, v29, s13
	v_cmp_nlt_f32_e64 s13, 0x42b17218, v28
	s_delay_alu instid0(VALU_DEP_1) | instskip(NEXT) | instid1(VALU_DEP_1)
	v_cndmask_b32_e64 v52, 0x7f800000, v29, s13
	v_add_f32_e32 v53, 1.0, v52
	v_cmp_gt_f32_e64 s15, 0x33800000, |v52|
	s_delay_alu instid0(VALU_DEP_2) | instskip(NEXT) | instid1(VALU_DEP_1)
	v_cvt_f64_f32_e32 v[28:29], v53
	v_frexp_exp_i32_f64_e32 v28, v[28:29]
	v_frexp_mant_f32_e32 v29, v53
	s_delay_alu instid0(VALU_DEP_1) | instskip(SKIP_1) | instid1(VALU_DEP_1)
	v_cmp_gt_f32_e64 s13, 0x3f2aaaab, v29
	v_add_f32_e32 v29, -1.0, v53
	v_sub_f32_e32 v55, v29, v53
	v_sub_f32_e32 v29, v52, v29
	s_delay_alu instid0(VALU_DEP_4) | instskip(SKIP_1) | instid1(VALU_DEP_1)
	v_subrev_co_ci_u32_e64 v28, s13, 0, v28, s13
	s_mov_b32 s13, 0x3e9b6dac
	v_sub_nc_u32_e32 v54, 0, v28
	v_cvt_f32_i32_e32 v28, v28
	s_delay_alu instid0(VALU_DEP_2) | instskip(NEXT) | instid1(VALU_DEP_1)
	v_ldexp_f32 v53, v53, v54
	v_dual_add_f32 v64, 1.0, v53 :: v_dual_add_f32 v55, 1.0, v55
	s_delay_alu instid0(VALU_DEP_1) | instskip(NEXT) | instid1(VALU_DEP_2)
	v_add_f32_e32 v29, v29, v55
	v_add_f32_e32 v55, -1.0, v64
	s_delay_alu instid0(VALU_DEP_2) | instskip(NEXT) | instid1(VALU_DEP_2)
	v_ldexp_f32 v29, v29, v54
	v_dual_add_f32 v54, -1.0, v53 :: v_dual_sub_f32 v55, v53, v55
	s_delay_alu instid0(VALU_DEP_1) | instskip(NEXT) | instid1(VALU_DEP_2)
	v_add_f32_e32 v65, 1.0, v54
	v_add_f32_e32 v55, v29, v55
	s_delay_alu instid0(VALU_DEP_2) | instskip(NEXT) | instid1(VALU_DEP_2)
	v_sub_f32_e32 v53, v53, v65
	v_add_f32_e32 v65, v64, v55
	s_delay_alu instid0(VALU_DEP_2) | instskip(NEXT) | instid1(VALU_DEP_2)
	v_add_f32_e32 v29, v29, v53
	v_rcp_f32_e32 v53, v65
	v_sub_f32_e32 v64, v64, v65
	s_delay_alu instid0(VALU_DEP_1) | instskip(NEXT) | instid1(VALU_DEP_1)
	v_dual_add_f32 v66, v54, v29 :: v_dual_add_f32 v55, v55, v64
	v_sub_f32_e32 v54, v54, v66
	s_waitcnt_depctr 0xfff
	v_mul_f32_e32 v67, v66, v53
	v_add_f32_e32 v29, v29, v54
	s_delay_alu instid0(VALU_DEP_2) | instskip(NEXT) | instid1(VALU_DEP_1)
	v_mul_f32_e32 v68, v65, v67
	v_fma_f32 v64, v67, v65, -v68
	s_delay_alu instid0(VALU_DEP_1) | instskip(NEXT) | instid1(VALU_DEP_1)
	v_fmac_f32_e32 v64, v67, v55
	v_add_f32_e32 v69, v68, v64
	s_delay_alu instid0(VALU_DEP_1) | instskip(SKIP_1) | instid1(VALU_DEP_2)
	v_sub_f32_e32 v70, v66, v69
	v_sub_f32_e32 v54, v69, v68
	;; [unrolled: 1-line block ×3, first 2 shown]
	s_delay_alu instid0(VALU_DEP_2) | instskip(NEXT) | instid1(VALU_DEP_2)
	v_sub_f32_e32 v54, v54, v64
	v_sub_f32_e32 v66, v66, v69
	s_delay_alu instid0(VALU_DEP_1) | instskip(NEXT) | instid1(VALU_DEP_1)
	v_add_f32_e32 v29, v29, v66
	v_add_f32_e32 v29, v54, v29
	s_delay_alu instid0(VALU_DEP_1) | instskip(NEXT) | instid1(VALU_DEP_1)
	v_add_f32_e32 v54, v70, v29
	v_mul_f32_e32 v64, v53, v54
	s_delay_alu instid0(VALU_DEP_1) | instskip(NEXT) | instid1(VALU_DEP_1)
	v_dual_sub_f32 v69, v70, v54 :: v_dual_mul_f32 v66, v65, v64
	v_add_f32_e32 v29, v29, v69
	s_delay_alu instid0(VALU_DEP_2) | instskip(NEXT) | instid1(VALU_DEP_1)
	v_fma_f32 v65, v64, v65, -v66
	v_fmac_f32_e32 v65, v64, v55
	s_delay_alu instid0(VALU_DEP_1) | instskip(NEXT) | instid1(VALU_DEP_1)
	v_add_f32_e32 v55, v66, v65
	v_sub_f32_e32 v68, v54, v55
	v_sub_f32_e32 v66, v55, v66
	s_delay_alu instid0(VALU_DEP_2) | instskip(NEXT) | instid1(VALU_DEP_1)
	v_sub_f32_e32 v54, v54, v68
	v_sub_f32_e32 v54, v54, v55
	s_delay_alu instid0(VALU_DEP_3) | instskip(NEXT) | instid1(VALU_DEP_2)
	v_sub_f32_e32 v55, v66, v65
	v_dual_add_f32 v29, v29, v54 :: v_dual_add_f32 v54, v67, v64
	s_delay_alu instid0(VALU_DEP_1) | instskip(NEXT) | instid1(VALU_DEP_2)
	v_add_f32_e32 v29, v55, v29
	v_sub_f32_e32 v55, v54, v67
	s_delay_alu instid0(VALU_DEP_2) | instskip(NEXT) | instid1(VALU_DEP_2)
	v_add_f32_e32 v29, v68, v29
	v_sub_f32_e32 v55, v64, v55
	s_delay_alu instid0(VALU_DEP_2) | instskip(NEXT) | instid1(VALU_DEP_1)
	v_mul_f32_e32 v29, v53, v29
	v_add_f32_e32 v29, v55, v29
	s_delay_alu instid0(VALU_DEP_1) | instskip(NEXT) | instid1(VALU_DEP_1)
	v_add_f32_e32 v53, v54, v29
	v_mul_f32_e32 v55, v53, v53
	s_delay_alu instid0(VALU_DEP_1) | instskip(SKIP_2) | instid1(VALU_DEP_3)
	v_fmaak_f32 v64, s13, v55, 0x3ecc95a3
	v_mul_f32_e32 v65, v53, v55
	v_cmp_eq_f32_e64 s13, 0x7f800000, v52
	v_fmaak_f32 v55, v55, v64, 0x3f2aaada
	v_ldexp_f32 v64, v53, 1
	v_sub_f32_e32 v53, v53, v54
	s_delay_alu instid0(VALU_DEP_4) | instskip(NEXT) | instid1(VALU_DEP_3)
	s_or_b32 s13, s13, s15
	v_mul_f32_e32 v55, v65, v55
	v_mul_f32_e32 v65, 0x3f317218, v28
	s_delay_alu instid0(VALU_DEP_2) | instskip(NEXT) | instid1(VALU_DEP_1)
	v_dual_sub_f32 v29, v29, v53 :: v_dual_add_f32 v54, v64, v55
	v_ldexp_f32 v29, v29, 1
	s_delay_alu instid0(VALU_DEP_2) | instskip(NEXT) | instid1(VALU_DEP_4)
	v_sub_f32_e32 v53, v54, v64
	v_fma_f32 v64, 0x3f317218, v28, -v65
	s_delay_alu instid0(VALU_DEP_1) | instskip(NEXT) | instid1(VALU_DEP_1)
	v_dual_sub_f32 v53, v55, v53 :: v_dual_fmamk_f32 v28, v28, 0xb102e308, v64
	v_add_f32_e32 v29, v29, v53
	s_delay_alu instid0(VALU_DEP_2) | instskip(NEXT) | instid1(VALU_DEP_2)
	v_add_f32_e32 v53, v65, v28
	v_add_f32_e32 v55, v54, v29
	s_delay_alu instid0(VALU_DEP_2) | instskip(NEXT) | instid1(VALU_DEP_2)
	v_sub_f32_e32 v65, v53, v65
	v_add_f32_e32 v64, v53, v55
	v_sub_f32_e32 v54, v55, v54
	s_delay_alu instid0(VALU_DEP_3) | instskip(NEXT) | instid1(VALU_DEP_2)
	v_sub_f32_e32 v28, v28, v65
	v_dual_sub_f32 v66, v64, v53 :: v_dual_sub_f32 v29, v29, v54
	s_delay_alu instid0(VALU_DEP_1) | instskip(NEXT) | instid1(VALU_DEP_2)
	v_sub_f32_e32 v67, v64, v66
	v_dual_sub_f32 v54, v55, v66 :: v_dual_add_f32 v55, v28, v29
	s_delay_alu instid0(VALU_DEP_2) | instskip(NEXT) | instid1(VALU_DEP_1)
	v_sub_f32_e32 v53, v53, v67
	v_dual_add_f32 v53, v54, v53 :: v_dual_sub_f32 v54, v55, v28
	s_delay_alu instid0(VALU_DEP_1) | instskip(NEXT) | instid1(VALU_DEP_2)
	v_add_f32_e32 v53, v55, v53
	v_sub_f32_e32 v55, v55, v54
	v_sub_f32_e32 v29, v29, v54
	s_delay_alu instid0(VALU_DEP_3) | instskip(NEXT) | instid1(VALU_DEP_3)
	v_add_f32_e32 v65, v64, v53
	v_sub_f32_e32 v28, v28, v55
	s_delay_alu instid0(VALU_DEP_2) | instskip(NEXT) | instid1(VALU_DEP_2)
	v_sub_f32_e32 v54, v65, v64
	v_add_f32_e32 v28, v29, v28
	s_delay_alu instid0(VALU_DEP_2) | instskip(NEXT) | instid1(VALU_DEP_1)
	v_sub_f32_e32 v29, v53, v54
	v_add_f32_e32 v28, v28, v29
	s_delay_alu instid0(VALU_DEP_1) | instskip(NEXT) | instid1(VALU_DEP_1)
	v_add_f32_e32 v28, v65, v28
	v_cndmask_b32_e64 v28, v28, v52, s13
	s_delay_alu instid0(VALU_DEP_1) | instskip(NEXT) | instid1(VALU_DEP_1)
	v_add_f32_e32 v20, v20, v28
	v_cvt_f16_f32_e32 v29, v20
	s_delay_alu instid0(VALU_DEP_1)
	v_mov_b32_e32 v28, v29
	v_cvt_f32_f16_e32 v54, v29
.LBB362_262:
	s_or_b32 exec_lo, exec_lo, s14
	v_cvt_f32_f16_e32 v20, v48
	s_delay_alu instid0(VALU_DEP_2) | instskip(SKIP_1) | instid1(VALU_DEP_2)
	v_max_f32_e32 v52, v54, v54
	v_cmp_u_f16_e64 s13, v29, v29
	v_min_f32_e32 v53, v52, v20
	v_max_f32_e32 v52, v52, v20
	s_delay_alu instid0(VALU_DEP_2) | instskip(NEXT) | instid1(VALU_DEP_2)
	v_cndmask_b32_e64 v53, v53, v54, s13
	v_cndmask_b32_e64 v55, v52, v54, s13
	v_cmp_u_f16_e64 s13, v48, v48
	s_delay_alu instid0(VALU_DEP_1) | instskip(NEXT) | instid1(VALU_DEP_3)
	v_cndmask_b32_e64 v52, v53, v20, s13
	v_cndmask_b32_e64 v48, v55, v20, s13
	s_delay_alu instid0(VALU_DEP_2) | instskip(NEXT) | instid1(VALU_DEP_2)
	v_cmp_class_f32_e64 s15, v52, 0x1f8
	v_cmp_neq_f32_e64 s14, v52, v48
	s_delay_alu instid0(VALU_DEP_1) | instskip(NEXT) | instid1(SALU_CYCLE_1)
	s_or_b32 s14, s14, s15
	s_and_saveexec_b32 s15, s14
	s_cbranch_execz .LBB362_264
; %bb.263:
	v_sub_f32_e32 v28, v52, v48
	s_delay_alu instid0(VALU_DEP_1) | instskip(NEXT) | instid1(VALU_DEP_1)
	v_mul_f32_e32 v29, 0x3fb8aa3b, v28
	v_fma_f32 v52, 0x3fb8aa3b, v28, -v29
	v_rndne_f32_e32 v53, v29
	s_delay_alu instid0(VALU_DEP_1) | instskip(SKIP_1) | instid1(VALU_DEP_2)
	v_dual_sub_f32 v29, v29, v53 :: v_dual_fmamk_f32 v52, v28, 0x32a5705f, v52
	v_cmp_ngt_f32_e64 s14, 0xc2ce8ed0, v28
	v_add_f32_e32 v29, v29, v52
	v_cvt_i32_f32_e32 v52, v53
	s_delay_alu instid0(VALU_DEP_2) | instskip(SKIP_2) | instid1(VALU_DEP_1)
	v_exp_f32_e32 v29, v29
	s_waitcnt_depctr 0xfff
	v_ldexp_f32 v29, v29, v52
	v_cndmask_b32_e64 v29, 0, v29, s14
	v_cmp_nlt_f32_e64 s14, 0x42b17218, v28
	s_delay_alu instid0(VALU_DEP_1) | instskip(NEXT) | instid1(VALU_DEP_1)
	v_cndmask_b32_e64 v52, 0x7f800000, v29, s14
	v_add_f32_e32 v53, 1.0, v52
	v_cmp_gt_f32_e64 s16, 0x33800000, |v52|
	s_delay_alu instid0(VALU_DEP_2) | instskip(NEXT) | instid1(VALU_DEP_1)
	v_cvt_f64_f32_e32 v[28:29], v53
	v_frexp_exp_i32_f64_e32 v28, v[28:29]
	v_frexp_mant_f32_e32 v29, v53
	s_delay_alu instid0(VALU_DEP_1) | instskip(SKIP_1) | instid1(VALU_DEP_1)
	v_cmp_gt_f32_e64 s14, 0x3f2aaaab, v29
	v_add_f32_e32 v29, -1.0, v53
	v_sub_f32_e32 v55, v29, v53
	v_sub_f32_e32 v29, v52, v29
	s_delay_alu instid0(VALU_DEP_4) | instskip(SKIP_1) | instid1(VALU_DEP_1)
	v_subrev_co_ci_u32_e64 v28, s14, 0, v28, s14
	s_mov_b32 s14, 0x3e9b6dac
	v_sub_nc_u32_e32 v54, 0, v28
	v_cvt_f32_i32_e32 v28, v28
	s_delay_alu instid0(VALU_DEP_2) | instskip(NEXT) | instid1(VALU_DEP_1)
	v_ldexp_f32 v53, v53, v54
	v_dual_add_f32 v64, 1.0, v53 :: v_dual_add_f32 v55, 1.0, v55
	s_delay_alu instid0(VALU_DEP_1) | instskip(NEXT) | instid1(VALU_DEP_2)
	v_add_f32_e32 v29, v29, v55
	v_add_f32_e32 v55, -1.0, v64
	s_delay_alu instid0(VALU_DEP_2) | instskip(NEXT) | instid1(VALU_DEP_2)
	v_ldexp_f32 v29, v29, v54
	v_dual_add_f32 v54, -1.0, v53 :: v_dual_sub_f32 v55, v53, v55
	s_delay_alu instid0(VALU_DEP_1) | instskip(NEXT) | instid1(VALU_DEP_2)
	v_add_f32_e32 v65, 1.0, v54
	v_add_f32_e32 v55, v29, v55
	s_delay_alu instid0(VALU_DEP_2) | instskip(NEXT) | instid1(VALU_DEP_2)
	v_sub_f32_e32 v53, v53, v65
	v_add_f32_e32 v65, v64, v55
	s_delay_alu instid0(VALU_DEP_2) | instskip(NEXT) | instid1(VALU_DEP_2)
	v_add_f32_e32 v29, v29, v53
	v_rcp_f32_e32 v53, v65
	v_sub_f32_e32 v64, v64, v65
	s_delay_alu instid0(VALU_DEP_1) | instskip(NEXT) | instid1(VALU_DEP_1)
	v_dual_add_f32 v66, v54, v29 :: v_dual_add_f32 v55, v55, v64
	v_sub_f32_e32 v54, v54, v66
	s_waitcnt_depctr 0xfff
	v_mul_f32_e32 v67, v66, v53
	v_add_f32_e32 v29, v29, v54
	s_delay_alu instid0(VALU_DEP_2) | instskip(NEXT) | instid1(VALU_DEP_1)
	v_mul_f32_e32 v68, v65, v67
	v_fma_f32 v64, v67, v65, -v68
	s_delay_alu instid0(VALU_DEP_1) | instskip(NEXT) | instid1(VALU_DEP_1)
	v_fmac_f32_e32 v64, v67, v55
	v_add_f32_e32 v69, v68, v64
	s_delay_alu instid0(VALU_DEP_1) | instskip(SKIP_1) | instid1(VALU_DEP_2)
	v_sub_f32_e32 v70, v66, v69
	v_sub_f32_e32 v54, v69, v68
	;; [unrolled: 1-line block ×3, first 2 shown]
	s_delay_alu instid0(VALU_DEP_2) | instskip(NEXT) | instid1(VALU_DEP_2)
	v_sub_f32_e32 v54, v54, v64
	v_sub_f32_e32 v66, v66, v69
	s_delay_alu instid0(VALU_DEP_1) | instskip(NEXT) | instid1(VALU_DEP_1)
	v_add_f32_e32 v29, v29, v66
	v_add_f32_e32 v29, v54, v29
	s_delay_alu instid0(VALU_DEP_1) | instskip(NEXT) | instid1(VALU_DEP_1)
	v_add_f32_e32 v54, v70, v29
	v_mul_f32_e32 v64, v53, v54
	s_delay_alu instid0(VALU_DEP_1) | instskip(NEXT) | instid1(VALU_DEP_1)
	v_dual_sub_f32 v69, v70, v54 :: v_dual_mul_f32 v66, v65, v64
	v_add_f32_e32 v29, v29, v69
	s_delay_alu instid0(VALU_DEP_2) | instskip(NEXT) | instid1(VALU_DEP_1)
	v_fma_f32 v65, v64, v65, -v66
	v_fmac_f32_e32 v65, v64, v55
	s_delay_alu instid0(VALU_DEP_1) | instskip(NEXT) | instid1(VALU_DEP_1)
	v_add_f32_e32 v55, v66, v65
	v_sub_f32_e32 v68, v54, v55
	v_sub_f32_e32 v66, v55, v66
	s_delay_alu instid0(VALU_DEP_2) | instskip(NEXT) | instid1(VALU_DEP_1)
	v_sub_f32_e32 v54, v54, v68
	v_sub_f32_e32 v54, v54, v55
	s_delay_alu instid0(VALU_DEP_3) | instskip(NEXT) | instid1(VALU_DEP_2)
	v_sub_f32_e32 v55, v66, v65
	v_dual_add_f32 v29, v29, v54 :: v_dual_add_f32 v54, v67, v64
	s_delay_alu instid0(VALU_DEP_1) | instskip(NEXT) | instid1(VALU_DEP_2)
	v_add_f32_e32 v29, v55, v29
	v_sub_f32_e32 v55, v54, v67
	s_delay_alu instid0(VALU_DEP_2) | instskip(NEXT) | instid1(VALU_DEP_2)
	v_add_f32_e32 v29, v68, v29
	v_sub_f32_e32 v55, v64, v55
	s_delay_alu instid0(VALU_DEP_2) | instskip(NEXT) | instid1(VALU_DEP_1)
	v_mul_f32_e32 v29, v53, v29
	v_add_f32_e32 v29, v55, v29
	s_delay_alu instid0(VALU_DEP_1) | instskip(NEXT) | instid1(VALU_DEP_1)
	v_add_f32_e32 v53, v54, v29
	v_mul_f32_e32 v55, v53, v53
	s_delay_alu instid0(VALU_DEP_1) | instskip(SKIP_2) | instid1(VALU_DEP_3)
	v_fmaak_f32 v64, s14, v55, 0x3ecc95a3
	v_mul_f32_e32 v65, v53, v55
	v_cmp_eq_f32_e64 s14, 0x7f800000, v52
	v_fmaak_f32 v55, v55, v64, 0x3f2aaada
	v_ldexp_f32 v64, v53, 1
	v_sub_f32_e32 v53, v53, v54
	s_delay_alu instid0(VALU_DEP_4) | instskip(NEXT) | instid1(VALU_DEP_3)
	s_or_b32 s14, s14, s16
	v_mul_f32_e32 v55, v65, v55
	v_mul_f32_e32 v65, 0x3f317218, v28
	s_delay_alu instid0(VALU_DEP_2) | instskip(NEXT) | instid1(VALU_DEP_1)
	v_dual_sub_f32 v29, v29, v53 :: v_dual_add_f32 v54, v64, v55
	v_ldexp_f32 v29, v29, 1
	s_delay_alu instid0(VALU_DEP_2) | instskip(NEXT) | instid1(VALU_DEP_4)
	v_sub_f32_e32 v53, v54, v64
	v_fma_f32 v64, 0x3f317218, v28, -v65
	s_delay_alu instid0(VALU_DEP_1) | instskip(NEXT) | instid1(VALU_DEP_1)
	v_dual_sub_f32 v53, v55, v53 :: v_dual_fmamk_f32 v28, v28, 0xb102e308, v64
	v_add_f32_e32 v29, v29, v53
	s_delay_alu instid0(VALU_DEP_2) | instskip(NEXT) | instid1(VALU_DEP_2)
	v_add_f32_e32 v53, v65, v28
	v_add_f32_e32 v55, v54, v29
	s_delay_alu instid0(VALU_DEP_2) | instskip(NEXT) | instid1(VALU_DEP_2)
	v_sub_f32_e32 v65, v53, v65
	v_add_f32_e32 v64, v53, v55
	v_sub_f32_e32 v54, v55, v54
	s_delay_alu instid0(VALU_DEP_3) | instskip(NEXT) | instid1(VALU_DEP_2)
	v_sub_f32_e32 v28, v28, v65
	v_dual_sub_f32 v66, v64, v53 :: v_dual_sub_f32 v29, v29, v54
	s_delay_alu instid0(VALU_DEP_1) | instskip(NEXT) | instid1(VALU_DEP_2)
	v_sub_f32_e32 v67, v64, v66
	v_dual_sub_f32 v54, v55, v66 :: v_dual_add_f32 v55, v28, v29
	s_delay_alu instid0(VALU_DEP_2) | instskip(NEXT) | instid1(VALU_DEP_1)
	v_sub_f32_e32 v53, v53, v67
	v_dual_add_f32 v53, v54, v53 :: v_dual_sub_f32 v54, v55, v28
	s_delay_alu instid0(VALU_DEP_1) | instskip(NEXT) | instid1(VALU_DEP_2)
	v_add_f32_e32 v53, v55, v53
	v_sub_f32_e32 v55, v55, v54
	v_sub_f32_e32 v29, v29, v54
	s_delay_alu instid0(VALU_DEP_3) | instskip(NEXT) | instid1(VALU_DEP_3)
	v_add_f32_e32 v65, v64, v53
	v_sub_f32_e32 v28, v28, v55
	s_delay_alu instid0(VALU_DEP_2) | instskip(NEXT) | instid1(VALU_DEP_2)
	v_sub_f32_e32 v54, v65, v64
	v_add_f32_e32 v28, v29, v28
	s_delay_alu instid0(VALU_DEP_2) | instskip(NEXT) | instid1(VALU_DEP_1)
	v_sub_f32_e32 v29, v53, v54
	v_add_f32_e32 v28, v28, v29
	s_delay_alu instid0(VALU_DEP_1) | instskip(NEXT) | instid1(VALU_DEP_1)
	v_add_f32_e32 v28, v65, v28
	v_cndmask_b32_e64 v28, v28, v52, s14
	s_delay_alu instid0(VALU_DEP_1) | instskip(NEXT) | instid1(VALU_DEP_1)
	v_add_f32_e32 v28, v48, v28
	v_cvt_f16_f32_e32 v29, v28
	s_delay_alu instid0(VALU_DEP_1)
	v_mov_b32_e32 v28, v29
	v_cvt_f32_f16_e32 v54, v29
.LBB362_264:
	s_or_b32 exec_lo, exec_lo, s15
	v_cvt_f32_f16_e32 v48, v21
	s_delay_alu instid0(VALU_DEP_2) | instskip(SKIP_1) | instid1(VALU_DEP_2)
	v_max_f32_e32 v52, v54, v54
	v_cmp_u_f16_e64 s14, v29, v29
	v_min_f32_e32 v53, v52, v48
	v_max_f32_e32 v52, v52, v48
	s_delay_alu instid0(VALU_DEP_2) | instskip(NEXT) | instid1(VALU_DEP_2)
	v_cndmask_b32_e64 v53, v53, v54, s14
	v_cndmask_b32_e64 v55, v52, v54, s14
	v_cmp_u_f16_e64 s14, v21, v21
	s_delay_alu instid0(VALU_DEP_1) | instskip(NEXT) | instid1(VALU_DEP_3)
	v_cndmask_b32_e64 v52, v53, v48, s14
	v_cndmask_b32_e64 v21, v55, v48, s14
	s_delay_alu instid0(VALU_DEP_2) | instskip(NEXT) | instid1(VALU_DEP_2)
	v_cmp_class_f32_e64 s16, v52, 0x1f8
	v_cmp_neq_f32_e64 s15, v52, v21
	s_delay_alu instid0(VALU_DEP_1) | instskip(NEXT) | instid1(SALU_CYCLE_1)
	s_or_b32 s15, s15, s16
	s_and_saveexec_b32 s16, s15
	s_cbranch_execz .LBB362_266
; %bb.265:
	v_sub_f32_e32 v28, v52, v21
	s_delay_alu instid0(VALU_DEP_1) | instskip(NEXT) | instid1(VALU_DEP_1)
	v_mul_f32_e32 v29, 0x3fb8aa3b, v28
	v_fma_f32 v52, 0x3fb8aa3b, v28, -v29
	v_rndne_f32_e32 v53, v29
	s_delay_alu instid0(VALU_DEP_1) | instskip(NEXT) | instid1(VALU_DEP_1)
	v_dual_fmamk_f32 v52, v28, 0x32a5705f, v52 :: v_dual_sub_f32 v29, v29, v53
	v_add_f32_e32 v29, v29, v52
	v_cvt_i32_f32_e32 v52, v53
	v_cmp_ngt_f32_e64 s15, 0xc2ce8ed0, v28
	s_delay_alu instid0(VALU_DEP_3) | instskip(SKIP_2) | instid1(VALU_DEP_1)
	v_exp_f32_e32 v29, v29
	s_waitcnt_depctr 0xfff
	v_ldexp_f32 v29, v29, v52
	v_cndmask_b32_e64 v29, 0, v29, s15
	v_cmp_nlt_f32_e64 s15, 0x42b17218, v28
	s_delay_alu instid0(VALU_DEP_1) | instskip(NEXT) | instid1(VALU_DEP_1)
	v_cndmask_b32_e64 v52, 0x7f800000, v29, s15
	v_add_f32_e32 v53, 1.0, v52
	v_cmp_gt_f32_e64 s17, 0x33800000, |v52|
	s_delay_alu instid0(VALU_DEP_2) | instskip(NEXT) | instid1(VALU_DEP_1)
	v_cvt_f64_f32_e32 v[28:29], v53
	v_frexp_exp_i32_f64_e32 v28, v[28:29]
	v_frexp_mant_f32_e32 v29, v53
	s_delay_alu instid0(VALU_DEP_1) | instskip(SKIP_1) | instid1(VALU_DEP_1)
	v_cmp_gt_f32_e64 s15, 0x3f2aaaab, v29
	v_add_f32_e32 v29, -1.0, v53
	v_sub_f32_e32 v55, v29, v53
	v_sub_f32_e32 v29, v52, v29
	s_delay_alu instid0(VALU_DEP_4) | instskip(SKIP_1) | instid1(VALU_DEP_1)
	v_subrev_co_ci_u32_e64 v28, s15, 0, v28, s15
	s_mov_b32 s15, 0x3e9b6dac
	v_sub_nc_u32_e32 v54, 0, v28
	v_cvt_f32_i32_e32 v28, v28
	s_delay_alu instid0(VALU_DEP_2) | instskip(NEXT) | instid1(VALU_DEP_1)
	v_ldexp_f32 v53, v53, v54
	v_dual_add_f32 v55, 1.0, v55 :: v_dual_add_f32 v64, 1.0, v53
	s_delay_alu instid0(VALU_DEP_1) | instskip(NEXT) | instid1(VALU_DEP_2)
	v_add_f32_e32 v29, v29, v55
	v_add_f32_e32 v55, -1.0, v64
	s_delay_alu instid0(VALU_DEP_2) | instskip(NEXT) | instid1(VALU_DEP_2)
	v_ldexp_f32 v29, v29, v54
	v_dual_add_f32 v54, -1.0, v53 :: v_dual_sub_f32 v55, v53, v55
	s_delay_alu instid0(VALU_DEP_1) | instskip(NEXT) | instid1(VALU_DEP_2)
	v_add_f32_e32 v65, 1.0, v54
	v_add_f32_e32 v55, v29, v55
	s_delay_alu instid0(VALU_DEP_2) | instskip(NEXT) | instid1(VALU_DEP_2)
	v_sub_f32_e32 v53, v53, v65
	v_add_f32_e32 v65, v64, v55
	s_delay_alu instid0(VALU_DEP_2) | instskip(NEXT) | instid1(VALU_DEP_2)
	v_add_f32_e32 v29, v29, v53
	v_rcp_f32_e32 v53, v65
	v_sub_f32_e32 v64, v64, v65
	s_delay_alu instid0(VALU_DEP_1) | instskip(NEXT) | instid1(VALU_DEP_1)
	v_dual_add_f32 v66, v54, v29 :: v_dual_add_f32 v55, v55, v64
	v_sub_f32_e32 v54, v54, v66
	s_waitcnt_depctr 0xfff
	v_mul_f32_e32 v67, v66, v53
	v_add_f32_e32 v29, v29, v54
	s_delay_alu instid0(VALU_DEP_2) | instskip(NEXT) | instid1(VALU_DEP_1)
	v_mul_f32_e32 v68, v65, v67
	v_fma_f32 v64, v67, v65, -v68
	s_delay_alu instid0(VALU_DEP_1) | instskip(NEXT) | instid1(VALU_DEP_1)
	v_fmac_f32_e32 v64, v67, v55
	v_add_f32_e32 v69, v68, v64
	s_delay_alu instid0(VALU_DEP_1) | instskip(SKIP_1) | instid1(VALU_DEP_2)
	v_sub_f32_e32 v70, v66, v69
	v_sub_f32_e32 v54, v69, v68
	;; [unrolled: 1-line block ×3, first 2 shown]
	s_delay_alu instid0(VALU_DEP_2) | instskip(NEXT) | instid1(VALU_DEP_2)
	v_sub_f32_e32 v54, v54, v64
	v_sub_f32_e32 v66, v66, v69
	s_delay_alu instid0(VALU_DEP_1) | instskip(NEXT) | instid1(VALU_DEP_1)
	v_add_f32_e32 v29, v29, v66
	v_add_f32_e32 v29, v54, v29
	s_delay_alu instid0(VALU_DEP_1) | instskip(NEXT) | instid1(VALU_DEP_1)
	v_add_f32_e32 v54, v70, v29
	v_mul_f32_e32 v64, v53, v54
	s_delay_alu instid0(VALU_DEP_1) | instskip(NEXT) | instid1(VALU_DEP_1)
	v_dual_sub_f32 v69, v70, v54 :: v_dual_mul_f32 v66, v65, v64
	v_add_f32_e32 v29, v29, v69
	s_delay_alu instid0(VALU_DEP_2) | instskip(NEXT) | instid1(VALU_DEP_1)
	v_fma_f32 v65, v64, v65, -v66
	v_fmac_f32_e32 v65, v64, v55
	s_delay_alu instid0(VALU_DEP_1) | instskip(NEXT) | instid1(VALU_DEP_1)
	v_add_f32_e32 v55, v66, v65
	v_sub_f32_e32 v68, v54, v55
	v_sub_f32_e32 v66, v55, v66
	s_delay_alu instid0(VALU_DEP_2) | instskip(NEXT) | instid1(VALU_DEP_1)
	v_sub_f32_e32 v54, v54, v68
	v_sub_f32_e32 v54, v54, v55
	s_delay_alu instid0(VALU_DEP_1) | instskip(NEXT) | instid1(VALU_DEP_4)
	v_dual_add_f32 v29, v29, v54 :: v_dual_add_f32 v54, v67, v64
	v_sub_f32_e32 v55, v66, v65
	s_delay_alu instid0(VALU_DEP_1) | instskip(NEXT) | instid1(VALU_DEP_3)
	v_add_f32_e32 v29, v55, v29
	v_sub_f32_e32 v55, v54, v67
	s_delay_alu instid0(VALU_DEP_2) | instskip(NEXT) | instid1(VALU_DEP_2)
	v_add_f32_e32 v29, v68, v29
	v_sub_f32_e32 v55, v64, v55
	s_delay_alu instid0(VALU_DEP_2) | instskip(NEXT) | instid1(VALU_DEP_1)
	v_mul_f32_e32 v29, v53, v29
	v_add_f32_e32 v29, v55, v29
	s_delay_alu instid0(VALU_DEP_1) | instskip(NEXT) | instid1(VALU_DEP_1)
	v_add_f32_e32 v53, v54, v29
	v_mul_f32_e32 v55, v53, v53
	s_delay_alu instid0(VALU_DEP_1) | instskip(SKIP_2) | instid1(VALU_DEP_3)
	v_fmaak_f32 v64, s15, v55, 0x3ecc95a3
	v_mul_f32_e32 v65, v53, v55
	v_cmp_eq_f32_e64 s15, 0x7f800000, v52
	v_fmaak_f32 v55, v55, v64, 0x3f2aaada
	v_ldexp_f32 v64, v53, 1
	v_sub_f32_e32 v53, v53, v54
	s_delay_alu instid0(VALU_DEP_4) | instskip(NEXT) | instid1(VALU_DEP_3)
	s_or_b32 s15, s15, s17
	v_mul_f32_e32 v55, v65, v55
	v_mul_f32_e32 v65, 0x3f317218, v28
	s_delay_alu instid0(VALU_DEP_2) | instskip(NEXT) | instid1(VALU_DEP_1)
	v_dual_sub_f32 v29, v29, v53 :: v_dual_add_f32 v54, v64, v55
	v_ldexp_f32 v29, v29, 1
	s_delay_alu instid0(VALU_DEP_2) | instskip(NEXT) | instid1(VALU_DEP_4)
	v_sub_f32_e32 v53, v54, v64
	v_fma_f32 v64, 0x3f317218, v28, -v65
	s_delay_alu instid0(VALU_DEP_1) | instskip(NEXT) | instid1(VALU_DEP_1)
	v_dual_sub_f32 v53, v55, v53 :: v_dual_fmamk_f32 v28, v28, 0xb102e308, v64
	v_add_f32_e32 v29, v29, v53
	s_delay_alu instid0(VALU_DEP_2) | instskip(NEXT) | instid1(VALU_DEP_2)
	v_add_f32_e32 v53, v65, v28
	v_add_f32_e32 v55, v54, v29
	s_delay_alu instid0(VALU_DEP_2) | instskip(NEXT) | instid1(VALU_DEP_2)
	v_sub_f32_e32 v65, v53, v65
	v_add_f32_e32 v64, v53, v55
	v_sub_f32_e32 v54, v55, v54
	s_delay_alu instid0(VALU_DEP_3) | instskip(NEXT) | instid1(VALU_DEP_2)
	v_sub_f32_e32 v28, v28, v65
	v_dual_sub_f32 v66, v64, v53 :: v_dual_sub_f32 v29, v29, v54
	s_delay_alu instid0(VALU_DEP_1) | instskip(NEXT) | instid1(VALU_DEP_2)
	v_sub_f32_e32 v67, v64, v66
	v_dual_sub_f32 v54, v55, v66 :: v_dual_add_f32 v55, v28, v29
	s_delay_alu instid0(VALU_DEP_2) | instskip(NEXT) | instid1(VALU_DEP_1)
	v_sub_f32_e32 v53, v53, v67
	v_dual_add_f32 v53, v54, v53 :: v_dual_sub_f32 v54, v55, v28
	s_delay_alu instid0(VALU_DEP_1) | instskip(NEXT) | instid1(VALU_DEP_2)
	v_add_f32_e32 v53, v55, v53
	v_sub_f32_e32 v55, v55, v54
	v_sub_f32_e32 v29, v29, v54
	s_delay_alu instid0(VALU_DEP_3) | instskip(NEXT) | instid1(VALU_DEP_3)
	v_add_f32_e32 v65, v64, v53
	v_sub_f32_e32 v28, v28, v55
	s_delay_alu instid0(VALU_DEP_2) | instskip(NEXT) | instid1(VALU_DEP_2)
	v_sub_f32_e32 v54, v65, v64
	v_add_f32_e32 v28, v29, v28
	s_delay_alu instid0(VALU_DEP_2) | instskip(NEXT) | instid1(VALU_DEP_1)
	v_sub_f32_e32 v29, v53, v54
	v_add_f32_e32 v28, v28, v29
	s_delay_alu instid0(VALU_DEP_1) | instskip(NEXT) | instid1(VALU_DEP_1)
	v_add_f32_e32 v28, v65, v28
	v_cndmask_b32_e64 v28, v28, v52, s15
	s_delay_alu instid0(VALU_DEP_1) | instskip(NEXT) | instid1(VALU_DEP_1)
	v_add_f32_e32 v21, v21, v28
	v_cvt_f16_f32_e32 v29, v21
	s_delay_alu instid0(VALU_DEP_1)
	v_mov_b32_e32 v28, v29
	v_cvt_f32_f16_e32 v54, v29
.LBB362_266:
	s_or_b32 exec_lo, exec_lo, s16
	v_cvt_f32_f16_e32 v21, v39
	s_delay_alu instid0(VALU_DEP_2) | instskip(SKIP_1) | instid1(VALU_DEP_2)
	v_max_f32_e32 v52, v54, v54
	v_cmp_u_f16_e64 s15, v29, v29
	v_min_f32_e32 v53, v52, v21
	v_max_f32_e32 v52, v52, v21
	s_delay_alu instid0(VALU_DEP_2) | instskip(NEXT) | instid1(VALU_DEP_2)
	v_cndmask_b32_e64 v53, v53, v54, s15
	v_cndmask_b32_e64 v55, v52, v54, s15
	v_cmp_u_f16_e64 s15, v39, v39
	s_delay_alu instid0(VALU_DEP_1) | instskip(NEXT) | instid1(VALU_DEP_3)
	v_cndmask_b32_e64 v52, v53, v21, s15
	v_cndmask_b32_e64 v39, v55, v21, s15
	s_delay_alu instid0(VALU_DEP_2) | instskip(NEXT) | instid1(VALU_DEP_2)
	v_cmp_class_f32_e64 s17, v52, 0x1f8
	v_cmp_neq_f32_e64 s16, v52, v39
	s_delay_alu instid0(VALU_DEP_1) | instskip(NEXT) | instid1(SALU_CYCLE_1)
	s_or_b32 s16, s16, s17
	s_and_saveexec_b32 s17, s16
	s_cbranch_execz .LBB362_268
; %bb.267:
	v_sub_f32_e32 v28, v52, v39
	s_delay_alu instid0(VALU_DEP_1) | instskip(NEXT) | instid1(VALU_DEP_1)
	v_mul_f32_e32 v29, 0x3fb8aa3b, v28
	v_fma_f32 v52, 0x3fb8aa3b, v28, -v29
	v_rndne_f32_e32 v53, v29
	s_delay_alu instid0(VALU_DEP_1) | instskip(SKIP_1) | instid1(VALU_DEP_2)
	v_dual_sub_f32 v29, v29, v53 :: v_dual_fmamk_f32 v52, v28, 0x32a5705f, v52
	v_cmp_ngt_f32_e64 s16, 0xc2ce8ed0, v28
	v_add_f32_e32 v29, v29, v52
	v_cvt_i32_f32_e32 v52, v53
	s_delay_alu instid0(VALU_DEP_2) | instskip(SKIP_2) | instid1(VALU_DEP_1)
	v_exp_f32_e32 v29, v29
	s_waitcnt_depctr 0xfff
	v_ldexp_f32 v29, v29, v52
	v_cndmask_b32_e64 v29, 0, v29, s16
	v_cmp_nlt_f32_e64 s16, 0x42b17218, v28
	s_delay_alu instid0(VALU_DEP_1) | instskip(NEXT) | instid1(VALU_DEP_1)
	v_cndmask_b32_e64 v52, 0x7f800000, v29, s16
	v_add_f32_e32 v53, 1.0, v52
	v_cmp_gt_f32_e64 s18, 0x33800000, |v52|
	s_delay_alu instid0(VALU_DEP_2) | instskip(NEXT) | instid1(VALU_DEP_1)
	v_cvt_f64_f32_e32 v[28:29], v53
	v_frexp_exp_i32_f64_e32 v28, v[28:29]
	v_frexp_mant_f32_e32 v29, v53
	s_delay_alu instid0(VALU_DEP_1) | instskip(SKIP_1) | instid1(VALU_DEP_1)
	v_cmp_gt_f32_e64 s16, 0x3f2aaaab, v29
	v_add_f32_e32 v29, -1.0, v53
	v_sub_f32_e32 v55, v29, v53
	v_sub_f32_e32 v29, v52, v29
	s_delay_alu instid0(VALU_DEP_4) | instskip(SKIP_1) | instid1(VALU_DEP_1)
	v_subrev_co_ci_u32_e64 v28, s16, 0, v28, s16
	s_mov_b32 s16, 0x3e9b6dac
	v_sub_nc_u32_e32 v54, 0, v28
	v_cvt_f32_i32_e32 v28, v28
	s_delay_alu instid0(VALU_DEP_2) | instskip(NEXT) | instid1(VALU_DEP_1)
	v_ldexp_f32 v53, v53, v54
	v_dual_add_f32 v64, 1.0, v53 :: v_dual_add_f32 v55, 1.0, v55
	s_delay_alu instid0(VALU_DEP_1) | instskip(NEXT) | instid1(VALU_DEP_2)
	v_add_f32_e32 v29, v29, v55
	v_add_f32_e32 v55, -1.0, v64
	s_delay_alu instid0(VALU_DEP_2) | instskip(NEXT) | instid1(VALU_DEP_2)
	v_ldexp_f32 v29, v29, v54
	v_dual_add_f32 v54, -1.0, v53 :: v_dual_sub_f32 v55, v53, v55
	s_delay_alu instid0(VALU_DEP_1) | instskip(NEXT) | instid1(VALU_DEP_2)
	v_add_f32_e32 v65, 1.0, v54
	v_add_f32_e32 v55, v29, v55
	s_delay_alu instid0(VALU_DEP_2) | instskip(NEXT) | instid1(VALU_DEP_2)
	v_sub_f32_e32 v53, v53, v65
	v_add_f32_e32 v65, v64, v55
	s_delay_alu instid0(VALU_DEP_2) | instskip(NEXT) | instid1(VALU_DEP_2)
	v_add_f32_e32 v29, v29, v53
	v_rcp_f32_e32 v53, v65
	v_sub_f32_e32 v64, v64, v65
	s_delay_alu instid0(VALU_DEP_1) | instskip(NEXT) | instid1(VALU_DEP_1)
	v_dual_add_f32 v66, v54, v29 :: v_dual_add_f32 v55, v55, v64
	v_sub_f32_e32 v54, v54, v66
	s_waitcnt_depctr 0xfff
	v_mul_f32_e32 v67, v66, v53
	v_add_f32_e32 v29, v29, v54
	s_delay_alu instid0(VALU_DEP_2) | instskip(NEXT) | instid1(VALU_DEP_1)
	v_mul_f32_e32 v68, v65, v67
	v_fma_f32 v64, v67, v65, -v68
	s_delay_alu instid0(VALU_DEP_1) | instskip(NEXT) | instid1(VALU_DEP_1)
	v_fmac_f32_e32 v64, v67, v55
	v_add_f32_e32 v69, v68, v64
	s_delay_alu instid0(VALU_DEP_1) | instskip(SKIP_1) | instid1(VALU_DEP_2)
	v_sub_f32_e32 v70, v66, v69
	v_sub_f32_e32 v54, v69, v68
	;; [unrolled: 1-line block ×3, first 2 shown]
	s_delay_alu instid0(VALU_DEP_2) | instskip(NEXT) | instid1(VALU_DEP_2)
	v_sub_f32_e32 v54, v54, v64
	v_sub_f32_e32 v66, v66, v69
	s_delay_alu instid0(VALU_DEP_1) | instskip(NEXT) | instid1(VALU_DEP_1)
	v_add_f32_e32 v29, v29, v66
	v_add_f32_e32 v29, v54, v29
	s_delay_alu instid0(VALU_DEP_1) | instskip(NEXT) | instid1(VALU_DEP_1)
	v_add_f32_e32 v54, v70, v29
	v_mul_f32_e32 v64, v53, v54
	s_delay_alu instid0(VALU_DEP_1) | instskip(NEXT) | instid1(VALU_DEP_1)
	v_dual_sub_f32 v69, v70, v54 :: v_dual_mul_f32 v66, v65, v64
	v_add_f32_e32 v29, v29, v69
	s_delay_alu instid0(VALU_DEP_2) | instskip(NEXT) | instid1(VALU_DEP_1)
	v_fma_f32 v65, v64, v65, -v66
	v_fmac_f32_e32 v65, v64, v55
	s_delay_alu instid0(VALU_DEP_1) | instskip(NEXT) | instid1(VALU_DEP_1)
	v_add_f32_e32 v55, v66, v65
	v_sub_f32_e32 v68, v54, v55
	v_sub_f32_e32 v66, v55, v66
	s_delay_alu instid0(VALU_DEP_2) | instskip(NEXT) | instid1(VALU_DEP_1)
	v_sub_f32_e32 v54, v54, v68
	v_sub_f32_e32 v54, v54, v55
	s_delay_alu instid0(VALU_DEP_3) | instskip(NEXT) | instid1(VALU_DEP_2)
	v_sub_f32_e32 v55, v66, v65
	v_dual_add_f32 v29, v29, v54 :: v_dual_add_f32 v54, v67, v64
	s_delay_alu instid0(VALU_DEP_1) | instskip(NEXT) | instid1(VALU_DEP_2)
	v_add_f32_e32 v29, v55, v29
	v_sub_f32_e32 v55, v54, v67
	s_delay_alu instid0(VALU_DEP_2) | instskip(NEXT) | instid1(VALU_DEP_2)
	v_add_f32_e32 v29, v68, v29
	v_sub_f32_e32 v55, v64, v55
	s_delay_alu instid0(VALU_DEP_2) | instskip(NEXT) | instid1(VALU_DEP_1)
	v_mul_f32_e32 v29, v53, v29
	v_add_f32_e32 v29, v55, v29
	s_delay_alu instid0(VALU_DEP_1) | instskip(NEXT) | instid1(VALU_DEP_1)
	v_add_f32_e32 v53, v54, v29
	v_mul_f32_e32 v55, v53, v53
	s_delay_alu instid0(VALU_DEP_1) | instskip(SKIP_2) | instid1(VALU_DEP_3)
	v_fmaak_f32 v64, s16, v55, 0x3ecc95a3
	v_mul_f32_e32 v65, v53, v55
	v_cmp_eq_f32_e64 s16, 0x7f800000, v52
	v_fmaak_f32 v55, v55, v64, 0x3f2aaada
	v_ldexp_f32 v64, v53, 1
	v_sub_f32_e32 v53, v53, v54
	s_delay_alu instid0(VALU_DEP_4) | instskip(NEXT) | instid1(VALU_DEP_3)
	s_or_b32 s16, s16, s18
	v_mul_f32_e32 v55, v65, v55
	v_mul_f32_e32 v65, 0x3f317218, v28
	s_delay_alu instid0(VALU_DEP_2) | instskip(NEXT) | instid1(VALU_DEP_1)
	v_dual_sub_f32 v29, v29, v53 :: v_dual_add_f32 v54, v64, v55
	v_ldexp_f32 v29, v29, 1
	s_delay_alu instid0(VALU_DEP_2) | instskip(NEXT) | instid1(VALU_DEP_4)
	v_sub_f32_e32 v53, v54, v64
	v_fma_f32 v64, 0x3f317218, v28, -v65
	s_delay_alu instid0(VALU_DEP_1) | instskip(NEXT) | instid1(VALU_DEP_1)
	v_dual_sub_f32 v53, v55, v53 :: v_dual_fmamk_f32 v28, v28, 0xb102e308, v64
	v_add_f32_e32 v29, v29, v53
	s_delay_alu instid0(VALU_DEP_2) | instskip(NEXT) | instid1(VALU_DEP_2)
	v_add_f32_e32 v53, v65, v28
	v_add_f32_e32 v55, v54, v29
	s_delay_alu instid0(VALU_DEP_2) | instskip(NEXT) | instid1(VALU_DEP_2)
	v_sub_f32_e32 v65, v53, v65
	v_add_f32_e32 v64, v53, v55
	v_sub_f32_e32 v54, v55, v54
	s_delay_alu instid0(VALU_DEP_3) | instskip(NEXT) | instid1(VALU_DEP_2)
	v_sub_f32_e32 v28, v28, v65
	v_dual_sub_f32 v66, v64, v53 :: v_dual_sub_f32 v29, v29, v54
	s_delay_alu instid0(VALU_DEP_1) | instskip(NEXT) | instid1(VALU_DEP_2)
	v_sub_f32_e32 v67, v64, v66
	v_dual_sub_f32 v54, v55, v66 :: v_dual_add_f32 v55, v28, v29
	s_delay_alu instid0(VALU_DEP_2) | instskip(NEXT) | instid1(VALU_DEP_1)
	v_sub_f32_e32 v53, v53, v67
	v_dual_add_f32 v53, v54, v53 :: v_dual_sub_f32 v54, v55, v28
	s_delay_alu instid0(VALU_DEP_1) | instskip(NEXT) | instid1(VALU_DEP_2)
	v_add_f32_e32 v53, v55, v53
	v_sub_f32_e32 v55, v55, v54
	v_sub_f32_e32 v29, v29, v54
	s_delay_alu instid0(VALU_DEP_3) | instskip(NEXT) | instid1(VALU_DEP_3)
	v_add_f32_e32 v65, v64, v53
	v_sub_f32_e32 v28, v28, v55
	s_delay_alu instid0(VALU_DEP_2) | instskip(NEXT) | instid1(VALU_DEP_2)
	v_sub_f32_e32 v54, v65, v64
	v_add_f32_e32 v28, v29, v28
	s_delay_alu instid0(VALU_DEP_2) | instskip(NEXT) | instid1(VALU_DEP_1)
	v_sub_f32_e32 v29, v53, v54
	v_add_f32_e32 v28, v28, v29
	s_delay_alu instid0(VALU_DEP_1) | instskip(NEXT) | instid1(VALU_DEP_1)
	v_add_f32_e32 v28, v65, v28
	v_cndmask_b32_e64 v28, v28, v52, s16
	s_delay_alu instid0(VALU_DEP_1) | instskip(NEXT) | instid1(VALU_DEP_1)
	v_add_f32_e32 v28, v39, v28
	v_cvt_f16_f32_e32 v29, v28
	s_delay_alu instid0(VALU_DEP_1)
	v_mov_b32_e32 v28, v29
	v_cvt_f32_f16_e32 v54, v29
.LBB362_268:
	s_or_b32 exec_lo, exec_lo, s17
	v_cvt_f32_f16_e32 v39, v18
	s_delay_alu instid0(VALU_DEP_2) | instskip(SKIP_1) | instid1(VALU_DEP_2)
	v_max_f32_e32 v52, v54, v54
	v_cmp_u_f16_e64 s16, v29, v29
	v_min_f32_e32 v53, v52, v39
	v_max_f32_e32 v52, v52, v39
	s_delay_alu instid0(VALU_DEP_2) | instskip(NEXT) | instid1(VALU_DEP_2)
	v_cndmask_b32_e64 v53, v53, v54, s16
	v_cndmask_b32_e64 v55, v52, v54, s16
	v_cmp_u_f16_e64 s16, v18, v18
	s_delay_alu instid0(VALU_DEP_1) | instskip(NEXT) | instid1(VALU_DEP_3)
	v_cndmask_b32_e64 v52, v53, v39, s16
	v_cndmask_b32_e64 v18, v55, v39, s16
	s_delay_alu instid0(VALU_DEP_2) | instskip(NEXT) | instid1(VALU_DEP_2)
	v_cmp_class_f32_e64 s18, v52, 0x1f8
	v_cmp_neq_f32_e64 s17, v52, v18
	s_delay_alu instid0(VALU_DEP_1) | instskip(NEXT) | instid1(SALU_CYCLE_1)
	s_or_b32 s17, s17, s18
	s_and_saveexec_b32 s18, s17
	s_cbranch_execz .LBB362_270
; %bb.269:
	v_sub_f32_e32 v28, v52, v18
	s_delay_alu instid0(VALU_DEP_1) | instskip(NEXT) | instid1(VALU_DEP_1)
	v_mul_f32_e32 v29, 0x3fb8aa3b, v28
	v_fma_f32 v52, 0x3fb8aa3b, v28, -v29
	v_rndne_f32_e32 v53, v29
	s_delay_alu instid0(VALU_DEP_1) | instskip(SKIP_1) | instid1(VALU_DEP_2)
	v_dual_sub_f32 v29, v29, v53 :: v_dual_fmamk_f32 v52, v28, 0x32a5705f, v52
	v_cmp_ngt_f32_e64 s17, 0xc2ce8ed0, v28
	v_add_f32_e32 v29, v29, v52
	v_cvt_i32_f32_e32 v52, v53
	s_delay_alu instid0(VALU_DEP_2) | instskip(SKIP_2) | instid1(VALU_DEP_1)
	v_exp_f32_e32 v29, v29
	s_waitcnt_depctr 0xfff
	v_ldexp_f32 v29, v29, v52
	v_cndmask_b32_e64 v29, 0, v29, s17
	v_cmp_nlt_f32_e64 s17, 0x42b17218, v28
	s_delay_alu instid0(VALU_DEP_1) | instskip(NEXT) | instid1(VALU_DEP_1)
	v_cndmask_b32_e64 v52, 0x7f800000, v29, s17
	v_add_f32_e32 v53, 1.0, v52
	v_cmp_gt_f32_e64 s19, 0x33800000, |v52|
	s_delay_alu instid0(VALU_DEP_2) | instskip(NEXT) | instid1(VALU_DEP_1)
	v_cvt_f64_f32_e32 v[28:29], v53
	v_frexp_exp_i32_f64_e32 v28, v[28:29]
	v_frexp_mant_f32_e32 v29, v53
	s_delay_alu instid0(VALU_DEP_1) | instskip(SKIP_1) | instid1(VALU_DEP_1)
	v_cmp_gt_f32_e64 s17, 0x3f2aaaab, v29
	v_add_f32_e32 v29, -1.0, v53
	v_sub_f32_e32 v55, v29, v53
	v_sub_f32_e32 v29, v52, v29
	s_delay_alu instid0(VALU_DEP_4) | instskip(SKIP_1) | instid1(VALU_DEP_1)
	v_subrev_co_ci_u32_e64 v28, s17, 0, v28, s17
	s_mov_b32 s17, 0x3e9b6dac
	v_sub_nc_u32_e32 v54, 0, v28
	v_cvt_f32_i32_e32 v28, v28
	s_delay_alu instid0(VALU_DEP_2) | instskip(NEXT) | instid1(VALU_DEP_1)
	v_ldexp_f32 v53, v53, v54
	v_dual_add_f32 v64, 1.0, v53 :: v_dual_add_f32 v55, 1.0, v55
	s_delay_alu instid0(VALU_DEP_1) | instskip(NEXT) | instid1(VALU_DEP_2)
	v_add_f32_e32 v29, v29, v55
	v_add_f32_e32 v55, -1.0, v64
	s_delay_alu instid0(VALU_DEP_2) | instskip(NEXT) | instid1(VALU_DEP_2)
	v_ldexp_f32 v29, v29, v54
	v_dual_add_f32 v54, -1.0, v53 :: v_dual_sub_f32 v55, v53, v55
	s_delay_alu instid0(VALU_DEP_1) | instskip(NEXT) | instid1(VALU_DEP_2)
	v_add_f32_e32 v65, 1.0, v54
	v_add_f32_e32 v55, v29, v55
	s_delay_alu instid0(VALU_DEP_2) | instskip(NEXT) | instid1(VALU_DEP_2)
	v_sub_f32_e32 v53, v53, v65
	v_add_f32_e32 v65, v64, v55
	s_delay_alu instid0(VALU_DEP_2) | instskip(NEXT) | instid1(VALU_DEP_2)
	v_add_f32_e32 v29, v29, v53
	v_rcp_f32_e32 v53, v65
	v_sub_f32_e32 v64, v64, v65
	s_delay_alu instid0(VALU_DEP_1) | instskip(NEXT) | instid1(VALU_DEP_1)
	v_dual_add_f32 v66, v54, v29 :: v_dual_add_f32 v55, v55, v64
	v_sub_f32_e32 v54, v54, v66
	s_waitcnt_depctr 0xfff
	v_mul_f32_e32 v67, v66, v53
	v_add_f32_e32 v29, v29, v54
	s_delay_alu instid0(VALU_DEP_2) | instskip(NEXT) | instid1(VALU_DEP_1)
	v_mul_f32_e32 v68, v65, v67
	v_fma_f32 v64, v67, v65, -v68
	s_delay_alu instid0(VALU_DEP_1) | instskip(NEXT) | instid1(VALU_DEP_1)
	v_fmac_f32_e32 v64, v67, v55
	v_add_f32_e32 v69, v68, v64
	s_delay_alu instid0(VALU_DEP_1) | instskip(SKIP_1) | instid1(VALU_DEP_2)
	v_sub_f32_e32 v70, v66, v69
	v_sub_f32_e32 v54, v69, v68
	;; [unrolled: 1-line block ×3, first 2 shown]
	s_delay_alu instid0(VALU_DEP_2) | instskip(NEXT) | instid1(VALU_DEP_2)
	v_sub_f32_e32 v54, v54, v64
	v_sub_f32_e32 v66, v66, v69
	s_delay_alu instid0(VALU_DEP_1) | instskip(NEXT) | instid1(VALU_DEP_1)
	v_add_f32_e32 v29, v29, v66
	v_add_f32_e32 v29, v54, v29
	s_delay_alu instid0(VALU_DEP_1) | instskip(NEXT) | instid1(VALU_DEP_1)
	v_add_f32_e32 v54, v70, v29
	v_mul_f32_e32 v64, v53, v54
	s_delay_alu instid0(VALU_DEP_1) | instskip(NEXT) | instid1(VALU_DEP_1)
	v_dual_sub_f32 v69, v70, v54 :: v_dual_mul_f32 v66, v65, v64
	v_add_f32_e32 v29, v29, v69
	s_delay_alu instid0(VALU_DEP_2) | instskip(NEXT) | instid1(VALU_DEP_1)
	v_fma_f32 v65, v64, v65, -v66
	v_fmac_f32_e32 v65, v64, v55
	s_delay_alu instid0(VALU_DEP_1) | instskip(NEXT) | instid1(VALU_DEP_1)
	v_add_f32_e32 v55, v66, v65
	v_sub_f32_e32 v68, v54, v55
	v_sub_f32_e32 v66, v55, v66
	s_delay_alu instid0(VALU_DEP_2) | instskip(NEXT) | instid1(VALU_DEP_1)
	v_sub_f32_e32 v54, v54, v68
	v_sub_f32_e32 v54, v54, v55
	s_delay_alu instid0(VALU_DEP_3) | instskip(NEXT) | instid1(VALU_DEP_2)
	v_sub_f32_e32 v55, v66, v65
	v_dual_add_f32 v29, v29, v54 :: v_dual_add_f32 v54, v67, v64
	s_delay_alu instid0(VALU_DEP_1) | instskip(NEXT) | instid1(VALU_DEP_2)
	v_add_f32_e32 v29, v55, v29
	v_sub_f32_e32 v55, v54, v67
	s_delay_alu instid0(VALU_DEP_2) | instskip(NEXT) | instid1(VALU_DEP_2)
	v_add_f32_e32 v29, v68, v29
	v_sub_f32_e32 v55, v64, v55
	s_delay_alu instid0(VALU_DEP_2) | instskip(NEXT) | instid1(VALU_DEP_1)
	v_mul_f32_e32 v29, v53, v29
	v_add_f32_e32 v29, v55, v29
	s_delay_alu instid0(VALU_DEP_1) | instskip(NEXT) | instid1(VALU_DEP_1)
	v_add_f32_e32 v53, v54, v29
	v_mul_f32_e32 v55, v53, v53
	s_delay_alu instid0(VALU_DEP_1) | instskip(SKIP_2) | instid1(VALU_DEP_3)
	v_fmaak_f32 v64, s17, v55, 0x3ecc95a3
	v_mul_f32_e32 v65, v53, v55
	v_cmp_eq_f32_e64 s17, 0x7f800000, v52
	v_fmaak_f32 v55, v55, v64, 0x3f2aaada
	v_ldexp_f32 v64, v53, 1
	v_sub_f32_e32 v53, v53, v54
	s_delay_alu instid0(VALU_DEP_4) | instskip(NEXT) | instid1(VALU_DEP_3)
	s_or_b32 s17, s17, s19
	v_mul_f32_e32 v55, v65, v55
	v_mul_f32_e32 v65, 0x3f317218, v28
	s_delay_alu instid0(VALU_DEP_2) | instskip(NEXT) | instid1(VALU_DEP_1)
	v_dual_sub_f32 v29, v29, v53 :: v_dual_add_f32 v54, v64, v55
	v_ldexp_f32 v29, v29, 1
	s_delay_alu instid0(VALU_DEP_2) | instskip(NEXT) | instid1(VALU_DEP_4)
	v_sub_f32_e32 v53, v54, v64
	v_fma_f32 v64, 0x3f317218, v28, -v65
	s_delay_alu instid0(VALU_DEP_1) | instskip(NEXT) | instid1(VALU_DEP_1)
	v_dual_sub_f32 v53, v55, v53 :: v_dual_fmamk_f32 v28, v28, 0xb102e308, v64
	v_add_f32_e32 v29, v29, v53
	s_delay_alu instid0(VALU_DEP_2) | instskip(NEXT) | instid1(VALU_DEP_2)
	v_add_f32_e32 v53, v65, v28
	v_add_f32_e32 v55, v54, v29
	s_delay_alu instid0(VALU_DEP_2) | instskip(NEXT) | instid1(VALU_DEP_2)
	v_sub_f32_e32 v65, v53, v65
	v_add_f32_e32 v64, v53, v55
	v_sub_f32_e32 v54, v55, v54
	s_delay_alu instid0(VALU_DEP_3) | instskip(NEXT) | instid1(VALU_DEP_2)
	v_sub_f32_e32 v28, v28, v65
	v_dual_sub_f32 v66, v64, v53 :: v_dual_sub_f32 v29, v29, v54
	s_delay_alu instid0(VALU_DEP_1) | instskip(NEXT) | instid1(VALU_DEP_2)
	v_sub_f32_e32 v67, v64, v66
	v_dual_sub_f32 v54, v55, v66 :: v_dual_add_f32 v55, v28, v29
	s_delay_alu instid0(VALU_DEP_2) | instskip(NEXT) | instid1(VALU_DEP_1)
	v_sub_f32_e32 v53, v53, v67
	v_dual_add_f32 v53, v54, v53 :: v_dual_sub_f32 v54, v55, v28
	s_delay_alu instid0(VALU_DEP_1) | instskip(NEXT) | instid1(VALU_DEP_2)
	v_add_f32_e32 v53, v55, v53
	v_sub_f32_e32 v55, v55, v54
	v_sub_f32_e32 v29, v29, v54
	s_delay_alu instid0(VALU_DEP_3) | instskip(NEXT) | instid1(VALU_DEP_3)
	v_add_f32_e32 v65, v64, v53
	v_sub_f32_e32 v28, v28, v55
	s_delay_alu instid0(VALU_DEP_2) | instskip(NEXT) | instid1(VALU_DEP_2)
	v_sub_f32_e32 v54, v65, v64
	v_add_f32_e32 v28, v29, v28
	s_delay_alu instid0(VALU_DEP_2) | instskip(NEXT) | instid1(VALU_DEP_1)
	v_sub_f32_e32 v29, v53, v54
	v_add_f32_e32 v28, v28, v29
	s_delay_alu instid0(VALU_DEP_1) | instskip(NEXT) | instid1(VALU_DEP_1)
	v_add_f32_e32 v28, v65, v28
	v_cndmask_b32_e64 v28, v28, v52, s17
	s_delay_alu instid0(VALU_DEP_1) | instskip(NEXT) | instid1(VALU_DEP_1)
	v_add_f32_e32 v18, v18, v28
	v_cvt_f16_f32_e32 v29, v18
	s_delay_alu instid0(VALU_DEP_1)
	v_mov_b32_e32 v28, v29
	v_cvt_f32_f16_e32 v54, v29
.LBB362_270:
	s_or_b32 exec_lo, exec_lo, s18
	v_cvt_f32_f16_e32 v18, v38
	s_delay_alu instid0(VALU_DEP_2) | instskip(SKIP_1) | instid1(VALU_DEP_2)
	v_max_f32_e32 v52, v54, v54
	v_cmp_u_f16_e64 s17, v29, v29
	v_min_f32_e32 v53, v52, v18
	v_max_f32_e32 v52, v52, v18
	s_delay_alu instid0(VALU_DEP_2) | instskip(NEXT) | instid1(VALU_DEP_2)
	v_cndmask_b32_e64 v53, v53, v54, s17
	v_cndmask_b32_e64 v55, v52, v54, s17
	v_cmp_u_f16_e64 s17, v38, v38
	s_delay_alu instid0(VALU_DEP_1) | instskip(NEXT) | instid1(VALU_DEP_3)
	v_cndmask_b32_e64 v52, v53, v18, s17
	v_cndmask_b32_e64 v38, v55, v18, s17
	s_delay_alu instid0(VALU_DEP_2) | instskip(NEXT) | instid1(VALU_DEP_2)
	v_cmp_class_f32_e64 s19, v52, 0x1f8
	v_cmp_neq_f32_e64 s18, v52, v38
	s_delay_alu instid0(VALU_DEP_1) | instskip(NEXT) | instid1(SALU_CYCLE_1)
	s_or_b32 s18, s18, s19
	s_and_saveexec_b32 s19, s18
	s_cbranch_execz .LBB362_272
; %bb.271:
	v_sub_f32_e32 v28, v52, v38
	s_delay_alu instid0(VALU_DEP_1) | instskip(NEXT) | instid1(VALU_DEP_1)
	v_mul_f32_e32 v29, 0x3fb8aa3b, v28
	v_fma_f32 v52, 0x3fb8aa3b, v28, -v29
	v_rndne_f32_e32 v53, v29
	s_delay_alu instid0(VALU_DEP_1) | instskip(SKIP_1) | instid1(VALU_DEP_2)
	v_dual_sub_f32 v29, v29, v53 :: v_dual_fmamk_f32 v52, v28, 0x32a5705f, v52
	v_cmp_ngt_f32_e64 s18, 0xc2ce8ed0, v28
	v_add_f32_e32 v29, v29, v52
	v_cvt_i32_f32_e32 v52, v53
	s_delay_alu instid0(VALU_DEP_2) | instskip(SKIP_2) | instid1(VALU_DEP_1)
	v_exp_f32_e32 v29, v29
	s_waitcnt_depctr 0xfff
	v_ldexp_f32 v29, v29, v52
	v_cndmask_b32_e64 v29, 0, v29, s18
	v_cmp_nlt_f32_e64 s18, 0x42b17218, v28
	s_delay_alu instid0(VALU_DEP_1) | instskip(NEXT) | instid1(VALU_DEP_1)
	v_cndmask_b32_e64 v52, 0x7f800000, v29, s18
	v_add_f32_e32 v53, 1.0, v52
	v_cmp_gt_f32_e64 s20, 0x33800000, |v52|
	s_delay_alu instid0(VALU_DEP_2) | instskip(NEXT) | instid1(VALU_DEP_1)
	v_cvt_f64_f32_e32 v[28:29], v53
	v_frexp_exp_i32_f64_e32 v28, v[28:29]
	v_frexp_mant_f32_e32 v29, v53
	s_delay_alu instid0(VALU_DEP_1) | instskip(SKIP_1) | instid1(VALU_DEP_1)
	v_cmp_gt_f32_e64 s18, 0x3f2aaaab, v29
	v_add_f32_e32 v29, -1.0, v53
	v_sub_f32_e32 v55, v29, v53
	v_sub_f32_e32 v29, v52, v29
	s_delay_alu instid0(VALU_DEP_4) | instskip(SKIP_1) | instid1(VALU_DEP_1)
	v_subrev_co_ci_u32_e64 v28, s18, 0, v28, s18
	s_mov_b32 s18, 0x3e9b6dac
	v_sub_nc_u32_e32 v54, 0, v28
	v_cvt_f32_i32_e32 v28, v28
	s_delay_alu instid0(VALU_DEP_2) | instskip(NEXT) | instid1(VALU_DEP_1)
	v_ldexp_f32 v53, v53, v54
	v_dual_add_f32 v64, 1.0, v53 :: v_dual_add_f32 v55, 1.0, v55
	s_delay_alu instid0(VALU_DEP_1) | instskip(NEXT) | instid1(VALU_DEP_2)
	v_add_f32_e32 v29, v29, v55
	v_add_f32_e32 v55, -1.0, v64
	s_delay_alu instid0(VALU_DEP_2) | instskip(NEXT) | instid1(VALU_DEP_2)
	v_ldexp_f32 v29, v29, v54
	v_dual_add_f32 v54, -1.0, v53 :: v_dual_sub_f32 v55, v53, v55
	s_delay_alu instid0(VALU_DEP_1) | instskip(NEXT) | instid1(VALU_DEP_2)
	v_add_f32_e32 v65, 1.0, v54
	v_add_f32_e32 v55, v29, v55
	s_delay_alu instid0(VALU_DEP_2) | instskip(NEXT) | instid1(VALU_DEP_2)
	v_sub_f32_e32 v53, v53, v65
	v_add_f32_e32 v65, v64, v55
	s_delay_alu instid0(VALU_DEP_2) | instskip(NEXT) | instid1(VALU_DEP_2)
	v_add_f32_e32 v29, v29, v53
	v_rcp_f32_e32 v53, v65
	v_sub_f32_e32 v64, v64, v65
	s_delay_alu instid0(VALU_DEP_1) | instskip(NEXT) | instid1(VALU_DEP_1)
	v_dual_add_f32 v66, v54, v29 :: v_dual_add_f32 v55, v55, v64
	v_sub_f32_e32 v54, v54, v66
	s_waitcnt_depctr 0xfff
	v_mul_f32_e32 v67, v66, v53
	v_add_f32_e32 v29, v29, v54
	s_delay_alu instid0(VALU_DEP_2) | instskip(NEXT) | instid1(VALU_DEP_1)
	v_mul_f32_e32 v68, v65, v67
	v_fma_f32 v64, v67, v65, -v68
	s_delay_alu instid0(VALU_DEP_1) | instskip(NEXT) | instid1(VALU_DEP_1)
	v_fmac_f32_e32 v64, v67, v55
	v_add_f32_e32 v69, v68, v64
	s_delay_alu instid0(VALU_DEP_1) | instskip(SKIP_1) | instid1(VALU_DEP_2)
	v_sub_f32_e32 v70, v66, v69
	v_sub_f32_e32 v54, v69, v68
	;; [unrolled: 1-line block ×3, first 2 shown]
	s_delay_alu instid0(VALU_DEP_2) | instskip(NEXT) | instid1(VALU_DEP_2)
	v_sub_f32_e32 v54, v54, v64
	v_sub_f32_e32 v66, v66, v69
	s_delay_alu instid0(VALU_DEP_1) | instskip(NEXT) | instid1(VALU_DEP_1)
	v_add_f32_e32 v29, v29, v66
	v_add_f32_e32 v29, v54, v29
	s_delay_alu instid0(VALU_DEP_1) | instskip(NEXT) | instid1(VALU_DEP_1)
	v_add_f32_e32 v54, v70, v29
	v_mul_f32_e32 v64, v53, v54
	s_delay_alu instid0(VALU_DEP_1) | instskip(NEXT) | instid1(VALU_DEP_1)
	v_dual_sub_f32 v69, v70, v54 :: v_dual_mul_f32 v66, v65, v64
	v_add_f32_e32 v29, v29, v69
	s_delay_alu instid0(VALU_DEP_2) | instskip(NEXT) | instid1(VALU_DEP_1)
	v_fma_f32 v65, v64, v65, -v66
	v_fmac_f32_e32 v65, v64, v55
	s_delay_alu instid0(VALU_DEP_1) | instskip(NEXT) | instid1(VALU_DEP_1)
	v_add_f32_e32 v55, v66, v65
	v_sub_f32_e32 v68, v54, v55
	v_sub_f32_e32 v66, v55, v66
	s_delay_alu instid0(VALU_DEP_2) | instskip(NEXT) | instid1(VALU_DEP_1)
	v_sub_f32_e32 v54, v54, v68
	v_sub_f32_e32 v54, v54, v55
	s_delay_alu instid0(VALU_DEP_3) | instskip(NEXT) | instid1(VALU_DEP_2)
	v_sub_f32_e32 v55, v66, v65
	v_dual_add_f32 v29, v29, v54 :: v_dual_add_f32 v54, v67, v64
	s_delay_alu instid0(VALU_DEP_1) | instskip(NEXT) | instid1(VALU_DEP_2)
	v_add_f32_e32 v29, v55, v29
	v_sub_f32_e32 v55, v54, v67
	s_delay_alu instid0(VALU_DEP_2) | instskip(NEXT) | instid1(VALU_DEP_2)
	v_add_f32_e32 v29, v68, v29
	v_sub_f32_e32 v55, v64, v55
	s_delay_alu instid0(VALU_DEP_2) | instskip(NEXT) | instid1(VALU_DEP_1)
	v_mul_f32_e32 v29, v53, v29
	v_add_f32_e32 v29, v55, v29
	s_delay_alu instid0(VALU_DEP_1) | instskip(NEXT) | instid1(VALU_DEP_1)
	v_add_f32_e32 v53, v54, v29
	v_mul_f32_e32 v55, v53, v53
	s_delay_alu instid0(VALU_DEP_1) | instskip(SKIP_2) | instid1(VALU_DEP_3)
	v_fmaak_f32 v64, s18, v55, 0x3ecc95a3
	v_mul_f32_e32 v65, v53, v55
	v_cmp_eq_f32_e64 s18, 0x7f800000, v52
	v_fmaak_f32 v55, v55, v64, 0x3f2aaada
	v_ldexp_f32 v64, v53, 1
	v_sub_f32_e32 v53, v53, v54
	s_delay_alu instid0(VALU_DEP_4) | instskip(NEXT) | instid1(VALU_DEP_3)
	s_or_b32 s18, s18, s20
	v_mul_f32_e32 v55, v65, v55
	v_mul_f32_e32 v65, 0x3f317218, v28
	s_delay_alu instid0(VALU_DEP_2) | instskip(NEXT) | instid1(VALU_DEP_1)
	v_dual_sub_f32 v29, v29, v53 :: v_dual_add_f32 v54, v64, v55
	v_ldexp_f32 v29, v29, 1
	s_delay_alu instid0(VALU_DEP_2) | instskip(NEXT) | instid1(VALU_DEP_4)
	v_sub_f32_e32 v53, v54, v64
	v_fma_f32 v64, 0x3f317218, v28, -v65
	s_delay_alu instid0(VALU_DEP_1) | instskip(NEXT) | instid1(VALU_DEP_1)
	v_dual_sub_f32 v53, v55, v53 :: v_dual_fmamk_f32 v28, v28, 0xb102e308, v64
	v_add_f32_e32 v29, v29, v53
	s_delay_alu instid0(VALU_DEP_2) | instskip(NEXT) | instid1(VALU_DEP_2)
	v_add_f32_e32 v53, v65, v28
	v_add_f32_e32 v55, v54, v29
	s_delay_alu instid0(VALU_DEP_2) | instskip(NEXT) | instid1(VALU_DEP_2)
	v_sub_f32_e32 v65, v53, v65
	v_add_f32_e32 v64, v53, v55
	v_sub_f32_e32 v54, v55, v54
	s_delay_alu instid0(VALU_DEP_3) | instskip(NEXT) | instid1(VALU_DEP_2)
	v_sub_f32_e32 v28, v28, v65
	v_dual_sub_f32 v66, v64, v53 :: v_dual_sub_f32 v29, v29, v54
	s_delay_alu instid0(VALU_DEP_1) | instskip(NEXT) | instid1(VALU_DEP_2)
	v_sub_f32_e32 v67, v64, v66
	v_dual_sub_f32 v54, v55, v66 :: v_dual_add_f32 v55, v28, v29
	s_delay_alu instid0(VALU_DEP_2) | instskip(NEXT) | instid1(VALU_DEP_1)
	v_sub_f32_e32 v53, v53, v67
	v_dual_add_f32 v53, v54, v53 :: v_dual_sub_f32 v54, v55, v28
	s_delay_alu instid0(VALU_DEP_1) | instskip(NEXT) | instid1(VALU_DEP_2)
	v_add_f32_e32 v53, v55, v53
	v_sub_f32_e32 v55, v55, v54
	v_sub_f32_e32 v29, v29, v54
	s_delay_alu instid0(VALU_DEP_3) | instskip(NEXT) | instid1(VALU_DEP_3)
	v_add_f32_e32 v65, v64, v53
	v_sub_f32_e32 v28, v28, v55
	s_delay_alu instid0(VALU_DEP_2) | instskip(NEXT) | instid1(VALU_DEP_2)
	v_sub_f32_e32 v54, v65, v64
	v_add_f32_e32 v28, v29, v28
	s_delay_alu instid0(VALU_DEP_2) | instskip(NEXT) | instid1(VALU_DEP_1)
	v_sub_f32_e32 v29, v53, v54
	v_add_f32_e32 v28, v28, v29
	s_delay_alu instid0(VALU_DEP_1) | instskip(NEXT) | instid1(VALU_DEP_1)
	v_add_f32_e32 v28, v65, v28
	v_cndmask_b32_e64 v28, v28, v52, s18
	s_delay_alu instid0(VALU_DEP_1) | instskip(NEXT) | instid1(VALU_DEP_1)
	v_add_f32_e32 v28, v38, v28
	v_cvt_f16_f32_e32 v29, v28
	s_delay_alu instid0(VALU_DEP_1)
	v_mov_b32_e32 v28, v29
	v_cvt_f32_f16_e32 v54, v29
.LBB362_272:
	s_or_b32 exec_lo, exec_lo, s19
	v_cvt_f32_f16_e32 v38, v19
	s_delay_alu instid0(VALU_DEP_2) | instskip(SKIP_1) | instid1(VALU_DEP_2)
	v_max_f32_e32 v52, v54, v54
	v_cmp_u_f16_e64 s18, v29, v29
	v_min_f32_e32 v53, v52, v38
	v_max_f32_e32 v52, v52, v38
	s_delay_alu instid0(VALU_DEP_2) | instskip(NEXT) | instid1(VALU_DEP_2)
	v_cndmask_b32_e64 v53, v53, v54, s18
	v_cndmask_b32_e64 v55, v52, v54, s18
	v_cmp_u_f16_e64 s18, v19, v19
	s_delay_alu instid0(VALU_DEP_1) | instskip(NEXT) | instid1(VALU_DEP_3)
	v_cndmask_b32_e64 v52, v53, v38, s18
	v_cndmask_b32_e64 v19, v55, v38, s18
	s_delay_alu instid0(VALU_DEP_2) | instskip(NEXT) | instid1(VALU_DEP_2)
	v_cmp_class_f32_e64 s20, v52, 0x1f8
	v_cmp_neq_f32_e64 s19, v52, v19
	s_delay_alu instid0(VALU_DEP_1) | instskip(NEXT) | instid1(SALU_CYCLE_1)
	s_or_b32 s19, s19, s20
	s_and_saveexec_b32 s20, s19
	s_cbranch_execz .LBB362_274
; %bb.273:
	v_sub_f32_e32 v28, v52, v19
	s_delay_alu instid0(VALU_DEP_1) | instskip(NEXT) | instid1(VALU_DEP_1)
	v_mul_f32_e32 v29, 0x3fb8aa3b, v28
	v_fma_f32 v52, 0x3fb8aa3b, v28, -v29
	v_rndne_f32_e32 v53, v29
	s_delay_alu instid0(VALU_DEP_1) | instskip(SKIP_1) | instid1(VALU_DEP_2)
	v_dual_sub_f32 v29, v29, v53 :: v_dual_fmamk_f32 v52, v28, 0x32a5705f, v52
	v_cmp_ngt_f32_e64 s19, 0xc2ce8ed0, v28
	v_add_f32_e32 v29, v29, v52
	v_cvt_i32_f32_e32 v52, v53
	s_delay_alu instid0(VALU_DEP_2) | instskip(SKIP_2) | instid1(VALU_DEP_1)
	v_exp_f32_e32 v29, v29
	s_waitcnt_depctr 0xfff
	v_ldexp_f32 v29, v29, v52
	v_cndmask_b32_e64 v29, 0, v29, s19
	v_cmp_nlt_f32_e64 s19, 0x42b17218, v28
	s_delay_alu instid0(VALU_DEP_1) | instskip(NEXT) | instid1(VALU_DEP_1)
	v_cndmask_b32_e64 v52, 0x7f800000, v29, s19
	v_add_f32_e32 v53, 1.0, v52
	v_cmp_gt_f32_e64 s21, 0x33800000, |v52|
	s_delay_alu instid0(VALU_DEP_2) | instskip(NEXT) | instid1(VALU_DEP_1)
	v_cvt_f64_f32_e32 v[28:29], v53
	v_frexp_exp_i32_f64_e32 v28, v[28:29]
	v_frexp_mant_f32_e32 v29, v53
	s_delay_alu instid0(VALU_DEP_1) | instskip(SKIP_1) | instid1(VALU_DEP_1)
	v_cmp_gt_f32_e64 s19, 0x3f2aaaab, v29
	v_add_f32_e32 v29, -1.0, v53
	v_sub_f32_e32 v55, v29, v53
	v_sub_f32_e32 v29, v52, v29
	s_delay_alu instid0(VALU_DEP_4) | instskip(SKIP_1) | instid1(VALU_DEP_1)
	v_subrev_co_ci_u32_e64 v28, s19, 0, v28, s19
	s_mov_b32 s19, 0x3e9b6dac
	v_sub_nc_u32_e32 v54, 0, v28
	v_cvt_f32_i32_e32 v28, v28
	s_delay_alu instid0(VALU_DEP_2) | instskip(NEXT) | instid1(VALU_DEP_1)
	v_ldexp_f32 v53, v53, v54
	v_dual_add_f32 v64, 1.0, v53 :: v_dual_add_f32 v55, 1.0, v55
	s_delay_alu instid0(VALU_DEP_1) | instskip(NEXT) | instid1(VALU_DEP_2)
	v_add_f32_e32 v29, v29, v55
	v_add_f32_e32 v55, -1.0, v64
	s_delay_alu instid0(VALU_DEP_2) | instskip(NEXT) | instid1(VALU_DEP_2)
	v_ldexp_f32 v29, v29, v54
	v_dual_add_f32 v54, -1.0, v53 :: v_dual_sub_f32 v55, v53, v55
	s_delay_alu instid0(VALU_DEP_1) | instskip(NEXT) | instid1(VALU_DEP_2)
	v_add_f32_e32 v65, 1.0, v54
	v_add_f32_e32 v55, v29, v55
	s_delay_alu instid0(VALU_DEP_2) | instskip(NEXT) | instid1(VALU_DEP_2)
	v_sub_f32_e32 v53, v53, v65
	v_add_f32_e32 v65, v64, v55
	s_delay_alu instid0(VALU_DEP_2) | instskip(NEXT) | instid1(VALU_DEP_2)
	v_add_f32_e32 v29, v29, v53
	v_rcp_f32_e32 v53, v65
	v_sub_f32_e32 v64, v64, v65
	s_delay_alu instid0(VALU_DEP_1) | instskip(NEXT) | instid1(VALU_DEP_1)
	v_dual_add_f32 v66, v54, v29 :: v_dual_add_f32 v55, v55, v64
	v_sub_f32_e32 v54, v54, v66
	s_waitcnt_depctr 0xfff
	v_mul_f32_e32 v67, v66, v53
	v_add_f32_e32 v29, v29, v54
	s_delay_alu instid0(VALU_DEP_2) | instskip(NEXT) | instid1(VALU_DEP_1)
	v_mul_f32_e32 v68, v65, v67
	v_fma_f32 v64, v67, v65, -v68
	s_delay_alu instid0(VALU_DEP_1) | instskip(NEXT) | instid1(VALU_DEP_1)
	v_fmac_f32_e32 v64, v67, v55
	v_add_f32_e32 v69, v68, v64
	s_delay_alu instid0(VALU_DEP_1) | instskip(SKIP_1) | instid1(VALU_DEP_2)
	v_sub_f32_e32 v70, v66, v69
	v_sub_f32_e32 v54, v69, v68
	;; [unrolled: 1-line block ×3, first 2 shown]
	s_delay_alu instid0(VALU_DEP_2) | instskip(NEXT) | instid1(VALU_DEP_2)
	v_sub_f32_e32 v54, v54, v64
	v_sub_f32_e32 v66, v66, v69
	s_delay_alu instid0(VALU_DEP_1) | instskip(NEXT) | instid1(VALU_DEP_1)
	v_add_f32_e32 v29, v29, v66
	v_add_f32_e32 v29, v54, v29
	s_delay_alu instid0(VALU_DEP_1) | instskip(NEXT) | instid1(VALU_DEP_1)
	v_add_f32_e32 v54, v70, v29
	v_mul_f32_e32 v64, v53, v54
	s_delay_alu instid0(VALU_DEP_1) | instskip(NEXT) | instid1(VALU_DEP_1)
	v_dual_sub_f32 v69, v70, v54 :: v_dual_mul_f32 v66, v65, v64
	v_add_f32_e32 v29, v29, v69
	s_delay_alu instid0(VALU_DEP_2) | instskip(NEXT) | instid1(VALU_DEP_1)
	v_fma_f32 v65, v64, v65, -v66
	v_fmac_f32_e32 v65, v64, v55
	s_delay_alu instid0(VALU_DEP_1) | instskip(NEXT) | instid1(VALU_DEP_1)
	v_add_f32_e32 v55, v66, v65
	v_sub_f32_e32 v68, v54, v55
	v_sub_f32_e32 v66, v55, v66
	s_delay_alu instid0(VALU_DEP_2) | instskip(NEXT) | instid1(VALU_DEP_1)
	v_sub_f32_e32 v54, v54, v68
	v_sub_f32_e32 v54, v54, v55
	s_delay_alu instid0(VALU_DEP_3) | instskip(NEXT) | instid1(VALU_DEP_2)
	v_sub_f32_e32 v55, v66, v65
	v_dual_add_f32 v29, v29, v54 :: v_dual_add_f32 v54, v67, v64
	s_delay_alu instid0(VALU_DEP_1) | instskip(NEXT) | instid1(VALU_DEP_2)
	v_add_f32_e32 v29, v55, v29
	v_sub_f32_e32 v55, v54, v67
	s_delay_alu instid0(VALU_DEP_2) | instskip(NEXT) | instid1(VALU_DEP_2)
	v_add_f32_e32 v29, v68, v29
	v_sub_f32_e32 v55, v64, v55
	s_delay_alu instid0(VALU_DEP_2) | instskip(NEXT) | instid1(VALU_DEP_1)
	v_mul_f32_e32 v29, v53, v29
	v_add_f32_e32 v29, v55, v29
	s_delay_alu instid0(VALU_DEP_1) | instskip(NEXT) | instid1(VALU_DEP_1)
	v_add_f32_e32 v53, v54, v29
	v_mul_f32_e32 v55, v53, v53
	s_delay_alu instid0(VALU_DEP_1) | instskip(SKIP_2) | instid1(VALU_DEP_3)
	v_fmaak_f32 v64, s19, v55, 0x3ecc95a3
	v_mul_f32_e32 v65, v53, v55
	v_cmp_eq_f32_e64 s19, 0x7f800000, v52
	v_fmaak_f32 v55, v55, v64, 0x3f2aaada
	v_ldexp_f32 v64, v53, 1
	v_sub_f32_e32 v53, v53, v54
	s_delay_alu instid0(VALU_DEP_4) | instskip(NEXT) | instid1(VALU_DEP_3)
	s_or_b32 s19, s19, s21
	v_mul_f32_e32 v55, v65, v55
	v_mul_f32_e32 v65, 0x3f317218, v28
	s_delay_alu instid0(VALU_DEP_2) | instskip(NEXT) | instid1(VALU_DEP_1)
	v_dual_sub_f32 v29, v29, v53 :: v_dual_add_f32 v54, v64, v55
	v_ldexp_f32 v29, v29, 1
	s_delay_alu instid0(VALU_DEP_2) | instskip(NEXT) | instid1(VALU_DEP_4)
	v_sub_f32_e32 v53, v54, v64
	v_fma_f32 v64, 0x3f317218, v28, -v65
	s_delay_alu instid0(VALU_DEP_1) | instskip(NEXT) | instid1(VALU_DEP_1)
	v_dual_sub_f32 v53, v55, v53 :: v_dual_fmamk_f32 v28, v28, 0xb102e308, v64
	v_add_f32_e32 v29, v29, v53
	s_delay_alu instid0(VALU_DEP_2) | instskip(NEXT) | instid1(VALU_DEP_2)
	v_add_f32_e32 v53, v65, v28
	v_add_f32_e32 v55, v54, v29
	s_delay_alu instid0(VALU_DEP_2) | instskip(NEXT) | instid1(VALU_DEP_2)
	v_sub_f32_e32 v65, v53, v65
	v_add_f32_e32 v64, v53, v55
	v_sub_f32_e32 v54, v55, v54
	s_delay_alu instid0(VALU_DEP_3) | instskip(NEXT) | instid1(VALU_DEP_2)
	v_sub_f32_e32 v28, v28, v65
	v_dual_sub_f32 v66, v64, v53 :: v_dual_sub_f32 v29, v29, v54
	s_delay_alu instid0(VALU_DEP_1) | instskip(NEXT) | instid1(VALU_DEP_2)
	v_sub_f32_e32 v67, v64, v66
	v_dual_sub_f32 v54, v55, v66 :: v_dual_add_f32 v55, v28, v29
	s_delay_alu instid0(VALU_DEP_2) | instskip(NEXT) | instid1(VALU_DEP_1)
	v_sub_f32_e32 v53, v53, v67
	v_dual_add_f32 v53, v54, v53 :: v_dual_sub_f32 v54, v55, v28
	s_delay_alu instid0(VALU_DEP_1) | instskip(NEXT) | instid1(VALU_DEP_2)
	v_add_f32_e32 v53, v55, v53
	v_sub_f32_e32 v55, v55, v54
	v_sub_f32_e32 v29, v29, v54
	s_delay_alu instid0(VALU_DEP_3) | instskip(NEXT) | instid1(VALU_DEP_3)
	v_add_f32_e32 v65, v64, v53
	v_sub_f32_e32 v28, v28, v55
	s_delay_alu instid0(VALU_DEP_2) | instskip(NEXT) | instid1(VALU_DEP_2)
	v_sub_f32_e32 v54, v65, v64
	v_add_f32_e32 v28, v29, v28
	s_delay_alu instid0(VALU_DEP_2) | instskip(NEXT) | instid1(VALU_DEP_1)
	v_sub_f32_e32 v29, v53, v54
	v_add_f32_e32 v28, v28, v29
	s_delay_alu instid0(VALU_DEP_1) | instskip(NEXT) | instid1(VALU_DEP_1)
	v_add_f32_e32 v28, v65, v28
	v_cndmask_b32_e64 v28, v28, v52, s19
	s_delay_alu instid0(VALU_DEP_1) | instskip(NEXT) | instid1(VALU_DEP_1)
	v_add_f32_e32 v19, v19, v28
	v_cvt_f16_f32_e32 v29, v19
	s_delay_alu instid0(VALU_DEP_1)
	v_mov_b32_e32 v28, v29
	v_cvt_f32_f16_e32 v54, v29
.LBB362_274:
	s_or_b32 exec_lo, exec_lo, s20
	v_cvt_f32_f16_e32 v19, v37
	s_delay_alu instid0(VALU_DEP_2) | instskip(SKIP_1) | instid1(VALU_DEP_2)
	v_max_f32_e32 v52, v54, v54
	v_cmp_u_f16_e64 s19, v29, v29
	v_min_f32_e32 v53, v52, v19
	v_max_f32_e32 v52, v52, v19
	s_delay_alu instid0(VALU_DEP_2) | instskip(NEXT) | instid1(VALU_DEP_2)
	v_cndmask_b32_e64 v53, v53, v54, s19
	v_cndmask_b32_e64 v55, v52, v54, s19
	v_cmp_u_f16_e64 s19, v37, v37
	s_delay_alu instid0(VALU_DEP_1) | instskip(NEXT) | instid1(VALU_DEP_3)
	v_cndmask_b32_e64 v52, v53, v19, s19
	v_cndmask_b32_e64 v37, v55, v19, s19
	s_delay_alu instid0(VALU_DEP_2) | instskip(NEXT) | instid1(VALU_DEP_2)
	v_cmp_class_f32_e64 s21, v52, 0x1f8
	v_cmp_neq_f32_e64 s20, v52, v37
	s_delay_alu instid0(VALU_DEP_1) | instskip(NEXT) | instid1(SALU_CYCLE_1)
	s_or_b32 s20, s20, s21
	s_and_saveexec_b32 s21, s20
	s_cbranch_execz .LBB362_276
; %bb.275:
	v_sub_f32_e32 v28, v52, v37
	s_delay_alu instid0(VALU_DEP_1) | instskip(NEXT) | instid1(VALU_DEP_1)
	v_mul_f32_e32 v29, 0x3fb8aa3b, v28
	v_fma_f32 v52, 0x3fb8aa3b, v28, -v29
	v_rndne_f32_e32 v53, v29
	s_delay_alu instid0(VALU_DEP_1) | instskip(NEXT) | instid1(VALU_DEP_1)
	v_dual_fmamk_f32 v52, v28, 0x32a5705f, v52 :: v_dual_sub_f32 v29, v29, v53
	v_add_f32_e32 v29, v29, v52
	v_cvt_i32_f32_e32 v52, v53
	v_cmp_ngt_f32_e64 s20, 0xc2ce8ed0, v28
	s_delay_alu instid0(VALU_DEP_3) | instskip(SKIP_2) | instid1(VALU_DEP_1)
	v_exp_f32_e32 v29, v29
	s_waitcnt_depctr 0xfff
	v_ldexp_f32 v29, v29, v52
	v_cndmask_b32_e64 v29, 0, v29, s20
	v_cmp_nlt_f32_e64 s20, 0x42b17218, v28
	s_delay_alu instid0(VALU_DEP_1) | instskip(NEXT) | instid1(VALU_DEP_1)
	v_cndmask_b32_e64 v52, 0x7f800000, v29, s20
	v_add_f32_e32 v53, 1.0, v52
	v_cmp_gt_f32_e64 s24, 0x33800000, |v52|
	s_delay_alu instid0(VALU_DEP_2) | instskip(NEXT) | instid1(VALU_DEP_1)
	v_cvt_f64_f32_e32 v[28:29], v53
	v_frexp_exp_i32_f64_e32 v28, v[28:29]
	v_frexp_mant_f32_e32 v29, v53
	s_delay_alu instid0(VALU_DEP_1) | instskip(SKIP_1) | instid1(VALU_DEP_1)
	v_cmp_gt_f32_e64 s20, 0x3f2aaaab, v29
	v_add_f32_e32 v29, -1.0, v53
	v_sub_f32_e32 v55, v29, v53
	v_sub_f32_e32 v29, v52, v29
	s_delay_alu instid0(VALU_DEP_4) | instskip(SKIP_1) | instid1(VALU_DEP_1)
	v_subrev_co_ci_u32_e64 v28, s20, 0, v28, s20
	s_mov_b32 s20, 0x3e9b6dac
	v_sub_nc_u32_e32 v54, 0, v28
	v_cvt_f32_i32_e32 v28, v28
	s_delay_alu instid0(VALU_DEP_2) | instskip(NEXT) | instid1(VALU_DEP_1)
	v_ldexp_f32 v53, v53, v54
	v_dual_add_f32 v55, 1.0, v55 :: v_dual_add_f32 v64, 1.0, v53
	s_delay_alu instid0(VALU_DEP_1) | instskip(NEXT) | instid1(VALU_DEP_2)
	v_add_f32_e32 v29, v29, v55
	v_add_f32_e32 v55, -1.0, v64
	s_delay_alu instid0(VALU_DEP_2) | instskip(NEXT) | instid1(VALU_DEP_2)
	v_ldexp_f32 v29, v29, v54
	v_dual_add_f32 v54, -1.0, v53 :: v_dual_sub_f32 v55, v53, v55
	s_delay_alu instid0(VALU_DEP_1) | instskip(NEXT) | instid1(VALU_DEP_2)
	v_add_f32_e32 v65, 1.0, v54
	v_add_f32_e32 v55, v29, v55
	s_delay_alu instid0(VALU_DEP_2) | instskip(NEXT) | instid1(VALU_DEP_2)
	v_sub_f32_e32 v53, v53, v65
	v_add_f32_e32 v65, v64, v55
	s_delay_alu instid0(VALU_DEP_2) | instskip(NEXT) | instid1(VALU_DEP_2)
	v_add_f32_e32 v29, v29, v53
	v_rcp_f32_e32 v53, v65
	v_sub_f32_e32 v64, v64, v65
	s_delay_alu instid0(VALU_DEP_1) | instskip(NEXT) | instid1(VALU_DEP_1)
	v_dual_add_f32 v66, v54, v29 :: v_dual_add_f32 v55, v55, v64
	v_sub_f32_e32 v54, v54, v66
	s_waitcnt_depctr 0xfff
	v_mul_f32_e32 v67, v66, v53
	v_add_f32_e32 v29, v29, v54
	s_delay_alu instid0(VALU_DEP_2) | instskip(NEXT) | instid1(VALU_DEP_1)
	v_mul_f32_e32 v68, v65, v67
	v_fma_f32 v64, v67, v65, -v68
	s_delay_alu instid0(VALU_DEP_1) | instskip(NEXT) | instid1(VALU_DEP_1)
	v_fmac_f32_e32 v64, v67, v55
	v_add_f32_e32 v69, v68, v64
	s_delay_alu instid0(VALU_DEP_1) | instskip(SKIP_1) | instid1(VALU_DEP_2)
	v_sub_f32_e32 v70, v66, v69
	v_sub_f32_e32 v54, v69, v68
	;; [unrolled: 1-line block ×3, first 2 shown]
	s_delay_alu instid0(VALU_DEP_2) | instskip(NEXT) | instid1(VALU_DEP_2)
	v_sub_f32_e32 v54, v54, v64
	v_sub_f32_e32 v66, v66, v69
	s_delay_alu instid0(VALU_DEP_1) | instskip(NEXT) | instid1(VALU_DEP_1)
	v_add_f32_e32 v29, v29, v66
	v_add_f32_e32 v29, v54, v29
	s_delay_alu instid0(VALU_DEP_1) | instskip(NEXT) | instid1(VALU_DEP_1)
	v_add_f32_e32 v54, v70, v29
	v_mul_f32_e32 v64, v53, v54
	s_delay_alu instid0(VALU_DEP_1) | instskip(NEXT) | instid1(VALU_DEP_1)
	v_dual_sub_f32 v69, v70, v54 :: v_dual_mul_f32 v66, v65, v64
	v_add_f32_e32 v29, v29, v69
	s_delay_alu instid0(VALU_DEP_2) | instskip(NEXT) | instid1(VALU_DEP_1)
	v_fma_f32 v65, v64, v65, -v66
	v_fmac_f32_e32 v65, v64, v55
	s_delay_alu instid0(VALU_DEP_1) | instskip(NEXT) | instid1(VALU_DEP_1)
	v_add_f32_e32 v55, v66, v65
	v_sub_f32_e32 v68, v54, v55
	v_sub_f32_e32 v66, v55, v66
	s_delay_alu instid0(VALU_DEP_2) | instskip(NEXT) | instid1(VALU_DEP_1)
	v_sub_f32_e32 v54, v54, v68
	v_sub_f32_e32 v54, v54, v55
	s_delay_alu instid0(VALU_DEP_1) | instskip(NEXT) | instid1(VALU_DEP_4)
	v_dual_add_f32 v29, v29, v54 :: v_dual_add_f32 v54, v67, v64
	v_sub_f32_e32 v55, v66, v65
	s_delay_alu instid0(VALU_DEP_1) | instskip(NEXT) | instid1(VALU_DEP_3)
	v_add_f32_e32 v29, v55, v29
	v_sub_f32_e32 v55, v54, v67
	s_delay_alu instid0(VALU_DEP_2) | instskip(NEXT) | instid1(VALU_DEP_2)
	v_add_f32_e32 v29, v68, v29
	v_sub_f32_e32 v55, v64, v55
	s_delay_alu instid0(VALU_DEP_2) | instskip(NEXT) | instid1(VALU_DEP_1)
	v_mul_f32_e32 v29, v53, v29
	v_add_f32_e32 v29, v55, v29
	s_delay_alu instid0(VALU_DEP_1) | instskip(NEXT) | instid1(VALU_DEP_1)
	v_add_f32_e32 v53, v54, v29
	v_mul_f32_e32 v55, v53, v53
	s_delay_alu instid0(VALU_DEP_1) | instskip(SKIP_2) | instid1(VALU_DEP_3)
	v_fmaak_f32 v64, s20, v55, 0x3ecc95a3
	v_mul_f32_e32 v65, v53, v55
	v_cmp_eq_f32_e64 s20, 0x7f800000, v52
	v_fmaak_f32 v55, v55, v64, 0x3f2aaada
	v_ldexp_f32 v64, v53, 1
	v_sub_f32_e32 v53, v53, v54
	s_delay_alu instid0(VALU_DEP_4) | instskip(NEXT) | instid1(VALU_DEP_3)
	s_or_b32 s20, s20, s24
	v_mul_f32_e32 v55, v65, v55
	v_mul_f32_e32 v65, 0x3f317218, v28
	s_delay_alu instid0(VALU_DEP_2) | instskip(NEXT) | instid1(VALU_DEP_1)
	v_dual_sub_f32 v29, v29, v53 :: v_dual_add_f32 v54, v64, v55
	v_ldexp_f32 v29, v29, 1
	s_delay_alu instid0(VALU_DEP_2) | instskip(NEXT) | instid1(VALU_DEP_4)
	v_sub_f32_e32 v53, v54, v64
	v_fma_f32 v64, 0x3f317218, v28, -v65
	s_delay_alu instid0(VALU_DEP_1) | instskip(NEXT) | instid1(VALU_DEP_1)
	v_dual_sub_f32 v53, v55, v53 :: v_dual_fmamk_f32 v28, v28, 0xb102e308, v64
	v_add_f32_e32 v29, v29, v53
	s_delay_alu instid0(VALU_DEP_2) | instskip(NEXT) | instid1(VALU_DEP_2)
	v_add_f32_e32 v53, v65, v28
	v_add_f32_e32 v55, v54, v29
	s_delay_alu instid0(VALU_DEP_2) | instskip(NEXT) | instid1(VALU_DEP_2)
	v_sub_f32_e32 v65, v53, v65
	v_add_f32_e32 v64, v53, v55
	v_sub_f32_e32 v54, v55, v54
	s_delay_alu instid0(VALU_DEP_3) | instskip(NEXT) | instid1(VALU_DEP_2)
	v_sub_f32_e32 v28, v28, v65
	v_dual_sub_f32 v66, v64, v53 :: v_dual_sub_f32 v29, v29, v54
	s_delay_alu instid0(VALU_DEP_1) | instskip(NEXT) | instid1(VALU_DEP_2)
	v_sub_f32_e32 v67, v64, v66
	v_dual_sub_f32 v54, v55, v66 :: v_dual_add_f32 v55, v28, v29
	s_delay_alu instid0(VALU_DEP_2) | instskip(NEXT) | instid1(VALU_DEP_1)
	v_sub_f32_e32 v53, v53, v67
	v_dual_add_f32 v53, v54, v53 :: v_dual_sub_f32 v54, v55, v28
	s_delay_alu instid0(VALU_DEP_1) | instskip(NEXT) | instid1(VALU_DEP_2)
	v_add_f32_e32 v53, v55, v53
	v_sub_f32_e32 v55, v55, v54
	v_sub_f32_e32 v29, v29, v54
	s_delay_alu instid0(VALU_DEP_3) | instskip(NEXT) | instid1(VALU_DEP_3)
	v_add_f32_e32 v65, v64, v53
	v_sub_f32_e32 v28, v28, v55
	s_delay_alu instid0(VALU_DEP_2) | instskip(NEXT) | instid1(VALU_DEP_2)
	v_sub_f32_e32 v54, v65, v64
	v_add_f32_e32 v28, v29, v28
	s_delay_alu instid0(VALU_DEP_2) | instskip(NEXT) | instid1(VALU_DEP_1)
	v_sub_f32_e32 v29, v53, v54
	v_add_f32_e32 v28, v28, v29
	s_delay_alu instid0(VALU_DEP_1) | instskip(NEXT) | instid1(VALU_DEP_1)
	v_add_f32_e32 v28, v65, v28
	v_cndmask_b32_e64 v28, v28, v52, s20
	s_delay_alu instid0(VALU_DEP_1) | instskip(NEXT) | instid1(VALU_DEP_1)
	v_add_f32_e32 v28, v37, v28
	v_cvt_f16_f32_e32 v29, v28
	s_delay_alu instid0(VALU_DEP_1)
	v_cvt_f32_f16_e32 v54, v29
	v_mov_b32_e32 v28, v29
.LBB362_276:
	s_or_b32 exec_lo, exec_lo, s21
	v_cvt_f32_f16_e32 v37, v36
	s_delay_alu instid0(VALU_DEP_3) | instskip(SKIP_1) | instid1(VALU_DEP_2)
	v_max_f32_e32 v52, v54, v54
	v_cmp_u_f16_e64 s20, v29, v29
	v_min_f32_e32 v53, v52, v37
	v_max_f32_e32 v52, v52, v37
	s_delay_alu instid0(VALU_DEP_2) | instskip(NEXT) | instid1(VALU_DEP_2)
	v_cndmask_b32_e64 v53, v53, v54, s20
	v_cndmask_b32_e64 v55, v52, v54, s20
	v_cmp_u_f16_e64 s20, v36, v36
	s_delay_alu instid0(VALU_DEP_1) | instskip(NEXT) | instid1(VALU_DEP_3)
	v_cndmask_b32_e64 v52, v53, v37, s20
	v_cndmask_b32_e64 v36, v55, v37, s20
	s_delay_alu instid0(VALU_DEP_2) | instskip(NEXT) | instid1(VALU_DEP_2)
	v_cmp_class_f32_e64 s24, v52, 0x1f8
	v_cmp_neq_f32_e64 s21, v52, v36
	s_delay_alu instid0(VALU_DEP_1) | instskip(NEXT) | instid1(SALU_CYCLE_1)
	s_or_b32 s21, s21, s24
	s_and_saveexec_b32 s24, s21
	s_cbranch_execz .LBB362_278
; %bb.277:
	v_sub_f32_e32 v28, v52, v36
	s_delay_alu instid0(VALU_DEP_1) | instskip(NEXT) | instid1(VALU_DEP_1)
	v_mul_f32_e32 v29, 0x3fb8aa3b, v28
	v_fma_f32 v52, 0x3fb8aa3b, v28, -v29
	v_rndne_f32_e32 v53, v29
	s_delay_alu instid0(VALU_DEP_1) | instskip(SKIP_1) | instid1(VALU_DEP_2)
	v_dual_sub_f32 v29, v29, v53 :: v_dual_fmamk_f32 v52, v28, 0x32a5705f, v52
	v_cmp_ngt_f32_e64 s21, 0xc2ce8ed0, v28
	v_add_f32_e32 v29, v29, v52
	v_cvt_i32_f32_e32 v52, v53
	s_delay_alu instid0(VALU_DEP_2) | instskip(SKIP_2) | instid1(VALU_DEP_1)
	v_exp_f32_e32 v29, v29
	s_waitcnt_depctr 0xfff
	v_ldexp_f32 v29, v29, v52
	v_cndmask_b32_e64 v29, 0, v29, s21
	v_cmp_nlt_f32_e64 s21, 0x42b17218, v28
	s_delay_alu instid0(VALU_DEP_1) | instskip(NEXT) | instid1(VALU_DEP_1)
	v_cndmask_b32_e64 v52, 0x7f800000, v29, s21
	v_add_f32_e32 v53, 1.0, v52
	v_cmp_gt_f32_e64 s25, 0x33800000, |v52|
	s_delay_alu instid0(VALU_DEP_2) | instskip(NEXT) | instid1(VALU_DEP_1)
	v_cvt_f64_f32_e32 v[28:29], v53
	v_frexp_exp_i32_f64_e32 v28, v[28:29]
	v_frexp_mant_f32_e32 v29, v53
	s_delay_alu instid0(VALU_DEP_1) | instskip(SKIP_1) | instid1(VALU_DEP_1)
	v_cmp_gt_f32_e64 s21, 0x3f2aaaab, v29
	v_add_f32_e32 v29, -1.0, v53
	v_sub_f32_e32 v55, v29, v53
	v_sub_f32_e32 v29, v52, v29
	s_delay_alu instid0(VALU_DEP_4) | instskip(SKIP_1) | instid1(VALU_DEP_1)
	v_subrev_co_ci_u32_e64 v28, s21, 0, v28, s21
	s_mov_b32 s21, 0x3e9b6dac
	v_sub_nc_u32_e32 v54, 0, v28
	v_cvt_f32_i32_e32 v28, v28
	s_delay_alu instid0(VALU_DEP_2) | instskip(NEXT) | instid1(VALU_DEP_1)
	v_ldexp_f32 v53, v53, v54
	v_dual_add_f32 v64, 1.0, v53 :: v_dual_add_f32 v55, 1.0, v55
	s_delay_alu instid0(VALU_DEP_1) | instskip(NEXT) | instid1(VALU_DEP_2)
	v_add_f32_e32 v29, v29, v55
	v_add_f32_e32 v55, -1.0, v64
	s_delay_alu instid0(VALU_DEP_2) | instskip(NEXT) | instid1(VALU_DEP_2)
	v_ldexp_f32 v29, v29, v54
	v_dual_add_f32 v54, -1.0, v53 :: v_dual_sub_f32 v55, v53, v55
	s_delay_alu instid0(VALU_DEP_1) | instskip(NEXT) | instid1(VALU_DEP_2)
	v_add_f32_e32 v65, 1.0, v54
	v_add_f32_e32 v55, v29, v55
	s_delay_alu instid0(VALU_DEP_2) | instskip(NEXT) | instid1(VALU_DEP_2)
	v_sub_f32_e32 v53, v53, v65
	v_add_f32_e32 v65, v64, v55
	s_delay_alu instid0(VALU_DEP_2) | instskip(NEXT) | instid1(VALU_DEP_2)
	v_add_f32_e32 v29, v29, v53
	v_rcp_f32_e32 v53, v65
	v_sub_f32_e32 v64, v64, v65
	s_delay_alu instid0(VALU_DEP_1) | instskip(NEXT) | instid1(VALU_DEP_1)
	v_dual_add_f32 v66, v54, v29 :: v_dual_add_f32 v55, v55, v64
	v_sub_f32_e32 v54, v54, v66
	s_waitcnt_depctr 0xfff
	v_mul_f32_e32 v67, v66, v53
	v_add_f32_e32 v29, v29, v54
	s_delay_alu instid0(VALU_DEP_2) | instskip(NEXT) | instid1(VALU_DEP_1)
	v_mul_f32_e32 v68, v65, v67
	v_fma_f32 v64, v67, v65, -v68
	s_delay_alu instid0(VALU_DEP_1) | instskip(NEXT) | instid1(VALU_DEP_1)
	v_fmac_f32_e32 v64, v67, v55
	v_add_f32_e32 v69, v68, v64
	s_delay_alu instid0(VALU_DEP_1) | instskip(SKIP_1) | instid1(VALU_DEP_2)
	v_sub_f32_e32 v70, v66, v69
	v_sub_f32_e32 v54, v69, v68
	;; [unrolled: 1-line block ×3, first 2 shown]
	s_delay_alu instid0(VALU_DEP_2) | instskip(NEXT) | instid1(VALU_DEP_2)
	v_sub_f32_e32 v54, v54, v64
	v_sub_f32_e32 v66, v66, v69
	s_delay_alu instid0(VALU_DEP_1) | instskip(NEXT) | instid1(VALU_DEP_1)
	v_add_f32_e32 v29, v29, v66
	v_add_f32_e32 v29, v54, v29
	s_delay_alu instid0(VALU_DEP_1) | instskip(NEXT) | instid1(VALU_DEP_1)
	v_add_f32_e32 v54, v70, v29
	v_mul_f32_e32 v64, v53, v54
	s_delay_alu instid0(VALU_DEP_1) | instskip(NEXT) | instid1(VALU_DEP_1)
	v_dual_sub_f32 v69, v70, v54 :: v_dual_mul_f32 v66, v65, v64
	v_add_f32_e32 v29, v29, v69
	s_delay_alu instid0(VALU_DEP_2) | instskip(NEXT) | instid1(VALU_DEP_1)
	v_fma_f32 v65, v64, v65, -v66
	v_fmac_f32_e32 v65, v64, v55
	s_delay_alu instid0(VALU_DEP_1) | instskip(NEXT) | instid1(VALU_DEP_1)
	v_add_f32_e32 v55, v66, v65
	v_sub_f32_e32 v68, v54, v55
	v_sub_f32_e32 v66, v55, v66
	s_delay_alu instid0(VALU_DEP_2) | instskip(NEXT) | instid1(VALU_DEP_1)
	v_sub_f32_e32 v54, v54, v68
	v_sub_f32_e32 v54, v54, v55
	s_delay_alu instid0(VALU_DEP_3) | instskip(NEXT) | instid1(VALU_DEP_2)
	v_sub_f32_e32 v55, v66, v65
	v_dual_add_f32 v29, v29, v54 :: v_dual_add_f32 v54, v67, v64
	s_delay_alu instid0(VALU_DEP_1) | instskip(NEXT) | instid1(VALU_DEP_2)
	v_add_f32_e32 v29, v55, v29
	v_sub_f32_e32 v55, v54, v67
	s_delay_alu instid0(VALU_DEP_2) | instskip(NEXT) | instid1(VALU_DEP_2)
	v_add_f32_e32 v29, v68, v29
	v_sub_f32_e32 v55, v64, v55
	s_delay_alu instid0(VALU_DEP_2) | instskip(NEXT) | instid1(VALU_DEP_1)
	v_mul_f32_e32 v29, v53, v29
	v_add_f32_e32 v29, v55, v29
	s_delay_alu instid0(VALU_DEP_1) | instskip(NEXT) | instid1(VALU_DEP_1)
	v_add_f32_e32 v53, v54, v29
	v_mul_f32_e32 v55, v53, v53
	s_delay_alu instid0(VALU_DEP_1) | instskip(SKIP_2) | instid1(VALU_DEP_3)
	v_fmaak_f32 v64, s21, v55, 0x3ecc95a3
	v_mul_f32_e32 v65, v53, v55
	v_cmp_eq_f32_e64 s21, 0x7f800000, v52
	v_fmaak_f32 v55, v55, v64, 0x3f2aaada
	v_ldexp_f32 v64, v53, 1
	v_sub_f32_e32 v53, v53, v54
	s_delay_alu instid0(VALU_DEP_4) | instskip(NEXT) | instid1(VALU_DEP_3)
	s_or_b32 s21, s21, s25
	v_mul_f32_e32 v55, v65, v55
	v_mul_f32_e32 v65, 0x3f317218, v28
	s_delay_alu instid0(VALU_DEP_2) | instskip(NEXT) | instid1(VALU_DEP_1)
	v_dual_sub_f32 v29, v29, v53 :: v_dual_add_f32 v54, v64, v55
	v_ldexp_f32 v29, v29, 1
	s_delay_alu instid0(VALU_DEP_2) | instskip(NEXT) | instid1(VALU_DEP_4)
	v_sub_f32_e32 v53, v54, v64
	v_fma_f32 v64, 0x3f317218, v28, -v65
	s_delay_alu instid0(VALU_DEP_1) | instskip(NEXT) | instid1(VALU_DEP_1)
	v_dual_sub_f32 v53, v55, v53 :: v_dual_fmamk_f32 v28, v28, 0xb102e308, v64
	v_add_f32_e32 v29, v29, v53
	s_delay_alu instid0(VALU_DEP_2) | instskip(NEXT) | instid1(VALU_DEP_2)
	v_add_f32_e32 v53, v65, v28
	v_add_f32_e32 v55, v54, v29
	s_delay_alu instid0(VALU_DEP_2) | instskip(NEXT) | instid1(VALU_DEP_2)
	v_sub_f32_e32 v65, v53, v65
	v_add_f32_e32 v64, v53, v55
	v_sub_f32_e32 v54, v55, v54
	s_delay_alu instid0(VALU_DEP_3) | instskip(NEXT) | instid1(VALU_DEP_2)
	v_sub_f32_e32 v28, v28, v65
	v_dual_sub_f32 v66, v64, v53 :: v_dual_sub_f32 v29, v29, v54
	s_delay_alu instid0(VALU_DEP_1) | instskip(NEXT) | instid1(VALU_DEP_2)
	v_sub_f32_e32 v67, v64, v66
	v_dual_sub_f32 v54, v55, v66 :: v_dual_add_f32 v55, v28, v29
	s_delay_alu instid0(VALU_DEP_2) | instskip(NEXT) | instid1(VALU_DEP_1)
	v_sub_f32_e32 v53, v53, v67
	v_dual_add_f32 v53, v54, v53 :: v_dual_sub_f32 v54, v55, v28
	s_delay_alu instid0(VALU_DEP_1) | instskip(NEXT) | instid1(VALU_DEP_2)
	v_add_f32_e32 v53, v55, v53
	v_sub_f32_e32 v55, v55, v54
	v_sub_f32_e32 v29, v29, v54
	s_delay_alu instid0(VALU_DEP_3) | instskip(NEXT) | instid1(VALU_DEP_3)
	v_add_f32_e32 v65, v64, v53
	v_sub_f32_e32 v28, v28, v55
	s_delay_alu instid0(VALU_DEP_2) | instskip(NEXT) | instid1(VALU_DEP_2)
	v_sub_f32_e32 v54, v65, v64
	v_add_f32_e32 v28, v29, v28
	s_delay_alu instid0(VALU_DEP_2) | instskip(NEXT) | instid1(VALU_DEP_1)
	v_sub_f32_e32 v29, v53, v54
	v_add_f32_e32 v28, v28, v29
	s_delay_alu instid0(VALU_DEP_1) | instskip(NEXT) | instid1(VALU_DEP_1)
	v_add_f32_e32 v28, v65, v28
	v_cndmask_b32_e64 v28, v28, v52, s21
	s_delay_alu instid0(VALU_DEP_1) | instskip(NEXT) | instid1(VALU_DEP_1)
	v_add_f32_e32 v28, v36, v28
	v_cvt_f16_f32_e32 v29, v28
	s_delay_alu instid0(VALU_DEP_1)
	v_mov_b32_e32 v28, v29
	v_cvt_f32_f16_e32 v54, v29
.LBB362_278:
	s_or_b32 exec_lo, exec_lo, s24
	v_cvt_f32_f16_e32 v36, v35
	s_delay_alu instid0(VALU_DEP_2) | instskip(SKIP_1) | instid1(VALU_DEP_2)
	v_max_f32_e32 v52, v54, v54
	v_cmp_u_f16_e64 s21, v29, v29
	v_min_f32_e32 v53, v52, v36
	v_max_f32_e32 v52, v52, v36
	s_delay_alu instid0(VALU_DEP_2) | instskip(NEXT) | instid1(VALU_DEP_2)
	v_cndmask_b32_e64 v29, v53, v54, s21
	v_cndmask_b32_e64 v52, v52, v54, s21
	v_cmp_u_f16_e64 s21, v35, v35
	s_delay_alu instid0(VALU_DEP_1) | instskip(NEXT) | instid1(VALU_DEP_3)
	v_cndmask_b32_e64 v35, v29, v36, s21
	v_cndmask_b32_e64 v29, v52, v36, s21
	s_delay_alu instid0(VALU_DEP_2) | instskip(NEXT) | instid1(VALU_DEP_2)
	v_cmp_class_f32_e64 s25, v35, 0x1f8
	v_cmp_neq_f32_e64 s24, v35, v29
	s_delay_alu instid0(VALU_DEP_1) | instskip(NEXT) | instid1(SALU_CYCLE_1)
	s_or_b32 s24, s24, s25
	s_and_saveexec_b32 s25, s24
	s_cbranch_execz .LBB362_280
; %bb.279:
	v_sub_f32_e32 v28, v35, v29
	s_delay_alu instid0(VALU_DEP_1) | instskip(SKIP_1) | instid1(VALU_DEP_2)
	v_mul_f32_e32 v35, 0x3fb8aa3b, v28
	v_cmp_ngt_f32_e64 s24, 0xc2ce8ed0, v28
	v_fma_f32 v52, 0x3fb8aa3b, v28, -v35
	v_rndne_f32_e32 v53, v35
	s_delay_alu instid0(VALU_DEP_1) | instskip(NEXT) | instid1(VALU_DEP_1)
	v_dual_fmamk_f32 v52, v28, 0x32a5705f, v52 :: v_dual_sub_f32 v35, v35, v53
	v_add_f32_e32 v35, v35, v52
	v_cvt_i32_f32_e32 v52, v53
	s_delay_alu instid0(VALU_DEP_2) | instskip(SKIP_2) | instid1(VALU_DEP_1)
	v_exp_f32_e32 v35, v35
	s_waitcnt_depctr 0xfff
	v_ldexp_f32 v35, v35, v52
	v_cndmask_b32_e64 v35, 0, v35, s24
	v_cmp_nlt_f32_e64 s24, 0x42b17218, v28
	s_delay_alu instid0(VALU_DEP_1) | instskip(NEXT) | instid1(VALU_DEP_1)
	v_cndmask_b32_e64 v28, 0x7f800000, v35, s24
	v_add_f32_e32 v35, 1.0, v28
	v_cmp_gt_f32_e64 s26, 0x33800000, |v28|
	s_delay_alu instid0(VALU_DEP_2) | instskip(NEXT) | instid1(VALU_DEP_1)
	v_cvt_f64_f32_e32 v[52:53], v35
	v_frexp_exp_i32_f64_e32 v52, v[52:53]
	v_frexp_mant_f32_e32 v53, v35
	s_delay_alu instid0(VALU_DEP_1) | instskip(SKIP_1) | instid1(VALU_DEP_1)
	v_cmp_gt_f32_e64 s24, 0x3f2aaaab, v53
	v_add_f32_e32 v53, -1.0, v35
	v_sub_f32_e32 v55, v53, v35
	s_delay_alu instid0(VALU_DEP_1) | instskip(NEXT) | instid1(VALU_DEP_4)
	v_add_f32_e32 v55, 1.0, v55
	v_subrev_co_ci_u32_e64 v52, s24, 0, v52, s24
	s_mov_b32 s24, 0x3e9b6dac
	s_delay_alu instid0(VALU_DEP_1) | instskip(SKIP_1) | instid1(VALU_DEP_2)
	v_sub_nc_u32_e32 v54, 0, v52
	v_cvt_f32_i32_e32 v52, v52
	v_ldexp_f32 v35, v35, v54
	s_delay_alu instid0(VALU_DEP_1) | instskip(NEXT) | instid1(VALU_DEP_1)
	v_dual_sub_f32 v53, v28, v53 :: v_dual_add_f32 v64, 1.0, v35
	v_add_f32_e32 v53, v53, v55
	s_delay_alu instid0(VALU_DEP_2) | instskip(NEXT) | instid1(VALU_DEP_2)
	v_add_f32_e32 v55, -1.0, v64
	v_ldexp_f32 v53, v53, v54
	v_add_f32_e32 v54, -1.0, v35
	s_delay_alu instid0(VALU_DEP_3) | instskip(NEXT) | instid1(VALU_DEP_2)
	v_sub_f32_e32 v55, v35, v55
	v_add_f32_e32 v65, 1.0, v54
	s_delay_alu instid0(VALU_DEP_2) | instskip(NEXT) | instid1(VALU_DEP_2)
	v_add_f32_e32 v55, v53, v55
	v_sub_f32_e32 v35, v35, v65
	s_delay_alu instid0(VALU_DEP_2) | instskip(NEXT) | instid1(VALU_DEP_2)
	v_add_f32_e32 v65, v64, v55
	v_add_f32_e32 v35, v53, v35
	s_delay_alu instid0(VALU_DEP_2) | instskip(SKIP_1) | instid1(VALU_DEP_1)
	v_rcp_f32_e32 v53, v65
	v_sub_f32_e32 v64, v64, v65
	v_dual_add_f32 v66, v54, v35 :: v_dual_add_f32 v55, v55, v64
	s_delay_alu instid0(VALU_DEP_1) | instskip(SKIP_2) | instid1(VALU_DEP_1)
	v_sub_f32_e32 v54, v54, v66
	s_waitcnt_depctr 0xfff
	v_mul_f32_e32 v67, v66, v53
	v_dual_add_f32 v35, v35, v54 :: v_dual_mul_f32 v68, v65, v67
	s_delay_alu instid0(VALU_DEP_1) | instskip(NEXT) | instid1(VALU_DEP_1)
	v_fma_f32 v64, v67, v65, -v68
	v_fmac_f32_e32 v64, v67, v55
	s_delay_alu instid0(VALU_DEP_1) | instskip(NEXT) | instid1(VALU_DEP_1)
	v_add_f32_e32 v69, v68, v64
	v_sub_f32_e32 v70, v66, v69
	v_sub_f32_e32 v54, v69, v68
	s_delay_alu instid0(VALU_DEP_2) | instskip(NEXT) | instid1(VALU_DEP_2)
	v_sub_f32_e32 v66, v66, v70
	v_sub_f32_e32 v54, v54, v64
	s_delay_alu instid0(VALU_DEP_2) | instskip(NEXT) | instid1(VALU_DEP_1)
	v_sub_f32_e32 v66, v66, v69
	v_add_f32_e32 v35, v35, v66
	s_delay_alu instid0(VALU_DEP_1) | instskip(NEXT) | instid1(VALU_DEP_1)
	v_add_f32_e32 v35, v54, v35
	v_add_f32_e32 v54, v70, v35
	s_delay_alu instid0(VALU_DEP_1) | instskip(NEXT) | instid1(VALU_DEP_1)
	v_mul_f32_e32 v64, v53, v54
	v_dual_sub_f32 v69, v70, v54 :: v_dual_mul_f32 v66, v65, v64
	s_delay_alu instid0(VALU_DEP_1) | instskip(NEXT) | instid1(VALU_DEP_1)
	v_fma_f32 v65, v64, v65, -v66
	v_fmac_f32_e32 v65, v64, v55
	s_delay_alu instid0(VALU_DEP_1) | instskip(NEXT) | instid1(VALU_DEP_1)
	v_add_f32_e32 v55, v66, v65
	v_sub_f32_e32 v68, v54, v55
	v_sub_f32_e32 v66, v55, v66
	s_delay_alu instid0(VALU_DEP_2) | instskip(NEXT) | instid1(VALU_DEP_1)
	v_dual_add_f32 v35, v35, v69 :: v_dual_sub_f32 v54, v54, v68
	v_sub_f32_e32 v54, v54, v55
	s_delay_alu instid0(VALU_DEP_1) | instskip(NEXT) | instid1(VALU_DEP_4)
	v_add_f32_e32 v35, v35, v54
	v_dual_add_f32 v54, v67, v64 :: v_dual_sub_f32 v55, v66, v65
	s_delay_alu instid0(VALU_DEP_1) | instskip(NEXT) | instid1(VALU_DEP_2)
	v_add_f32_e32 v35, v55, v35
	v_sub_f32_e32 v55, v54, v67
	s_delay_alu instid0(VALU_DEP_2) | instskip(NEXT) | instid1(VALU_DEP_2)
	v_add_f32_e32 v35, v68, v35
	v_sub_f32_e32 v55, v64, v55
	s_delay_alu instid0(VALU_DEP_2) | instskip(NEXT) | instid1(VALU_DEP_1)
	v_mul_f32_e32 v35, v53, v35
	v_add_f32_e32 v35, v55, v35
	s_delay_alu instid0(VALU_DEP_1) | instskip(NEXT) | instid1(VALU_DEP_1)
	v_add_f32_e32 v53, v54, v35
	v_mul_f32_e32 v55, v53, v53
	s_delay_alu instid0(VALU_DEP_1) | instskip(SKIP_2) | instid1(VALU_DEP_3)
	v_fmaak_f32 v64, s24, v55, 0x3ecc95a3
	v_mul_f32_e32 v65, v53, v55
	v_cmp_eq_f32_e64 s24, 0x7f800000, v28
	v_fmaak_f32 v55, v55, v64, 0x3f2aaada
	v_ldexp_f32 v64, v53, 1
	v_sub_f32_e32 v53, v53, v54
	s_delay_alu instid0(VALU_DEP_4) | instskip(NEXT) | instid1(VALU_DEP_3)
	s_or_b32 s24, s24, s26
	v_mul_f32_e32 v55, v65, v55
	v_mul_f32_e32 v65, 0x3f317218, v52
	s_delay_alu instid0(VALU_DEP_2) | instskip(NEXT) | instid1(VALU_DEP_1)
	v_dual_sub_f32 v35, v35, v53 :: v_dual_add_f32 v54, v64, v55
	v_ldexp_f32 v35, v35, 1
	s_delay_alu instid0(VALU_DEP_2) | instskip(NEXT) | instid1(VALU_DEP_4)
	v_sub_f32_e32 v53, v54, v64
	v_fma_f32 v64, 0x3f317218, v52, -v65
	s_delay_alu instid0(VALU_DEP_1) | instskip(NEXT) | instid1(VALU_DEP_1)
	v_dual_sub_f32 v53, v55, v53 :: v_dual_fmamk_f32 v52, v52, 0xb102e308, v64
	v_add_f32_e32 v35, v35, v53
	s_delay_alu instid0(VALU_DEP_2) | instskip(NEXT) | instid1(VALU_DEP_2)
	v_add_f32_e32 v53, v65, v52
	v_add_f32_e32 v55, v54, v35
	s_delay_alu instid0(VALU_DEP_2) | instskip(NEXT) | instid1(VALU_DEP_2)
	v_sub_f32_e32 v65, v53, v65
	v_add_f32_e32 v64, v53, v55
	v_sub_f32_e32 v54, v55, v54
	s_delay_alu instid0(VALU_DEP_3) | instskip(NEXT) | instid1(VALU_DEP_2)
	v_sub_f32_e32 v52, v52, v65
	v_dual_sub_f32 v66, v64, v53 :: v_dual_sub_f32 v35, v35, v54
	s_delay_alu instid0(VALU_DEP_1) | instskip(NEXT) | instid1(VALU_DEP_2)
	v_sub_f32_e32 v67, v64, v66
	v_dual_sub_f32 v54, v55, v66 :: v_dual_add_f32 v55, v52, v35
	s_delay_alu instid0(VALU_DEP_2) | instskip(NEXT) | instid1(VALU_DEP_1)
	v_sub_f32_e32 v53, v53, v67
	v_dual_add_f32 v53, v54, v53 :: v_dual_sub_f32 v54, v55, v52
	s_delay_alu instid0(VALU_DEP_1) | instskip(NEXT) | instid1(VALU_DEP_2)
	v_add_f32_e32 v53, v55, v53
	v_sub_f32_e32 v55, v55, v54
	v_sub_f32_e32 v35, v35, v54
	s_delay_alu instid0(VALU_DEP_3) | instskip(NEXT) | instid1(VALU_DEP_3)
	v_add_f32_e32 v65, v64, v53
	v_sub_f32_e32 v52, v52, v55
	s_delay_alu instid0(VALU_DEP_2) | instskip(NEXT) | instid1(VALU_DEP_1)
	v_sub_f32_e32 v54, v65, v64
	v_dual_add_f32 v35, v35, v52 :: v_dual_sub_f32 v52, v53, v54
	s_delay_alu instid0(VALU_DEP_1) | instskip(NEXT) | instid1(VALU_DEP_1)
	v_add_f32_e32 v35, v35, v52
	v_add_f32_e32 v35, v65, v35
	s_delay_alu instid0(VALU_DEP_1) | instskip(NEXT) | instid1(VALU_DEP_1)
	v_cndmask_b32_e64 v28, v35, v28, s24
	v_add_f32_e32 v28, v29, v28
	s_delay_alu instid0(VALU_DEP_1)
	v_cvt_f16_f32_e32 v28, v28
.LBB362_280:
	s_or_b32 exec_lo, exec_lo, s25
	v_lshrrev_b32_e32 v29, 5, v0
	s_mov_b32 s26, exec_lo
	s_delay_alu instid0(VALU_DEP_1)
	v_add_lshl_u32 v29, v29, v0, 1
	ds_store_b16 v29, v28
	s_waitcnt lgkmcnt(0)
	s_barrier
	buffer_gl0_inv
	v_cmpx_gt_u32_e32 32, v0
	s_cbranch_execz .LBB362_308
; %bb.281:
	v_lshrrev_b32_e32 v29, 3, v0
	s_delay_alu instid0(VALU_DEP_1) | instskip(NEXT) | instid1(VALU_DEP_1)
	v_and_b32_e32 v29, 0x7e, v29
	v_lshl_or_b32 v29, v0, 2, v29
	ds_load_u16 v54, v29
	ds_load_u16 v52, v29 offset:2
	s_waitcnt lgkmcnt(1)
	v_cvt_f32_f16_e32 v35, v54
	s_waitcnt lgkmcnt(0)
	v_cvt_f32_f16_e32 v55, v52
	v_cmp_u_f16_e64 s24, v54, v54
	v_cmp_u_f16_e64 s25, v52, v52
	s_delay_alu instid0(VALU_DEP_3) | instskip(SKIP_1) | instid1(VALU_DEP_2)
	v_max_f32_e32 v64, v35, v55
	v_min_f32_e32 v53, v35, v55
	v_cndmask_b32_e64 v64, v64, v35, s24
	s_delay_alu instid0(VALU_DEP_2) | instskip(NEXT) | instid1(VALU_DEP_2)
	v_cndmask_b32_e64 v53, v53, v35, s24
	v_cndmask_b32_e64 v52, v64, v55, s25
	s_delay_alu instid0(VALU_DEP_2) | instskip(NEXT) | instid1(VALU_DEP_1)
	v_cndmask_b32_e64 v53, v53, v55, s25
	v_cmp_neq_f32_e64 s25, v53, v52
	v_cmp_class_f32_e64 s27, v53, 0x1f8
	s_delay_alu instid0(VALU_DEP_1) | instskip(NEXT) | instid1(SALU_CYCLE_1)
	s_or_b32 s25, s25, s27
	s_and_saveexec_b32 s27, s25
	s_cbranch_execz .LBB362_283
; %bb.282:
	v_sub_f32_e32 v53, v53, v52
	s_delay_alu instid0(VALU_DEP_1) | instskip(NEXT) | instid1(VALU_DEP_1)
	v_mul_f32_e32 v54, 0x3fb8aa3b, v53
	v_fma_f32 v55, 0x3fb8aa3b, v53, -v54
	v_rndne_f32_e32 v64, v54
	s_delay_alu instid0(VALU_DEP_1) | instskip(NEXT) | instid1(VALU_DEP_1)
	v_dual_fmamk_f32 v55, v53, 0x32a5705f, v55 :: v_dual_sub_f32 v54, v54, v64
	v_add_f32_e32 v54, v54, v55
	v_cvt_i32_f32_e32 v55, v64
	v_cmp_ngt_f32_e64 s25, 0xc2ce8ed0, v53
	s_delay_alu instid0(VALU_DEP_3) | instskip(SKIP_2) | instid1(VALU_DEP_1)
	v_exp_f32_e32 v54, v54
	s_waitcnt_depctr 0xfff
	v_ldexp_f32 v54, v54, v55
	v_cndmask_b32_e64 v54, 0, v54, s25
	v_cmp_nlt_f32_e64 s25, 0x42b17218, v53
	s_delay_alu instid0(VALU_DEP_1) | instskip(NEXT) | instid1(VALU_DEP_1)
	v_cndmask_b32_e64 v55, 0x7f800000, v54, s25
	v_add_f32_e32 v64, 1.0, v55
	v_cmp_gt_f32_e64 vcc_hi, 0x33800000, |v55|
	s_delay_alu instid0(VALU_DEP_2) | instskip(NEXT) | instid1(VALU_DEP_1)
	v_cvt_f64_f32_e32 v[53:54], v64
	v_frexp_exp_i32_f64_e32 v53, v[53:54]
	v_frexp_mant_f32_e32 v54, v64
	s_delay_alu instid0(VALU_DEP_1) | instskip(SKIP_1) | instid1(VALU_DEP_1)
	v_cmp_gt_f32_e64 s25, 0x3f2aaaab, v54
	v_add_f32_e32 v54, -1.0, v64
	v_sub_f32_e32 v66, v54, v64
	s_delay_alu instid0(VALU_DEP_3) | instskip(SKIP_1) | instid1(VALU_DEP_1)
	v_subrev_co_ci_u32_e64 v53, s25, 0, v53, s25
	s_mov_b32 s25, 0x3e9b6dac
	v_sub_nc_u32_e32 v65, 0, v53
	v_cvt_f32_i32_e32 v53, v53
	s_delay_alu instid0(VALU_DEP_2) | instskip(NEXT) | instid1(VALU_DEP_1)
	v_ldexp_f32 v64, v64, v65
	v_dual_sub_f32 v54, v55, v54 :: v_dual_add_f32 v67, 1.0, v64
	v_add_f32_e32 v66, 1.0, v66
	s_delay_alu instid0(VALU_DEP_1) | instskip(NEXT) | instid1(VALU_DEP_3)
	v_add_f32_e32 v54, v54, v66
	v_add_f32_e32 v66, -1.0, v67
	s_delay_alu instid0(VALU_DEP_2) | instskip(NEXT) | instid1(VALU_DEP_2)
	v_ldexp_f32 v54, v54, v65
	v_dual_add_f32 v65, -1.0, v64 :: v_dual_sub_f32 v66, v64, v66
	s_delay_alu instid0(VALU_DEP_1) | instskip(NEXT) | instid1(VALU_DEP_2)
	v_add_f32_e32 v68, 1.0, v65
	v_add_f32_e32 v66, v54, v66
	s_delay_alu instid0(VALU_DEP_2) | instskip(NEXT) | instid1(VALU_DEP_2)
	v_sub_f32_e32 v64, v64, v68
	v_add_f32_e32 v68, v67, v66
	s_delay_alu instid0(VALU_DEP_2) | instskip(NEXT) | instid1(VALU_DEP_2)
	v_add_f32_e32 v54, v54, v64
	v_rcp_f32_e32 v64, v68
	v_sub_f32_e32 v67, v67, v68
	s_delay_alu instid0(VALU_DEP_1) | instskip(NEXT) | instid1(VALU_DEP_1)
	v_dual_add_f32 v69, v65, v54 :: v_dual_add_f32 v66, v66, v67
	v_sub_f32_e32 v65, v65, v69
	s_waitcnt_depctr 0xfff
	v_mul_f32_e32 v70, v69, v64
	s_delay_alu instid0(VALU_DEP_1) | instskip(NEXT) | instid1(VALU_DEP_1)
	v_dual_add_f32 v54, v54, v65 :: v_dual_mul_f32 v71, v68, v70
	v_fma_f32 v67, v70, v68, -v71
	s_delay_alu instid0(VALU_DEP_1) | instskip(NEXT) | instid1(VALU_DEP_1)
	v_fmac_f32_e32 v67, v70, v66
	v_add_f32_e32 v80, v71, v67
	s_delay_alu instid0(VALU_DEP_1) | instskip(SKIP_1) | instid1(VALU_DEP_2)
	v_sub_f32_e32 v81, v69, v80
	v_sub_f32_e32 v65, v80, v71
	;; [unrolled: 1-line block ×3, first 2 shown]
	s_delay_alu instid0(VALU_DEP_2) | instskip(NEXT) | instid1(VALU_DEP_2)
	v_sub_f32_e32 v65, v65, v67
	v_sub_f32_e32 v69, v69, v80
	s_delay_alu instid0(VALU_DEP_1) | instskip(NEXT) | instid1(VALU_DEP_1)
	v_add_f32_e32 v54, v54, v69
	v_add_f32_e32 v54, v65, v54
	s_delay_alu instid0(VALU_DEP_1) | instskip(NEXT) | instid1(VALU_DEP_1)
	v_add_f32_e32 v65, v81, v54
	v_mul_f32_e32 v67, v64, v65
	s_delay_alu instid0(VALU_DEP_1) | instskip(NEXT) | instid1(VALU_DEP_1)
	v_dual_sub_f32 v80, v81, v65 :: v_dual_mul_f32 v69, v68, v67
	v_add_f32_e32 v54, v54, v80
	s_delay_alu instid0(VALU_DEP_2) | instskip(NEXT) | instid1(VALU_DEP_1)
	v_fma_f32 v68, v67, v68, -v69
	v_fmac_f32_e32 v68, v67, v66
	s_delay_alu instid0(VALU_DEP_1) | instskip(NEXT) | instid1(VALU_DEP_1)
	v_add_f32_e32 v66, v69, v68
	v_sub_f32_e32 v71, v65, v66
	v_sub_f32_e32 v69, v66, v69
	s_delay_alu instid0(VALU_DEP_2) | instskip(NEXT) | instid1(VALU_DEP_1)
	v_sub_f32_e32 v65, v65, v71
	v_sub_f32_e32 v65, v65, v66
	s_delay_alu instid0(VALU_DEP_3) | instskip(NEXT) | instid1(VALU_DEP_2)
	v_sub_f32_e32 v66, v69, v68
	v_add_f32_e32 v54, v54, v65
	v_add_f32_e32 v65, v70, v67
	s_delay_alu instid0(VALU_DEP_2) | instskip(NEXT) | instid1(VALU_DEP_2)
	v_add_f32_e32 v54, v66, v54
	v_sub_f32_e32 v66, v65, v70
	s_delay_alu instid0(VALU_DEP_2) | instskip(NEXT) | instid1(VALU_DEP_2)
	v_add_f32_e32 v54, v71, v54
	v_sub_f32_e32 v66, v67, v66
	s_delay_alu instid0(VALU_DEP_2) | instskip(NEXT) | instid1(VALU_DEP_1)
	v_mul_f32_e32 v54, v64, v54
	v_add_f32_e32 v54, v66, v54
	s_delay_alu instid0(VALU_DEP_1) | instskip(NEXT) | instid1(VALU_DEP_1)
	v_add_f32_e32 v64, v65, v54
	v_mul_f32_e32 v66, v64, v64
	s_delay_alu instid0(VALU_DEP_1) | instskip(SKIP_2) | instid1(VALU_DEP_3)
	v_fmaak_f32 v67, s25, v66, 0x3ecc95a3
	v_mul_f32_e32 v68, v64, v66
	v_cmp_eq_f32_e64 s25, 0x7f800000, v55
	v_fmaak_f32 v66, v66, v67, 0x3f2aaada
	v_ldexp_f32 v67, v64, 1
	v_sub_f32_e32 v64, v64, v65
	s_delay_alu instid0(VALU_DEP_4) | instskip(NEXT) | instid1(VALU_DEP_3)
	s_or_b32 s25, s25, vcc_hi
	v_mul_f32_e32 v66, v68, v66
	v_mul_f32_e32 v68, 0x3f317218, v53
	s_delay_alu instid0(VALU_DEP_2) | instskip(NEXT) | instid1(VALU_DEP_1)
	v_dual_sub_f32 v54, v54, v64 :: v_dual_add_f32 v65, v67, v66
	v_ldexp_f32 v54, v54, 1
	s_delay_alu instid0(VALU_DEP_2) | instskip(NEXT) | instid1(VALU_DEP_4)
	v_sub_f32_e32 v64, v65, v67
	v_fma_f32 v67, 0x3f317218, v53, -v68
	s_delay_alu instid0(VALU_DEP_1) | instskip(NEXT) | instid1(VALU_DEP_1)
	v_dual_sub_f32 v64, v66, v64 :: v_dual_fmamk_f32 v53, v53, 0xb102e308, v67
	v_add_f32_e32 v54, v54, v64
	s_delay_alu instid0(VALU_DEP_2) | instskip(NEXT) | instid1(VALU_DEP_2)
	v_add_f32_e32 v64, v68, v53
	v_add_f32_e32 v66, v65, v54
	s_delay_alu instid0(VALU_DEP_2) | instskip(NEXT) | instid1(VALU_DEP_2)
	v_sub_f32_e32 v68, v64, v68
	v_add_f32_e32 v67, v64, v66
	v_sub_f32_e32 v65, v66, v65
	s_delay_alu instid0(VALU_DEP_3) | instskip(NEXT) | instid1(VALU_DEP_2)
	v_sub_f32_e32 v53, v53, v68
	v_dual_sub_f32 v69, v67, v64 :: v_dual_sub_f32 v54, v54, v65
	s_delay_alu instid0(VALU_DEP_1) | instskip(NEXT) | instid1(VALU_DEP_2)
	v_sub_f32_e32 v70, v67, v69
	v_dual_sub_f32 v65, v66, v69 :: v_dual_add_f32 v66, v53, v54
	s_delay_alu instid0(VALU_DEP_2) | instskip(NEXT) | instid1(VALU_DEP_1)
	v_sub_f32_e32 v64, v64, v70
	v_dual_add_f32 v64, v65, v64 :: v_dual_sub_f32 v65, v66, v53
	s_delay_alu instid0(VALU_DEP_1) | instskip(NEXT) | instid1(VALU_DEP_2)
	v_add_f32_e32 v64, v66, v64
	v_sub_f32_e32 v66, v66, v65
	v_sub_f32_e32 v54, v54, v65
	s_delay_alu instid0(VALU_DEP_2) | instskip(NEXT) | instid1(VALU_DEP_1)
	v_dual_add_f32 v68, v67, v64 :: v_dual_sub_f32 v53, v53, v66
	v_sub_f32_e32 v65, v68, v67
	s_delay_alu instid0(VALU_DEP_2) | instskip(NEXT) | instid1(VALU_DEP_2)
	v_add_f32_e32 v53, v54, v53
	v_sub_f32_e32 v54, v64, v65
	s_delay_alu instid0(VALU_DEP_1) | instskip(NEXT) | instid1(VALU_DEP_1)
	v_add_f32_e32 v53, v53, v54
	v_add_f32_e32 v53, v68, v53
	s_delay_alu instid0(VALU_DEP_1) | instskip(NEXT) | instid1(VALU_DEP_1)
	v_cndmask_b32_e64 v53, v53, v55, s25
	v_add_f32_e32 v52, v52, v53
	s_delay_alu instid0(VALU_DEP_1)
	v_cvt_f16_f32_e32 v54, v52
.LBB362_283:
	s_or_b32 exec_lo, exec_lo, s27
	v_mbcnt_lo_u32_b32 v52, -1, 0
	s_delay_alu instid0(VALU_DEP_2) | instskip(SKIP_1) | instid1(VALU_DEP_2)
	v_and_b32_e32 v55, 0xffff, v54
	s_mov_b32 s27, exec_lo
	v_and_b32_e32 v53, 15, v52
	s_delay_alu instid0(VALU_DEP_2) | instskip(NEXT) | instid1(VALU_DEP_2)
	v_mov_b32_dpp v64, v55 row_shr:1 row_mask:0xf bank_mask:0xf
	v_cmpx_ne_u32_e32 0, v53
	s_cbranch_execz .LBB362_287
; %bb.284:
	s_delay_alu instid0(VALU_DEP_2) | instskip(SKIP_2) | instid1(VALU_DEP_2)
	v_cvt_f32_f16_e32 v55, v64
	v_cvt_f32_f16_e32 v65, v54
	v_cmp_u_f16_e64 s25, v64, v64
	v_min_f32_e32 v66, v55, v65
	v_max_f32_e32 v67, v55, v65
	s_delay_alu instid0(VALU_DEP_2) | instskip(NEXT) | instid1(VALU_DEP_2)
	v_cndmask_b32_e64 v66, v66, v55, s25
	v_cndmask_b32_e64 v67, v67, v55, s25
	v_cmp_u_f16_e64 s25, v54, v54
	s_delay_alu instid0(VALU_DEP_1) | instskip(NEXT) | instid1(VALU_DEP_3)
	v_cndmask_b32_e64 v55, v66, v65, s25
	v_cndmask_b32_e64 v54, v67, v65, s25
	s_delay_alu instid0(VALU_DEP_2) | instskip(NEXT) | instid1(VALU_DEP_2)
	v_cmp_class_f32_e64 vcc_hi, v55, 0x1f8
	v_cmp_neq_f32_e64 s25, v55, v54
	s_delay_alu instid0(VALU_DEP_1) | instskip(NEXT) | instid1(SALU_CYCLE_1)
	s_or_b32 s25, s25, vcc_hi
	s_and_saveexec_b32 vcc_hi, s25
	s_cbranch_execz .LBB362_286
; %bb.285:
	v_sub_f32_e32 v55, v55, v54
	s_delay_alu instid0(VALU_DEP_1) | instskip(NEXT) | instid1(VALU_DEP_1)
	v_mul_f32_e32 v64, 0x3fb8aa3b, v55
	v_fma_f32 v65, 0x3fb8aa3b, v55, -v64
	v_rndne_f32_e32 v66, v64
	s_delay_alu instid0(VALU_DEP_1) | instskip(NEXT) | instid1(VALU_DEP_1)
	v_dual_fmamk_f32 v65, v55, 0x32a5705f, v65 :: v_dual_sub_f32 v64, v64, v66
	v_add_f32_e32 v64, v64, v65
	v_cvt_i32_f32_e32 v65, v66
	v_cmp_ngt_f32_e64 s25, 0xc2ce8ed0, v55
	s_delay_alu instid0(VALU_DEP_3) | instskip(SKIP_2) | instid1(VALU_DEP_1)
	v_exp_f32_e32 v64, v64
	s_waitcnt_depctr 0xfff
	v_ldexp_f32 v64, v64, v65
	v_cndmask_b32_e64 v64, 0, v64, s25
	v_cmp_nlt_f32_e64 s25, 0x42b17218, v55
	s_delay_alu instid0(VALU_DEP_1) | instskip(NEXT) | instid1(VALU_DEP_1)
	v_cndmask_b32_e64 v55, 0x7f800000, v64, s25
	v_add_f32_e32 v66, 1.0, v55
	v_cmp_gt_f32_e64 s30, 0x33800000, |v55|
	s_delay_alu instid0(VALU_DEP_2) | instskip(NEXT) | instid1(VALU_DEP_1)
	v_cvt_f64_f32_e32 v[64:65], v66
	v_frexp_exp_i32_f64_e32 v64, v[64:65]
	v_frexp_mant_f32_e32 v65, v66
	s_delay_alu instid0(VALU_DEP_1) | instskip(SKIP_1) | instid1(VALU_DEP_1)
	v_cmp_gt_f32_e64 s25, 0x3f2aaaab, v65
	v_add_f32_e32 v65, -1.0, v66
	v_dual_sub_f32 v68, v65, v66 :: v_dual_sub_f32 v65, v55, v65
	s_delay_alu instid0(VALU_DEP_3) | instskip(SKIP_1) | instid1(VALU_DEP_1)
	v_subrev_co_ci_u32_e64 v64, s25, 0, v64, s25
	s_mov_b32 s25, 0x3e9b6dac
	v_sub_nc_u32_e32 v67, 0, v64
	v_cvt_f32_i32_e32 v64, v64
	s_delay_alu instid0(VALU_DEP_2) | instskip(NEXT) | instid1(VALU_DEP_1)
	v_ldexp_f32 v66, v66, v67
	v_dual_add_f32 v68, 1.0, v68 :: v_dual_add_f32 v69, 1.0, v66
	s_delay_alu instid0(VALU_DEP_1) | instskip(NEXT) | instid1(VALU_DEP_1)
	v_dual_add_f32 v65, v65, v68 :: v_dual_add_f32 v68, -1.0, v69
	v_ldexp_f32 v65, v65, v67
	s_delay_alu instid0(VALU_DEP_2) | instskip(NEXT) | instid1(VALU_DEP_1)
	v_dual_add_f32 v67, -1.0, v66 :: v_dual_sub_f32 v68, v66, v68
	v_add_f32_e32 v70, 1.0, v67
	s_delay_alu instid0(VALU_DEP_2) | instskip(NEXT) | instid1(VALU_DEP_2)
	v_add_f32_e32 v68, v65, v68
	v_sub_f32_e32 v66, v66, v70
	s_delay_alu instid0(VALU_DEP_1) | instskip(NEXT) | instid1(VALU_DEP_1)
	v_add_f32_e32 v65, v65, v66
	v_dual_add_f32 v71, v67, v65 :: v_dual_add_f32 v70, v69, v68
	s_delay_alu instid0(VALU_DEP_1) | instskip(NEXT) | instid1(VALU_DEP_2)
	v_sub_f32_e32 v67, v67, v71
	v_rcp_f32_e32 v66, v70
	v_sub_f32_e32 v69, v69, v70
	s_delay_alu instid0(VALU_DEP_1) | instskip(SKIP_2) | instid1(VALU_DEP_1)
	v_dual_add_f32 v65, v65, v67 :: v_dual_add_f32 v68, v68, v69
	s_waitcnt_depctr 0xfff
	v_mul_f32_e32 v80, v71, v66
	v_mul_f32_e32 v81, v70, v80
	s_delay_alu instid0(VALU_DEP_1) | instskip(NEXT) | instid1(VALU_DEP_1)
	v_fma_f32 v69, v80, v70, -v81
	v_fmac_f32_e32 v69, v80, v68
	s_delay_alu instid0(VALU_DEP_1) | instskip(NEXT) | instid1(VALU_DEP_1)
	v_add_f32_e32 v82, v81, v69
	v_sub_f32_e32 v83, v71, v82
	s_delay_alu instid0(VALU_DEP_1) | instskip(SKIP_1) | instid1(VALU_DEP_2)
	v_sub_f32_e32 v71, v71, v83
	v_sub_f32_e32 v67, v82, v81
	;; [unrolled: 1-line block ×3, first 2 shown]
	s_delay_alu instid0(VALU_DEP_2) | instskip(NEXT) | instid1(VALU_DEP_2)
	v_sub_f32_e32 v67, v67, v69
	v_add_f32_e32 v65, v65, v71
	s_delay_alu instid0(VALU_DEP_1) | instskip(NEXT) | instid1(VALU_DEP_1)
	v_add_f32_e32 v65, v67, v65
	v_add_f32_e32 v67, v83, v65
	s_delay_alu instid0(VALU_DEP_1) | instskip(NEXT) | instid1(VALU_DEP_1)
	v_mul_f32_e32 v69, v66, v67
	v_dual_sub_f32 v82, v83, v67 :: v_dual_mul_f32 v71, v70, v69
	s_delay_alu instid0(VALU_DEP_1) | instskip(NEXT) | instid1(VALU_DEP_2)
	v_add_f32_e32 v65, v65, v82
	v_fma_f32 v70, v69, v70, -v71
	s_delay_alu instid0(VALU_DEP_1) | instskip(NEXT) | instid1(VALU_DEP_1)
	v_fmac_f32_e32 v70, v69, v68
	v_add_f32_e32 v68, v71, v70
	s_delay_alu instid0(VALU_DEP_1) | instskip(SKIP_1) | instid1(VALU_DEP_2)
	v_sub_f32_e32 v81, v67, v68
	v_sub_f32_e32 v71, v68, v71
	;; [unrolled: 1-line block ×3, first 2 shown]
	s_delay_alu instid0(VALU_DEP_1) | instskip(NEXT) | instid1(VALU_DEP_1)
	v_sub_f32_e32 v67, v67, v68
	v_dual_sub_f32 v68, v71, v70 :: v_dual_add_f32 v65, v65, v67
	v_add_f32_e32 v67, v80, v69
	s_delay_alu instid0(VALU_DEP_1) | instskip(NEXT) | instid1(VALU_DEP_1)
	v_dual_add_f32 v65, v68, v65 :: v_dual_sub_f32 v68, v67, v80
	v_add_f32_e32 v65, v81, v65
	s_delay_alu instid0(VALU_DEP_1) | instskip(NEXT) | instid1(VALU_DEP_1)
	v_dual_sub_f32 v68, v69, v68 :: v_dual_mul_f32 v65, v66, v65
	v_add_f32_e32 v65, v68, v65
	s_delay_alu instid0(VALU_DEP_1) | instskip(NEXT) | instid1(VALU_DEP_1)
	v_add_f32_e32 v66, v67, v65
	v_mul_f32_e32 v68, v66, v66
	s_delay_alu instid0(VALU_DEP_1) | instskip(SKIP_2) | instid1(VALU_DEP_3)
	v_fmaak_f32 v69, s25, v68, 0x3ecc95a3
	v_mul_f32_e32 v70, v66, v68
	v_cmp_eq_f32_e64 s25, 0x7f800000, v55
	v_fmaak_f32 v68, v68, v69, 0x3f2aaada
	v_ldexp_f32 v69, v66, 1
	v_sub_f32_e32 v66, v66, v67
	s_delay_alu instid0(VALU_DEP_4) | instskip(NEXT) | instid1(VALU_DEP_3)
	s_or_b32 s25, s25, s30
	v_mul_f32_e32 v68, v70, v68
	s_delay_alu instid0(VALU_DEP_2) | instskip(NEXT) | instid1(VALU_DEP_2)
	v_dual_mul_f32 v70, 0x3f317218, v64 :: v_dual_sub_f32 v65, v65, v66
	v_add_f32_e32 v67, v69, v68
	s_delay_alu instid0(VALU_DEP_2) | instskip(NEXT) | instid1(VALU_DEP_2)
	v_ldexp_f32 v65, v65, 1
	v_sub_f32_e32 v66, v67, v69
	s_delay_alu instid0(VALU_DEP_4) | instskip(NEXT) | instid1(VALU_DEP_2)
	v_fma_f32 v69, 0x3f317218, v64, -v70
	v_sub_f32_e32 v66, v68, v66
	s_delay_alu instid0(VALU_DEP_1) | instskip(NEXT) | instid1(VALU_DEP_1)
	v_dual_fmamk_f32 v64, v64, 0xb102e308, v69 :: v_dual_add_f32 v65, v65, v66
	v_add_f32_e32 v66, v70, v64
	s_delay_alu instid0(VALU_DEP_1) | instskip(NEXT) | instid1(VALU_DEP_1)
	v_sub_f32_e32 v70, v66, v70
	v_sub_f32_e32 v64, v64, v70
	s_delay_alu instid0(VALU_DEP_4) | instskip(NEXT) | instid1(VALU_DEP_1)
	v_add_f32_e32 v68, v67, v65
	v_sub_f32_e32 v67, v68, v67
	s_delay_alu instid0(VALU_DEP_1) | instskip(SKIP_1) | instid1(VALU_DEP_1)
	v_sub_f32_e32 v65, v65, v67
	v_add_f32_e32 v69, v66, v68
	v_sub_f32_e32 v71, v69, v66
	s_delay_alu instid0(VALU_DEP_1) | instskip(NEXT) | instid1(VALU_DEP_4)
	v_sub_f32_e32 v67, v68, v71
	v_add_f32_e32 v68, v64, v65
	v_sub_f32_e32 v80, v69, v71
	s_delay_alu instid0(VALU_DEP_1) | instskip(NEXT) | instid1(VALU_DEP_1)
	v_sub_f32_e32 v66, v66, v80
	v_dual_add_f32 v66, v67, v66 :: v_dual_sub_f32 v67, v68, v64
	s_delay_alu instid0(VALU_DEP_1) | instskip(SKIP_1) | instid1(VALU_DEP_2)
	v_dual_add_f32 v66, v68, v66 :: v_dual_sub_f32 v65, v65, v67
	v_sub_f32_e32 v68, v68, v67
	v_add_f32_e32 v70, v69, v66
	s_delay_alu instid0(VALU_DEP_1) | instskip(NEXT) | instid1(VALU_DEP_1)
	v_dual_sub_f32 v64, v64, v68 :: v_dual_sub_f32 v67, v70, v69
	v_dual_add_f32 v64, v65, v64 :: v_dual_sub_f32 v65, v66, v67
	s_delay_alu instid0(VALU_DEP_1) | instskip(NEXT) | instid1(VALU_DEP_1)
	v_add_f32_e32 v64, v64, v65
	v_add_f32_e32 v64, v70, v64
	s_delay_alu instid0(VALU_DEP_1) | instskip(NEXT) | instid1(VALU_DEP_1)
	v_cndmask_b32_e64 v55, v64, v55, s25
	v_add_f32_e32 v54, v54, v55
	s_delay_alu instid0(VALU_DEP_1)
	v_cvt_f16_f32_e32 v64, v54
.LBB362_286:
	s_or_b32 exec_lo, exec_lo, vcc_hi
	s_delay_alu instid0(VALU_DEP_1)
	v_dual_mov_b32 v54, v64 :: v_dual_and_b32 v55, 0xffff, v64
.LBB362_287:
	s_or_b32 exec_lo, exec_lo, s27
	s_delay_alu instid0(VALU_DEP_1)
	v_mov_b32_dpp v64, v55 row_shr:2 row_mask:0xf bank_mask:0xf
	s_mov_b32 s27, exec_lo
	v_cmpx_lt_u32_e32 1, v53
	s_cbranch_execz .LBB362_291
; %bb.288:
	s_delay_alu instid0(VALU_DEP_2) | instskip(SKIP_2) | instid1(VALU_DEP_2)
	v_cvt_f32_f16_e32 v55, v64
	v_cvt_f32_f16_e32 v65, v54
	v_cmp_u_f16_e64 s25, v64, v64
	v_min_f32_e32 v66, v55, v65
	v_max_f32_e32 v67, v55, v65
	s_delay_alu instid0(VALU_DEP_2) | instskip(NEXT) | instid1(VALU_DEP_2)
	v_cndmask_b32_e64 v66, v66, v55, s25
	v_cndmask_b32_e64 v67, v67, v55, s25
	v_cmp_u_f16_e64 s25, v54, v54
	s_delay_alu instid0(VALU_DEP_1) | instskip(NEXT) | instid1(VALU_DEP_3)
	v_cndmask_b32_e64 v55, v66, v65, s25
	v_cndmask_b32_e64 v54, v67, v65, s25
	s_delay_alu instid0(VALU_DEP_2) | instskip(NEXT) | instid1(VALU_DEP_2)
	v_cmp_class_f32_e64 vcc_hi, v55, 0x1f8
	v_cmp_neq_f32_e64 s25, v55, v54
	s_delay_alu instid0(VALU_DEP_1) | instskip(NEXT) | instid1(SALU_CYCLE_1)
	s_or_b32 s25, s25, vcc_hi
	s_and_saveexec_b32 vcc_hi, s25
	s_cbranch_execz .LBB362_290
; %bb.289:
	v_sub_f32_e32 v55, v55, v54
	s_delay_alu instid0(VALU_DEP_1) | instskip(NEXT) | instid1(VALU_DEP_1)
	v_mul_f32_e32 v64, 0x3fb8aa3b, v55
	v_fma_f32 v65, 0x3fb8aa3b, v55, -v64
	v_rndne_f32_e32 v66, v64
	s_delay_alu instid0(VALU_DEP_1) | instskip(NEXT) | instid1(VALU_DEP_1)
	v_dual_fmamk_f32 v65, v55, 0x32a5705f, v65 :: v_dual_sub_f32 v64, v64, v66
	v_add_f32_e32 v64, v64, v65
	v_cvt_i32_f32_e32 v65, v66
	v_cmp_ngt_f32_e64 s25, 0xc2ce8ed0, v55
	s_delay_alu instid0(VALU_DEP_3) | instskip(SKIP_2) | instid1(VALU_DEP_1)
	v_exp_f32_e32 v64, v64
	s_waitcnt_depctr 0xfff
	v_ldexp_f32 v64, v64, v65
	v_cndmask_b32_e64 v64, 0, v64, s25
	v_cmp_nlt_f32_e64 s25, 0x42b17218, v55
	s_delay_alu instid0(VALU_DEP_1) | instskip(NEXT) | instid1(VALU_DEP_1)
	v_cndmask_b32_e64 v55, 0x7f800000, v64, s25
	v_add_f32_e32 v66, 1.0, v55
	v_cmp_gt_f32_e64 s30, 0x33800000, |v55|
	s_delay_alu instid0(VALU_DEP_2) | instskip(NEXT) | instid1(VALU_DEP_1)
	v_cvt_f64_f32_e32 v[64:65], v66
	v_frexp_exp_i32_f64_e32 v64, v[64:65]
	v_frexp_mant_f32_e32 v65, v66
	s_delay_alu instid0(VALU_DEP_1) | instskip(SKIP_1) | instid1(VALU_DEP_1)
	v_cmp_gt_f32_e64 s25, 0x3f2aaaab, v65
	v_add_f32_e32 v65, -1.0, v66
	v_dual_sub_f32 v68, v65, v66 :: v_dual_sub_f32 v65, v55, v65
	s_delay_alu instid0(VALU_DEP_3) | instskip(SKIP_1) | instid1(VALU_DEP_1)
	v_subrev_co_ci_u32_e64 v64, s25, 0, v64, s25
	s_mov_b32 s25, 0x3e9b6dac
	v_sub_nc_u32_e32 v67, 0, v64
	v_cvt_f32_i32_e32 v64, v64
	s_delay_alu instid0(VALU_DEP_2) | instskip(NEXT) | instid1(VALU_DEP_1)
	v_ldexp_f32 v66, v66, v67
	v_dual_add_f32 v68, 1.0, v68 :: v_dual_add_f32 v69, 1.0, v66
	s_delay_alu instid0(VALU_DEP_1) | instskip(NEXT) | instid1(VALU_DEP_1)
	v_dual_add_f32 v65, v65, v68 :: v_dual_add_f32 v68, -1.0, v69
	v_ldexp_f32 v65, v65, v67
	s_delay_alu instid0(VALU_DEP_2) | instskip(NEXT) | instid1(VALU_DEP_1)
	v_dual_add_f32 v67, -1.0, v66 :: v_dual_sub_f32 v68, v66, v68
	v_add_f32_e32 v70, 1.0, v67
	s_delay_alu instid0(VALU_DEP_2) | instskip(NEXT) | instid1(VALU_DEP_2)
	v_add_f32_e32 v68, v65, v68
	v_sub_f32_e32 v66, v66, v70
	s_delay_alu instid0(VALU_DEP_1) | instskip(NEXT) | instid1(VALU_DEP_1)
	v_add_f32_e32 v65, v65, v66
	v_dual_add_f32 v71, v67, v65 :: v_dual_add_f32 v70, v69, v68
	s_delay_alu instid0(VALU_DEP_1) | instskip(NEXT) | instid1(VALU_DEP_2)
	v_sub_f32_e32 v67, v67, v71
	v_rcp_f32_e32 v66, v70
	v_sub_f32_e32 v69, v69, v70
	s_delay_alu instid0(VALU_DEP_1) | instskip(SKIP_2) | instid1(VALU_DEP_1)
	v_dual_add_f32 v65, v65, v67 :: v_dual_add_f32 v68, v68, v69
	s_waitcnt_depctr 0xfff
	v_mul_f32_e32 v80, v71, v66
	v_mul_f32_e32 v81, v70, v80
	s_delay_alu instid0(VALU_DEP_1) | instskip(NEXT) | instid1(VALU_DEP_1)
	v_fma_f32 v69, v80, v70, -v81
	v_fmac_f32_e32 v69, v80, v68
	s_delay_alu instid0(VALU_DEP_1) | instskip(NEXT) | instid1(VALU_DEP_1)
	v_add_f32_e32 v82, v81, v69
	v_sub_f32_e32 v83, v71, v82
	s_delay_alu instid0(VALU_DEP_1) | instskip(SKIP_1) | instid1(VALU_DEP_2)
	v_sub_f32_e32 v71, v71, v83
	v_sub_f32_e32 v67, v82, v81
	;; [unrolled: 1-line block ×3, first 2 shown]
	s_delay_alu instid0(VALU_DEP_2) | instskip(NEXT) | instid1(VALU_DEP_2)
	v_sub_f32_e32 v67, v67, v69
	v_add_f32_e32 v65, v65, v71
	s_delay_alu instid0(VALU_DEP_1) | instskip(NEXT) | instid1(VALU_DEP_1)
	v_add_f32_e32 v65, v67, v65
	v_add_f32_e32 v67, v83, v65
	s_delay_alu instid0(VALU_DEP_1) | instskip(NEXT) | instid1(VALU_DEP_1)
	v_mul_f32_e32 v69, v66, v67
	v_dual_sub_f32 v82, v83, v67 :: v_dual_mul_f32 v71, v70, v69
	s_delay_alu instid0(VALU_DEP_1) | instskip(NEXT) | instid1(VALU_DEP_2)
	v_add_f32_e32 v65, v65, v82
	v_fma_f32 v70, v69, v70, -v71
	s_delay_alu instid0(VALU_DEP_1) | instskip(NEXT) | instid1(VALU_DEP_1)
	v_fmac_f32_e32 v70, v69, v68
	v_add_f32_e32 v68, v71, v70
	s_delay_alu instid0(VALU_DEP_1) | instskip(SKIP_1) | instid1(VALU_DEP_2)
	v_sub_f32_e32 v81, v67, v68
	v_sub_f32_e32 v71, v68, v71
	;; [unrolled: 1-line block ×3, first 2 shown]
	s_delay_alu instid0(VALU_DEP_1) | instskip(NEXT) | instid1(VALU_DEP_1)
	v_sub_f32_e32 v67, v67, v68
	v_dual_sub_f32 v68, v71, v70 :: v_dual_add_f32 v65, v65, v67
	v_add_f32_e32 v67, v80, v69
	s_delay_alu instid0(VALU_DEP_1) | instskip(NEXT) | instid1(VALU_DEP_1)
	v_dual_add_f32 v65, v68, v65 :: v_dual_sub_f32 v68, v67, v80
	v_add_f32_e32 v65, v81, v65
	s_delay_alu instid0(VALU_DEP_1) | instskip(NEXT) | instid1(VALU_DEP_1)
	v_dual_sub_f32 v68, v69, v68 :: v_dual_mul_f32 v65, v66, v65
	v_add_f32_e32 v65, v68, v65
	s_delay_alu instid0(VALU_DEP_1) | instskip(NEXT) | instid1(VALU_DEP_1)
	v_add_f32_e32 v66, v67, v65
	v_mul_f32_e32 v68, v66, v66
	s_delay_alu instid0(VALU_DEP_1) | instskip(SKIP_2) | instid1(VALU_DEP_3)
	v_fmaak_f32 v69, s25, v68, 0x3ecc95a3
	v_mul_f32_e32 v70, v66, v68
	v_cmp_eq_f32_e64 s25, 0x7f800000, v55
	v_fmaak_f32 v68, v68, v69, 0x3f2aaada
	v_ldexp_f32 v69, v66, 1
	v_sub_f32_e32 v66, v66, v67
	s_delay_alu instid0(VALU_DEP_4) | instskip(NEXT) | instid1(VALU_DEP_3)
	s_or_b32 s25, s25, s30
	v_mul_f32_e32 v68, v70, v68
	s_delay_alu instid0(VALU_DEP_2) | instskip(NEXT) | instid1(VALU_DEP_2)
	v_dual_mul_f32 v70, 0x3f317218, v64 :: v_dual_sub_f32 v65, v65, v66
	v_add_f32_e32 v67, v69, v68
	s_delay_alu instid0(VALU_DEP_2) | instskip(NEXT) | instid1(VALU_DEP_2)
	v_ldexp_f32 v65, v65, 1
	v_sub_f32_e32 v66, v67, v69
	s_delay_alu instid0(VALU_DEP_4) | instskip(NEXT) | instid1(VALU_DEP_2)
	v_fma_f32 v69, 0x3f317218, v64, -v70
	v_sub_f32_e32 v66, v68, v66
	s_delay_alu instid0(VALU_DEP_1) | instskip(NEXT) | instid1(VALU_DEP_1)
	v_dual_fmamk_f32 v64, v64, 0xb102e308, v69 :: v_dual_add_f32 v65, v65, v66
	v_add_f32_e32 v66, v70, v64
	s_delay_alu instid0(VALU_DEP_1) | instskip(NEXT) | instid1(VALU_DEP_1)
	v_sub_f32_e32 v70, v66, v70
	v_sub_f32_e32 v64, v64, v70
	s_delay_alu instid0(VALU_DEP_4) | instskip(NEXT) | instid1(VALU_DEP_1)
	v_add_f32_e32 v68, v67, v65
	v_sub_f32_e32 v67, v68, v67
	s_delay_alu instid0(VALU_DEP_1) | instskip(SKIP_1) | instid1(VALU_DEP_1)
	v_sub_f32_e32 v65, v65, v67
	v_add_f32_e32 v69, v66, v68
	v_sub_f32_e32 v71, v69, v66
	s_delay_alu instid0(VALU_DEP_1) | instskip(NEXT) | instid1(VALU_DEP_4)
	v_sub_f32_e32 v67, v68, v71
	v_add_f32_e32 v68, v64, v65
	v_sub_f32_e32 v80, v69, v71
	s_delay_alu instid0(VALU_DEP_1) | instskip(NEXT) | instid1(VALU_DEP_1)
	v_sub_f32_e32 v66, v66, v80
	v_dual_add_f32 v66, v67, v66 :: v_dual_sub_f32 v67, v68, v64
	s_delay_alu instid0(VALU_DEP_1) | instskip(SKIP_1) | instid1(VALU_DEP_2)
	v_dual_add_f32 v66, v68, v66 :: v_dual_sub_f32 v65, v65, v67
	v_sub_f32_e32 v68, v68, v67
	v_add_f32_e32 v70, v69, v66
	s_delay_alu instid0(VALU_DEP_1) | instskip(NEXT) | instid1(VALU_DEP_1)
	v_dual_sub_f32 v64, v64, v68 :: v_dual_sub_f32 v67, v70, v69
	v_dual_add_f32 v64, v65, v64 :: v_dual_sub_f32 v65, v66, v67
	s_delay_alu instid0(VALU_DEP_1) | instskip(NEXT) | instid1(VALU_DEP_1)
	v_add_f32_e32 v64, v64, v65
	v_add_f32_e32 v64, v70, v64
	s_delay_alu instid0(VALU_DEP_1) | instskip(NEXT) | instid1(VALU_DEP_1)
	v_cndmask_b32_e64 v55, v64, v55, s25
	v_add_f32_e32 v54, v54, v55
	s_delay_alu instid0(VALU_DEP_1)
	v_cvt_f16_f32_e32 v64, v54
.LBB362_290:
	s_or_b32 exec_lo, exec_lo, vcc_hi
	s_delay_alu instid0(VALU_DEP_1)
	v_dual_mov_b32 v54, v64 :: v_dual_and_b32 v55, 0xffff, v64
.LBB362_291:
	s_or_b32 exec_lo, exec_lo, s27
	s_delay_alu instid0(VALU_DEP_1)
	v_mov_b32_dpp v64, v55 row_shr:4 row_mask:0xf bank_mask:0xf
	s_mov_b32 s27, exec_lo
	v_cmpx_lt_u32_e32 3, v53
	s_cbranch_execz .LBB362_295
; %bb.292:
	s_delay_alu instid0(VALU_DEP_2) | instskip(SKIP_2) | instid1(VALU_DEP_2)
	v_cvt_f32_f16_e32 v55, v64
	v_cvt_f32_f16_e32 v65, v54
	v_cmp_u_f16_e64 s25, v64, v64
	v_min_f32_e32 v66, v55, v65
	v_max_f32_e32 v67, v55, v65
	s_delay_alu instid0(VALU_DEP_2) | instskip(NEXT) | instid1(VALU_DEP_2)
	v_cndmask_b32_e64 v66, v66, v55, s25
	v_cndmask_b32_e64 v67, v67, v55, s25
	v_cmp_u_f16_e64 s25, v54, v54
	s_delay_alu instid0(VALU_DEP_1) | instskip(NEXT) | instid1(VALU_DEP_3)
	v_cndmask_b32_e64 v55, v66, v65, s25
	v_cndmask_b32_e64 v54, v67, v65, s25
	s_delay_alu instid0(VALU_DEP_2) | instskip(NEXT) | instid1(VALU_DEP_2)
	v_cmp_class_f32_e64 vcc_hi, v55, 0x1f8
	v_cmp_neq_f32_e64 s25, v55, v54
	s_delay_alu instid0(VALU_DEP_1) | instskip(NEXT) | instid1(SALU_CYCLE_1)
	s_or_b32 s25, s25, vcc_hi
	s_and_saveexec_b32 vcc_hi, s25
	s_cbranch_execz .LBB362_294
; %bb.293:
	v_sub_f32_e32 v55, v55, v54
	s_delay_alu instid0(VALU_DEP_1) | instskip(NEXT) | instid1(VALU_DEP_1)
	v_mul_f32_e32 v64, 0x3fb8aa3b, v55
	v_fma_f32 v65, 0x3fb8aa3b, v55, -v64
	v_rndne_f32_e32 v66, v64
	s_delay_alu instid0(VALU_DEP_1) | instskip(NEXT) | instid1(VALU_DEP_1)
	v_dual_fmamk_f32 v65, v55, 0x32a5705f, v65 :: v_dual_sub_f32 v64, v64, v66
	v_add_f32_e32 v64, v64, v65
	v_cvt_i32_f32_e32 v65, v66
	v_cmp_ngt_f32_e64 s25, 0xc2ce8ed0, v55
	s_delay_alu instid0(VALU_DEP_3) | instskip(SKIP_2) | instid1(VALU_DEP_1)
	v_exp_f32_e32 v64, v64
	s_waitcnt_depctr 0xfff
	v_ldexp_f32 v64, v64, v65
	v_cndmask_b32_e64 v64, 0, v64, s25
	v_cmp_nlt_f32_e64 s25, 0x42b17218, v55
	s_delay_alu instid0(VALU_DEP_1) | instskip(NEXT) | instid1(VALU_DEP_1)
	v_cndmask_b32_e64 v55, 0x7f800000, v64, s25
	v_add_f32_e32 v66, 1.0, v55
	v_cmp_gt_f32_e64 s30, 0x33800000, |v55|
	s_delay_alu instid0(VALU_DEP_2) | instskip(NEXT) | instid1(VALU_DEP_1)
	v_cvt_f64_f32_e32 v[64:65], v66
	v_frexp_exp_i32_f64_e32 v64, v[64:65]
	v_frexp_mant_f32_e32 v65, v66
	s_delay_alu instid0(VALU_DEP_1) | instskip(SKIP_1) | instid1(VALU_DEP_1)
	v_cmp_gt_f32_e64 s25, 0x3f2aaaab, v65
	v_add_f32_e32 v65, -1.0, v66
	v_dual_sub_f32 v68, v65, v66 :: v_dual_sub_f32 v65, v55, v65
	s_delay_alu instid0(VALU_DEP_3) | instskip(SKIP_1) | instid1(VALU_DEP_1)
	v_subrev_co_ci_u32_e64 v64, s25, 0, v64, s25
	s_mov_b32 s25, 0x3e9b6dac
	v_sub_nc_u32_e32 v67, 0, v64
	v_cvt_f32_i32_e32 v64, v64
	s_delay_alu instid0(VALU_DEP_2) | instskip(NEXT) | instid1(VALU_DEP_1)
	v_ldexp_f32 v66, v66, v67
	v_dual_add_f32 v68, 1.0, v68 :: v_dual_add_f32 v69, 1.0, v66
	s_delay_alu instid0(VALU_DEP_1) | instskip(NEXT) | instid1(VALU_DEP_1)
	v_dual_add_f32 v65, v65, v68 :: v_dual_add_f32 v68, -1.0, v69
	v_ldexp_f32 v65, v65, v67
	s_delay_alu instid0(VALU_DEP_2) | instskip(NEXT) | instid1(VALU_DEP_1)
	v_dual_add_f32 v67, -1.0, v66 :: v_dual_sub_f32 v68, v66, v68
	v_add_f32_e32 v70, 1.0, v67
	s_delay_alu instid0(VALU_DEP_2) | instskip(NEXT) | instid1(VALU_DEP_2)
	v_add_f32_e32 v68, v65, v68
	v_sub_f32_e32 v66, v66, v70
	s_delay_alu instid0(VALU_DEP_1) | instskip(NEXT) | instid1(VALU_DEP_1)
	v_add_f32_e32 v65, v65, v66
	v_dual_add_f32 v71, v67, v65 :: v_dual_add_f32 v70, v69, v68
	s_delay_alu instid0(VALU_DEP_1) | instskip(NEXT) | instid1(VALU_DEP_2)
	v_sub_f32_e32 v67, v67, v71
	v_rcp_f32_e32 v66, v70
	v_sub_f32_e32 v69, v69, v70
	s_delay_alu instid0(VALU_DEP_1) | instskip(SKIP_2) | instid1(VALU_DEP_1)
	v_dual_add_f32 v65, v65, v67 :: v_dual_add_f32 v68, v68, v69
	s_waitcnt_depctr 0xfff
	v_mul_f32_e32 v80, v71, v66
	v_mul_f32_e32 v81, v70, v80
	s_delay_alu instid0(VALU_DEP_1) | instskip(NEXT) | instid1(VALU_DEP_1)
	v_fma_f32 v69, v80, v70, -v81
	v_fmac_f32_e32 v69, v80, v68
	s_delay_alu instid0(VALU_DEP_1) | instskip(NEXT) | instid1(VALU_DEP_1)
	v_add_f32_e32 v82, v81, v69
	v_sub_f32_e32 v83, v71, v82
	s_delay_alu instid0(VALU_DEP_1) | instskip(SKIP_1) | instid1(VALU_DEP_2)
	v_sub_f32_e32 v71, v71, v83
	v_sub_f32_e32 v67, v82, v81
	;; [unrolled: 1-line block ×3, first 2 shown]
	s_delay_alu instid0(VALU_DEP_2) | instskip(NEXT) | instid1(VALU_DEP_2)
	v_sub_f32_e32 v67, v67, v69
	v_add_f32_e32 v65, v65, v71
	s_delay_alu instid0(VALU_DEP_1) | instskip(NEXT) | instid1(VALU_DEP_1)
	v_add_f32_e32 v65, v67, v65
	v_add_f32_e32 v67, v83, v65
	s_delay_alu instid0(VALU_DEP_1) | instskip(NEXT) | instid1(VALU_DEP_1)
	v_mul_f32_e32 v69, v66, v67
	v_dual_sub_f32 v82, v83, v67 :: v_dual_mul_f32 v71, v70, v69
	s_delay_alu instid0(VALU_DEP_1) | instskip(NEXT) | instid1(VALU_DEP_2)
	v_add_f32_e32 v65, v65, v82
	v_fma_f32 v70, v69, v70, -v71
	s_delay_alu instid0(VALU_DEP_1) | instskip(NEXT) | instid1(VALU_DEP_1)
	v_fmac_f32_e32 v70, v69, v68
	v_add_f32_e32 v68, v71, v70
	s_delay_alu instid0(VALU_DEP_1) | instskip(SKIP_1) | instid1(VALU_DEP_2)
	v_sub_f32_e32 v81, v67, v68
	v_sub_f32_e32 v71, v68, v71
	;; [unrolled: 1-line block ×3, first 2 shown]
	s_delay_alu instid0(VALU_DEP_1) | instskip(NEXT) | instid1(VALU_DEP_1)
	v_sub_f32_e32 v67, v67, v68
	v_dual_sub_f32 v68, v71, v70 :: v_dual_add_f32 v65, v65, v67
	v_add_f32_e32 v67, v80, v69
	s_delay_alu instid0(VALU_DEP_1) | instskip(NEXT) | instid1(VALU_DEP_1)
	v_dual_add_f32 v65, v68, v65 :: v_dual_sub_f32 v68, v67, v80
	v_add_f32_e32 v65, v81, v65
	s_delay_alu instid0(VALU_DEP_1) | instskip(NEXT) | instid1(VALU_DEP_1)
	v_dual_sub_f32 v68, v69, v68 :: v_dual_mul_f32 v65, v66, v65
	v_add_f32_e32 v65, v68, v65
	s_delay_alu instid0(VALU_DEP_1) | instskip(NEXT) | instid1(VALU_DEP_1)
	v_add_f32_e32 v66, v67, v65
	v_mul_f32_e32 v68, v66, v66
	s_delay_alu instid0(VALU_DEP_1) | instskip(SKIP_2) | instid1(VALU_DEP_3)
	v_fmaak_f32 v69, s25, v68, 0x3ecc95a3
	v_mul_f32_e32 v70, v66, v68
	v_cmp_eq_f32_e64 s25, 0x7f800000, v55
	v_fmaak_f32 v68, v68, v69, 0x3f2aaada
	v_ldexp_f32 v69, v66, 1
	v_sub_f32_e32 v66, v66, v67
	s_delay_alu instid0(VALU_DEP_4) | instskip(NEXT) | instid1(VALU_DEP_3)
	s_or_b32 s25, s25, s30
	v_mul_f32_e32 v68, v70, v68
	s_delay_alu instid0(VALU_DEP_2) | instskip(NEXT) | instid1(VALU_DEP_2)
	v_dual_mul_f32 v70, 0x3f317218, v64 :: v_dual_sub_f32 v65, v65, v66
	v_add_f32_e32 v67, v69, v68
	s_delay_alu instid0(VALU_DEP_2) | instskip(NEXT) | instid1(VALU_DEP_2)
	v_ldexp_f32 v65, v65, 1
	v_sub_f32_e32 v66, v67, v69
	s_delay_alu instid0(VALU_DEP_4) | instskip(NEXT) | instid1(VALU_DEP_2)
	v_fma_f32 v69, 0x3f317218, v64, -v70
	v_sub_f32_e32 v66, v68, v66
	s_delay_alu instid0(VALU_DEP_1) | instskip(NEXT) | instid1(VALU_DEP_1)
	v_dual_fmamk_f32 v64, v64, 0xb102e308, v69 :: v_dual_add_f32 v65, v65, v66
	v_add_f32_e32 v66, v70, v64
	s_delay_alu instid0(VALU_DEP_1) | instskip(NEXT) | instid1(VALU_DEP_1)
	v_sub_f32_e32 v70, v66, v70
	v_sub_f32_e32 v64, v64, v70
	s_delay_alu instid0(VALU_DEP_4) | instskip(NEXT) | instid1(VALU_DEP_1)
	v_add_f32_e32 v68, v67, v65
	v_sub_f32_e32 v67, v68, v67
	s_delay_alu instid0(VALU_DEP_1) | instskip(SKIP_1) | instid1(VALU_DEP_1)
	v_sub_f32_e32 v65, v65, v67
	v_add_f32_e32 v69, v66, v68
	v_sub_f32_e32 v71, v69, v66
	s_delay_alu instid0(VALU_DEP_1) | instskip(NEXT) | instid1(VALU_DEP_4)
	v_sub_f32_e32 v67, v68, v71
	v_add_f32_e32 v68, v64, v65
	v_sub_f32_e32 v80, v69, v71
	s_delay_alu instid0(VALU_DEP_1) | instskip(NEXT) | instid1(VALU_DEP_1)
	v_sub_f32_e32 v66, v66, v80
	v_dual_add_f32 v66, v67, v66 :: v_dual_sub_f32 v67, v68, v64
	s_delay_alu instid0(VALU_DEP_1) | instskip(SKIP_1) | instid1(VALU_DEP_2)
	v_dual_add_f32 v66, v68, v66 :: v_dual_sub_f32 v65, v65, v67
	v_sub_f32_e32 v68, v68, v67
	v_add_f32_e32 v70, v69, v66
	s_delay_alu instid0(VALU_DEP_1) | instskip(NEXT) | instid1(VALU_DEP_1)
	v_dual_sub_f32 v64, v64, v68 :: v_dual_sub_f32 v67, v70, v69
	v_dual_add_f32 v64, v65, v64 :: v_dual_sub_f32 v65, v66, v67
	s_delay_alu instid0(VALU_DEP_1) | instskip(NEXT) | instid1(VALU_DEP_1)
	v_add_f32_e32 v64, v64, v65
	v_add_f32_e32 v64, v70, v64
	s_delay_alu instid0(VALU_DEP_1) | instskip(NEXT) | instid1(VALU_DEP_1)
	v_cndmask_b32_e64 v55, v64, v55, s25
	v_add_f32_e32 v54, v54, v55
	s_delay_alu instid0(VALU_DEP_1)
	v_cvt_f16_f32_e32 v64, v54
.LBB362_294:
	s_or_b32 exec_lo, exec_lo, vcc_hi
	s_delay_alu instid0(VALU_DEP_1)
	v_dual_mov_b32 v54, v64 :: v_dual_and_b32 v55, 0xffff, v64
.LBB362_295:
	s_or_b32 exec_lo, exec_lo, s27
	s_delay_alu instid0(VALU_DEP_1)
	v_mov_b32_dpp v64, v55 row_shr:8 row_mask:0xf bank_mask:0xf
	s_mov_b32 s27, exec_lo
	v_cmpx_lt_u32_e32 7, v53
	s_cbranch_execz .LBB362_299
; %bb.296:
	s_delay_alu instid0(VALU_DEP_2) | instskip(SKIP_2) | instid1(VALU_DEP_2)
	v_cvt_f32_f16_e32 v53, v64
	v_cvt_f32_f16_e32 v55, v54
	v_cmp_u_f16_e64 s25, v64, v64
	v_min_f32_e32 v65, v53, v55
	v_max_f32_e32 v66, v53, v55
	s_delay_alu instid0(VALU_DEP_2) | instskip(NEXT) | instid1(VALU_DEP_2)
	v_cndmask_b32_e64 v65, v65, v53, s25
	v_cndmask_b32_e64 v53, v66, v53, s25
	v_cmp_u_f16_e64 s25, v54, v54
	s_delay_alu instid0(VALU_DEP_1) | instskip(NEXT) | instid1(VALU_DEP_3)
	v_cndmask_b32_e64 v54, v65, v55, s25
	v_cndmask_b32_e64 v53, v53, v55, s25
	s_delay_alu instid0(VALU_DEP_2) | instskip(NEXT) | instid1(VALU_DEP_2)
	v_cmp_class_f32_e64 vcc_hi, v54, 0x1f8
	v_cmp_neq_f32_e64 s25, v54, v53
	s_delay_alu instid0(VALU_DEP_1) | instskip(NEXT) | instid1(SALU_CYCLE_1)
	s_or_b32 s25, s25, vcc_hi
	s_and_saveexec_b32 vcc_hi, s25
	s_cbranch_execz .LBB362_298
; %bb.297:
	v_sub_f32_e32 v54, v54, v53
	s_delay_alu instid0(VALU_DEP_1) | instskip(NEXT) | instid1(VALU_DEP_1)
	v_mul_f32_e32 v55, 0x3fb8aa3b, v54
	v_fma_f32 v64, 0x3fb8aa3b, v54, -v55
	v_rndne_f32_e32 v65, v55
	s_delay_alu instid0(VALU_DEP_1) | instskip(NEXT) | instid1(VALU_DEP_1)
	v_dual_fmamk_f32 v64, v54, 0x32a5705f, v64 :: v_dual_sub_f32 v55, v55, v65
	v_add_f32_e32 v55, v55, v64
	v_cvt_i32_f32_e32 v64, v65
	v_cmp_ngt_f32_e64 s25, 0xc2ce8ed0, v54
	s_delay_alu instid0(VALU_DEP_3) | instskip(SKIP_2) | instid1(VALU_DEP_1)
	v_exp_f32_e32 v55, v55
	s_waitcnt_depctr 0xfff
	v_ldexp_f32 v55, v55, v64
	v_cndmask_b32_e64 v55, 0, v55, s25
	v_cmp_nlt_f32_e64 s25, 0x42b17218, v54
	s_delay_alu instid0(VALU_DEP_1) | instskip(NEXT) | instid1(VALU_DEP_1)
	v_cndmask_b32_e64 v64, 0x7f800000, v55, s25
	v_add_f32_e32 v65, 1.0, v64
	v_cmp_gt_f32_e64 s30, 0x33800000, |v64|
	s_delay_alu instid0(VALU_DEP_2) | instskip(NEXT) | instid1(VALU_DEP_1)
	v_cvt_f64_f32_e32 v[54:55], v65
	v_frexp_exp_i32_f64_e32 v54, v[54:55]
	v_frexp_mant_f32_e32 v55, v65
	s_delay_alu instid0(VALU_DEP_1) | instskip(SKIP_1) | instid1(VALU_DEP_1)
	v_cmp_gt_f32_e64 s25, 0x3f2aaaab, v55
	v_add_f32_e32 v55, -1.0, v65
	v_sub_f32_e32 v67, v55, v65
	s_delay_alu instid0(VALU_DEP_3) | instskip(SKIP_1) | instid1(VALU_DEP_1)
	v_subrev_co_ci_u32_e64 v54, s25, 0, v54, s25
	s_mov_b32 s25, 0x3e9b6dac
	v_sub_nc_u32_e32 v66, 0, v54
	v_cvt_f32_i32_e32 v54, v54
	s_delay_alu instid0(VALU_DEP_2) | instskip(NEXT) | instid1(VALU_DEP_1)
	v_ldexp_f32 v65, v65, v66
	v_dual_sub_f32 v55, v64, v55 :: v_dual_add_f32 v68, 1.0, v65
	v_add_f32_e32 v67, 1.0, v67
	s_delay_alu instid0(VALU_DEP_1) | instskip(NEXT) | instid1(VALU_DEP_3)
	v_add_f32_e32 v55, v55, v67
	v_add_f32_e32 v67, -1.0, v68
	s_delay_alu instid0(VALU_DEP_2) | instskip(NEXT) | instid1(VALU_DEP_2)
	v_ldexp_f32 v55, v55, v66
	v_dual_add_f32 v66, -1.0, v65 :: v_dual_sub_f32 v67, v65, v67
	s_delay_alu instid0(VALU_DEP_1) | instskip(NEXT) | instid1(VALU_DEP_2)
	v_add_f32_e32 v69, 1.0, v66
	v_add_f32_e32 v67, v55, v67
	s_delay_alu instid0(VALU_DEP_2) | instskip(NEXT) | instid1(VALU_DEP_2)
	v_sub_f32_e32 v65, v65, v69
	v_add_f32_e32 v69, v68, v67
	s_delay_alu instid0(VALU_DEP_2) | instskip(NEXT) | instid1(VALU_DEP_2)
	v_add_f32_e32 v55, v55, v65
	v_rcp_f32_e32 v65, v69
	v_sub_f32_e32 v68, v68, v69
	s_delay_alu instid0(VALU_DEP_1) | instskip(NEXT) | instid1(VALU_DEP_1)
	v_dual_add_f32 v70, v66, v55 :: v_dual_add_f32 v67, v67, v68
	v_sub_f32_e32 v66, v66, v70
	s_waitcnt_depctr 0xfff
	v_mul_f32_e32 v71, v70, v65
	s_delay_alu instid0(VALU_DEP_1) | instskip(NEXT) | instid1(VALU_DEP_1)
	v_dual_add_f32 v55, v55, v66 :: v_dual_mul_f32 v80, v69, v71
	v_fma_f32 v68, v71, v69, -v80
	s_delay_alu instid0(VALU_DEP_1) | instskip(NEXT) | instid1(VALU_DEP_1)
	v_fmac_f32_e32 v68, v71, v67
	v_add_f32_e32 v81, v80, v68
	s_delay_alu instid0(VALU_DEP_1) | instskip(SKIP_1) | instid1(VALU_DEP_2)
	v_sub_f32_e32 v82, v70, v81
	v_sub_f32_e32 v66, v81, v80
	;; [unrolled: 1-line block ×3, first 2 shown]
	s_delay_alu instid0(VALU_DEP_2) | instskip(NEXT) | instid1(VALU_DEP_2)
	v_sub_f32_e32 v66, v66, v68
	v_sub_f32_e32 v70, v70, v81
	s_delay_alu instid0(VALU_DEP_1) | instskip(NEXT) | instid1(VALU_DEP_1)
	v_add_f32_e32 v55, v55, v70
	v_add_f32_e32 v55, v66, v55
	s_delay_alu instid0(VALU_DEP_1) | instskip(NEXT) | instid1(VALU_DEP_1)
	v_add_f32_e32 v66, v82, v55
	v_mul_f32_e32 v68, v65, v66
	s_delay_alu instid0(VALU_DEP_1) | instskip(NEXT) | instid1(VALU_DEP_1)
	v_dual_sub_f32 v81, v82, v66 :: v_dual_mul_f32 v70, v69, v68
	v_add_f32_e32 v55, v55, v81
	s_delay_alu instid0(VALU_DEP_2) | instskip(NEXT) | instid1(VALU_DEP_1)
	v_fma_f32 v69, v68, v69, -v70
	v_fmac_f32_e32 v69, v68, v67
	s_delay_alu instid0(VALU_DEP_1) | instskip(NEXT) | instid1(VALU_DEP_1)
	v_add_f32_e32 v67, v70, v69
	v_sub_f32_e32 v80, v66, v67
	v_sub_f32_e32 v70, v67, v70
	s_delay_alu instid0(VALU_DEP_2) | instskip(NEXT) | instid1(VALU_DEP_1)
	v_sub_f32_e32 v66, v66, v80
	v_sub_f32_e32 v66, v66, v67
	s_delay_alu instid0(VALU_DEP_3) | instskip(NEXT) | instid1(VALU_DEP_2)
	v_sub_f32_e32 v67, v70, v69
	v_add_f32_e32 v55, v55, v66
	v_add_f32_e32 v66, v71, v68
	s_delay_alu instid0(VALU_DEP_2) | instskip(NEXT) | instid1(VALU_DEP_2)
	v_add_f32_e32 v55, v67, v55
	v_sub_f32_e32 v67, v66, v71
	s_delay_alu instid0(VALU_DEP_2) | instskip(NEXT) | instid1(VALU_DEP_2)
	v_add_f32_e32 v55, v80, v55
	v_sub_f32_e32 v67, v68, v67
	s_delay_alu instid0(VALU_DEP_2) | instskip(NEXT) | instid1(VALU_DEP_1)
	v_mul_f32_e32 v55, v65, v55
	v_add_f32_e32 v55, v67, v55
	s_delay_alu instid0(VALU_DEP_1) | instskip(NEXT) | instid1(VALU_DEP_1)
	v_add_f32_e32 v65, v66, v55
	v_mul_f32_e32 v67, v65, v65
	s_delay_alu instid0(VALU_DEP_1) | instskip(SKIP_2) | instid1(VALU_DEP_3)
	v_fmaak_f32 v68, s25, v67, 0x3ecc95a3
	v_mul_f32_e32 v69, v65, v67
	v_cmp_eq_f32_e64 s25, 0x7f800000, v64
	v_fmaak_f32 v67, v67, v68, 0x3f2aaada
	v_ldexp_f32 v68, v65, 1
	v_sub_f32_e32 v65, v65, v66
	s_delay_alu instid0(VALU_DEP_4) | instskip(NEXT) | instid1(VALU_DEP_3)
	s_or_b32 s25, s25, s30
	v_mul_f32_e32 v67, v69, v67
	v_mul_f32_e32 v69, 0x3f317218, v54
	s_delay_alu instid0(VALU_DEP_2) | instskip(NEXT) | instid1(VALU_DEP_1)
	v_dual_sub_f32 v55, v55, v65 :: v_dual_add_f32 v66, v68, v67
	v_ldexp_f32 v55, v55, 1
	s_delay_alu instid0(VALU_DEP_2) | instskip(NEXT) | instid1(VALU_DEP_4)
	v_sub_f32_e32 v65, v66, v68
	v_fma_f32 v68, 0x3f317218, v54, -v69
	s_delay_alu instid0(VALU_DEP_1) | instskip(NEXT) | instid1(VALU_DEP_1)
	v_dual_sub_f32 v65, v67, v65 :: v_dual_fmamk_f32 v54, v54, 0xb102e308, v68
	v_add_f32_e32 v55, v55, v65
	s_delay_alu instid0(VALU_DEP_2) | instskip(NEXT) | instid1(VALU_DEP_2)
	v_add_f32_e32 v65, v69, v54
	v_add_f32_e32 v67, v66, v55
	s_delay_alu instid0(VALU_DEP_2) | instskip(NEXT) | instid1(VALU_DEP_2)
	v_sub_f32_e32 v69, v65, v69
	v_add_f32_e32 v68, v65, v67
	v_sub_f32_e32 v66, v67, v66
	s_delay_alu instid0(VALU_DEP_3) | instskip(NEXT) | instid1(VALU_DEP_2)
	v_sub_f32_e32 v54, v54, v69
	v_dual_sub_f32 v70, v68, v65 :: v_dual_sub_f32 v55, v55, v66
	s_delay_alu instid0(VALU_DEP_1) | instskip(NEXT) | instid1(VALU_DEP_2)
	v_sub_f32_e32 v71, v68, v70
	v_dual_sub_f32 v66, v67, v70 :: v_dual_add_f32 v67, v54, v55
	s_delay_alu instid0(VALU_DEP_2) | instskip(NEXT) | instid1(VALU_DEP_1)
	v_sub_f32_e32 v65, v65, v71
	v_dual_add_f32 v65, v66, v65 :: v_dual_sub_f32 v66, v67, v54
	s_delay_alu instid0(VALU_DEP_1) | instskip(NEXT) | instid1(VALU_DEP_2)
	v_add_f32_e32 v65, v67, v65
	v_sub_f32_e32 v67, v67, v66
	v_sub_f32_e32 v55, v55, v66
	s_delay_alu instid0(VALU_DEP_2) | instskip(NEXT) | instid1(VALU_DEP_1)
	v_dual_add_f32 v69, v68, v65 :: v_dual_sub_f32 v54, v54, v67
	v_sub_f32_e32 v66, v69, v68
	s_delay_alu instid0(VALU_DEP_2) | instskip(NEXT) | instid1(VALU_DEP_2)
	v_add_f32_e32 v54, v55, v54
	v_sub_f32_e32 v55, v65, v66
	s_delay_alu instid0(VALU_DEP_1) | instskip(NEXT) | instid1(VALU_DEP_1)
	v_add_f32_e32 v54, v54, v55
	v_add_f32_e32 v54, v69, v54
	s_delay_alu instid0(VALU_DEP_1) | instskip(NEXT) | instid1(VALU_DEP_1)
	v_cndmask_b32_e64 v54, v54, v64, s25
	v_add_f32_e32 v53, v53, v54
	s_delay_alu instid0(VALU_DEP_1)
	v_cvt_f16_f32_e32 v64, v53
.LBB362_298:
	s_or_b32 exec_lo, exec_lo, vcc_hi
	s_delay_alu instid0(VALU_DEP_1)
	v_dual_mov_b32 v54, v64 :: v_dual_and_b32 v55, 0xffff, v64
.LBB362_299:
	s_or_b32 exec_lo, exec_lo, s27
	ds_swizzle_b32 v55, v55 offset:swizzle(BROADCAST,32,15)
	v_and_b32_e32 v53, 16, v52
	s_mov_b32 s27, exec_lo
	s_delay_alu instid0(VALU_DEP_1)
	v_cmpx_ne_u32_e32 0, v53
	s_cbranch_execz .LBB362_303
; %bb.300:
	s_waitcnt lgkmcnt(0)
	v_cvt_f32_f16_e32 v53, v55
	v_cvt_f32_f16_e32 v64, v54
	v_cmp_u_f16_e64 s25, v55, v55
	s_delay_alu instid0(VALU_DEP_2) | instskip(SKIP_1) | instid1(VALU_DEP_2)
	v_min_f32_e32 v65, v53, v64
	v_max_f32_e32 v66, v53, v64
	v_cndmask_b32_e64 v65, v65, v53, s25
	s_delay_alu instid0(VALU_DEP_2) | instskip(SKIP_1) | instid1(VALU_DEP_1)
	v_cndmask_b32_e64 v53, v66, v53, s25
	v_cmp_u_f16_e64 s25, v54, v54
	v_cndmask_b32_e64 v54, v65, v64, s25
	s_delay_alu instid0(VALU_DEP_3) | instskip(NEXT) | instid1(VALU_DEP_2)
	v_cndmask_b32_e64 v53, v53, v64, s25
	v_cmp_class_f32_e64 vcc_hi, v54, 0x1f8
	s_delay_alu instid0(VALU_DEP_2) | instskip(NEXT) | instid1(VALU_DEP_1)
	v_cmp_neq_f32_e64 s25, v54, v53
	s_or_b32 s25, s25, vcc_hi
	s_delay_alu instid0(SALU_CYCLE_1)
	s_and_saveexec_b32 vcc_hi, s25
	s_cbranch_execz .LBB362_302
; %bb.301:
	v_sub_f32_e32 v54, v54, v53
	s_delay_alu instid0(VALU_DEP_1) | instskip(NEXT) | instid1(VALU_DEP_1)
	v_mul_f32_e32 v55, 0x3fb8aa3b, v54
	v_fma_f32 v64, 0x3fb8aa3b, v54, -v55
	v_rndne_f32_e32 v65, v55
	s_delay_alu instid0(VALU_DEP_1) | instskip(NEXT) | instid1(VALU_DEP_1)
	v_dual_fmamk_f32 v64, v54, 0x32a5705f, v64 :: v_dual_sub_f32 v55, v55, v65
	v_add_f32_e32 v55, v55, v64
	v_cvt_i32_f32_e32 v64, v65
	v_cmp_ngt_f32_e64 s25, 0xc2ce8ed0, v54
	s_delay_alu instid0(VALU_DEP_3) | instskip(SKIP_2) | instid1(VALU_DEP_1)
	v_exp_f32_e32 v55, v55
	s_waitcnt_depctr 0xfff
	v_ldexp_f32 v55, v55, v64
	v_cndmask_b32_e64 v55, 0, v55, s25
	v_cmp_nlt_f32_e64 s25, 0x42b17218, v54
	s_delay_alu instid0(VALU_DEP_1) | instskip(NEXT) | instid1(VALU_DEP_1)
	v_cndmask_b32_e64 v64, 0x7f800000, v55, s25
	v_add_f32_e32 v65, 1.0, v64
	v_cmp_gt_f32_e64 s30, 0x33800000, |v64|
	s_delay_alu instid0(VALU_DEP_2) | instskip(NEXT) | instid1(VALU_DEP_1)
	v_cvt_f64_f32_e32 v[54:55], v65
	v_frexp_exp_i32_f64_e32 v54, v[54:55]
	v_frexp_mant_f32_e32 v55, v65
	s_delay_alu instid0(VALU_DEP_1) | instskip(SKIP_1) | instid1(VALU_DEP_1)
	v_cmp_gt_f32_e64 s25, 0x3f2aaaab, v55
	v_add_f32_e32 v55, -1.0, v65
	v_sub_f32_e32 v67, v55, v65
	s_delay_alu instid0(VALU_DEP_3) | instskip(SKIP_1) | instid1(VALU_DEP_1)
	v_subrev_co_ci_u32_e64 v54, s25, 0, v54, s25
	s_mov_b32 s25, 0x3e9b6dac
	v_sub_nc_u32_e32 v66, 0, v54
	v_cvt_f32_i32_e32 v54, v54
	s_delay_alu instid0(VALU_DEP_2) | instskip(NEXT) | instid1(VALU_DEP_1)
	v_ldexp_f32 v65, v65, v66
	v_dual_sub_f32 v55, v64, v55 :: v_dual_add_f32 v68, 1.0, v65
	v_add_f32_e32 v67, 1.0, v67
	s_delay_alu instid0(VALU_DEP_1) | instskip(NEXT) | instid1(VALU_DEP_3)
	v_add_f32_e32 v55, v55, v67
	v_add_f32_e32 v67, -1.0, v68
	s_delay_alu instid0(VALU_DEP_2) | instskip(NEXT) | instid1(VALU_DEP_2)
	v_ldexp_f32 v55, v55, v66
	v_dual_add_f32 v66, -1.0, v65 :: v_dual_sub_f32 v67, v65, v67
	s_delay_alu instid0(VALU_DEP_1) | instskip(NEXT) | instid1(VALU_DEP_2)
	v_add_f32_e32 v69, 1.0, v66
	v_add_f32_e32 v67, v55, v67
	s_delay_alu instid0(VALU_DEP_2) | instskip(NEXT) | instid1(VALU_DEP_2)
	v_sub_f32_e32 v65, v65, v69
	v_add_f32_e32 v69, v68, v67
	s_delay_alu instid0(VALU_DEP_2) | instskip(NEXT) | instid1(VALU_DEP_2)
	v_add_f32_e32 v55, v55, v65
	v_rcp_f32_e32 v65, v69
	v_sub_f32_e32 v68, v68, v69
	s_delay_alu instid0(VALU_DEP_1) | instskip(NEXT) | instid1(VALU_DEP_1)
	v_dual_add_f32 v70, v66, v55 :: v_dual_add_f32 v67, v67, v68
	v_sub_f32_e32 v66, v66, v70
	s_waitcnt_depctr 0xfff
	v_mul_f32_e32 v71, v70, v65
	s_delay_alu instid0(VALU_DEP_1) | instskip(NEXT) | instid1(VALU_DEP_1)
	v_dual_add_f32 v55, v55, v66 :: v_dual_mul_f32 v80, v69, v71
	v_fma_f32 v68, v71, v69, -v80
	s_delay_alu instid0(VALU_DEP_1) | instskip(NEXT) | instid1(VALU_DEP_1)
	v_fmac_f32_e32 v68, v71, v67
	v_add_f32_e32 v81, v80, v68
	s_delay_alu instid0(VALU_DEP_1) | instskip(SKIP_1) | instid1(VALU_DEP_2)
	v_sub_f32_e32 v82, v70, v81
	v_sub_f32_e32 v66, v81, v80
	;; [unrolled: 1-line block ×3, first 2 shown]
	s_delay_alu instid0(VALU_DEP_2) | instskip(NEXT) | instid1(VALU_DEP_2)
	v_sub_f32_e32 v66, v66, v68
	v_sub_f32_e32 v70, v70, v81
	s_delay_alu instid0(VALU_DEP_1) | instskip(NEXT) | instid1(VALU_DEP_1)
	v_add_f32_e32 v55, v55, v70
	v_add_f32_e32 v55, v66, v55
	s_delay_alu instid0(VALU_DEP_1) | instskip(NEXT) | instid1(VALU_DEP_1)
	v_add_f32_e32 v66, v82, v55
	v_mul_f32_e32 v68, v65, v66
	s_delay_alu instid0(VALU_DEP_1) | instskip(NEXT) | instid1(VALU_DEP_1)
	v_dual_sub_f32 v81, v82, v66 :: v_dual_mul_f32 v70, v69, v68
	v_add_f32_e32 v55, v55, v81
	s_delay_alu instid0(VALU_DEP_2) | instskip(NEXT) | instid1(VALU_DEP_1)
	v_fma_f32 v69, v68, v69, -v70
	v_fmac_f32_e32 v69, v68, v67
	s_delay_alu instid0(VALU_DEP_1) | instskip(NEXT) | instid1(VALU_DEP_1)
	v_add_f32_e32 v67, v70, v69
	v_sub_f32_e32 v80, v66, v67
	v_sub_f32_e32 v70, v67, v70
	s_delay_alu instid0(VALU_DEP_2) | instskip(NEXT) | instid1(VALU_DEP_1)
	v_sub_f32_e32 v66, v66, v80
	v_sub_f32_e32 v66, v66, v67
	s_delay_alu instid0(VALU_DEP_3) | instskip(NEXT) | instid1(VALU_DEP_2)
	v_sub_f32_e32 v67, v70, v69
	v_add_f32_e32 v55, v55, v66
	v_add_f32_e32 v66, v71, v68
	s_delay_alu instid0(VALU_DEP_2) | instskip(NEXT) | instid1(VALU_DEP_2)
	v_add_f32_e32 v55, v67, v55
	v_sub_f32_e32 v67, v66, v71
	s_delay_alu instid0(VALU_DEP_2) | instskip(NEXT) | instid1(VALU_DEP_2)
	v_add_f32_e32 v55, v80, v55
	v_sub_f32_e32 v67, v68, v67
	s_delay_alu instid0(VALU_DEP_2) | instskip(NEXT) | instid1(VALU_DEP_1)
	v_mul_f32_e32 v55, v65, v55
	v_add_f32_e32 v55, v67, v55
	s_delay_alu instid0(VALU_DEP_1) | instskip(NEXT) | instid1(VALU_DEP_1)
	v_add_f32_e32 v65, v66, v55
	v_mul_f32_e32 v67, v65, v65
	s_delay_alu instid0(VALU_DEP_1) | instskip(SKIP_2) | instid1(VALU_DEP_3)
	v_fmaak_f32 v68, s25, v67, 0x3ecc95a3
	v_mul_f32_e32 v69, v65, v67
	v_cmp_eq_f32_e64 s25, 0x7f800000, v64
	v_fmaak_f32 v67, v67, v68, 0x3f2aaada
	v_ldexp_f32 v68, v65, 1
	v_sub_f32_e32 v65, v65, v66
	s_delay_alu instid0(VALU_DEP_4) | instskip(NEXT) | instid1(VALU_DEP_3)
	s_or_b32 s25, s25, s30
	v_mul_f32_e32 v67, v69, v67
	v_mul_f32_e32 v69, 0x3f317218, v54
	s_delay_alu instid0(VALU_DEP_2) | instskip(NEXT) | instid1(VALU_DEP_1)
	v_dual_sub_f32 v55, v55, v65 :: v_dual_add_f32 v66, v68, v67
	v_ldexp_f32 v55, v55, 1
	s_delay_alu instid0(VALU_DEP_2) | instskip(NEXT) | instid1(VALU_DEP_4)
	v_sub_f32_e32 v65, v66, v68
	v_fma_f32 v68, 0x3f317218, v54, -v69
	s_delay_alu instid0(VALU_DEP_1) | instskip(NEXT) | instid1(VALU_DEP_1)
	v_dual_sub_f32 v65, v67, v65 :: v_dual_fmamk_f32 v54, v54, 0xb102e308, v68
	v_add_f32_e32 v55, v55, v65
	s_delay_alu instid0(VALU_DEP_2) | instskip(NEXT) | instid1(VALU_DEP_2)
	v_add_f32_e32 v65, v69, v54
	v_add_f32_e32 v67, v66, v55
	s_delay_alu instid0(VALU_DEP_2) | instskip(NEXT) | instid1(VALU_DEP_2)
	v_sub_f32_e32 v69, v65, v69
	v_add_f32_e32 v68, v65, v67
	v_sub_f32_e32 v66, v67, v66
	s_delay_alu instid0(VALU_DEP_3) | instskip(NEXT) | instid1(VALU_DEP_2)
	v_sub_f32_e32 v54, v54, v69
	v_dual_sub_f32 v70, v68, v65 :: v_dual_sub_f32 v55, v55, v66
	s_delay_alu instid0(VALU_DEP_1) | instskip(NEXT) | instid1(VALU_DEP_2)
	v_sub_f32_e32 v71, v68, v70
	v_dual_sub_f32 v66, v67, v70 :: v_dual_add_f32 v67, v54, v55
	s_delay_alu instid0(VALU_DEP_2) | instskip(NEXT) | instid1(VALU_DEP_1)
	v_sub_f32_e32 v65, v65, v71
	v_dual_add_f32 v65, v66, v65 :: v_dual_sub_f32 v66, v67, v54
	s_delay_alu instid0(VALU_DEP_1) | instskip(NEXT) | instid1(VALU_DEP_2)
	v_add_f32_e32 v65, v67, v65
	v_sub_f32_e32 v67, v67, v66
	v_sub_f32_e32 v55, v55, v66
	s_delay_alu instid0(VALU_DEP_2) | instskip(NEXT) | instid1(VALU_DEP_1)
	v_dual_add_f32 v69, v68, v65 :: v_dual_sub_f32 v54, v54, v67
	v_sub_f32_e32 v66, v69, v68
	s_delay_alu instid0(VALU_DEP_2) | instskip(NEXT) | instid1(VALU_DEP_2)
	v_add_f32_e32 v54, v55, v54
	v_sub_f32_e32 v55, v65, v66
	s_delay_alu instid0(VALU_DEP_1) | instskip(NEXT) | instid1(VALU_DEP_1)
	v_add_f32_e32 v54, v54, v55
	v_add_f32_e32 v54, v69, v54
	s_delay_alu instid0(VALU_DEP_1) | instskip(NEXT) | instid1(VALU_DEP_1)
	v_cndmask_b32_e64 v54, v54, v64, s25
	v_add_f32_e32 v53, v53, v54
	s_delay_alu instid0(VALU_DEP_1)
	v_cvt_f16_f32_e32 v55, v53
.LBB362_302:
	s_or_b32 exec_lo, exec_lo, vcc_hi
	s_delay_alu instid0(VALU_DEP_1)
	v_mov_b32_e32 v54, v55
.LBB362_303:
	s_or_b32 exec_lo, exec_lo, s27
	v_add_nc_u32_e32 v53, -1, v52
	s_delay_alu instid0(VALU_DEP_1) | instskip(NEXT) | instid1(VALU_DEP_1)
	v_cmp_gt_i32_e64 s25, 0, v53
	v_cndmask_b32_e64 v52, v53, v52, s25
	v_and_b32_e32 v53, 0xffff, v54
	s_delay_alu instid0(VALU_DEP_2)
	v_lshlrev_b32_e32 v52, 2, v52
	ds_bpermute_b32 v52, v52, v53
	v_max_f32_e32 v53, v35, v35
	s_waitcnt lgkmcnt(0)
	v_cvt_f32_f16_e32 v54, v52
	v_cmp_u_f16_e64 s25, v52, v52
	s_delay_alu instid0(VALU_DEP_2) | instskip(SKIP_1) | instid1(VALU_DEP_2)
	v_min_f32_e32 v55, v54, v53
	v_max_f32_e32 v53, v54, v53
	v_cndmask_b32_e64 v55, v55, v54, s25
	s_delay_alu instid0(VALU_DEP_2) | instskip(NEXT) | instid1(VALU_DEP_2)
	v_cndmask_b32_e64 v54, v53, v54, s25
	v_cndmask_b32_e64 v53, v55, v35, s24
	s_delay_alu instid0(VALU_DEP_2) | instskip(NEXT) | instid1(VALU_DEP_2)
	v_cndmask_b32_e64 v35, v54, v35, s24
	v_cmp_class_f32_e64 s25, v53, 0x1f8
	s_delay_alu instid0(VALU_DEP_2) | instskip(NEXT) | instid1(VALU_DEP_1)
	v_cmp_neq_f32_e64 s24, v53, v35
	s_or_b32 s24, s24, s25
	s_delay_alu instid0(SALU_CYCLE_1)
	s_and_saveexec_b32 s25, s24
	s_cbranch_execz .LBB362_305
; %bb.304:
	v_sub_f32_e32 v52, v53, v35
	s_delay_alu instid0(VALU_DEP_1) | instskip(SKIP_1) | instid1(VALU_DEP_2)
	v_mul_f32_e32 v53, 0x3fb8aa3b, v52
	v_cmp_ngt_f32_e64 s24, 0xc2ce8ed0, v52
	v_fma_f32 v54, 0x3fb8aa3b, v52, -v53
	v_rndne_f32_e32 v55, v53
	s_delay_alu instid0(VALU_DEP_1) | instskip(NEXT) | instid1(VALU_DEP_1)
	v_dual_fmamk_f32 v54, v52, 0x32a5705f, v54 :: v_dual_sub_f32 v53, v53, v55
	v_add_f32_e32 v53, v53, v54
	v_cvt_i32_f32_e32 v54, v55
	s_delay_alu instid0(VALU_DEP_2) | instskip(SKIP_2) | instid1(VALU_DEP_1)
	v_exp_f32_e32 v53, v53
	s_waitcnt_depctr 0xfff
	v_ldexp_f32 v53, v53, v54
	v_cndmask_b32_e64 v53, 0, v53, s24
	v_cmp_nlt_f32_e64 s24, 0x42b17218, v52
	s_delay_alu instid0(VALU_DEP_1) | instskip(NEXT) | instid1(VALU_DEP_1)
	v_cndmask_b32_e64 v54, 0x7f800000, v53, s24
	v_add_f32_e32 v55, 1.0, v54
	v_cmp_gt_f32_e64 s27, 0x33800000, |v54|
	s_delay_alu instid0(VALU_DEP_2) | instskip(NEXT) | instid1(VALU_DEP_1)
	v_cvt_f64_f32_e32 v[52:53], v55
	v_frexp_exp_i32_f64_e32 v52, v[52:53]
	v_frexp_mant_f32_e32 v53, v55
	s_delay_alu instid0(VALU_DEP_1) | instskip(SKIP_1) | instid1(VALU_DEP_1)
	v_cmp_gt_f32_e64 s24, 0x3f2aaaab, v53
	v_add_f32_e32 v53, -1.0, v55
	v_sub_f32_e32 v65, v53, v55
	v_sub_f32_e32 v53, v54, v53
	s_delay_alu instid0(VALU_DEP_4) | instskip(SKIP_1) | instid1(VALU_DEP_1)
	v_subrev_co_ci_u32_e64 v52, s24, 0, v52, s24
	s_mov_b32 s24, 0x3e9b6dac
	v_sub_nc_u32_e32 v64, 0, v52
	v_cvt_f32_i32_e32 v52, v52
	s_delay_alu instid0(VALU_DEP_2) | instskip(NEXT) | instid1(VALU_DEP_1)
	v_ldexp_f32 v55, v55, v64
	v_dual_add_f32 v66, 1.0, v55 :: v_dual_add_f32 v65, 1.0, v65
	s_delay_alu instid0(VALU_DEP_1) | instskip(NEXT) | instid1(VALU_DEP_2)
	v_add_f32_e32 v53, v53, v65
	v_add_f32_e32 v65, -1.0, v66
	s_delay_alu instid0(VALU_DEP_2) | instskip(NEXT) | instid1(VALU_DEP_2)
	v_ldexp_f32 v53, v53, v64
	v_dual_add_f32 v64, -1.0, v55 :: v_dual_sub_f32 v65, v55, v65
	s_delay_alu instid0(VALU_DEP_1) | instskip(NEXT) | instid1(VALU_DEP_2)
	v_add_f32_e32 v67, 1.0, v64
	v_add_f32_e32 v65, v53, v65
	s_delay_alu instid0(VALU_DEP_2) | instskip(NEXT) | instid1(VALU_DEP_2)
	v_sub_f32_e32 v55, v55, v67
	v_add_f32_e32 v67, v66, v65
	s_delay_alu instid0(VALU_DEP_2) | instskip(NEXT) | instid1(VALU_DEP_2)
	v_add_f32_e32 v53, v53, v55
	v_rcp_f32_e32 v55, v67
	v_sub_f32_e32 v66, v66, v67
	s_delay_alu instid0(VALU_DEP_1) | instskip(NEXT) | instid1(VALU_DEP_1)
	v_dual_add_f32 v68, v64, v53 :: v_dual_add_f32 v65, v65, v66
	v_sub_f32_e32 v64, v64, v68
	s_waitcnt_depctr 0xfff
	v_mul_f32_e32 v69, v68, v55
	s_delay_alu instid0(VALU_DEP_1) | instskip(NEXT) | instid1(VALU_DEP_1)
	v_dual_add_f32 v53, v53, v64 :: v_dual_mul_f32 v70, v67, v69
	v_fma_f32 v66, v69, v67, -v70
	s_delay_alu instid0(VALU_DEP_1) | instskip(NEXT) | instid1(VALU_DEP_1)
	v_fmac_f32_e32 v66, v69, v65
	v_add_f32_e32 v71, v70, v66
	s_delay_alu instid0(VALU_DEP_1) | instskip(SKIP_1) | instid1(VALU_DEP_2)
	v_sub_f32_e32 v80, v68, v71
	v_sub_f32_e32 v64, v71, v70
	;; [unrolled: 1-line block ×3, first 2 shown]
	s_delay_alu instid0(VALU_DEP_2) | instskip(NEXT) | instid1(VALU_DEP_2)
	v_sub_f32_e32 v64, v64, v66
	v_sub_f32_e32 v68, v68, v71
	s_delay_alu instid0(VALU_DEP_1) | instskip(NEXT) | instid1(VALU_DEP_1)
	v_add_f32_e32 v53, v53, v68
	v_add_f32_e32 v53, v64, v53
	s_delay_alu instid0(VALU_DEP_1) | instskip(NEXT) | instid1(VALU_DEP_1)
	v_add_f32_e32 v64, v80, v53
	v_mul_f32_e32 v66, v55, v64
	s_delay_alu instid0(VALU_DEP_1) | instskip(NEXT) | instid1(VALU_DEP_1)
	v_dual_sub_f32 v71, v80, v64 :: v_dual_mul_f32 v68, v67, v66
	v_add_f32_e32 v53, v53, v71
	s_delay_alu instid0(VALU_DEP_2) | instskip(NEXT) | instid1(VALU_DEP_1)
	v_fma_f32 v67, v66, v67, -v68
	v_fmac_f32_e32 v67, v66, v65
	s_delay_alu instid0(VALU_DEP_1) | instskip(NEXT) | instid1(VALU_DEP_1)
	v_add_f32_e32 v65, v68, v67
	v_sub_f32_e32 v70, v64, v65
	v_sub_f32_e32 v68, v65, v68
	s_delay_alu instid0(VALU_DEP_2) | instskip(NEXT) | instid1(VALU_DEP_1)
	v_sub_f32_e32 v64, v64, v70
	v_sub_f32_e32 v64, v64, v65
	s_delay_alu instid0(VALU_DEP_3) | instskip(NEXT) | instid1(VALU_DEP_2)
	v_sub_f32_e32 v65, v68, v67
	v_add_f32_e32 v53, v53, v64
	v_add_f32_e32 v64, v69, v66
	s_delay_alu instid0(VALU_DEP_2) | instskip(NEXT) | instid1(VALU_DEP_2)
	v_add_f32_e32 v53, v65, v53
	v_sub_f32_e32 v65, v64, v69
	s_delay_alu instid0(VALU_DEP_2) | instskip(NEXT) | instid1(VALU_DEP_2)
	v_add_f32_e32 v53, v70, v53
	v_sub_f32_e32 v65, v66, v65
	s_delay_alu instid0(VALU_DEP_2) | instskip(NEXT) | instid1(VALU_DEP_1)
	v_mul_f32_e32 v53, v55, v53
	v_add_f32_e32 v53, v65, v53
	s_delay_alu instid0(VALU_DEP_1) | instskip(NEXT) | instid1(VALU_DEP_1)
	v_add_f32_e32 v55, v64, v53
	v_mul_f32_e32 v65, v55, v55
	s_delay_alu instid0(VALU_DEP_1) | instskip(SKIP_2) | instid1(VALU_DEP_3)
	v_fmaak_f32 v66, s24, v65, 0x3ecc95a3
	v_mul_f32_e32 v67, v55, v65
	v_cmp_eq_f32_e64 s24, 0x7f800000, v54
	v_fmaak_f32 v65, v65, v66, 0x3f2aaada
	v_ldexp_f32 v66, v55, 1
	v_sub_f32_e32 v55, v55, v64
	s_delay_alu instid0(VALU_DEP_4) | instskip(NEXT) | instid1(VALU_DEP_3)
	s_or_b32 s24, s24, s27
	v_mul_f32_e32 v65, v67, v65
	v_mul_f32_e32 v67, 0x3f317218, v52
	s_delay_alu instid0(VALU_DEP_2) | instskip(NEXT) | instid1(VALU_DEP_1)
	v_dual_sub_f32 v53, v53, v55 :: v_dual_add_f32 v64, v66, v65
	v_ldexp_f32 v53, v53, 1
	s_delay_alu instid0(VALU_DEP_2) | instskip(NEXT) | instid1(VALU_DEP_4)
	v_sub_f32_e32 v55, v64, v66
	v_fma_f32 v66, 0x3f317218, v52, -v67
	s_delay_alu instid0(VALU_DEP_1) | instskip(NEXT) | instid1(VALU_DEP_1)
	v_dual_sub_f32 v55, v65, v55 :: v_dual_fmamk_f32 v52, v52, 0xb102e308, v66
	v_add_f32_e32 v53, v53, v55
	s_delay_alu instid0(VALU_DEP_2) | instskip(NEXT) | instid1(VALU_DEP_2)
	v_add_f32_e32 v55, v67, v52
	v_add_f32_e32 v65, v64, v53
	s_delay_alu instid0(VALU_DEP_2) | instskip(NEXT) | instid1(VALU_DEP_2)
	v_sub_f32_e32 v67, v55, v67
	v_add_f32_e32 v66, v55, v65
	v_sub_f32_e32 v64, v65, v64
	s_delay_alu instid0(VALU_DEP_3) | instskip(NEXT) | instid1(VALU_DEP_2)
	v_sub_f32_e32 v52, v52, v67
	v_dual_sub_f32 v68, v66, v55 :: v_dual_sub_f32 v53, v53, v64
	s_delay_alu instid0(VALU_DEP_1) | instskip(NEXT) | instid1(VALU_DEP_2)
	v_sub_f32_e32 v69, v66, v68
	v_dual_sub_f32 v64, v65, v68 :: v_dual_add_f32 v65, v52, v53
	s_delay_alu instid0(VALU_DEP_2) | instskip(NEXT) | instid1(VALU_DEP_1)
	v_sub_f32_e32 v55, v55, v69
	v_dual_add_f32 v55, v64, v55 :: v_dual_sub_f32 v64, v65, v52
	s_delay_alu instid0(VALU_DEP_1) | instskip(NEXT) | instid1(VALU_DEP_2)
	v_add_f32_e32 v55, v65, v55
	v_sub_f32_e32 v65, v65, v64
	v_sub_f32_e32 v53, v53, v64
	s_delay_alu instid0(VALU_DEP_2) | instskip(NEXT) | instid1(VALU_DEP_1)
	v_dual_add_f32 v67, v66, v55 :: v_dual_sub_f32 v52, v52, v65
	v_sub_f32_e32 v64, v67, v66
	s_delay_alu instid0(VALU_DEP_2) | instskip(NEXT) | instid1(VALU_DEP_2)
	v_add_f32_e32 v52, v53, v52
	v_sub_f32_e32 v53, v55, v64
	s_delay_alu instid0(VALU_DEP_1) | instskip(NEXT) | instid1(VALU_DEP_1)
	v_add_f32_e32 v52, v52, v53
	v_add_f32_e32 v52, v67, v52
	s_delay_alu instid0(VALU_DEP_1) | instskip(NEXT) | instid1(VALU_DEP_1)
	v_cndmask_b32_e64 v52, v52, v54, s24
	v_add_f32_e32 v35, v35, v52
	s_delay_alu instid0(VALU_DEP_1)
	v_cvt_f16_f32_e32 v52, v35
.LBB362_305:
	s_or_b32 exec_lo, exec_lo, s25
	s_delay_alu instid0(VALU_DEP_1)
	v_cndmask_b32_e64 v52, v52, v28, s23
	; wave barrier
	ds_store_b16 v29, v52
	; wave barrier
	ds_load_u16 v35, v29 offset:2
	v_cvt_f32_f16_e32 v53, v52
	v_cmp_u_f16_e64 s23, v52, v52
	s_waitcnt lgkmcnt(0)
	v_cvt_f32_f16_e32 v54, v35
	s_delay_alu instid0(VALU_DEP_1) | instskip(SKIP_1) | instid1(VALU_DEP_2)
	v_min_f32_e32 v55, v53, v54
	v_max_f32_e32 v64, v53, v54
	v_cndmask_b32_e64 v55, v55, v53, s23
	s_delay_alu instid0(VALU_DEP_2) | instskip(SKIP_1) | instid1(VALU_DEP_1)
	v_cndmask_b32_e64 v64, v64, v53, s23
	v_cmp_u_f16_e64 s23, v35, v35
	v_cndmask_b32_e64 v53, v55, v54, s23
	s_delay_alu instid0(VALU_DEP_3) | instskip(NEXT) | instid1(VALU_DEP_2)
	v_cndmask_b32_e64 v35, v64, v54, s23
	v_cmp_class_f32_e64 s24, v53, 0x1f8
	s_delay_alu instid0(VALU_DEP_2) | instskip(NEXT) | instid1(VALU_DEP_1)
	v_cmp_neq_f32_e64 s23, v53, v35
	s_or_b32 s23, s23, s24
	s_delay_alu instid0(SALU_CYCLE_1)
	s_and_saveexec_b32 s24, s23
	s_cbranch_execz .LBB362_307
; %bb.306:
	v_sub_f32_e32 v52, v53, v35
	s_delay_alu instid0(VALU_DEP_1) | instskip(SKIP_1) | instid1(VALU_DEP_2)
	v_mul_f32_e32 v53, 0x3fb8aa3b, v52
	v_cmp_ngt_f32_e64 s23, 0xc2ce8ed0, v52
	v_fma_f32 v54, 0x3fb8aa3b, v52, -v53
	v_rndne_f32_e32 v55, v53
	s_delay_alu instid0(VALU_DEP_1) | instskip(NEXT) | instid1(VALU_DEP_1)
	v_dual_fmamk_f32 v54, v52, 0x32a5705f, v54 :: v_dual_sub_f32 v53, v53, v55
	v_add_f32_e32 v53, v53, v54
	v_cvt_i32_f32_e32 v54, v55
	s_delay_alu instid0(VALU_DEP_2) | instskip(SKIP_2) | instid1(VALU_DEP_1)
	v_exp_f32_e32 v53, v53
	s_waitcnt_depctr 0xfff
	v_ldexp_f32 v53, v53, v54
	v_cndmask_b32_e64 v53, 0, v53, s23
	v_cmp_nlt_f32_e64 s23, 0x42b17218, v52
	s_delay_alu instid0(VALU_DEP_1) | instskip(NEXT) | instid1(VALU_DEP_1)
	v_cndmask_b32_e64 v54, 0x7f800000, v53, s23
	v_add_f32_e32 v55, 1.0, v54
	v_cmp_gt_f32_e64 s25, 0x33800000, |v54|
	s_delay_alu instid0(VALU_DEP_2) | instskip(NEXT) | instid1(VALU_DEP_1)
	v_cvt_f64_f32_e32 v[52:53], v55
	v_frexp_exp_i32_f64_e32 v52, v[52:53]
	v_frexp_mant_f32_e32 v53, v55
	s_delay_alu instid0(VALU_DEP_1) | instskip(SKIP_1) | instid1(VALU_DEP_1)
	v_cmp_gt_f32_e64 s23, 0x3f2aaaab, v53
	v_add_f32_e32 v53, -1.0, v55
	v_sub_f32_e32 v65, v53, v55
	v_sub_f32_e32 v53, v54, v53
	s_delay_alu instid0(VALU_DEP_4) | instskip(SKIP_1) | instid1(VALU_DEP_1)
	v_subrev_co_ci_u32_e64 v52, s23, 0, v52, s23
	s_mov_b32 s23, 0x3e9b6dac
	v_sub_nc_u32_e32 v64, 0, v52
	v_cvt_f32_i32_e32 v52, v52
	s_delay_alu instid0(VALU_DEP_2) | instskip(NEXT) | instid1(VALU_DEP_1)
	v_ldexp_f32 v55, v55, v64
	v_dual_add_f32 v66, 1.0, v55 :: v_dual_add_f32 v65, 1.0, v65
	s_delay_alu instid0(VALU_DEP_1) | instskip(NEXT) | instid1(VALU_DEP_2)
	v_add_f32_e32 v53, v53, v65
	v_add_f32_e32 v65, -1.0, v66
	s_delay_alu instid0(VALU_DEP_2) | instskip(NEXT) | instid1(VALU_DEP_2)
	v_ldexp_f32 v53, v53, v64
	v_dual_add_f32 v64, -1.0, v55 :: v_dual_sub_f32 v65, v55, v65
	s_delay_alu instid0(VALU_DEP_1) | instskip(NEXT) | instid1(VALU_DEP_2)
	v_add_f32_e32 v67, 1.0, v64
	v_add_f32_e32 v65, v53, v65
	s_delay_alu instid0(VALU_DEP_2) | instskip(NEXT) | instid1(VALU_DEP_2)
	v_sub_f32_e32 v55, v55, v67
	v_add_f32_e32 v67, v66, v65
	s_delay_alu instid0(VALU_DEP_2) | instskip(NEXT) | instid1(VALU_DEP_2)
	v_add_f32_e32 v53, v53, v55
	v_rcp_f32_e32 v55, v67
	v_sub_f32_e32 v66, v66, v67
	s_delay_alu instid0(VALU_DEP_1) | instskip(NEXT) | instid1(VALU_DEP_1)
	v_dual_add_f32 v68, v64, v53 :: v_dual_add_f32 v65, v65, v66
	v_sub_f32_e32 v64, v64, v68
	s_waitcnt_depctr 0xfff
	v_mul_f32_e32 v69, v68, v55
	s_delay_alu instid0(VALU_DEP_1) | instskip(NEXT) | instid1(VALU_DEP_1)
	v_dual_add_f32 v53, v53, v64 :: v_dual_mul_f32 v70, v67, v69
	v_fma_f32 v66, v69, v67, -v70
	s_delay_alu instid0(VALU_DEP_1) | instskip(NEXT) | instid1(VALU_DEP_1)
	v_fmac_f32_e32 v66, v69, v65
	v_add_f32_e32 v71, v70, v66
	s_delay_alu instid0(VALU_DEP_1) | instskip(SKIP_1) | instid1(VALU_DEP_2)
	v_sub_f32_e32 v80, v68, v71
	v_sub_f32_e32 v64, v71, v70
	;; [unrolled: 1-line block ×3, first 2 shown]
	s_delay_alu instid0(VALU_DEP_2) | instskip(NEXT) | instid1(VALU_DEP_2)
	v_sub_f32_e32 v64, v64, v66
	v_sub_f32_e32 v68, v68, v71
	s_delay_alu instid0(VALU_DEP_1) | instskip(NEXT) | instid1(VALU_DEP_1)
	v_add_f32_e32 v53, v53, v68
	v_add_f32_e32 v53, v64, v53
	s_delay_alu instid0(VALU_DEP_1) | instskip(NEXT) | instid1(VALU_DEP_1)
	v_add_f32_e32 v64, v80, v53
	v_mul_f32_e32 v66, v55, v64
	s_delay_alu instid0(VALU_DEP_1) | instskip(NEXT) | instid1(VALU_DEP_1)
	v_dual_sub_f32 v71, v80, v64 :: v_dual_mul_f32 v68, v67, v66
	v_add_f32_e32 v53, v53, v71
	s_delay_alu instid0(VALU_DEP_2) | instskip(NEXT) | instid1(VALU_DEP_1)
	v_fma_f32 v67, v66, v67, -v68
	v_fmac_f32_e32 v67, v66, v65
	s_delay_alu instid0(VALU_DEP_1) | instskip(NEXT) | instid1(VALU_DEP_1)
	v_add_f32_e32 v65, v68, v67
	v_sub_f32_e32 v70, v64, v65
	v_sub_f32_e32 v68, v65, v68
	s_delay_alu instid0(VALU_DEP_2) | instskip(NEXT) | instid1(VALU_DEP_1)
	v_sub_f32_e32 v64, v64, v70
	v_sub_f32_e32 v64, v64, v65
	s_delay_alu instid0(VALU_DEP_3) | instskip(NEXT) | instid1(VALU_DEP_2)
	v_sub_f32_e32 v65, v68, v67
	v_add_f32_e32 v53, v53, v64
	v_add_f32_e32 v64, v69, v66
	s_delay_alu instid0(VALU_DEP_2) | instskip(NEXT) | instid1(VALU_DEP_2)
	v_add_f32_e32 v53, v65, v53
	v_sub_f32_e32 v65, v64, v69
	s_delay_alu instid0(VALU_DEP_2) | instskip(NEXT) | instid1(VALU_DEP_2)
	v_add_f32_e32 v53, v70, v53
	v_sub_f32_e32 v65, v66, v65
	s_delay_alu instid0(VALU_DEP_2) | instskip(NEXT) | instid1(VALU_DEP_1)
	v_mul_f32_e32 v53, v55, v53
	v_add_f32_e32 v53, v65, v53
	s_delay_alu instid0(VALU_DEP_1) | instskip(NEXT) | instid1(VALU_DEP_1)
	v_add_f32_e32 v55, v64, v53
	v_mul_f32_e32 v65, v55, v55
	s_delay_alu instid0(VALU_DEP_1) | instskip(SKIP_2) | instid1(VALU_DEP_3)
	v_fmaak_f32 v66, s23, v65, 0x3ecc95a3
	v_mul_f32_e32 v67, v55, v65
	v_cmp_eq_f32_e64 s23, 0x7f800000, v54
	v_fmaak_f32 v65, v65, v66, 0x3f2aaada
	v_ldexp_f32 v66, v55, 1
	v_sub_f32_e32 v55, v55, v64
	s_delay_alu instid0(VALU_DEP_4) | instskip(NEXT) | instid1(VALU_DEP_3)
	s_or_b32 s23, s23, s25
	v_mul_f32_e32 v65, v67, v65
	v_mul_f32_e32 v67, 0x3f317218, v52
	s_delay_alu instid0(VALU_DEP_2) | instskip(NEXT) | instid1(VALU_DEP_1)
	v_dual_sub_f32 v53, v53, v55 :: v_dual_add_f32 v64, v66, v65
	v_ldexp_f32 v53, v53, 1
	s_delay_alu instid0(VALU_DEP_2) | instskip(NEXT) | instid1(VALU_DEP_4)
	v_sub_f32_e32 v55, v64, v66
	v_fma_f32 v66, 0x3f317218, v52, -v67
	s_delay_alu instid0(VALU_DEP_1) | instskip(NEXT) | instid1(VALU_DEP_1)
	v_dual_sub_f32 v55, v65, v55 :: v_dual_fmamk_f32 v52, v52, 0xb102e308, v66
	v_add_f32_e32 v53, v53, v55
	s_delay_alu instid0(VALU_DEP_2) | instskip(NEXT) | instid1(VALU_DEP_2)
	v_add_f32_e32 v55, v67, v52
	v_add_f32_e32 v65, v64, v53
	s_delay_alu instid0(VALU_DEP_2) | instskip(NEXT) | instid1(VALU_DEP_2)
	v_sub_f32_e32 v67, v55, v67
	v_add_f32_e32 v66, v55, v65
	v_sub_f32_e32 v64, v65, v64
	s_delay_alu instid0(VALU_DEP_3) | instskip(NEXT) | instid1(VALU_DEP_2)
	v_sub_f32_e32 v52, v52, v67
	v_dual_sub_f32 v68, v66, v55 :: v_dual_sub_f32 v53, v53, v64
	s_delay_alu instid0(VALU_DEP_1) | instskip(NEXT) | instid1(VALU_DEP_2)
	v_sub_f32_e32 v69, v66, v68
	v_dual_sub_f32 v64, v65, v68 :: v_dual_add_f32 v65, v52, v53
	s_delay_alu instid0(VALU_DEP_2) | instskip(NEXT) | instid1(VALU_DEP_1)
	v_sub_f32_e32 v55, v55, v69
	v_dual_add_f32 v55, v64, v55 :: v_dual_sub_f32 v64, v65, v52
	s_delay_alu instid0(VALU_DEP_1) | instskip(NEXT) | instid1(VALU_DEP_2)
	v_add_f32_e32 v55, v65, v55
	v_sub_f32_e32 v65, v65, v64
	v_sub_f32_e32 v53, v53, v64
	s_delay_alu instid0(VALU_DEP_2) | instskip(NEXT) | instid1(VALU_DEP_1)
	v_dual_add_f32 v67, v66, v55 :: v_dual_sub_f32 v52, v52, v65
	v_sub_f32_e32 v64, v67, v66
	s_delay_alu instid0(VALU_DEP_2) | instskip(NEXT) | instid1(VALU_DEP_2)
	v_add_f32_e32 v52, v53, v52
	v_sub_f32_e32 v53, v55, v64
	s_delay_alu instid0(VALU_DEP_1) | instskip(NEXT) | instid1(VALU_DEP_1)
	v_add_f32_e32 v52, v52, v53
	v_add_f32_e32 v52, v67, v52
	s_delay_alu instid0(VALU_DEP_1) | instskip(NEXT) | instid1(VALU_DEP_1)
	v_cndmask_b32_e64 v52, v52, v54, s23
	v_add_f32_e32 v35, v35, v52
	s_delay_alu instid0(VALU_DEP_1)
	v_cvt_f16_f32_e32 v52, v35
.LBB362_307:
	s_or_b32 exec_lo, exec_lo, s24
	ds_store_b16 v29, v52 offset:2
.LBB362_308:
	s_or_b32 exec_lo, exec_lo, s26
	s_waitcnt lgkmcnt(0)
	s_barrier
	buffer_gl0_inv
	s_and_saveexec_b32 s23, s9
	s_cbranch_execz .LBB362_310
; %bb.309:
	v_add_nc_u32_e32 v28, -1, v0
	s_delay_alu instid0(VALU_DEP_1) | instskip(NEXT) | instid1(VALU_DEP_1)
	v_lshrrev_b32_e32 v29, 5, v28
	v_add_lshl_u32 v28, v29, v28, 1
	ds_load_u16 v28, v28
.LBB362_310:
	s_or_b32 exec_lo, exec_lo, s23
	v_mov_b32_e32 v35, v12
	s_and_saveexec_b32 s23, s9
	s_cbranch_execz .LBB362_314
; %bb.311:
	s_waitcnt lgkmcnt(0)
	v_cvt_f32_f16_e32 v29, v28
	v_max_f32_e32 v12, v2, v2
	v_cmp_u_f16_e64 s9, v28, v28
	s_delay_alu instid0(VALU_DEP_2) | instskip(SKIP_1) | instid1(VALU_DEP_2)
	v_min_f32_e32 v26, v29, v12
	v_max_f32_e32 v12, v29, v12
	v_cndmask_b32_e64 v26, v26, v29, s9
	s_delay_alu instid0(VALU_DEP_2) | instskip(NEXT) | instid1(VALU_DEP_2)
	v_cndmask_b32_e64 v27, v12, v29, s9
	v_cndmask_b32_e64 v12, v26, v2, s22
	s_delay_alu instid0(VALU_DEP_2) | instskip(NEXT) | instid1(VALU_DEP_2)
	v_cndmask_b32_e64 v2, v27, v2, s22
	v_cmp_class_f32_e64 s22, v12, 0x1f8
	s_delay_alu instid0(VALU_DEP_2) | instskip(NEXT) | instid1(VALU_DEP_1)
	v_cmp_neq_f32_e64 s9, v12, v2
	s_or_b32 s9, s9, s22
	s_delay_alu instid0(SALU_CYCLE_1)
	s_and_saveexec_b32 s22, s9
	s_cbranch_execz .LBB362_313
; %bb.312:
	v_sub_f32_e32 v12, v12, v2
	s_delay_alu instid0(VALU_DEP_1) | instskip(SKIP_1) | instid1(VALU_DEP_2)
	v_mul_f32_e32 v26, 0x3fb8aa3b, v12
	v_cmp_ngt_f32_e64 s9, 0xc2ce8ed0, v12
	v_fma_f32 v27, 0x3fb8aa3b, v12, -v26
	v_rndne_f32_e32 v28, v26
	s_delay_alu instid0(VALU_DEP_1) | instskip(NEXT) | instid1(VALU_DEP_1)
	v_dual_fmamk_f32 v27, v12, 0x32a5705f, v27 :: v_dual_sub_f32 v26, v26, v28
	v_add_f32_e32 v26, v26, v27
	v_cvt_i32_f32_e32 v27, v28
	s_delay_alu instid0(VALU_DEP_2) | instskip(SKIP_2) | instid1(VALU_DEP_1)
	v_exp_f32_e32 v26, v26
	s_waitcnt_depctr 0xfff
	v_ldexp_f32 v26, v26, v27
	v_cndmask_b32_e64 v26, 0, v26, s9
	v_cmp_nlt_f32_e64 s9, 0x42b17218, v12
	s_delay_alu instid0(VALU_DEP_1) | instskip(NEXT) | instid1(VALU_DEP_1)
	v_cndmask_b32_e64 v12, 0x7f800000, v26, s9
	v_add_f32_e32 v28, 1.0, v12
	v_cmp_gt_f32_e64 s24, 0x33800000, |v12|
	s_delay_alu instid0(VALU_DEP_2) | instskip(NEXT) | instid1(VALU_DEP_1)
	v_cvt_f64_f32_e32 v[26:27], v28
	v_frexp_exp_i32_f64_e32 v26, v[26:27]
	v_frexp_mant_f32_e32 v27, v28
	s_delay_alu instid0(VALU_DEP_1) | instskip(SKIP_1) | instid1(VALU_DEP_1)
	v_cmp_gt_f32_e64 s9, 0x3f2aaaab, v27
	v_add_f32_e32 v27, -1.0, v28
	v_sub_f32_e32 v35, v27, v28
	v_sub_f32_e32 v27, v12, v27
	s_delay_alu instid0(VALU_DEP_2) | instskip(NEXT) | instid1(VALU_DEP_1)
	v_add_f32_e32 v35, 1.0, v35
	v_add_f32_e32 v27, v27, v35
	v_subrev_co_ci_u32_e64 v26, s9, 0, v26, s9
	s_mov_b32 s9, 0x3e9b6dac
	s_delay_alu instid0(VALU_DEP_1) | instskip(SKIP_1) | instid1(VALU_DEP_2)
	v_sub_nc_u32_e32 v29, 0, v26
	v_cvt_f32_i32_e32 v26, v26
	v_ldexp_f32 v28, v28, v29
	v_ldexp_f32 v27, v27, v29
	s_delay_alu instid0(VALU_DEP_2) | instskip(SKIP_1) | instid1(VALU_DEP_1)
	v_add_f32_e32 v52, 1.0, v28
	v_add_f32_e32 v29, -1.0, v28
	v_add_f32_e32 v53, 1.0, v29
	s_delay_alu instid0(VALU_DEP_3) | instskip(NEXT) | instid1(VALU_DEP_1)
	v_add_f32_e32 v35, -1.0, v52
	v_sub_f32_e32 v35, v28, v35
	s_delay_alu instid0(VALU_DEP_1) | instskip(NEXT) | instid1(VALU_DEP_1)
	v_dual_sub_f32 v28, v28, v53 :: v_dual_add_f32 v35, v27, v35
	v_add_f32_e32 v53, v52, v35
	s_delay_alu instid0(VALU_DEP_2) | instskip(NEXT) | instid1(VALU_DEP_2)
	v_add_f32_e32 v27, v27, v28
	v_rcp_f32_e32 v28, v53
	v_sub_f32_e32 v52, v52, v53
	s_delay_alu instid0(VALU_DEP_1) | instskip(NEXT) | instid1(VALU_DEP_1)
	v_dual_add_f32 v54, v29, v27 :: v_dual_add_f32 v35, v35, v52
	v_sub_f32_e32 v29, v29, v54
	s_waitcnt_depctr 0xfff
	v_mul_f32_e32 v55, v54, v28
	s_delay_alu instid0(VALU_DEP_1) | instskip(NEXT) | instid1(VALU_DEP_1)
	v_dual_mul_f32 v64, v53, v55 :: v_dual_add_f32 v27, v27, v29
	v_fma_f32 v52, v55, v53, -v64
	s_delay_alu instid0(VALU_DEP_1) | instskip(NEXT) | instid1(VALU_DEP_1)
	v_fmac_f32_e32 v52, v55, v35
	v_add_f32_e32 v65, v64, v52
	s_delay_alu instid0(VALU_DEP_1) | instskip(NEXT) | instid1(VALU_DEP_1)
	v_dual_sub_f32 v66, v54, v65 :: v_dual_sub_f32 v29, v65, v64
	v_dual_sub_f32 v54, v54, v66 :: v_dual_sub_f32 v29, v29, v52
	s_delay_alu instid0(VALU_DEP_1) | instskip(NEXT) | instid1(VALU_DEP_1)
	v_sub_f32_e32 v54, v54, v65
	v_add_f32_e32 v27, v27, v54
	s_delay_alu instid0(VALU_DEP_1) | instskip(NEXT) | instid1(VALU_DEP_1)
	v_add_f32_e32 v27, v29, v27
	v_add_f32_e32 v29, v66, v27
	s_delay_alu instid0(VALU_DEP_1) | instskip(NEXT) | instid1(VALU_DEP_1)
	v_mul_f32_e32 v52, v28, v29
	v_dual_sub_f32 v65, v66, v29 :: v_dual_mul_f32 v54, v53, v52
	s_delay_alu instid0(VALU_DEP_1) | instskip(NEXT) | instid1(VALU_DEP_2)
	v_add_f32_e32 v27, v27, v65
	v_fma_f32 v53, v52, v53, -v54
	s_delay_alu instid0(VALU_DEP_1) | instskip(NEXT) | instid1(VALU_DEP_1)
	v_fmac_f32_e32 v53, v52, v35
	v_add_f32_e32 v35, v54, v53
	s_delay_alu instid0(VALU_DEP_1) | instskip(NEXT) | instid1(VALU_DEP_1)
	v_sub_f32_e32 v64, v29, v35
	v_dual_sub_f32 v54, v35, v54 :: v_dual_sub_f32 v29, v29, v64
	s_delay_alu instid0(VALU_DEP_1) | instskip(NEXT) | instid1(VALU_DEP_2)
	v_sub_f32_e32 v29, v29, v35
	v_sub_f32_e32 v35, v54, v53
	s_delay_alu instid0(VALU_DEP_2) | instskip(SKIP_1) | instid1(VALU_DEP_2)
	v_add_f32_e32 v27, v27, v29
	v_add_f32_e32 v29, v55, v52
	;; [unrolled: 1-line block ×3, first 2 shown]
	s_delay_alu instid0(VALU_DEP_2) | instskip(NEXT) | instid1(VALU_DEP_2)
	v_sub_f32_e32 v35, v29, v55
	v_add_f32_e32 v27, v64, v27
	s_delay_alu instid0(VALU_DEP_2) | instskip(NEXT) | instid1(VALU_DEP_2)
	v_sub_f32_e32 v35, v52, v35
	v_mul_f32_e32 v27, v28, v27
	s_delay_alu instid0(VALU_DEP_1) | instskip(NEXT) | instid1(VALU_DEP_1)
	v_add_f32_e32 v27, v35, v27
	v_add_f32_e32 v28, v29, v27
	s_delay_alu instid0(VALU_DEP_1) | instskip(NEXT) | instid1(VALU_DEP_1)
	v_mul_f32_e32 v35, v28, v28
	v_fmaak_f32 v52, s9, v35, 0x3ecc95a3
	v_mul_f32_e32 v53, v28, v35
	v_cmp_eq_f32_e64 s9, 0x7f800000, v12
	s_delay_alu instid0(VALU_DEP_3) | instskip(SKIP_2) | instid1(VALU_DEP_4)
	v_fmaak_f32 v35, v35, v52, 0x3f2aaada
	v_ldexp_f32 v52, v28, 1
	v_sub_f32_e32 v28, v28, v29
	s_or_b32 s9, s9, s24
	s_delay_alu instid0(VALU_DEP_3) | instskip(SKIP_1) | instid1(VALU_DEP_3)
	v_mul_f32_e32 v35, v53, v35
	v_mul_f32_e32 v53, 0x3f317218, v26
	v_sub_f32_e32 v27, v27, v28
	s_delay_alu instid0(VALU_DEP_3) | instskip(NEXT) | instid1(VALU_DEP_2)
	v_add_f32_e32 v29, v52, v35
	v_ldexp_f32 v27, v27, 1
	s_delay_alu instid0(VALU_DEP_2) | instskip(SKIP_1) | instid1(VALU_DEP_2)
	v_sub_f32_e32 v28, v29, v52
	v_fma_f32 v52, 0x3f317218, v26, -v53
	v_sub_f32_e32 v28, v35, v28
	s_delay_alu instid0(VALU_DEP_1) | instskip(NEXT) | instid1(VALU_DEP_1)
	v_dual_fmamk_f32 v26, v26, 0xb102e308, v52 :: v_dual_add_f32 v27, v27, v28
	v_add_f32_e32 v28, v53, v26
	s_delay_alu instid0(VALU_DEP_2) | instskip(NEXT) | instid1(VALU_DEP_2)
	v_add_f32_e32 v35, v29, v27
	v_sub_f32_e32 v53, v28, v53
	s_delay_alu instid0(VALU_DEP_2) | instskip(NEXT) | instid1(VALU_DEP_2)
	v_dual_add_f32 v52, v28, v35 :: v_dual_sub_f32 v29, v35, v29
	v_sub_f32_e32 v26, v26, v53
	s_delay_alu instid0(VALU_DEP_2) | instskip(NEXT) | instid1(VALU_DEP_1)
	v_dual_sub_f32 v54, v52, v28 :: v_dual_sub_f32 v27, v27, v29
	v_sub_f32_e32 v55, v52, v54
	v_sub_f32_e32 v29, v35, v54
	s_delay_alu instid0(VALU_DEP_3) | instskip(NEXT) | instid1(VALU_DEP_3)
	v_add_f32_e32 v35, v26, v27
	v_sub_f32_e32 v28, v28, v55
	s_delay_alu instid0(VALU_DEP_1) | instskip(NEXT) | instid1(VALU_DEP_1)
	v_dual_add_f32 v28, v29, v28 :: v_dual_sub_f32 v29, v35, v26
	v_add_f32_e32 v28, v35, v28
	s_delay_alu instid0(VALU_DEP_2) | instskip(SKIP_1) | instid1(VALU_DEP_2)
	v_sub_f32_e32 v35, v35, v29
	v_sub_f32_e32 v27, v27, v29
	v_dual_add_f32 v53, v52, v28 :: v_dual_sub_f32 v26, v26, v35
	s_delay_alu instid0(VALU_DEP_1) | instskip(NEXT) | instid1(VALU_DEP_1)
	v_dual_sub_f32 v29, v53, v52 :: v_dual_add_f32 v26, v27, v26
	v_sub_f32_e32 v27, v28, v29
	s_delay_alu instid0(VALU_DEP_1) | instskip(NEXT) | instid1(VALU_DEP_1)
	v_add_f32_e32 v26, v26, v27
	v_add_f32_e32 v26, v53, v26
	s_delay_alu instid0(VALU_DEP_1) | instskip(NEXT) | instid1(VALU_DEP_1)
	v_cndmask_b32_e64 v12, v26, v12, s9
	v_add_f32_e32 v2, v2, v12
	s_delay_alu instid0(VALU_DEP_1) | instskip(NEXT) | instid1(VALU_DEP_1)
	v_cvt_f16_f32_e32 v28, v2
	v_cvt_f32_f16_e32 v29, v28
.LBB362_313:
	s_or_b32 exec_lo, exec_lo, s22
	s_delay_alu instid0(VALU_DEP_1) | instskip(SKIP_3) | instid1(VALU_DEP_3)
	v_dual_max_f32 v2, v34, v34 :: v_dual_max_f32 v27, v29, v29
	v_mov_b32_e32 v12, v28
	v_mov_b32_e32 v35, v28
	;;#ASMSTART
	;;#ASMEND
	v_min_f32_e32 v26, v27, v2
	v_dual_max_f32 v27, v27, v2 :: v_dual_mov_b32 v2, v29
.LBB362_314:
	s_or_b32 exec_lo, exec_lo, s23
	s_delay_alu instid0(VALU_DEP_1) | instskip(NEXT) | instid1(VALU_DEP_1)
	v_cmp_u_f16_e64 s9, v35, v35
	v_cndmask_b32_e64 v26, v26, v2, s9
	s_delay_alu instid0(VALU_DEP_3) | instskip(SKIP_1) | instid1(VALU_DEP_2)
	v_cndmask_b32_e64 v27, v27, v2, s9
	s_waitcnt lgkmcnt(0)
	v_cndmask_b32_e32 v28, v26, v34, vcc_lo
	s_delay_alu instid0(VALU_DEP_2) | instskip(NEXT) | instid1(VALU_DEP_2)
	v_dual_cndmask_b32 v27, v27, v34 :: v_dual_mov_b32 v26, v12
	v_cmp_class_f32_e64 s9, v28, 0x1f8
	s_delay_alu instid0(VALU_DEP_2) | instskip(NEXT) | instid1(VALU_DEP_2)
	v_cmp_neq_f32_e32 vcc_lo, v28, v27
	s_or_b32 s22, vcc_lo, s9
	s_delay_alu instid0(SALU_CYCLE_1)
	s_and_saveexec_b32 s9, s22
	s_cbranch_execz .LBB362_316
; %bb.315:
	v_sub_f32_e32 v2, v28, v27
	s_mov_b32 s22, 0x3e9b6dac
	s_delay_alu instid0(VALU_DEP_1) | instskip(SKIP_1) | instid1(VALU_DEP_2)
	v_mul_f32_e32 v26, 0x3fb8aa3b, v2
	v_cmp_ngt_f32_e32 vcc_lo, 0xc2ce8ed0, v2
	v_fma_f32 v28, 0x3fb8aa3b, v2, -v26
	v_rndne_f32_e32 v29, v26
	s_delay_alu instid0(VALU_DEP_2) | instskip(NEXT) | instid1(VALU_DEP_2)
	v_fmamk_f32 v28, v2, 0x32a5705f, v28
	v_sub_f32_e32 v26, v26, v29
	s_delay_alu instid0(VALU_DEP_1) | instskip(SKIP_1) | instid1(VALU_DEP_2)
	v_add_f32_e32 v26, v26, v28
	v_cvt_i32_f32_e32 v28, v29
	v_exp_f32_e32 v26, v26
	s_waitcnt_depctr 0xfff
	v_ldexp_f32 v26, v26, v28
	s_delay_alu instid0(VALU_DEP_1) | instskip(SKIP_1) | instid1(VALU_DEP_2)
	v_cndmask_b32_e32 v26, 0, v26, vcc_lo
	v_cmp_nlt_f32_e32 vcc_lo, 0x42b17218, v2
	v_cndmask_b32_e32 v2, 0x7f800000, v26, vcc_lo
	s_delay_alu instid0(VALU_DEP_1) | instskip(NEXT) | instid1(VALU_DEP_1)
	v_add_f32_e32 v26, 1.0, v2
	v_cvt_f64_f32_e32 v[28:29], v26
	s_delay_alu instid0(VALU_DEP_1) | instskip(SKIP_1) | instid1(VALU_DEP_1)
	v_frexp_exp_i32_f64_e32 v28, v[28:29]
	v_frexp_mant_f32_e32 v29, v26
	v_cmp_gt_f32_e32 vcc_lo, 0x3f2aaaab, v29
	v_add_f32_e32 v29, -1.0, v26
	s_delay_alu instid0(VALU_DEP_1) | instskip(SKIP_1) | instid1(VALU_DEP_2)
	v_sub_f32_e32 v35, v29, v26
	v_sub_f32_e32 v29, v2, v29
	v_add_f32_e32 v35, 1.0, v35
	s_delay_alu instid0(VALU_DEP_1) | instskip(SKIP_1) | instid1(VALU_DEP_1)
	v_add_f32_e32 v29, v29, v35
	v_subrev_co_ci_u32_e32 v28, vcc_lo, 0, v28, vcc_lo
	v_sub_nc_u32_e32 v34, 0, v28
	v_cvt_f32_i32_e32 v28, v28
	s_delay_alu instid0(VALU_DEP_2) | instskip(SKIP_1) | instid1(VALU_DEP_2)
	v_ldexp_f32 v26, v26, v34
	v_ldexp_f32 v29, v29, v34
	v_add_f32_e32 v52, 1.0, v26
	s_delay_alu instid0(VALU_DEP_1) | instskip(NEXT) | instid1(VALU_DEP_1)
	v_add_f32_e32 v35, -1.0, v52
	v_sub_f32_e32 v35, v26, v35
	v_cmp_eq_f32_e32 vcc_lo, 0x7f800000, v2
	s_delay_alu instid0(VALU_DEP_2) | instskip(NEXT) | instid1(VALU_DEP_1)
	v_dual_add_f32 v35, v29, v35 :: v_dual_add_f32 v34, -1.0, v26
	v_add_f32_e32 v53, 1.0, v34
	s_delay_alu instid0(VALU_DEP_1) | instskip(NEXT) | instid1(VALU_DEP_1)
	v_dual_sub_f32 v26, v26, v53 :: v_dual_add_f32 v53, v52, v35
	v_add_f32_e32 v26, v29, v26
	s_delay_alu instid0(VALU_DEP_2) | instskip(NEXT) | instid1(VALU_DEP_1)
	v_rcp_f32_e32 v29, v53
	v_add_f32_e32 v54, v34, v26
	s_delay_alu instid0(VALU_DEP_1) | instskip(SKIP_3) | instid1(VALU_DEP_1)
	v_sub_f32_e32 v34, v34, v54
	s_waitcnt_depctr 0xfff
	v_mul_f32_e32 v55, v54, v29
	v_sub_f32_e32 v52, v52, v53
	v_dual_mul_f32 v64, v53, v55 :: v_dual_add_f32 v35, v35, v52
	s_delay_alu instid0(VALU_DEP_1) | instskip(NEXT) | instid1(VALU_DEP_1)
	v_fma_f32 v52, v55, v53, -v64
	v_fmac_f32_e32 v52, v55, v35
	s_delay_alu instid0(VALU_DEP_1) | instskip(NEXT) | instid1(VALU_DEP_1)
	v_dual_add_f32 v65, v64, v52 :: v_dual_add_f32 v26, v26, v34
	v_sub_f32_e32 v66, v54, v65
	v_sub_f32_e32 v34, v65, v64
	s_delay_alu instid0(VALU_DEP_2) | instskip(NEXT) | instid1(VALU_DEP_2)
	v_sub_f32_e32 v54, v54, v66
	v_sub_f32_e32 v34, v34, v52
	s_delay_alu instid0(VALU_DEP_2) | instskip(NEXT) | instid1(VALU_DEP_1)
	v_sub_f32_e32 v54, v54, v65
	v_add_f32_e32 v26, v26, v54
	s_delay_alu instid0(VALU_DEP_1) | instskip(NEXT) | instid1(VALU_DEP_1)
	v_add_f32_e32 v26, v34, v26
	v_add_f32_e32 v34, v66, v26
	s_delay_alu instid0(VALU_DEP_1) | instskip(NEXT) | instid1(VALU_DEP_1)
	v_mul_f32_e32 v52, v29, v34
	v_dual_sub_f32 v65, v66, v34 :: v_dual_mul_f32 v54, v53, v52
	s_delay_alu instid0(VALU_DEP_1) | instskip(NEXT) | instid1(VALU_DEP_2)
	v_add_f32_e32 v26, v26, v65
	v_fma_f32 v53, v52, v53, -v54
	s_delay_alu instid0(VALU_DEP_1) | instskip(NEXT) | instid1(VALU_DEP_1)
	v_fmac_f32_e32 v53, v52, v35
	v_add_f32_e32 v35, v54, v53
	s_delay_alu instid0(VALU_DEP_1) | instskip(SKIP_1) | instid1(VALU_DEP_2)
	v_sub_f32_e32 v64, v34, v35
	v_sub_f32_e32 v54, v35, v54
	;; [unrolled: 1-line block ×3, first 2 shown]
	s_delay_alu instid0(VALU_DEP_1) | instskip(NEXT) | instid1(VALU_DEP_3)
	v_sub_f32_e32 v34, v34, v35
	v_sub_f32_e32 v35, v54, v53
	s_delay_alu instid0(VALU_DEP_2) | instskip(SKIP_1) | instid1(VALU_DEP_1)
	v_add_f32_e32 v26, v26, v34
	v_add_f32_e32 v34, v55, v52
	v_dual_add_f32 v26, v35, v26 :: v_dual_sub_f32 v35, v34, v55
	s_delay_alu instid0(VALU_DEP_1) | instskip(NEXT) | instid1(VALU_DEP_1)
	v_add_f32_e32 v26, v64, v26
	v_dual_sub_f32 v35, v52, v35 :: v_dual_mul_f32 v26, v29, v26
	s_delay_alu instid0(VALU_DEP_1) | instskip(NEXT) | instid1(VALU_DEP_1)
	v_add_f32_e32 v26, v35, v26
	v_add_f32_e32 v29, v34, v26
	s_delay_alu instid0(VALU_DEP_1) | instskip(NEXT) | instid1(VALU_DEP_1)
	v_mul_f32_e32 v35, v29, v29
	v_fmaak_f32 v52, s22, v35, 0x3ecc95a3
	v_mul_f32_e32 v53, v29, v35
	v_cmp_gt_f32_e64 s22, 0x33800000, |v2|
	s_delay_alu instid0(VALU_DEP_3) | instskip(SKIP_2) | instid1(VALU_DEP_4)
	v_fmaak_f32 v35, v35, v52, 0x3f2aaada
	v_ldexp_f32 v52, v29, 1
	v_sub_f32_e32 v29, v29, v34
	s_or_b32 vcc_lo, vcc_lo, s22
	s_delay_alu instid0(VALU_DEP_3) | instskip(NEXT) | instid1(VALU_DEP_2)
	v_mul_f32_e32 v35, v53, v35
	v_dual_mul_f32 v53, 0x3f317218, v28 :: v_dual_sub_f32 v26, v26, v29
	s_delay_alu instid0(VALU_DEP_2) | instskip(NEXT) | instid1(VALU_DEP_2)
	v_add_f32_e32 v34, v52, v35
	v_ldexp_f32 v26, v26, 1
	s_delay_alu instid0(VALU_DEP_2) | instskip(NEXT) | instid1(VALU_DEP_4)
	v_sub_f32_e32 v29, v34, v52
	v_fma_f32 v52, 0x3f317218, v28, -v53
	s_delay_alu instid0(VALU_DEP_1) | instskip(NEXT) | instid1(VALU_DEP_1)
	v_dual_sub_f32 v29, v35, v29 :: v_dual_fmamk_f32 v28, v28, 0xb102e308, v52
	v_dual_add_f32 v26, v26, v29 :: v_dual_add_f32 v29, v53, v28
	s_delay_alu instid0(VALU_DEP_1) | instskip(NEXT) | instid1(VALU_DEP_2)
	v_add_f32_e32 v35, v34, v26
	v_sub_f32_e32 v53, v29, v53
	s_delay_alu instid0(VALU_DEP_2) | instskip(SKIP_1) | instid1(VALU_DEP_3)
	v_add_f32_e32 v52, v29, v35
	v_sub_f32_e32 v34, v35, v34
	v_sub_f32_e32 v28, v28, v53
	s_delay_alu instid0(VALU_DEP_3) | instskip(NEXT) | instid1(VALU_DEP_3)
	v_sub_f32_e32 v54, v52, v29
	v_sub_f32_e32 v26, v26, v34
	s_delay_alu instid0(VALU_DEP_2) | instskip(SKIP_1) | instid1(VALU_DEP_3)
	v_sub_f32_e32 v55, v52, v54
	v_sub_f32_e32 v34, v35, v54
	v_add_f32_e32 v35, v28, v26
	s_delay_alu instid0(VALU_DEP_3) | instskip(NEXT) | instid1(VALU_DEP_1)
	v_sub_f32_e32 v29, v29, v55
	v_dual_add_f32 v29, v34, v29 :: v_dual_sub_f32 v34, v35, v28
	s_delay_alu instid0(VALU_DEP_1) | instskip(NEXT) | instid1(VALU_DEP_2)
	v_add_f32_e32 v29, v35, v29
	v_sub_f32_e32 v35, v35, v34
	s_delay_alu instid0(VALU_DEP_2) | instskip(NEXT) | instid1(VALU_DEP_2)
	v_dual_sub_f32 v26, v26, v34 :: v_dual_add_f32 v53, v52, v29
	v_sub_f32_e32 v28, v28, v35
	s_delay_alu instid0(VALU_DEP_2) | instskip(NEXT) | instid1(VALU_DEP_2)
	v_sub_f32_e32 v34, v53, v52
	v_add_f32_e32 v26, v26, v28
	s_delay_alu instid0(VALU_DEP_2) | instskip(NEXT) | instid1(VALU_DEP_1)
	v_sub_f32_e32 v28, v29, v34
	v_add_f32_e32 v26, v26, v28
	s_delay_alu instid0(VALU_DEP_1) | instskip(NEXT) | instid1(VALU_DEP_1)
	v_add_f32_e32 v26, v53, v26
	v_cndmask_b32_e32 v2, v26, v2, vcc_lo
	s_delay_alu instid0(VALU_DEP_1) | instskip(NEXT) | instid1(VALU_DEP_1)
	v_add_f32_e32 v2, v27, v2
	v_cvt_f16_f32_e32 v35, v2
	s_delay_alu instid0(VALU_DEP_1)
	v_cvt_f32_f16_e32 v2, v35
	v_mov_b32_e32 v26, v35
.LBB362_316:
	s_or_b32 exec_lo, exec_lo, s9
	s_delay_alu instid0(VALU_DEP_2) | instskip(SKIP_1) | instid1(VALU_DEP_2)
	v_dual_max_f32 v27, v3, v3 :: v_dual_max_f32 v28, v2, v2
	v_cmp_u_f16_e32 vcc_lo, v35, v35
	v_min_f32_e32 v29, v28, v27
	s_delay_alu instid0(VALU_DEP_1) | instskip(NEXT) | instid1(VALU_DEP_1)
	v_dual_max_f32 v27, v28, v27 :: v_dual_cndmask_b32 v28, v29, v2
	v_cndmask_b32_e32 v27, v27, v2, vcc_lo
	s_delay_alu instid0(VALU_DEP_2) | instskip(NEXT) | instid1(VALU_DEP_2)
	v_cndmask_b32_e64 v28, v28, v3, s1
	v_cndmask_b32_e64 v3, v27, v3, s1
	v_mov_b32_e32 v27, v26
	s_delay_alu instid0(VALU_DEP_3) | instskip(NEXT) | instid1(VALU_DEP_3)
	v_cmp_class_f32_e64 s1, v28, 0x1f8
	v_cmp_neq_f32_e32 vcc_lo, v28, v3
	s_delay_alu instid0(VALU_DEP_2) | instskip(NEXT) | instid1(SALU_CYCLE_1)
	s_or_b32 s9, vcc_lo, s1
	s_and_saveexec_b32 s1, s9
	s_cbranch_execz .LBB362_318
; %bb.317:
	v_sub_f32_e32 v2, v28, v3
	s_mov_b32 s9, 0x3e9b6dac
	s_delay_alu instid0(VALU_DEP_1) | instskip(NEXT) | instid1(VALU_DEP_1)
	v_mul_f32_e32 v27, 0x3fb8aa3b, v2
	v_fma_f32 v28, 0x3fb8aa3b, v2, -v27
	v_rndne_f32_e32 v29, v27
	s_delay_alu instid0(VALU_DEP_1) | instskip(SKIP_1) | instid1(VALU_DEP_4)
	v_sub_f32_e32 v27, v27, v29
	v_cmp_ngt_f32_e32 vcc_lo, 0xc2ce8ed0, v2
	v_fmamk_f32 v28, v2, 0x32a5705f, v28
	s_delay_alu instid0(VALU_DEP_1) | instskip(SKIP_1) | instid1(VALU_DEP_2)
	v_add_f32_e32 v27, v27, v28
	v_cvt_i32_f32_e32 v28, v29
	v_exp_f32_e32 v27, v27
	s_waitcnt_depctr 0xfff
	v_ldexp_f32 v27, v27, v28
	s_delay_alu instid0(VALU_DEP_1) | instskip(SKIP_1) | instid1(VALU_DEP_2)
	v_cndmask_b32_e32 v27, 0, v27, vcc_lo
	v_cmp_nlt_f32_e32 vcc_lo, 0x42b17218, v2
	v_cndmask_b32_e32 v2, 0x7f800000, v27, vcc_lo
	s_delay_alu instid0(VALU_DEP_1) | instskip(NEXT) | instid1(VALU_DEP_1)
	v_add_f32_e32 v29, 1.0, v2
	v_cvt_f64_f32_e32 v[27:28], v29
	s_delay_alu instid0(VALU_DEP_1) | instskip(SKIP_1) | instid1(VALU_DEP_1)
	v_frexp_exp_i32_f64_e32 v27, v[27:28]
	v_frexp_mant_f32_e32 v28, v29
	v_cmp_gt_f32_e32 vcc_lo, 0x3f2aaaab, v28
	v_add_f32_e32 v28, -1.0, v29
	s_delay_alu instid0(VALU_DEP_1) | instskip(SKIP_2) | instid1(VALU_DEP_2)
	v_dual_sub_f32 v35, v28, v29 :: v_dual_sub_f32 v28, v2, v28
	v_subrev_co_ci_u32_e32 v27, vcc_lo, 0, v27, vcc_lo
	v_cmp_eq_f32_e32 vcc_lo, 0x7f800000, v2
	v_sub_nc_u32_e32 v34, 0, v27
	v_cvt_f32_i32_e32 v27, v27
	s_delay_alu instid0(VALU_DEP_2) | instskip(NEXT) | instid1(VALU_DEP_1)
	v_ldexp_f32 v29, v29, v34
	v_dual_add_f32 v35, 1.0, v35 :: v_dual_add_f32 v52, 1.0, v29
	s_delay_alu instid0(VALU_DEP_1) | instskip(NEXT) | instid1(VALU_DEP_1)
	v_dual_add_f32 v28, v28, v35 :: v_dual_add_f32 v35, -1.0, v52
	v_ldexp_f32 v28, v28, v34
	s_delay_alu instid0(VALU_DEP_2) | instskip(NEXT) | instid1(VALU_DEP_1)
	v_dual_add_f32 v34, -1.0, v29 :: v_dual_sub_f32 v35, v29, v35
	v_add_f32_e32 v53, 1.0, v34
	s_delay_alu instid0(VALU_DEP_2) | instskip(NEXT) | instid1(VALU_DEP_2)
	v_add_f32_e32 v35, v28, v35
	v_sub_f32_e32 v29, v29, v53
	s_delay_alu instid0(VALU_DEP_1) | instskip(NEXT) | instid1(VALU_DEP_1)
	v_add_f32_e32 v28, v28, v29
	v_dual_add_f32 v54, v34, v28 :: v_dual_add_f32 v53, v52, v35
	s_delay_alu instid0(VALU_DEP_1) | instskip(NEXT) | instid1(VALU_DEP_2)
	v_sub_f32_e32 v34, v34, v54
	v_rcp_f32_e32 v29, v53
	v_sub_f32_e32 v52, v52, v53
	s_delay_alu instid0(VALU_DEP_1) | instskip(SKIP_2) | instid1(VALU_DEP_1)
	v_dual_add_f32 v28, v28, v34 :: v_dual_add_f32 v35, v35, v52
	s_waitcnt_depctr 0xfff
	v_mul_f32_e32 v55, v54, v29
	v_mul_f32_e32 v64, v53, v55
	s_delay_alu instid0(VALU_DEP_1) | instskip(NEXT) | instid1(VALU_DEP_1)
	v_fma_f32 v52, v55, v53, -v64
	v_fmac_f32_e32 v52, v55, v35
	s_delay_alu instid0(VALU_DEP_1) | instskip(NEXT) | instid1(VALU_DEP_1)
	v_add_f32_e32 v65, v64, v52
	v_sub_f32_e32 v66, v54, v65
	s_delay_alu instid0(VALU_DEP_1) | instskip(SKIP_1) | instid1(VALU_DEP_2)
	v_sub_f32_e32 v54, v54, v66
	v_sub_f32_e32 v34, v65, v64
	;; [unrolled: 1-line block ×3, first 2 shown]
	s_delay_alu instid0(VALU_DEP_2) | instskip(NEXT) | instid1(VALU_DEP_2)
	v_sub_f32_e32 v34, v34, v52
	v_add_f32_e32 v28, v28, v54
	s_delay_alu instid0(VALU_DEP_1) | instskip(NEXT) | instid1(VALU_DEP_1)
	v_add_f32_e32 v28, v34, v28
	v_add_f32_e32 v34, v66, v28
	s_delay_alu instid0(VALU_DEP_1) | instskip(NEXT) | instid1(VALU_DEP_1)
	v_mul_f32_e32 v52, v29, v34
	v_dual_sub_f32 v65, v66, v34 :: v_dual_mul_f32 v54, v53, v52
	s_delay_alu instid0(VALU_DEP_1) | instskip(NEXT) | instid1(VALU_DEP_2)
	v_add_f32_e32 v28, v28, v65
	v_fma_f32 v53, v52, v53, -v54
	s_delay_alu instid0(VALU_DEP_1) | instskip(NEXT) | instid1(VALU_DEP_1)
	v_fmac_f32_e32 v53, v52, v35
	v_add_f32_e32 v35, v54, v53
	s_delay_alu instid0(VALU_DEP_1) | instskip(SKIP_1) | instid1(VALU_DEP_2)
	v_sub_f32_e32 v64, v34, v35
	v_sub_f32_e32 v54, v35, v54
	;; [unrolled: 1-line block ×3, first 2 shown]
	s_delay_alu instid0(VALU_DEP_1) | instskip(NEXT) | instid1(VALU_DEP_1)
	v_sub_f32_e32 v34, v34, v35
	v_dual_sub_f32 v35, v54, v53 :: v_dual_add_f32 v28, v28, v34
	v_add_f32_e32 v34, v55, v52
	s_delay_alu instid0(VALU_DEP_1) | instskip(NEXT) | instid1(VALU_DEP_1)
	v_dual_add_f32 v28, v35, v28 :: v_dual_sub_f32 v35, v34, v55
	v_add_f32_e32 v28, v64, v28
	s_delay_alu instid0(VALU_DEP_1) | instskip(NEXT) | instid1(VALU_DEP_1)
	v_dual_sub_f32 v35, v52, v35 :: v_dual_mul_f32 v28, v29, v28
	v_add_f32_e32 v28, v35, v28
	s_delay_alu instid0(VALU_DEP_1) | instskip(NEXT) | instid1(VALU_DEP_1)
	v_add_f32_e32 v29, v34, v28
	v_mul_f32_e32 v35, v29, v29
	s_delay_alu instid0(VALU_DEP_1) | instskip(SKIP_2) | instid1(VALU_DEP_3)
	v_fmaak_f32 v52, s9, v35, 0x3ecc95a3
	v_mul_f32_e32 v53, v29, v35
	v_cmp_gt_f32_e64 s9, 0x33800000, |v2|
	v_fmaak_f32 v35, v35, v52, 0x3f2aaada
	v_ldexp_f32 v52, v29, 1
	v_sub_f32_e32 v29, v29, v34
	s_delay_alu instid0(VALU_DEP_4) | instskip(NEXT) | instid1(VALU_DEP_3)
	s_or_b32 vcc_lo, vcc_lo, s9
	v_mul_f32_e32 v35, v53, v35
	s_delay_alu instid0(VALU_DEP_2) | instskip(NEXT) | instid1(VALU_DEP_2)
	v_dual_mul_f32 v53, 0x3f317218, v27 :: v_dual_sub_f32 v28, v28, v29
	v_add_f32_e32 v34, v52, v35
	s_delay_alu instid0(VALU_DEP_2) | instskip(NEXT) | instid1(VALU_DEP_2)
	v_ldexp_f32 v28, v28, 1
	v_sub_f32_e32 v29, v34, v52
	s_delay_alu instid0(VALU_DEP_4) | instskip(NEXT) | instid1(VALU_DEP_2)
	v_fma_f32 v52, 0x3f317218, v27, -v53
	v_sub_f32_e32 v29, v35, v29
	s_delay_alu instid0(VALU_DEP_1) | instskip(NEXT) | instid1(VALU_DEP_1)
	v_dual_fmamk_f32 v27, v27, 0xb102e308, v52 :: v_dual_add_f32 v28, v28, v29
	v_add_f32_e32 v29, v53, v27
	s_delay_alu instid0(VALU_DEP_1) | instskip(NEXT) | instid1(VALU_DEP_1)
	v_sub_f32_e32 v53, v29, v53
	v_sub_f32_e32 v27, v27, v53
	s_delay_alu instid0(VALU_DEP_4) | instskip(NEXT) | instid1(VALU_DEP_1)
	v_add_f32_e32 v35, v34, v28
	v_sub_f32_e32 v34, v35, v34
	s_delay_alu instid0(VALU_DEP_1) | instskip(SKIP_1) | instid1(VALU_DEP_1)
	v_sub_f32_e32 v28, v28, v34
	v_add_f32_e32 v52, v29, v35
	v_sub_f32_e32 v54, v52, v29
	s_delay_alu instid0(VALU_DEP_1) | instskip(NEXT) | instid1(VALU_DEP_4)
	v_sub_f32_e32 v34, v35, v54
	v_add_f32_e32 v35, v27, v28
	v_sub_f32_e32 v55, v52, v54
	s_delay_alu instid0(VALU_DEP_1) | instskip(NEXT) | instid1(VALU_DEP_1)
	v_sub_f32_e32 v29, v29, v55
	v_dual_add_f32 v29, v34, v29 :: v_dual_sub_f32 v34, v35, v27
	s_delay_alu instid0(VALU_DEP_1) | instskip(SKIP_1) | instid1(VALU_DEP_2)
	v_dual_add_f32 v29, v35, v29 :: v_dual_sub_f32 v28, v28, v34
	v_sub_f32_e32 v35, v35, v34
	v_add_f32_e32 v53, v52, v29
	s_delay_alu instid0(VALU_DEP_1) | instskip(NEXT) | instid1(VALU_DEP_1)
	v_dual_sub_f32 v27, v27, v35 :: v_dual_sub_f32 v34, v53, v52
	v_dual_add_f32 v27, v28, v27 :: v_dual_sub_f32 v28, v29, v34
	s_delay_alu instid0(VALU_DEP_1) | instskip(NEXT) | instid1(VALU_DEP_1)
	v_add_f32_e32 v27, v27, v28
	v_add_f32_e32 v27, v53, v27
	s_delay_alu instid0(VALU_DEP_1) | instskip(NEXT) | instid1(VALU_DEP_1)
	v_cndmask_b32_e32 v2, v27, v2, vcc_lo
	v_add_f32_e32 v2, v3, v2
	s_delay_alu instid0(VALU_DEP_1) | instskip(NEXT) | instid1(VALU_DEP_1)
	v_cvt_f16_f32_e32 v35, v2
	v_cvt_f32_f16_e32 v2, v35
	v_mov_b32_e32 v27, v35
.LBB362_318:
	s_or_b32 exec_lo, exec_lo, s1
	v_max_f32_e32 v3, v6, v6
	s_delay_alu instid0(VALU_DEP_3) | instskip(SKIP_1) | instid1(VALU_DEP_2)
	v_max_f32_e32 v28, v2, v2
	v_cmp_u_f16_e32 vcc_lo, v35, v35
	v_min_f32_e32 v29, v28, v3
	s_delay_alu instid0(VALU_DEP_1) | instskip(NEXT) | instid1(VALU_DEP_1)
	v_dual_max_f32 v3, v28, v3 :: v_dual_cndmask_b32 v28, v29, v2
	v_cndmask_b32_e32 v3, v3, v2, vcc_lo
	s_delay_alu instid0(VALU_DEP_2) | instskip(NEXT) | instid1(VALU_DEP_2)
	v_cndmask_b32_e64 v29, v28, v6, s2
	v_cndmask_b32_e64 v3, v3, v6, s2
	v_mov_b32_e32 v28, v27
	s_delay_alu instid0(VALU_DEP_3) | instskip(NEXT) | instid1(VALU_DEP_3)
	v_cmp_class_f32_e64 s1, v29, 0x1f8
	v_cmp_neq_f32_e32 vcc_lo, v29, v3
	s_delay_alu instid0(VALU_DEP_2) | instskip(NEXT) | instid1(SALU_CYCLE_1)
	s_or_b32 s2, vcc_lo, s1
	s_and_saveexec_b32 s1, s2
	s_cbranch_execz .LBB362_320
; %bb.319:
	v_sub_f32_e32 v2, v29, v3
	s_mov_b32 s2, 0x3e9b6dac
	s_delay_alu instid0(VALU_DEP_1) | instskip(SKIP_1) | instid1(VALU_DEP_2)
	v_mul_f32_e32 v6, 0x3fb8aa3b, v2
	v_cmp_ngt_f32_e32 vcc_lo, 0xc2ce8ed0, v2
	v_fma_f32 v28, 0x3fb8aa3b, v2, -v6
	v_rndne_f32_e32 v29, v6
	s_delay_alu instid0(VALU_DEP_2) | instskip(NEXT) | instid1(VALU_DEP_2)
	v_fmamk_f32 v28, v2, 0x32a5705f, v28
	v_sub_f32_e32 v6, v6, v29
	s_delay_alu instid0(VALU_DEP_1) | instskip(SKIP_1) | instid1(VALU_DEP_2)
	v_add_f32_e32 v6, v6, v28
	v_cvt_i32_f32_e32 v28, v29
	v_exp_f32_e32 v6, v6
	s_waitcnt_depctr 0xfff
	v_ldexp_f32 v6, v6, v28
	s_delay_alu instid0(VALU_DEP_1) | instskip(SKIP_1) | instid1(VALU_DEP_2)
	v_cndmask_b32_e32 v6, 0, v6, vcc_lo
	v_cmp_nlt_f32_e32 vcc_lo, 0x42b17218, v2
	v_cndmask_b32_e32 v2, 0x7f800000, v6, vcc_lo
	s_delay_alu instid0(VALU_DEP_1) | instskip(NEXT) | instid1(VALU_DEP_1)
	v_add_f32_e32 v6, 1.0, v2
	v_cvt_f64_f32_e32 v[28:29], v6
	s_delay_alu instid0(VALU_DEP_1) | instskip(SKIP_1) | instid1(VALU_DEP_1)
	v_frexp_exp_i32_f64_e32 v28, v[28:29]
	v_frexp_mant_f32_e32 v29, v6
	v_cmp_gt_f32_e32 vcc_lo, 0x3f2aaaab, v29
	v_add_f32_e32 v29, -1.0, v6
	s_delay_alu instid0(VALU_DEP_1) | instskip(SKIP_1) | instid1(VALU_DEP_2)
	v_sub_f32_e32 v35, v29, v6
	v_sub_f32_e32 v29, v2, v29
	v_add_f32_e32 v35, 1.0, v35
	s_delay_alu instid0(VALU_DEP_1) | instskip(SKIP_1) | instid1(VALU_DEP_1)
	v_add_f32_e32 v29, v29, v35
	v_subrev_co_ci_u32_e32 v28, vcc_lo, 0, v28, vcc_lo
	v_sub_nc_u32_e32 v34, 0, v28
	v_cvt_f32_i32_e32 v28, v28
	s_delay_alu instid0(VALU_DEP_2) | instskip(SKIP_1) | instid1(VALU_DEP_2)
	v_ldexp_f32 v6, v6, v34
	v_ldexp_f32 v29, v29, v34
	v_add_f32_e32 v52, 1.0, v6
	s_delay_alu instid0(VALU_DEP_1) | instskip(NEXT) | instid1(VALU_DEP_1)
	v_add_f32_e32 v35, -1.0, v52
	v_sub_f32_e32 v35, v6, v35
	v_cmp_eq_f32_e32 vcc_lo, 0x7f800000, v2
	s_delay_alu instid0(VALU_DEP_2) | instskip(NEXT) | instid1(VALU_DEP_1)
	v_dual_add_f32 v35, v29, v35 :: v_dual_add_f32 v34, -1.0, v6
	v_add_f32_e32 v53, 1.0, v34
	s_delay_alu instid0(VALU_DEP_1) | instskip(NEXT) | instid1(VALU_DEP_1)
	v_dual_sub_f32 v6, v6, v53 :: v_dual_add_f32 v53, v52, v35
	v_add_f32_e32 v6, v29, v6
	s_delay_alu instid0(VALU_DEP_2) | instskip(NEXT) | instid1(VALU_DEP_1)
	v_rcp_f32_e32 v29, v53
	v_add_f32_e32 v54, v34, v6
	s_delay_alu instid0(VALU_DEP_1) | instskip(SKIP_3) | instid1(VALU_DEP_1)
	v_sub_f32_e32 v34, v34, v54
	s_waitcnt_depctr 0xfff
	v_mul_f32_e32 v55, v54, v29
	v_sub_f32_e32 v52, v52, v53
	v_dual_mul_f32 v64, v53, v55 :: v_dual_add_f32 v35, v35, v52
	s_delay_alu instid0(VALU_DEP_1) | instskip(NEXT) | instid1(VALU_DEP_1)
	v_fma_f32 v52, v55, v53, -v64
	v_fmac_f32_e32 v52, v55, v35
	s_delay_alu instid0(VALU_DEP_1) | instskip(NEXT) | instid1(VALU_DEP_1)
	v_dual_add_f32 v65, v64, v52 :: v_dual_add_f32 v6, v6, v34
	v_sub_f32_e32 v66, v54, v65
	v_sub_f32_e32 v34, v65, v64
	s_delay_alu instid0(VALU_DEP_2) | instskip(NEXT) | instid1(VALU_DEP_2)
	v_sub_f32_e32 v54, v54, v66
	v_sub_f32_e32 v34, v34, v52
	s_delay_alu instid0(VALU_DEP_2) | instskip(NEXT) | instid1(VALU_DEP_1)
	v_sub_f32_e32 v54, v54, v65
	v_add_f32_e32 v6, v6, v54
	s_delay_alu instid0(VALU_DEP_1) | instskip(NEXT) | instid1(VALU_DEP_1)
	v_add_f32_e32 v6, v34, v6
	v_add_f32_e32 v34, v66, v6
	s_delay_alu instid0(VALU_DEP_1) | instskip(NEXT) | instid1(VALU_DEP_1)
	v_mul_f32_e32 v52, v29, v34
	v_dual_sub_f32 v65, v66, v34 :: v_dual_mul_f32 v54, v53, v52
	s_delay_alu instid0(VALU_DEP_1) | instskip(NEXT) | instid1(VALU_DEP_2)
	v_add_f32_e32 v6, v6, v65
	v_fma_f32 v53, v52, v53, -v54
	s_delay_alu instid0(VALU_DEP_1) | instskip(NEXT) | instid1(VALU_DEP_1)
	v_fmac_f32_e32 v53, v52, v35
	v_add_f32_e32 v35, v54, v53
	s_delay_alu instid0(VALU_DEP_1) | instskip(SKIP_1) | instid1(VALU_DEP_2)
	v_sub_f32_e32 v64, v34, v35
	v_sub_f32_e32 v54, v35, v54
	v_sub_f32_e32 v34, v34, v64
	s_delay_alu instid0(VALU_DEP_1) | instskip(NEXT) | instid1(VALU_DEP_3)
	v_sub_f32_e32 v34, v34, v35
	v_sub_f32_e32 v35, v54, v53
	s_delay_alu instid0(VALU_DEP_2) | instskip(SKIP_1) | instid1(VALU_DEP_1)
	v_add_f32_e32 v6, v6, v34
	v_add_f32_e32 v34, v55, v52
	v_dual_add_f32 v6, v35, v6 :: v_dual_sub_f32 v35, v34, v55
	s_delay_alu instid0(VALU_DEP_1) | instskip(NEXT) | instid1(VALU_DEP_1)
	v_add_f32_e32 v6, v64, v6
	v_dual_sub_f32 v35, v52, v35 :: v_dual_mul_f32 v6, v29, v6
	s_delay_alu instid0(VALU_DEP_1) | instskip(NEXT) | instid1(VALU_DEP_1)
	v_add_f32_e32 v6, v35, v6
	v_add_f32_e32 v29, v34, v6
	s_delay_alu instid0(VALU_DEP_1) | instskip(NEXT) | instid1(VALU_DEP_1)
	v_mul_f32_e32 v35, v29, v29
	v_fmaak_f32 v52, s2, v35, 0x3ecc95a3
	v_mul_f32_e32 v53, v29, v35
	v_cmp_gt_f32_e64 s2, 0x33800000, |v2|
	s_delay_alu instid0(VALU_DEP_3) | instskip(SKIP_2) | instid1(VALU_DEP_4)
	v_fmaak_f32 v35, v35, v52, 0x3f2aaada
	v_ldexp_f32 v52, v29, 1
	v_sub_f32_e32 v29, v29, v34
	s_or_b32 vcc_lo, vcc_lo, s2
	s_delay_alu instid0(VALU_DEP_3) | instskip(NEXT) | instid1(VALU_DEP_2)
	v_mul_f32_e32 v35, v53, v35
	v_dual_mul_f32 v53, 0x3f317218, v28 :: v_dual_sub_f32 v6, v6, v29
	s_delay_alu instid0(VALU_DEP_2) | instskip(NEXT) | instid1(VALU_DEP_2)
	v_add_f32_e32 v34, v52, v35
	v_ldexp_f32 v6, v6, 1
	s_delay_alu instid0(VALU_DEP_2) | instskip(NEXT) | instid1(VALU_DEP_4)
	v_sub_f32_e32 v29, v34, v52
	v_fma_f32 v52, 0x3f317218, v28, -v53
	s_delay_alu instid0(VALU_DEP_1) | instskip(NEXT) | instid1(VALU_DEP_1)
	v_dual_sub_f32 v29, v35, v29 :: v_dual_fmamk_f32 v28, v28, 0xb102e308, v52
	v_dual_add_f32 v6, v6, v29 :: v_dual_add_f32 v29, v53, v28
	s_delay_alu instid0(VALU_DEP_1) | instskip(NEXT) | instid1(VALU_DEP_2)
	v_add_f32_e32 v35, v34, v6
	v_sub_f32_e32 v53, v29, v53
	s_delay_alu instid0(VALU_DEP_2) | instskip(SKIP_1) | instid1(VALU_DEP_3)
	v_add_f32_e32 v52, v29, v35
	v_sub_f32_e32 v34, v35, v34
	v_sub_f32_e32 v28, v28, v53
	s_delay_alu instid0(VALU_DEP_3) | instskip(NEXT) | instid1(VALU_DEP_3)
	v_sub_f32_e32 v54, v52, v29
	v_sub_f32_e32 v6, v6, v34
	s_delay_alu instid0(VALU_DEP_2) | instskip(SKIP_1) | instid1(VALU_DEP_3)
	v_sub_f32_e32 v55, v52, v54
	v_sub_f32_e32 v34, v35, v54
	v_add_f32_e32 v35, v28, v6
	s_delay_alu instid0(VALU_DEP_3) | instskip(NEXT) | instid1(VALU_DEP_1)
	v_sub_f32_e32 v29, v29, v55
	v_dual_add_f32 v29, v34, v29 :: v_dual_sub_f32 v34, v35, v28
	s_delay_alu instid0(VALU_DEP_1) | instskip(NEXT) | instid1(VALU_DEP_2)
	v_add_f32_e32 v29, v35, v29
	v_sub_f32_e32 v35, v35, v34
	s_delay_alu instid0(VALU_DEP_2) | instskip(NEXT) | instid1(VALU_DEP_2)
	v_dual_sub_f32 v6, v6, v34 :: v_dual_add_f32 v53, v52, v29
	v_sub_f32_e32 v28, v28, v35
	s_delay_alu instid0(VALU_DEP_2) | instskip(NEXT) | instid1(VALU_DEP_2)
	v_sub_f32_e32 v34, v53, v52
	v_add_f32_e32 v6, v6, v28
	s_delay_alu instid0(VALU_DEP_2) | instskip(NEXT) | instid1(VALU_DEP_1)
	v_sub_f32_e32 v28, v29, v34
	v_add_f32_e32 v6, v6, v28
	s_delay_alu instid0(VALU_DEP_1) | instskip(NEXT) | instid1(VALU_DEP_1)
	v_add_f32_e32 v6, v53, v6
	v_cndmask_b32_e32 v2, v6, v2, vcc_lo
	s_delay_alu instid0(VALU_DEP_1) | instskip(NEXT) | instid1(VALU_DEP_1)
	v_add_f32_e32 v2, v3, v2
	v_cvt_f16_f32_e32 v35, v2
	s_delay_alu instid0(VALU_DEP_1)
	v_cvt_f32_f16_e32 v2, v35
	v_mov_b32_e32 v28, v35
.LBB362_320:
	s_or_b32 exec_lo, exec_lo, s1
	s_delay_alu instid0(VALU_DEP_2) | instskip(SKIP_1) | instid1(VALU_DEP_2)
	v_dual_max_f32 v3, v7, v7 :: v_dual_max_f32 v6, v2, v2
	v_cmp_u_f16_e32 vcc_lo, v35, v35
	v_min_f32_e32 v29, v6, v3
	s_delay_alu instid0(VALU_DEP_1) | instskip(NEXT) | instid1(VALU_DEP_1)
	v_dual_max_f32 v3, v6, v3 :: v_dual_cndmask_b32 v6, v29, v2
	v_cndmask_b32_e32 v3, v3, v2, vcc_lo
	v_mov_b32_e32 v29, v28
	s_delay_alu instid0(VALU_DEP_3) | instskip(NEXT) | instid1(VALU_DEP_3)
	v_cndmask_b32_e64 v6, v6, v7, s3
	v_cndmask_b32_e64 v3, v3, v7, s3
	s_delay_alu instid0(VALU_DEP_2) | instskip(NEXT) | instid1(VALU_DEP_2)
	v_cmp_class_f32_e64 s1, v6, 0x1f8
	v_cmp_neq_f32_e32 vcc_lo, v6, v3
	s_delay_alu instid0(VALU_DEP_2) | instskip(NEXT) | instid1(SALU_CYCLE_1)
	s_or_b32 s2, vcc_lo, s1
	s_and_saveexec_b32 s1, s2
	s_cbranch_execz .LBB362_322
; %bb.321:
	v_sub_f32_e32 v2, v6, v3
	s_mov_b32 s2, 0x3e9b6dac
	s_delay_alu instid0(VALU_DEP_1) | instskip(SKIP_1) | instid1(VALU_DEP_2)
	v_mul_f32_e32 v6, 0x3fb8aa3b, v2
	v_cmp_ngt_f32_e32 vcc_lo, 0xc2ce8ed0, v2
	v_fma_f32 v7, 0x3fb8aa3b, v2, -v6
	v_rndne_f32_e32 v29, v6
	s_delay_alu instid0(VALU_DEP_2) | instskip(NEXT) | instid1(VALU_DEP_2)
	v_fmamk_f32 v7, v2, 0x32a5705f, v7
	v_sub_f32_e32 v6, v6, v29
	s_delay_alu instid0(VALU_DEP_1) | instskip(SKIP_1) | instid1(VALU_DEP_2)
	v_add_f32_e32 v6, v6, v7
	v_cvt_i32_f32_e32 v7, v29
	v_exp_f32_e32 v6, v6
	s_waitcnt_depctr 0xfff
	v_ldexp_f32 v6, v6, v7
	s_delay_alu instid0(VALU_DEP_1) | instskip(SKIP_1) | instid1(VALU_DEP_2)
	v_cndmask_b32_e32 v6, 0, v6, vcc_lo
	v_cmp_nlt_f32_e32 vcc_lo, 0x42b17218, v2
	v_cndmask_b32_e32 v2, 0x7f800000, v6, vcc_lo
	s_delay_alu instid0(VALU_DEP_1) | instskip(NEXT) | instid1(VALU_DEP_1)
	v_add_f32_e32 v29, 1.0, v2
	v_cvt_f64_f32_e32 v[6:7], v29
	s_delay_alu instid0(VALU_DEP_1) | instskip(SKIP_1) | instid1(VALU_DEP_1)
	v_frexp_exp_i32_f64_e32 v6, v[6:7]
	v_frexp_mant_f32_e32 v7, v29
	v_cmp_gt_f32_e32 vcc_lo, 0x3f2aaaab, v7
	v_add_f32_e32 v7, -1.0, v29
	s_delay_alu instid0(VALU_DEP_1) | instskip(NEXT) | instid1(VALU_DEP_1)
	v_sub_f32_e32 v35, v7, v29
	v_add_f32_e32 v35, 1.0, v35
	v_subrev_co_ci_u32_e32 v6, vcc_lo, 0, v6, vcc_lo
	v_cmp_eq_f32_e32 vcc_lo, 0x7f800000, v2
	s_delay_alu instid0(VALU_DEP_2) | instskip(SKIP_1) | instid1(VALU_DEP_2)
	v_sub_nc_u32_e32 v34, 0, v6
	v_cvt_f32_i32_e32 v6, v6
	v_ldexp_f32 v29, v29, v34
	s_delay_alu instid0(VALU_DEP_1) | instskip(NEXT) | instid1(VALU_DEP_1)
	v_dual_sub_f32 v7, v2, v7 :: v_dual_add_f32 v52, 1.0, v29
	v_add_f32_e32 v7, v7, v35
	s_delay_alu instid0(VALU_DEP_2) | instskip(NEXT) | instid1(VALU_DEP_2)
	v_add_f32_e32 v35, -1.0, v52
	v_ldexp_f32 v7, v7, v34
	s_delay_alu instid0(VALU_DEP_2) | instskip(NEXT) | instid1(VALU_DEP_1)
	v_dual_add_f32 v34, -1.0, v29 :: v_dual_sub_f32 v35, v29, v35
	v_add_f32_e32 v53, 1.0, v34
	s_delay_alu instid0(VALU_DEP_2) | instskip(NEXT) | instid1(VALU_DEP_2)
	v_add_f32_e32 v35, v7, v35
	v_sub_f32_e32 v29, v29, v53
	s_delay_alu instid0(VALU_DEP_1) | instskip(NEXT) | instid1(VALU_DEP_1)
	v_add_f32_e32 v7, v7, v29
	v_add_f32_e32 v54, v34, v7
	s_delay_alu instid0(VALU_DEP_1) | instskip(NEXT) | instid1(VALU_DEP_1)
	v_dual_add_f32 v53, v52, v35 :: v_dual_sub_f32 v34, v34, v54
	v_rcp_f32_e32 v29, v53
	v_sub_f32_e32 v52, v52, v53
	s_delay_alu instid0(VALU_DEP_1) | instskip(SKIP_2) | instid1(VALU_DEP_1)
	v_add_f32_e32 v35, v35, v52
	s_waitcnt_depctr 0xfff
	v_mul_f32_e32 v55, v54, v29
	v_mul_f32_e32 v64, v53, v55
	s_delay_alu instid0(VALU_DEP_1) | instskip(NEXT) | instid1(VALU_DEP_1)
	v_fma_f32 v52, v55, v53, -v64
	v_fmac_f32_e32 v52, v55, v35
	s_delay_alu instid0(VALU_DEP_1) | instskip(NEXT) | instid1(VALU_DEP_1)
	v_add_f32_e32 v65, v64, v52
	v_sub_f32_e32 v66, v54, v65
	s_delay_alu instid0(VALU_DEP_1) | instskip(SKIP_1) | instid1(VALU_DEP_2)
	v_sub_f32_e32 v54, v54, v66
	v_dual_add_f32 v7, v7, v34 :: v_dual_sub_f32 v34, v65, v64
	v_sub_f32_e32 v54, v54, v65
	s_delay_alu instid0(VALU_DEP_1) | instskip(NEXT) | instid1(VALU_DEP_1)
	v_dual_sub_f32 v34, v34, v52 :: v_dual_add_f32 v7, v7, v54
	v_add_f32_e32 v7, v34, v7
	s_delay_alu instid0(VALU_DEP_1) | instskip(NEXT) | instid1(VALU_DEP_1)
	v_add_f32_e32 v34, v66, v7
	v_mul_f32_e32 v52, v29, v34
	s_delay_alu instid0(VALU_DEP_1) | instskip(NEXT) | instid1(VALU_DEP_1)
	v_dual_sub_f32 v65, v66, v34 :: v_dual_mul_f32 v54, v53, v52
	v_add_f32_e32 v7, v7, v65
	s_delay_alu instid0(VALU_DEP_2) | instskip(NEXT) | instid1(VALU_DEP_1)
	v_fma_f32 v53, v52, v53, -v54
	v_fmac_f32_e32 v53, v52, v35
	s_delay_alu instid0(VALU_DEP_1) | instskip(NEXT) | instid1(VALU_DEP_1)
	v_add_f32_e32 v35, v54, v53
	v_sub_f32_e32 v64, v34, v35
	s_delay_alu instid0(VALU_DEP_1) | instskip(NEXT) | instid1(VALU_DEP_1)
	v_sub_f32_e32 v34, v34, v64
	v_sub_f32_e32 v34, v34, v35
	s_delay_alu instid0(VALU_DEP_1) | instskip(SKIP_2) | instid1(VALU_DEP_1)
	v_add_f32_e32 v7, v7, v34
	v_add_f32_e32 v34, v55, v52
	v_sub_f32_e32 v54, v35, v54
	v_sub_f32_e32 v35, v54, v53
	s_delay_alu instid0(VALU_DEP_1) | instskip(NEXT) | instid1(VALU_DEP_4)
	v_add_f32_e32 v7, v35, v7
	v_sub_f32_e32 v35, v34, v55
	s_delay_alu instid0(VALU_DEP_2) | instskip(NEXT) | instid1(VALU_DEP_2)
	v_add_f32_e32 v7, v64, v7
	v_sub_f32_e32 v35, v52, v35
	s_delay_alu instid0(VALU_DEP_2) | instskip(NEXT) | instid1(VALU_DEP_1)
	v_mul_f32_e32 v7, v29, v7
	v_add_f32_e32 v7, v35, v7
	s_delay_alu instid0(VALU_DEP_1) | instskip(NEXT) | instid1(VALU_DEP_1)
	v_add_f32_e32 v29, v34, v7
	v_mul_f32_e32 v35, v29, v29
	s_delay_alu instid0(VALU_DEP_1) | instskip(SKIP_2) | instid1(VALU_DEP_3)
	v_fmaak_f32 v52, s2, v35, 0x3ecc95a3
	v_mul_f32_e32 v53, v29, v35
	v_cmp_gt_f32_e64 s2, 0x33800000, |v2|
	v_fmaak_f32 v35, v35, v52, 0x3f2aaada
	v_ldexp_f32 v52, v29, 1
	v_sub_f32_e32 v29, v29, v34
	s_delay_alu instid0(VALU_DEP_4) | instskip(NEXT) | instid1(VALU_DEP_3)
	s_or_b32 vcc_lo, vcc_lo, s2
	v_mul_f32_e32 v35, v53, v35
	s_delay_alu instid0(VALU_DEP_1) | instskip(NEXT) | instid1(VALU_DEP_1)
	v_dual_sub_f32 v7, v7, v29 :: v_dual_add_f32 v34, v52, v35
	v_ldexp_f32 v7, v7, 1
	s_delay_alu instid0(VALU_DEP_2) | instskip(NEXT) | instid1(VALU_DEP_1)
	v_sub_f32_e32 v29, v34, v52
	v_sub_f32_e32 v29, v35, v29
	s_delay_alu instid0(VALU_DEP_1) | instskip(NEXT) | instid1(VALU_DEP_1)
	v_add_f32_e32 v7, v7, v29
	v_add_f32_e32 v35, v34, v7
	v_mul_f32_e32 v53, 0x3f317218, v6
	s_delay_alu instid0(VALU_DEP_2) | instskip(NEXT) | instid1(VALU_DEP_2)
	v_sub_f32_e32 v34, v35, v34
	v_fma_f32 v52, 0x3f317218, v6, -v53
	s_delay_alu instid0(VALU_DEP_1) | instskip(NEXT) | instid1(VALU_DEP_1)
	v_dual_sub_f32 v7, v7, v34 :: v_dual_fmamk_f32 v6, v6, 0xb102e308, v52
	v_add_f32_e32 v29, v53, v6
	s_delay_alu instid0(VALU_DEP_1) | instskip(SKIP_1) | instid1(VALU_DEP_2)
	v_add_f32_e32 v52, v29, v35
	v_sub_f32_e32 v53, v29, v53
	v_sub_f32_e32 v54, v52, v29
	s_delay_alu instid0(VALU_DEP_1) | instskip(NEXT) | instid1(VALU_DEP_1)
	v_dual_sub_f32 v6, v6, v53 :: v_dual_sub_f32 v55, v52, v54
	v_dual_sub_f32 v34, v35, v54 :: v_dual_add_f32 v35, v6, v7
	s_delay_alu instid0(VALU_DEP_2) | instskip(NEXT) | instid1(VALU_DEP_1)
	v_sub_f32_e32 v29, v29, v55
	v_dual_add_f32 v29, v34, v29 :: v_dual_sub_f32 v34, v35, v6
	s_delay_alu instid0(VALU_DEP_1) | instskip(NEXT) | instid1(VALU_DEP_2)
	v_add_f32_e32 v29, v35, v29
	v_sub_f32_e32 v35, v35, v34
	v_sub_f32_e32 v7, v7, v34
	s_delay_alu instid0(VALU_DEP_2) | instskip(NEXT) | instid1(VALU_DEP_1)
	v_dual_add_f32 v53, v52, v29 :: v_dual_sub_f32 v6, v6, v35
	v_sub_f32_e32 v34, v53, v52
	s_delay_alu instid0(VALU_DEP_2) | instskip(NEXT) | instid1(VALU_DEP_2)
	v_add_f32_e32 v6, v7, v6
	v_sub_f32_e32 v7, v29, v34
	s_delay_alu instid0(VALU_DEP_1) | instskip(NEXT) | instid1(VALU_DEP_1)
	v_add_f32_e32 v6, v6, v7
	v_add_f32_e32 v6, v53, v6
	s_delay_alu instid0(VALU_DEP_1) | instskip(NEXT) | instid1(VALU_DEP_1)
	v_cndmask_b32_e32 v2, v6, v2, vcc_lo
	v_add_f32_e32 v2, v3, v2
	s_delay_alu instid0(VALU_DEP_1) | instskip(NEXT) | instid1(VALU_DEP_1)
	v_cvt_f16_f32_e32 v35, v2
	v_cvt_f32_f16_e32 v2, v35
	v_mov_b32_e32 v29, v35
.LBB362_322:
	s_or_b32 exec_lo, exec_lo, s1
	s_delay_alu instid0(VALU_DEP_2) | instskip(SKIP_1) | instid1(VALU_DEP_3)
	v_dual_max_f32 v3, v13, v13 :: v_dual_max_f32 v6, v2, v2
	v_cmp_u_f16_e32 vcc_lo, v35, v35
	v_mov_b32_e32 v55, v29
	s_delay_alu instid0(VALU_DEP_3) | instskip(NEXT) | instid1(VALU_DEP_1)
	v_min_f32_e32 v7, v6, v3
	v_dual_max_f32 v3, v6, v3 :: v_dual_cndmask_b32 v6, v7, v2
	s_delay_alu instid0(VALU_DEP_1) | instskip(NEXT) | instid1(VALU_DEP_2)
	v_cndmask_b32_e32 v3, v3, v2, vcc_lo
	v_cndmask_b32_e64 v6, v6, v13, s4
	s_delay_alu instid0(VALU_DEP_2) | instskip(NEXT) | instid1(VALU_DEP_2)
	v_cndmask_b32_e64 v3, v3, v13, s4
	v_cmp_class_f32_e64 s1, v6, 0x1f8
	s_delay_alu instid0(VALU_DEP_2) | instskip(NEXT) | instid1(VALU_DEP_2)
	v_cmp_neq_f32_e32 vcc_lo, v6, v3
	s_or_b32 s2, vcc_lo, s1
	s_delay_alu instid0(SALU_CYCLE_1)
	s_and_saveexec_b32 s1, s2
	s_cbranch_execz .LBB362_324
; %bb.323:
	v_sub_f32_e32 v2, v6, v3
	s_mov_b32 s2, 0x3e9b6dac
	s_delay_alu instid0(VALU_DEP_1) | instskip(SKIP_1) | instid1(VALU_DEP_2)
	v_mul_f32_e32 v6, 0x3fb8aa3b, v2
	v_cmp_ngt_f32_e32 vcc_lo, 0xc2ce8ed0, v2
	v_fma_f32 v7, 0x3fb8aa3b, v2, -v6
	v_rndne_f32_e32 v13, v6
	s_delay_alu instid0(VALU_DEP_2) | instskip(NEXT) | instid1(VALU_DEP_2)
	v_fmamk_f32 v7, v2, 0x32a5705f, v7
	v_sub_f32_e32 v6, v6, v13
	s_delay_alu instid0(VALU_DEP_1) | instskip(SKIP_1) | instid1(VALU_DEP_2)
	v_add_f32_e32 v6, v6, v7
	v_cvt_i32_f32_e32 v7, v13
	v_exp_f32_e32 v6, v6
	s_waitcnt_depctr 0xfff
	v_ldexp_f32 v6, v6, v7
	s_delay_alu instid0(VALU_DEP_1) | instskip(SKIP_1) | instid1(VALU_DEP_2)
	v_cndmask_b32_e32 v6, 0, v6, vcc_lo
	v_cmp_nlt_f32_e32 vcc_lo, 0x42b17218, v2
	v_cndmask_b32_e32 v2, 0x7f800000, v6, vcc_lo
	s_delay_alu instid0(VALU_DEP_1) | instskip(NEXT) | instid1(VALU_DEP_1)
	v_add_f32_e32 v13, 1.0, v2
	v_cvt_f64_f32_e32 v[6:7], v13
	s_delay_alu instid0(VALU_DEP_1) | instskip(SKIP_1) | instid1(VALU_DEP_1)
	v_frexp_exp_i32_f64_e32 v6, v[6:7]
	v_frexp_mant_f32_e32 v7, v13
	v_cmp_gt_f32_e32 vcc_lo, 0x3f2aaaab, v7
	v_add_f32_e32 v7, -1.0, v13
	s_delay_alu instid0(VALU_DEP_1) | instskip(NEXT) | instid1(VALU_DEP_1)
	v_sub_f32_e32 v35, v7, v13
	v_add_f32_e32 v35, 1.0, v35
	v_subrev_co_ci_u32_e32 v6, vcc_lo, 0, v6, vcc_lo
	v_cmp_eq_f32_e32 vcc_lo, 0x7f800000, v2
	s_delay_alu instid0(VALU_DEP_2) | instskip(SKIP_1) | instid1(VALU_DEP_2)
	v_sub_nc_u32_e32 v34, 0, v6
	v_cvt_f32_i32_e32 v6, v6
	v_ldexp_f32 v13, v13, v34
	s_delay_alu instid0(VALU_DEP_1) | instskip(NEXT) | instid1(VALU_DEP_1)
	v_dual_sub_f32 v7, v2, v7 :: v_dual_add_f32 v52, 1.0, v13
	v_add_f32_e32 v7, v7, v35
	s_delay_alu instid0(VALU_DEP_2) | instskip(NEXT) | instid1(VALU_DEP_2)
	v_add_f32_e32 v35, -1.0, v52
	v_ldexp_f32 v7, v7, v34
	s_delay_alu instid0(VALU_DEP_2) | instskip(NEXT) | instid1(VALU_DEP_1)
	v_dual_add_f32 v34, -1.0, v13 :: v_dual_sub_f32 v35, v13, v35
	v_add_f32_e32 v53, 1.0, v34
	s_delay_alu instid0(VALU_DEP_2) | instskip(NEXT) | instid1(VALU_DEP_2)
	v_add_f32_e32 v35, v7, v35
	v_sub_f32_e32 v13, v13, v53
	s_delay_alu instid0(VALU_DEP_1) | instskip(NEXT) | instid1(VALU_DEP_1)
	v_add_f32_e32 v7, v7, v13
	v_add_f32_e32 v54, v34, v7
	s_delay_alu instid0(VALU_DEP_1) | instskip(NEXT) | instid1(VALU_DEP_1)
	v_dual_add_f32 v53, v52, v35 :: v_dual_sub_f32 v34, v34, v54
	v_rcp_f32_e32 v13, v53
	v_sub_f32_e32 v52, v52, v53
	s_delay_alu instid0(VALU_DEP_1) | instskip(SKIP_2) | instid1(VALU_DEP_1)
	v_add_f32_e32 v35, v35, v52
	s_waitcnt_depctr 0xfff
	v_mul_f32_e32 v55, v54, v13
	v_mul_f32_e32 v64, v53, v55
	s_delay_alu instid0(VALU_DEP_1) | instskip(NEXT) | instid1(VALU_DEP_1)
	v_fma_f32 v52, v55, v53, -v64
	v_fmac_f32_e32 v52, v55, v35
	s_delay_alu instid0(VALU_DEP_1) | instskip(NEXT) | instid1(VALU_DEP_1)
	v_add_f32_e32 v65, v64, v52
	v_sub_f32_e32 v66, v54, v65
	s_delay_alu instid0(VALU_DEP_1) | instskip(SKIP_1) | instid1(VALU_DEP_2)
	v_sub_f32_e32 v54, v54, v66
	v_dual_add_f32 v7, v7, v34 :: v_dual_sub_f32 v34, v65, v64
	v_sub_f32_e32 v54, v54, v65
	s_delay_alu instid0(VALU_DEP_1) | instskip(NEXT) | instid1(VALU_DEP_1)
	v_dual_sub_f32 v34, v34, v52 :: v_dual_add_f32 v7, v7, v54
	v_add_f32_e32 v7, v34, v7
	s_delay_alu instid0(VALU_DEP_1) | instskip(NEXT) | instid1(VALU_DEP_1)
	v_add_f32_e32 v34, v66, v7
	v_mul_f32_e32 v52, v13, v34
	s_delay_alu instid0(VALU_DEP_1) | instskip(NEXT) | instid1(VALU_DEP_1)
	v_dual_sub_f32 v65, v66, v34 :: v_dual_mul_f32 v54, v53, v52
	v_add_f32_e32 v7, v7, v65
	s_delay_alu instid0(VALU_DEP_2) | instskip(NEXT) | instid1(VALU_DEP_1)
	v_fma_f32 v53, v52, v53, -v54
	v_fmac_f32_e32 v53, v52, v35
	s_delay_alu instid0(VALU_DEP_1) | instskip(NEXT) | instid1(VALU_DEP_1)
	v_add_f32_e32 v35, v54, v53
	v_sub_f32_e32 v64, v34, v35
	s_delay_alu instid0(VALU_DEP_1) | instskip(NEXT) | instid1(VALU_DEP_1)
	v_sub_f32_e32 v34, v34, v64
	v_sub_f32_e32 v34, v34, v35
	s_delay_alu instid0(VALU_DEP_1) | instskip(SKIP_2) | instid1(VALU_DEP_1)
	v_add_f32_e32 v7, v7, v34
	v_add_f32_e32 v34, v55, v52
	v_sub_f32_e32 v54, v35, v54
	v_sub_f32_e32 v35, v54, v53
	s_delay_alu instid0(VALU_DEP_1) | instskip(NEXT) | instid1(VALU_DEP_4)
	v_add_f32_e32 v7, v35, v7
	v_sub_f32_e32 v35, v34, v55
	s_delay_alu instid0(VALU_DEP_2) | instskip(NEXT) | instid1(VALU_DEP_2)
	v_add_f32_e32 v7, v64, v7
	v_sub_f32_e32 v35, v52, v35
	s_delay_alu instid0(VALU_DEP_2) | instskip(NEXT) | instid1(VALU_DEP_1)
	v_mul_f32_e32 v7, v13, v7
	v_add_f32_e32 v7, v35, v7
	s_delay_alu instid0(VALU_DEP_1) | instskip(NEXT) | instid1(VALU_DEP_1)
	v_add_f32_e32 v13, v34, v7
	v_mul_f32_e32 v35, v13, v13
	s_delay_alu instid0(VALU_DEP_1) | instskip(SKIP_2) | instid1(VALU_DEP_3)
	v_fmaak_f32 v52, s2, v35, 0x3ecc95a3
	v_mul_f32_e32 v53, v13, v35
	v_cmp_gt_f32_e64 s2, 0x33800000, |v2|
	v_fmaak_f32 v35, v35, v52, 0x3f2aaada
	v_ldexp_f32 v52, v13, 1
	v_sub_f32_e32 v13, v13, v34
	s_delay_alu instid0(VALU_DEP_4) | instskip(NEXT) | instid1(VALU_DEP_3)
	s_or_b32 vcc_lo, vcc_lo, s2
	v_mul_f32_e32 v35, v53, v35
	s_delay_alu instid0(VALU_DEP_1) | instskip(NEXT) | instid1(VALU_DEP_1)
	v_dual_sub_f32 v7, v7, v13 :: v_dual_add_f32 v34, v52, v35
	v_ldexp_f32 v7, v7, 1
	s_delay_alu instid0(VALU_DEP_2) | instskip(NEXT) | instid1(VALU_DEP_1)
	v_sub_f32_e32 v13, v34, v52
	v_sub_f32_e32 v13, v35, v13
	s_delay_alu instid0(VALU_DEP_1) | instskip(NEXT) | instid1(VALU_DEP_1)
	v_add_f32_e32 v7, v7, v13
	v_add_f32_e32 v35, v34, v7
	v_mul_f32_e32 v53, 0x3f317218, v6
	s_delay_alu instid0(VALU_DEP_2) | instskip(NEXT) | instid1(VALU_DEP_2)
	v_sub_f32_e32 v34, v35, v34
	v_fma_f32 v52, 0x3f317218, v6, -v53
	s_delay_alu instid0(VALU_DEP_1) | instskip(NEXT) | instid1(VALU_DEP_1)
	v_dual_sub_f32 v7, v7, v34 :: v_dual_fmamk_f32 v6, v6, 0xb102e308, v52
	v_add_f32_e32 v13, v53, v6
	s_delay_alu instid0(VALU_DEP_1) | instskip(SKIP_1) | instid1(VALU_DEP_2)
	v_add_f32_e32 v52, v13, v35
	v_sub_f32_e32 v53, v13, v53
	v_sub_f32_e32 v54, v52, v13
	s_delay_alu instid0(VALU_DEP_1) | instskip(NEXT) | instid1(VALU_DEP_1)
	v_dual_sub_f32 v6, v6, v53 :: v_dual_sub_f32 v55, v52, v54
	v_dual_sub_f32 v34, v35, v54 :: v_dual_add_f32 v35, v6, v7
	s_delay_alu instid0(VALU_DEP_2) | instskip(NEXT) | instid1(VALU_DEP_1)
	v_sub_f32_e32 v13, v13, v55
	v_dual_add_f32 v13, v34, v13 :: v_dual_sub_f32 v34, v35, v6
	s_delay_alu instid0(VALU_DEP_1) | instskip(NEXT) | instid1(VALU_DEP_2)
	v_add_f32_e32 v13, v35, v13
	v_sub_f32_e32 v35, v35, v34
	v_sub_f32_e32 v7, v7, v34
	s_delay_alu instid0(VALU_DEP_2) | instskip(NEXT) | instid1(VALU_DEP_1)
	v_dual_add_f32 v53, v52, v13 :: v_dual_sub_f32 v6, v6, v35
	v_sub_f32_e32 v34, v53, v52
	s_delay_alu instid0(VALU_DEP_2) | instskip(NEXT) | instid1(VALU_DEP_2)
	v_add_f32_e32 v6, v7, v6
	v_sub_f32_e32 v7, v13, v34
	s_delay_alu instid0(VALU_DEP_1) | instskip(NEXT) | instid1(VALU_DEP_1)
	v_add_f32_e32 v6, v6, v7
	v_add_f32_e32 v6, v53, v6
	s_delay_alu instid0(VALU_DEP_1) | instskip(NEXT) | instid1(VALU_DEP_1)
	v_cndmask_b32_e32 v2, v6, v2, vcc_lo
	v_add_f32_e32 v2, v3, v2
	s_delay_alu instid0(VALU_DEP_1) | instskip(NEXT) | instid1(VALU_DEP_1)
	v_cvt_f16_f32_e32 v35, v2
	v_cvt_f32_f16_e32 v2, v35
	v_mov_b32_e32 v55, v35
.LBB362_324:
	s_or_b32 exec_lo, exec_lo, s1
	s_delay_alu instid0(VALU_DEP_2) | instskip(SKIP_1) | instid1(VALU_DEP_2)
	v_dual_max_f32 v3, v24, v24 :: v_dual_max_f32 v6, v2, v2
	v_cmp_u_f16_e32 vcc_lo, v35, v35
	v_dual_mov_b32 v64, v55 :: v_dual_min_f32 v7, v6, v3
	s_delay_alu instid0(VALU_DEP_1) | instskip(NEXT) | instid1(VALU_DEP_1)
	v_dual_max_f32 v3, v6, v3 :: v_dual_cndmask_b32 v6, v7, v2
	v_cndmask_b32_e32 v3, v3, v2, vcc_lo
	s_delay_alu instid0(VALU_DEP_2) | instskip(NEXT) | instid1(VALU_DEP_2)
	v_cndmask_b32_e64 v6, v6, v24, s5
	v_cndmask_b32_e64 v3, v3, v24, s5
	s_delay_alu instid0(VALU_DEP_2) | instskip(NEXT) | instid1(VALU_DEP_2)
	v_cmp_class_f32_e64 s1, v6, 0x1f8
	v_cmp_neq_f32_e32 vcc_lo, v6, v3
	s_delay_alu instid0(VALU_DEP_2) | instskip(NEXT) | instid1(SALU_CYCLE_1)
	s_or_b32 s2, vcc_lo, s1
	s_and_saveexec_b32 s1, s2
	s_cbranch_execz .LBB362_326
; %bb.325:
	v_sub_f32_e32 v2, v6, v3
	s_mov_b32 s2, 0x3e9b6dac
	s_delay_alu instid0(VALU_DEP_1) | instskip(SKIP_1) | instid1(VALU_DEP_2)
	v_mul_f32_e32 v6, 0x3fb8aa3b, v2
	v_cmp_ngt_f32_e32 vcc_lo, 0xc2ce8ed0, v2
	v_fma_f32 v7, 0x3fb8aa3b, v2, -v6
	v_rndne_f32_e32 v13, v6
	s_delay_alu instid0(VALU_DEP_2) | instskip(NEXT) | instid1(VALU_DEP_2)
	v_fmamk_f32 v7, v2, 0x32a5705f, v7
	v_sub_f32_e32 v6, v6, v13
	s_delay_alu instid0(VALU_DEP_1) | instskip(SKIP_1) | instid1(VALU_DEP_2)
	v_add_f32_e32 v6, v6, v7
	v_cvt_i32_f32_e32 v7, v13
	v_exp_f32_e32 v6, v6
	s_waitcnt_depctr 0xfff
	v_ldexp_f32 v6, v6, v7
	s_delay_alu instid0(VALU_DEP_1) | instskip(SKIP_1) | instid1(VALU_DEP_2)
	v_cndmask_b32_e32 v6, 0, v6, vcc_lo
	v_cmp_nlt_f32_e32 vcc_lo, 0x42b17218, v2
	v_cndmask_b32_e32 v2, 0x7f800000, v6, vcc_lo
	s_delay_alu instid0(VALU_DEP_1) | instskip(NEXT) | instid1(VALU_DEP_1)
	v_add_f32_e32 v13, 1.0, v2
	v_cvt_f64_f32_e32 v[6:7], v13
	s_delay_alu instid0(VALU_DEP_1) | instskip(SKIP_1) | instid1(VALU_DEP_1)
	v_frexp_exp_i32_f64_e32 v6, v[6:7]
	v_frexp_mant_f32_e32 v7, v13
	v_cmp_gt_f32_e32 vcc_lo, 0x3f2aaaab, v7
	v_add_f32_e32 v7, -1.0, v13
	s_delay_alu instid0(VALU_DEP_1) | instskip(NEXT) | instid1(VALU_DEP_1)
	v_dual_sub_f32 v34, v7, v13 :: v_dual_sub_f32 v7, v2, v7
	v_add_f32_e32 v34, 1.0, v34
	v_subrev_co_ci_u32_e32 v6, vcc_lo, 0, v6, vcc_lo
	s_delay_alu instid0(VALU_DEP_1) | instskip(SKIP_1) | instid1(VALU_DEP_2)
	v_sub_nc_u32_e32 v24, 0, v6
	v_cvt_f32_i32_e32 v6, v6
	v_ldexp_f32 v13, v13, v24
	s_delay_alu instid0(VALU_DEP_1) | instskip(NEXT) | instid1(VALU_DEP_1)
	v_add_f32_e32 v35, 1.0, v13
	v_dual_add_f32 v7, v7, v34 :: v_dual_add_f32 v34, -1.0, v35
	s_delay_alu instid0(VALU_DEP_1) | instskip(SKIP_1) | instid1(VALU_DEP_3)
	v_ldexp_f32 v7, v7, v24
	v_add_f32_e32 v24, -1.0, v13
	v_sub_f32_e32 v34, v13, v34
	s_delay_alu instid0(VALU_DEP_2) | instskip(NEXT) | instid1(VALU_DEP_1)
	v_add_f32_e32 v52, 1.0, v24
	v_dual_add_f32 v34, v7, v34 :: v_dual_sub_f32 v13, v13, v52
	v_cmp_eq_f32_e32 vcc_lo, 0x7f800000, v2
	s_delay_alu instid0(VALU_DEP_2) | instskip(NEXT) | instid1(VALU_DEP_3)
	v_add_f32_e32 v52, v35, v34
	v_add_f32_e32 v7, v7, v13
	s_delay_alu instid0(VALU_DEP_2) | instskip(SKIP_1) | instid1(VALU_DEP_2)
	v_rcp_f32_e32 v13, v52
	v_sub_f32_e32 v35, v35, v52
	v_add_f32_e32 v53, v24, v7
	s_delay_alu instid0(VALU_DEP_2) | instskip(NEXT) | instid1(VALU_DEP_2)
	v_add_f32_e32 v34, v34, v35
	v_sub_f32_e32 v24, v24, v53
	s_waitcnt_depctr 0xfff
	v_dual_mul_f32 v54, v53, v13 :: v_dual_add_f32 v7, v7, v24
	s_delay_alu instid0(VALU_DEP_1) | instskip(NEXT) | instid1(VALU_DEP_1)
	v_mul_f32_e32 v64, v52, v54
	v_fma_f32 v35, v54, v52, -v64
	s_delay_alu instid0(VALU_DEP_1) | instskip(NEXT) | instid1(VALU_DEP_1)
	v_fmac_f32_e32 v35, v54, v34
	v_add_f32_e32 v65, v64, v35
	s_delay_alu instid0(VALU_DEP_1) | instskip(NEXT) | instid1(VALU_DEP_1)
	v_sub_f32_e32 v66, v53, v65
	v_sub_f32_e32 v53, v53, v66
	s_delay_alu instid0(VALU_DEP_1) | instskip(NEXT) | instid1(VALU_DEP_1)
	v_sub_f32_e32 v53, v53, v65
	v_dual_add_f32 v7, v7, v53 :: v_dual_sub_f32 v24, v65, v64
	s_delay_alu instid0(VALU_DEP_1) | instskip(NEXT) | instid1(VALU_DEP_1)
	v_sub_f32_e32 v24, v24, v35
	v_add_f32_e32 v7, v24, v7
	s_delay_alu instid0(VALU_DEP_1) | instskip(NEXT) | instid1(VALU_DEP_1)
	v_add_f32_e32 v24, v66, v7
	v_mul_f32_e32 v35, v13, v24
	s_delay_alu instid0(VALU_DEP_1) | instskip(SKIP_1) | instid1(VALU_DEP_2)
	v_mul_f32_e32 v53, v52, v35
	v_sub_f32_e32 v65, v66, v24
	v_fma_f32 v52, v35, v52, -v53
	s_delay_alu instid0(VALU_DEP_2) | instskip(NEXT) | instid1(VALU_DEP_2)
	v_add_f32_e32 v7, v7, v65
	v_fmac_f32_e32 v52, v35, v34
	s_delay_alu instid0(VALU_DEP_1) | instskip(NEXT) | instid1(VALU_DEP_1)
	v_add_f32_e32 v34, v53, v52
	v_dual_sub_f32 v64, v24, v34 :: v_dual_sub_f32 v53, v34, v53
	s_delay_alu instid0(VALU_DEP_1) | instskip(NEXT) | instid1(VALU_DEP_1)
	v_sub_f32_e32 v24, v24, v64
	v_sub_f32_e32 v24, v24, v34
	s_delay_alu instid0(VALU_DEP_1) | instskip(NEXT) | instid1(VALU_DEP_4)
	v_dual_add_f32 v7, v7, v24 :: v_dual_add_f32 v24, v54, v35
	v_sub_f32_e32 v34, v53, v52
	s_delay_alu instid0(VALU_DEP_1) | instskip(NEXT) | instid1(VALU_DEP_1)
	v_dual_add_f32 v7, v34, v7 :: v_dual_sub_f32 v34, v24, v54
	v_dual_add_f32 v7, v64, v7 :: v_dual_sub_f32 v34, v35, v34
	s_delay_alu instid0(VALU_DEP_1) | instskip(NEXT) | instid1(VALU_DEP_1)
	v_mul_f32_e32 v7, v13, v7
	v_add_f32_e32 v7, v34, v7
	s_delay_alu instid0(VALU_DEP_1) | instskip(NEXT) | instid1(VALU_DEP_1)
	v_add_f32_e32 v13, v24, v7
	v_mul_f32_e32 v34, v13, v13
	s_delay_alu instid0(VALU_DEP_1) | instskip(SKIP_2) | instid1(VALU_DEP_3)
	v_fmaak_f32 v35, s2, v34, 0x3ecc95a3
	v_mul_f32_e32 v52, v13, v34
	v_cmp_gt_f32_e64 s2, 0x33800000, |v2|
	v_fmaak_f32 v34, v34, v35, 0x3f2aaada
	v_ldexp_f32 v35, v13, 1
	v_sub_f32_e32 v13, v13, v24
	s_delay_alu instid0(VALU_DEP_4) | instskip(NEXT) | instid1(VALU_DEP_1)
	s_or_b32 vcc_lo, vcc_lo, s2
	v_dual_sub_f32 v7, v7, v13 :: v_dual_mul_f32 v34, v52, v34
	s_delay_alu instid0(VALU_DEP_1) | instskip(NEXT) | instid1(VALU_DEP_2)
	v_ldexp_f32 v7, v7, 1
	v_add_f32_e32 v24, v35, v34
	s_delay_alu instid0(VALU_DEP_1) | instskip(NEXT) | instid1(VALU_DEP_1)
	v_sub_f32_e32 v13, v24, v35
	v_sub_f32_e32 v13, v34, v13
	s_delay_alu instid0(VALU_DEP_1) | instskip(NEXT) | instid1(VALU_DEP_1)
	v_add_f32_e32 v7, v7, v13
	v_add_f32_e32 v34, v24, v7
	s_delay_alu instid0(VALU_DEP_1) | instskip(NEXT) | instid1(VALU_DEP_1)
	v_sub_f32_e32 v24, v34, v24
	v_dual_mul_f32 v52, 0x3f317218, v6 :: v_dual_sub_f32 v7, v7, v24
	s_delay_alu instid0(VALU_DEP_1) | instskip(NEXT) | instid1(VALU_DEP_1)
	v_fma_f32 v35, 0x3f317218, v6, -v52
	v_fmamk_f32 v6, v6, 0xb102e308, v35
	s_delay_alu instid0(VALU_DEP_1) | instskip(NEXT) | instid1(VALU_DEP_1)
	v_add_f32_e32 v13, v52, v6
	v_add_f32_e32 v35, v13, v34
	s_delay_alu instid0(VALU_DEP_1) | instskip(NEXT) | instid1(VALU_DEP_1)
	v_dual_sub_f32 v52, v13, v52 :: v_dual_sub_f32 v53, v35, v13
	v_sub_f32_e32 v54, v35, v53
	s_delay_alu instid0(VALU_DEP_1) | instskip(NEXT) | instid1(VALU_DEP_1)
	v_dual_sub_f32 v13, v13, v54 :: v_dual_sub_f32 v24, v34, v53
	v_dual_add_f32 v13, v24, v13 :: v_dual_sub_f32 v6, v6, v52
	s_delay_alu instid0(VALU_DEP_1) | instskip(NEXT) | instid1(VALU_DEP_1)
	v_add_f32_e32 v34, v6, v7
	v_sub_f32_e32 v24, v34, v6
	s_delay_alu instid0(VALU_DEP_1) | instskip(NEXT) | instid1(VALU_DEP_4)
	v_sub_f32_e32 v7, v7, v24
	v_add_f32_e32 v13, v34, v13
	v_sub_f32_e32 v34, v34, v24
	s_delay_alu instid0(VALU_DEP_2) | instskip(NEXT) | instid1(VALU_DEP_2)
	v_add_f32_e32 v52, v35, v13
	v_sub_f32_e32 v6, v6, v34
	s_delay_alu instid0(VALU_DEP_2) | instskip(NEXT) | instid1(VALU_DEP_1)
	v_sub_f32_e32 v24, v52, v35
	v_dual_add_f32 v6, v7, v6 :: v_dual_sub_f32 v7, v13, v24
	s_delay_alu instid0(VALU_DEP_1) | instskip(NEXT) | instid1(VALU_DEP_1)
	v_add_f32_e32 v6, v6, v7
	v_add_f32_e32 v6, v52, v6
	s_delay_alu instid0(VALU_DEP_1) | instskip(NEXT) | instid1(VALU_DEP_1)
	v_cndmask_b32_e32 v2, v6, v2, vcc_lo
	v_add_f32_e32 v2, v3, v2
	s_delay_alu instid0(VALU_DEP_1) | instskip(NEXT) | instid1(VALU_DEP_1)
	v_cvt_f16_f32_e32 v35, v2
	v_cvt_f32_f16_e32 v2, v35
	v_mov_b32_e32 v64, v35
.LBB362_326:
	s_or_b32 exec_lo, exec_lo, s1
	s_delay_alu instid0(VALU_DEP_2) | instskip(SKIP_1) | instid1(VALU_DEP_3)
	v_dual_max_f32 v3, v25, v25 :: v_dual_max_f32 v6, v2, v2
	v_cmp_u_f16_e32 vcc_lo, v35, v35
	v_mov_b32_e32 v65, v64
	s_delay_alu instid0(VALU_DEP_3) | instskip(NEXT) | instid1(VALU_DEP_1)
	v_min_f32_e32 v7, v6, v3
	v_dual_max_f32 v3, v6, v3 :: v_dual_cndmask_b32 v6, v7, v2
	s_delay_alu instid0(VALU_DEP_1) | instskip(NEXT) | instid1(VALU_DEP_2)
	v_cndmask_b32_e32 v3, v3, v2, vcc_lo
	v_cndmask_b32_e64 v6, v6, v25, s6
	s_delay_alu instid0(VALU_DEP_2) | instskip(NEXT) | instid1(VALU_DEP_2)
	v_cndmask_b32_e64 v3, v3, v25, s6
	v_cmp_class_f32_e64 s1, v6, 0x1f8
	s_delay_alu instid0(VALU_DEP_2) | instskip(NEXT) | instid1(VALU_DEP_2)
	v_cmp_neq_f32_e32 vcc_lo, v6, v3
	s_or_b32 s2, vcc_lo, s1
	s_delay_alu instid0(SALU_CYCLE_1)
	s_and_saveexec_b32 s1, s2
	s_cbranch_execz .LBB362_328
; %bb.327:
	v_sub_f32_e32 v2, v6, v3
	s_mov_b32 s2, 0x3e9b6dac
	s_delay_alu instid0(VALU_DEP_1) | instskip(SKIP_1) | instid1(VALU_DEP_2)
	v_mul_f32_e32 v6, 0x3fb8aa3b, v2
	v_cmp_ngt_f32_e32 vcc_lo, 0xc2ce8ed0, v2
	v_fma_f32 v7, 0x3fb8aa3b, v2, -v6
	v_rndne_f32_e32 v13, v6
	s_delay_alu instid0(VALU_DEP_2) | instskip(NEXT) | instid1(VALU_DEP_2)
	v_fmamk_f32 v7, v2, 0x32a5705f, v7
	v_sub_f32_e32 v6, v6, v13
	s_delay_alu instid0(VALU_DEP_1) | instskip(SKIP_1) | instid1(VALU_DEP_2)
	v_add_f32_e32 v6, v6, v7
	v_cvt_i32_f32_e32 v7, v13
	v_exp_f32_e32 v6, v6
	s_waitcnt_depctr 0xfff
	v_ldexp_f32 v6, v6, v7
	s_delay_alu instid0(VALU_DEP_1) | instskip(SKIP_1) | instid1(VALU_DEP_2)
	v_cndmask_b32_e32 v6, 0, v6, vcc_lo
	v_cmp_nlt_f32_e32 vcc_lo, 0x42b17218, v2
	v_cndmask_b32_e32 v2, 0x7f800000, v6, vcc_lo
	s_delay_alu instid0(VALU_DEP_1) | instskip(NEXT) | instid1(VALU_DEP_1)
	v_add_f32_e32 v13, 1.0, v2
	v_cvt_f64_f32_e32 v[6:7], v13
	s_delay_alu instid0(VALU_DEP_1) | instskip(SKIP_1) | instid1(VALU_DEP_1)
	v_frexp_exp_i32_f64_e32 v6, v[6:7]
	v_frexp_mant_f32_e32 v7, v13
	v_cmp_gt_f32_e32 vcc_lo, 0x3f2aaaab, v7
	v_add_f32_e32 v7, -1.0, v13
	s_delay_alu instid0(VALU_DEP_1) | instskip(NEXT) | instid1(VALU_DEP_1)
	v_sub_f32_e32 v25, v7, v13
	v_add_f32_e32 v25, 1.0, v25
	v_subrev_co_ci_u32_e32 v6, vcc_lo, 0, v6, vcc_lo
	s_delay_alu instid0(VALU_DEP_1) | instskip(SKIP_1) | instid1(VALU_DEP_2)
	v_sub_nc_u32_e32 v24, 0, v6
	v_cvt_f32_i32_e32 v6, v6
	v_ldexp_f32 v13, v13, v24
	s_delay_alu instid0(VALU_DEP_1) | instskip(NEXT) | instid1(VALU_DEP_1)
	v_dual_sub_f32 v7, v2, v7 :: v_dual_add_f32 v34, 1.0, v13
	v_add_f32_e32 v7, v7, v25
	v_cmp_eq_f32_e32 vcc_lo, 0x7f800000, v2
	s_delay_alu instid0(VALU_DEP_3) | instskip(NEXT) | instid1(VALU_DEP_3)
	v_add_f32_e32 v25, -1.0, v34
	v_ldexp_f32 v7, v7, v24
	v_add_f32_e32 v24, -1.0, v13
	s_delay_alu instid0(VALU_DEP_3) | instskip(NEXT) | instid1(VALU_DEP_2)
	v_sub_f32_e32 v25, v13, v25
	v_add_f32_e32 v35, 1.0, v24
	s_delay_alu instid0(VALU_DEP_2) | instskip(NEXT) | instid1(VALU_DEP_2)
	v_add_f32_e32 v25, v7, v25
	v_sub_f32_e32 v13, v13, v35
	s_delay_alu instid0(VALU_DEP_1) | instskip(NEXT) | instid1(VALU_DEP_1)
	v_add_f32_e32 v7, v7, v13
	v_dual_add_f32 v52, v24, v7 :: v_dual_add_f32 v35, v34, v25
	s_delay_alu instid0(VALU_DEP_1) | instskip(NEXT) | instid1(VALU_DEP_2)
	v_sub_f32_e32 v24, v24, v52
	v_rcp_f32_e32 v13, v35
	v_sub_f32_e32 v34, v34, v35
	s_delay_alu instid0(VALU_DEP_1) | instskip(SKIP_2) | instid1(VALU_DEP_1)
	v_add_f32_e32 v25, v25, v34
	s_waitcnt_depctr 0xfff
	v_mul_f32_e32 v53, v52, v13
	v_mul_f32_e32 v54, v35, v53
	s_delay_alu instid0(VALU_DEP_1) | instskip(NEXT) | instid1(VALU_DEP_1)
	v_fma_f32 v34, v53, v35, -v54
	v_fmac_f32_e32 v34, v53, v25
	s_delay_alu instid0(VALU_DEP_1) | instskip(NEXT) | instid1(VALU_DEP_1)
	v_add_f32_e32 v65, v54, v34
	v_sub_f32_e32 v66, v52, v65
	s_delay_alu instid0(VALU_DEP_1) | instskip(SKIP_1) | instid1(VALU_DEP_2)
	v_dual_sub_f32 v52, v52, v66 :: v_dual_add_f32 v7, v7, v24
	v_sub_f32_e32 v24, v65, v54
	v_sub_f32_e32 v52, v52, v65
	s_delay_alu instid0(VALU_DEP_1) | instskip(NEXT) | instid1(VALU_DEP_1)
	v_dual_sub_f32 v24, v24, v34 :: v_dual_add_f32 v7, v7, v52
	v_add_f32_e32 v7, v24, v7
	s_delay_alu instid0(VALU_DEP_1) | instskip(NEXT) | instid1(VALU_DEP_1)
	v_add_f32_e32 v24, v66, v7
	v_mul_f32_e32 v34, v13, v24
	s_delay_alu instid0(VALU_DEP_1) | instskip(NEXT) | instid1(VALU_DEP_1)
	v_dual_sub_f32 v65, v66, v24 :: v_dual_mul_f32 v52, v35, v34
	v_add_f32_e32 v7, v7, v65
	s_delay_alu instid0(VALU_DEP_2) | instskip(NEXT) | instid1(VALU_DEP_1)
	v_fma_f32 v35, v34, v35, -v52
	v_fmac_f32_e32 v35, v34, v25
	s_delay_alu instid0(VALU_DEP_1) | instskip(NEXT) | instid1(VALU_DEP_1)
	v_add_f32_e32 v25, v52, v35
	v_sub_f32_e32 v54, v24, v25
	s_delay_alu instid0(VALU_DEP_1) | instskip(NEXT) | instid1(VALU_DEP_1)
	v_sub_f32_e32 v24, v24, v54
	v_sub_f32_e32 v24, v24, v25
	s_delay_alu instid0(VALU_DEP_1) | instskip(SKIP_1) | instid1(VALU_DEP_1)
	v_dual_add_f32 v7, v7, v24 :: v_dual_add_f32 v24, v53, v34
	v_sub_f32_e32 v52, v25, v52
	v_sub_f32_e32 v25, v52, v35
	s_delay_alu instid0(VALU_DEP_1) | instskip(NEXT) | instid1(VALU_DEP_4)
	v_add_f32_e32 v7, v25, v7
	v_sub_f32_e32 v25, v24, v53
	s_delay_alu instid0(VALU_DEP_2) | instskip(NEXT) | instid1(VALU_DEP_2)
	v_add_f32_e32 v7, v54, v7
	v_sub_f32_e32 v25, v34, v25
	s_delay_alu instid0(VALU_DEP_2) | instskip(NEXT) | instid1(VALU_DEP_1)
	v_mul_f32_e32 v7, v13, v7
	v_add_f32_e32 v7, v25, v7
	s_delay_alu instid0(VALU_DEP_1) | instskip(NEXT) | instid1(VALU_DEP_1)
	v_add_f32_e32 v13, v24, v7
	v_mul_f32_e32 v25, v13, v13
	s_delay_alu instid0(VALU_DEP_1) | instskip(SKIP_2) | instid1(VALU_DEP_3)
	v_fmaak_f32 v34, s2, v25, 0x3ecc95a3
	v_mul_f32_e32 v35, v13, v25
	v_cmp_gt_f32_e64 s2, 0x33800000, |v2|
	v_fmaak_f32 v25, v25, v34, 0x3f2aaada
	v_ldexp_f32 v34, v13, 1
	s_delay_alu instid0(VALU_DEP_3) | instskip(SKIP_1) | instid1(VALU_DEP_3)
	s_or_b32 vcc_lo, vcc_lo, s2
	v_sub_f32_e32 v13, v13, v24
	v_mul_f32_e32 v25, v35, v25
	s_delay_alu instid0(VALU_DEP_2) | instskip(NEXT) | instid1(VALU_DEP_2)
	v_sub_f32_e32 v7, v7, v13
	v_add_f32_e32 v24, v34, v25
	s_delay_alu instid0(VALU_DEP_2) | instskip(NEXT) | instid1(VALU_DEP_2)
	v_ldexp_f32 v7, v7, 1
	v_sub_f32_e32 v13, v24, v34
	s_delay_alu instid0(VALU_DEP_1) | instskip(NEXT) | instid1(VALU_DEP_1)
	v_sub_f32_e32 v13, v25, v13
	v_add_f32_e32 v7, v7, v13
	s_delay_alu instid0(VALU_DEP_1) | instskip(NEXT) | instid1(VALU_DEP_1)
	v_add_f32_e32 v25, v24, v7
	v_dual_mul_f32 v35, 0x3f317218, v6 :: v_dual_sub_f32 v24, v25, v24
	s_delay_alu instid0(VALU_DEP_1) | instskip(NEXT) | instid1(VALU_DEP_1)
	v_fma_f32 v34, 0x3f317218, v6, -v35
	v_dual_sub_f32 v7, v7, v24 :: v_dual_fmamk_f32 v6, v6, 0xb102e308, v34
	s_delay_alu instid0(VALU_DEP_1) | instskip(NEXT) | instid1(VALU_DEP_1)
	v_add_f32_e32 v13, v35, v6
	v_add_f32_e32 v34, v13, v25
	s_delay_alu instid0(VALU_DEP_1) | instskip(NEXT) | instid1(VALU_DEP_1)
	v_sub_f32_e32 v52, v34, v13
	v_sub_f32_e32 v24, v25, v52
	;; [unrolled: 1-line block ×4, first 2 shown]
	s_delay_alu instid0(VALU_DEP_1) | instskip(NEXT) | instid1(VALU_DEP_1)
	v_dual_sub_f32 v6, v6, v35 :: v_dual_sub_f32 v13, v13, v53
	v_add_f32_e32 v25, v6, v7
	s_delay_alu instid0(VALU_DEP_1) | instskip(NEXT) | instid1(VALU_DEP_1)
	v_dual_add_f32 v13, v24, v13 :: v_dual_sub_f32 v24, v25, v6
	v_add_f32_e32 v13, v25, v13
	s_delay_alu instid0(VALU_DEP_2) | instskip(NEXT) | instid1(VALU_DEP_2)
	v_sub_f32_e32 v25, v25, v24
	v_add_f32_e32 v35, v34, v13
	s_delay_alu instid0(VALU_DEP_2) | instskip(NEXT) | instid1(VALU_DEP_2)
	v_dual_sub_f32 v7, v7, v24 :: v_dual_sub_f32 v6, v6, v25
	v_sub_f32_e32 v24, v35, v34
	s_delay_alu instid0(VALU_DEP_1) | instskip(NEXT) | instid1(VALU_DEP_1)
	v_dual_add_f32 v6, v7, v6 :: v_dual_sub_f32 v7, v13, v24
	v_add_f32_e32 v6, v6, v7
	s_delay_alu instid0(VALU_DEP_1) | instskip(NEXT) | instid1(VALU_DEP_1)
	v_add_f32_e32 v6, v35, v6
	v_cndmask_b32_e32 v2, v6, v2, vcc_lo
	s_delay_alu instid0(VALU_DEP_1) | instskip(NEXT) | instid1(VALU_DEP_1)
	v_add_f32_e32 v2, v3, v2
	v_cvt_f16_f32_e32 v35, v2
	s_delay_alu instid0(VALU_DEP_1)
	v_cvt_f32_f16_e32 v2, v35
	v_mov_b32_e32 v65, v35
.LBB362_328:
	s_or_b32 exec_lo, exec_lo, s1
	s_delay_alu instid0(VALU_DEP_2) | instskip(SKIP_1) | instid1(VALU_DEP_2)
	v_dual_max_f32 v3, v51, v51 :: v_dual_max_f32 v6, v2, v2
	v_cmp_u_f16_e32 vcc_lo, v35, v35
	v_dual_mov_b32 v66, v65 :: v_dual_min_f32 v7, v6, v3
	s_delay_alu instid0(VALU_DEP_1) | instskip(NEXT) | instid1(VALU_DEP_1)
	v_dual_max_f32 v3, v6, v3 :: v_dual_cndmask_b32 v6, v7, v2
	v_cndmask_b32_e32 v3, v3, v2, vcc_lo
	s_delay_alu instid0(VALU_DEP_2) | instskip(NEXT) | instid1(VALU_DEP_2)
	v_cndmask_b32_e64 v6, v6, v51, s7
	v_cndmask_b32_e64 v3, v3, v51, s7
	s_delay_alu instid0(VALU_DEP_2) | instskip(NEXT) | instid1(VALU_DEP_2)
	v_cmp_class_f32_e64 s1, v6, 0x1f8
	v_cmp_neq_f32_e32 vcc_lo, v6, v3
	s_delay_alu instid0(VALU_DEP_2) | instskip(NEXT) | instid1(SALU_CYCLE_1)
	s_or_b32 s2, vcc_lo, s1
	s_and_saveexec_b32 s1, s2
	s_cbranch_execz .LBB362_330
; %bb.329:
	v_sub_f32_e32 v2, v6, v3
	s_mov_b32 s2, 0x3e9b6dac
	s_delay_alu instid0(VALU_DEP_1) | instskip(SKIP_1) | instid1(VALU_DEP_2)
	v_mul_f32_e32 v6, 0x3fb8aa3b, v2
	v_cmp_ngt_f32_e32 vcc_lo, 0xc2ce8ed0, v2
	v_fma_f32 v7, 0x3fb8aa3b, v2, -v6
	v_rndne_f32_e32 v13, v6
	s_delay_alu instid0(VALU_DEP_2) | instskip(NEXT) | instid1(VALU_DEP_2)
	v_fmamk_f32 v7, v2, 0x32a5705f, v7
	v_sub_f32_e32 v6, v6, v13
	s_delay_alu instid0(VALU_DEP_1) | instskip(SKIP_1) | instid1(VALU_DEP_2)
	v_add_f32_e32 v6, v6, v7
	v_cvt_i32_f32_e32 v7, v13
	v_exp_f32_e32 v6, v6
	s_waitcnt_depctr 0xfff
	v_ldexp_f32 v6, v6, v7
	s_delay_alu instid0(VALU_DEP_1) | instskip(SKIP_1) | instid1(VALU_DEP_2)
	v_cndmask_b32_e32 v6, 0, v6, vcc_lo
	v_cmp_nlt_f32_e32 vcc_lo, 0x42b17218, v2
	v_cndmask_b32_e32 v2, 0x7f800000, v6, vcc_lo
	s_delay_alu instid0(VALU_DEP_1) | instskip(NEXT) | instid1(VALU_DEP_1)
	v_add_f32_e32 v13, 1.0, v2
	v_cvt_f64_f32_e32 v[6:7], v13
	s_delay_alu instid0(VALU_DEP_1) | instskip(SKIP_1) | instid1(VALU_DEP_1)
	v_frexp_exp_i32_f64_e32 v6, v[6:7]
	v_frexp_mant_f32_e32 v7, v13
	v_cmp_gt_f32_e32 vcc_lo, 0x3f2aaaab, v7
	v_add_f32_e32 v7, -1.0, v13
	s_delay_alu instid0(VALU_DEP_1) | instskip(NEXT) | instid1(VALU_DEP_1)
	v_sub_f32_e32 v25, v7, v13
	v_add_f32_e32 v25, 1.0, v25
	v_subrev_co_ci_u32_e32 v6, vcc_lo, 0, v6, vcc_lo
	s_delay_alu instid0(VALU_DEP_1) | instskip(SKIP_1) | instid1(VALU_DEP_2)
	v_sub_nc_u32_e32 v24, 0, v6
	v_cvt_f32_i32_e32 v6, v6
	v_ldexp_f32 v13, v13, v24
	s_delay_alu instid0(VALU_DEP_1) | instskip(NEXT) | instid1(VALU_DEP_1)
	v_dual_sub_f32 v7, v2, v7 :: v_dual_add_f32 v34, 1.0, v13
	v_add_f32_e32 v7, v7, v25
	v_cmp_eq_f32_e32 vcc_lo, 0x7f800000, v2
	s_delay_alu instid0(VALU_DEP_3) | instskip(NEXT) | instid1(VALU_DEP_3)
	v_add_f32_e32 v25, -1.0, v34
	v_ldexp_f32 v7, v7, v24
	v_add_f32_e32 v24, -1.0, v13
	s_delay_alu instid0(VALU_DEP_3) | instskip(NEXT) | instid1(VALU_DEP_2)
	v_sub_f32_e32 v25, v13, v25
	v_add_f32_e32 v35, 1.0, v24
	s_delay_alu instid0(VALU_DEP_2) | instskip(NEXT) | instid1(VALU_DEP_2)
	v_add_f32_e32 v25, v7, v25
	v_sub_f32_e32 v13, v13, v35
	s_delay_alu instid0(VALU_DEP_1) | instskip(NEXT) | instid1(VALU_DEP_1)
	v_add_f32_e32 v7, v7, v13
	v_add_f32_e32 v51, v24, v7
	s_delay_alu instid0(VALU_DEP_1) | instskip(NEXT) | instid1(VALU_DEP_1)
	v_dual_add_f32 v35, v34, v25 :: v_dual_sub_f32 v24, v24, v51
	v_rcp_f32_e32 v13, v35
	s_delay_alu instid0(VALU_DEP_1) | instskip(SKIP_2) | instid1(VALU_DEP_1)
	v_dual_sub_f32 v34, v34, v35 :: v_dual_add_f32 v7, v7, v24
	s_waitcnt_depctr 0xfff
	v_dual_add_f32 v25, v25, v34 :: v_dual_mul_f32 v52, v51, v13
	v_mul_f32_e32 v53, v35, v52
	s_delay_alu instid0(VALU_DEP_1) | instskip(NEXT) | instid1(VALU_DEP_1)
	v_fma_f32 v34, v52, v35, -v53
	v_fmac_f32_e32 v34, v52, v25
	s_delay_alu instid0(VALU_DEP_1) | instskip(NEXT) | instid1(VALU_DEP_1)
	v_add_f32_e32 v54, v53, v34
	v_sub_f32_e32 v24, v54, v53
	v_sub_f32_e32 v66, v51, v54
	s_delay_alu instid0(VALU_DEP_2) | instskip(NEXT) | instid1(VALU_DEP_2)
	v_sub_f32_e32 v24, v24, v34
	v_sub_f32_e32 v51, v51, v66
	s_delay_alu instid0(VALU_DEP_1) | instskip(NEXT) | instid1(VALU_DEP_1)
	v_sub_f32_e32 v51, v51, v54
	v_add_f32_e32 v7, v7, v51
	s_delay_alu instid0(VALU_DEP_1) | instskip(NEXT) | instid1(VALU_DEP_1)
	v_add_f32_e32 v7, v24, v7
	v_add_f32_e32 v24, v66, v7
	s_delay_alu instid0(VALU_DEP_1) | instskip(NEXT) | instid1(VALU_DEP_1)
	v_mul_f32_e32 v34, v13, v24
	v_dual_sub_f32 v54, v66, v24 :: v_dual_mul_f32 v51, v35, v34
	s_delay_alu instid0(VALU_DEP_1) | instskip(NEXT) | instid1(VALU_DEP_2)
	v_add_f32_e32 v7, v7, v54
	v_fma_f32 v35, v34, v35, -v51
	s_delay_alu instid0(VALU_DEP_1) | instskip(NEXT) | instid1(VALU_DEP_1)
	v_fmac_f32_e32 v35, v34, v25
	v_add_f32_e32 v25, v51, v35
	s_delay_alu instid0(VALU_DEP_1) | instskip(NEXT) | instid1(VALU_DEP_1)
	v_sub_f32_e32 v53, v24, v25
	v_dual_sub_f32 v51, v25, v51 :: v_dual_sub_f32 v24, v24, v53
	s_delay_alu instid0(VALU_DEP_1) | instskip(NEXT) | instid1(VALU_DEP_1)
	v_sub_f32_e32 v24, v24, v25
	v_dual_add_f32 v7, v7, v24 :: v_dual_add_f32 v24, v52, v34
	s_delay_alu instid0(VALU_DEP_3) | instskip(NEXT) | instid1(VALU_DEP_1)
	v_sub_f32_e32 v25, v51, v35
	v_add_f32_e32 v7, v25, v7
	s_delay_alu instid0(VALU_DEP_3) | instskip(NEXT) | instid1(VALU_DEP_2)
	v_sub_f32_e32 v25, v24, v52
	v_add_f32_e32 v7, v53, v7
	s_delay_alu instid0(VALU_DEP_2) | instskip(NEXT) | instid1(VALU_DEP_2)
	v_sub_f32_e32 v25, v34, v25
	v_mul_f32_e32 v7, v13, v7
	s_delay_alu instid0(VALU_DEP_1) | instskip(NEXT) | instid1(VALU_DEP_1)
	v_add_f32_e32 v7, v25, v7
	v_add_f32_e32 v13, v24, v7
	s_delay_alu instid0(VALU_DEP_1) | instskip(NEXT) | instid1(VALU_DEP_1)
	v_mul_f32_e32 v25, v13, v13
	v_fmaak_f32 v34, s2, v25, 0x3ecc95a3
	v_mul_f32_e32 v35, v13, v25
	v_cmp_gt_f32_e64 s2, 0x33800000, |v2|
	s_delay_alu instid0(VALU_DEP_3) | instskip(SKIP_2) | instid1(VALU_DEP_4)
	v_fmaak_f32 v25, v25, v34, 0x3f2aaada
	v_ldexp_f32 v34, v13, 1
	v_sub_f32_e32 v13, v13, v24
	s_or_b32 vcc_lo, vcc_lo, s2
	s_delay_alu instid0(VALU_DEP_3) | instskip(NEXT) | instid1(VALU_DEP_2)
	v_mul_f32_e32 v25, v35, v25
	v_sub_f32_e32 v7, v7, v13
	s_delay_alu instid0(VALU_DEP_2) | instskip(NEXT) | instid1(VALU_DEP_2)
	v_add_f32_e32 v24, v34, v25
	v_ldexp_f32 v7, v7, 1
	s_delay_alu instid0(VALU_DEP_2) | instskip(NEXT) | instid1(VALU_DEP_1)
	v_sub_f32_e32 v13, v24, v34
	v_sub_f32_e32 v13, v25, v13
	s_delay_alu instid0(VALU_DEP_1) | instskip(NEXT) | instid1(VALU_DEP_1)
	v_add_f32_e32 v7, v7, v13
	v_add_f32_e32 v25, v24, v7
	s_delay_alu instid0(VALU_DEP_1) | instskip(NEXT) | instid1(VALU_DEP_1)
	v_dual_mul_f32 v35, 0x3f317218, v6 :: v_dual_sub_f32 v24, v25, v24
	v_fma_f32 v34, 0x3f317218, v6, -v35
	s_delay_alu instid0(VALU_DEP_1) | instskip(NEXT) | instid1(VALU_DEP_1)
	v_dual_sub_f32 v7, v7, v24 :: v_dual_fmamk_f32 v6, v6, 0xb102e308, v34
	v_add_f32_e32 v13, v35, v6
	s_delay_alu instid0(VALU_DEP_1) | instskip(NEXT) | instid1(VALU_DEP_1)
	v_add_f32_e32 v34, v13, v25
	v_sub_f32_e32 v51, v34, v13
	s_delay_alu instid0(VALU_DEP_1) | instskip(SKIP_2) | instid1(VALU_DEP_1)
	v_sub_f32_e32 v24, v25, v51
	v_sub_f32_e32 v35, v13, v35
	;; [unrolled: 1-line block ×3, first 2 shown]
	v_dual_sub_f32 v6, v6, v35 :: v_dual_sub_f32 v13, v13, v52
	s_delay_alu instid0(VALU_DEP_1) | instskip(NEXT) | instid1(VALU_DEP_1)
	v_add_f32_e32 v25, v6, v7
	v_dual_add_f32 v13, v24, v13 :: v_dual_sub_f32 v24, v25, v6
	s_delay_alu instid0(VALU_DEP_1) | instskip(NEXT) | instid1(VALU_DEP_2)
	v_add_f32_e32 v13, v25, v13
	v_sub_f32_e32 v25, v25, v24
	s_delay_alu instid0(VALU_DEP_2) | instskip(NEXT) | instid1(VALU_DEP_2)
	v_add_f32_e32 v35, v34, v13
	v_dual_sub_f32 v7, v7, v24 :: v_dual_sub_f32 v6, v6, v25
	s_delay_alu instid0(VALU_DEP_2) | instskip(NEXT) | instid1(VALU_DEP_1)
	v_sub_f32_e32 v24, v35, v34
	v_dual_add_f32 v6, v7, v6 :: v_dual_sub_f32 v7, v13, v24
	s_delay_alu instid0(VALU_DEP_1) | instskip(NEXT) | instid1(VALU_DEP_1)
	v_add_f32_e32 v6, v6, v7
	v_add_f32_e32 v6, v35, v6
	s_delay_alu instid0(VALU_DEP_1) | instskip(NEXT) | instid1(VALU_DEP_1)
	v_cndmask_b32_e32 v2, v6, v2, vcc_lo
	v_add_f32_e32 v2, v3, v2
	s_delay_alu instid0(VALU_DEP_1) | instskip(NEXT) | instid1(VALU_DEP_1)
	v_cvt_f16_f32_e32 v35, v2
	v_cvt_f32_f16_e32 v2, v35
	v_mov_b32_e32 v66, v35
.LBB362_330:
	s_or_b32 exec_lo, exec_lo, s1
	v_max_f32_e32 v3, v22, v22
	s_delay_alu instid0(VALU_DEP_3) | instskip(SKIP_2) | instid1(VALU_DEP_3)
	v_max_f32_e32 v6, v2, v2
	v_cmp_u_f16_e32 vcc_lo, v35, v35
	v_mov_b32_e32 v67, v66
	v_min_f32_e32 v7, v6, v3
	s_delay_alu instid0(VALU_DEP_1) | instskip(NEXT) | instid1(VALU_DEP_1)
	v_dual_max_f32 v3, v6, v3 :: v_dual_cndmask_b32 v6, v7, v2
	v_cndmask_b32_e32 v3, v3, v2, vcc_lo
	s_delay_alu instid0(VALU_DEP_2) | instskip(NEXT) | instid1(VALU_DEP_2)
	v_cndmask_b32_e64 v6, v6, v22, s8
	v_cndmask_b32_e64 v3, v3, v22, s8
	s_delay_alu instid0(VALU_DEP_2) | instskip(NEXT) | instid1(VALU_DEP_2)
	v_cmp_class_f32_e64 s1, v6, 0x1f8
	v_cmp_neq_f32_e32 vcc_lo, v6, v3
	s_delay_alu instid0(VALU_DEP_2) | instskip(NEXT) | instid1(SALU_CYCLE_1)
	s_or_b32 s2, vcc_lo, s1
	s_and_saveexec_b32 s1, s2
	s_cbranch_execz .LBB362_332
; %bb.331:
	v_sub_f32_e32 v2, v6, v3
	s_mov_b32 s2, 0x3e9b6dac
	s_delay_alu instid0(VALU_DEP_1) | instskip(SKIP_1) | instid1(VALU_DEP_2)
	v_mul_f32_e32 v6, 0x3fb8aa3b, v2
	v_cmp_ngt_f32_e32 vcc_lo, 0xc2ce8ed0, v2
	v_fma_f32 v7, 0x3fb8aa3b, v2, -v6
	v_rndne_f32_e32 v13, v6
	s_delay_alu instid0(VALU_DEP_2) | instskip(NEXT) | instid1(VALU_DEP_2)
	v_fmamk_f32 v7, v2, 0x32a5705f, v7
	v_sub_f32_e32 v6, v6, v13
	s_delay_alu instid0(VALU_DEP_1) | instskip(SKIP_1) | instid1(VALU_DEP_2)
	v_add_f32_e32 v6, v6, v7
	v_cvt_i32_f32_e32 v7, v13
	v_exp_f32_e32 v6, v6
	s_waitcnt_depctr 0xfff
	v_ldexp_f32 v6, v6, v7
	s_delay_alu instid0(VALU_DEP_1) | instskip(SKIP_1) | instid1(VALU_DEP_2)
	v_cndmask_b32_e32 v6, 0, v6, vcc_lo
	v_cmp_nlt_f32_e32 vcc_lo, 0x42b17218, v2
	v_cndmask_b32_e32 v2, 0x7f800000, v6, vcc_lo
	s_delay_alu instid0(VALU_DEP_1) | instskip(NEXT) | instid1(VALU_DEP_1)
	v_add_f32_e32 v13, 1.0, v2
	v_cvt_f64_f32_e32 v[6:7], v13
	s_delay_alu instid0(VALU_DEP_1) | instskip(SKIP_1) | instid1(VALU_DEP_1)
	v_frexp_exp_i32_f64_e32 v6, v[6:7]
	v_frexp_mant_f32_e32 v7, v13
	v_cmp_gt_f32_e32 vcc_lo, 0x3f2aaaab, v7
	v_add_f32_e32 v7, -1.0, v13
	s_delay_alu instid0(VALU_DEP_1) | instskip(NEXT) | instid1(VALU_DEP_1)
	v_dual_sub_f32 v24, v7, v13 :: v_dual_sub_f32 v7, v2, v7
	v_add_f32_e32 v24, 1.0, v24
	s_delay_alu instid0(VALU_DEP_1) | instskip(SKIP_2) | instid1(VALU_DEP_2)
	v_add_f32_e32 v7, v7, v24
	v_subrev_co_ci_u32_e32 v6, vcc_lo, 0, v6, vcc_lo
	v_cmp_eq_f32_e32 vcc_lo, 0x7f800000, v2
	v_sub_nc_u32_e32 v22, 0, v6
	v_cvt_f32_i32_e32 v6, v6
	s_delay_alu instid0(VALU_DEP_2) | instskip(SKIP_1) | instid1(VALU_DEP_2)
	v_ldexp_f32 v13, v13, v22
	v_ldexp_f32 v7, v7, v22
	v_add_f32_e32 v25, 1.0, v13
	v_add_f32_e32 v22, -1.0, v13
	s_delay_alu instid0(VALU_DEP_2) | instskip(NEXT) | instid1(VALU_DEP_2)
	v_add_f32_e32 v24, -1.0, v25
	v_add_f32_e32 v34, 1.0, v22
	s_delay_alu instid0(VALU_DEP_2) | instskip(NEXT) | instid1(VALU_DEP_1)
	v_sub_f32_e32 v24, v13, v24
	v_dual_sub_f32 v13, v13, v34 :: v_dual_add_f32 v24, v7, v24
	s_delay_alu instid0(VALU_DEP_1) | instskip(NEXT) | instid1(VALU_DEP_1)
	v_dual_add_f32 v7, v7, v13 :: v_dual_add_f32 v34, v25, v24
	v_rcp_f32_e32 v13, v34
	v_sub_f32_e32 v25, v25, v34
	s_delay_alu instid0(VALU_DEP_2) | instskip(SKIP_2) | instid1(VALU_DEP_1)
	v_add_f32_e32 v35, v22, v7
	s_waitcnt_depctr 0xfff
	v_dual_sub_f32 v22, v22, v35 :: v_dual_mul_f32 v51, v35, v13
	v_dual_add_f32 v7, v7, v22 :: v_dual_add_f32 v24, v24, v25
	s_delay_alu instid0(VALU_DEP_2) | instskip(NEXT) | instid1(VALU_DEP_1)
	v_mul_f32_e32 v52, v34, v51
	v_fma_f32 v25, v51, v34, -v52
	s_delay_alu instid0(VALU_DEP_1) | instskip(NEXT) | instid1(VALU_DEP_1)
	v_fmac_f32_e32 v25, v51, v24
	v_add_f32_e32 v53, v52, v25
	s_delay_alu instid0(VALU_DEP_1) | instskip(NEXT) | instid1(VALU_DEP_1)
	v_sub_f32_e32 v22, v53, v52
	v_sub_f32_e32 v22, v22, v25
	;; [unrolled: 1-line block ×3, first 2 shown]
	s_delay_alu instid0(VALU_DEP_1) | instskip(NEXT) | instid1(VALU_DEP_1)
	v_sub_f32_e32 v35, v35, v54
	v_sub_f32_e32 v35, v35, v53
	s_delay_alu instid0(VALU_DEP_1) | instskip(NEXT) | instid1(VALU_DEP_1)
	v_add_f32_e32 v7, v7, v35
	v_add_f32_e32 v7, v22, v7
	s_delay_alu instid0(VALU_DEP_1) | instskip(NEXT) | instid1(VALU_DEP_1)
	v_add_f32_e32 v22, v54, v7
	v_sub_f32_e32 v53, v54, v22
	s_delay_alu instid0(VALU_DEP_1) | instskip(SKIP_1) | instid1(VALU_DEP_1)
	v_add_f32_e32 v7, v7, v53
	v_mul_f32_e32 v25, v13, v22
	v_mul_f32_e32 v35, v34, v25
	s_delay_alu instid0(VALU_DEP_1) | instskip(NEXT) | instid1(VALU_DEP_1)
	v_fma_f32 v34, v25, v34, -v35
	v_fmac_f32_e32 v34, v25, v24
	s_delay_alu instid0(VALU_DEP_1) | instskip(NEXT) | instid1(VALU_DEP_1)
	v_add_f32_e32 v24, v35, v34
	v_dual_sub_f32 v52, v22, v24 :: v_dual_sub_f32 v35, v24, v35
	s_delay_alu instid0(VALU_DEP_1) | instskip(NEXT) | instid1(VALU_DEP_1)
	v_sub_f32_e32 v22, v22, v52
	v_sub_f32_e32 v22, v22, v24
	s_delay_alu instid0(VALU_DEP_1) | instskip(SKIP_2) | instid1(VALU_DEP_1)
	v_add_f32_e32 v7, v7, v22
	v_add_f32_e32 v22, v51, v25
	v_sub_f32_e32 v24, v35, v34
	v_add_f32_e32 v7, v24, v7
	s_delay_alu instid0(VALU_DEP_3) | instskip(NEXT) | instid1(VALU_DEP_1)
	v_sub_f32_e32 v24, v22, v51
	v_dual_add_f32 v7, v52, v7 :: v_dual_sub_f32 v24, v25, v24
	s_delay_alu instid0(VALU_DEP_1) | instskip(NEXT) | instid1(VALU_DEP_1)
	v_mul_f32_e32 v7, v13, v7
	v_add_f32_e32 v7, v24, v7
	s_delay_alu instid0(VALU_DEP_1) | instskip(NEXT) | instid1(VALU_DEP_1)
	v_add_f32_e32 v13, v22, v7
	v_mul_f32_e32 v24, v13, v13
	s_delay_alu instid0(VALU_DEP_1) | instskip(SKIP_2) | instid1(VALU_DEP_3)
	v_fmaak_f32 v25, s2, v24, 0x3ecc95a3
	v_mul_f32_e32 v34, v13, v24
	v_cmp_gt_f32_e64 s2, 0x33800000, |v2|
	v_fmaak_f32 v24, v24, v25, 0x3f2aaada
	v_ldexp_f32 v25, v13, 1
	v_sub_f32_e32 v13, v13, v22
	s_delay_alu instid0(VALU_DEP_4) | instskip(NEXT) | instid1(VALU_DEP_1)
	s_or_b32 vcc_lo, vcc_lo, s2
	v_sub_f32_e32 v7, v7, v13
	s_delay_alu instid0(VALU_DEP_1) | instskip(SKIP_1) | instid1(VALU_DEP_1)
	v_ldexp_f32 v7, v7, 1
	v_mul_f32_e32 v24, v34, v24
	v_add_f32_e32 v22, v25, v24
	s_delay_alu instid0(VALU_DEP_1) | instskip(NEXT) | instid1(VALU_DEP_1)
	v_sub_f32_e32 v13, v22, v25
	v_sub_f32_e32 v13, v24, v13
	s_delay_alu instid0(VALU_DEP_1) | instskip(NEXT) | instid1(VALU_DEP_1)
	v_add_f32_e32 v7, v7, v13
	v_add_f32_e32 v24, v22, v7
	v_mul_f32_e32 v34, 0x3f317218, v6
	s_delay_alu instid0(VALU_DEP_1) | instskip(NEXT) | instid1(VALU_DEP_1)
	v_fma_f32 v25, 0x3f317218, v6, -v34
	v_fmamk_f32 v6, v6, 0xb102e308, v25
	s_delay_alu instid0(VALU_DEP_1) | instskip(NEXT) | instid1(VALU_DEP_1)
	v_add_f32_e32 v13, v34, v6
	v_add_f32_e32 v25, v13, v24
	s_delay_alu instid0(VALU_DEP_1) | instskip(NEXT) | instid1(VALU_DEP_1)
	v_dual_sub_f32 v35, v25, v13 :: v_dual_sub_f32 v22, v24, v22
	v_sub_f32_e32 v51, v25, v35
	s_delay_alu instid0(VALU_DEP_2) | instskip(SKIP_1) | instid1(VALU_DEP_3)
	v_dual_sub_f32 v7, v7, v22 :: v_dual_sub_f32 v22, v24, v35
	v_sub_f32_e32 v34, v13, v34
	v_sub_f32_e32 v13, v13, v51
	s_delay_alu instid0(VALU_DEP_1) | instskip(NEXT) | instid1(VALU_DEP_3)
	v_add_f32_e32 v13, v22, v13
	v_sub_f32_e32 v6, v6, v34
	s_delay_alu instid0(VALU_DEP_1) | instskip(NEXT) | instid1(VALU_DEP_1)
	v_add_f32_e32 v24, v6, v7
	v_add_f32_e32 v13, v24, v13
	v_sub_f32_e32 v22, v24, v6
	s_delay_alu instid0(VALU_DEP_1) | instskip(SKIP_1) | instid1(VALU_DEP_2)
	v_dual_add_f32 v34, v25, v13 :: v_dual_sub_f32 v7, v7, v22
	v_sub_f32_e32 v24, v24, v22
	v_sub_f32_e32 v22, v34, v25
	s_delay_alu instid0(VALU_DEP_2) | instskip(NEXT) | instid1(VALU_DEP_1)
	v_sub_f32_e32 v6, v6, v24
	v_add_f32_e32 v6, v7, v6
	s_delay_alu instid0(VALU_DEP_3) | instskip(NEXT) | instid1(VALU_DEP_1)
	v_sub_f32_e32 v7, v13, v22
	v_add_f32_e32 v6, v6, v7
	s_delay_alu instid0(VALU_DEP_1) | instskip(NEXT) | instid1(VALU_DEP_1)
	v_add_f32_e32 v6, v34, v6
	v_cndmask_b32_e32 v2, v6, v2, vcc_lo
	s_delay_alu instid0(VALU_DEP_1) | instskip(NEXT) | instid1(VALU_DEP_1)
	v_add_f32_e32 v2, v3, v2
	v_cvt_f16_f32_e32 v35, v2
	s_delay_alu instid0(VALU_DEP_1)
	v_cvt_f32_f16_e32 v2, v35
	v_mov_b32_e32 v67, v35
.LBB362_332:
	s_or_b32 exec_lo, exec_lo, s1
	s_delay_alu instid0(VALU_DEP_1) | instskip(NEXT) | instid1(VALU_DEP_3)
	v_dual_max_f32 v3, v50, v50 :: v_dual_mov_b32 v68, v67
	v_max_f32_e32 v6, v2, v2
	v_cmp_u_f16_e32 vcc_lo, v35, v35
	s_delay_alu instid0(VALU_DEP_2) | instskip(NEXT) | instid1(VALU_DEP_1)
	v_min_f32_e32 v7, v6, v3
	v_dual_max_f32 v3, v6, v3 :: v_dual_cndmask_b32 v6, v7, v2
	s_delay_alu instid0(VALU_DEP_1) | instskip(NEXT) | instid1(VALU_DEP_2)
	v_cndmask_b32_e32 v3, v3, v2, vcc_lo
	v_cndmask_b32_e64 v6, v6, v50, s10
	s_delay_alu instid0(VALU_DEP_2) | instskip(NEXT) | instid1(VALU_DEP_2)
	v_cndmask_b32_e64 v3, v3, v50, s10
	v_cmp_class_f32_e64 s1, v6, 0x1f8
	s_delay_alu instid0(VALU_DEP_2) | instskip(NEXT) | instid1(VALU_DEP_2)
	v_cmp_neq_f32_e32 vcc_lo, v6, v3
	s_or_b32 s2, vcc_lo, s1
	s_delay_alu instid0(SALU_CYCLE_1)
	s_and_saveexec_b32 s1, s2
	s_cbranch_execz .LBB362_334
; %bb.333:
	v_sub_f32_e32 v2, v6, v3
	s_mov_b32 s2, 0x3e9b6dac
	s_delay_alu instid0(VALU_DEP_1) | instskip(SKIP_1) | instid1(VALU_DEP_2)
	v_mul_f32_e32 v6, 0x3fb8aa3b, v2
	v_cmp_ngt_f32_e32 vcc_lo, 0xc2ce8ed0, v2
	v_fma_f32 v7, 0x3fb8aa3b, v2, -v6
	v_rndne_f32_e32 v13, v6
	s_delay_alu instid0(VALU_DEP_2) | instskip(NEXT) | instid1(VALU_DEP_2)
	v_fmamk_f32 v7, v2, 0x32a5705f, v7
	v_sub_f32_e32 v6, v6, v13
	s_delay_alu instid0(VALU_DEP_1) | instskip(SKIP_1) | instid1(VALU_DEP_2)
	v_add_f32_e32 v6, v6, v7
	v_cvt_i32_f32_e32 v7, v13
	v_exp_f32_e32 v6, v6
	s_waitcnt_depctr 0xfff
	v_ldexp_f32 v6, v6, v7
	s_delay_alu instid0(VALU_DEP_1) | instskip(SKIP_1) | instid1(VALU_DEP_2)
	v_cndmask_b32_e32 v6, 0, v6, vcc_lo
	v_cmp_nlt_f32_e32 vcc_lo, 0x42b17218, v2
	v_cndmask_b32_e32 v2, 0x7f800000, v6, vcc_lo
	s_delay_alu instid0(VALU_DEP_1) | instskip(NEXT) | instid1(VALU_DEP_1)
	v_add_f32_e32 v13, 1.0, v2
	v_cvt_f64_f32_e32 v[6:7], v13
	s_delay_alu instid0(VALU_DEP_1) | instskip(SKIP_1) | instid1(VALU_DEP_1)
	v_frexp_exp_i32_f64_e32 v6, v[6:7]
	v_frexp_mant_f32_e32 v7, v13
	v_cmp_gt_f32_e32 vcc_lo, 0x3f2aaaab, v7
	v_add_f32_e32 v7, -1.0, v13
	s_delay_alu instid0(VALU_DEP_1) | instskip(NEXT) | instid1(VALU_DEP_1)
	v_dual_sub_f32 v24, v7, v13 :: v_dual_sub_f32 v7, v2, v7
	v_add_f32_e32 v24, 1.0, v24
	s_delay_alu instid0(VALU_DEP_1) | instskip(SKIP_2) | instid1(VALU_DEP_2)
	v_add_f32_e32 v7, v7, v24
	v_subrev_co_ci_u32_e32 v6, vcc_lo, 0, v6, vcc_lo
	v_cmp_eq_f32_e32 vcc_lo, 0x7f800000, v2
	v_sub_nc_u32_e32 v22, 0, v6
	v_cvt_f32_i32_e32 v6, v6
	s_delay_alu instid0(VALU_DEP_2) | instskip(SKIP_1) | instid1(VALU_DEP_2)
	v_ldexp_f32 v13, v13, v22
	v_ldexp_f32 v7, v7, v22
	v_add_f32_e32 v25, 1.0, v13
	v_add_f32_e32 v22, -1.0, v13
	s_delay_alu instid0(VALU_DEP_2) | instskip(NEXT) | instid1(VALU_DEP_2)
	v_add_f32_e32 v24, -1.0, v25
	v_add_f32_e32 v34, 1.0, v22
	s_delay_alu instid0(VALU_DEP_2) | instskip(NEXT) | instid1(VALU_DEP_1)
	v_sub_f32_e32 v24, v13, v24
	v_dual_sub_f32 v13, v13, v34 :: v_dual_add_f32 v24, v7, v24
	s_delay_alu instid0(VALU_DEP_1) | instskip(NEXT) | instid1(VALU_DEP_1)
	v_dual_add_f32 v7, v7, v13 :: v_dual_add_f32 v34, v25, v24
	v_rcp_f32_e32 v13, v34
	v_sub_f32_e32 v25, v25, v34
	s_delay_alu instid0(VALU_DEP_1) | instskip(SKIP_2) | instid1(VALU_DEP_1)
	v_dual_add_f32 v35, v22, v7 :: v_dual_add_f32 v24, v24, v25
	s_waitcnt_depctr 0xfff
	v_mul_f32_e32 v50, v35, v13
	v_mul_f32_e32 v51, v34, v50
	s_delay_alu instid0(VALU_DEP_1) | instskip(NEXT) | instid1(VALU_DEP_1)
	v_fma_f32 v25, v50, v34, -v51
	v_fmac_f32_e32 v25, v50, v24
	s_delay_alu instid0(VALU_DEP_1) | instskip(NEXT) | instid1(VALU_DEP_1)
	v_add_f32_e32 v52, v51, v25
	v_dual_sub_f32 v22, v22, v35 :: v_dual_sub_f32 v53, v35, v52
	s_delay_alu instid0(VALU_DEP_1) | instskip(NEXT) | instid1(VALU_DEP_1)
	v_sub_f32_e32 v35, v35, v53
	v_sub_f32_e32 v35, v35, v52
	s_delay_alu instid0(VALU_DEP_3) | instskip(NEXT) | instid1(VALU_DEP_1)
	v_dual_add_f32 v7, v7, v22 :: v_dual_sub_f32 v22, v52, v51
	v_dual_add_f32 v7, v7, v35 :: v_dual_sub_f32 v22, v22, v25
	s_delay_alu instid0(VALU_DEP_1) | instskip(NEXT) | instid1(VALU_DEP_1)
	v_add_f32_e32 v7, v22, v7
	v_add_f32_e32 v22, v53, v7
	s_delay_alu instid0(VALU_DEP_1) | instskip(NEXT) | instid1(VALU_DEP_1)
	v_mul_f32_e32 v25, v13, v22
	v_dual_mul_f32 v35, v34, v25 :: v_dual_sub_f32 v52, v53, v22
	s_delay_alu instid0(VALU_DEP_1) | instskip(NEXT) | instid1(VALU_DEP_2)
	v_fma_f32 v34, v25, v34, -v35
	v_add_f32_e32 v7, v7, v52
	s_delay_alu instid0(VALU_DEP_2) | instskip(NEXT) | instid1(VALU_DEP_1)
	v_fmac_f32_e32 v34, v25, v24
	v_add_f32_e32 v24, v35, v34
	s_delay_alu instid0(VALU_DEP_1) | instskip(SKIP_1) | instid1(VALU_DEP_2)
	v_sub_f32_e32 v51, v22, v24
	v_sub_f32_e32 v35, v24, v35
	v_sub_f32_e32 v22, v22, v51
	s_delay_alu instid0(VALU_DEP_1) | instskip(NEXT) | instid1(VALU_DEP_1)
	v_sub_f32_e32 v22, v22, v24
	v_dual_add_f32 v7, v7, v22 :: v_dual_add_f32 v22, v50, v25
	s_delay_alu instid0(VALU_DEP_4) | instskip(NEXT) | instid1(VALU_DEP_1)
	v_sub_f32_e32 v24, v35, v34
	v_dual_add_f32 v7, v24, v7 :: v_dual_sub_f32 v24, v22, v50
	s_delay_alu instid0(VALU_DEP_1) | instskip(NEXT) | instid1(VALU_DEP_1)
	v_dual_add_f32 v7, v51, v7 :: v_dual_sub_f32 v24, v25, v24
	v_mul_f32_e32 v7, v13, v7
	s_delay_alu instid0(VALU_DEP_1) | instskip(NEXT) | instid1(VALU_DEP_1)
	v_add_f32_e32 v7, v24, v7
	v_add_f32_e32 v13, v22, v7
	s_delay_alu instid0(VALU_DEP_1) | instskip(NEXT) | instid1(VALU_DEP_1)
	v_mul_f32_e32 v24, v13, v13
	v_fmaak_f32 v25, s2, v24, 0x3ecc95a3
	v_mul_f32_e32 v34, v13, v24
	v_cmp_gt_f32_e64 s2, 0x33800000, |v2|
	s_delay_alu instid0(VALU_DEP_3) | instskip(SKIP_2) | instid1(VALU_DEP_4)
	v_fmaak_f32 v24, v24, v25, 0x3f2aaada
	v_ldexp_f32 v25, v13, 1
	v_sub_f32_e32 v13, v13, v22
	s_or_b32 vcc_lo, vcc_lo, s2
	s_delay_alu instid0(VALU_DEP_1) | instskip(NEXT) | instid1(VALU_DEP_1)
	v_sub_f32_e32 v7, v7, v13
	v_ldexp_f32 v7, v7, 1
	v_mul_f32_e32 v24, v34, v24
	v_mul_f32_e32 v34, 0x3f317218, v6
	s_delay_alu instid0(VALU_DEP_2) | instskip(NEXT) | instid1(VALU_DEP_1)
	v_add_f32_e32 v22, v25, v24
	v_sub_f32_e32 v13, v22, v25
	s_delay_alu instid0(VALU_DEP_3) | instskip(NEXT) | instid1(VALU_DEP_1)
	v_fma_f32 v25, 0x3f317218, v6, -v34
	v_dual_sub_f32 v13, v24, v13 :: v_dual_fmamk_f32 v6, v6, 0xb102e308, v25
	s_delay_alu instid0(VALU_DEP_1) | instskip(NEXT) | instid1(VALU_DEP_2)
	v_add_f32_e32 v7, v7, v13
	v_add_f32_e32 v13, v34, v6
	s_delay_alu instid0(VALU_DEP_2) | instskip(NEXT) | instid1(VALU_DEP_1)
	v_add_f32_e32 v24, v22, v7
	v_dual_add_f32 v25, v13, v24 :: v_dual_sub_f32 v22, v24, v22
	s_delay_alu instid0(VALU_DEP_1) | instskip(NEXT) | instid1(VALU_DEP_1)
	v_sub_f32_e32 v35, v25, v13
	v_dual_sub_f32 v7, v7, v22 :: v_dual_sub_f32 v50, v25, v35
	v_sub_f32_e32 v22, v24, v35
	v_sub_f32_e32 v34, v13, v34
	s_delay_alu instid0(VALU_DEP_3) | instskip(NEXT) | instid1(VALU_DEP_1)
	v_sub_f32_e32 v13, v13, v50
	v_add_f32_e32 v13, v22, v13
	s_delay_alu instid0(VALU_DEP_3) | instskip(NEXT) | instid1(VALU_DEP_1)
	v_sub_f32_e32 v6, v6, v34
	v_add_f32_e32 v24, v6, v7
	s_delay_alu instid0(VALU_DEP_1) | instskip(SKIP_1) | instid1(VALU_DEP_1)
	v_add_f32_e32 v13, v24, v13
	v_sub_f32_e32 v22, v24, v6
	v_dual_add_f32 v34, v25, v13 :: v_dual_sub_f32 v7, v7, v22
	v_sub_f32_e32 v24, v24, v22
	s_delay_alu instid0(VALU_DEP_2) | instskip(NEXT) | instid1(VALU_DEP_2)
	v_sub_f32_e32 v22, v34, v25
	v_sub_f32_e32 v6, v6, v24
	s_delay_alu instid0(VALU_DEP_1) | instskip(NEXT) | instid1(VALU_DEP_3)
	v_add_f32_e32 v6, v7, v6
	v_sub_f32_e32 v7, v13, v22
	s_delay_alu instid0(VALU_DEP_1) | instskip(NEXT) | instid1(VALU_DEP_1)
	v_add_f32_e32 v6, v6, v7
	v_add_f32_e32 v6, v34, v6
	s_delay_alu instid0(VALU_DEP_1) | instskip(NEXT) | instid1(VALU_DEP_1)
	v_cndmask_b32_e32 v2, v6, v2, vcc_lo
	v_add_f32_e32 v2, v3, v2
	s_delay_alu instid0(VALU_DEP_1) | instskip(NEXT) | instid1(VALU_DEP_1)
	v_cvt_f16_f32_e32 v35, v2
	v_cvt_f32_f16_e32 v2, v35
	v_mov_b32_e32 v68, v35
.LBB362_334:
	s_or_b32 exec_lo, exec_lo, s1
	s_delay_alu instid0(VALU_DEP_2) | instskip(SKIP_1) | instid1(VALU_DEP_3)
	v_dual_max_f32 v3, v23, v23 :: v_dual_max_f32 v6, v2, v2
	v_cmp_u_f16_e32 vcc_lo, v35, v35
	v_mov_b32_e32 v69, v68
	s_delay_alu instid0(VALU_DEP_3) | instskip(NEXT) | instid1(VALU_DEP_1)
	v_min_f32_e32 v7, v6, v3
	v_dual_max_f32 v3, v6, v3 :: v_dual_cndmask_b32 v6, v7, v2
	s_delay_alu instid0(VALU_DEP_1) | instskip(NEXT) | instid1(VALU_DEP_2)
	v_cndmask_b32_e32 v3, v3, v2, vcc_lo
	v_cndmask_b32_e64 v6, v6, v23, s11
	s_delay_alu instid0(VALU_DEP_2) | instskip(NEXT) | instid1(VALU_DEP_2)
	v_cndmask_b32_e64 v3, v3, v23, s11
	v_cmp_class_f32_e64 s1, v6, 0x1f8
	s_delay_alu instid0(VALU_DEP_2) | instskip(NEXT) | instid1(VALU_DEP_2)
	v_cmp_neq_f32_e32 vcc_lo, v6, v3
	s_or_b32 s2, vcc_lo, s1
	s_delay_alu instid0(SALU_CYCLE_1)
	s_and_saveexec_b32 s1, s2
	s_cbranch_execz .LBB362_336
; %bb.335:
	v_sub_f32_e32 v2, v6, v3
	s_mov_b32 s2, 0x3e9b6dac
	s_delay_alu instid0(VALU_DEP_1) | instskip(SKIP_1) | instid1(VALU_DEP_2)
	v_mul_f32_e32 v6, 0x3fb8aa3b, v2
	v_cmp_ngt_f32_e32 vcc_lo, 0xc2ce8ed0, v2
	v_fma_f32 v7, 0x3fb8aa3b, v2, -v6
	v_rndne_f32_e32 v13, v6
	s_delay_alu instid0(VALU_DEP_2) | instskip(NEXT) | instid1(VALU_DEP_2)
	v_fmamk_f32 v7, v2, 0x32a5705f, v7
	v_sub_f32_e32 v6, v6, v13
	s_delay_alu instid0(VALU_DEP_1) | instskip(SKIP_1) | instid1(VALU_DEP_2)
	v_add_f32_e32 v6, v6, v7
	v_cvt_i32_f32_e32 v7, v13
	v_exp_f32_e32 v6, v6
	s_waitcnt_depctr 0xfff
	v_ldexp_f32 v6, v6, v7
	s_delay_alu instid0(VALU_DEP_1) | instskip(SKIP_1) | instid1(VALU_DEP_2)
	v_cndmask_b32_e32 v6, 0, v6, vcc_lo
	v_cmp_nlt_f32_e32 vcc_lo, 0x42b17218, v2
	v_cndmask_b32_e32 v2, 0x7f800000, v6, vcc_lo
	s_delay_alu instid0(VALU_DEP_1) | instskip(NEXT) | instid1(VALU_DEP_1)
	v_add_f32_e32 v13, 1.0, v2
	v_cvt_f64_f32_e32 v[6:7], v13
	s_delay_alu instid0(VALU_DEP_1) | instskip(SKIP_1) | instid1(VALU_DEP_1)
	v_frexp_exp_i32_f64_e32 v6, v[6:7]
	v_frexp_mant_f32_e32 v7, v13
	v_cmp_gt_f32_e32 vcc_lo, 0x3f2aaaab, v7
	v_add_f32_e32 v7, -1.0, v13
	s_delay_alu instid0(VALU_DEP_1) | instskip(NEXT) | instid1(VALU_DEP_1)
	v_sub_f32_e32 v23, v7, v13
	v_add_f32_e32 v23, 1.0, v23
	v_subrev_co_ci_u32_e32 v6, vcc_lo, 0, v6, vcc_lo
	v_cmp_eq_f32_e32 vcc_lo, 0x7f800000, v2
	s_delay_alu instid0(VALU_DEP_2) | instskip(SKIP_1) | instid1(VALU_DEP_2)
	v_sub_nc_u32_e32 v22, 0, v6
	v_cvt_f32_i32_e32 v6, v6
	v_ldexp_f32 v13, v13, v22
	s_delay_alu instid0(VALU_DEP_1) | instskip(NEXT) | instid1(VALU_DEP_1)
	v_dual_sub_f32 v7, v2, v7 :: v_dual_add_f32 v24, 1.0, v13
	v_add_f32_e32 v7, v7, v23
	s_delay_alu instid0(VALU_DEP_2) | instskip(NEXT) | instid1(VALU_DEP_2)
	v_add_f32_e32 v23, -1.0, v24
	v_ldexp_f32 v7, v7, v22
	s_delay_alu instid0(VALU_DEP_2) | instskip(NEXT) | instid1(VALU_DEP_1)
	v_dual_add_f32 v22, -1.0, v13 :: v_dual_sub_f32 v23, v13, v23
	v_add_f32_e32 v25, 1.0, v22
	s_delay_alu instid0(VALU_DEP_2) | instskip(NEXT) | instid1(VALU_DEP_2)
	v_add_f32_e32 v23, v7, v23
	v_sub_f32_e32 v13, v13, v25
	s_delay_alu instid0(VALU_DEP_1) | instskip(NEXT) | instid1(VALU_DEP_1)
	v_add_f32_e32 v7, v7, v13
	v_add_f32_e32 v34, v22, v7
	s_delay_alu instid0(VALU_DEP_1) | instskip(NEXT) | instid1(VALU_DEP_1)
	v_dual_sub_f32 v22, v22, v34 :: v_dual_add_f32 v25, v24, v23
	v_rcp_f32_e32 v13, v25
	v_sub_f32_e32 v24, v24, v25
	s_delay_alu instid0(VALU_DEP_1) | instskip(SKIP_2) | instid1(VALU_DEP_1)
	v_add_f32_e32 v23, v23, v24
	s_waitcnt_depctr 0xfff
	v_mul_f32_e32 v35, v34, v13
	v_mul_f32_e32 v50, v25, v35
	s_delay_alu instid0(VALU_DEP_1) | instskip(NEXT) | instid1(VALU_DEP_1)
	v_fma_f32 v24, v35, v25, -v50
	v_fmac_f32_e32 v24, v35, v23
	s_delay_alu instid0(VALU_DEP_1) | instskip(NEXT) | instid1(VALU_DEP_1)
	v_add_f32_e32 v51, v50, v24
	v_sub_f32_e32 v52, v34, v51
	s_delay_alu instid0(VALU_DEP_1) | instskip(SKIP_1) | instid1(VALU_DEP_2)
	v_dual_sub_f32 v34, v34, v52 :: v_dual_add_f32 v7, v7, v22
	v_sub_f32_e32 v22, v51, v50
	v_sub_f32_e32 v34, v34, v51
	s_delay_alu instid0(VALU_DEP_1) | instskip(NEXT) | instid1(VALU_DEP_1)
	v_dual_sub_f32 v22, v22, v24 :: v_dual_add_f32 v7, v7, v34
	v_add_f32_e32 v7, v22, v7
	s_delay_alu instid0(VALU_DEP_1) | instskip(NEXT) | instid1(VALU_DEP_1)
	v_add_f32_e32 v22, v52, v7
	v_mul_f32_e32 v24, v13, v22
	s_delay_alu instid0(VALU_DEP_1) | instskip(NEXT) | instid1(VALU_DEP_1)
	v_dual_sub_f32 v51, v52, v22 :: v_dual_mul_f32 v34, v25, v24
	v_add_f32_e32 v7, v7, v51
	s_delay_alu instid0(VALU_DEP_2) | instskip(NEXT) | instid1(VALU_DEP_1)
	v_fma_f32 v25, v24, v25, -v34
	v_fmac_f32_e32 v25, v24, v23
	s_delay_alu instid0(VALU_DEP_1) | instskip(NEXT) | instid1(VALU_DEP_1)
	v_add_f32_e32 v23, v34, v25
	v_sub_f32_e32 v50, v22, v23
	s_delay_alu instid0(VALU_DEP_1) | instskip(NEXT) | instid1(VALU_DEP_1)
	v_sub_f32_e32 v22, v22, v50
	v_sub_f32_e32 v22, v22, v23
	s_delay_alu instid0(VALU_DEP_1) | instskip(SKIP_2) | instid1(VALU_DEP_1)
	v_add_f32_e32 v7, v7, v22
	v_add_f32_e32 v22, v35, v24
	v_sub_f32_e32 v34, v23, v34
	v_sub_f32_e32 v23, v34, v25
	s_delay_alu instid0(VALU_DEP_1) | instskip(NEXT) | instid1(VALU_DEP_4)
	v_add_f32_e32 v7, v23, v7
	v_sub_f32_e32 v23, v22, v35
	s_delay_alu instid0(VALU_DEP_2) | instskip(NEXT) | instid1(VALU_DEP_2)
	v_add_f32_e32 v7, v50, v7
	v_sub_f32_e32 v23, v24, v23
	s_delay_alu instid0(VALU_DEP_2) | instskip(NEXT) | instid1(VALU_DEP_1)
	v_mul_f32_e32 v7, v13, v7
	v_add_f32_e32 v7, v23, v7
	s_delay_alu instid0(VALU_DEP_1) | instskip(NEXT) | instid1(VALU_DEP_1)
	v_add_f32_e32 v13, v22, v7
	v_mul_f32_e32 v23, v13, v13
	s_delay_alu instid0(VALU_DEP_1) | instskip(SKIP_2) | instid1(VALU_DEP_3)
	v_fmaak_f32 v24, s2, v23, 0x3ecc95a3
	v_mul_f32_e32 v25, v13, v23
	v_cmp_gt_f32_e64 s2, 0x33800000, |v2|
	v_fmaak_f32 v23, v23, v24, 0x3f2aaada
	v_ldexp_f32 v24, v13, 1
	s_delay_alu instid0(VALU_DEP_3) | instskip(NEXT) | instid1(VALU_DEP_2)
	s_or_b32 vcc_lo, vcc_lo, s2
	v_mul_f32_e32 v23, v25, v23
	s_delay_alu instid0(VALU_DEP_1) | instskip(NEXT) | instid1(VALU_DEP_1)
	v_dual_sub_f32 v13, v13, v22 :: v_dual_add_f32 v22, v24, v23
	v_sub_f32_e32 v7, v7, v13
	s_delay_alu instid0(VALU_DEP_2) | instskip(NEXT) | instid1(VALU_DEP_2)
	v_sub_f32_e32 v13, v22, v24
	v_ldexp_f32 v7, v7, 1
	s_delay_alu instid0(VALU_DEP_2) | instskip(NEXT) | instid1(VALU_DEP_1)
	v_sub_f32_e32 v13, v23, v13
	v_add_f32_e32 v7, v7, v13
	s_delay_alu instid0(VALU_DEP_1) | instskip(SKIP_1) | instid1(VALU_DEP_2)
	v_add_f32_e32 v23, v22, v7
	v_mul_f32_e32 v25, 0x3f317218, v6
	v_sub_f32_e32 v22, v23, v22
	s_delay_alu instid0(VALU_DEP_2) | instskip(NEXT) | instid1(VALU_DEP_1)
	v_fma_f32 v24, 0x3f317218, v6, -v25
	v_dual_sub_f32 v7, v7, v22 :: v_dual_fmamk_f32 v6, v6, 0xb102e308, v24
	s_delay_alu instid0(VALU_DEP_1) | instskip(NEXT) | instid1(VALU_DEP_1)
	v_add_f32_e32 v13, v25, v6
	v_add_f32_e32 v24, v13, v23
	v_sub_f32_e32 v25, v13, v25
	s_delay_alu instid0(VALU_DEP_2) | instskip(NEXT) | instid1(VALU_DEP_1)
	v_sub_f32_e32 v34, v24, v13
	v_dual_sub_f32 v6, v6, v25 :: v_dual_sub_f32 v35, v24, v34
	s_delay_alu instid0(VALU_DEP_1) | instskip(NEXT) | instid1(VALU_DEP_2)
	v_dual_sub_f32 v22, v23, v34 :: v_dual_add_f32 v23, v6, v7
	v_sub_f32_e32 v13, v13, v35
	s_delay_alu instid0(VALU_DEP_1) | instskip(NEXT) | instid1(VALU_DEP_1)
	v_dual_add_f32 v13, v22, v13 :: v_dual_sub_f32 v22, v23, v6
	v_add_f32_e32 v13, v23, v13
	s_delay_alu instid0(VALU_DEP_2) | instskip(SKIP_1) | instid1(VALU_DEP_2)
	v_sub_f32_e32 v23, v23, v22
	v_sub_f32_e32 v7, v7, v22
	v_dual_add_f32 v25, v24, v13 :: v_dual_sub_f32 v6, v6, v23
	s_delay_alu instid0(VALU_DEP_1) | instskip(NEXT) | instid1(VALU_DEP_2)
	v_sub_f32_e32 v22, v25, v24
	v_add_f32_e32 v6, v7, v6
	s_delay_alu instid0(VALU_DEP_2) | instskip(NEXT) | instid1(VALU_DEP_1)
	v_sub_f32_e32 v7, v13, v22
	v_add_f32_e32 v6, v6, v7
	s_delay_alu instid0(VALU_DEP_1) | instskip(NEXT) | instid1(VALU_DEP_1)
	v_add_f32_e32 v6, v25, v6
	v_cndmask_b32_e32 v2, v6, v2, vcc_lo
	s_delay_alu instid0(VALU_DEP_1) | instskip(NEXT) | instid1(VALU_DEP_1)
	v_add_f32_e32 v2, v3, v2
	v_cvt_f16_f32_e32 v35, v2
	s_delay_alu instid0(VALU_DEP_1)
	v_cvt_f32_f16_e32 v2, v35
	v_mov_b32_e32 v69, v35
.LBB362_336:
	s_or_b32 exec_lo, exec_lo, s1
	s_delay_alu instid0(VALU_DEP_2) | instskip(SKIP_1) | instid1(VALU_DEP_2)
	v_dual_max_f32 v3, v49, v49 :: v_dual_max_f32 v6, v2, v2
	v_cmp_u_f16_e32 vcc_lo, v35, v35
	v_dual_mov_b32 v70, v69 :: v_dual_min_f32 v7, v6, v3
	s_delay_alu instid0(VALU_DEP_1) | instskip(NEXT) | instid1(VALU_DEP_1)
	v_dual_max_f32 v3, v6, v3 :: v_dual_cndmask_b32 v6, v7, v2
	v_cndmask_b32_e32 v3, v3, v2, vcc_lo
	s_delay_alu instid0(VALU_DEP_2) | instskip(NEXT) | instid1(VALU_DEP_2)
	v_cndmask_b32_e64 v6, v6, v49, s12
	v_cndmask_b32_e64 v3, v3, v49, s12
	s_delay_alu instid0(VALU_DEP_2) | instskip(NEXT) | instid1(VALU_DEP_2)
	v_cmp_class_f32_e64 s1, v6, 0x1f8
	v_cmp_neq_f32_e32 vcc_lo, v6, v3
	s_delay_alu instid0(VALU_DEP_2) | instskip(NEXT) | instid1(SALU_CYCLE_1)
	s_or_b32 s2, vcc_lo, s1
	s_and_saveexec_b32 s1, s2
	s_cbranch_execz .LBB362_338
; %bb.337:
	v_sub_f32_e32 v2, v6, v3
	s_mov_b32 s2, 0x3e9b6dac
	s_delay_alu instid0(VALU_DEP_1) | instskip(SKIP_1) | instid1(VALU_DEP_2)
	v_mul_f32_e32 v6, 0x3fb8aa3b, v2
	v_cmp_ngt_f32_e32 vcc_lo, 0xc2ce8ed0, v2
	v_fma_f32 v7, 0x3fb8aa3b, v2, -v6
	v_rndne_f32_e32 v13, v6
	s_delay_alu instid0(VALU_DEP_2) | instskip(NEXT) | instid1(VALU_DEP_2)
	v_fmamk_f32 v7, v2, 0x32a5705f, v7
	v_sub_f32_e32 v6, v6, v13
	s_delay_alu instid0(VALU_DEP_1) | instskip(SKIP_1) | instid1(VALU_DEP_2)
	v_add_f32_e32 v6, v6, v7
	v_cvt_i32_f32_e32 v7, v13
	v_exp_f32_e32 v6, v6
	s_waitcnt_depctr 0xfff
	v_ldexp_f32 v6, v6, v7
	s_delay_alu instid0(VALU_DEP_1) | instskip(SKIP_1) | instid1(VALU_DEP_2)
	v_cndmask_b32_e32 v6, 0, v6, vcc_lo
	v_cmp_nlt_f32_e32 vcc_lo, 0x42b17218, v2
	v_cndmask_b32_e32 v2, 0x7f800000, v6, vcc_lo
	s_delay_alu instid0(VALU_DEP_1) | instskip(NEXT) | instid1(VALU_DEP_1)
	v_add_f32_e32 v13, 1.0, v2
	v_cvt_f64_f32_e32 v[6:7], v13
	s_delay_alu instid0(VALU_DEP_1) | instskip(SKIP_1) | instid1(VALU_DEP_1)
	v_frexp_exp_i32_f64_e32 v6, v[6:7]
	v_frexp_mant_f32_e32 v7, v13
	v_cmp_gt_f32_e32 vcc_lo, 0x3f2aaaab, v7
	v_add_f32_e32 v7, -1.0, v13
	s_delay_alu instid0(VALU_DEP_1) | instskip(NEXT) | instid1(VALU_DEP_1)
	v_sub_f32_e32 v23, v7, v13
	v_add_f32_e32 v23, 1.0, v23
	v_subrev_co_ci_u32_e32 v6, vcc_lo, 0, v6, vcc_lo
	v_cmp_eq_f32_e32 vcc_lo, 0x7f800000, v2
	s_delay_alu instid0(VALU_DEP_2) | instskip(SKIP_1) | instid1(VALU_DEP_2)
	v_sub_nc_u32_e32 v22, 0, v6
	v_cvt_f32_i32_e32 v6, v6
	v_ldexp_f32 v13, v13, v22
	s_delay_alu instid0(VALU_DEP_1) | instskip(NEXT) | instid1(VALU_DEP_1)
	v_dual_sub_f32 v7, v2, v7 :: v_dual_add_f32 v24, 1.0, v13
	v_add_f32_e32 v7, v7, v23
	s_delay_alu instid0(VALU_DEP_2) | instskip(NEXT) | instid1(VALU_DEP_2)
	v_add_f32_e32 v23, -1.0, v24
	v_ldexp_f32 v7, v7, v22
	s_delay_alu instid0(VALU_DEP_2) | instskip(NEXT) | instid1(VALU_DEP_1)
	v_dual_add_f32 v22, -1.0, v13 :: v_dual_sub_f32 v23, v13, v23
	v_add_f32_e32 v25, 1.0, v22
	s_delay_alu instid0(VALU_DEP_2) | instskip(NEXT) | instid1(VALU_DEP_2)
	v_add_f32_e32 v23, v7, v23
	v_sub_f32_e32 v13, v13, v25
	s_delay_alu instid0(VALU_DEP_1) | instskip(NEXT) | instid1(VALU_DEP_1)
	v_add_f32_e32 v7, v7, v13
	v_add_f32_e32 v34, v22, v7
	s_delay_alu instid0(VALU_DEP_1) | instskip(NEXT) | instid1(VALU_DEP_1)
	v_dual_add_f32 v25, v24, v23 :: v_dual_sub_f32 v22, v22, v34
	v_rcp_f32_e32 v13, v25
	v_sub_f32_e32 v24, v24, v25
	s_waitcnt_depctr 0xfff
	v_mul_f32_e32 v35, v34, v13
	s_delay_alu instid0(VALU_DEP_1) | instskip(SKIP_1) | instid1(VALU_DEP_2)
	v_mul_f32_e32 v49, v25, v35
	v_add_f32_e32 v23, v23, v24
	v_fma_f32 v24, v35, v25, -v49
	s_delay_alu instid0(VALU_DEP_1) | instskip(NEXT) | instid1(VALU_DEP_1)
	v_fmac_f32_e32 v24, v35, v23
	v_add_f32_e32 v50, v49, v24
	s_delay_alu instid0(VALU_DEP_1) | instskip(NEXT) | instid1(VALU_DEP_1)
	v_sub_f32_e32 v51, v34, v50
	v_dual_sub_f32 v34, v34, v51 :: v_dual_add_f32 v7, v7, v22
	s_delay_alu instid0(VALU_DEP_1) | instskip(SKIP_1) | instid1(VALU_DEP_1)
	v_sub_f32_e32 v34, v34, v50
	v_sub_f32_e32 v22, v50, v49
	v_dual_sub_f32 v22, v22, v24 :: v_dual_add_f32 v7, v7, v34
	s_delay_alu instid0(VALU_DEP_1) | instskip(NEXT) | instid1(VALU_DEP_1)
	v_add_f32_e32 v7, v22, v7
	v_add_f32_e32 v22, v51, v7
	s_delay_alu instid0(VALU_DEP_1) | instskip(NEXT) | instid1(VALU_DEP_1)
	v_mul_f32_e32 v24, v13, v22
	v_mul_f32_e32 v34, v25, v24
	v_sub_f32_e32 v50, v51, v22
	s_delay_alu instid0(VALU_DEP_2) | instskip(NEXT) | instid1(VALU_DEP_1)
	v_fma_f32 v25, v24, v25, -v34
	v_fmac_f32_e32 v25, v24, v23
	s_delay_alu instid0(VALU_DEP_1) | instskip(NEXT) | instid1(VALU_DEP_1)
	v_add_f32_e32 v23, v34, v25
	v_sub_f32_e32 v49, v22, v23
	s_delay_alu instid0(VALU_DEP_1) | instskip(NEXT) | instid1(VALU_DEP_1)
	v_dual_sub_f32 v22, v22, v49 :: v_dual_add_f32 v7, v7, v50
	v_sub_f32_e32 v22, v22, v23
	s_delay_alu instid0(VALU_DEP_1) | instskip(SKIP_2) | instid1(VALU_DEP_1)
	v_add_f32_e32 v7, v7, v22
	v_add_f32_e32 v22, v35, v24
	v_sub_f32_e32 v34, v23, v34
	v_sub_f32_e32 v23, v34, v25
	s_delay_alu instid0(VALU_DEP_1) | instskip(NEXT) | instid1(VALU_DEP_4)
	v_add_f32_e32 v7, v23, v7
	v_sub_f32_e32 v23, v22, v35
	s_delay_alu instid0(VALU_DEP_2) | instskip(NEXT) | instid1(VALU_DEP_2)
	v_add_f32_e32 v7, v49, v7
	v_sub_f32_e32 v23, v24, v23
	s_delay_alu instid0(VALU_DEP_2) | instskip(NEXT) | instid1(VALU_DEP_1)
	v_mul_f32_e32 v7, v13, v7
	v_add_f32_e32 v7, v23, v7
	s_delay_alu instid0(VALU_DEP_1) | instskip(NEXT) | instid1(VALU_DEP_1)
	v_add_f32_e32 v13, v22, v7
	v_mul_f32_e32 v23, v13, v13
	s_delay_alu instid0(VALU_DEP_1) | instskip(SKIP_1) | instid1(VALU_DEP_1)
	v_fmaak_f32 v24, s2, v23, 0x3ecc95a3
	v_cmp_gt_f32_e64 s2, 0x33800000, |v2|
	s_or_b32 vcc_lo, vcc_lo, s2
	v_mul_f32_e32 v25, v13, v23
	s_delay_alu instid0(VALU_DEP_3) | instskip(SKIP_1) | instid1(VALU_DEP_2)
	v_fmaak_f32 v23, v23, v24, 0x3f2aaada
	v_ldexp_f32 v24, v13, 1
	v_mul_f32_e32 v23, v25, v23
	s_delay_alu instid0(VALU_DEP_1) | instskip(NEXT) | instid1(VALU_DEP_1)
	v_dual_sub_f32 v13, v13, v22 :: v_dual_add_f32 v22, v24, v23
	v_sub_f32_e32 v7, v7, v13
	s_delay_alu instid0(VALU_DEP_2) | instskip(NEXT) | instid1(VALU_DEP_2)
	v_sub_f32_e32 v13, v22, v24
	v_ldexp_f32 v7, v7, 1
	s_delay_alu instid0(VALU_DEP_2) | instskip(NEXT) | instid1(VALU_DEP_1)
	v_sub_f32_e32 v13, v23, v13
	v_add_f32_e32 v7, v7, v13
	s_delay_alu instid0(VALU_DEP_1) | instskip(SKIP_1) | instid1(VALU_DEP_2)
	v_add_f32_e32 v23, v22, v7
	v_mul_f32_e32 v25, 0x3f317218, v6
	v_sub_f32_e32 v22, v23, v22
	s_delay_alu instid0(VALU_DEP_2) | instskip(NEXT) | instid1(VALU_DEP_1)
	v_fma_f32 v24, 0x3f317218, v6, -v25
	v_dual_sub_f32 v7, v7, v22 :: v_dual_fmamk_f32 v6, v6, 0xb102e308, v24
	s_delay_alu instid0(VALU_DEP_1) | instskip(NEXT) | instid1(VALU_DEP_1)
	v_add_f32_e32 v13, v25, v6
	v_add_f32_e32 v24, v13, v23
	v_sub_f32_e32 v25, v13, v25
	s_delay_alu instid0(VALU_DEP_2) | instskip(NEXT) | instid1(VALU_DEP_1)
	v_sub_f32_e32 v34, v24, v13
	v_dual_sub_f32 v6, v6, v25 :: v_dual_sub_f32 v35, v24, v34
	s_delay_alu instid0(VALU_DEP_1) | instskip(NEXT) | instid1(VALU_DEP_2)
	v_dual_sub_f32 v22, v23, v34 :: v_dual_add_f32 v23, v6, v7
	v_sub_f32_e32 v13, v13, v35
	s_delay_alu instid0(VALU_DEP_1) | instskip(NEXT) | instid1(VALU_DEP_1)
	v_dual_add_f32 v13, v22, v13 :: v_dual_sub_f32 v22, v23, v6
	v_add_f32_e32 v13, v23, v13
	s_delay_alu instid0(VALU_DEP_2) | instskip(SKIP_1) | instid1(VALU_DEP_2)
	v_sub_f32_e32 v23, v23, v22
	v_sub_f32_e32 v7, v7, v22
	v_dual_add_f32 v25, v24, v13 :: v_dual_sub_f32 v6, v6, v23
	s_delay_alu instid0(VALU_DEP_1) | instskip(NEXT) | instid1(VALU_DEP_2)
	v_sub_f32_e32 v22, v25, v24
	v_add_f32_e32 v6, v7, v6
	s_delay_alu instid0(VALU_DEP_2) | instskip(NEXT) | instid1(VALU_DEP_1)
	v_sub_f32_e32 v7, v13, v22
	v_add_f32_e32 v6, v6, v7
	s_delay_alu instid0(VALU_DEP_1) | instskip(NEXT) | instid1(VALU_DEP_1)
	v_add_f32_e32 v6, v25, v6
	v_cndmask_b32_e32 v2, v6, v2, vcc_lo
	s_delay_alu instid0(VALU_DEP_1) | instskip(NEXT) | instid1(VALU_DEP_1)
	v_add_f32_e32 v2, v3, v2
	v_cvt_f16_f32_e32 v35, v2
	s_delay_alu instid0(VALU_DEP_1)
	v_cvt_f32_f16_e32 v2, v35
	v_mov_b32_e32 v70, v35
.LBB362_338:
	s_or_b32 exec_lo, exec_lo, s1
	s_delay_alu instid0(VALU_DEP_2) | instskip(SKIP_1) | instid1(VALU_DEP_3)
	v_dual_max_f32 v3, v20, v20 :: v_dual_max_f32 v6, v2, v2
	v_cmp_u_f16_e32 vcc_lo, v35, v35
	v_mov_b32_e32 v71, v70
	s_delay_alu instid0(VALU_DEP_3) | instskip(NEXT) | instid1(VALU_DEP_1)
	v_min_f32_e32 v7, v6, v3
	v_dual_max_f32 v3, v6, v3 :: v_dual_cndmask_b32 v6, v7, v2
	s_delay_alu instid0(VALU_DEP_1) | instskip(NEXT) | instid1(VALU_DEP_2)
	v_cndmask_b32_e32 v3, v3, v2, vcc_lo
	v_cndmask_b32_e64 v6, v6, v20, s13
	s_delay_alu instid0(VALU_DEP_2) | instskip(NEXT) | instid1(VALU_DEP_2)
	v_cndmask_b32_e64 v3, v3, v20, s13
	v_cmp_class_f32_e64 s1, v6, 0x1f8
	s_delay_alu instid0(VALU_DEP_2) | instskip(NEXT) | instid1(VALU_DEP_2)
	v_cmp_neq_f32_e32 vcc_lo, v6, v3
	s_or_b32 s2, vcc_lo, s1
	s_delay_alu instid0(SALU_CYCLE_1)
	s_and_saveexec_b32 s1, s2
	s_cbranch_execz .LBB362_340
; %bb.339:
	v_sub_f32_e32 v2, v6, v3
	s_mov_b32 s2, 0x3e9b6dac
	s_delay_alu instid0(VALU_DEP_1) | instskip(SKIP_1) | instid1(VALU_DEP_2)
	v_mul_f32_e32 v6, 0x3fb8aa3b, v2
	v_cmp_ngt_f32_e32 vcc_lo, 0xc2ce8ed0, v2
	v_fma_f32 v7, 0x3fb8aa3b, v2, -v6
	v_rndne_f32_e32 v13, v6
	s_delay_alu instid0(VALU_DEP_2) | instskip(NEXT) | instid1(VALU_DEP_2)
	v_fmamk_f32 v7, v2, 0x32a5705f, v7
	v_sub_f32_e32 v6, v6, v13
	s_delay_alu instid0(VALU_DEP_1) | instskip(SKIP_1) | instid1(VALU_DEP_2)
	v_add_f32_e32 v6, v6, v7
	v_cvt_i32_f32_e32 v7, v13
	v_exp_f32_e32 v6, v6
	s_waitcnt_depctr 0xfff
	v_ldexp_f32 v6, v6, v7
	s_delay_alu instid0(VALU_DEP_1) | instskip(SKIP_1) | instid1(VALU_DEP_2)
	v_cndmask_b32_e32 v6, 0, v6, vcc_lo
	v_cmp_nlt_f32_e32 vcc_lo, 0x42b17218, v2
	v_cndmask_b32_e32 v2, 0x7f800000, v6, vcc_lo
	s_delay_alu instid0(VALU_DEP_1) | instskip(NEXT) | instid1(VALU_DEP_1)
	v_add_f32_e32 v13, 1.0, v2
	v_cvt_f64_f32_e32 v[6:7], v13
	s_delay_alu instid0(VALU_DEP_1) | instskip(SKIP_1) | instid1(VALU_DEP_1)
	v_frexp_exp_i32_f64_e32 v6, v[6:7]
	v_frexp_mant_f32_e32 v7, v13
	v_cmp_gt_f32_e32 vcc_lo, 0x3f2aaaab, v7
	v_add_f32_e32 v7, -1.0, v13
	s_delay_alu instid0(VALU_DEP_1) | instskip(NEXT) | instid1(VALU_DEP_1)
	v_dual_sub_f32 v22, v7, v13 :: v_dual_sub_f32 v7, v2, v7
	v_add_f32_e32 v22, 1.0, v22
	v_subrev_co_ci_u32_e32 v6, vcc_lo, 0, v6, vcc_lo
	s_delay_alu instid0(VALU_DEP_1) | instskip(SKIP_1) | instid1(VALU_DEP_2)
	v_sub_nc_u32_e32 v20, 0, v6
	v_cvt_f32_i32_e32 v6, v6
	v_ldexp_f32 v13, v13, v20
	s_delay_alu instid0(VALU_DEP_1) | instskip(NEXT) | instid1(VALU_DEP_1)
	v_add_f32_e32 v23, 1.0, v13
	v_dual_add_f32 v7, v7, v22 :: v_dual_add_f32 v22, -1.0, v23
	s_delay_alu instid0(VALU_DEP_1) | instskip(SKIP_1) | instid1(VALU_DEP_3)
	v_ldexp_f32 v7, v7, v20
	v_add_f32_e32 v20, -1.0, v13
	v_sub_f32_e32 v22, v13, v22
	s_delay_alu instid0(VALU_DEP_2) | instskip(NEXT) | instid1(VALU_DEP_1)
	v_add_f32_e32 v24, 1.0, v20
	v_dual_add_f32 v22, v7, v22 :: v_dual_sub_f32 v13, v13, v24
	v_cmp_eq_f32_e32 vcc_lo, 0x7f800000, v2
	s_delay_alu instid0(VALU_DEP_2) | instskip(NEXT) | instid1(VALU_DEP_3)
	v_add_f32_e32 v24, v23, v22
	v_add_f32_e32 v7, v7, v13
	s_delay_alu instid0(VALU_DEP_2) | instskip(SKIP_1) | instid1(VALU_DEP_2)
	v_rcp_f32_e32 v13, v24
	v_sub_f32_e32 v23, v23, v24
	v_add_f32_e32 v25, v20, v7
	s_delay_alu instid0(VALU_DEP_2) | instskip(NEXT) | instid1(VALU_DEP_2)
	v_add_f32_e32 v22, v22, v23
	v_sub_f32_e32 v20, v20, v25
	s_waitcnt_depctr 0xfff
	v_dual_mul_f32 v34, v25, v13 :: v_dual_add_f32 v7, v7, v20
	s_delay_alu instid0(VALU_DEP_1) | instskip(NEXT) | instid1(VALU_DEP_1)
	v_mul_f32_e32 v35, v24, v34
	v_fma_f32 v23, v34, v24, -v35
	s_delay_alu instid0(VALU_DEP_1) | instskip(NEXT) | instid1(VALU_DEP_1)
	v_fmac_f32_e32 v23, v34, v22
	v_add_f32_e32 v49, v35, v23
	s_delay_alu instid0(VALU_DEP_1) | instskip(NEXT) | instid1(VALU_DEP_1)
	v_sub_f32_e32 v50, v25, v49
	v_sub_f32_e32 v25, v25, v50
	s_delay_alu instid0(VALU_DEP_1) | instskip(NEXT) | instid1(VALU_DEP_1)
	v_sub_f32_e32 v25, v25, v49
	v_dual_sub_f32 v20, v49, v35 :: v_dual_add_f32 v7, v7, v25
	s_delay_alu instid0(VALU_DEP_1) | instskip(NEXT) | instid1(VALU_DEP_1)
	v_sub_f32_e32 v20, v20, v23
	v_add_f32_e32 v7, v20, v7
	s_delay_alu instid0(VALU_DEP_1) | instskip(NEXT) | instid1(VALU_DEP_1)
	v_add_f32_e32 v20, v50, v7
	v_mul_f32_e32 v23, v13, v20
	s_delay_alu instid0(VALU_DEP_1) | instskip(SKIP_1) | instid1(VALU_DEP_2)
	v_mul_f32_e32 v25, v24, v23
	v_sub_f32_e32 v49, v50, v20
	v_fma_f32 v24, v23, v24, -v25
	s_delay_alu instid0(VALU_DEP_2) | instskip(NEXT) | instid1(VALU_DEP_2)
	v_add_f32_e32 v7, v7, v49
	v_fmac_f32_e32 v24, v23, v22
	s_delay_alu instid0(VALU_DEP_1) | instskip(NEXT) | instid1(VALU_DEP_1)
	v_add_f32_e32 v22, v25, v24
	v_sub_f32_e32 v25, v22, v25
	v_sub_f32_e32 v35, v20, v22
	s_delay_alu instid0(VALU_DEP_1) | instskip(NEXT) | instid1(VALU_DEP_1)
	v_sub_f32_e32 v20, v20, v35
	v_sub_f32_e32 v20, v20, v22
	s_delay_alu instid0(VALU_DEP_4) | instskip(NEXT) | instid1(VALU_DEP_2)
	v_sub_f32_e32 v22, v25, v24
	v_dual_add_f32 v7, v7, v20 :: v_dual_add_f32 v20, v34, v23
	s_delay_alu instid0(VALU_DEP_1) | instskip(NEXT) | instid1(VALU_DEP_1)
	v_dual_add_f32 v7, v22, v7 :: v_dual_sub_f32 v22, v20, v34
	v_add_f32_e32 v7, v35, v7
	s_delay_alu instid0(VALU_DEP_1) | instskip(NEXT) | instid1(VALU_DEP_1)
	v_dual_sub_f32 v22, v23, v22 :: v_dual_mul_f32 v7, v13, v7
	v_add_f32_e32 v7, v22, v7
	s_delay_alu instid0(VALU_DEP_1) | instskip(NEXT) | instid1(VALU_DEP_1)
	v_add_f32_e32 v13, v20, v7
	v_mul_f32_e32 v22, v13, v13
	s_delay_alu instid0(VALU_DEP_1) | instskip(SKIP_2) | instid1(VALU_DEP_3)
	v_fmaak_f32 v23, s2, v22, 0x3ecc95a3
	v_mul_f32_e32 v24, v13, v22
	v_cmp_gt_f32_e64 s2, 0x33800000, |v2|
	v_fmaak_f32 v22, v22, v23, 0x3f2aaada
	v_ldexp_f32 v23, v13, 1
	v_sub_f32_e32 v13, v13, v20
	s_delay_alu instid0(VALU_DEP_4) | instskip(NEXT) | instid1(VALU_DEP_1)
	s_or_b32 vcc_lo, vcc_lo, s2
	v_sub_f32_e32 v7, v7, v13
	s_delay_alu instid0(VALU_DEP_1) | instskip(SKIP_1) | instid1(VALU_DEP_1)
	v_ldexp_f32 v7, v7, 1
	v_mul_f32_e32 v22, v24, v22
	v_add_f32_e32 v20, v23, v22
	s_delay_alu instid0(VALU_DEP_1) | instskip(NEXT) | instid1(VALU_DEP_1)
	v_dual_mul_f32 v24, 0x3f317218, v6 :: v_dual_sub_f32 v13, v20, v23
	v_fma_f32 v23, 0x3f317218, v6, -v24
	s_delay_alu instid0(VALU_DEP_2) | instskip(NEXT) | instid1(VALU_DEP_1)
	v_sub_f32_e32 v13, v22, v13
	v_add_f32_e32 v7, v7, v13
	s_delay_alu instid0(VALU_DEP_1) | instskip(NEXT) | instid1(VALU_DEP_4)
	v_add_f32_e32 v22, v20, v7
	v_fmamk_f32 v6, v6, 0xb102e308, v23
	s_delay_alu instid0(VALU_DEP_1) | instskip(NEXT) | instid1(VALU_DEP_1)
	v_dual_sub_f32 v20, v22, v20 :: v_dual_add_f32 v13, v24, v6
	v_add_f32_e32 v23, v13, v22
	s_delay_alu instid0(VALU_DEP_1) | instskip(NEXT) | instid1(VALU_DEP_1)
	v_dual_sub_f32 v24, v13, v24 :: v_dual_sub_f32 v25, v23, v13
	v_dual_sub_f32 v7, v7, v20 :: v_dual_sub_f32 v20, v22, v25
	v_sub_f32_e32 v34, v23, v25
	s_delay_alu instid0(VALU_DEP_1) | instskip(NEXT) | instid1(VALU_DEP_1)
	v_dual_sub_f32 v6, v6, v24 :: v_dual_sub_f32 v13, v13, v34
	v_dual_add_f32 v22, v6, v7 :: v_dual_add_f32 v13, v20, v13
	s_delay_alu instid0(VALU_DEP_1) | instskip(NEXT) | instid1(VALU_DEP_2)
	v_sub_f32_e32 v20, v22, v6
	v_add_f32_e32 v13, v22, v13
	s_delay_alu instid0(VALU_DEP_2) | instskip(SKIP_1) | instid1(VALU_DEP_3)
	v_sub_f32_e32 v22, v22, v20
	v_sub_f32_e32 v7, v7, v20
	v_add_f32_e32 v24, v23, v13
	s_delay_alu instid0(VALU_DEP_3) | instskip(NEXT) | instid1(VALU_DEP_2)
	v_sub_f32_e32 v6, v6, v22
	v_sub_f32_e32 v20, v24, v23
	s_delay_alu instid0(VALU_DEP_1) | instskip(NEXT) | instid1(VALU_DEP_1)
	v_dual_add_f32 v6, v7, v6 :: v_dual_sub_f32 v7, v13, v20
	v_add_f32_e32 v6, v6, v7
	s_delay_alu instid0(VALU_DEP_1) | instskip(NEXT) | instid1(VALU_DEP_1)
	v_add_f32_e32 v6, v24, v6
	v_cndmask_b32_e32 v2, v6, v2, vcc_lo
	s_delay_alu instid0(VALU_DEP_1) | instskip(NEXT) | instid1(VALU_DEP_1)
	v_add_f32_e32 v2, v3, v2
	v_cvt_f16_f32_e32 v35, v2
	s_delay_alu instid0(VALU_DEP_1)
	v_cvt_f32_f16_e32 v2, v35
	v_mov_b32_e32 v71, v35
.LBB362_340:
	s_or_b32 exec_lo, exec_lo, s1
	s_delay_alu instid0(VALU_DEP_2) | instskip(SKIP_1) | instid1(VALU_DEP_2)
	v_dual_max_f32 v3, v48, v48 :: v_dual_max_f32 v6, v2, v2
	v_cmp_u_f16_e32 vcc_lo, v35, v35
	v_dual_mov_b32 v80, v71 :: v_dual_min_f32 v7, v6, v3
	s_delay_alu instid0(VALU_DEP_1) | instskip(NEXT) | instid1(VALU_DEP_1)
	v_dual_max_f32 v3, v6, v3 :: v_dual_cndmask_b32 v6, v7, v2
	v_cndmask_b32_e32 v3, v3, v2, vcc_lo
	s_delay_alu instid0(VALU_DEP_2) | instskip(NEXT) | instid1(VALU_DEP_2)
	v_cndmask_b32_e64 v6, v6, v48, s14
	v_cndmask_b32_e64 v3, v3, v48, s14
	s_delay_alu instid0(VALU_DEP_2) | instskip(NEXT) | instid1(VALU_DEP_2)
	v_cmp_class_f32_e64 s1, v6, 0x1f8
	v_cmp_neq_f32_e32 vcc_lo, v6, v3
	s_delay_alu instid0(VALU_DEP_2) | instskip(NEXT) | instid1(SALU_CYCLE_1)
	s_or_b32 s2, vcc_lo, s1
	s_and_saveexec_b32 s1, s2
	s_cbranch_execz .LBB362_342
; %bb.341:
	v_sub_f32_e32 v2, v6, v3
	s_mov_b32 s2, 0x3e9b6dac
	s_delay_alu instid0(VALU_DEP_1) | instskip(SKIP_1) | instid1(VALU_DEP_2)
	v_mul_f32_e32 v6, 0x3fb8aa3b, v2
	v_cmp_ngt_f32_e32 vcc_lo, 0xc2ce8ed0, v2
	v_fma_f32 v7, 0x3fb8aa3b, v2, -v6
	v_rndne_f32_e32 v13, v6
	s_delay_alu instid0(VALU_DEP_2) | instskip(NEXT) | instid1(VALU_DEP_2)
	v_fmamk_f32 v7, v2, 0x32a5705f, v7
	v_sub_f32_e32 v6, v6, v13
	s_delay_alu instid0(VALU_DEP_1) | instskip(SKIP_1) | instid1(VALU_DEP_2)
	v_add_f32_e32 v6, v6, v7
	v_cvt_i32_f32_e32 v7, v13
	v_exp_f32_e32 v6, v6
	s_waitcnt_depctr 0xfff
	v_ldexp_f32 v6, v6, v7
	s_delay_alu instid0(VALU_DEP_1) | instskip(SKIP_1) | instid1(VALU_DEP_2)
	v_cndmask_b32_e32 v6, 0, v6, vcc_lo
	v_cmp_nlt_f32_e32 vcc_lo, 0x42b17218, v2
	v_cndmask_b32_e32 v2, 0x7f800000, v6, vcc_lo
	s_delay_alu instid0(VALU_DEP_1) | instskip(NEXT) | instid1(VALU_DEP_1)
	v_add_f32_e32 v13, 1.0, v2
	v_cvt_f64_f32_e32 v[6:7], v13
	s_delay_alu instid0(VALU_DEP_1) | instskip(SKIP_1) | instid1(VALU_DEP_1)
	v_frexp_exp_i32_f64_e32 v6, v[6:7]
	v_frexp_mant_f32_e32 v7, v13
	v_cmp_gt_f32_e32 vcc_lo, 0x3f2aaaab, v7
	v_add_f32_e32 v7, -1.0, v13
	s_delay_alu instid0(VALU_DEP_1) | instskip(NEXT) | instid1(VALU_DEP_1)
	v_dual_sub_f32 v22, v7, v13 :: v_dual_sub_f32 v7, v2, v7
	v_add_f32_e32 v22, 1.0, v22
	v_subrev_co_ci_u32_e32 v6, vcc_lo, 0, v6, vcc_lo
	s_delay_alu instid0(VALU_DEP_1) | instskip(SKIP_1) | instid1(VALU_DEP_2)
	v_sub_nc_u32_e32 v20, 0, v6
	v_cvt_f32_i32_e32 v6, v6
	v_ldexp_f32 v13, v13, v20
	s_delay_alu instid0(VALU_DEP_1) | instskip(NEXT) | instid1(VALU_DEP_1)
	v_add_f32_e32 v23, 1.0, v13
	v_dual_add_f32 v7, v7, v22 :: v_dual_add_f32 v22, -1.0, v23
	s_delay_alu instid0(VALU_DEP_1) | instskip(SKIP_1) | instid1(VALU_DEP_3)
	v_ldexp_f32 v7, v7, v20
	v_add_f32_e32 v20, -1.0, v13
	v_sub_f32_e32 v22, v13, v22
	s_delay_alu instid0(VALU_DEP_2) | instskip(NEXT) | instid1(VALU_DEP_1)
	v_add_f32_e32 v24, 1.0, v20
	v_dual_add_f32 v22, v7, v22 :: v_dual_sub_f32 v13, v13, v24
	v_cmp_eq_f32_e32 vcc_lo, 0x7f800000, v2
	s_delay_alu instid0(VALU_DEP_2) | instskip(NEXT) | instid1(VALU_DEP_3)
	v_add_f32_e32 v24, v23, v22
	v_add_f32_e32 v7, v7, v13
	s_delay_alu instid0(VALU_DEP_2) | instskip(SKIP_1) | instid1(VALU_DEP_2)
	v_rcp_f32_e32 v13, v24
	v_sub_f32_e32 v23, v23, v24
	v_add_f32_e32 v25, v20, v7
	s_delay_alu instid0(VALU_DEP_2) | instskip(SKIP_2) | instid1(VALU_DEP_1)
	v_add_f32_e32 v22, v22, v23
	s_waitcnt_depctr 0xfff
	v_mul_f32_e32 v34, v25, v13
	v_mul_f32_e32 v35, v24, v34
	s_delay_alu instid0(VALU_DEP_1) | instskip(NEXT) | instid1(VALU_DEP_1)
	v_fma_f32 v23, v34, v24, -v35
	v_fmac_f32_e32 v23, v34, v22
	s_delay_alu instid0(VALU_DEP_1) | instskip(NEXT) | instid1(VALU_DEP_1)
	v_add_f32_e32 v48, v35, v23
	v_dual_sub_f32 v20, v20, v25 :: v_dual_sub_f32 v49, v25, v48
	s_delay_alu instid0(VALU_DEP_1) | instskip(NEXT) | instid1(VALU_DEP_1)
	v_sub_f32_e32 v25, v25, v49
	v_sub_f32_e32 v25, v25, v48
	s_delay_alu instid0(VALU_DEP_3) | instskip(NEXT) | instid1(VALU_DEP_1)
	v_dual_add_f32 v7, v7, v20 :: v_dual_sub_f32 v20, v48, v35
	v_dual_add_f32 v7, v7, v25 :: v_dual_sub_f32 v20, v20, v23
	s_delay_alu instid0(VALU_DEP_1) | instskip(NEXT) | instid1(VALU_DEP_1)
	v_add_f32_e32 v7, v20, v7
	v_add_f32_e32 v20, v49, v7
	s_delay_alu instid0(VALU_DEP_1) | instskip(NEXT) | instid1(VALU_DEP_1)
	v_mul_f32_e32 v23, v13, v20
	v_mul_f32_e32 v25, v24, v23
	s_delay_alu instid0(VALU_DEP_1) | instskip(NEXT) | instid1(VALU_DEP_1)
	v_fma_f32 v24, v23, v24, -v25
	v_fmac_f32_e32 v24, v23, v22
	s_delay_alu instid0(VALU_DEP_1) | instskip(NEXT) | instid1(VALU_DEP_1)
	v_add_f32_e32 v22, v25, v24
	v_sub_f32_e32 v25, v22, v25
	v_dual_sub_f32 v35, v20, v22 :: v_dual_sub_f32 v48, v49, v20
	s_delay_alu instid0(VALU_DEP_1) | instskip(NEXT) | instid1(VALU_DEP_1)
	v_dual_sub_f32 v20, v20, v35 :: v_dual_add_f32 v7, v7, v48
	v_sub_f32_e32 v20, v20, v22
	s_delay_alu instid0(VALU_DEP_1) | instskip(SKIP_1) | instid1(VALU_DEP_1)
	v_dual_add_f32 v7, v7, v20 :: v_dual_add_f32 v20, v34, v23
	v_sub_f32_e32 v22, v25, v24
	v_add_f32_e32 v7, v22, v7
	s_delay_alu instid0(VALU_DEP_1) | instskip(NEXT) | instid1(VALU_DEP_1)
	v_dual_add_f32 v7, v35, v7 :: v_dual_sub_f32 v22, v20, v34
	v_dual_mul_f32 v7, v13, v7 :: v_dual_sub_f32 v22, v23, v22
	s_delay_alu instid0(VALU_DEP_1) | instskip(NEXT) | instid1(VALU_DEP_1)
	v_add_f32_e32 v7, v22, v7
	v_add_f32_e32 v13, v20, v7
	s_delay_alu instid0(VALU_DEP_1) | instskip(NEXT) | instid1(VALU_DEP_1)
	v_mul_f32_e32 v22, v13, v13
	v_fmaak_f32 v23, s2, v22, 0x3ecc95a3
	v_mul_f32_e32 v24, v13, v22
	v_cmp_gt_f32_e64 s2, 0x33800000, |v2|
	s_delay_alu instid0(VALU_DEP_3) | instskip(SKIP_2) | instid1(VALU_DEP_4)
	v_fmaak_f32 v22, v22, v23, 0x3f2aaada
	v_ldexp_f32 v23, v13, 1
	v_sub_f32_e32 v13, v13, v20
	s_or_b32 vcc_lo, vcc_lo, s2
	s_delay_alu instid0(VALU_DEP_1) | instskip(NEXT) | instid1(VALU_DEP_1)
	v_dual_sub_f32 v7, v7, v13 :: v_dual_mul_f32 v22, v24, v22
	v_ldexp_f32 v7, v7, 1
	s_delay_alu instid0(VALU_DEP_2) | instskip(NEXT) | instid1(VALU_DEP_1)
	v_add_f32_e32 v20, v23, v22
	v_dual_mul_f32 v24, 0x3f317218, v6 :: v_dual_sub_f32 v13, v20, v23
	s_delay_alu instid0(VALU_DEP_1) | instskip(NEXT) | instid1(VALU_DEP_2)
	v_fma_f32 v23, 0x3f317218, v6, -v24
	v_sub_f32_e32 v13, v22, v13
	s_delay_alu instid0(VALU_DEP_1) | instskip(NEXT) | instid1(VALU_DEP_1)
	v_add_f32_e32 v7, v7, v13
	v_add_f32_e32 v22, v20, v7
	s_delay_alu instid0(VALU_DEP_4) | instskip(NEXT) | instid1(VALU_DEP_1)
	v_fmamk_f32 v6, v6, 0xb102e308, v23
	v_dual_sub_f32 v20, v22, v20 :: v_dual_add_f32 v13, v24, v6
	s_delay_alu instid0(VALU_DEP_1) | instskip(NEXT) | instid1(VALU_DEP_2)
	v_sub_f32_e32 v7, v7, v20
	v_add_f32_e32 v23, v13, v22
	s_delay_alu instid0(VALU_DEP_1) | instskip(NEXT) | instid1(VALU_DEP_1)
	v_sub_f32_e32 v25, v23, v13
	v_sub_f32_e32 v34, v23, v25
	;; [unrolled: 1-line block ×4, first 2 shown]
	s_delay_alu instid0(VALU_DEP_3) | instskip(NEXT) | instid1(VALU_DEP_1)
	v_sub_f32_e32 v13, v13, v34
	v_dual_add_f32 v13, v20, v13 :: v_dual_sub_f32 v6, v6, v24
	s_delay_alu instid0(VALU_DEP_1) | instskip(NEXT) | instid1(VALU_DEP_1)
	v_add_f32_e32 v22, v6, v7
	v_sub_f32_e32 v20, v22, v6
	s_delay_alu instid0(VALU_DEP_1) | instskip(NEXT) | instid1(VALU_DEP_4)
	v_sub_f32_e32 v7, v7, v20
	v_add_f32_e32 v13, v22, v13
	v_sub_f32_e32 v22, v22, v20
	s_delay_alu instid0(VALU_DEP_2) | instskip(NEXT) | instid1(VALU_DEP_2)
	v_add_f32_e32 v24, v23, v13
	v_sub_f32_e32 v6, v6, v22
	s_delay_alu instid0(VALU_DEP_2) | instskip(NEXT) | instid1(VALU_DEP_1)
	v_sub_f32_e32 v20, v24, v23
	v_dual_add_f32 v6, v7, v6 :: v_dual_sub_f32 v7, v13, v20
	s_delay_alu instid0(VALU_DEP_1) | instskip(NEXT) | instid1(VALU_DEP_1)
	v_add_f32_e32 v6, v6, v7
	v_add_f32_e32 v6, v24, v6
	s_delay_alu instid0(VALU_DEP_1) | instskip(NEXT) | instid1(VALU_DEP_1)
	v_cndmask_b32_e32 v2, v6, v2, vcc_lo
	v_add_f32_e32 v2, v3, v2
	s_delay_alu instid0(VALU_DEP_1) | instskip(NEXT) | instid1(VALU_DEP_1)
	v_cvt_f16_f32_e32 v35, v2
	v_cvt_f32_f16_e32 v2, v35
	v_mov_b32_e32 v80, v35
.LBB362_342:
	s_or_b32 exec_lo, exec_lo, s1
	s_delay_alu instid0(VALU_DEP_2) | instskip(SKIP_1) | instid1(VALU_DEP_3)
	v_dual_max_f32 v3, v21, v21 :: v_dual_max_f32 v6, v2, v2
	v_cmp_u_f16_e32 vcc_lo, v35, v35
	v_mov_b32_e32 v81, v80
	s_delay_alu instid0(VALU_DEP_3) | instskip(NEXT) | instid1(VALU_DEP_1)
	v_min_f32_e32 v7, v6, v3
	v_dual_max_f32 v3, v6, v3 :: v_dual_cndmask_b32 v6, v7, v2
	s_delay_alu instid0(VALU_DEP_1) | instskip(NEXT) | instid1(VALU_DEP_2)
	v_cndmask_b32_e32 v3, v3, v2, vcc_lo
	v_cndmask_b32_e64 v6, v6, v21, s15
	s_delay_alu instid0(VALU_DEP_2) | instskip(NEXT) | instid1(VALU_DEP_2)
	v_cndmask_b32_e64 v3, v3, v21, s15
	v_cmp_class_f32_e64 s1, v6, 0x1f8
	s_delay_alu instid0(VALU_DEP_2) | instskip(NEXT) | instid1(VALU_DEP_2)
	v_cmp_neq_f32_e32 vcc_lo, v6, v3
	s_or_b32 s2, vcc_lo, s1
	s_delay_alu instid0(SALU_CYCLE_1)
	s_and_saveexec_b32 s1, s2
	s_cbranch_execz .LBB362_344
; %bb.343:
	v_sub_f32_e32 v2, v6, v3
	s_mov_b32 s2, 0x3e9b6dac
	s_delay_alu instid0(VALU_DEP_1) | instskip(SKIP_1) | instid1(VALU_DEP_2)
	v_mul_f32_e32 v6, 0x3fb8aa3b, v2
	v_cmp_ngt_f32_e32 vcc_lo, 0xc2ce8ed0, v2
	v_fma_f32 v7, 0x3fb8aa3b, v2, -v6
	v_rndne_f32_e32 v13, v6
	s_delay_alu instid0(VALU_DEP_2) | instskip(NEXT) | instid1(VALU_DEP_2)
	v_fmamk_f32 v7, v2, 0x32a5705f, v7
	v_sub_f32_e32 v6, v6, v13
	s_delay_alu instid0(VALU_DEP_1) | instskip(SKIP_1) | instid1(VALU_DEP_2)
	v_add_f32_e32 v6, v6, v7
	v_cvt_i32_f32_e32 v7, v13
	v_exp_f32_e32 v6, v6
	s_waitcnt_depctr 0xfff
	v_ldexp_f32 v6, v6, v7
	s_delay_alu instid0(VALU_DEP_1) | instskip(SKIP_1) | instid1(VALU_DEP_2)
	v_cndmask_b32_e32 v6, 0, v6, vcc_lo
	v_cmp_nlt_f32_e32 vcc_lo, 0x42b17218, v2
	v_cndmask_b32_e32 v2, 0x7f800000, v6, vcc_lo
	s_delay_alu instid0(VALU_DEP_1) | instskip(NEXT) | instid1(VALU_DEP_1)
	v_add_f32_e32 v13, 1.0, v2
	v_cvt_f64_f32_e32 v[6:7], v13
	s_delay_alu instid0(VALU_DEP_1) | instskip(SKIP_1) | instid1(VALU_DEP_1)
	v_frexp_exp_i32_f64_e32 v6, v[6:7]
	v_frexp_mant_f32_e32 v7, v13
	v_cmp_gt_f32_e32 vcc_lo, 0x3f2aaaab, v7
	v_add_f32_e32 v7, -1.0, v13
	s_delay_alu instid0(VALU_DEP_1) | instskip(NEXT) | instid1(VALU_DEP_1)
	v_sub_f32_e32 v21, v7, v13
	v_add_f32_e32 v21, 1.0, v21
	v_subrev_co_ci_u32_e32 v6, vcc_lo, 0, v6, vcc_lo
	s_delay_alu instid0(VALU_DEP_1) | instskip(SKIP_1) | instid1(VALU_DEP_2)
	v_sub_nc_u32_e32 v20, 0, v6
	v_cvt_f32_i32_e32 v6, v6
	v_ldexp_f32 v13, v13, v20
	s_delay_alu instid0(VALU_DEP_1) | instskip(NEXT) | instid1(VALU_DEP_1)
	v_dual_sub_f32 v7, v2, v7 :: v_dual_add_f32 v22, 1.0, v13
	v_add_f32_e32 v7, v7, v21
	v_cmp_eq_f32_e32 vcc_lo, 0x7f800000, v2
	s_delay_alu instid0(VALU_DEP_3) | instskip(NEXT) | instid1(VALU_DEP_3)
	v_add_f32_e32 v21, -1.0, v22
	v_ldexp_f32 v7, v7, v20
	v_add_f32_e32 v20, -1.0, v13
	s_delay_alu instid0(VALU_DEP_3) | instskip(NEXT) | instid1(VALU_DEP_2)
	v_sub_f32_e32 v21, v13, v21
	v_add_f32_e32 v23, 1.0, v20
	s_delay_alu instid0(VALU_DEP_2) | instskip(NEXT) | instid1(VALU_DEP_2)
	v_add_f32_e32 v21, v7, v21
	v_sub_f32_e32 v13, v13, v23
	s_delay_alu instid0(VALU_DEP_1) | instskip(NEXT) | instid1(VALU_DEP_1)
	v_add_f32_e32 v7, v7, v13
	v_dual_add_f32 v24, v20, v7 :: v_dual_add_f32 v23, v22, v21
	s_delay_alu instid0(VALU_DEP_1) | instskip(NEXT) | instid1(VALU_DEP_2)
	v_sub_f32_e32 v20, v20, v24
	v_rcp_f32_e32 v13, v23
	v_sub_f32_e32 v22, v22, v23
	s_delay_alu instid0(VALU_DEP_1) | instskip(SKIP_2) | instid1(VALU_DEP_1)
	v_add_f32_e32 v21, v21, v22
	s_waitcnt_depctr 0xfff
	v_mul_f32_e32 v25, v24, v13
	v_mul_f32_e32 v34, v23, v25
	s_delay_alu instid0(VALU_DEP_1) | instskip(NEXT) | instid1(VALU_DEP_1)
	v_fma_f32 v22, v25, v23, -v34
	v_fmac_f32_e32 v22, v25, v21
	s_delay_alu instid0(VALU_DEP_1) | instskip(NEXT) | instid1(VALU_DEP_1)
	v_add_f32_e32 v35, v34, v22
	v_sub_f32_e32 v48, v24, v35
	s_delay_alu instid0(VALU_DEP_1) | instskip(SKIP_2) | instid1(VALU_DEP_3)
	v_sub_f32_e32 v24, v24, v48
	v_add_f32_e32 v7, v7, v20
	v_sub_f32_e32 v20, v35, v34
	v_sub_f32_e32 v24, v24, v35
	s_delay_alu instid0(VALU_DEP_1) | instskip(NEXT) | instid1(VALU_DEP_1)
	v_dual_sub_f32 v20, v20, v22 :: v_dual_add_f32 v7, v7, v24
	v_add_f32_e32 v7, v20, v7
	s_delay_alu instid0(VALU_DEP_1) | instskip(NEXT) | instid1(VALU_DEP_1)
	v_add_f32_e32 v20, v48, v7
	v_mul_f32_e32 v22, v13, v20
	s_delay_alu instid0(VALU_DEP_1) | instskip(NEXT) | instid1(VALU_DEP_1)
	v_dual_sub_f32 v35, v48, v20 :: v_dual_mul_f32 v24, v23, v22
	v_add_f32_e32 v7, v7, v35
	s_delay_alu instid0(VALU_DEP_2) | instskip(NEXT) | instid1(VALU_DEP_1)
	v_fma_f32 v23, v22, v23, -v24
	v_fmac_f32_e32 v23, v22, v21
	s_delay_alu instid0(VALU_DEP_1) | instskip(NEXT) | instid1(VALU_DEP_1)
	v_add_f32_e32 v21, v24, v23
	v_sub_f32_e32 v34, v20, v21
	s_delay_alu instid0(VALU_DEP_1) | instskip(NEXT) | instid1(VALU_DEP_1)
	v_sub_f32_e32 v20, v20, v34
	v_sub_f32_e32 v20, v20, v21
	s_delay_alu instid0(VALU_DEP_1) | instskip(SKIP_1) | instid1(VALU_DEP_1)
	v_dual_add_f32 v7, v7, v20 :: v_dual_add_f32 v20, v25, v22
	v_sub_f32_e32 v24, v21, v24
	v_sub_f32_e32 v21, v24, v23
	s_delay_alu instid0(VALU_DEP_1) | instskip(NEXT) | instid1(VALU_DEP_4)
	v_add_f32_e32 v7, v21, v7
	v_sub_f32_e32 v21, v20, v25
	s_delay_alu instid0(VALU_DEP_2) | instskip(NEXT) | instid1(VALU_DEP_2)
	v_add_f32_e32 v7, v34, v7
	v_sub_f32_e32 v21, v22, v21
	s_delay_alu instid0(VALU_DEP_2) | instskip(NEXT) | instid1(VALU_DEP_1)
	v_mul_f32_e32 v7, v13, v7
	v_add_f32_e32 v7, v21, v7
	s_delay_alu instid0(VALU_DEP_1) | instskip(NEXT) | instid1(VALU_DEP_1)
	v_add_f32_e32 v13, v20, v7
	v_mul_f32_e32 v21, v13, v13
	s_delay_alu instid0(VALU_DEP_1) | instskip(SKIP_2) | instid1(VALU_DEP_3)
	v_fmaak_f32 v22, s2, v21, 0x3ecc95a3
	v_mul_f32_e32 v23, v13, v21
	v_cmp_gt_f32_e64 s2, 0x33800000, |v2|
	v_fmaak_f32 v21, v21, v22, 0x3f2aaada
	v_ldexp_f32 v22, v13, 1
	s_delay_alu instid0(VALU_DEP_3) | instskip(SKIP_1) | instid1(VALU_DEP_3)
	s_or_b32 vcc_lo, vcc_lo, s2
	v_sub_f32_e32 v13, v13, v20
	v_mul_f32_e32 v21, v23, v21
	s_delay_alu instid0(VALU_DEP_2) | instskip(NEXT) | instid1(VALU_DEP_2)
	v_sub_f32_e32 v7, v7, v13
	v_add_f32_e32 v20, v22, v21
	s_delay_alu instid0(VALU_DEP_2) | instskip(NEXT) | instid1(VALU_DEP_2)
	v_ldexp_f32 v7, v7, 1
	v_sub_f32_e32 v13, v20, v22
	s_delay_alu instid0(VALU_DEP_1) | instskip(NEXT) | instid1(VALU_DEP_1)
	v_sub_f32_e32 v13, v21, v13
	v_add_f32_e32 v7, v7, v13
	s_delay_alu instid0(VALU_DEP_1) | instskip(NEXT) | instid1(VALU_DEP_1)
	v_add_f32_e32 v21, v20, v7
	v_dual_mul_f32 v23, 0x3f317218, v6 :: v_dual_sub_f32 v20, v21, v20
	s_delay_alu instid0(VALU_DEP_1) | instskip(NEXT) | instid1(VALU_DEP_1)
	v_fma_f32 v22, 0x3f317218, v6, -v23
	v_dual_sub_f32 v7, v7, v20 :: v_dual_fmamk_f32 v6, v6, 0xb102e308, v22
	s_delay_alu instid0(VALU_DEP_1) | instskip(NEXT) | instid1(VALU_DEP_1)
	v_add_f32_e32 v13, v23, v6
	v_add_f32_e32 v22, v13, v21
	s_delay_alu instid0(VALU_DEP_1) | instskip(NEXT) | instid1(VALU_DEP_1)
	v_dual_sub_f32 v23, v13, v23 :: v_dual_sub_f32 v24, v22, v13
	v_sub_f32_e32 v6, v6, v23
	s_delay_alu instid0(VALU_DEP_2) | instskip(NEXT) | instid1(VALU_DEP_2)
	v_sub_f32_e32 v25, v22, v24
	v_dual_sub_f32 v20, v21, v24 :: v_dual_add_f32 v21, v6, v7
	s_delay_alu instid0(VALU_DEP_2) | instskip(NEXT) | instid1(VALU_DEP_1)
	v_sub_f32_e32 v13, v13, v25
	v_dual_add_f32 v13, v20, v13 :: v_dual_sub_f32 v20, v21, v6
	s_delay_alu instid0(VALU_DEP_1) | instskip(NEXT) | instid1(VALU_DEP_2)
	v_add_f32_e32 v13, v21, v13
	v_sub_f32_e32 v21, v21, v20
	v_sub_f32_e32 v7, v7, v20
	s_delay_alu instid0(VALU_DEP_3) | instskip(NEXT) | instid1(VALU_DEP_3)
	v_add_f32_e32 v23, v22, v13
	v_sub_f32_e32 v6, v6, v21
	s_delay_alu instid0(VALU_DEP_2) | instskip(NEXT) | instid1(VALU_DEP_1)
	v_sub_f32_e32 v20, v23, v22
	v_dual_add_f32 v6, v7, v6 :: v_dual_sub_f32 v7, v13, v20
	s_delay_alu instid0(VALU_DEP_1) | instskip(NEXT) | instid1(VALU_DEP_1)
	v_add_f32_e32 v6, v6, v7
	v_add_f32_e32 v6, v23, v6
	s_delay_alu instid0(VALU_DEP_1) | instskip(NEXT) | instid1(VALU_DEP_1)
	v_cndmask_b32_e32 v2, v6, v2, vcc_lo
	v_add_f32_e32 v2, v3, v2
	s_delay_alu instid0(VALU_DEP_1) | instskip(NEXT) | instid1(VALU_DEP_1)
	v_cvt_f16_f32_e32 v35, v2
	v_cvt_f32_f16_e32 v2, v35
	v_mov_b32_e32 v81, v35
.LBB362_344:
	s_or_b32 exec_lo, exec_lo, s1
	s_delay_alu instid0(VALU_DEP_2) | instskip(SKIP_1) | instid1(VALU_DEP_2)
	v_dual_max_f32 v3, v39, v39 :: v_dual_max_f32 v6, v2, v2
	v_cmp_u_f16_e32 vcc_lo, v35, v35
	v_dual_mov_b32 v82, v81 :: v_dual_min_f32 v7, v6, v3
	s_delay_alu instid0(VALU_DEP_1) | instskip(NEXT) | instid1(VALU_DEP_1)
	v_dual_max_f32 v3, v6, v3 :: v_dual_cndmask_b32 v6, v7, v2
	v_cndmask_b32_e32 v3, v3, v2, vcc_lo
	s_delay_alu instid0(VALU_DEP_2) | instskip(NEXT) | instid1(VALU_DEP_2)
	v_cndmask_b32_e64 v6, v6, v39, s16
	v_cndmask_b32_e64 v3, v3, v39, s16
	s_delay_alu instid0(VALU_DEP_2) | instskip(NEXT) | instid1(VALU_DEP_2)
	v_cmp_class_f32_e64 s1, v6, 0x1f8
	v_cmp_neq_f32_e32 vcc_lo, v6, v3
	s_delay_alu instid0(VALU_DEP_2) | instskip(NEXT) | instid1(SALU_CYCLE_1)
	s_or_b32 s2, vcc_lo, s1
	s_and_saveexec_b32 s1, s2
	s_cbranch_execz .LBB362_346
; %bb.345:
	v_sub_f32_e32 v2, v6, v3
	s_mov_b32 s2, 0x3e9b6dac
	s_delay_alu instid0(VALU_DEP_1) | instskip(SKIP_1) | instid1(VALU_DEP_2)
	v_mul_f32_e32 v6, 0x3fb8aa3b, v2
	v_cmp_ngt_f32_e32 vcc_lo, 0xc2ce8ed0, v2
	v_fma_f32 v7, 0x3fb8aa3b, v2, -v6
	v_rndne_f32_e32 v13, v6
	s_delay_alu instid0(VALU_DEP_2) | instskip(NEXT) | instid1(VALU_DEP_2)
	v_fmamk_f32 v7, v2, 0x32a5705f, v7
	v_sub_f32_e32 v6, v6, v13
	s_delay_alu instid0(VALU_DEP_1) | instskip(SKIP_1) | instid1(VALU_DEP_2)
	v_add_f32_e32 v6, v6, v7
	v_cvt_i32_f32_e32 v7, v13
	v_exp_f32_e32 v6, v6
	s_waitcnt_depctr 0xfff
	v_ldexp_f32 v6, v6, v7
	s_delay_alu instid0(VALU_DEP_1) | instskip(SKIP_1) | instid1(VALU_DEP_2)
	v_cndmask_b32_e32 v6, 0, v6, vcc_lo
	v_cmp_nlt_f32_e32 vcc_lo, 0x42b17218, v2
	v_cndmask_b32_e32 v2, 0x7f800000, v6, vcc_lo
	s_delay_alu instid0(VALU_DEP_1) | instskip(NEXT) | instid1(VALU_DEP_1)
	v_add_f32_e32 v13, 1.0, v2
	v_cvt_f64_f32_e32 v[6:7], v13
	s_delay_alu instid0(VALU_DEP_1) | instskip(SKIP_1) | instid1(VALU_DEP_1)
	v_frexp_exp_i32_f64_e32 v6, v[6:7]
	v_frexp_mant_f32_e32 v7, v13
	v_cmp_gt_f32_e32 vcc_lo, 0x3f2aaaab, v7
	v_add_f32_e32 v7, -1.0, v13
	s_delay_alu instid0(VALU_DEP_1) | instskip(NEXT) | instid1(VALU_DEP_1)
	v_sub_f32_e32 v21, v7, v13
	v_add_f32_e32 v21, 1.0, v21
	v_subrev_co_ci_u32_e32 v6, vcc_lo, 0, v6, vcc_lo
	s_delay_alu instid0(VALU_DEP_1) | instskip(SKIP_1) | instid1(VALU_DEP_2)
	v_sub_nc_u32_e32 v20, 0, v6
	v_cvt_f32_i32_e32 v6, v6
	v_ldexp_f32 v13, v13, v20
	s_delay_alu instid0(VALU_DEP_1) | instskip(NEXT) | instid1(VALU_DEP_1)
	v_dual_sub_f32 v7, v2, v7 :: v_dual_add_f32 v22, 1.0, v13
	v_add_f32_e32 v7, v7, v21
	v_cmp_eq_f32_e32 vcc_lo, 0x7f800000, v2
	s_delay_alu instid0(VALU_DEP_3) | instskip(NEXT) | instid1(VALU_DEP_3)
	v_add_f32_e32 v21, -1.0, v22
	v_ldexp_f32 v7, v7, v20
	v_add_f32_e32 v20, -1.0, v13
	s_delay_alu instid0(VALU_DEP_3) | instskip(NEXT) | instid1(VALU_DEP_2)
	v_sub_f32_e32 v21, v13, v21
	v_add_f32_e32 v23, 1.0, v20
	s_delay_alu instid0(VALU_DEP_2) | instskip(NEXT) | instid1(VALU_DEP_2)
	v_add_f32_e32 v21, v7, v21
	v_sub_f32_e32 v13, v13, v23
	s_delay_alu instid0(VALU_DEP_1) | instskip(NEXT) | instid1(VALU_DEP_1)
	v_add_f32_e32 v7, v7, v13
	v_dual_add_f32 v24, v20, v7 :: v_dual_add_f32 v23, v22, v21
	s_delay_alu instid0(VALU_DEP_1) | instskip(NEXT) | instid1(VALU_DEP_2)
	v_sub_f32_e32 v20, v20, v24
	v_rcp_f32_e32 v13, v23
	v_sub_f32_e32 v22, v22, v23
	s_delay_alu instid0(VALU_DEP_1) | instskip(SKIP_2) | instid1(VALU_DEP_1)
	v_add_f32_e32 v21, v21, v22
	s_waitcnt_depctr 0xfff
	v_mul_f32_e32 v25, v24, v13
	v_mul_f32_e32 v34, v23, v25
	s_delay_alu instid0(VALU_DEP_1) | instskip(NEXT) | instid1(VALU_DEP_1)
	v_fma_f32 v22, v25, v23, -v34
	v_fmac_f32_e32 v22, v25, v21
	s_delay_alu instid0(VALU_DEP_1) | instskip(NEXT) | instid1(VALU_DEP_1)
	v_add_f32_e32 v35, v34, v22
	v_sub_f32_e32 v39, v24, v35
	s_delay_alu instid0(VALU_DEP_1) | instskip(SKIP_1) | instid1(VALU_DEP_2)
	v_dual_sub_f32 v24, v24, v39 :: v_dual_add_f32 v7, v7, v20
	v_sub_f32_e32 v20, v35, v34
	v_sub_f32_e32 v24, v24, v35
	s_delay_alu instid0(VALU_DEP_1) | instskip(NEXT) | instid1(VALU_DEP_1)
	v_dual_sub_f32 v20, v20, v22 :: v_dual_add_f32 v7, v7, v24
	v_add_f32_e32 v7, v20, v7
	s_delay_alu instid0(VALU_DEP_1) | instskip(NEXT) | instid1(VALU_DEP_1)
	v_add_f32_e32 v20, v39, v7
	v_mul_f32_e32 v22, v13, v20
	s_delay_alu instid0(VALU_DEP_1) | instskip(NEXT) | instid1(VALU_DEP_1)
	v_mul_f32_e32 v24, v23, v22
	v_fma_f32 v23, v22, v23, -v24
	s_delay_alu instid0(VALU_DEP_1) | instskip(NEXT) | instid1(VALU_DEP_1)
	v_fmac_f32_e32 v23, v22, v21
	v_add_f32_e32 v21, v24, v23
	s_delay_alu instid0(VALU_DEP_1) | instskip(NEXT) | instid1(VALU_DEP_1)
	v_dual_sub_f32 v35, v39, v20 :: v_dual_sub_f32 v34, v20, v21
	v_sub_f32_e32 v20, v20, v34
	s_delay_alu instid0(VALU_DEP_1) | instskip(NEXT) | instid1(VALU_DEP_1)
	v_dual_sub_f32 v20, v20, v21 :: v_dual_add_f32 v7, v7, v35
	v_dual_add_f32 v7, v7, v20 :: v_dual_add_f32 v20, v25, v22
	v_sub_f32_e32 v24, v21, v24
	s_delay_alu instid0(VALU_DEP_1) | instskip(NEXT) | instid1(VALU_DEP_1)
	v_sub_f32_e32 v21, v24, v23
	v_add_f32_e32 v7, v21, v7
	s_delay_alu instid0(VALU_DEP_4) | instskip(NEXT) | instid1(VALU_DEP_2)
	v_sub_f32_e32 v21, v20, v25
	v_add_f32_e32 v7, v34, v7
	s_delay_alu instid0(VALU_DEP_2) | instskip(NEXT) | instid1(VALU_DEP_2)
	v_sub_f32_e32 v21, v22, v21
	v_mul_f32_e32 v7, v13, v7
	s_delay_alu instid0(VALU_DEP_1) | instskip(NEXT) | instid1(VALU_DEP_1)
	v_add_f32_e32 v7, v21, v7
	v_add_f32_e32 v13, v20, v7
	s_delay_alu instid0(VALU_DEP_1) | instskip(NEXT) | instid1(VALU_DEP_1)
	v_mul_f32_e32 v21, v13, v13
	v_fmaak_f32 v22, s2, v21, 0x3ecc95a3
	v_mul_f32_e32 v23, v13, v21
	v_cmp_gt_f32_e64 s2, 0x33800000, |v2|
	s_delay_alu instid0(VALU_DEP_3) | instskip(SKIP_1) | instid1(VALU_DEP_3)
	v_fmaak_f32 v21, v21, v22, 0x3f2aaada
	v_ldexp_f32 v22, v13, 1
	s_or_b32 vcc_lo, vcc_lo, s2
	v_sub_f32_e32 v13, v13, v20
	s_delay_alu instid0(VALU_DEP_3) | instskip(NEXT) | instid1(VALU_DEP_2)
	v_mul_f32_e32 v21, v23, v21
	v_sub_f32_e32 v7, v7, v13
	s_delay_alu instid0(VALU_DEP_2) | instskip(NEXT) | instid1(VALU_DEP_2)
	v_add_f32_e32 v20, v22, v21
	v_ldexp_f32 v7, v7, 1
	s_delay_alu instid0(VALU_DEP_2) | instskip(NEXT) | instid1(VALU_DEP_1)
	v_sub_f32_e32 v13, v20, v22
	v_sub_f32_e32 v13, v21, v13
	s_delay_alu instid0(VALU_DEP_1) | instskip(NEXT) | instid1(VALU_DEP_1)
	v_add_f32_e32 v7, v7, v13
	v_add_f32_e32 v21, v20, v7
	s_delay_alu instid0(VALU_DEP_1) | instskip(NEXT) | instid1(VALU_DEP_1)
	v_dual_mul_f32 v23, 0x3f317218, v6 :: v_dual_sub_f32 v20, v21, v20
	v_fma_f32 v22, 0x3f317218, v6, -v23
	s_delay_alu instid0(VALU_DEP_1) | instskip(NEXT) | instid1(VALU_DEP_1)
	v_dual_sub_f32 v7, v7, v20 :: v_dual_fmamk_f32 v6, v6, 0xb102e308, v22
	v_add_f32_e32 v13, v23, v6
	s_delay_alu instid0(VALU_DEP_1) | instskip(NEXT) | instid1(VALU_DEP_1)
	v_add_f32_e32 v22, v13, v21
	v_sub_f32_e32 v24, v22, v13
	s_delay_alu instid0(VALU_DEP_1) | instskip(SKIP_2) | instid1(VALU_DEP_1)
	v_sub_f32_e32 v20, v21, v24
	v_sub_f32_e32 v23, v13, v23
	;; [unrolled: 1-line block ×3, first 2 shown]
	v_dual_sub_f32 v6, v6, v23 :: v_dual_sub_f32 v13, v13, v25
	s_delay_alu instid0(VALU_DEP_1) | instskip(NEXT) | instid1(VALU_DEP_1)
	v_add_f32_e32 v21, v6, v7
	v_dual_add_f32 v13, v20, v13 :: v_dual_sub_f32 v20, v21, v6
	s_delay_alu instid0(VALU_DEP_1) | instskip(NEXT) | instid1(VALU_DEP_2)
	v_add_f32_e32 v13, v21, v13
	v_sub_f32_e32 v21, v21, v20
	s_delay_alu instid0(VALU_DEP_2) | instskip(NEXT) | instid1(VALU_DEP_2)
	v_add_f32_e32 v23, v22, v13
	v_dual_sub_f32 v7, v7, v20 :: v_dual_sub_f32 v6, v6, v21
	s_delay_alu instid0(VALU_DEP_2) | instskip(NEXT) | instid1(VALU_DEP_1)
	v_sub_f32_e32 v20, v23, v22
	v_dual_add_f32 v6, v7, v6 :: v_dual_sub_f32 v7, v13, v20
	s_delay_alu instid0(VALU_DEP_1) | instskip(NEXT) | instid1(VALU_DEP_1)
	v_add_f32_e32 v6, v6, v7
	v_add_f32_e32 v6, v23, v6
	s_delay_alu instid0(VALU_DEP_1) | instskip(NEXT) | instid1(VALU_DEP_1)
	v_cndmask_b32_e32 v2, v6, v2, vcc_lo
	v_add_f32_e32 v2, v3, v2
	s_delay_alu instid0(VALU_DEP_1) | instskip(NEXT) | instid1(VALU_DEP_1)
	v_cvt_f16_f32_e32 v35, v2
	v_cvt_f32_f16_e32 v2, v35
	v_mov_b32_e32 v82, v35
.LBB362_346:
	s_or_b32 exec_lo, exec_lo, s1
	v_max_f32_e32 v3, v18, v18
	s_delay_alu instid0(VALU_DEP_3) | instskip(SKIP_2) | instid1(VALU_DEP_3)
	v_max_f32_e32 v6, v2, v2
	v_cmp_u_f16_e32 vcc_lo, v35, v35
	v_mov_b32_e32 v83, v82
	v_min_f32_e32 v7, v6, v3
	s_delay_alu instid0(VALU_DEP_1) | instskip(NEXT) | instid1(VALU_DEP_1)
	v_dual_max_f32 v3, v6, v3 :: v_dual_cndmask_b32 v6, v7, v2
	v_cndmask_b32_e32 v3, v3, v2, vcc_lo
	s_delay_alu instid0(VALU_DEP_2) | instskip(NEXT) | instid1(VALU_DEP_2)
	v_cndmask_b32_e64 v6, v6, v18, s17
	v_cndmask_b32_e64 v3, v3, v18, s17
	s_delay_alu instid0(VALU_DEP_2) | instskip(NEXT) | instid1(VALU_DEP_2)
	v_cmp_class_f32_e64 s1, v6, 0x1f8
	v_cmp_neq_f32_e32 vcc_lo, v6, v3
	s_delay_alu instid0(VALU_DEP_2) | instskip(NEXT) | instid1(SALU_CYCLE_1)
	s_or_b32 s2, vcc_lo, s1
	s_and_saveexec_b32 s1, s2
	s_cbranch_execz .LBB362_348
; %bb.347:
	v_sub_f32_e32 v2, v6, v3
	s_mov_b32 s2, 0x3e9b6dac
	s_delay_alu instid0(VALU_DEP_1) | instskip(SKIP_1) | instid1(VALU_DEP_2)
	v_mul_f32_e32 v6, 0x3fb8aa3b, v2
	v_cmp_ngt_f32_e32 vcc_lo, 0xc2ce8ed0, v2
	v_fma_f32 v7, 0x3fb8aa3b, v2, -v6
	v_rndne_f32_e32 v13, v6
	s_delay_alu instid0(VALU_DEP_2) | instskip(NEXT) | instid1(VALU_DEP_2)
	v_fmamk_f32 v7, v2, 0x32a5705f, v7
	v_sub_f32_e32 v6, v6, v13
	s_delay_alu instid0(VALU_DEP_1) | instskip(SKIP_1) | instid1(VALU_DEP_2)
	v_add_f32_e32 v6, v6, v7
	v_cvt_i32_f32_e32 v7, v13
	v_exp_f32_e32 v6, v6
	s_waitcnt_depctr 0xfff
	v_ldexp_f32 v6, v6, v7
	s_delay_alu instid0(VALU_DEP_1) | instskip(SKIP_1) | instid1(VALU_DEP_2)
	v_cndmask_b32_e32 v6, 0, v6, vcc_lo
	v_cmp_nlt_f32_e32 vcc_lo, 0x42b17218, v2
	v_cndmask_b32_e32 v2, 0x7f800000, v6, vcc_lo
	s_delay_alu instid0(VALU_DEP_1) | instskip(NEXT) | instid1(VALU_DEP_1)
	v_add_f32_e32 v13, 1.0, v2
	v_cvt_f64_f32_e32 v[6:7], v13
	s_delay_alu instid0(VALU_DEP_1) | instskip(SKIP_1) | instid1(VALU_DEP_1)
	v_frexp_exp_i32_f64_e32 v6, v[6:7]
	v_frexp_mant_f32_e32 v7, v13
	v_cmp_gt_f32_e32 vcc_lo, 0x3f2aaaab, v7
	v_add_f32_e32 v7, -1.0, v13
	s_delay_alu instid0(VALU_DEP_1) | instskip(NEXT) | instid1(VALU_DEP_1)
	v_dual_sub_f32 v20, v7, v13 :: v_dual_sub_f32 v7, v2, v7
	v_add_f32_e32 v20, 1.0, v20
	s_delay_alu instid0(VALU_DEP_1) | instskip(SKIP_2) | instid1(VALU_DEP_2)
	v_add_f32_e32 v7, v7, v20
	v_subrev_co_ci_u32_e32 v6, vcc_lo, 0, v6, vcc_lo
	v_cmp_eq_f32_e32 vcc_lo, 0x7f800000, v2
	v_sub_nc_u32_e32 v18, 0, v6
	v_cvt_f32_i32_e32 v6, v6
	s_delay_alu instid0(VALU_DEP_2) | instskip(SKIP_1) | instid1(VALU_DEP_2)
	v_ldexp_f32 v13, v13, v18
	v_ldexp_f32 v7, v7, v18
	v_add_f32_e32 v21, 1.0, v13
	v_add_f32_e32 v18, -1.0, v13
	s_delay_alu instid0(VALU_DEP_2) | instskip(NEXT) | instid1(VALU_DEP_2)
	v_add_f32_e32 v20, -1.0, v21
	v_add_f32_e32 v22, 1.0, v18
	s_delay_alu instid0(VALU_DEP_2) | instskip(NEXT) | instid1(VALU_DEP_1)
	v_sub_f32_e32 v20, v13, v20
	v_dual_sub_f32 v13, v13, v22 :: v_dual_add_f32 v20, v7, v20
	s_delay_alu instid0(VALU_DEP_1) | instskip(NEXT) | instid1(VALU_DEP_1)
	v_dual_add_f32 v7, v7, v13 :: v_dual_add_f32 v22, v21, v20
	v_rcp_f32_e32 v13, v22
	v_sub_f32_e32 v21, v21, v22
	s_delay_alu instid0(VALU_DEP_1) | instskip(NEXT) | instid1(VALU_DEP_1)
	v_dual_add_f32 v23, v18, v7 :: v_dual_add_f32 v20, v20, v21
	v_sub_f32_e32 v18, v18, v23
	s_waitcnt_depctr 0xfff
	v_mul_f32_e32 v24, v23, v13
	v_add_f32_e32 v7, v7, v18
	s_delay_alu instid0(VALU_DEP_2) | instskip(NEXT) | instid1(VALU_DEP_1)
	v_mul_f32_e32 v25, v22, v24
	v_fma_f32 v21, v24, v22, -v25
	s_delay_alu instid0(VALU_DEP_1) | instskip(NEXT) | instid1(VALU_DEP_1)
	v_fmac_f32_e32 v21, v24, v20
	v_add_f32_e32 v34, v25, v21
	s_delay_alu instid0(VALU_DEP_1) | instskip(NEXT) | instid1(VALU_DEP_1)
	v_sub_f32_e32 v35, v23, v34
	v_sub_f32_e32 v23, v23, v35
	s_delay_alu instid0(VALU_DEP_1) | instskip(NEXT) | instid1(VALU_DEP_1)
	v_dual_sub_f32 v23, v23, v34 :: v_dual_sub_f32 v18, v34, v25
	v_dual_add_f32 v7, v7, v23 :: v_dual_sub_f32 v18, v18, v21
	s_delay_alu instid0(VALU_DEP_1) | instskip(NEXT) | instid1(VALU_DEP_1)
	v_add_f32_e32 v7, v18, v7
	v_add_f32_e32 v18, v35, v7
	s_delay_alu instid0(VALU_DEP_1) | instskip(NEXT) | instid1(VALU_DEP_1)
	v_mul_f32_e32 v21, v13, v18
	v_dual_mul_f32 v23, v22, v21 :: v_dual_sub_f32 v34, v35, v18
	s_delay_alu instid0(VALU_DEP_1) | instskip(NEXT) | instid1(VALU_DEP_1)
	v_fma_f32 v22, v21, v22, -v23
	v_dual_add_f32 v7, v7, v34 :: v_dual_fmac_f32 v22, v21, v20
	s_delay_alu instid0(VALU_DEP_1) | instskip(NEXT) | instid1(VALU_DEP_1)
	v_add_f32_e32 v20, v23, v22
	v_sub_f32_e32 v25, v18, v20
	s_delay_alu instid0(VALU_DEP_1) | instskip(NEXT) | instid1(VALU_DEP_1)
	v_dual_sub_f32 v23, v20, v23 :: v_dual_sub_f32 v18, v18, v25
	v_sub_f32_e32 v18, v18, v20
	s_delay_alu instid0(VALU_DEP_1) | instskip(NEXT) | instid1(VALU_DEP_3)
	v_dual_add_f32 v7, v7, v18 :: v_dual_add_f32 v18, v24, v21
	v_sub_f32_e32 v20, v23, v22
	s_delay_alu instid0(VALU_DEP_1) | instskip(NEXT) | instid1(VALU_DEP_1)
	v_dual_add_f32 v7, v20, v7 :: v_dual_sub_f32 v20, v18, v24
	v_add_f32_e32 v7, v25, v7
	s_delay_alu instid0(VALU_DEP_2) | instskip(NEXT) | instid1(VALU_DEP_2)
	v_sub_f32_e32 v20, v21, v20
	v_mul_f32_e32 v7, v13, v7
	s_delay_alu instid0(VALU_DEP_1) | instskip(NEXT) | instid1(VALU_DEP_1)
	v_add_f32_e32 v7, v20, v7
	v_add_f32_e32 v13, v18, v7
	s_delay_alu instid0(VALU_DEP_1) | instskip(NEXT) | instid1(VALU_DEP_1)
	v_mul_f32_e32 v20, v13, v13
	v_fmaak_f32 v21, s2, v20, 0x3ecc95a3
	v_mul_f32_e32 v22, v13, v20
	v_cmp_gt_f32_e64 s2, 0x33800000, |v2|
	s_delay_alu instid0(VALU_DEP_3) | instskip(SKIP_2) | instid1(VALU_DEP_4)
	v_fmaak_f32 v20, v20, v21, 0x3f2aaada
	v_ldexp_f32 v21, v13, 1
	v_sub_f32_e32 v13, v13, v18
	s_or_b32 vcc_lo, vcc_lo, s2
	s_delay_alu instid0(VALU_DEP_1) | instskip(NEXT) | instid1(VALU_DEP_1)
	v_sub_f32_e32 v7, v7, v13
	v_ldexp_f32 v7, v7, 1
	v_mul_f32_e32 v20, v22, v20
	s_delay_alu instid0(VALU_DEP_1) | instskip(NEXT) | instid1(VALU_DEP_1)
	v_add_f32_e32 v18, v21, v20
	v_sub_f32_e32 v13, v18, v21
	s_delay_alu instid0(VALU_DEP_1) | instskip(NEXT) | instid1(VALU_DEP_1)
	v_sub_f32_e32 v13, v20, v13
	v_add_f32_e32 v7, v7, v13
	s_delay_alu instid0(VALU_DEP_1) | instskip(SKIP_1) | instid1(VALU_DEP_1)
	v_add_f32_e32 v20, v18, v7
	v_mul_f32_e32 v22, 0x3f317218, v6
	v_fma_f32 v21, 0x3f317218, v6, -v22
	s_delay_alu instid0(VALU_DEP_1) | instskip(NEXT) | instid1(VALU_DEP_1)
	v_fmamk_f32 v6, v6, 0xb102e308, v21
	v_add_f32_e32 v13, v22, v6
	s_delay_alu instid0(VALU_DEP_1) | instskip(NEXT) | instid1(VALU_DEP_1)
	v_add_f32_e32 v21, v13, v20
	v_sub_f32_e32 v23, v21, v13
	s_delay_alu instid0(VALU_DEP_1) | instskip(SKIP_1) | instid1(VALU_DEP_1)
	v_sub_f32_e32 v24, v21, v23
	v_sub_f32_e32 v18, v20, v18
	v_dual_sub_f32 v7, v7, v18 :: v_dual_sub_f32 v18, v20, v23
	v_sub_f32_e32 v22, v13, v22
	s_delay_alu instid0(VALU_DEP_4) | instskip(NEXT) | instid1(VALU_DEP_1)
	v_sub_f32_e32 v13, v13, v24
	v_add_f32_e32 v13, v18, v13
	s_delay_alu instid0(VALU_DEP_3) | instskip(NEXT) | instid1(VALU_DEP_1)
	v_sub_f32_e32 v6, v6, v22
	v_add_f32_e32 v20, v6, v7
	s_delay_alu instid0(VALU_DEP_1) | instskip(SKIP_1) | instid1(VALU_DEP_1)
	v_add_f32_e32 v13, v20, v13
	v_sub_f32_e32 v18, v20, v6
	v_dual_add_f32 v22, v21, v13 :: v_dual_sub_f32 v7, v7, v18
	v_sub_f32_e32 v20, v20, v18
	s_delay_alu instid0(VALU_DEP_2) | instskip(NEXT) | instid1(VALU_DEP_2)
	v_sub_f32_e32 v18, v22, v21
	v_sub_f32_e32 v6, v6, v20
	s_delay_alu instid0(VALU_DEP_1) | instskip(NEXT) | instid1(VALU_DEP_3)
	v_add_f32_e32 v6, v7, v6
	v_sub_f32_e32 v7, v13, v18
	s_delay_alu instid0(VALU_DEP_1) | instskip(NEXT) | instid1(VALU_DEP_1)
	v_add_f32_e32 v6, v6, v7
	v_add_f32_e32 v6, v22, v6
	s_delay_alu instid0(VALU_DEP_1) | instskip(NEXT) | instid1(VALU_DEP_1)
	v_cndmask_b32_e32 v2, v6, v2, vcc_lo
	v_add_f32_e32 v2, v3, v2
	s_delay_alu instid0(VALU_DEP_1) | instskip(NEXT) | instid1(VALU_DEP_1)
	v_cvt_f16_f32_e32 v35, v2
	v_cvt_f32_f16_e32 v2, v35
	v_mov_b32_e32 v83, v35
.LBB362_348:
	s_or_b32 exec_lo, exec_lo, s1
	s_delay_alu instid0(VALU_DEP_1) | instskip(NEXT) | instid1(VALU_DEP_3)
	v_dual_max_f32 v3, v38, v38 :: v_dual_mov_b32 v84, v83
	v_max_f32_e32 v6, v2, v2
	v_cmp_u_f16_e32 vcc_lo, v35, v35
	s_delay_alu instid0(VALU_DEP_2) | instskip(NEXT) | instid1(VALU_DEP_1)
	v_min_f32_e32 v7, v6, v3
	v_dual_max_f32 v3, v6, v3 :: v_dual_cndmask_b32 v6, v7, v2
	s_delay_alu instid0(VALU_DEP_1) | instskip(NEXT) | instid1(VALU_DEP_2)
	v_cndmask_b32_e32 v3, v3, v2, vcc_lo
	v_cndmask_b32_e64 v6, v6, v38, s18
	s_delay_alu instid0(VALU_DEP_2) | instskip(NEXT) | instid1(VALU_DEP_2)
	v_cndmask_b32_e64 v3, v3, v38, s18
	v_cmp_class_f32_e64 s1, v6, 0x1f8
	s_delay_alu instid0(VALU_DEP_2) | instskip(NEXT) | instid1(VALU_DEP_2)
	v_cmp_neq_f32_e32 vcc_lo, v6, v3
	s_or_b32 s2, vcc_lo, s1
	s_delay_alu instid0(SALU_CYCLE_1)
	s_and_saveexec_b32 s1, s2
	s_cbranch_execz .LBB362_350
; %bb.349:
	v_sub_f32_e32 v2, v6, v3
	s_mov_b32 s2, 0x3e9b6dac
	s_delay_alu instid0(VALU_DEP_1) | instskip(SKIP_1) | instid1(VALU_DEP_2)
	v_mul_f32_e32 v6, 0x3fb8aa3b, v2
	v_cmp_ngt_f32_e32 vcc_lo, 0xc2ce8ed0, v2
	v_fma_f32 v7, 0x3fb8aa3b, v2, -v6
	v_rndne_f32_e32 v13, v6
	s_delay_alu instid0(VALU_DEP_2) | instskip(NEXT) | instid1(VALU_DEP_2)
	v_fmamk_f32 v7, v2, 0x32a5705f, v7
	v_sub_f32_e32 v6, v6, v13
	s_delay_alu instid0(VALU_DEP_1) | instskip(SKIP_1) | instid1(VALU_DEP_2)
	v_add_f32_e32 v6, v6, v7
	v_cvt_i32_f32_e32 v7, v13
	v_exp_f32_e32 v6, v6
	s_waitcnt_depctr 0xfff
	v_ldexp_f32 v6, v6, v7
	s_delay_alu instid0(VALU_DEP_1) | instskip(SKIP_1) | instid1(VALU_DEP_2)
	v_cndmask_b32_e32 v6, 0, v6, vcc_lo
	v_cmp_nlt_f32_e32 vcc_lo, 0x42b17218, v2
	v_cndmask_b32_e32 v2, 0x7f800000, v6, vcc_lo
	s_delay_alu instid0(VALU_DEP_1) | instskip(NEXT) | instid1(VALU_DEP_1)
	v_add_f32_e32 v13, 1.0, v2
	v_cvt_f64_f32_e32 v[6:7], v13
	s_delay_alu instid0(VALU_DEP_1) | instskip(SKIP_1) | instid1(VALU_DEP_1)
	v_frexp_exp_i32_f64_e32 v6, v[6:7]
	v_frexp_mant_f32_e32 v7, v13
	v_cmp_gt_f32_e32 vcc_lo, 0x3f2aaaab, v7
	v_add_f32_e32 v7, -1.0, v13
	s_delay_alu instid0(VALU_DEP_1) | instskip(NEXT) | instid1(VALU_DEP_1)
	v_dual_sub_f32 v20, v7, v13 :: v_dual_sub_f32 v7, v2, v7
	v_add_f32_e32 v20, 1.0, v20
	s_delay_alu instid0(VALU_DEP_1) | instskip(SKIP_2) | instid1(VALU_DEP_2)
	v_add_f32_e32 v7, v7, v20
	v_subrev_co_ci_u32_e32 v6, vcc_lo, 0, v6, vcc_lo
	v_cmp_eq_f32_e32 vcc_lo, 0x7f800000, v2
	v_sub_nc_u32_e32 v18, 0, v6
	v_cvt_f32_i32_e32 v6, v6
	s_delay_alu instid0(VALU_DEP_2) | instskip(SKIP_1) | instid1(VALU_DEP_2)
	v_ldexp_f32 v13, v13, v18
	v_ldexp_f32 v7, v7, v18
	v_add_f32_e32 v21, 1.0, v13
	v_add_f32_e32 v18, -1.0, v13
	s_delay_alu instid0(VALU_DEP_2) | instskip(NEXT) | instid1(VALU_DEP_2)
	v_add_f32_e32 v20, -1.0, v21
	v_add_f32_e32 v22, 1.0, v18
	s_delay_alu instid0(VALU_DEP_2) | instskip(NEXT) | instid1(VALU_DEP_1)
	v_sub_f32_e32 v20, v13, v20
	v_dual_sub_f32 v13, v13, v22 :: v_dual_add_f32 v20, v7, v20
	s_delay_alu instid0(VALU_DEP_1) | instskip(NEXT) | instid1(VALU_DEP_1)
	v_dual_add_f32 v7, v7, v13 :: v_dual_add_f32 v22, v21, v20
	v_rcp_f32_e32 v13, v22
	v_sub_f32_e32 v21, v21, v22
	s_delay_alu instid0(VALU_DEP_1) | instskip(NEXT) | instid1(VALU_DEP_1)
	v_dual_add_f32 v23, v18, v7 :: v_dual_add_f32 v20, v20, v21
	v_sub_f32_e32 v18, v18, v23
	s_waitcnt_depctr 0xfff
	v_mul_f32_e32 v24, v23, v13
	v_add_f32_e32 v7, v7, v18
	s_delay_alu instid0(VALU_DEP_2) | instskip(NEXT) | instid1(VALU_DEP_1)
	v_mul_f32_e32 v25, v22, v24
	v_fma_f32 v21, v24, v22, -v25
	s_delay_alu instid0(VALU_DEP_1) | instskip(NEXT) | instid1(VALU_DEP_1)
	v_fmac_f32_e32 v21, v24, v20
	v_add_f32_e32 v34, v25, v21
	s_delay_alu instid0(VALU_DEP_1) | instskip(NEXT) | instid1(VALU_DEP_1)
	v_sub_f32_e32 v35, v23, v34
	v_sub_f32_e32 v23, v23, v35
	s_delay_alu instid0(VALU_DEP_1) | instskip(NEXT) | instid1(VALU_DEP_1)
	v_dual_sub_f32 v23, v23, v34 :: v_dual_sub_f32 v18, v34, v25
	v_dual_add_f32 v7, v7, v23 :: v_dual_sub_f32 v18, v18, v21
	s_delay_alu instid0(VALU_DEP_1) | instskip(NEXT) | instid1(VALU_DEP_1)
	v_add_f32_e32 v7, v18, v7
	v_add_f32_e32 v18, v35, v7
	s_delay_alu instid0(VALU_DEP_1) | instskip(NEXT) | instid1(VALU_DEP_1)
	v_mul_f32_e32 v21, v13, v18
	v_dual_mul_f32 v23, v22, v21 :: v_dual_sub_f32 v34, v35, v18
	s_delay_alu instid0(VALU_DEP_1) | instskip(NEXT) | instid1(VALU_DEP_1)
	v_fma_f32 v22, v21, v22, -v23
	v_dual_add_f32 v7, v7, v34 :: v_dual_fmac_f32 v22, v21, v20
	s_delay_alu instid0(VALU_DEP_1) | instskip(NEXT) | instid1(VALU_DEP_1)
	v_add_f32_e32 v20, v23, v22
	v_sub_f32_e32 v25, v18, v20
	s_delay_alu instid0(VALU_DEP_1) | instskip(NEXT) | instid1(VALU_DEP_1)
	v_dual_sub_f32 v23, v20, v23 :: v_dual_sub_f32 v18, v18, v25
	v_sub_f32_e32 v18, v18, v20
	s_delay_alu instid0(VALU_DEP_1) | instskip(NEXT) | instid1(VALU_DEP_3)
	v_dual_add_f32 v7, v7, v18 :: v_dual_add_f32 v18, v24, v21
	v_sub_f32_e32 v20, v23, v22
	s_delay_alu instid0(VALU_DEP_1) | instskip(NEXT) | instid1(VALU_DEP_1)
	v_dual_add_f32 v7, v20, v7 :: v_dual_sub_f32 v20, v18, v24
	v_add_f32_e32 v7, v25, v7
	s_delay_alu instid0(VALU_DEP_2) | instskip(NEXT) | instid1(VALU_DEP_2)
	v_sub_f32_e32 v20, v21, v20
	v_mul_f32_e32 v7, v13, v7
	s_delay_alu instid0(VALU_DEP_1) | instskip(NEXT) | instid1(VALU_DEP_1)
	v_add_f32_e32 v7, v20, v7
	v_add_f32_e32 v13, v18, v7
	s_delay_alu instid0(VALU_DEP_1) | instskip(NEXT) | instid1(VALU_DEP_1)
	v_mul_f32_e32 v20, v13, v13
	v_fmaak_f32 v21, s2, v20, 0x3ecc95a3
	v_mul_f32_e32 v22, v13, v20
	v_cmp_gt_f32_e64 s2, 0x33800000, |v2|
	s_delay_alu instid0(VALU_DEP_3) | instskip(SKIP_2) | instid1(VALU_DEP_4)
	v_fmaak_f32 v20, v20, v21, 0x3f2aaada
	v_ldexp_f32 v21, v13, 1
	v_sub_f32_e32 v13, v13, v18
	s_or_b32 vcc_lo, vcc_lo, s2
	s_delay_alu instid0(VALU_DEP_1) | instskip(NEXT) | instid1(VALU_DEP_1)
	v_sub_f32_e32 v7, v7, v13
	v_ldexp_f32 v7, v7, 1
	v_mul_f32_e32 v20, v22, v20
	s_delay_alu instid0(VALU_DEP_1) | instskip(NEXT) | instid1(VALU_DEP_1)
	v_add_f32_e32 v18, v21, v20
	v_sub_f32_e32 v13, v18, v21
	s_delay_alu instid0(VALU_DEP_1) | instskip(NEXT) | instid1(VALU_DEP_1)
	v_sub_f32_e32 v13, v20, v13
	v_add_f32_e32 v7, v7, v13
	s_delay_alu instid0(VALU_DEP_1) | instskip(SKIP_1) | instid1(VALU_DEP_1)
	v_add_f32_e32 v20, v18, v7
	v_mul_f32_e32 v22, 0x3f317218, v6
	v_fma_f32 v21, 0x3f317218, v6, -v22
	s_delay_alu instid0(VALU_DEP_1) | instskip(NEXT) | instid1(VALU_DEP_1)
	v_fmamk_f32 v6, v6, 0xb102e308, v21
	v_add_f32_e32 v13, v22, v6
	s_delay_alu instid0(VALU_DEP_1) | instskip(NEXT) | instid1(VALU_DEP_1)
	v_add_f32_e32 v21, v13, v20
	v_sub_f32_e32 v23, v21, v13
	s_delay_alu instid0(VALU_DEP_1) | instskip(SKIP_1) | instid1(VALU_DEP_1)
	v_sub_f32_e32 v24, v21, v23
	v_sub_f32_e32 v18, v20, v18
	v_dual_sub_f32 v7, v7, v18 :: v_dual_sub_f32 v18, v20, v23
	v_sub_f32_e32 v22, v13, v22
	s_delay_alu instid0(VALU_DEP_4) | instskip(NEXT) | instid1(VALU_DEP_1)
	v_sub_f32_e32 v13, v13, v24
	v_add_f32_e32 v13, v18, v13
	s_delay_alu instid0(VALU_DEP_3) | instskip(NEXT) | instid1(VALU_DEP_1)
	v_sub_f32_e32 v6, v6, v22
	v_add_f32_e32 v20, v6, v7
	s_delay_alu instid0(VALU_DEP_1) | instskip(SKIP_1) | instid1(VALU_DEP_1)
	v_add_f32_e32 v13, v20, v13
	v_sub_f32_e32 v18, v20, v6
	v_dual_add_f32 v22, v21, v13 :: v_dual_sub_f32 v7, v7, v18
	v_sub_f32_e32 v20, v20, v18
	s_delay_alu instid0(VALU_DEP_2) | instskip(NEXT) | instid1(VALU_DEP_2)
	v_sub_f32_e32 v18, v22, v21
	v_sub_f32_e32 v6, v6, v20
	s_delay_alu instid0(VALU_DEP_1) | instskip(NEXT) | instid1(VALU_DEP_3)
	v_add_f32_e32 v6, v7, v6
	v_sub_f32_e32 v7, v13, v18
	s_delay_alu instid0(VALU_DEP_1) | instskip(NEXT) | instid1(VALU_DEP_1)
	v_add_f32_e32 v6, v6, v7
	v_add_f32_e32 v6, v22, v6
	s_delay_alu instid0(VALU_DEP_1) | instskip(NEXT) | instid1(VALU_DEP_1)
	v_cndmask_b32_e32 v2, v6, v2, vcc_lo
	v_add_f32_e32 v2, v3, v2
	s_delay_alu instid0(VALU_DEP_1) | instskip(NEXT) | instid1(VALU_DEP_1)
	v_cvt_f16_f32_e32 v35, v2
	v_cvt_f32_f16_e32 v2, v35
	v_mov_b32_e32 v84, v35
.LBB362_350:
	s_or_b32 exec_lo, exec_lo, s1
	s_delay_alu instid0(VALU_DEP_2) | instskip(SKIP_1) | instid1(VALU_DEP_3)
	v_dual_max_f32 v3, v19, v19 :: v_dual_max_f32 v6, v2, v2
	v_cmp_u_f16_e32 vcc_lo, v35, v35
	v_mov_b32_e32 v85, v84
	s_delay_alu instid0(VALU_DEP_3) | instskip(NEXT) | instid1(VALU_DEP_1)
	v_min_f32_e32 v7, v6, v3
	v_dual_max_f32 v3, v6, v3 :: v_dual_cndmask_b32 v6, v7, v2
	s_delay_alu instid0(VALU_DEP_1) | instskip(NEXT) | instid1(VALU_DEP_2)
	v_cndmask_b32_e32 v3, v3, v2, vcc_lo
	v_cndmask_b32_e64 v6, v6, v19, s19
	s_delay_alu instid0(VALU_DEP_2) | instskip(NEXT) | instid1(VALU_DEP_2)
	v_cndmask_b32_e64 v3, v3, v19, s19
	v_cmp_class_f32_e64 s1, v6, 0x1f8
	s_delay_alu instid0(VALU_DEP_2) | instskip(NEXT) | instid1(VALU_DEP_2)
	v_cmp_neq_f32_e32 vcc_lo, v6, v3
	s_or_b32 s2, vcc_lo, s1
	s_delay_alu instid0(SALU_CYCLE_1)
	s_and_saveexec_b32 s1, s2
	s_cbranch_execz .LBB362_352
; %bb.351:
	v_sub_f32_e32 v2, v6, v3
	s_mov_b32 s2, 0x3e9b6dac
	s_delay_alu instid0(VALU_DEP_1) | instskip(SKIP_1) | instid1(VALU_DEP_2)
	v_mul_f32_e32 v6, 0x3fb8aa3b, v2
	v_cmp_ngt_f32_e32 vcc_lo, 0xc2ce8ed0, v2
	v_fma_f32 v7, 0x3fb8aa3b, v2, -v6
	v_rndne_f32_e32 v13, v6
	s_delay_alu instid0(VALU_DEP_2) | instskip(NEXT) | instid1(VALU_DEP_2)
	v_fmamk_f32 v7, v2, 0x32a5705f, v7
	v_sub_f32_e32 v6, v6, v13
	s_delay_alu instid0(VALU_DEP_1) | instskip(SKIP_1) | instid1(VALU_DEP_2)
	v_add_f32_e32 v6, v6, v7
	v_cvt_i32_f32_e32 v7, v13
	v_exp_f32_e32 v6, v6
	s_waitcnt_depctr 0xfff
	v_ldexp_f32 v6, v6, v7
	s_delay_alu instid0(VALU_DEP_1) | instskip(SKIP_1) | instid1(VALU_DEP_2)
	v_cndmask_b32_e32 v6, 0, v6, vcc_lo
	v_cmp_nlt_f32_e32 vcc_lo, 0x42b17218, v2
	v_cndmask_b32_e32 v2, 0x7f800000, v6, vcc_lo
	s_delay_alu instid0(VALU_DEP_1) | instskip(NEXT) | instid1(VALU_DEP_1)
	v_add_f32_e32 v13, 1.0, v2
	v_cvt_f64_f32_e32 v[6:7], v13
	s_delay_alu instid0(VALU_DEP_1) | instskip(SKIP_1) | instid1(VALU_DEP_1)
	v_frexp_exp_i32_f64_e32 v6, v[6:7]
	v_frexp_mant_f32_e32 v7, v13
	v_cmp_gt_f32_e32 vcc_lo, 0x3f2aaaab, v7
	v_add_f32_e32 v7, -1.0, v13
	s_delay_alu instid0(VALU_DEP_1) | instskip(NEXT) | instid1(VALU_DEP_1)
	v_sub_f32_e32 v19, v7, v13
	v_add_f32_e32 v19, 1.0, v19
	v_subrev_co_ci_u32_e32 v6, vcc_lo, 0, v6, vcc_lo
	v_cmp_eq_f32_e32 vcc_lo, 0x7f800000, v2
	s_delay_alu instid0(VALU_DEP_2) | instskip(SKIP_1) | instid1(VALU_DEP_2)
	v_sub_nc_u32_e32 v18, 0, v6
	v_cvt_f32_i32_e32 v6, v6
	v_ldexp_f32 v13, v13, v18
	s_delay_alu instid0(VALU_DEP_1) | instskip(NEXT) | instid1(VALU_DEP_1)
	v_dual_sub_f32 v7, v2, v7 :: v_dual_add_f32 v20, 1.0, v13
	v_add_f32_e32 v7, v7, v19
	s_delay_alu instid0(VALU_DEP_2) | instskip(NEXT) | instid1(VALU_DEP_2)
	v_add_f32_e32 v19, -1.0, v20
	v_ldexp_f32 v7, v7, v18
	s_delay_alu instid0(VALU_DEP_2) | instskip(NEXT) | instid1(VALU_DEP_1)
	v_dual_add_f32 v18, -1.0, v13 :: v_dual_sub_f32 v19, v13, v19
	v_add_f32_e32 v21, 1.0, v18
	s_delay_alu instid0(VALU_DEP_2) | instskip(NEXT) | instid1(VALU_DEP_2)
	v_add_f32_e32 v19, v7, v19
	v_sub_f32_e32 v13, v13, v21
	s_delay_alu instid0(VALU_DEP_1) | instskip(NEXT) | instid1(VALU_DEP_1)
	v_add_f32_e32 v7, v7, v13
	v_add_f32_e32 v22, v18, v7
	s_delay_alu instid0(VALU_DEP_1) | instskip(NEXT) | instid1(VALU_DEP_1)
	v_dual_add_f32 v21, v20, v19 :: v_dual_sub_f32 v18, v18, v22
	v_rcp_f32_e32 v13, v21
	v_sub_f32_e32 v20, v20, v21
	s_delay_alu instid0(VALU_DEP_1) | instskip(SKIP_2) | instid1(VALU_DEP_1)
	v_add_f32_e32 v19, v19, v20
	s_waitcnt_depctr 0xfff
	v_mul_f32_e32 v23, v22, v13
	v_mul_f32_e32 v24, v21, v23
	s_delay_alu instid0(VALU_DEP_1) | instskip(NEXT) | instid1(VALU_DEP_1)
	v_fma_f32 v20, v23, v21, -v24
	v_fmac_f32_e32 v20, v23, v19
	s_delay_alu instid0(VALU_DEP_1) | instskip(NEXT) | instid1(VALU_DEP_1)
	v_add_f32_e32 v25, v24, v20
	v_sub_f32_e32 v34, v22, v25
	s_delay_alu instid0(VALU_DEP_1) | instskip(SKIP_1) | instid1(VALU_DEP_2)
	v_sub_f32_e32 v22, v22, v34
	v_dual_add_f32 v7, v7, v18 :: v_dual_sub_f32 v18, v25, v24
	v_sub_f32_e32 v22, v22, v25
	s_delay_alu instid0(VALU_DEP_1) | instskip(NEXT) | instid1(VALU_DEP_1)
	v_dual_sub_f32 v18, v18, v20 :: v_dual_add_f32 v7, v7, v22
	v_add_f32_e32 v7, v18, v7
	s_delay_alu instid0(VALU_DEP_1) | instskip(NEXT) | instid1(VALU_DEP_1)
	v_add_f32_e32 v18, v34, v7
	v_mul_f32_e32 v20, v13, v18
	s_delay_alu instid0(VALU_DEP_1) | instskip(NEXT) | instid1(VALU_DEP_1)
	v_dual_sub_f32 v25, v34, v18 :: v_dual_mul_f32 v22, v21, v20
	v_add_f32_e32 v7, v7, v25
	s_delay_alu instid0(VALU_DEP_2) | instskip(NEXT) | instid1(VALU_DEP_1)
	v_fma_f32 v21, v20, v21, -v22
	v_fmac_f32_e32 v21, v20, v19
	s_delay_alu instid0(VALU_DEP_1) | instskip(NEXT) | instid1(VALU_DEP_1)
	v_add_f32_e32 v19, v22, v21
	v_sub_f32_e32 v24, v18, v19
	s_delay_alu instid0(VALU_DEP_1) | instskip(NEXT) | instid1(VALU_DEP_1)
	v_sub_f32_e32 v18, v18, v24
	v_sub_f32_e32 v18, v18, v19
	s_delay_alu instid0(VALU_DEP_1) | instskip(SKIP_2) | instid1(VALU_DEP_1)
	v_add_f32_e32 v7, v7, v18
	v_add_f32_e32 v18, v23, v20
	v_sub_f32_e32 v22, v19, v22
	v_sub_f32_e32 v19, v22, v21
	s_delay_alu instid0(VALU_DEP_1) | instskip(NEXT) | instid1(VALU_DEP_4)
	v_add_f32_e32 v7, v19, v7
	v_sub_f32_e32 v19, v18, v23
	s_delay_alu instid0(VALU_DEP_2) | instskip(NEXT) | instid1(VALU_DEP_2)
	v_add_f32_e32 v7, v24, v7
	v_sub_f32_e32 v19, v20, v19
	s_delay_alu instid0(VALU_DEP_2) | instskip(NEXT) | instid1(VALU_DEP_1)
	v_mul_f32_e32 v7, v13, v7
	v_add_f32_e32 v7, v19, v7
	s_delay_alu instid0(VALU_DEP_1) | instskip(NEXT) | instid1(VALU_DEP_1)
	v_add_f32_e32 v13, v18, v7
	v_mul_f32_e32 v19, v13, v13
	s_delay_alu instid0(VALU_DEP_1) | instskip(SKIP_2) | instid1(VALU_DEP_3)
	v_fmaak_f32 v20, s2, v19, 0x3ecc95a3
	v_mul_f32_e32 v21, v13, v19
	v_cmp_gt_f32_e64 s2, 0x33800000, |v2|
	v_fmaak_f32 v19, v19, v20, 0x3f2aaada
	v_ldexp_f32 v20, v13, 1
	v_sub_f32_e32 v13, v13, v18
	s_delay_alu instid0(VALU_DEP_4) | instskip(NEXT) | instid1(VALU_DEP_3)
	s_or_b32 vcc_lo, vcc_lo, s2
	v_mul_f32_e32 v19, v21, v19
	s_delay_alu instid0(VALU_DEP_1) | instskip(NEXT) | instid1(VALU_DEP_1)
	v_dual_sub_f32 v7, v7, v13 :: v_dual_add_f32 v18, v20, v19
	v_ldexp_f32 v7, v7, 1
	s_delay_alu instid0(VALU_DEP_2) | instskip(NEXT) | instid1(VALU_DEP_1)
	v_sub_f32_e32 v13, v18, v20
	v_sub_f32_e32 v13, v19, v13
	s_delay_alu instid0(VALU_DEP_1) | instskip(NEXT) | instid1(VALU_DEP_1)
	v_add_f32_e32 v7, v7, v13
	v_add_f32_e32 v19, v18, v7
	v_mul_f32_e32 v21, 0x3f317218, v6
	s_delay_alu instid0(VALU_DEP_2) | instskip(NEXT) | instid1(VALU_DEP_2)
	v_sub_f32_e32 v18, v19, v18
	v_fma_f32 v20, 0x3f317218, v6, -v21
	s_delay_alu instid0(VALU_DEP_1) | instskip(NEXT) | instid1(VALU_DEP_1)
	v_dual_sub_f32 v7, v7, v18 :: v_dual_fmamk_f32 v6, v6, 0xb102e308, v20
	v_add_f32_e32 v13, v21, v6
	s_delay_alu instid0(VALU_DEP_1) | instskip(SKIP_1) | instid1(VALU_DEP_2)
	v_add_f32_e32 v20, v13, v19
	v_sub_f32_e32 v21, v13, v21
	v_sub_f32_e32 v22, v20, v13
	s_delay_alu instid0(VALU_DEP_1) | instskip(NEXT) | instid1(VALU_DEP_1)
	v_dual_sub_f32 v6, v6, v21 :: v_dual_sub_f32 v23, v20, v22
	v_dual_sub_f32 v18, v19, v22 :: v_dual_add_f32 v19, v6, v7
	s_delay_alu instid0(VALU_DEP_2) | instskip(NEXT) | instid1(VALU_DEP_1)
	v_sub_f32_e32 v13, v13, v23
	v_dual_add_f32 v13, v18, v13 :: v_dual_sub_f32 v18, v19, v6
	s_delay_alu instid0(VALU_DEP_1) | instskip(NEXT) | instid1(VALU_DEP_2)
	v_add_f32_e32 v13, v19, v13
	v_sub_f32_e32 v19, v19, v18
	v_sub_f32_e32 v7, v7, v18
	s_delay_alu instid0(VALU_DEP_2) | instskip(NEXT) | instid1(VALU_DEP_1)
	v_dual_add_f32 v21, v20, v13 :: v_dual_sub_f32 v6, v6, v19
	v_sub_f32_e32 v18, v21, v20
	s_delay_alu instid0(VALU_DEP_2) | instskip(NEXT) | instid1(VALU_DEP_2)
	v_add_f32_e32 v6, v7, v6
	v_sub_f32_e32 v7, v13, v18
	s_delay_alu instid0(VALU_DEP_1) | instskip(NEXT) | instid1(VALU_DEP_1)
	v_add_f32_e32 v6, v6, v7
	v_add_f32_e32 v6, v21, v6
	s_delay_alu instid0(VALU_DEP_1) | instskip(NEXT) | instid1(VALU_DEP_1)
	v_cndmask_b32_e32 v2, v6, v2, vcc_lo
	v_add_f32_e32 v2, v3, v2
	s_delay_alu instid0(VALU_DEP_1) | instskip(NEXT) | instid1(VALU_DEP_1)
	v_cvt_f16_f32_e32 v35, v2
	v_cvt_f32_f16_e32 v2, v35
	v_mov_b32_e32 v85, v35
.LBB362_352:
	s_or_b32 exec_lo, exec_lo, s1
	s_delay_alu instid0(VALU_DEP_2) | instskip(SKIP_1) | instid1(VALU_DEP_2)
	v_dual_max_f32 v3, v37, v37 :: v_dual_max_f32 v6, v2, v2
	v_cmp_u_f16_e32 vcc_lo, v35, v35
	v_dual_mov_b32 v86, v85 :: v_dual_min_f32 v7, v6, v3
	s_delay_alu instid0(VALU_DEP_1) | instskip(NEXT) | instid1(VALU_DEP_1)
	v_dual_max_f32 v3, v6, v3 :: v_dual_cndmask_b32 v6, v7, v2
	v_cndmask_b32_e32 v3, v3, v2, vcc_lo
	s_delay_alu instid0(VALU_DEP_2) | instskip(NEXT) | instid1(VALU_DEP_2)
	v_cndmask_b32_e64 v6, v6, v37, s20
	v_cndmask_b32_e64 v3, v3, v37, s20
	s_delay_alu instid0(VALU_DEP_2) | instskip(NEXT) | instid1(VALU_DEP_2)
	v_cmp_class_f32_e64 s1, v6, 0x1f8
	v_cmp_neq_f32_e32 vcc_lo, v6, v3
	s_delay_alu instid0(VALU_DEP_2) | instskip(NEXT) | instid1(SALU_CYCLE_1)
	s_or_b32 s2, vcc_lo, s1
	s_and_saveexec_b32 s1, s2
	s_cbranch_execz .LBB362_354
; %bb.353:
	v_sub_f32_e32 v2, v6, v3
	s_mov_b32 s2, 0x3e9b6dac
	s_delay_alu instid0(VALU_DEP_1) | instskip(SKIP_1) | instid1(VALU_DEP_2)
	v_mul_f32_e32 v6, 0x3fb8aa3b, v2
	v_cmp_ngt_f32_e32 vcc_lo, 0xc2ce8ed0, v2
	v_fma_f32 v7, 0x3fb8aa3b, v2, -v6
	v_rndne_f32_e32 v13, v6
	s_delay_alu instid0(VALU_DEP_2) | instskip(NEXT) | instid1(VALU_DEP_2)
	v_fmamk_f32 v7, v2, 0x32a5705f, v7
	v_sub_f32_e32 v6, v6, v13
	s_delay_alu instid0(VALU_DEP_1) | instskip(SKIP_1) | instid1(VALU_DEP_2)
	v_add_f32_e32 v6, v6, v7
	v_cvt_i32_f32_e32 v7, v13
	v_exp_f32_e32 v6, v6
	s_waitcnt_depctr 0xfff
	v_ldexp_f32 v6, v6, v7
	s_delay_alu instid0(VALU_DEP_1) | instskip(SKIP_1) | instid1(VALU_DEP_2)
	v_cndmask_b32_e32 v6, 0, v6, vcc_lo
	v_cmp_nlt_f32_e32 vcc_lo, 0x42b17218, v2
	v_cndmask_b32_e32 v2, 0x7f800000, v6, vcc_lo
	s_delay_alu instid0(VALU_DEP_1) | instskip(NEXT) | instid1(VALU_DEP_1)
	v_add_f32_e32 v13, 1.0, v2
	v_cvt_f64_f32_e32 v[6:7], v13
	s_delay_alu instid0(VALU_DEP_1) | instskip(SKIP_1) | instid1(VALU_DEP_1)
	v_frexp_exp_i32_f64_e32 v6, v[6:7]
	v_frexp_mant_f32_e32 v7, v13
	v_cmp_gt_f32_e32 vcc_lo, 0x3f2aaaab, v7
	v_add_f32_e32 v7, -1.0, v13
	s_delay_alu instid0(VALU_DEP_1) | instskip(NEXT) | instid1(VALU_DEP_1)
	v_sub_f32_e32 v19, v7, v13
	v_add_f32_e32 v19, 1.0, v19
	v_subrev_co_ci_u32_e32 v6, vcc_lo, 0, v6, vcc_lo
	v_cmp_eq_f32_e32 vcc_lo, 0x7f800000, v2
	s_delay_alu instid0(VALU_DEP_2) | instskip(SKIP_1) | instid1(VALU_DEP_2)
	v_sub_nc_u32_e32 v18, 0, v6
	v_cvt_f32_i32_e32 v6, v6
	v_ldexp_f32 v13, v13, v18
	s_delay_alu instid0(VALU_DEP_1) | instskip(NEXT) | instid1(VALU_DEP_1)
	v_dual_sub_f32 v7, v2, v7 :: v_dual_add_f32 v20, 1.0, v13
	v_add_f32_e32 v7, v7, v19
	s_delay_alu instid0(VALU_DEP_2) | instskip(NEXT) | instid1(VALU_DEP_2)
	v_add_f32_e32 v19, -1.0, v20
	v_ldexp_f32 v7, v7, v18
	s_delay_alu instid0(VALU_DEP_2) | instskip(NEXT) | instid1(VALU_DEP_1)
	v_dual_add_f32 v18, -1.0, v13 :: v_dual_sub_f32 v19, v13, v19
	v_add_f32_e32 v21, 1.0, v18
	s_delay_alu instid0(VALU_DEP_2) | instskip(NEXT) | instid1(VALU_DEP_2)
	v_add_f32_e32 v19, v7, v19
	v_sub_f32_e32 v13, v13, v21
	s_delay_alu instid0(VALU_DEP_1) | instskip(NEXT) | instid1(VALU_DEP_1)
	v_add_f32_e32 v7, v7, v13
	v_add_f32_e32 v22, v18, v7
	s_delay_alu instid0(VALU_DEP_1) | instskip(NEXT) | instid1(VALU_DEP_1)
	v_dual_add_f32 v21, v20, v19 :: v_dual_sub_f32 v18, v18, v22
	v_rcp_f32_e32 v13, v21
	v_sub_f32_e32 v20, v20, v21
	s_delay_alu instid0(VALU_DEP_1) | instskip(SKIP_2) | instid1(VALU_DEP_1)
	v_add_f32_e32 v19, v19, v20
	s_waitcnt_depctr 0xfff
	v_mul_f32_e32 v23, v22, v13
	v_mul_f32_e32 v24, v21, v23
	s_delay_alu instid0(VALU_DEP_1) | instskip(NEXT) | instid1(VALU_DEP_1)
	v_fma_f32 v20, v23, v21, -v24
	v_fmac_f32_e32 v20, v23, v19
	s_delay_alu instid0(VALU_DEP_1) | instskip(NEXT) | instid1(VALU_DEP_1)
	v_add_f32_e32 v25, v24, v20
	v_sub_f32_e32 v34, v22, v25
	s_delay_alu instid0(VALU_DEP_1) | instskip(SKIP_1) | instid1(VALU_DEP_2)
	v_sub_f32_e32 v22, v22, v34
	v_dual_add_f32 v7, v7, v18 :: v_dual_sub_f32 v18, v25, v24
	v_sub_f32_e32 v22, v22, v25
	s_delay_alu instid0(VALU_DEP_1) | instskip(NEXT) | instid1(VALU_DEP_1)
	v_dual_sub_f32 v18, v18, v20 :: v_dual_add_f32 v7, v7, v22
	v_add_f32_e32 v7, v18, v7
	s_delay_alu instid0(VALU_DEP_1) | instskip(NEXT) | instid1(VALU_DEP_1)
	v_add_f32_e32 v18, v34, v7
	v_mul_f32_e32 v20, v13, v18
	s_delay_alu instid0(VALU_DEP_1) | instskip(NEXT) | instid1(VALU_DEP_1)
	v_dual_sub_f32 v25, v34, v18 :: v_dual_mul_f32 v22, v21, v20
	v_add_f32_e32 v7, v7, v25
	s_delay_alu instid0(VALU_DEP_2) | instskip(NEXT) | instid1(VALU_DEP_1)
	v_fma_f32 v21, v20, v21, -v22
	v_fmac_f32_e32 v21, v20, v19
	s_delay_alu instid0(VALU_DEP_1) | instskip(NEXT) | instid1(VALU_DEP_1)
	v_add_f32_e32 v19, v22, v21
	v_sub_f32_e32 v24, v18, v19
	s_delay_alu instid0(VALU_DEP_1) | instskip(NEXT) | instid1(VALU_DEP_1)
	v_sub_f32_e32 v18, v18, v24
	v_sub_f32_e32 v18, v18, v19
	s_delay_alu instid0(VALU_DEP_1) | instskip(SKIP_2) | instid1(VALU_DEP_1)
	v_add_f32_e32 v7, v7, v18
	v_add_f32_e32 v18, v23, v20
	v_sub_f32_e32 v22, v19, v22
	v_sub_f32_e32 v19, v22, v21
	s_delay_alu instid0(VALU_DEP_1) | instskip(NEXT) | instid1(VALU_DEP_4)
	v_add_f32_e32 v7, v19, v7
	v_sub_f32_e32 v19, v18, v23
	s_delay_alu instid0(VALU_DEP_2) | instskip(NEXT) | instid1(VALU_DEP_2)
	v_add_f32_e32 v7, v24, v7
	v_sub_f32_e32 v19, v20, v19
	s_delay_alu instid0(VALU_DEP_2) | instskip(NEXT) | instid1(VALU_DEP_1)
	v_mul_f32_e32 v7, v13, v7
	v_add_f32_e32 v7, v19, v7
	s_delay_alu instid0(VALU_DEP_1) | instskip(NEXT) | instid1(VALU_DEP_1)
	v_add_f32_e32 v13, v18, v7
	v_mul_f32_e32 v19, v13, v13
	s_delay_alu instid0(VALU_DEP_1) | instskip(SKIP_2) | instid1(VALU_DEP_3)
	v_fmaak_f32 v20, s2, v19, 0x3ecc95a3
	v_mul_f32_e32 v21, v13, v19
	v_cmp_gt_f32_e64 s2, 0x33800000, |v2|
	v_fmaak_f32 v19, v19, v20, 0x3f2aaada
	v_ldexp_f32 v20, v13, 1
	v_sub_f32_e32 v13, v13, v18
	s_delay_alu instid0(VALU_DEP_4) | instskip(NEXT) | instid1(VALU_DEP_3)
	s_or_b32 vcc_lo, vcc_lo, s2
	v_mul_f32_e32 v19, v21, v19
	s_delay_alu instid0(VALU_DEP_1) | instskip(NEXT) | instid1(VALU_DEP_1)
	v_dual_sub_f32 v7, v7, v13 :: v_dual_add_f32 v18, v20, v19
	v_ldexp_f32 v7, v7, 1
	s_delay_alu instid0(VALU_DEP_2) | instskip(NEXT) | instid1(VALU_DEP_1)
	v_sub_f32_e32 v13, v18, v20
	v_sub_f32_e32 v13, v19, v13
	s_delay_alu instid0(VALU_DEP_1) | instskip(NEXT) | instid1(VALU_DEP_1)
	v_add_f32_e32 v7, v7, v13
	v_add_f32_e32 v19, v18, v7
	v_mul_f32_e32 v21, 0x3f317218, v6
	s_delay_alu instid0(VALU_DEP_2) | instskip(NEXT) | instid1(VALU_DEP_2)
	v_sub_f32_e32 v18, v19, v18
	v_fma_f32 v20, 0x3f317218, v6, -v21
	s_delay_alu instid0(VALU_DEP_1) | instskip(NEXT) | instid1(VALU_DEP_1)
	v_dual_sub_f32 v7, v7, v18 :: v_dual_fmamk_f32 v6, v6, 0xb102e308, v20
	v_add_f32_e32 v13, v21, v6
	s_delay_alu instid0(VALU_DEP_1) | instskip(SKIP_1) | instid1(VALU_DEP_2)
	v_add_f32_e32 v20, v13, v19
	v_sub_f32_e32 v21, v13, v21
	v_sub_f32_e32 v22, v20, v13
	s_delay_alu instid0(VALU_DEP_1) | instskip(NEXT) | instid1(VALU_DEP_1)
	v_dual_sub_f32 v6, v6, v21 :: v_dual_sub_f32 v23, v20, v22
	v_dual_sub_f32 v18, v19, v22 :: v_dual_add_f32 v19, v6, v7
	s_delay_alu instid0(VALU_DEP_2) | instskip(NEXT) | instid1(VALU_DEP_1)
	v_sub_f32_e32 v13, v13, v23
	v_dual_add_f32 v13, v18, v13 :: v_dual_sub_f32 v18, v19, v6
	s_delay_alu instid0(VALU_DEP_1) | instskip(NEXT) | instid1(VALU_DEP_2)
	v_add_f32_e32 v13, v19, v13
	v_sub_f32_e32 v19, v19, v18
	v_sub_f32_e32 v7, v7, v18
	s_delay_alu instid0(VALU_DEP_2) | instskip(NEXT) | instid1(VALU_DEP_1)
	v_dual_add_f32 v21, v20, v13 :: v_dual_sub_f32 v6, v6, v19
	v_sub_f32_e32 v18, v21, v20
	s_delay_alu instid0(VALU_DEP_2) | instskip(NEXT) | instid1(VALU_DEP_2)
	v_add_f32_e32 v6, v7, v6
	v_sub_f32_e32 v7, v13, v18
	s_delay_alu instid0(VALU_DEP_1) | instskip(NEXT) | instid1(VALU_DEP_1)
	v_add_f32_e32 v6, v6, v7
	v_add_f32_e32 v6, v21, v6
	s_delay_alu instid0(VALU_DEP_1) | instskip(NEXT) | instid1(VALU_DEP_1)
	v_cndmask_b32_e32 v2, v6, v2, vcc_lo
	v_add_f32_e32 v2, v3, v2
	s_delay_alu instid0(VALU_DEP_1) | instskip(NEXT) | instid1(VALU_DEP_1)
	v_cvt_f16_f32_e32 v35, v2
	v_mov_b32_e32 v86, v35
	v_cvt_f32_f16_e32 v2, v35
.LBB362_354:
	s_or_b32 exec_lo, exec_lo, s1
	s_delay_alu instid0(VALU_DEP_1) | instskip(SKIP_2) | instid1(VALU_DEP_3)
	v_dual_max_f32 v3, v36, v36 :: v_dual_max_f32 v6, v2, v2
	v_cmp_u_f16_e32 vcc_lo, v35, v35
	v_mov_b32_e32 v96, v86
	v_min_f32_e32 v7, v6, v3
	s_delay_alu instid0(VALU_DEP_1) | instskip(NEXT) | instid1(VALU_DEP_1)
	v_dual_max_f32 v3, v6, v3 :: v_dual_cndmask_b32 v6, v7, v2
	v_cndmask_b32_e32 v2, v3, v2, vcc_lo
	s_delay_alu instid0(VALU_DEP_2) | instskip(NEXT) | instid1(VALU_DEP_2)
	v_cndmask_b32_e64 v3, v6, v36, s21
	v_cndmask_b32_e64 v2, v2, v36, s21
	s_delay_alu instid0(VALU_DEP_2) | instskip(NEXT) | instid1(VALU_DEP_2)
	v_cmp_class_f32_e64 s1, v3, 0x1f8
	v_cmp_neq_f32_e32 vcc_lo, v3, v2
	s_delay_alu instid0(VALU_DEP_2) | instskip(NEXT) | instid1(SALU_CYCLE_1)
	s_or_b32 s2, vcc_lo, s1
	s_and_saveexec_b32 s1, s2
	s_cbranch_execz .LBB362_356
; %bb.355:
	v_sub_f32_e32 v3, v3, v2
	s_mov_b32 s2, 0x3e9b6dac
	s_delay_alu instid0(VALU_DEP_1) | instskip(NEXT) | instid1(VALU_DEP_1)
	v_mul_f32_e32 v6, 0x3fb8aa3b, v3
	v_fma_f32 v7, 0x3fb8aa3b, v3, -v6
	v_rndne_f32_e32 v13, v6
	s_delay_alu instid0(VALU_DEP_1) | instskip(SKIP_1) | instid1(VALU_DEP_4)
	v_sub_f32_e32 v6, v6, v13
	v_cmp_ngt_f32_e32 vcc_lo, 0xc2ce8ed0, v3
	v_fmamk_f32 v7, v3, 0x32a5705f, v7
	s_delay_alu instid0(VALU_DEP_1) | instskip(SKIP_1) | instid1(VALU_DEP_2)
	v_add_f32_e32 v6, v6, v7
	v_cvt_i32_f32_e32 v7, v13
	v_exp_f32_e32 v6, v6
	s_waitcnt_depctr 0xfff
	v_ldexp_f32 v6, v6, v7
	s_delay_alu instid0(VALU_DEP_1) | instskip(SKIP_1) | instid1(VALU_DEP_2)
	v_cndmask_b32_e32 v6, 0, v6, vcc_lo
	v_cmp_nlt_f32_e32 vcc_lo, 0x42b17218, v3
	v_cndmask_b32_e32 v3, 0x7f800000, v6, vcc_lo
	s_delay_alu instid0(VALU_DEP_1) | instskip(NEXT) | instid1(VALU_DEP_1)
	v_add_f32_e32 v13, 1.0, v3
	v_cvt_f64_f32_e32 v[6:7], v13
	s_delay_alu instid0(VALU_DEP_1) | instskip(SKIP_1) | instid1(VALU_DEP_1)
	v_frexp_exp_i32_f64_e32 v6, v[6:7]
	v_frexp_mant_f32_e32 v7, v13
	v_cmp_gt_f32_e32 vcc_lo, 0x3f2aaaab, v7
	v_add_f32_e32 v7, -1.0, v13
	s_delay_alu instid0(VALU_DEP_1) | instskip(NEXT) | instid1(VALU_DEP_1)
	v_sub_f32_e32 v19, v7, v13
	v_add_f32_e32 v19, 1.0, v19
	v_subrev_co_ci_u32_e32 v6, vcc_lo, 0, v6, vcc_lo
	s_delay_alu instid0(VALU_DEP_1) | instskip(SKIP_1) | instid1(VALU_DEP_2)
	v_sub_nc_u32_e32 v18, 0, v6
	v_cvt_f32_i32_e32 v6, v6
	v_ldexp_f32 v13, v13, v18
	s_delay_alu instid0(VALU_DEP_1) | instskip(SKIP_1) | instid1(VALU_DEP_2)
	v_dual_add_f32 v20, 1.0, v13 :: v_dual_sub_f32 v7, v3, v7
	v_cmp_eq_f32_e32 vcc_lo, 0x7f800000, v3
	v_add_f32_e32 v7, v7, v19
	s_delay_alu instid0(VALU_DEP_1) | instskip(NEXT) | instid1(VALU_DEP_4)
	v_ldexp_f32 v7, v7, v18
	v_dual_add_f32 v18, -1.0, v13 :: v_dual_add_f32 v19, -1.0, v20
	s_delay_alu instid0(VALU_DEP_1) | instskip(NEXT) | instid1(VALU_DEP_2)
	v_add_f32_e32 v21, 1.0, v18
	v_sub_f32_e32 v19, v13, v19
	s_delay_alu instid0(VALU_DEP_2) | instskip(NEXT) | instid1(VALU_DEP_2)
	v_sub_f32_e32 v13, v13, v21
	v_add_f32_e32 v19, v7, v19
	s_delay_alu instid0(VALU_DEP_1) | instskip(NEXT) | instid1(VALU_DEP_3)
	v_add_f32_e32 v21, v20, v19
	v_add_f32_e32 v7, v7, v13
	s_delay_alu instid0(VALU_DEP_2) | instskip(NEXT) | instid1(VALU_DEP_1)
	v_rcp_f32_e32 v13, v21
	v_add_f32_e32 v22, v18, v7
	v_sub_f32_e32 v20, v20, v21
	s_delay_alu instid0(VALU_DEP_1) | instskip(SKIP_2) | instid1(VALU_DEP_1)
	v_dual_sub_f32 v18, v18, v22 :: v_dual_add_f32 v19, v19, v20
	s_waitcnt_depctr 0xfff
	v_mul_f32_e32 v23, v22, v13
	v_dual_mul_f32 v24, v21, v23 :: v_dual_add_f32 v7, v7, v18
	s_delay_alu instid0(VALU_DEP_1) | instskip(NEXT) | instid1(VALU_DEP_1)
	v_fma_f32 v20, v23, v21, -v24
	v_fmac_f32_e32 v20, v23, v19
	s_delay_alu instid0(VALU_DEP_1) | instskip(NEXT) | instid1(VALU_DEP_1)
	v_add_f32_e32 v25, v24, v20
	v_sub_f32_e32 v34, v22, v25
	v_sub_f32_e32 v18, v25, v24
	s_delay_alu instid0(VALU_DEP_2) | instskip(NEXT) | instid1(VALU_DEP_2)
	v_sub_f32_e32 v22, v22, v34
	v_sub_f32_e32 v18, v18, v20
	s_delay_alu instid0(VALU_DEP_2) | instskip(NEXT) | instid1(VALU_DEP_1)
	v_sub_f32_e32 v22, v22, v25
	v_add_f32_e32 v7, v7, v22
	s_delay_alu instid0(VALU_DEP_1) | instskip(NEXT) | instid1(VALU_DEP_1)
	v_add_f32_e32 v7, v18, v7
	v_add_f32_e32 v18, v34, v7
	s_delay_alu instid0(VALU_DEP_1) | instskip(NEXT) | instid1(VALU_DEP_1)
	v_mul_f32_e32 v20, v13, v18
	v_dual_sub_f32 v25, v34, v18 :: v_dual_mul_f32 v22, v21, v20
	s_delay_alu instid0(VALU_DEP_1) | instskip(NEXT) | instid1(VALU_DEP_1)
	v_fma_f32 v21, v20, v21, -v22
	v_fmac_f32_e32 v21, v20, v19
	s_delay_alu instid0(VALU_DEP_1) | instskip(NEXT) | instid1(VALU_DEP_1)
	v_add_f32_e32 v19, v22, v21
	v_sub_f32_e32 v24, v18, v19
	v_sub_f32_e32 v22, v19, v22
	s_delay_alu instid0(VALU_DEP_2) | instskip(NEXT) | instid1(VALU_DEP_1)
	v_dual_sub_f32 v18, v18, v24 :: v_dual_add_f32 v7, v7, v25
	v_sub_f32_e32 v18, v18, v19
	s_delay_alu instid0(VALU_DEP_1) | instskip(NEXT) | instid1(VALU_DEP_4)
	v_add_f32_e32 v7, v7, v18
	v_dual_add_f32 v18, v23, v20 :: v_dual_sub_f32 v19, v22, v21
	s_delay_alu instid0(VALU_DEP_1) | instskip(NEXT) | instid1(VALU_DEP_2)
	v_add_f32_e32 v7, v19, v7
	v_sub_f32_e32 v19, v18, v23
	s_delay_alu instid0(VALU_DEP_2) | instskip(NEXT) | instid1(VALU_DEP_2)
	v_add_f32_e32 v7, v24, v7
	v_sub_f32_e32 v19, v20, v19
	s_delay_alu instid0(VALU_DEP_2) | instskip(NEXT) | instid1(VALU_DEP_1)
	v_mul_f32_e32 v7, v13, v7
	v_add_f32_e32 v7, v19, v7
	s_delay_alu instid0(VALU_DEP_1) | instskip(NEXT) | instid1(VALU_DEP_1)
	v_add_f32_e32 v13, v18, v7
	v_mul_f32_e32 v19, v13, v13
	s_delay_alu instid0(VALU_DEP_1) | instskip(SKIP_2) | instid1(VALU_DEP_3)
	v_fmaak_f32 v20, s2, v19, 0x3ecc95a3
	v_mul_f32_e32 v21, v13, v19
	v_cmp_gt_f32_e64 s2, 0x33800000, |v3|
	v_fmaak_f32 v19, v19, v20, 0x3f2aaada
	v_ldexp_f32 v20, v13, 1
	v_sub_f32_e32 v13, v13, v18
	s_delay_alu instid0(VALU_DEP_4) | instskip(NEXT) | instid1(VALU_DEP_3)
	s_or_b32 vcc_lo, vcc_lo, s2
	v_mul_f32_e32 v19, v21, v19
	s_delay_alu instid0(VALU_DEP_1) | instskip(NEXT) | instid1(VALU_DEP_1)
	v_dual_sub_f32 v7, v7, v13 :: v_dual_add_f32 v18, v20, v19
	v_ldexp_f32 v7, v7, 1
	s_delay_alu instid0(VALU_DEP_2) | instskip(NEXT) | instid1(VALU_DEP_1)
	v_sub_f32_e32 v13, v18, v20
	v_sub_f32_e32 v13, v19, v13
	s_delay_alu instid0(VALU_DEP_1) | instskip(NEXT) | instid1(VALU_DEP_1)
	v_add_f32_e32 v7, v7, v13
	v_add_f32_e32 v19, v18, v7
	v_mul_f32_e32 v21, 0x3f317218, v6
	s_delay_alu instid0(VALU_DEP_2) | instskip(NEXT) | instid1(VALU_DEP_2)
	v_sub_f32_e32 v18, v19, v18
	v_fma_f32 v20, 0x3f317218, v6, -v21
	s_delay_alu instid0(VALU_DEP_1) | instskip(NEXT) | instid1(VALU_DEP_1)
	v_dual_sub_f32 v7, v7, v18 :: v_dual_fmamk_f32 v6, v6, 0xb102e308, v20
	v_add_f32_e32 v13, v21, v6
	s_delay_alu instid0(VALU_DEP_1) | instskip(SKIP_1) | instid1(VALU_DEP_2)
	v_add_f32_e32 v20, v13, v19
	v_sub_f32_e32 v21, v13, v21
	v_sub_f32_e32 v22, v20, v13
	s_delay_alu instid0(VALU_DEP_1) | instskip(NEXT) | instid1(VALU_DEP_1)
	v_dual_sub_f32 v6, v6, v21 :: v_dual_sub_f32 v23, v20, v22
	v_dual_sub_f32 v18, v19, v22 :: v_dual_add_f32 v19, v6, v7
	s_delay_alu instid0(VALU_DEP_2) | instskip(NEXT) | instid1(VALU_DEP_1)
	v_sub_f32_e32 v13, v13, v23
	v_dual_add_f32 v13, v18, v13 :: v_dual_sub_f32 v18, v19, v6
	s_delay_alu instid0(VALU_DEP_1) | instskip(NEXT) | instid1(VALU_DEP_2)
	v_add_f32_e32 v13, v19, v13
	v_sub_f32_e32 v19, v19, v18
	v_sub_f32_e32 v7, v7, v18
	s_delay_alu instid0(VALU_DEP_2) | instskip(NEXT) | instid1(VALU_DEP_1)
	v_dual_add_f32 v21, v20, v13 :: v_dual_sub_f32 v6, v6, v19
	v_sub_f32_e32 v18, v21, v20
	s_delay_alu instid0(VALU_DEP_2) | instskip(NEXT) | instid1(VALU_DEP_2)
	v_add_f32_e32 v6, v7, v6
	v_sub_f32_e32 v7, v13, v18
	s_delay_alu instid0(VALU_DEP_1) | instskip(NEXT) | instid1(VALU_DEP_1)
	v_add_f32_e32 v6, v6, v7
	v_add_f32_e32 v6, v21, v6
	s_delay_alu instid0(VALU_DEP_1) | instskip(NEXT) | instid1(VALU_DEP_1)
	v_cndmask_b32_e32 v3, v6, v3, vcc_lo
	v_add_f32_e32 v2, v2, v3
	s_delay_alu instid0(VALU_DEP_1)
	v_cvt_f16_f32_e32 v96, v2
.LBB362_356:
	s_or_b32 exec_lo, exec_lo, s1
	s_delay_alu instid0(SALU_CYCLE_1)
	s_mov_b32 s1, exec_lo
	v_cmpx_eq_u32_e32 63, v0
	s_cbranch_execz .LBB362_358
; %bb.357:
	v_and_b32_e32 v2, 0xffff, v96
	s_delay_alu instid0(VALU_DEP_1)
	v_or_b32_e32 v2, 0x20000, v2
	flat_store_b32 v[14:15], v2 offset:128
.LBB362_358:
	s_or_b32 exec_lo, exec_lo, s1
	v_mov_b32_e32 v101, v12
.LBB362_359:
	v_add_co_u32 v2, vcc_lo, v10, v16
	v_add_co_ci_u32_e32 v3, vcc_lo, v11, v17, vcc_lo
	v_perm_b32 v6, v28, v27, 0x5040100
	s_delay_alu instid0(VALU_DEP_3) | instskip(NEXT) | instid1(VALU_DEP_3)
	v_add_co_u32 v2, vcc_lo, v2, s28
	v_add_co_ci_u32_e32 v3, vcc_lo, s29, v3, vcc_lo
	v_perm_b32 v7, v26, v101, 0x5040100
	v_perm_b32 v10, v65, v64, 0x5040100
	v_perm_b32 v11, v55, v29, 0x5040100
	v_perm_b32 v12, v69, v68, 0x5040100
	v_perm_b32 v13, v67, v66, 0x5040100
	v_perm_b32 v14, v81, v80, 0x5040100
	v_perm_b32 v15, v71, v70, 0x5040100
	v_perm_b32 v16, v85, v84, 0x5040100
	v_perm_b32 v17, v83, v82, 0x5040100
	v_perm_b32 v18, v96, v86, 0x5040100
	s_waitcnt lgkmcnt(0)
	s_waitcnt_vscnt null, 0x0
	s_barrier
	buffer_gl0_inv
	s_and_saveexec_b32 s1, s0
	s_delay_alu instid0(SALU_CYCLE_1)
	s_xor_b32 s0, exec_lo, s1
	s_cbranch_execz .LBB362_361
; %bb.360:
	v_add_co_u32 v0, vcc_lo, v2, v32
	ds_store_2addr_b32 v1, v7, v6 offset1:1
	ds_store_2addr_b32 v1, v11, v10 offset0:2 offset1:3
	ds_store_2addr_b32 v1, v13, v12 offset0:4 offset1:5
	;; [unrolled: 1-line block ×4, first 2 shown]
	ds_store_b32 v1, v18 offset:40
	s_waitcnt lgkmcnt(0)
	s_barrier
	buffer_gl0_inv
	ds_load_u16 v4, v32
	ds_load_u16 v5, v32 offset:128
	ds_load_u16 v6, v32 offset:256
	;; [unrolled: 1-line block ×15, first 2 shown]
	v_add_co_ci_u32_e32 v1, vcc_lo, 0, v3, vcc_lo
	ds_load_u16 v2, v32 offset:2048
	ds_load_u16 v3, v32 offset:2176
	;; [unrolled: 1-line block ×6, first 2 shown]
                                        ; implicit-def: $vgpr33
                                        ; implicit-def: $vgpr30
                                        ; implicit-def: $vgpr31
                                        ; implicit-def: $vgpr32
	s_waitcnt lgkmcnt(21)
	flat_store_b16 v[0:1], v4
	s_waitcnt lgkmcnt(21)
	flat_store_b16 v[0:1], v5 offset:128
	s_waitcnt lgkmcnt(21)
	flat_store_b16 v[0:1], v6 offset:256
	;; [unrolled: 2-line block ×21, first 2 shown]
                                        ; implicit-def: $vgpr2_vgpr3_vgpr4_vgpr5
                                        ; implicit-def: $vgpr6_vgpr7_vgpr8_vgpr9
                                        ; implicit-def: $vgpr0
                                        ; implicit-def: $vgpr1
                                        ; implicit-def: $vgpr2
                                        ; implicit-def: $vgpr3
                                        ; implicit-def: $vgpr6
                                        ; implicit-def: $vgpr7
                                        ; implicit-def: $vgpr10
                                        ; implicit-def: $vgpr11
                                        ; implicit-def: $vgpr12
                                        ; implicit-def: $vgpr13
                                        ; implicit-def: $vgpr14
                                        ; implicit-def: $vgpr15
                                        ; implicit-def: $vgpr16
                                        ; implicit-def: $vgpr17
                                        ; implicit-def: $vgpr18
.LBB362_361:
	s_and_not1_saveexec_b32 s1, s0
	s_cbranch_execz .LBB362_489
; %bb.362:
	ds_store_2addr_b32 v1, v7, v6 offset1:1
	ds_store_2addr_b32 v1, v11, v10 offset0:2 offset1:3
	ds_store_2addr_b32 v1, v13, v12 offset0:4 offset1:5
	;; [unrolled: 1-line block ×4, first 2 shown]
	ds_store_b32 v1, v18 offset:40
	s_waitcnt lgkmcnt(0)
	s_waitcnt_vscnt null, 0x0
	s_barrier
	buffer_gl0_inv
	ds_load_u16 v7, v32
	ds_load_u16 v6, v32 offset:128
	ds_load_u16 v11, v32 offset:256
	;; [unrolled: 1-line block ×21, first 2 shown]
	v_add_co_u32 v2, vcc_lo, v2, v32
	v_mov_b32_e32 v1, 0
	v_add_co_ci_u32_e32 v3, vcc_lo, 0, v3, vcc_lo
	s_mov_b32 s0, exec_lo
	v_cmpx_lt_u32_e64 v0, v30
	s_cbranch_execz .LBB362_364
; %bb.363:
	s_waitcnt lgkmcnt(21)
	flat_store_b16 v[2:3], v7
.LBB362_364:
	s_or_b32 exec_lo, exec_lo, s0
	v_add_nc_u32_e32 v32, 64, v0
	s_mov_b32 s0, exec_lo
	s_delay_alu instid0(VALU_DEP_1)
	v_cmpx_lt_u32_e64 v32, v30
	s_cbranch_execz .LBB362_366
; %bb.365:
	s_waitcnt lgkmcnt(20)
	flat_store_b16 v[2:3], v6 offset:128
.LBB362_366:
	s_or_b32 exec_lo, exec_lo, s0
	v_add_nc_u32_e32 v32, 0x80, v0
	s_mov_b32 s0, exec_lo
	s_delay_alu instid0(VALU_DEP_1)
	v_cmpx_lt_u32_e64 v32, v30
	s_cbranch_execz .LBB362_368
; %bb.367:
	s_waitcnt lgkmcnt(19)
	flat_store_b16 v[2:3], v11 offset:256
.LBB362_368:
	;; [unrolled: 10-line block ×15, first 2 shown]
	s_or_b32 exec_lo, exec_lo, s0
	v_or_b32_e32 v32, 0x400, v0
	s_mov_b32 s0, exec_lo
	s_delay_alu instid0(VALU_DEP_1)
	v_cmpx_lt_u32_e64 v32, v30
	s_cbranch_execz .LBB362_396
; %bb.395:
	s_waitcnt lgkmcnt(5)
	flat_store_b16 v[2:3], v25 offset:2048
.LBB362_396:
	s_or_b32 exec_lo, exec_lo, s0
	v_add_nc_u32_e32 v32, 0x440, v0
	s_mov_b32 s0, exec_lo
	s_delay_alu instid0(VALU_DEP_1)
	v_cmpx_lt_u32_e64 v32, v30
	s_cbranch_execz .LBB362_398
; %bb.397:
	s_waitcnt lgkmcnt(4)
	flat_store_b16 v[2:3], v23 offset:2176
.LBB362_398:
	s_or_b32 exec_lo, exec_lo, s0
	v_add_nc_u32_e32 v32, 0x480, v0
	;; [unrolled: 10-line block ×5, first 2 shown]
	s_mov_b32 s0, exec_lo
	s_delay_alu instid0(VALU_DEP_1)
	v_cmpx_lt_u32_e64 v32, v30
	s_cbranch_execz .LBB362_406
; %bb.405:
	s_waitcnt lgkmcnt(0)
	flat_store_b16 v[2:3], v29 offset:2688
.LBB362_406:
	s_or_b32 exec_lo, exec_lo, s0
	s_delay_alu instid0(SALU_CYCLE_1)
	s_mov_b32 s2, exec_lo
	v_cmpx_lt_u64_e32 1, v[8:9]
	s_cbranch_execz .LBB362_488
; %bb.407:
	s_add_u32 s0, 0, 0x2e8b0a00
	s_addc_u32 s3, 0, 42
	s_mul_hi_u32 s5, s0, 0xffffffea
	s_add_i32 s3, s3, 0xba2e890
	s_sub_i32 s5, s5, s0
	s_mul_i32 s6, s3, 0xffffffea
	s_mul_i32 s4, s0, 0xffffffea
	s_add_i32 s5, s5, s6
	s_mul_hi_u32 s7, s3, s4
	s_mul_i32 s6, s3, s4
	s_mul_i32 s8, s0, s5
	s_mul_hi_u32 s4, s0, s4
	s_mul_hi_u32 s9, s0, s5
	s_add_u32 s4, s4, s8
	s_addc_u32 s8, 0, s9
	s_mul_hi_u32 s9, s3, s5
	s_add_u32 s4, s4, s6
	s_addc_u32 s4, s8, s7
	s_mul_i32 s5, s3, s5
	s_addc_u32 s6, s9, 0
	s_add_u32 s4, s4, s5
	v_add_co_u32 v2, vcc_lo, v30, -1
	v_add_co_u32 v32, s0, s0, s4
	s_addc_u32 s4, 0, s6
	s_cmp_lg_u32 s0, 0
	v_add_co_ci_u32_e32 v3, vcc_lo, -1, v31, vcc_lo
	s_addc_u32 s0, s3, s4
	v_mul_hi_u32 v34, v2, v32
	v_mad_u64_u32 v[8:9], null, v2, s0, 0
	s_delay_alu instid0(VALU_DEP_3) | instskip(NEXT) | instid1(VALU_DEP_2)
	v_mad_u64_u32 v[30:31], null, v3, v32, 0
	v_add_co_u32 v32, vcc_lo, v34, v8
	s_delay_alu instid0(VALU_DEP_3) | instskip(SKIP_1) | instid1(VALU_DEP_3)
	v_add_co_ci_u32_e32 v34, vcc_lo, 0, v9, vcc_lo
	v_mad_u64_u32 v[8:9], null, v3, s0, 0
	v_add_co_u32 v30, vcc_lo, v32, v30
	s_delay_alu instid0(VALU_DEP_3) | instskip(NEXT) | instid1(VALU_DEP_3)
	v_add_co_ci_u32_e32 v30, vcc_lo, v34, v31, vcc_lo
	v_add_co_ci_u32_e32 v9, vcc_lo, 0, v9, vcc_lo
	s_delay_alu instid0(VALU_DEP_2) | instskip(NEXT) | instid1(VALU_DEP_2)
	v_add_co_u32 v32, vcc_lo, v30, v8
	v_add_co_ci_u32_e32 v34, vcc_lo, 0, v9, vcc_lo
	s_delay_alu instid0(VALU_DEP_2) | instskip(SKIP_1) | instid1(VALU_DEP_1)
	v_mad_u64_u32 v[8:9], null, v32, 22, 0
	s_waitcnt lgkmcnt(17)
	v_mad_u64_u32 v[30:31], null, v34, 22, v[9:10]
	s_delay_alu instid0(VALU_DEP_2) | instskip(NEXT) | instid1(VALU_DEP_2)
	v_sub_co_u32 v8, vcc_lo, v2, v8
	v_sub_co_ci_u32_e32 v9, vcc_lo, v3, v30, vcc_lo
	s_delay_alu instid0(VALU_DEP_2) | instskip(NEXT) | instid1(VALU_DEP_2)
	v_sub_co_u32 v30, vcc_lo, v8, 22
	v_subrev_co_ci_u32_e32 v31, vcc_lo, 0, v9, vcc_lo
	s_delay_alu instid0(VALU_DEP_2)
	v_cmp_lt_u32_e32 vcc_lo, 21, v30
	v_cmp_eq_u32_e64 s0, 0, v9
	v_cndmask_b32_e64 v30, 0, -1, vcc_lo
	v_add_co_u32 v35, vcc_lo, v32, 2
	v_add_co_ci_u32_e32 v36, vcc_lo, 0, v34, vcc_lo
	v_cmp_lt_u32_e32 vcc_lo, 21, v8
	v_cndmask_b32_e64 v8, 0, -1, vcc_lo
	v_cmp_eq_u32_e32 vcc_lo, 0, v31
	s_delay_alu instid0(VALU_DEP_2) | instskip(SKIP_3) | instid1(VALU_DEP_3)
	v_cndmask_b32_e64 v8, -1, v8, s0
	v_cndmask_b32_e32 v30, -1, v30, vcc_lo
	v_add_co_u32 v31, vcc_lo, v32, 1
	v_add_co_ci_u32_e32 v37, vcc_lo, 0, v34, vcc_lo
	v_cmp_ne_u32_e32 vcc_lo, 0, v30
	s_delay_alu instid0(VALU_DEP_2) | instskip(SKIP_1) | instid1(VALU_DEP_2)
	v_dual_cndmask_b32 v9, v37, v36 :: v_dual_cndmask_b32 v30, v31, v35
	v_cmp_ne_u32_e32 vcc_lo, 0, v8
	v_dual_cndmask_b32 v9, v34, v9 :: v_dual_cndmask_b32 v8, v32, v30
	s_delay_alu instid0(VALU_DEP_1)
	v_cmp_eq_u64_e32 vcc_lo, v[8:9], v[0:1]
	s_and_b32 exec_lo, exec_lo, vcc_lo
	s_cbranch_execz .LBB362_488
; %bb.408:
	v_mul_hi_u32_u24_e32 v1, 22, v0
	v_sub_co_u32 v0, vcc_lo, v2, v33
	s_mov_b32 s0, 0
	s_mov_b32 s4, 0
	s_delay_alu instid0(VALU_DEP_2) | instskip(SKIP_1) | instid1(VALU_DEP_1)
	v_sub_co_ci_u32_e32 v1, vcc_lo, v3, v1, vcc_lo
	s_mov_b32 s3, exec_lo
	v_cmpx_lt_i64_e32 10, v[0:1]
	s_xor_b32 s3, exec_lo, s3
	s_cbranch_execnz .LBB362_412
; %bb.409:
	s_or_saveexec_b32 s3, s3
	s_mov_b32 s5, 0
	s_xor_b32 exec_lo, exec_lo, s3
	s_cbranch_execnz .LBB362_453
.LBB362_410:
	s_or_b32 exec_lo, exec_lo, s3
	s_and_saveexec_b32 s3, s4
	s_cbranch_execnz .LBB362_464
.LBB362_411:
	s_or_b32 exec_lo, exec_lo, s3
	s_and_saveexec_b32 s3, s0
	s_cbranch_execnz .LBB362_465
	s_branch .LBB362_469
.LBB362_412:
	s_mov_b32 s5, 0
	s_mov_b32 s4, exec_lo
	v_cmpx_lt_i64_e32 15, v[0:1]
	s_xor_b32 s4, exec_lo, s4
	s_cbranch_execz .LBB362_434
; %bb.413:
	s_mov_b32 s6, exec_lo
                                        ; implicit-def: $vgpr16
	v_cmpx_lt_i64_e32 18, v[0:1]
	s_xor_b32 s6, exec_lo, s6
	s_cbranch_execz .LBB362_423
; %bb.414:
	s_mov_b32 s7, 0
	s_mov_b32 s5, exec_lo
                                        ; implicit-def: $vgpr16
	v_cmpx_lt_i64_e32 19, v[0:1]
	s_xor_b32 s5, exec_lo, s5
	s_cbranch_execz .LBB362_420
; %bb.415:
	s_mov_b32 s7, exec_lo
	v_cmpx_lt_i64_e32 20, v[0:1]
	s_xor_b32 s7, exec_lo, s7
	s_cbranch_execz .LBB362_417
; %bb.416:
	s_waitcnt lgkmcnt(0)
	flat_store_b16 v[4:5], v29
                                        ; implicit-def: $vgpr21
.LBB362_417:
	s_or_saveexec_b32 s7, s7
	s_mov_b32 s8, 0
	s_xor_b32 exec_lo, exec_lo, s7
; %bb.418:
	s_delay_alu instid0(SALU_CYCLE_1)
	s_mov_b32 s8, exec_lo
; %bb.419:
	s_or_b32 exec_lo, exec_lo, s7
	s_waitcnt lgkmcnt(1)
	v_mov_b32_e32 v16, v21
	s_and_b32 s7, s8, exec_lo
                                        ; implicit-def: $vgpr28
.LBB362_420:
	s_and_not1_saveexec_b32 s5, s5
	s_cbranch_execz .LBB362_422
; %bb.421:
	s_waitcnt lgkmcnt(2)
	flat_store_b16 v[4:5], v28
                                        ; implicit-def: $vgpr16
.LBB362_422:
	s_or_b32 exec_lo, exec_lo, s5
	s_delay_alu instid0(SALU_CYCLE_1)
	s_and_b32 s5, s7, exec_lo
                                        ; implicit-def: $vgpr25
                                        ; implicit-def: $vgpr23
                                        ; implicit-def: $vgpr27
.LBB362_423:
	s_and_not1_saveexec_b32 s6, s6
	s_cbranch_execz .LBB362_433
; %bb.424:
	s_mov_b32 s7, exec_lo
	v_cmpx_lt_i64_e32 16, v[0:1]
	s_xor_b32 s7, exec_lo, s7
	s_cbranch_execz .LBB362_430
; %bb.425:
	s_mov_b32 s8, exec_lo
	v_cmpx_lt_i64_e32 17, v[0:1]
	s_xor_b32 s8, exec_lo, s8
	s_cbranch_execz .LBB362_427
; %bb.426:
	s_waitcnt lgkmcnt(3)
	flat_store_b16 v[4:5], v27
                                        ; implicit-def: $vgpr23
.LBB362_427:
	s_and_not1_saveexec_b32 s8, s8
	s_cbranch_execz .LBB362_429
; %bb.428:
	s_waitcnt lgkmcnt(4)
	flat_store_b16 v[4:5], v23
.LBB362_429:
	s_or_b32 exec_lo, exec_lo, s8
                                        ; implicit-def: $vgpr25
.LBB362_430:
	s_and_not1_saveexec_b32 s7, s7
	s_cbranch_execz .LBB362_432
; %bb.431:
	s_waitcnt lgkmcnt(5)
	flat_store_b16 v[4:5], v25
.LBB362_432:
	s_or_b32 exec_lo, exec_lo, s7
                                        ; implicit-def: $vgpr16
.LBB362_433:
	s_delay_alu instid0(SALU_CYCLE_1) | instskip(NEXT) | instid1(SALU_CYCLE_1)
	s_or_b32 exec_lo, exec_lo, s6
	s_and_b32 s5, s5, exec_lo
                                        ; implicit-def: $vgpr24
                                        ; implicit-def: $vgpr22
                                        ; implicit-def: $vgpr20
                                        ; implicit-def: $vgpr26
.LBB362_434:
	s_and_not1_saveexec_b32 s4, s4
	s_cbranch_execz .LBB362_452
; %bb.435:
	s_mov_b32 s6, exec_lo
	v_cmpx_lt_i64_e32 12, v[0:1]
	s_xor_b32 s6, exec_lo, s6
	s_cbranch_execz .LBB362_445
; %bb.436:
	s_mov_b32 s7, exec_lo
	v_cmpx_lt_i64_e32 13, v[0:1]
	s_xor_b32 s7, exec_lo, s7
	;; [unrolled: 5-line block ×3, first 2 shown]
	s_cbranch_execz .LBB362_439
; %bb.438:
	s_waitcnt lgkmcnt(6)
	flat_store_b16 v[4:5], v26
                                        ; implicit-def: $vgpr20
.LBB362_439:
	s_and_not1_saveexec_b32 s8, s8
	s_cbranch_execz .LBB362_441
; %bb.440:
	s_waitcnt lgkmcnt(7)
	flat_store_b16 v[4:5], v20
.LBB362_441:
	s_or_b32 exec_lo, exec_lo, s8
                                        ; implicit-def: $vgpr24
.LBB362_442:
	s_and_not1_saveexec_b32 s7, s7
	s_cbranch_execz .LBB362_444
; %bb.443:
	s_waitcnt lgkmcnt(8)
	flat_store_b16 v[4:5], v24
.LBB362_444:
	s_or_b32 exec_lo, exec_lo, s7
                                        ; implicit-def: $vgpr16
                                        ; implicit-def: $vgpr22
.LBB362_445:
	s_or_saveexec_b32 s6, s6
	s_mov_b32 s7, s5
	s_xor_b32 exec_lo, exec_lo, s6
	s_cbranch_execz .LBB362_451
; %bb.446:
	s_mov_b32 s7, exec_lo
	v_cmpx_lt_i64_e32 11, v[0:1]
	s_xor_b32 s7, exec_lo, s7
	s_cbranch_execz .LBB362_448
; %bb.447:
	s_waitcnt lgkmcnt(9)
	flat_store_b16 v[4:5], v22
                                        ; implicit-def: $vgpr16
.LBB362_448:
	s_or_saveexec_b32 s7, s7
	s_mov_b32 s8, s5
	s_xor_b32 exec_lo, exec_lo, s7
; %bb.449:
	s_delay_alu instid0(SALU_CYCLE_1)
	s_or_b32 s8, s5, exec_lo
; %bb.450:
	s_or_b32 exec_lo, exec_lo, s7
	s_delay_alu instid0(SALU_CYCLE_1) | instskip(SKIP_1) | instid1(SALU_CYCLE_1)
	s_and_not1_b32 s7, s5, exec_lo
	s_and_b32 s8, s8, exec_lo
	s_or_b32 s7, s7, s8
.LBB362_451:
	s_or_b32 exec_lo, exec_lo, s6
	s_delay_alu instid0(SALU_CYCLE_1) | instskip(SKIP_1) | instid1(SALU_CYCLE_1)
	s_and_not1_b32 s5, s5, exec_lo
	s_and_b32 s6, s7, exec_lo
	s_or_b32 s5, s5, s6
.LBB362_452:
	s_or_b32 exec_lo, exec_lo, s4
	s_delay_alu instid0(SALU_CYCLE_1)
	s_and_b32 s4, s5, exec_lo
                                        ; implicit-def: $vgpr18
                                        ; implicit-def: $vgpr19
                                        ; implicit-def: $vgpr17
	s_or_saveexec_b32 s3, s3
	s_mov_b32 s5, 0
	s_xor_b32 exec_lo, exec_lo, s3
	s_cbranch_execz .LBB362_410
.LBB362_453:
	s_mov_b32 s6, 0
	s_mov_b32 s5, -1
	s_mov_b32 s7, s4
	s_mov_b32 s0, exec_lo
                                        ; implicit-def: $vgpr16
	v_cmpx_lt_i64_e32 5, v[0:1]
	s_cbranch_execz .LBB362_463
; %bb.454:
	s_mov_b32 s6, -1
	s_mov_b32 s7, s4
	s_mov_b32 s5, exec_lo
	v_cmpx_lt_i64_e32 7, v[0:1]
	s_cbranch_execz .LBB362_462
; %bb.455:
	s_mov_b32 s6, exec_lo
	v_cmpx_lt_i64_e32 8, v[0:1]
	s_cbranch_execz .LBB362_461
; %bb.456:
	s_mov_b32 s7, exec_lo
	v_cmpx_lt_i64_e32 9, v[0:1]
	s_xor_b32 s7, exec_lo, s7
; %bb.457:
                                        ; implicit-def: $vgpr19
; %bb.458:
	s_delay_alu instid0(SALU_CYCLE_1)
	s_and_not1_saveexec_b32 s7, s7
	s_cbranch_execz .LBB362_460
; %bb.459:
	s_waitcnt lgkmcnt(11)
	v_mov_b32_e32 v17, v19
.LBB362_460:
	s_or_b32 exec_lo, exec_lo, s7
	s_waitcnt lgkmcnt(11)
	s_delay_alu instid0(VALU_DEP_1)
	v_mov_b32_e32 v18, v17
.LBB362_461:
	s_or_b32 exec_lo, exec_lo, s6
	s_delay_alu instid0(SALU_CYCLE_1)
	s_xor_b32 s6, exec_lo, -1
	s_or_b32 s7, s4, exec_lo
.LBB362_462:
	s_or_b32 exec_lo, exec_lo, s5
	s_waitcnt lgkmcnt(10)
	v_mov_b32_e32 v16, v18
	s_and_not1_b32 s8, s4, exec_lo
	s_and_b32 s7, s7, exec_lo
	s_xor_b32 s5, exec_lo, -1
	s_and_b32 s6, s6, exec_lo
	s_or_b32 s7, s8, s7
.LBB362_463:
	s_or_b32 exec_lo, exec_lo, s0
	s_delay_alu instid0(SALU_CYCLE_1)
	s_and_not1_b32 s4, s4, exec_lo
	s_and_b32 s7, s7, exec_lo
	s_and_b32 s5, s5, exec_lo
	;; [unrolled: 1-line block ×3, first 2 shown]
	s_or_b32 s4, s4, s7
	s_or_b32 exec_lo, exec_lo, s3
	s_and_saveexec_b32 s3, s4
	s_cbranch_execz .LBB362_411
.LBB362_464:
	s_waitcnt lgkmcnt(10)
	flat_store_b16 v[4:5], v16
	s_or_b32 exec_lo, exec_lo, s3
	s_and_saveexec_b32 s3, s0
	s_cbranch_execz .LBB362_469
.LBB362_465:
	s_mov_b32 s0, exec_lo
	v_cmpx_lt_i64_e32 6, v[0:1]
	s_xor_b32 s0, exec_lo, s0
	s_cbranch_execz .LBB362_467
; %bb.466:
	s_waitcnt lgkmcnt(14)
	flat_store_b16 v[4:5], v15
                                        ; implicit-def: $vgpr14
.LBB362_467:
	s_and_not1_saveexec_b32 s0, s0
	s_cbranch_execz .LBB362_469
; %bb.468:
	s_waitcnt lgkmcnt(15)
	flat_store_b16 v[4:5], v14
.LBB362_469:
	s_or_b32 exec_lo, exec_lo, s3
	s_delay_alu instid0(SALU_CYCLE_1)
	s_and_b32 exec_lo, exec_lo, s5
	s_cbranch_execz .LBB362_488
; %bb.470:
	s_mov_b32 s0, exec_lo
	v_cmpx_lt_i64_e32 2, v[0:1]
	s_xor_b32 s0, exec_lo, s0
	s_cbranch_execz .LBB362_480
; %bb.471:
	s_mov_b32 s3, exec_lo
	v_cmpx_lt_i64_e32 3, v[0:1]
	s_xor_b32 s3, exec_lo, s3
	;; [unrolled: 5-line block ×3, first 2 shown]
	s_cbranch_execz .LBB362_474
; %bb.473:
	s_waitcnt lgkmcnt(16)
	flat_store_b16 v[4:5], v13
                                        ; implicit-def: $vgpr4_vgpr5
                                        ; implicit-def: $vgpr10
.LBB362_474:
	s_and_not1_saveexec_b32 s4, s4
	s_cbranch_execz .LBB362_476
; %bb.475:
	flat_store_b16 v[4:5], v10
.LBB362_476:
	s_or_b32 exec_lo, exec_lo, s4
                                        ; implicit-def: $vgpr4_vgpr5
                                        ; implicit-def: $vgpr12
.LBB362_477:
	s_and_not1_saveexec_b32 s3, s3
	s_cbranch_execz .LBB362_479
; %bb.478:
	flat_store_b16 v[4:5], v12
.LBB362_479:
	s_or_b32 exec_lo, exec_lo, s3
                                        ; implicit-def: $vgpr0_vgpr1
                                        ; implicit-def: $vgpr4_vgpr5
                                        ; implicit-def: $vgpr11
                                        ; implicit-def: $vgpr6
                                        ; implicit-def: $vgpr7
.LBB362_480:
	s_and_not1_saveexec_b32 s0, s0
	s_cbranch_execz .LBB362_488
; %bb.481:
	s_mov_b32 s0, exec_lo
	v_cmpx_lt_i64_e32 1, v[0:1]
	s_xor_b32 s0, exec_lo, s0
	s_cbranch_execz .LBB362_483
; %bb.482:
	flat_store_b16 v[4:5], v11
                                        ; implicit-def: $vgpr4_vgpr5
                                        ; implicit-def: $vgpr6
                                        ; implicit-def: $vgpr0_vgpr1
                                        ; implicit-def: $vgpr7
.LBB362_483:
	s_and_not1_saveexec_b32 s0, s0
	s_cbranch_execz .LBB362_488
; %bb.484:
	s_mov_b32 s0, exec_lo
	v_cmpx_ne_u64_e32 1, v[0:1]
	s_xor_b32 s0, exec_lo, s0
	s_cbranch_execz .LBB362_486
; %bb.485:
	flat_store_b16 v[4:5], v7
                                        ; implicit-def: $vgpr4_vgpr5
                                        ; implicit-def: $vgpr6
.LBB362_486:
	s_and_not1_saveexec_b32 s0, s0
	s_cbranch_execz .LBB362_488
; %bb.487:
	flat_store_b16 v[4:5], v6
.LBB362_488:
	s_or_b32 exec_lo, exec_lo, s2
.LBB362_489:
	s_delay_alu instid0(SALU_CYCLE_1)
	s_or_b32 exec_lo, exec_lo, s1
	v_readlane_b32 s30, v40, 0
	v_readlane_b32 s31, v40, 1
	s_or_saveexec_b32 s0, -1
	scratch_load_b32 v40, off, s32          ; 4-byte Folded Reload
	s_mov_b32 exec_lo, s0
	s_waitcnt vmcnt(0) lgkmcnt(0)
	s_setpc_b64 s[30:31]
.Lfunc_end362:
	.size	_ZZZN7rocprim17ROCPRIM_400000_NS6detail9scan_implILNS1_25lookback_scan_determinismE0ELb0ELb0ENS0_14default_configEPKN3c104HalfEPS6_S6_ZZZN2at6native31launch_logcumsumexp_cuda_kernelERKNSA_10TensorBaseESE_lENKUlvE_clEvENKUlvE3_clEvEUlS6_S6_E_S6_EEDaPvRmT3_T4_T5_mT6_P12ihipStream_tbENKUlT_T0_E_clISt17integral_constantIbLb0EESV_EEDaSQ_SR_ENKUlSQ_E_clINS1_13target_configIS4_NS1_20scan_config_selectorIS6_EENS1_11comp_targetILNS1_3genE9ELNS1_11target_archE1100ELNS1_3gpuE3ELNS1_3repE0EEELNS0_4arch9wavefront6targetE0EEEEEDaSQ_, .Lfunc_end362-_ZZZN7rocprim17ROCPRIM_400000_NS6detail9scan_implILNS1_25lookback_scan_determinismE0ELb0ELb0ENS0_14default_configEPKN3c104HalfEPS6_S6_ZZZN2at6native31launch_logcumsumexp_cuda_kernelERKNSA_10TensorBaseESE_lENKUlvE_clEvENKUlvE3_clEvEUlS6_S6_E_S6_EEDaPvRmT3_T4_T5_mT6_P12ihipStream_tbENKUlT_T0_E_clISt17integral_constantIbLb0EESV_EEDaSQ_SR_ENKUlSQ_E_clINS1_13target_configIS4_NS1_20scan_config_selectorIS6_EENS1_11comp_targetILNS1_3genE9ELNS1_11target_archE1100ELNS1_3gpuE3ELNS1_3repE0EEELNS0_4arch9wavefront6targetE0EEEEEDaSQ_
                                        ; -- End function
	.section	.AMDGPU.csdata,"",@progbits
; Function info:
; codeLenInByte = 113700
; NumSgprs: 37
; NumVgprs: 151
; ScratchSize: 8
; MemoryBound: 0
	.section	.text._ZN7rocprim17ROCPRIM_400000_NS6detail17trampoline_kernelINS0_14default_configENS1_20scan_config_selectorIN3c104HalfEEEZZNS1_9scan_implILNS1_25lookback_scan_determinismE0ELb0ELb0ES3_PKS6_PS6_S6_ZZZN2at6native31launch_logcumsumexp_cuda_kernelERKNSD_10TensorBaseESH_lENKUlvE_clEvENKUlvE3_clEvEUlS6_S6_E_S6_EEDaPvRmT3_T4_T5_mT6_P12ihipStream_tbENKUlT_T0_E_clISt17integral_constantIbLb0EESY_EEDaST_SU_EUlST_E_NS1_11comp_targetILNS1_3genE9ELNS1_11target_archE1100ELNS1_3gpuE3ELNS1_3repE0EEENS1_30default_config_static_selectorELNS0_4arch9wavefront6targetE0EEEvT1_,"axG",@progbits,_ZN7rocprim17ROCPRIM_400000_NS6detail17trampoline_kernelINS0_14default_configENS1_20scan_config_selectorIN3c104HalfEEEZZNS1_9scan_implILNS1_25lookback_scan_determinismE0ELb0ELb0ES3_PKS6_PS6_S6_ZZZN2at6native31launch_logcumsumexp_cuda_kernelERKNSD_10TensorBaseESH_lENKUlvE_clEvENKUlvE3_clEvEUlS6_S6_E_S6_EEDaPvRmT3_T4_T5_mT6_P12ihipStream_tbENKUlT_T0_E_clISt17integral_constantIbLb0EESY_EEDaST_SU_EUlST_E_NS1_11comp_targetILNS1_3genE9ELNS1_11target_archE1100ELNS1_3gpuE3ELNS1_3repE0EEENS1_30default_config_static_selectorELNS0_4arch9wavefront6targetE0EEEvT1_,comdat
	.globl	_ZN7rocprim17ROCPRIM_400000_NS6detail17trampoline_kernelINS0_14default_configENS1_20scan_config_selectorIN3c104HalfEEEZZNS1_9scan_implILNS1_25lookback_scan_determinismE0ELb0ELb0ES3_PKS6_PS6_S6_ZZZN2at6native31launch_logcumsumexp_cuda_kernelERKNSD_10TensorBaseESH_lENKUlvE_clEvENKUlvE3_clEvEUlS6_S6_E_S6_EEDaPvRmT3_T4_T5_mT6_P12ihipStream_tbENKUlT_T0_E_clISt17integral_constantIbLb0EESY_EEDaST_SU_EUlST_E_NS1_11comp_targetILNS1_3genE9ELNS1_11target_archE1100ELNS1_3gpuE3ELNS1_3repE0EEENS1_30default_config_static_selectorELNS0_4arch9wavefront6targetE0EEEvT1_ ; -- Begin function _ZN7rocprim17ROCPRIM_400000_NS6detail17trampoline_kernelINS0_14default_configENS1_20scan_config_selectorIN3c104HalfEEEZZNS1_9scan_implILNS1_25lookback_scan_determinismE0ELb0ELb0ES3_PKS6_PS6_S6_ZZZN2at6native31launch_logcumsumexp_cuda_kernelERKNSD_10TensorBaseESH_lENKUlvE_clEvENKUlvE3_clEvEUlS6_S6_E_S6_EEDaPvRmT3_T4_T5_mT6_P12ihipStream_tbENKUlT_T0_E_clISt17integral_constantIbLb0EESY_EEDaST_SU_EUlST_E_NS1_11comp_targetILNS1_3genE9ELNS1_11target_archE1100ELNS1_3gpuE3ELNS1_3repE0EEENS1_30default_config_static_selectorELNS0_4arch9wavefront6targetE0EEEvT1_
	.p2align	8
	.type	_ZN7rocprim17ROCPRIM_400000_NS6detail17trampoline_kernelINS0_14default_configENS1_20scan_config_selectorIN3c104HalfEEEZZNS1_9scan_implILNS1_25lookback_scan_determinismE0ELb0ELb0ES3_PKS6_PS6_S6_ZZZN2at6native31launch_logcumsumexp_cuda_kernelERKNSD_10TensorBaseESH_lENKUlvE_clEvENKUlvE3_clEvEUlS6_S6_E_S6_EEDaPvRmT3_T4_T5_mT6_P12ihipStream_tbENKUlT_T0_E_clISt17integral_constantIbLb0EESY_EEDaST_SU_EUlST_E_NS1_11comp_targetILNS1_3genE9ELNS1_11target_archE1100ELNS1_3gpuE3ELNS1_3repE0EEENS1_30default_config_static_selectorELNS0_4arch9wavefront6targetE0EEEvT1_,@function
_ZN7rocprim17ROCPRIM_400000_NS6detail17trampoline_kernelINS0_14default_configENS1_20scan_config_selectorIN3c104HalfEEEZZNS1_9scan_implILNS1_25lookback_scan_determinismE0ELb0ELb0ES3_PKS6_PS6_S6_ZZZN2at6native31launch_logcumsumexp_cuda_kernelERKNSD_10TensorBaseESH_lENKUlvE_clEvENKUlvE3_clEvEUlS6_S6_E_S6_EEDaPvRmT3_T4_T5_mT6_P12ihipStream_tbENKUlT_T0_E_clISt17integral_constantIbLb0EESY_EEDaST_SU_EUlST_E_NS1_11comp_targetILNS1_3genE9ELNS1_11target_archE1100ELNS1_3gpuE3ELNS1_3repE0EEENS1_30default_config_static_selectorELNS0_4arch9wavefront6targetE0EEEvT1_: ; @_ZN7rocprim17ROCPRIM_400000_NS6detail17trampoline_kernelINS0_14default_configENS1_20scan_config_selectorIN3c104HalfEEEZZNS1_9scan_implILNS1_25lookback_scan_determinismE0ELb0ELb0ES3_PKS6_PS6_S6_ZZZN2at6native31launch_logcumsumexp_cuda_kernelERKNSD_10TensorBaseESH_lENKUlvE_clEvENKUlvE3_clEvEUlS6_S6_E_S6_EEDaPvRmT3_T4_T5_mT6_P12ihipStream_tbENKUlT_T0_E_clISt17integral_constantIbLb0EESY_EEDaST_SU_EUlST_E_NS1_11comp_targetILNS1_3genE9ELNS1_11target_archE1100ELNS1_3gpuE3ELNS1_3repE0EEENS1_30default_config_static_selectorELNS0_4arch9wavefront6targetE0EEEvT1_
; %bb.0:
	s_clause 0x2
	s_load_b256 s[16:23], s[0:1], 0x0
	s_load_b256 s[24:31], s[0:1], 0x20
	;; [unrolled: 1-line block ×3, first 2 shown]
	v_mov_b32_e32 v31, v0
	s_mov_b64 s[2:3], src_private_base
	s_add_u32 s8, s0, 0x60
	s_mov_b32 s12, s15
	s_addc_u32 s9, s1, 0
	s_movk_i32 s32, 0x70
	s_getpc_b64 s[0:1]
	s_add_u32 s0, s0, _ZZZN7rocprim17ROCPRIM_400000_NS6detail9scan_implILNS1_25lookback_scan_determinismE0ELb0ELb0ENS0_14default_configEPKN3c104HalfEPS6_S6_ZZZN2at6native31launch_logcumsumexp_cuda_kernelERKNSA_10TensorBaseESE_lENKUlvE_clEvENKUlvE3_clEvEUlS6_S6_E_S6_EEDaPvRmT3_T4_T5_mT6_P12ihipStream_tbENKUlT_T0_E_clISt17integral_constantIbLb0EESV_EEDaSQ_SR_ENKUlSQ_E_clINS1_13target_configIS4_NS1_20scan_config_selectorIS6_EENS1_11comp_targetILNS1_3genE9ELNS1_11target_archE1100ELNS1_3gpuE3ELNS1_3repE0EEELNS0_4arch9wavefront6targetE0EEEEEDaSQ_@rel32@lo+4
	s_addc_u32 s1, s1, _ZZZN7rocprim17ROCPRIM_400000_NS6detail9scan_implILNS1_25lookback_scan_determinismE0ELb0ELb0ENS0_14default_configEPKN3c104HalfEPS6_S6_ZZZN2at6native31launch_logcumsumexp_cuda_kernelERKNSA_10TensorBaseESE_lENKUlvE_clEvENKUlvE3_clEvEUlS6_S6_E_S6_EEDaPvRmT3_T4_T5_mT6_P12ihipStream_tbENKUlT_T0_E_clISt17integral_constantIbLb0EESV_EEDaSQ_SR_ENKUlSQ_E_clINS1_13target_configIS4_NS1_20scan_config_selectorIS6_EENS1_11comp_targetILNS1_3genE9ELNS1_11target_archE1100ELNS1_3gpuE3ELNS1_3repE0EEELNS0_4arch9wavefront6targetE0EEEEEDaSQ_@rel32@hi+12
	s_waitcnt lgkmcnt(0)
	v_dual_mov_b32 v0, s16 :: v_dual_mov_b32 v1, s17
	v_dual_mov_b32 v2, s18 :: v_dual_mov_b32 v3, s19
	;; [unrolled: 1-line block ×12, first 2 shown]
	s_clause 0x5
	scratch_store_b128 off, v[0:3], off
	scratch_store_b128 off, v[4:7], off offset:16
	scratch_store_b128 off, v[8:11], off offset:32
	scratch_store_b128 off, v[12:15], off offset:48
	scratch_store_b128 off, v[16:19], off offset:64
	scratch_store_b128 off, v[20:23], off offset:80
	v_dual_mov_b32 v0, 0 :: v_dual_mov_b32 v1, s3
	s_swappc_b64 s[30:31], s[0:1]
	s_endpgm
	.section	.rodata,"a",@progbits
	.p2align	6, 0x0
	.amdhsa_kernel _ZN7rocprim17ROCPRIM_400000_NS6detail17trampoline_kernelINS0_14default_configENS1_20scan_config_selectorIN3c104HalfEEEZZNS1_9scan_implILNS1_25lookback_scan_determinismE0ELb0ELb0ES3_PKS6_PS6_S6_ZZZN2at6native31launch_logcumsumexp_cuda_kernelERKNSD_10TensorBaseESH_lENKUlvE_clEvENKUlvE3_clEvEUlS6_S6_E_S6_EEDaPvRmT3_T4_T5_mT6_P12ihipStream_tbENKUlT_T0_E_clISt17integral_constantIbLb0EESY_EEDaST_SU_EUlST_E_NS1_11comp_targetILNS1_3genE9ELNS1_11target_archE1100ELNS1_3gpuE3ELNS1_3repE0EEENS1_30default_config_static_selectorELNS0_4arch9wavefront6targetE0EEEvT1_
		.amdhsa_group_segment_fixed_size 2816
		.amdhsa_private_segment_fixed_size 120
		.amdhsa_kernarg_size 352
		.amdhsa_user_sgpr_count 15
		.amdhsa_user_sgpr_dispatch_ptr 0
		.amdhsa_user_sgpr_queue_ptr 0
		.amdhsa_user_sgpr_kernarg_segment_ptr 1
		.amdhsa_user_sgpr_dispatch_id 0
		.amdhsa_user_sgpr_private_segment_size 0
		.amdhsa_wavefront_size32 1
		.amdhsa_uses_dynamic_stack 0
		.amdhsa_enable_private_segment 1
		.amdhsa_system_sgpr_workgroup_id_x 1
		.amdhsa_system_sgpr_workgroup_id_y 0
		.amdhsa_system_sgpr_workgroup_id_z 0
		.amdhsa_system_sgpr_workgroup_info 0
		.amdhsa_system_vgpr_workitem_id 0
		.amdhsa_next_free_vgpr 151
		.amdhsa_next_free_sgpr 44
		.amdhsa_reserve_vcc 1
		.amdhsa_float_round_mode_32 0
		.amdhsa_float_round_mode_16_64 0
		.amdhsa_float_denorm_mode_32 3
		.amdhsa_float_denorm_mode_16_64 3
		.amdhsa_dx10_clamp 1
		.amdhsa_ieee_mode 1
		.amdhsa_fp16_overflow 0
		.amdhsa_workgroup_processor_mode 1
		.amdhsa_memory_ordered 1
		.amdhsa_forward_progress 0
		.amdhsa_shared_vgpr_count 0
		.amdhsa_exception_fp_ieee_invalid_op 0
		.amdhsa_exception_fp_denorm_src 0
		.amdhsa_exception_fp_ieee_div_zero 0
		.amdhsa_exception_fp_ieee_overflow 0
		.amdhsa_exception_fp_ieee_underflow 0
		.amdhsa_exception_fp_ieee_inexact 0
		.amdhsa_exception_int_div_zero 0
	.end_amdhsa_kernel
	.section	.text._ZN7rocprim17ROCPRIM_400000_NS6detail17trampoline_kernelINS0_14default_configENS1_20scan_config_selectorIN3c104HalfEEEZZNS1_9scan_implILNS1_25lookback_scan_determinismE0ELb0ELb0ES3_PKS6_PS6_S6_ZZZN2at6native31launch_logcumsumexp_cuda_kernelERKNSD_10TensorBaseESH_lENKUlvE_clEvENKUlvE3_clEvEUlS6_S6_E_S6_EEDaPvRmT3_T4_T5_mT6_P12ihipStream_tbENKUlT_T0_E_clISt17integral_constantIbLb0EESY_EEDaST_SU_EUlST_E_NS1_11comp_targetILNS1_3genE9ELNS1_11target_archE1100ELNS1_3gpuE3ELNS1_3repE0EEENS1_30default_config_static_selectorELNS0_4arch9wavefront6targetE0EEEvT1_,"axG",@progbits,_ZN7rocprim17ROCPRIM_400000_NS6detail17trampoline_kernelINS0_14default_configENS1_20scan_config_selectorIN3c104HalfEEEZZNS1_9scan_implILNS1_25lookback_scan_determinismE0ELb0ELb0ES3_PKS6_PS6_S6_ZZZN2at6native31launch_logcumsumexp_cuda_kernelERKNSD_10TensorBaseESH_lENKUlvE_clEvENKUlvE3_clEvEUlS6_S6_E_S6_EEDaPvRmT3_T4_T5_mT6_P12ihipStream_tbENKUlT_T0_E_clISt17integral_constantIbLb0EESY_EEDaST_SU_EUlST_E_NS1_11comp_targetILNS1_3genE9ELNS1_11target_archE1100ELNS1_3gpuE3ELNS1_3repE0EEENS1_30default_config_static_selectorELNS0_4arch9wavefront6targetE0EEEvT1_,comdat
.Lfunc_end363:
	.size	_ZN7rocprim17ROCPRIM_400000_NS6detail17trampoline_kernelINS0_14default_configENS1_20scan_config_selectorIN3c104HalfEEEZZNS1_9scan_implILNS1_25lookback_scan_determinismE0ELb0ELb0ES3_PKS6_PS6_S6_ZZZN2at6native31launch_logcumsumexp_cuda_kernelERKNSD_10TensorBaseESH_lENKUlvE_clEvENKUlvE3_clEvEUlS6_S6_E_S6_EEDaPvRmT3_T4_T5_mT6_P12ihipStream_tbENKUlT_T0_E_clISt17integral_constantIbLb0EESY_EEDaST_SU_EUlST_E_NS1_11comp_targetILNS1_3genE9ELNS1_11target_archE1100ELNS1_3gpuE3ELNS1_3repE0EEENS1_30default_config_static_selectorELNS0_4arch9wavefront6targetE0EEEvT1_, .Lfunc_end363-_ZN7rocprim17ROCPRIM_400000_NS6detail17trampoline_kernelINS0_14default_configENS1_20scan_config_selectorIN3c104HalfEEEZZNS1_9scan_implILNS1_25lookback_scan_determinismE0ELb0ELb0ES3_PKS6_PS6_S6_ZZZN2at6native31launch_logcumsumexp_cuda_kernelERKNSD_10TensorBaseESH_lENKUlvE_clEvENKUlvE3_clEvEUlS6_S6_E_S6_EEDaPvRmT3_T4_T5_mT6_P12ihipStream_tbENKUlT_T0_E_clISt17integral_constantIbLb0EESY_EEDaST_SU_EUlST_E_NS1_11comp_targetILNS1_3genE9ELNS1_11target_archE1100ELNS1_3gpuE3ELNS1_3repE0EEENS1_30default_config_static_selectorELNS0_4arch9wavefront6targetE0EEEvT1_
                                        ; -- End function
	.section	.AMDGPU.csdata,"",@progbits
; Kernel info:
; codeLenInByte = 244
; NumSgprs: 46
; NumVgprs: 151
; ScratchSize: 120
; MemoryBound: 0
; FloatMode: 240
; IeeeMode: 1
; LDSByteSize: 2816 bytes/workgroup (compile time only)
; SGPRBlocks: 5
; VGPRBlocks: 18
; NumSGPRsForWavesPerEU: 46
; NumVGPRsForWavesPerEU: 151
; Occupancy: 9
; WaveLimiterHint : 1
; COMPUTE_PGM_RSRC2:SCRATCH_EN: 1
; COMPUTE_PGM_RSRC2:USER_SGPR: 15
; COMPUTE_PGM_RSRC2:TRAP_HANDLER: 0
; COMPUTE_PGM_RSRC2:TGID_X_EN: 1
; COMPUTE_PGM_RSRC2:TGID_Y_EN: 0
; COMPUTE_PGM_RSRC2:TGID_Z_EN: 0
; COMPUTE_PGM_RSRC2:TIDIG_COMP_CNT: 0
	.section	.text._ZN7rocprim17ROCPRIM_400000_NS6detail17trampoline_kernelINS0_14default_configENS1_20scan_config_selectorIN3c104HalfEEEZZNS1_9scan_implILNS1_25lookback_scan_determinismE0ELb0ELb0ES3_PKS6_PS6_S6_ZZZN2at6native31launch_logcumsumexp_cuda_kernelERKNSD_10TensorBaseESH_lENKUlvE_clEvENKUlvE3_clEvEUlS6_S6_E_S6_EEDaPvRmT3_T4_T5_mT6_P12ihipStream_tbENKUlT_T0_E_clISt17integral_constantIbLb0EESY_EEDaST_SU_EUlST_E_NS1_11comp_targetILNS1_3genE8ELNS1_11target_archE1030ELNS1_3gpuE2ELNS1_3repE0EEENS1_30default_config_static_selectorELNS0_4arch9wavefront6targetE0EEEvT1_,"axG",@progbits,_ZN7rocprim17ROCPRIM_400000_NS6detail17trampoline_kernelINS0_14default_configENS1_20scan_config_selectorIN3c104HalfEEEZZNS1_9scan_implILNS1_25lookback_scan_determinismE0ELb0ELb0ES3_PKS6_PS6_S6_ZZZN2at6native31launch_logcumsumexp_cuda_kernelERKNSD_10TensorBaseESH_lENKUlvE_clEvENKUlvE3_clEvEUlS6_S6_E_S6_EEDaPvRmT3_T4_T5_mT6_P12ihipStream_tbENKUlT_T0_E_clISt17integral_constantIbLb0EESY_EEDaST_SU_EUlST_E_NS1_11comp_targetILNS1_3genE8ELNS1_11target_archE1030ELNS1_3gpuE2ELNS1_3repE0EEENS1_30default_config_static_selectorELNS0_4arch9wavefront6targetE0EEEvT1_,comdat
	.globl	_ZN7rocprim17ROCPRIM_400000_NS6detail17trampoline_kernelINS0_14default_configENS1_20scan_config_selectorIN3c104HalfEEEZZNS1_9scan_implILNS1_25lookback_scan_determinismE0ELb0ELb0ES3_PKS6_PS6_S6_ZZZN2at6native31launch_logcumsumexp_cuda_kernelERKNSD_10TensorBaseESH_lENKUlvE_clEvENKUlvE3_clEvEUlS6_S6_E_S6_EEDaPvRmT3_T4_T5_mT6_P12ihipStream_tbENKUlT_T0_E_clISt17integral_constantIbLb0EESY_EEDaST_SU_EUlST_E_NS1_11comp_targetILNS1_3genE8ELNS1_11target_archE1030ELNS1_3gpuE2ELNS1_3repE0EEENS1_30default_config_static_selectorELNS0_4arch9wavefront6targetE0EEEvT1_ ; -- Begin function _ZN7rocprim17ROCPRIM_400000_NS6detail17trampoline_kernelINS0_14default_configENS1_20scan_config_selectorIN3c104HalfEEEZZNS1_9scan_implILNS1_25lookback_scan_determinismE0ELb0ELb0ES3_PKS6_PS6_S6_ZZZN2at6native31launch_logcumsumexp_cuda_kernelERKNSD_10TensorBaseESH_lENKUlvE_clEvENKUlvE3_clEvEUlS6_S6_E_S6_EEDaPvRmT3_T4_T5_mT6_P12ihipStream_tbENKUlT_T0_E_clISt17integral_constantIbLb0EESY_EEDaST_SU_EUlST_E_NS1_11comp_targetILNS1_3genE8ELNS1_11target_archE1030ELNS1_3gpuE2ELNS1_3repE0EEENS1_30default_config_static_selectorELNS0_4arch9wavefront6targetE0EEEvT1_
	.p2align	8
	.type	_ZN7rocprim17ROCPRIM_400000_NS6detail17trampoline_kernelINS0_14default_configENS1_20scan_config_selectorIN3c104HalfEEEZZNS1_9scan_implILNS1_25lookback_scan_determinismE0ELb0ELb0ES3_PKS6_PS6_S6_ZZZN2at6native31launch_logcumsumexp_cuda_kernelERKNSD_10TensorBaseESH_lENKUlvE_clEvENKUlvE3_clEvEUlS6_S6_E_S6_EEDaPvRmT3_T4_T5_mT6_P12ihipStream_tbENKUlT_T0_E_clISt17integral_constantIbLb0EESY_EEDaST_SU_EUlST_E_NS1_11comp_targetILNS1_3genE8ELNS1_11target_archE1030ELNS1_3gpuE2ELNS1_3repE0EEENS1_30default_config_static_selectorELNS0_4arch9wavefront6targetE0EEEvT1_,@function
_ZN7rocprim17ROCPRIM_400000_NS6detail17trampoline_kernelINS0_14default_configENS1_20scan_config_selectorIN3c104HalfEEEZZNS1_9scan_implILNS1_25lookback_scan_determinismE0ELb0ELb0ES3_PKS6_PS6_S6_ZZZN2at6native31launch_logcumsumexp_cuda_kernelERKNSD_10TensorBaseESH_lENKUlvE_clEvENKUlvE3_clEvEUlS6_S6_E_S6_EEDaPvRmT3_T4_T5_mT6_P12ihipStream_tbENKUlT_T0_E_clISt17integral_constantIbLb0EESY_EEDaST_SU_EUlST_E_NS1_11comp_targetILNS1_3genE8ELNS1_11target_archE1030ELNS1_3gpuE2ELNS1_3repE0EEENS1_30default_config_static_selectorELNS0_4arch9wavefront6targetE0EEEvT1_: ; @_ZN7rocprim17ROCPRIM_400000_NS6detail17trampoline_kernelINS0_14default_configENS1_20scan_config_selectorIN3c104HalfEEEZZNS1_9scan_implILNS1_25lookback_scan_determinismE0ELb0ELb0ES3_PKS6_PS6_S6_ZZZN2at6native31launch_logcumsumexp_cuda_kernelERKNSD_10TensorBaseESH_lENKUlvE_clEvENKUlvE3_clEvEUlS6_S6_E_S6_EEDaPvRmT3_T4_T5_mT6_P12ihipStream_tbENKUlT_T0_E_clISt17integral_constantIbLb0EESY_EEDaST_SU_EUlST_E_NS1_11comp_targetILNS1_3genE8ELNS1_11target_archE1030ELNS1_3gpuE2ELNS1_3repE0EEENS1_30default_config_static_selectorELNS0_4arch9wavefront6targetE0EEEvT1_
; %bb.0:
	.section	.rodata,"a",@progbits
	.p2align	6, 0x0
	.amdhsa_kernel _ZN7rocprim17ROCPRIM_400000_NS6detail17trampoline_kernelINS0_14default_configENS1_20scan_config_selectorIN3c104HalfEEEZZNS1_9scan_implILNS1_25lookback_scan_determinismE0ELb0ELb0ES3_PKS6_PS6_S6_ZZZN2at6native31launch_logcumsumexp_cuda_kernelERKNSD_10TensorBaseESH_lENKUlvE_clEvENKUlvE3_clEvEUlS6_S6_E_S6_EEDaPvRmT3_T4_T5_mT6_P12ihipStream_tbENKUlT_T0_E_clISt17integral_constantIbLb0EESY_EEDaST_SU_EUlST_E_NS1_11comp_targetILNS1_3genE8ELNS1_11target_archE1030ELNS1_3gpuE2ELNS1_3repE0EEENS1_30default_config_static_selectorELNS0_4arch9wavefront6targetE0EEEvT1_
		.amdhsa_group_segment_fixed_size 0
		.amdhsa_private_segment_fixed_size 0
		.amdhsa_kernarg_size 96
		.amdhsa_user_sgpr_count 15
		.amdhsa_user_sgpr_dispatch_ptr 0
		.amdhsa_user_sgpr_queue_ptr 0
		.amdhsa_user_sgpr_kernarg_segment_ptr 1
		.amdhsa_user_sgpr_dispatch_id 0
		.amdhsa_user_sgpr_private_segment_size 0
		.amdhsa_wavefront_size32 1
		.amdhsa_uses_dynamic_stack 0
		.amdhsa_enable_private_segment 0
		.amdhsa_system_sgpr_workgroup_id_x 1
		.amdhsa_system_sgpr_workgroup_id_y 0
		.amdhsa_system_sgpr_workgroup_id_z 0
		.amdhsa_system_sgpr_workgroup_info 0
		.amdhsa_system_vgpr_workitem_id 0
		.amdhsa_next_free_vgpr 1
		.amdhsa_next_free_sgpr 1
		.amdhsa_reserve_vcc 0
		.amdhsa_float_round_mode_32 0
		.amdhsa_float_round_mode_16_64 0
		.amdhsa_float_denorm_mode_32 3
		.amdhsa_float_denorm_mode_16_64 3
		.amdhsa_dx10_clamp 1
		.amdhsa_ieee_mode 1
		.amdhsa_fp16_overflow 0
		.amdhsa_workgroup_processor_mode 1
		.amdhsa_memory_ordered 1
		.amdhsa_forward_progress 0
		.amdhsa_shared_vgpr_count 0
		.amdhsa_exception_fp_ieee_invalid_op 0
		.amdhsa_exception_fp_denorm_src 0
		.amdhsa_exception_fp_ieee_div_zero 0
		.amdhsa_exception_fp_ieee_overflow 0
		.amdhsa_exception_fp_ieee_underflow 0
		.amdhsa_exception_fp_ieee_inexact 0
		.amdhsa_exception_int_div_zero 0
	.end_amdhsa_kernel
	.section	.text._ZN7rocprim17ROCPRIM_400000_NS6detail17trampoline_kernelINS0_14default_configENS1_20scan_config_selectorIN3c104HalfEEEZZNS1_9scan_implILNS1_25lookback_scan_determinismE0ELb0ELb0ES3_PKS6_PS6_S6_ZZZN2at6native31launch_logcumsumexp_cuda_kernelERKNSD_10TensorBaseESH_lENKUlvE_clEvENKUlvE3_clEvEUlS6_S6_E_S6_EEDaPvRmT3_T4_T5_mT6_P12ihipStream_tbENKUlT_T0_E_clISt17integral_constantIbLb0EESY_EEDaST_SU_EUlST_E_NS1_11comp_targetILNS1_3genE8ELNS1_11target_archE1030ELNS1_3gpuE2ELNS1_3repE0EEENS1_30default_config_static_selectorELNS0_4arch9wavefront6targetE0EEEvT1_,"axG",@progbits,_ZN7rocprim17ROCPRIM_400000_NS6detail17trampoline_kernelINS0_14default_configENS1_20scan_config_selectorIN3c104HalfEEEZZNS1_9scan_implILNS1_25lookback_scan_determinismE0ELb0ELb0ES3_PKS6_PS6_S6_ZZZN2at6native31launch_logcumsumexp_cuda_kernelERKNSD_10TensorBaseESH_lENKUlvE_clEvENKUlvE3_clEvEUlS6_S6_E_S6_EEDaPvRmT3_T4_T5_mT6_P12ihipStream_tbENKUlT_T0_E_clISt17integral_constantIbLb0EESY_EEDaST_SU_EUlST_E_NS1_11comp_targetILNS1_3genE8ELNS1_11target_archE1030ELNS1_3gpuE2ELNS1_3repE0EEENS1_30default_config_static_selectorELNS0_4arch9wavefront6targetE0EEEvT1_,comdat
.Lfunc_end364:
	.size	_ZN7rocprim17ROCPRIM_400000_NS6detail17trampoline_kernelINS0_14default_configENS1_20scan_config_selectorIN3c104HalfEEEZZNS1_9scan_implILNS1_25lookback_scan_determinismE0ELb0ELb0ES3_PKS6_PS6_S6_ZZZN2at6native31launch_logcumsumexp_cuda_kernelERKNSD_10TensorBaseESH_lENKUlvE_clEvENKUlvE3_clEvEUlS6_S6_E_S6_EEDaPvRmT3_T4_T5_mT6_P12ihipStream_tbENKUlT_T0_E_clISt17integral_constantIbLb0EESY_EEDaST_SU_EUlST_E_NS1_11comp_targetILNS1_3genE8ELNS1_11target_archE1030ELNS1_3gpuE2ELNS1_3repE0EEENS1_30default_config_static_selectorELNS0_4arch9wavefront6targetE0EEEvT1_, .Lfunc_end364-_ZN7rocprim17ROCPRIM_400000_NS6detail17trampoline_kernelINS0_14default_configENS1_20scan_config_selectorIN3c104HalfEEEZZNS1_9scan_implILNS1_25lookback_scan_determinismE0ELb0ELb0ES3_PKS6_PS6_S6_ZZZN2at6native31launch_logcumsumexp_cuda_kernelERKNSD_10TensorBaseESH_lENKUlvE_clEvENKUlvE3_clEvEUlS6_S6_E_S6_EEDaPvRmT3_T4_T5_mT6_P12ihipStream_tbENKUlT_T0_E_clISt17integral_constantIbLb0EESY_EEDaST_SU_EUlST_E_NS1_11comp_targetILNS1_3genE8ELNS1_11target_archE1030ELNS1_3gpuE2ELNS1_3repE0EEENS1_30default_config_static_selectorELNS0_4arch9wavefront6targetE0EEEvT1_
                                        ; -- End function
	.section	.AMDGPU.csdata,"",@progbits
; Kernel info:
; codeLenInByte = 0
; NumSgprs: 0
; NumVgprs: 0
; ScratchSize: 0
; MemoryBound: 0
; FloatMode: 240
; IeeeMode: 1
; LDSByteSize: 0 bytes/workgroup (compile time only)
; SGPRBlocks: 0
; VGPRBlocks: 0
; NumSGPRsForWavesPerEU: 1
; NumVGPRsForWavesPerEU: 1
; Occupancy: 16
; WaveLimiterHint : 0
; COMPUTE_PGM_RSRC2:SCRATCH_EN: 0
; COMPUTE_PGM_RSRC2:USER_SGPR: 15
; COMPUTE_PGM_RSRC2:TRAP_HANDLER: 0
; COMPUTE_PGM_RSRC2:TGID_X_EN: 1
; COMPUTE_PGM_RSRC2:TGID_Y_EN: 0
; COMPUTE_PGM_RSRC2:TGID_Z_EN: 0
; COMPUTE_PGM_RSRC2:TIDIG_COMP_CNT: 0
	.section	.text._ZN7rocprim17ROCPRIM_400000_NS6detail17trampoline_kernelINS0_14default_configENS1_25transform_config_selectorIN3c104HalfELb1EEEZNS1_14transform_implILb1ES3_S7_PS6_S9_NS0_8identityIS6_EEEE10hipError_tT2_T3_mT4_P12ihipStream_tbEUlT_E_NS1_11comp_targetILNS1_3genE0ELNS1_11target_archE4294967295ELNS1_3gpuE0ELNS1_3repE0EEENS1_30default_config_static_selectorELNS0_4arch9wavefront6targetE0EEEvT1_,"axG",@progbits,_ZN7rocprim17ROCPRIM_400000_NS6detail17trampoline_kernelINS0_14default_configENS1_25transform_config_selectorIN3c104HalfELb1EEEZNS1_14transform_implILb1ES3_S7_PS6_S9_NS0_8identityIS6_EEEE10hipError_tT2_T3_mT4_P12ihipStream_tbEUlT_E_NS1_11comp_targetILNS1_3genE0ELNS1_11target_archE4294967295ELNS1_3gpuE0ELNS1_3repE0EEENS1_30default_config_static_selectorELNS0_4arch9wavefront6targetE0EEEvT1_,comdat
	.protected	_ZN7rocprim17ROCPRIM_400000_NS6detail17trampoline_kernelINS0_14default_configENS1_25transform_config_selectorIN3c104HalfELb1EEEZNS1_14transform_implILb1ES3_S7_PS6_S9_NS0_8identityIS6_EEEE10hipError_tT2_T3_mT4_P12ihipStream_tbEUlT_E_NS1_11comp_targetILNS1_3genE0ELNS1_11target_archE4294967295ELNS1_3gpuE0ELNS1_3repE0EEENS1_30default_config_static_selectorELNS0_4arch9wavefront6targetE0EEEvT1_ ; -- Begin function _ZN7rocprim17ROCPRIM_400000_NS6detail17trampoline_kernelINS0_14default_configENS1_25transform_config_selectorIN3c104HalfELb1EEEZNS1_14transform_implILb1ES3_S7_PS6_S9_NS0_8identityIS6_EEEE10hipError_tT2_T3_mT4_P12ihipStream_tbEUlT_E_NS1_11comp_targetILNS1_3genE0ELNS1_11target_archE4294967295ELNS1_3gpuE0ELNS1_3repE0EEENS1_30default_config_static_selectorELNS0_4arch9wavefront6targetE0EEEvT1_
	.globl	_ZN7rocprim17ROCPRIM_400000_NS6detail17trampoline_kernelINS0_14default_configENS1_25transform_config_selectorIN3c104HalfELb1EEEZNS1_14transform_implILb1ES3_S7_PS6_S9_NS0_8identityIS6_EEEE10hipError_tT2_T3_mT4_P12ihipStream_tbEUlT_E_NS1_11comp_targetILNS1_3genE0ELNS1_11target_archE4294967295ELNS1_3gpuE0ELNS1_3repE0EEENS1_30default_config_static_selectorELNS0_4arch9wavefront6targetE0EEEvT1_
	.p2align	8
	.type	_ZN7rocprim17ROCPRIM_400000_NS6detail17trampoline_kernelINS0_14default_configENS1_25transform_config_selectorIN3c104HalfELb1EEEZNS1_14transform_implILb1ES3_S7_PS6_S9_NS0_8identityIS6_EEEE10hipError_tT2_T3_mT4_P12ihipStream_tbEUlT_E_NS1_11comp_targetILNS1_3genE0ELNS1_11target_archE4294967295ELNS1_3gpuE0ELNS1_3repE0EEENS1_30default_config_static_selectorELNS0_4arch9wavefront6targetE0EEEvT1_,@function
_ZN7rocprim17ROCPRIM_400000_NS6detail17trampoline_kernelINS0_14default_configENS1_25transform_config_selectorIN3c104HalfELb1EEEZNS1_14transform_implILb1ES3_S7_PS6_S9_NS0_8identityIS6_EEEE10hipError_tT2_T3_mT4_P12ihipStream_tbEUlT_E_NS1_11comp_targetILNS1_3genE0ELNS1_11target_archE4294967295ELNS1_3gpuE0ELNS1_3repE0EEENS1_30default_config_static_selectorELNS0_4arch9wavefront6targetE0EEEvT1_: ; @_ZN7rocprim17ROCPRIM_400000_NS6detail17trampoline_kernelINS0_14default_configENS1_25transform_config_selectorIN3c104HalfELb1EEEZNS1_14transform_implILb1ES3_S7_PS6_S9_NS0_8identityIS6_EEEE10hipError_tT2_T3_mT4_P12ihipStream_tbEUlT_E_NS1_11comp_targetILNS1_3genE0ELNS1_11target_archE4294967295ELNS1_3gpuE0ELNS1_3repE0EEENS1_30default_config_static_selectorELNS0_4arch9wavefront6targetE0EEEvT1_
; %bb.0:
	.section	.rodata,"a",@progbits
	.p2align	6, 0x0
	.amdhsa_kernel _ZN7rocprim17ROCPRIM_400000_NS6detail17trampoline_kernelINS0_14default_configENS1_25transform_config_selectorIN3c104HalfELb1EEEZNS1_14transform_implILb1ES3_S7_PS6_S9_NS0_8identityIS6_EEEE10hipError_tT2_T3_mT4_P12ihipStream_tbEUlT_E_NS1_11comp_targetILNS1_3genE0ELNS1_11target_archE4294967295ELNS1_3gpuE0ELNS1_3repE0EEENS1_30default_config_static_selectorELNS0_4arch9wavefront6targetE0EEEvT1_
		.amdhsa_group_segment_fixed_size 0
		.amdhsa_private_segment_fixed_size 0
		.amdhsa_kernarg_size 40
		.amdhsa_user_sgpr_count 15
		.amdhsa_user_sgpr_dispatch_ptr 0
		.amdhsa_user_sgpr_queue_ptr 0
		.amdhsa_user_sgpr_kernarg_segment_ptr 1
		.amdhsa_user_sgpr_dispatch_id 0
		.amdhsa_user_sgpr_private_segment_size 0
		.amdhsa_wavefront_size32 1
		.amdhsa_uses_dynamic_stack 0
		.amdhsa_enable_private_segment 0
		.amdhsa_system_sgpr_workgroup_id_x 1
		.amdhsa_system_sgpr_workgroup_id_y 0
		.amdhsa_system_sgpr_workgroup_id_z 0
		.amdhsa_system_sgpr_workgroup_info 0
		.amdhsa_system_vgpr_workitem_id 0
		.amdhsa_next_free_vgpr 1
		.amdhsa_next_free_sgpr 1
		.amdhsa_reserve_vcc 0
		.amdhsa_float_round_mode_32 0
		.amdhsa_float_round_mode_16_64 0
		.amdhsa_float_denorm_mode_32 3
		.amdhsa_float_denorm_mode_16_64 3
		.amdhsa_dx10_clamp 1
		.amdhsa_ieee_mode 1
		.amdhsa_fp16_overflow 0
		.amdhsa_workgroup_processor_mode 1
		.amdhsa_memory_ordered 1
		.amdhsa_forward_progress 0
		.amdhsa_shared_vgpr_count 0
		.amdhsa_exception_fp_ieee_invalid_op 0
		.amdhsa_exception_fp_denorm_src 0
		.amdhsa_exception_fp_ieee_div_zero 0
		.amdhsa_exception_fp_ieee_overflow 0
		.amdhsa_exception_fp_ieee_underflow 0
		.amdhsa_exception_fp_ieee_inexact 0
		.amdhsa_exception_int_div_zero 0
	.end_amdhsa_kernel
	.section	.text._ZN7rocprim17ROCPRIM_400000_NS6detail17trampoline_kernelINS0_14default_configENS1_25transform_config_selectorIN3c104HalfELb1EEEZNS1_14transform_implILb1ES3_S7_PS6_S9_NS0_8identityIS6_EEEE10hipError_tT2_T3_mT4_P12ihipStream_tbEUlT_E_NS1_11comp_targetILNS1_3genE0ELNS1_11target_archE4294967295ELNS1_3gpuE0ELNS1_3repE0EEENS1_30default_config_static_selectorELNS0_4arch9wavefront6targetE0EEEvT1_,"axG",@progbits,_ZN7rocprim17ROCPRIM_400000_NS6detail17trampoline_kernelINS0_14default_configENS1_25transform_config_selectorIN3c104HalfELb1EEEZNS1_14transform_implILb1ES3_S7_PS6_S9_NS0_8identityIS6_EEEE10hipError_tT2_T3_mT4_P12ihipStream_tbEUlT_E_NS1_11comp_targetILNS1_3genE0ELNS1_11target_archE4294967295ELNS1_3gpuE0ELNS1_3repE0EEENS1_30default_config_static_selectorELNS0_4arch9wavefront6targetE0EEEvT1_,comdat
.Lfunc_end365:
	.size	_ZN7rocprim17ROCPRIM_400000_NS6detail17trampoline_kernelINS0_14default_configENS1_25transform_config_selectorIN3c104HalfELb1EEEZNS1_14transform_implILb1ES3_S7_PS6_S9_NS0_8identityIS6_EEEE10hipError_tT2_T3_mT4_P12ihipStream_tbEUlT_E_NS1_11comp_targetILNS1_3genE0ELNS1_11target_archE4294967295ELNS1_3gpuE0ELNS1_3repE0EEENS1_30default_config_static_selectorELNS0_4arch9wavefront6targetE0EEEvT1_, .Lfunc_end365-_ZN7rocprim17ROCPRIM_400000_NS6detail17trampoline_kernelINS0_14default_configENS1_25transform_config_selectorIN3c104HalfELb1EEEZNS1_14transform_implILb1ES3_S7_PS6_S9_NS0_8identityIS6_EEEE10hipError_tT2_T3_mT4_P12ihipStream_tbEUlT_E_NS1_11comp_targetILNS1_3genE0ELNS1_11target_archE4294967295ELNS1_3gpuE0ELNS1_3repE0EEENS1_30default_config_static_selectorELNS0_4arch9wavefront6targetE0EEEvT1_
                                        ; -- End function
	.section	.AMDGPU.csdata,"",@progbits
; Kernel info:
; codeLenInByte = 0
; NumSgprs: 0
; NumVgprs: 0
; ScratchSize: 0
; MemoryBound: 0
; FloatMode: 240
; IeeeMode: 1
; LDSByteSize: 0 bytes/workgroup (compile time only)
; SGPRBlocks: 0
; VGPRBlocks: 0
; NumSGPRsForWavesPerEU: 1
; NumVGPRsForWavesPerEU: 1
; Occupancy: 16
; WaveLimiterHint : 0
; COMPUTE_PGM_RSRC2:SCRATCH_EN: 0
; COMPUTE_PGM_RSRC2:USER_SGPR: 15
; COMPUTE_PGM_RSRC2:TRAP_HANDLER: 0
; COMPUTE_PGM_RSRC2:TGID_X_EN: 1
; COMPUTE_PGM_RSRC2:TGID_Y_EN: 0
; COMPUTE_PGM_RSRC2:TGID_Z_EN: 0
; COMPUTE_PGM_RSRC2:TIDIG_COMP_CNT: 0
	.section	.text._ZN7rocprim17ROCPRIM_400000_NS6detail17trampoline_kernelINS0_14default_configENS1_25transform_config_selectorIN3c104HalfELb1EEEZNS1_14transform_implILb1ES3_S7_PS6_S9_NS0_8identityIS6_EEEE10hipError_tT2_T3_mT4_P12ihipStream_tbEUlT_E_NS1_11comp_targetILNS1_3genE10ELNS1_11target_archE1201ELNS1_3gpuE5ELNS1_3repE0EEENS1_30default_config_static_selectorELNS0_4arch9wavefront6targetE0EEEvT1_,"axG",@progbits,_ZN7rocprim17ROCPRIM_400000_NS6detail17trampoline_kernelINS0_14default_configENS1_25transform_config_selectorIN3c104HalfELb1EEEZNS1_14transform_implILb1ES3_S7_PS6_S9_NS0_8identityIS6_EEEE10hipError_tT2_T3_mT4_P12ihipStream_tbEUlT_E_NS1_11comp_targetILNS1_3genE10ELNS1_11target_archE1201ELNS1_3gpuE5ELNS1_3repE0EEENS1_30default_config_static_selectorELNS0_4arch9wavefront6targetE0EEEvT1_,comdat
	.protected	_ZN7rocprim17ROCPRIM_400000_NS6detail17trampoline_kernelINS0_14default_configENS1_25transform_config_selectorIN3c104HalfELb1EEEZNS1_14transform_implILb1ES3_S7_PS6_S9_NS0_8identityIS6_EEEE10hipError_tT2_T3_mT4_P12ihipStream_tbEUlT_E_NS1_11comp_targetILNS1_3genE10ELNS1_11target_archE1201ELNS1_3gpuE5ELNS1_3repE0EEENS1_30default_config_static_selectorELNS0_4arch9wavefront6targetE0EEEvT1_ ; -- Begin function _ZN7rocprim17ROCPRIM_400000_NS6detail17trampoline_kernelINS0_14default_configENS1_25transform_config_selectorIN3c104HalfELb1EEEZNS1_14transform_implILb1ES3_S7_PS6_S9_NS0_8identityIS6_EEEE10hipError_tT2_T3_mT4_P12ihipStream_tbEUlT_E_NS1_11comp_targetILNS1_3genE10ELNS1_11target_archE1201ELNS1_3gpuE5ELNS1_3repE0EEENS1_30default_config_static_selectorELNS0_4arch9wavefront6targetE0EEEvT1_
	.globl	_ZN7rocprim17ROCPRIM_400000_NS6detail17trampoline_kernelINS0_14default_configENS1_25transform_config_selectorIN3c104HalfELb1EEEZNS1_14transform_implILb1ES3_S7_PS6_S9_NS0_8identityIS6_EEEE10hipError_tT2_T3_mT4_P12ihipStream_tbEUlT_E_NS1_11comp_targetILNS1_3genE10ELNS1_11target_archE1201ELNS1_3gpuE5ELNS1_3repE0EEENS1_30default_config_static_selectorELNS0_4arch9wavefront6targetE0EEEvT1_
	.p2align	8
	.type	_ZN7rocprim17ROCPRIM_400000_NS6detail17trampoline_kernelINS0_14default_configENS1_25transform_config_selectorIN3c104HalfELb1EEEZNS1_14transform_implILb1ES3_S7_PS6_S9_NS0_8identityIS6_EEEE10hipError_tT2_T3_mT4_P12ihipStream_tbEUlT_E_NS1_11comp_targetILNS1_3genE10ELNS1_11target_archE1201ELNS1_3gpuE5ELNS1_3repE0EEENS1_30default_config_static_selectorELNS0_4arch9wavefront6targetE0EEEvT1_,@function
_ZN7rocprim17ROCPRIM_400000_NS6detail17trampoline_kernelINS0_14default_configENS1_25transform_config_selectorIN3c104HalfELb1EEEZNS1_14transform_implILb1ES3_S7_PS6_S9_NS0_8identityIS6_EEEE10hipError_tT2_T3_mT4_P12ihipStream_tbEUlT_E_NS1_11comp_targetILNS1_3genE10ELNS1_11target_archE1201ELNS1_3gpuE5ELNS1_3repE0EEENS1_30default_config_static_selectorELNS0_4arch9wavefront6targetE0EEEvT1_: ; @_ZN7rocprim17ROCPRIM_400000_NS6detail17trampoline_kernelINS0_14default_configENS1_25transform_config_selectorIN3c104HalfELb1EEEZNS1_14transform_implILb1ES3_S7_PS6_S9_NS0_8identityIS6_EEEE10hipError_tT2_T3_mT4_P12ihipStream_tbEUlT_E_NS1_11comp_targetILNS1_3genE10ELNS1_11target_archE1201ELNS1_3gpuE5ELNS1_3repE0EEENS1_30default_config_static_selectorELNS0_4arch9wavefront6targetE0EEEvT1_
; %bb.0:
	.section	.rodata,"a",@progbits
	.p2align	6, 0x0
	.amdhsa_kernel _ZN7rocprim17ROCPRIM_400000_NS6detail17trampoline_kernelINS0_14default_configENS1_25transform_config_selectorIN3c104HalfELb1EEEZNS1_14transform_implILb1ES3_S7_PS6_S9_NS0_8identityIS6_EEEE10hipError_tT2_T3_mT4_P12ihipStream_tbEUlT_E_NS1_11comp_targetILNS1_3genE10ELNS1_11target_archE1201ELNS1_3gpuE5ELNS1_3repE0EEENS1_30default_config_static_selectorELNS0_4arch9wavefront6targetE0EEEvT1_
		.amdhsa_group_segment_fixed_size 0
		.amdhsa_private_segment_fixed_size 0
		.amdhsa_kernarg_size 40
		.amdhsa_user_sgpr_count 15
		.amdhsa_user_sgpr_dispatch_ptr 0
		.amdhsa_user_sgpr_queue_ptr 0
		.amdhsa_user_sgpr_kernarg_segment_ptr 1
		.amdhsa_user_sgpr_dispatch_id 0
		.amdhsa_user_sgpr_private_segment_size 0
		.amdhsa_wavefront_size32 1
		.amdhsa_uses_dynamic_stack 0
		.amdhsa_enable_private_segment 0
		.amdhsa_system_sgpr_workgroup_id_x 1
		.amdhsa_system_sgpr_workgroup_id_y 0
		.amdhsa_system_sgpr_workgroup_id_z 0
		.amdhsa_system_sgpr_workgroup_info 0
		.amdhsa_system_vgpr_workitem_id 0
		.amdhsa_next_free_vgpr 1
		.amdhsa_next_free_sgpr 1
		.amdhsa_reserve_vcc 0
		.amdhsa_float_round_mode_32 0
		.amdhsa_float_round_mode_16_64 0
		.amdhsa_float_denorm_mode_32 3
		.amdhsa_float_denorm_mode_16_64 3
		.amdhsa_dx10_clamp 1
		.amdhsa_ieee_mode 1
		.amdhsa_fp16_overflow 0
		.amdhsa_workgroup_processor_mode 1
		.amdhsa_memory_ordered 1
		.amdhsa_forward_progress 0
		.amdhsa_shared_vgpr_count 0
		.amdhsa_exception_fp_ieee_invalid_op 0
		.amdhsa_exception_fp_denorm_src 0
		.amdhsa_exception_fp_ieee_div_zero 0
		.amdhsa_exception_fp_ieee_overflow 0
		.amdhsa_exception_fp_ieee_underflow 0
		.amdhsa_exception_fp_ieee_inexact 0
		.amdhsa_exception_int_div_zero 0
	.end_amdhsa_kernel
	.section	.text._ZN7rocprim17ROCPRIM_400000_NS6detail17trampoline_kernelINS0_14default_configENS1_25transform_config_selectorIN3c104HalfELb1EEEZNS1_14transform_implILb1ES3_S7_PS6_S9_NS0_8identityIS6_EEEE10hipError_tT2_T3_mT4_P12ihipStream_tbEUlT_E_NS1_11comp_targetILNS1_3genE10ELNS1_11target_archE1201ELNS1_3gpuE5ELNS1_3repE0EEENS1_30default_config_static_selectorELNS0_4arch9wavefront6targetE0EEEvT1_,"axG",@progbits,_ZN7rocprim17ROCPRIM_400000_NS6detail17trampoline_kernelINS0_14default_configENS1_25transform_config_selectorIN3c104HalfELb1EEEZNS1_14transform_implILb1ES3_S7_PS6_S9_NS0_8identityIS6_EEEE10hipError_tT2_T3_mT4_P12ihipStream_tbEUlT_E_NS1_11comp_targetILNS1_3genE10ELNS1_11target_archE1201ELNS1_3gpuE5ELNS1_3repE0EEENS1_30default_config_static_selectorELNS0_4arch9wavefront6targetE0EEEvT1_,comdat
.Lfunc_end366:
	.size	_ZN7rocprim17ROCPRIM_400000_NS6detail17trampoline_kernelINS0_14default_configENS1_25transform_config_selectorIN3c104HalfELb1EEEZNS1_14transform_implILb1ES3_S7_PS6_S9_NS0_8identityIS6_EEEE10hipError_tT2_T3_mT4_P12ihipStream_tbEUlT_E_NS1_11comp_targetILNS1_3genE10ELNS1_11target_archE1201ELNS1_3gpuE5ELNS1_3repE0EEENS1_30default_config_static_selectorELNS0_4arch9wavefront6targetE0EEEvT1_, .Lfunc_end366-_ZN7rocprim17ROCPRIM_400000_NS6detail17trampoline_kernelINS0_14default_configENS1_25transform_config_selectorIN3c104HalfELb1EEEZNS1_14transform_implILb1ES3_S7_PS6_S9_NS0_8identityIS6_EEEE10hipError_tT2_T3_mT4_P12ihipStream_tbEUlT_E_NS1_11comp_targetILNS1_3genE10ELNS1_11target_archE1201ELNS1_3gpuE5ELNS1_3repE0EEENS1_30default_config_static_selectorELNS0_4arch9wavefront6targetE0EEEvT1_
                                        ; -- End function
	.section	.AMDGPU.csdata,"",@progbits
; Kernel info:
; codeLenInByte = 0
; NumSgprs: 0
; NumVgprs: 0
; ScratchSize: 0
; MemoryBound: 0
; FloatMode: 240
; IeeeMode: 1
; LDSByteSize: 0 bytes/workgroup (compile time only)
; SGPRBlocks: 0
; VGPRBlocks: 0
; NumSGPRsForWavesPerEU: 1
; NumVGPRsForWavesPerEU: 1
; Occupancy: 16
; WaveLimiterHint : 0
; COMPUTE_PGM_RSRC2:SCRATCH_EN: 0
; COMPUTE_PGM_RSRC2:USER_SGPR: 15
; COMPUTE_PGM_RSRC2:TRAP_HANDLER: 0
; COMPUTE_PGM_RSRC2:TGID_X_EN: 1
; COMPUTE_PGM_RSRC2:TGID_Y_EN: 0
; COMPUTE_PGM_RSRC2:TGID_Z_EN: 0
; COMPUTE_PGM_RSRC2:TIDIG_COMP_CNT: 0
	.section	.text._ZN7rocprim17ROCPRIM_400000_NS6detail17trampoline_kernelINS0_14default_configENS1_25transform_config_selectorIN3c104HalfELb1EEEZNS1_14transform_implILb1ES3_S7_PS6_S9_NS0_8identityIS6_EEEE10hipError_tT2_T3_mT4_P12ihipStream_tbEUlT_E_NS1_11comp_targetILNS1_3genE5ELNS1_11target_archE942ELNS1_3gpuE9ELNS1_3repE0EEENS1_30default_config_static_selectorELNS0_4arch9wavefront6targetE0EEEvT1_,"axG",@progbits,_ZN7rocprim17ROCPRIM_400000_NS6detail17trampoline_kernelINS0_14default_configENS1_25transform_config_selectorIN3c104HalfELb1EEEZNS1_14transform_implILb1ES3_S7_PS6_S9_NS0_8identityIS6_EEEE10hipError_tT2_T3_mT4_P12ihipStream_tbEUlT_E_NS1_11comp_targetILNS1_3genE5ELNS1_11target_archE942ELNS1_3gpuE9ELNS1_3repE0EEENS1_30default_config_static_selectorELNS0_4arch9wavefront6targetE0EEEvT1_,comdat
	.protected	_ZN7rocprim17ROCPRIM_400000_NS6detail17trampoline_kernelINS0_14default_configENS1_25transform_config_selectorIN3c104HalfELb1EEEZNS1_14transform_implILb1ES3_S7_PS6_S9_NS0_8identityIS6_EEEE10hipError_tT2_T3_mT4_P12ihipStream_tbEUlT_E_NS1_11comp_targetILNS1_3genE5ELNS1_11target_archE942ELNS1_3gpuE9ELNS1_3repE0EEENS1_30default_config_static_selectorELNS0_4arch9wavefront6targetE0EEEvT1_ ; -- Begin function _ZN7rocprim17ROCPRIM_400000_NS6detail17trampoline_kernelINS0_14default_configENS1_25transform_config_selectorIN3c104HalfELb1EEEZNS1_14transform_implILb1ES3_S7_PS6_S9_NS0_8identityIS6_EEEE10hipError_tT2_T3_mT4_P12ihipStream_tbEUlT_E_NS1_11comp_targetILNS1_3genE5ELNS1_11target_archE942ELNS1_3gpuE9ELNS1_3repE0EEENS1_30default_config_static_selectorELNS0_4arch9wavefront6targetE0EEEvT1_
	.globl	_ZN7rocprim17ROCPRIM_400000_NS6detail17trampoline_kernelINS0_14default_configENS1_25transform_config_selectorIN3c104HalfELb1EEEZNS1_14transform_implILb1ES3_S7_PS6_S9_NS0_8identityIS6_EEEE10hipError_tT2_T3_mT4_P12ihipStream_tbEUlT_E_NS1_11comp_targetILNS1_3genE5ELNS1_11target_archE942ELNS1_3gpuE9ELNS1_3repE0EEENS1_30default_config_static_selectorELNS0_4arch9wavefront6targetE0EEEvT1_
	.p2align	8
	.type	_ZN7rocprim17ROCPRIM_400000_NS6detail17trampoline_kernelINS0_14default_configENS1_25transform_config_selectorIN3c104HalfELb1EEEZNS1_14transform_implILb1ES3_S7_PS6_S9_NS0_8identityIS6_EEEE10hipError_tT2_T3_mT4_P12ihipStream_tbEUlT_E_NS1_11comp_targetILNS1_3genE5ELNS1_11target_archE942ELNS1_3gpuE9ELNS1_3repE0EEENS1_30default_config_static_selectorELNS0_4arch9wavefront6targetE0EEEvT1_,@function
_ZN7rocprim17ROCPRIM_400000_NS6detail17trampoline_kernelINS0_14default_configENS1_25transform_config_selectorIN3c104HalfELb1EEEZNS1_14transform_implILb1ES3_S7_PS6_S9_NS0_8identityIS6_EEEE10hipError_tT2_T3_mT4_P12ihipStream_tbEUlT_E_NS1_11comp_targetILNS1_3genE5ELNS1_11target_archE942ELNS1_3gpuE9ELNS1_3repE0EEENS1_30default_config_static_selectorELNS0_4arch9wavefront6targetE0EEEvT1_: ; @_ZN7rocprim17ROCPRIM_400000_NS6detail17trampoline_kernelINS0_14default_configENS1_25transform_config_selectorIN3c104HalfELb1EEEZNS1_14transform_implILb1ES3_S7_PS6_S9_NS0_8identityIS6_EEEE10hipError_tT2_T3_mT4_P12ihipStream_tbEUlT_E_NS1_11comp_targetILNS1_3genE5ELNS1_11target_archE942ELNS1_3gpuE9ELNS1_3repE0EEENS1_30default_config_static_selectorELNS0_4arch9wavefront6targetE0EEEvT1_
; %bb.0:
	.section	.rodata,"a",@progbits
	.p2align	6, 0x0
	.amdhsa_kernel _ZN7rocprim17ROCPRIM_400000_NS6detail17trampoline_kernelINS0_14default_configENS1_25transform_config_selectorIN3c104HalfELb1EEEZNS1_14transform_implILb1ES3_S7_PS6_S9_NS0_8identityIS6_EEEE10hipError_tT2_T3_mT4_P12ihipStream_tbEUlT_E_NS1_11comp_targetILNS1_3genE5ELNS1_11target_archE942ELNS1_3gpuE9ELNS1_3repE0EEENS1_30default_config_static_selectorELNS0_4arch9wavefront6targetE0EEEvT1_
		.amdhsa_group_segment_fixed_size 0
		.amdhsa_private_segment_fixed_size 0
		.amdhsa_kernarg_size 40
		.amdhsa_user_sgpr_count 15
		.amdhsa_user_sgpr_dispatch_ptr 0
		.amdhsa_user_sgpr_queue_ptr 0
		.amdhsa_user_sgpr_kernarg_segment_ptr 1
		.amdhsa_user_sgpr_dispatch_id 0
		.amdhsa_user_sgpr_private_segment_size 0
		.amdhsa_wavefront_size32 1
		.amdhsa_uses_dynamic_stack 0
		.amdhsa_enable_private_segment 0
		.amdhsa_system_sgpr_workgroup_id_x 1
		.amdhsa_system_sgpr_workgroup_id_y 0
		.amdhsa_system_sgpr_workgroup_id_z 0
		.amdhsa_system_sgpr_workgroup_info 0
		.amdhsa_system_vgpr_workitem_id 0
		.amdhsa_next_free_vgpr 1
		.amdhsa_next_free_sgpr 1
		.amdhsa_reserve_vcc 0
		.amdhsa_float_round_mode_32 0
		.amdhsa_float_round_mode_16_64 0
		.amdhsa_float_denorm_mode_32 3
		.amdhsa_float_denorm_mode_16_64 3
		.amdhsa_dx10_clamp 1
		.amdhsa_ieee_mode 1
		.amdhsa_fp16_overflow 0
		.amdhsa_workgroup_processor_mode 1
		.amdhsa_memory_ordered 1
		.amdhsa_forward_progress 0
		.amdhsa_shared_vgpr_count 0
		.amdhsa_exception_fp_ieee_invalid_op 0
		.amdhsa_exception_fp_denorm_src 0
		.amdhsa_exception_fp_ieee_div_zero 0
		.amdhsa_exception_fp_ieee_overflow 0
		.amdhsa_exception_fp_ieee_underflow 0
		.amdhsa_exception_fp_ieee_inexact 0
		.amdhsa_exception_int_div_zero 0
	.end_amdhsa_kernel
	.section	.text._ZN7rocprim17ROCPRIM_400000_NS6detail17trampoline_kernelINS0_14default_configENS1_25transform_config_selectorIN3c104HalfELb1EEEZNS1_14transform_implILb1ES3_S7_PS6_S9_NS0_8identityIS6_EEEE10hipError_tT2_T3_mT4_P12ihipStream_tbEUlT_E_NS1_11comp_targetILNS1_3genE5ELNS1_11target_archE942ELNS1_3gpuE9ELNS1_3repE0EEENS1_30default_config_static_selectorELNS0_4arch9wavefront6targetE0EEEvT1_,"axG",@progbits,_ZN7rocprim17ROCPRIM_400000_NS6detail17trampoline_kernelINS0_14default_configENS1_25transform_config_selectorIN3c104HalfELb1EEEZNS1_14transform_implILb1ES3_S7_PS6_S9_NS0_8identityIS6_EEEE10hipError_tT2_T3_mT4_P12ihipStream_tbEUlT_E_NS1_11comp_targetILNS1_3genE5ELNS1_11target_archE942ELNS1_3gpuE9ELNS1_3repE0EEENS1_30default_config_static_selectorELNS0_4arch9wavefront6targetE0EEEvT1_,comdat
.Lfunc_end367:
	.size	_ZN7rocprim17ROCPRIM_400000_NS6detail17trampoline_kernelINS0_14default_configENS1_25transform_config_selectorIN3c104HalfELb1EEEZNS1_14transform_implILb1ES3_S7_PS6_S9_NS0_8identityIS6_EEEE10hipError_tT2_T3_mT4_P12ihipStream_tbEUlT_E_NS1_11comp_targetILNS1_3genE5ELNS1_11target_archE942ELNS1_3gpuE9ELNS1_3repE0EEENS1_30default_config_static_selectorELNS0_4arch9wavefront6targetE0EEEvT1_, .Lfunc_end367-_ZN7rocprim17ROCPRIM_400000_NS6detail17trampoline_kernelINS0_14default_configENS1_25transform_config_selectorIN3c104HalfELb1EEEZNS1_14transform_implILb1ES3_S7_PS6_S9_NS0_8identityIS6_EEEE10hipError_tT2_T3_mT4_P12ihipStream_tbEUlT_E_NS1_11comp_targetILNS1_3genE5ELNS1_11target_archE942ELNS1_3gpuE9ELNS1_3repE0EEENS1_30default_config_static_selectorELNS0_4arch9wavefront6targetE0EEEvT1_
                                        ; -- End function
	.section	.AMDGPU.csdata,"",@progbits
; Kernel info:
; codeLenInByte = 0
; NumSgprs: 0
; NumVgprs: 0
; ScratchSize: 0
; MemoryBound: 0
; FloatMode: 240
; IeeeMode: 1
; LDSByteSize: 0 bytes/workgroup (compile time only)
; SGPRBlocks: 0
; VGPRBlocks: 0
; NumSGPRsForWavesPerEU: 1
; NumVGPRsForWavesPerEU: 1
; Occupancy: 16
; WaveLimiterHint : 0
; COMPUTE_PGM_RSRC2:SCRATCH_EN: 0
; COMPUTE_PGM_RSRC2:USER_SGPR: 15
; COMPUTE_PGM_RSRC2:TRAP_HANDLER: 0
; COMPUTE_PGM_RSRC2:TGID_X_EN: 1
; COMPUTE_PGM_RSRC2:TGID_Y_EN: 0
; COMPUTE_PGM_RSRC2:TGID_Z_EN: 0
; COMPUTE_PGM_RSRC2:TIDIG_COMP_CNT: 0
	.section	.text._ZN7rocprim17ROCPRIM_400000_NS6detail17trampoline_kernelINS0_14default_configENS1_25transform_config_selectorIN3c104HalfELb1EEEZNS1_14transform_implILb1ES3_S7_PS6_S9_NS0_8identityIS6_EEEE10hipError_tT2_T3_mT4_P12ihipStream_tbEUlT_E_NS1_11comp_targetILNS1_3genE4ELNS1_11target_archE910ELNS1_3gpuE8ELNS1_3repE0EEENS1_30default_config_static_selectorELNS0_4arch9wavefront6targetE0EEEvT1_,"axG",@progbits,_ZN7rocprim17ROCPRIM_400000_NS6detail17trampoline_kernelINS0_14default_configENS1_25transform_config_selectorIN3c104HalfELb1EEEZNS1_14transform_implILb1ES3_S7_PS6_S9_NS0_8identityIS6_EEEE10hipError_tT2_T3_mT4_P12ihipStream_tbEUlT_E_NS1_11comp_targetILNS1_3genE4ELNS1_11target_archE910ELNS1_3gpuE8ELNS1_3repE0EEENS1_30default_config_static_selectorELNS0_4arch9wavefront6targetE0EEEvT1_,comdat
	.protected	_ZN7rocprim17ROCPRIM_400000_NS6detail17trampoline_kernelINS0_14default_configENS1_25transform_config_selectorIN3c104HalfELb1EEEZNS1_14transform_implILb1ES3_S7_PS6_S9_NS0_8identityIS6_EEEE10hipError_tT2_T3_mT4_P12ihipStream_tbEUlT_E_NS1_11comp_targetILNS1_3genE4ELNS1_11target_archE910ELNS1_3gpuE8ELNS1_3repE0EEENS1_30default_config_static_selectorELNS0_4arch9wavefront6targetE0EEEvT1_ ; -- Begin function _ZN7rocprim17ROCPRIM_400000_NS6detail17trampoline_kernelINS0_14default_configENS1_25transform_config_selectorIN3c104HalfELb1EEEZNS1_14transform_implILb1ES3_S7_PS6_S9_NS0_8identityIS6_EEEE10hipError_tT2_T3_mT4_P12ihipStream_tbEUlT_E_NS1_11comp_targetILNS1_3genE4ELNS1_11target_archE910ELNS1_3gpuE8ELNS1_3repE0EEENS1_30default_config_static_selectorELNS0_4arch9wavefront6targetE0EEEvT1_
	.globl	_ZN7rocprim17ROCPRIM_400000_NS6detail17trampoline_kernelINS0_14default_configENS1_25transform_config_selectorIN3c104HalfELb1EEEZNS1_14transform_implILb1ES3_S7_PS6_S9_NS0_8identityIS6_EEEE10hipError_tT2_T3_mT4_P12ihipStream_tbEUlT_E_NS1_11comp_targetILNS1_3genE4ELNS1_11target_archE910ELNS1_3gpuE8ELNS1_3repE0EEENS1_30default_config_static_selectorELNS0_4arch9wavefront6targetE0EEEvT1_
	.p2align	8
	.type	_ZN7rocprim17ROCPRIM_400000_NS6detail17trampoline_kernelINS0_14default_configENS1_25transform_config_selectorIN3c104HalfELb1EEEZNS1_14transform_implILb1ES3_S7_PS6_S9_NS0_8identityIS6_EEEE10hipError_tT2_T3_mT4_P12ihipStream_tbEUlT_E_NS1_11comp_targetILNS1_3genE4ELNS1_11target_archE910ELNS1_3gpuE8ELNS1_3repE0EEENS1_30default_config_static_selectorELNS0_4arch9wavefront6targetE0EEEvT1_,@function
_ZN7rocprim17ROCPRIM_400000_NS6detail17trampoline_kernelINS0_14default_configENS1_25transform_config_selectorIN3c104HalfELb1EEEZNS1_14transform_implILb1ES3_S7_PS6_S9_NS0_8identityIS6_EEEE10hipError_tT2_T3_mT4_P12ihipStream_tbEUlT_E_NS1_11comp_targetILNS1_3genE4ELNS1_11target_archE910ELNS1_3gpuE8ELNS1_3repE0EEENS1_30default_config_static_selectorELNS0_4arch9wavefront6targetE0EEEvT1_: ; @_ZN7rocprim17ROCPRIM_400000_NS6detail17trampoline_kernelINS0_14default_configENS1_25transform_config_selectorIN3c104HalfELb1EEEZNS1_14transform_implILb1ES3_S7_PS6_S9_NS0_8identityIS6_EEEE10hipError_tT2_T3_mT4_P12ihipStream_tbEUlT_E_NS1_11comp_targetILNS1_3genE4ELNS1_11target_archE910ELNS1_3gpuE8ELNS1_3repE0EEENS1_30default_config_static_selectorELNS0_4arch9wavefront6targetE0EEEvT1_
; %bb.0:
	.section	.rodata,"a",@progbits
	.p2align	6, 0x0
	.amdhsa_kernel _ZN7rocprim17ROCPRIM_400000_NS6detail17trampoline_kernelINS0_14default_configENS1_25transform_config_selectorIN3c104HalfELb1EEEZNS1_14transform_implILb1ES3_S7_PS6_S9_NS0_8identityIS6_EEEE10hipError_tT2_T3_mT4_P12ihipStream_tbEUlT_E_NS1_11comp_targetILNS1_3genE4ELNS1_11target_archE910ELNS1_3gpuE8ELNS1_3repE0EEENS1_30default_config_static_selectorELNS0_4arch9wavefront6targetE0EEEvT1_
		.amdhsa_group_segment_fixed_size 0
		.amdhsa_private_segment_fixed_size 0
		.amdhsa_kernarg_size 40
		.amdhsa_user_sgpr_count 15
		.amdhsa_user_sgpr_dispatch_ptr 0
		.amdhsa_user_sgpr_queue_ptr 0
		.amdhsa_user_sgpr_kernarg_segment_ptr 1
		.amdhsa_user_sgpr_dispatch_id 0
		.amdhsa_user_sgpr_private_segment_size 0
		.amdhsa_wavefront_size32 1
		.amdhsa_uses_dynamic_stack 0
		.amdhsa_enable_private_segment 0
		.amdhsa_system_sgpr_workgroup_id_x 1
		.amdhsa_system_sgpr_workgroup_id_y 0
		.amdhsa_system_sgpr_workgroup_id_z 0
		.amdhsa_system_sgpr_workgroup_info 0
		.amdhsa_system_vgpr_workitem_id 0
		.amdhsa_next_free_vgpr 1
		.amdhsa_next_free_sgpr 1
		.amdhsa_reserve_vcc 0
		.amdhsa_float_round_mode_32 0
		.amdhsa_float_round_mode_16_64 0
		.amdhsa_float_denorm_mode_32 3
		.amdhsa_float_denorm_mode_16_64 3
		.amdhsa_dx10_clamp 1
		.amdhsa_ieee_mode 1
		.amdhsa_fp16_overflow 0
		.amdhsa_workgroup_processor_mode 1
		.amdhsa_memory_ordered 1
		.amdhsa_forward_progress 0
		.amdhsa_shared_vgpr_count 0
		.amdhsa_exception_fp_ieee_invalid_op 0
		.amdhsa_exception_fp_denorm_src 0
		.amdhsa_exception_fp_ieee_div_zero 0
		.amdhsa_exception_fp_ieee_overflow 0
		.amdhsa_exception_fp_ieee_underflow 0
		.amdhsa_exception_fp_ieee_inexact 0
		.amdhsa_exception_int_div_zero 0
	.end_amdhsa_kernel
	.section	.text._ZN7rocprim17ROCPRIM_400000_NS6detail17trampoline_kernelINS0_14default_configENS1_25transform_config_selectorIN3c104HalfELb1EEEZNS1_14transform_implILb1ES3_S7_PS6_S9_NS0_8identityIS6_EEEE10hipError_tT2_T3_mT4_P12ihipStream_tbEUlT_E_NS1_11comp_targetILNS1_3genE4ELNS1_11target_archE910ELNS1_3gpuE8ELNS1_3repE0EEENS1_30default_config_static_selectorELNS0_4arch9wavefront6targetE0EEEvT1_,"axG",@progbits,_ZN7rocprim17ROCPRIM_400000_NS6detail17trampoline_kernelINS0_14default_configENS1_25transform_config_selectorIN3c104HalfELb1EEEZNS1_14transform_implILb1ES3_S7_PS6_S9_NS0_8identityIS6_EEEE10hipError_tT2_T3_mT4_P12ihipStream_tbEUlT_E_NS1_11comp_targetILNS1_3genE4ELNS1_11target_archE910ELNS1_3gpuE8ELNS1_3repE0EEENS1_30default_config_static_selectorELNS0_4arch9wavefront6targetE0EEEvT1_,comdat
.Lfunc_end368:
	.size	_ZN7rocprim17ROCPRIM_400000_NS6detail17trampoline_kernelINS0_14default_configENS1_25transform_config_selectorIN3c104HalfELb1EEEZNS1_14transform_implILb1ES3_S7_PS6_S9_NS0_8identityIS6_EEEE10hipError_tT2_T3_mT4_P12ihipStream_tbEUlT_E_NS1_11comp_targetILNS1_3genE4ELNS1_11target_archE910ELNS1_3gpuE8ELNS1_3repE0EEENS1_30default_config_static_selectorELNS0_4arch9wavefront6targetE0EEEvT1_, .Lfunc_end368-_ZN7rocprim17ROCPRIM_400000_NS6detail17trampoline_kernelINS0_14default_configENS1_25transform_config_selectorIN3c104HalfELb1EEEZNS1_14transform_implILb1ES3_S7_PS6_S9_NS0_8identityIS6_EEEE10hipError_tT2_T3_mT4_P12ihipStream_tbEUlT_E_NS1_11comp_targetILNS1_3genE4ELNS1_11target_archE910ELNS1_3gpuE8ELNS1_3repE0EEENS1_30default_config_static_selectorELNS0_4arch9wavefront6targetE0EEEvT1_
                                        ; -- End function
	.section	.AMDGPU.csdata,"",@progbits
; Kernel info:
; codeLenInByte = 0
; NumSgprs: 0
; NumVgprs: 0
; ScratchSize: 0
; MemoryBound: 0
; FloatMode: 240
; IeeeMode: 1
; LDSByteSize: 0 bytes/workgroup (compile time only)
; SGPRBlocks: 0
; VGPRBlocks: 0
; NumSGPRsForWavesPerEU: 1
; NumVGPRsForWavesPerEU: 1
; Occupancy: 16
; WaveLimiterHint : 0
; COMPUTE_PGM_RSRC2:SCRATCH_EN: 0
; COMPUTE_PGM_RSRC2:USER_SGPR: 15
; COMPUTE_PGM_RSRC2:TRAP_HANDLER: 0
; COMPUTE_PGM_RSRC2:TGID_X_EN: 1
; COMPUTE_PGM_RSRC2:TGID_Y_EN: 0
; COMPUTE_PGM_RSRC2:TGID_Z_EN: 0
; COMPUTE_PGM_RSRC2:TIDIG_COMP_CNT: 0
	.section	.text._ZN7rocprim17ROCPRIM_400000_NS6detail17trampoline_kernelINS0_14default_configENS1_25transform_config_selectorIN3c104HalfELb1EEEZNS1_14transform_implILb1ES3_S7_PS6_S9_NS0_8identityIS6_EEEE10hipError_tT2_T3_mT4_P12ihipStream_tbEUlT_E_NS1_11comp_targetILNS1_3genE3ELNS1_11target_archE908ELNS1_3gpuE7ELNS1_3repE0EEENS1_30default_config_static_selectorELNS0_4arch9wavefront6targetE0EEEvT1_,"axG",@progbits,_ZN7rocprim17ROCPRIM_400000_NS6detail17trampoline_kernelINS0_14default_configENS1_25transform_config_selectorIN3c104HalfELb1EEEZNS1_14transform_implILb1ES3_S7_PS6_S9_NS0_8identityIS6_EEEE10hipError_tT2_T3_mT4_P12ihipStream_tbEUlT_E_NS1_11comp_targetILNS1_3genE3ELNS1_11target_archE908ELNS1_3gpuE7ELNS1_3repE0EEENS1_30default_config_static_selectorELNS0_4arch9wavefront6targetE0EEEvT1_,comdat
	.protected	_ZN7rocprim17ROCPRIM_400000_NS6detail17trampoline_kernelINS0_14default_configENS1_25transform_config_selectorIN3c104HalfELb1EEEZNS1_14transform_implILb1ES3_S7_PS6_S9_NS0_8identityIS6_EEEE10hipError_tT2_T3_mT4_P12ihipStream_tbEUlT_E_NS1_11comp_targetILNS1_3genE3ELNS1_11target_archE908ELNS1_3gpuE7ELNS1_3repE0EEENS1_30default_config_static_selectorELNS0_4arch9wavefront6targetE0EEEvT1_ ; -- Begin function _ZN7rocprim17ROCPRIM_400000_NS6detail17trampoline_kernelINS0_14default_configENS1_25transform_config_selectorIN3c104HalfELb1EEEZNS1_14transform_implILb1ES3_S7_PS6_S9_NS0_8identityIS6_EEEE10hipError_tT2_T3_mT4_P12ihipStream_tbEUlT_E_NS1_11comp_targetILNS1_3genE3ELNS1_11target_archE908ELNS1_3gpuE7ELNS1_3repE0EEENS1_30default_config_static_selectorELNS0_4arch9wavefront6targetE0EEEvT1_
	.globl	_ZN7rocprim17ROCPRIM_400000_NS6detail17trampoline_kernelINS0_14default_configENS1_25transform_config_selectorIN3c104HalfELb1EEEZNS1_14transform_implILb1ES3_S7_PS6_S9_NS0_8identityIS6_EEEE10hipError_tT2_T3_mT4_P12ihipStream_tbEUlT_E_NS1_11comp_targetILNS1_3genE3ELNS1_11target_archE908ELNS1_3gpuE7ELNS1_3repE0EEENS1_30default_config_static_selectorELNS0_4arch9wavefront6targetE0EEEvT1_
	.p2align	8
	.type	_ZN7rocprim17ROCPRIM_400000_NS6detail17trampoline_kernelINS0_14default_configENS1_25transform_config_selectorIN3c104HalfELb1EEEZNS1_14transform_implILb1ES3_S7_PS6_S9_NS0_8identityIS6_EEEE10hipError_tT2_T3_mT4_P12ihipStream_tbEUlT_E_NS1_11comp_targetILNS1_3genE3ELNS1_11target_archE908ELNS1_3gpuE7ELNS1_3repE0EEENS1_30default_config_static_selectorELNS0_4arch9wavefront6targetE0EEEvT1_,@function
_ZN7rocprim17ROCPRIM_400000_NS6detail17trampoline_kernelINS0_14default_configENS1_25transform_config_selectorIN3c104HalfELb1EEEZNS1_14transform_implILb1ES3_S7_PS6_S9_NS0_8identityIS6_EEEE10hipError_tT2_T3_mT4_P12ihipStream_tbEUlT_E_NS1_11comp_targetILNS1_3genE3ELNS1_11target_archE908ELNS1_3gpuE7ELNS1_3repE0EEENS1_30default_config_static_selectorELNS0_4arch9wavefront6targetE0EEEvT1_: ; @_ZN7rocprim17ROCPRIM_400000_NS6detail17trampoline_kernelINS0_14default_configENS1_25transform_config_selectorIN3c104HalfELb1EEEZNS1_14transform_implILb1ES3_S7_PS6_S9_NS0_8identityIS6_EEEE10hipError_tT2_T3_mT4_P12ihipStream_tbEUlT_E_NS1_11comp_targetILNS1_3genE3ELNS1_11target_archE908ELNS1_3gpuE7ELNS1_3repE0EEENS1_30default_config_static_selectorELNS0_4arch9wavefront6targetE0EEEvT1_
; %bb.0:
	.section	.rodata,"a",@progbits
	.p2align	6, 0x0
	.amdhsa_kernel _ZN7rocprim17ROCPRIM_400000_NS6detail17trampoline_kernelINS0_14default_configENS1_25transform_config_selectorIN3c104HalfELb1EEEZNS1_14transform_implILb1ES3_S7_PS6_S9_NS0_8identityIS6_EEEE10hipError_tT2_T3_mT4_P12ihipStream_tbEUlT_E_NS1_11comp_targetILNS1_3genE3ELNS1_11target_archE908ELNS1_3gpuE7ELNS1_3repE0EEENS1_30default_config_static_selectorELNS0_4arch9wavefront6targetE0EEEvT1_
		.amdhsa_group_segment_fixed_size 0
		.amdhsa_private_segment_fixed_size 0
		.amdhsa_kernarg_size 40
		.amdhsa_user_sgpr_count 15
		.amdhsa_user_sgpr_dispatch_ptr 0
		.amdhsa_user_sgpr_queue_ptr 0
		.amdhsa_user_sgpr_kernarg_segment_ptr 1
		.amdhsa_user_sgpr_dispatch_id 0
		.amdhsa_user_sgpr_private_segment_size 0
		.amdhsa_wavefront_size32 1
		.amdhsa_uses_dynamic_stack 0
		.amdhsa_enable_private_segment 0
		.amdhsa_system_sgpr_workgroup_id_x 1
		.amdhsa_system_sgpr_workgroup_id_y 0
		.amdhsa_system_sgpr_workgroup_id_z 0
		.amdhsa_system_sgpr_workgroup_info 0
		.amdhsa_system_vgpr_workitem_id 0
		.amdhsa_next_free_vgpr 1
		.amdhsa_next_free_sgpr 1
		.amdhsa_reserve_vcc 0
		.amdhsa_float_round_mode_32 0
		.amdhsa_float_round_mode_16_64 0
		.amdhsa_float_denorm_mode_32 3
		.amdhsa_float_denorm_mode_16_64 3
		.amdhsa_dx10_clamp 1
		.amdhsa_ieee_mode 1
		.amdhsa_fp16_overflow 0
		.amdhsa_workgroup_processor_mode 1
		.amdhsa_memory_ordered 1
		.amdhsa_forward_progress 0
		.amdhsa_shared_vgpr_count 0
		.amdhsa_exception_fp_ieee_invalid_op 0
		.amdhsa_exception_fp_denorm_src 0
		.amdhsa_exception_fp_ieee_div_zero 0
		.amdhsa_exception_fp_ieee_overflow 0
		.amdhsa_exception_fp_ieee_underflow 0
		.amdhsa_exception_fp_ieee_inexact 0
		.amdhsa_exception_int_div_zero 0
	.end_amdhsa_kernel
	.section	.text._ZN7rocprim17ROCPRIM_400000_NS6detail17trampoline_kernelINS0_14default_configENS1_25transform_config_selectorIN3c104HalfELb1EEEZNS1_14transform_implILb1ES3_S7_PS6_S9_NS0_8identityIS6_EEEE10hipError_tT2_T3_mT4_P12ihipStream_tbEUlT_E_NS1_11comp_targetILNS1_3genE3ELNS1_11target_archE908ELNS1_3gpuE7ELNS1_3repE0EEENS1_30default_config_static_selectorELNS0_4arch9wavefront6targetE0EEEvT1_,"axG",@progbits,_ZN7rocprim17ROCPRIM_400000_NS6detail17trampoline_kernelINS0_14default_configENS1_25transform_config_selectorIN3c104HalfELb1EEEZNS1_14transform_implILb1ES3_S7_PS6_S9_NS0_8identityIS6_EEEE10hipError_tT2_T3_mT4_P12ihipStream_tbEUlT_E_NS1_11comp_targetILNS1_3genE3ELNS1_11target_archE908ELNS1_3gpuE7ELNS1_3repE0EEENS1_30default_config_static_selectorELNS0_4arch9wavefront6targetE0EEEvT1_,comdat
.Lfunc_end369:
	.size	_ZN7rocprim17ROCPRIM_400000_NS6detail17trampoline_kernelINS0_14default_configENS1_25transform_config_selectorIN3c104HalfELb1EEEZNS1_14transform_implILb1ES3_S7_PS6_S9_NS0_8identityIS6_EEEE10hipError_tT2_T3_mT4_P12ihipStream_tbEUlT_E_NS1_11comp_targetILNS1_3genE3ELNS1_11target_archE908ELNS1_3gpuE7ELNS1_3repE0EEENS1_30default_config_static_selectorELNS0_4arch9wavefront6targetE0EEEvT1_, .Lfunc_end369-_ZN7rocprim17ROCPRIM_400000_NS6detail17trampoline_kernelINS0_14default_configENS1_25transform_config_selectorIN3c104HalfELb1EEEZNS1_14transform_implILb1ES3_S7_PS6_S9_NS0_8identityIS6_EEEE10hipError_tT2_T3_mT4_P12ihipStream_tbEUlT_E_NS1_11comp_targetILNS1_3genE3ELNS1_11target_archE908ELNS1_3gpuE7ELNS1_3repE0EEENS1_30default_config_static_selectorELNS0_4arch9wavefront6targetE0EEEvT1_
                                        ; -- End function
	.section	.AMDGPU.csdata,"",@progbits
; Kernel info:
; codeLenInByte = 0
; NumSgprs: 0
; NumVgprs: 0
; ScratchSize: 0
; MemoryBound: 0
; FloatMode: 240
; IeeeMode: 1
; LDSByteSize: 0 bytes/workgroup (compile time only)
; SGPRBlocks: 0
; VGPRBlocks: 0
; NumSGPRsForWavesPerEU: 1
; NumVGPRsForWavesPerEU: 1
; Occupancy: 16
; WaveLimiterHint : 0
; COMPUTE_PGM_RSRC2:SCRATCH_EN: 0
; COMPUTE_PGM_RSRC2:USER_SGPR: 15
; COMPUTE_PGM_RSRC2:TRAP_HANDLER: 0
; COMPUTE_PGM_RSRC2:TGID_X_EN: 1
; COMPUTE_PGM_RSRC2:TGID_Y_EN: 0
; COMPUTE_PGM_RSRC2:TGID_Z_EN: 0
; COMPUTE_PGM_RSRC2:TIDIG_COMP_CNT: 0
	.section	.text._ZN7rocprim17ROCPRIM_400000_NS6detail17trampoline_kernelINS0_14default_configENS1_25transform_config_selectorIN3c104HalfELb1EEEZNS1_14transform_implILb1ES3_S7_PS6_S9_NS0_8identityIS6_EEEE10hipError_tT2_T3_mT4_P12ihipStream_tbEUlT_E_NS1_11comp_targetILNS1_3genE2ELNS1_11target_archE906ELNS1_3gpuE6ELNS1_3repE0EEENS1_30default_config_static_selectorELNS0_4arch9wavefront6targetE0EEEvT1_,"axG",@progbits,_ZN7rocprim17ROCPRIM_400000_NS6detail17trampoline_kernelINS0_14default_configENS1_25transform_config_selectorIN3c104HalfELb1EEEZNS1_14transform_implILb1ES3_S7_PS6_S9_NS0_8identityIS6_EEEE10hipError_tT2_T3_mT4_P12ihipStream_tbEUlT_E_NS1_11comp_targetILNS1_3genE2ELNS1_11target_archE906ELNS1_3gpuE6ELNS1_3repE0EEENS1_30default_config_static_selectorELNS0_4arch9wavefront6targetE0EEEvT1_,comdat
	.protected	_ZN7rocprim17ROCPRIM_400000_NS6detail17trampoline_kernelINS0_14default_configENS1_25transform_config_selectorIN3c104HalfELb1EEEZNS1_14transform_implILb1ES3_S7_PS6_S9_NS0_8identityIS6_EEEE10hipError_tT2_T3_mT4_P12ihipStream_tbEUlT_E_NS1_11comp_targetILNS1_3genE2ELNS1_11target_archE906ELNS1_3gpuE6ELNS1_3repE0EEENS1_30default_config_static_selectorELNS0_4arch9wavefront6targetE0EEEvT1_ ; -- Begin function _ZN7rocprim17ROCPRIM_400000_NS6detail17trampoline_kernelINS0_14default_configENS1_25transform_config_selectorIN3c104HalfELb1EEEZNS1_14transform_implILb1ES3_S7_PS6_S9_NS0_8identityIS6_EEEE10hipError_tT2_T3_mT4_P12ihipStream_tbEUlT_E_NS1_11comp_targetILNS1_3genE2ELNS1_11target_archE906ELNS1_3gpuE6ELNS1_3repE0EEENS1_30default_config_static_selectorELNS0_4arch9wavefront6targetE0EEEvT1_
	.globl	_ZN7rocprim17ROCPRIM_400000_NS6detail17trampoline_kernelINS0_14default_configENS1_25transform_config_selectorIN3c104HalfELb1EEEZNS1_14transform_implILb1ES3_S7_PS6_S9_NS0_8identityIS6_EEEE10hipError_tT2_T3_mT4_P12ihipStream_tbEUlT_E_NS1_11comp_targetILNS1_3genE2ELNS1_11target_archE906ELNS1_3gpuE6ELNS1_3repE0EEENS1_30default_config_static_selectorELNS0_4arch9wavefront6targetE0EEEvT1_
	.p2align	8
	.type	_ZN7rocprim17ROCPRIM_400000_NS6detail17trampoline_kernelINS0_14default_configENS1_25transform_config_selectorIN3c104HalfELb1EEEZNS1_14transform_implILb1ES3_S7_PS6_S9_NS0_8identityIS6_EEEE10hipError_tT2_T3_mT4_P12ihipStream_tbEUlT_E_NS1_11comp_targetILNS1_3genE2ELNS1_11target_archE906ELNS1_3gpuE6ELNS1_3repE0EEENS1_30default_config_static_selectorELNS0_4arch9wavefront6targetE0EEEvT1_,@function
_ZN7rocprim17ROCPRIM_400000_NS6detail17trampoline_kernelINS0_14default_configENS1_25transform_config_selectorIN3c104HalfELb1EEEZNS1_14transform_implILb1ES3_S7_PS6_S9_NS0_8identityIS6_EEEE10hipError_tT2_T3_mT4_P12ihipStream_tbEUlT_E_NS1_11comp_targetILNS1_3genE2ELNS1_11target_archE906ELNS1_3gpuE6ELNS1_3repE0EEENS1_30default_config_static_selectorELNS0_4arch9wavefront6targetE0EEEvT1_: ; @_ZN7rocprim17ROCPRIM_400000_NS6detail17trampoline_kernelINS0_14default_configENS1_25transform_config_selectorIN3c104HalfELb1EEEZNS1_14transform_implILb1ES3_S7_PS6_S9_NS0_8identityIS6_EEEE10hipError_tT2_T3_mT4_P12ihipStream_tbEUlT_E_NS1_11comp_targetILNS1_3genE2ELNS1_11target_archE906ELNS1_3gpuE6ELNS1_3repE0EEENS1_30default_config_static_selectorELNS0_4arch9wavefront6targetE0EEEvT1_
; %bb.0:
	.section	.rodata,"a",@progbits
	.p2align	6, 0x0
	.amdhsa_kernel _ZN7rocprim17ROCPRIM_400000_NS6detail17trampoline_kernelINS0_14default_configENS1_25transform_config_selectorIN3c104HalfELb1EEEZNS1_14transform_implILb1ES3_S7_PS6_S9_NS0_8identityIS6_EEEE10hipError_tT2_T3_mT4_P12ihipStream_tbEUlT_E_NS1_11comp_targetILNS1_3genE2ELNS1_11target_archE906ELNS1_3gpuE6ELNS1_3repE0EEENS1_30default_config_static_selectorELNS0_4arch9wavefront6targetE0EEEvT1_
		.amdhsa_group_segment_fixed_size 0
		.amdhsa_private_segment_fixed_size 0
		.amdhsa_kernarg_size 40
		.amdhsa_user_sgpr_count 15
		.amdhsa_user_sgpr_dispatch_ptr 0
		.amdhsa_user_sgpr_queue_ptr 0
		.amdhsa_user_sgpr_kernarg_segment_ptr 1
		.amdhsa_user_sgpr_dispatch_id 0
		.amdhsa_user_sgpr_private_segment_size 0
		.amdhsa_wavefront_size32 1
		.amdhsa_uses_dynamic_stack 0
		.amdhsa_enable_private_segment 0
		.amdhsa_system_sgpr_workgroup_id_x 1
		.amdhsa_system_sgpr_workgroup_id_y 0
		.amdhsa_system_sgpr_workgroup_id_z 0
		.amdhsa_system_sgpr_workgroup_info 0
		.amdhsa_system_vgpr_workitem_id 0
		.amdhsa_next_free_vgpr 1
		.amdhsa_next_free_sgpr 1
		.amdhsa_reserve_vcc 0
		.amdhsa_float_round_mode_32 0
		.amdhsa_float_round_mode_16_64 0
		.amdhsa_float_denorm_mode_32 3
		.amdhsa_float_denorm_mode_16_64 3
		.amdhsa_dx10_clamp 1
		.amdhsa_ieee_mode 1
		.amdhsa_fp16_overflow 0
		.amdhsa_workgroup_processor_mode 1
		.amdhsa_memory_ordered 1
		.amdhsa_forward_progress 0
		.amdhsa_shared_vgpr_count 0
		.amdhsa_exception_fp_ieee_invalid_op 0
		.amdhsa_exception_fp_denorm_src 0
		.amdhsa_exception_fp_ieee_div_zero 0
		.amdhsa_exception_fp_ieee_overflow 0
		.amdhsa_exception_fp_ieee_underflow 0
		.amdhsa_exception_fp_ieee_inexact 0
		.amdhsa_exception_int_div_zero 0
	.end_amdhsa_kernel
	.section	.text._ZN7rocprim17ROCPRIM_400000_NS6detail17trampoline_kernelINS0_14default_configENS1_25transform_config_selectorIN3c104HalfELb1EEEZNS1_14transform_implILb1ES3_S7_PS6_S9_NS0_8identityIS6_EEEE10hipError_tT2_T3_mT4_P12ihipStream_tbEUlT_E_NS1_11comp_targetILNS1_3genE2ELNS1_11target_archE906ELNS1_3gpuE6ELNS1_3repE0EEENS1_30default_config_static_selectorELNS0_4arch9wavefront6targetE0EEEvT1_,"axG",@progbits,_ZN7rocprim17ROCPRIM_400000_NS6detail17trampoline_kernelINS0_14default_configENS1_25transform_config_selectorIN3c104HalfELb1EEEZNS1_14transform_implILb1ES3_S7_PS6_S9_NS0_8identityIS6_EEEE10hipError_tT2_T3_mT4_P12ihipStream_tbEUlT_E_NS1_11comp_targetILNS1_3genE2ELNS1_11target_archE906ELNS1_3gpuE6ELNS1_3repE0EEENS1_30default_config_static_selectorELNS0_4arch9wavefront6targetE0EEEvT1_,comdat
.Lfunc_end370:
	.size	_ZN7rocprim17ROCPRIM_400000_NS6detail17trampoline_kernelINS0_14default_configENS1_25transform_config_selectorIN3c104HalfELb1EEEZNS1_14transform_implILb1ES3_S7_PS6_S9_NS0_8identityIS6_EEEE10hipError_tT2_T3_mT4_P12ihipStream_tbEUlT_E_NS1_11comp_targetILNS1_3genE2ELNS1_11target_archE906ELNS1_3gpuE6ELNS1_3repE0EEENS1_30default_config_static_selectorELNS0_4arch9wavefront6targetE0EEEvT1_, .Lfunc_end370-_ZN7rocprim17ROCPRIM_400000_NS6detail17trampoline_kernelINS0_14default_configENS1_25transform_config_selectorIN3c104HalfELb1EEEZNS1_14transform_implILb1ES3_S7_PS6_S9_NS0_8identityIS6_EEEE10hipError_tT2_T3_mT4_P12ihipStream_tbEUlT_E_NS1_11comp_targetILNS1_3genE2ELNS1_11target_archE906ELNS1_3gpuE6ELNS1_3repE0EEENS1_30default_config_static_selectorELNS0_4arch9wavefront6targetE0EEEvT1_
                                        ; -- End function
	.section	.AMDGPU.csdata,"",@progbits
; Kernel info:
; codeLenInByte = 0
; NumSgprs: 0
; NumVgprs: 0
; ScratchSize: 0
; MemoryBound: 0
; FloatMode: 240
; IeeeMode: 1
; LDSByteSize: 0 bytes/workgroup (compile time only)
; SGPRBlocks: 0
; VGPRBlocks: 0
; NumSGPRsForWavesPerEU: 1
; NumVGPRsForWavesPerEU: 1
; Occupancy: 16
; WaveLimiterHint : 0
; COMPUTE_PGM_RSRC2:SCRATCH_EN: 0
; COMPUTE_PGM_RSRC2:USER_SGPR: 15
; COMPUTE_PGM_RSRC2:TRAP_HANDLER: 0
; COMPUTE_PGM_RSRC2:TGID_X_EN: 1
; COMPUTE_PGM_RSRC2:TGID_Y_EN: 0
; COMPUTE_PGM_RSRC2:TGID_Z_EN: 0
; COMPUTE_PGM_RSRC2:TIDIG_COMP_CNT: 0
	.section	.text._ZN7rocprim17ROCPRIM_400000_NS6detail17trampoline_kernelINS0_14default_configENS1_25transform_config_selectorIN3c104HalfELb1EEEZNS1_14transform_implILb1ES3_S7_PS6_S9_NS0_8identityIS6_EEEE10hipError_tT2_T3_mT4_P12ihipStream_tbEUlT_E_NS1_11comp_targetILNS1_3genE9ELNS1_11target_archE1100ELNS1_3gpuE3ELNS1_3repE0EEENS1_30default_config_static_selectorELNS0_4arch9wavefront6targetE0EEEvT1_,"axG",@progbits,_ZN7rocprim17ROCPRIM_400000_NS6detail17trampoline_kernelINS0_14default_configENS1_25transform_config_selectorIN3c104HalfELb1EEEZNS1_14transform_implILb1ES3_S7_PS6_S9_NS0_8identityIS6_EEEE10hipError_tT2_T3_mT4_P12ihipStream_tbEUlT_E_NS1_11comp_targetILNS1_3genE9ELNS1_11target_archE1100ELNS1_3gpuE3ELNS1_3repE0EEENS1_30default_config_static_selectorELNS0_4arch9wavefront6targetE0EEEvT1_,comdat
	.protected	_ZN7rocprim17ROCPRIM_400000_NS6detail17trampoline_kernelINS0_14default_configENS1_25transform_config_selectorIN3c104HalfELb1EEEZNS1_14transform_implILb1ES3_S7_PS6_S9_NS0_8identityIS6_EEEE10hipError_tT2_T3_mT4_P12ihipStream_tbEUlT_E_NS1_11comp_targetILNS1_3genE9ELNS1_11target_archE1100ELNS1_3gpuE3ELNS1_3repE0EEENS1_30default_config_static_selectorELNS0_4arch9wavefront6targetE0EEEvT1_ ; -- Begin function _ZN7rocprim17ROCPRIM_400000_NS6detail17trampoline_kernelINS0_14default_configENS1_25transform_config_selectorIN3c104HalfELb1EEEZNS1_14transform_implILb1ES3_S7_PS6_S9_NS0_8identityIS6_EEEE10hipError_tT2_T3_mT4_P12ihipStream_tbEUlT_E_NS1_11comp_targetILNS1_3genE9ELNS1_11target_archE1100ELNS1_3gpuE3ELNS1_3repE0EEENS1_30default_config_static_selectorELNS0_4arch9wavefront6targetE0EEEvT1_
	.globl	_ZN7rocprim17ROCPRIM_400000_NS6detail17trampoline_kernelINS0_14default_configENS1_25transform_config_selectorIN3c104HalfELb1EEEZNS1_14transform_implILb1ES3_S7_PS6_S9_NS0_8identityIS6_EEEE10hipError_tT2_T3_mT4_P12ihipStream_tbEUlT_E_NS1_11comp_targetILNS1_3genE9ELNS1_11target_archE1100ELNS1_3gpuE3ELNS1_3repE0EEENS1_30default_config_static_selectorELNS0_4arch9wavefront6targetE0EEEvT1_
	.p2align	8
	.type	_ZN7rocprim17ROCPRIM_400000_NS6detail17trampoline_kernelINS0_14default_configENS1_25transform_config_selectorIN3c104HalfELb1EEEZNS1_14transform_implILb1ES3_S7_PS6_S9_NS0_8identityIS6_EEEE10hipError_tT2_T3_mT4_P12ihipStream_tbEUlT_E_NS1_11comp_targetILNS1_3genE9ELNS1_11target_archE1100ELNS1_3gpuE3ELNS1_3repE0EEENS1_30default_config_static_selectorELNS0_4arch9wavefront6targetE0EEEvT1_,@function
_ZN7rocprim17ROCPRIM_400000_NS6detail17trampoline_kernelINS0_14default_configENS1_25transform_config_selectorIN3c104HalfELb1EEEZNS1_14transform_implILb1ES3_S7_PS6_S9_NS0_8identityIS6_EEEE10hipError_tT2_T3_mT4_P12ihipStream_tbEUlT_E_NS1_11comp_targetILNS1_3genE9ELNS1_11target_archE1100ELNS1_3gpuE3ELNS1_3repE0EEENS1_30default_config_static_selectorELNS0_4arch9wavefront6targetE0EEEvT1_: ; @_ZN7rocprim17ROCPRIM_400000_NS6detail17trampoline_kernelINS0_14default_configENS1_25transform_config_selectorIN3c104HalfELb1EEEZNS1_14transform_implILb1ES3_S7_PS6_S9_NS0_8identityIS6_EEEE10hipError_tT2_T3_mT4_P12ihipStream_tbEUlT_E_NS1_11comp_targetILNS1_3genE9ELNS1_11target_archE1100ELNS1_3gpuE3ELNS1_3repE0EEENS1_30default_config_static_selectorELNS0_4arch9wavefront6targetE0EEEvT1_
; %bb.0:
	s_load_b256 s[4:11], s[0:1], 0x0
	s_waitcnt lgkmcnt(0)
	s_load_b32 s9, s[0:1], 0x28
	s_lshl_b64 s[0:1], s[6:7], 1
	s_delay_alu instid0(SALU_CYCLE_1)
	s_add_u32 s4, s4, s0
	s_addc_u32 s5, s5, s1
	s_add_u32 s6, s10, s0
	s_addc_u32 s7, s11, s1
	s_lshl_b32 s0, s15, 11
	s_mov_b32 s1, 0
	s_waitcnt lgkmcnt(0)
	s_add_i32 s9, s9, -1
	s_lshl_b64 s[2:3], s[0:1], 1
	s_mov_b32 s1, -1
	s_add_u32 s4, s4, s2
	s_addc_u32 s5, s5, s3
	s_cmp_lg_u32 s15, s9
	s_cbranch_scc0 .LBB371_2
; %bb.1:
	v_lshlrev_b32_e32 v1, 2, v0
	s_add_u32 s10, s6, s2
	s_addc_u32 s11, s7, s3
	s_mov_b32 s1, 0
	global_load_b32 v2, v1, s[4:5] slc dlc
	s_waitcnt vmcnt(0)
	global_store_b32 v1, v2, s[10:11]
.LBB371_2:
	s_and_not1_b32 vcc_lo, exec_lo, s1
	s_cbranch_vccnz .LBB371_13
; %bb.3:
	s_sub_i32 s1, s8, s0
	v_lshlrev_b32_e32 v3, 1, v0
	v_cmp_gt_u32_e32 vcc_lo, s1, v0
                                        ; implicit-def: $vgpr2
	s_and_saveexec_b32 s0, vcc_lo
	s_cbranch_execz .LBB371_5
; %bb.4:
	global_load_u16 v2, v3, s[4:5]
.LBB371_5:
	s_or_b32 exec_lo, exec_lo, s0
	v_or_b32_e32 v1, 0x400, v0
	s_delay_alu instid0(VALU_DEP_1) | instskip(SKIP_1) | instid1(VALU_DEP_1)
	v_cmp_gt_u32_e64 s0, s1, v1
	v_cmp_le_u32_e64 s1, s1, v1
	s_and_saveexec_b32 s8, s1
	s_delay_alu instid0(SALU_CYCLE_1)
	s_xor_b32 s1, exec_lo, s8
; %bb.6:
	v_mov_b32_e32 v1, 0
                                        ; implicit-def: $vgpr3
; %bb.7:
	s_or_saveexec_b32 s1, s1
                                        ; implicit-def: $vgpr4
	s_delay_alu instid0(SALU_CYCLE_1)
	s_xor_b32 exec_lo, exec_lo, s1
	s_cbranch_execz .LBB371_9
; %bb.8:
	global_load_u16 v4, v3, s[4:5] offset:2048
	v_mov_b32_e32 v1, 0
.LBB371_9:
	s_or_b32 exec_lo, exec_lo, s1
	s_delay_alu instid0(VALU_DEP_1) | instskip(SKIP_2) | instid1(VALU_DEP_1)
	v_lshlrev_b64 v[0:1], 1, v[0:1]
	s_add_u32 s1, s6, s2
	s_addc_u32 s2, s7, s3
	v_add_co_u32 v0, s1, s1, v0
	s_delay_alu instid0(VALU_DEP_1) | instskip(SKIP_1) | instid1(SALU_CYCLE_1)
	v_add_co_ci_u32_e64 v1, s1, s2, v1, s1
	s_and_saveexec_b32 s1, vcc_lo
	s_xor_b32 s1, exec_lo, s1
	s_cbranch_execz .LBB371_11
; %bb.10:
	s_waitcnt vmcnt(0)
	global_store_b16 v[0:1], v2, off
.LBB371_11:
	s_or_b32 exec_lo, exec_lo, s1
	s_and_saveexec_b32 s1, s0
	s_cbranch_execz .LBB371_13
; %bb.12:
	s_waitcnt vmcnt(0)
	global_store_b16 v[0:1], v4, off offset:2048
.LBB371_13:
	s_nop 0
	s_sendmsg sendmsg(MSG_DEALLOC_VGPRS)
	s_endpgm
	.section	.rodata,"a",@progbits
	.p2align	6, 0x0
	.amdhsa_kernel _ZN7rocprim17ROCPRIM_400000_NS6detail17trampoline_kernelINS0_14default_configENS1_25transform_config_selectorIN3c104HalfELb1EEEZNS1_14transform_implILb1ES3_S7_PS6_S9_NS0_8identityIS6_EEEE10hipError_tT2_T3_mT4_P12ihipStream_tbEUlT_E_NS1_11comp_targetILNS1_3genE9ELNS1_11target_archE1100ELNS1_3gpuE3ELNS1_3repE0EEENS1_30default_config_static_selectorELNS0_4arch9wavefront6targetE0EEEvT1_
		.amdhsa_group_segment_fixed_size 0
		.amdhsa_private_segment_fixed_size 0
		.amdhsa_kernarg_size 296
		.amdhsa_user_sgpr_count 15
		.amdhsa_user_sgpr_dispatch_ptr 0
		.amdhsa_user_sgpr_queue_ptr 0
		.amdhsa_user_sgpr_kernarg_segment_ptr 1
		.amdhsa_user_sgpr_dispatch_id 0
		.amdhsa_user_sgpr_private_segment_size 0
		.amdhsa_wavefront_size32 1
		.amdhsa_uses_dynamic_stack 0
		.amdhsa_enable_private_segment 0
		.amdhsa_system_sgpr_workgroup_id_x 1
		.amdhsa_system_sgpr_workgroup_id_y 0
		.amdhsa_system_sgpr_workgroup_id_z 0
		.amdhsa_system_sgpr_workgroup_info 0
		.amdhsa_system_vgpr_workitem_id 0
		.amdhsa_next_free_vgpr 5
		.amdhsa_next_free_sgpr 16
		.amdhsa_reserve_vcc 1
		.amdhsa_float_round_mode_32 0
		.amdhsa_float_round_mode_16_64 0
		.amdhsa_float_denorm_mode_32 3
		.amdhsa_float_denorm_mode_16_64 3
		.amdhsa_dx10_clamp 1
		.amdhsa_ieee_mode 1
		.amdhsa_fp16_overflow 0
		.amdhsa_workgroup_processor_mode 1
		.amdhsa_memory_ordered 1
		.amdhsa_forward_progress 0
		.amdhsa_shared_vgpr_count 0
		.amdhsa_exception_fp_ieee_invalid_op 0
		.amdhsa_exception_fp_denorm_src 0
		.amdhsa_exception_fp_ieee_div_zero 0
		.amdhsa_exception_fp_ieee_overflow 0
		.amdhsa_exception_fp_ieee_underflow 0
		.amdhsa_exception_fp_ieee_inexact 0
		.amdhsa_exception_int_div_zero 0
	.end_amdhsa_kernel
	.section	.text._ZN7rocprim17ROCPRIM_400000_NS6detail17trampoline_kernelINS0_14default_configENS1_25transform_config_selectorIN3c104HalfELb1EEEZNS1_14transform_implILb1ES3_S7_PS6_S9_NS0_8identityIS6_EEEE10hipError_tT2_T3_mT4_P12ihipStream_tbEUlT_E_NS1_11comp_targetILNS1_3genE9ELNS1_11target_archE1100ELNS1_3gpuE3ELNS1_3repE0EEENS1_30default_config_static_selectorELNS0_4arch9wavefront6targetE0EEEvT1_,"axG",@progbits,_ZN7rocprim17ROCPRIM_400000_NS6detail17trampoline_kernelINS0_14default_configENS1_25transform_config_selectorIN3c104HalfELb1EEEZNS1_14transform_implILb1ES3_S7_PS6_S9_NS0_8identityIS6_EEEE10hipError_tT2_T3_mT4_P12ihipStream_tbEUlT_E_NS1_11comp_targetILNS1_3genE9ELNS1_11target_archE1100ELNS1_3gpuE3ELNS1_3repE0EEENS1_30default_config_static_selectorELNS0_4arch9wavefront6targetE0EEEvT1_,comdat
.Lfunc_end371:
	.size	_ZN7rocprim17ROCPRIM_400000_NS6detail17trampoline_kernelINS0_14default_configENS1_25transform_config_selectorIN3c104HalfELb1EEEZNS1_14transform_implILb1ES3_S7_PS6_S9_NS0_8identityIS6_EEEE10hipError_tT2_T3_mT4_P12ihipStream_tbEUlT_E_NS1_11comp_targetILNS1_3genE9ELNS1_11target_archE1100ELNS1_3gpuE3ELNS1_3repE0EEENS1_30default_config_static_selectorELNS0_4arch9wavefront6targetE0EEEvT1_, .Lfunc_end371-_ZN7rocprim17ROCPRIM_400000_NS6detail17trampoline_kernelINS0_14default_configENS1_25transform_config_selectorIN3c104HalfELb1EEEZNS1_14transform_implILb1ES3_S7_PS6_S9_NS0_8identityIS6_EEEE10hipError_tT2_T3_mT4_P12ihipStream_tbEUlT_E_NS1_11comp_targetILNS1_3genE9ELNS1_11target_archE1100ELNS1_3gpuE3ELNS1_3repE0EEENS1_30default_config_static_selectorELNS0_4arch9wavefront6targetE0EEEvT1_
                                        ; -- End function
	.section	.AMDGPU.csdata,"",@progbits
; Kernel info:
; codeLenInByte = 336
; NumSgprs: 18
; NumVgprs: 5
; ScratchSize: 0
; MemoryBound: 0
; FloatMode: 240
; IeeeMode: 1
; LDSByteSize: 0 bytes/workgroup (compile time only)
; SGPRBlocks: 2
; VGPRBlocks: 0
; NumSGPRsForWavesPerEU: 18
; NumVGPRsForWavesPerEU: 5
; Occupancy: 16
; WaveLimiterHint : 0
; COMPUTE_PGM_RSRC2:SCRATCH_EN: 0
; COMPUTE_PGM_RSRC2:USER_SGPR: 15
; COMPUTE_PGM_RSRC2:TRAP_HANDLER: 0
; COMPUTE_PGM_RSRC2:TGID_X_EN: 1
; COMPUTE_PGM_RSRC2:TGID_Y_EN: 0
; COMPUTE_PGM_RSRC2:TGID_Z_EN: 0
; COMPUTE_PGM_RSRC2:TIDIG_COMP_CNT: 0
	.section	.text._ZN7rocprim17ROCPRIM_400000_NS6detail17trampoline_kernelINS0_14default_configENS1_25transform_config_selectorIN3c104HalfELb1EEEZNS1_14transform_implILb1ES3_S7_PS6_S9_NS0_8identityIS6_EEEE10hipError_tT2_T3_mT4_P12ihipStream_tbEUlT_E_NS1_11comp_targetILNS1_3genE8ELNS1_11target_archE1030ELNS1_3gpuE2ELNS1_3repE0EEENS1_30default_config_static_selectorELNS0_4arch9wavefront6targetE0EEEvT1_,"axG",@progbits,_ZN7rocprim17ROCPRIM_400000_NS6detail17trampoline_kernelINS0_14default_configENS1_25transform_config_selectorIN3c104HalfELb1EEEZNS1_14transform_implILb1ES3_S7_PS6_S9_NS0_8identityIS6_EEEE10hipError_tT2_T3_mT4_P12ihipStream_tbEUlT_E_NS1_11comp_targetILNS1_3genE8ELNS1_11target_archE1030ELNS1_3gpuE2ELNS1_3repE0EEENS1_30default_config_static_selectorELNS0_4arch9wavefront6targetE0EEEvT1_,comdat
	.protected	_ZN7rocprim17ROCPRIM_400000_NS6detail17trampoline_kernelINS0_14default_configENS1_25transform_config_selectorIN3c104HalfELb1EEEZNS1_14transform_implILb1ES3_S7_PS6_S9_NS0_8identityIS6_EEEE10hipError_tT2_T3_mT4_P12ihipStream_tbEUlT_E_NS1_11comp_targetILNS1_3genE8ELNS1_11target_archE1030ELNS1_3gpuE2ELNS1_3repE0EEENS1_30default_config_static_selectorELNS0_4arch9wavefront6targetE0EEEvT1_ ; -- Begin function _ZN7rocprim17ROCPRIM_400000_NS6detail17trampoline_kernelINS0_14default_configENS1_25transform_config_selectorIN3c104HalfELb1EEEZNS1_14transform_implILb1ES3_S7_PS6_S9_NS0_8identityIS6_EEEE10hipError_tT2_T3_mT4_P12ihipStream_tbEUlT_E_NS1_11comp_targetILNS1_3genE8ELNS1_11target_archE1030ELNS1_3gpuE2ELNS1_3repE0EEENS1_30default_config_static_selectorELNS0_4arch9wavefront6targetE0EEEvT1_
	.globl	_ZN7rocprim17ROCPRIM_400000_NS6detail17trampoline_kernelINS0_14default_configENS1_25transform_config_selectorIN3c104HalfELb1EEEZNS1_14transform_implILb1ES3_S7_PS6_S9_NS0_8identityIS6_EEEE10hipError_tT2_T3_mT4_P12ihipStream_tbEUlT_E_NS1_11comp_targetILNS1_3genE8ELNS1_11target_archE1030ELNS1_3gpuE2ELNS1_3repE0EEENS1_30default_config_static_selectorELNS0_4arch9wavefront6targetE0EEEvT1_
	.p2align	8
	.type	_ZN7rocprim17ROCPRIM_400000_NS6detail17trampoline_kernelINS0_14default_configENS1_25transform_config_selectorIN3c104HalfELb1EEEZNS1_14transform_implILb1ES3_S7_PS6_S9_NS0_8identityIS6_EEEE10hipError_tT2_T3_mT4_P12ihipStream_tbEUlT_E_NS1_11comp_targetILNS1_3genE8ELNS1_11target_archE1030ELNS1_3gpuE2ELNS1_3repE0EEENS1_30default_config_static_selectorELNS0_4arch9wavefront6targetE0EEEvT1_,@function
_ZN7rocprim17ROCPRIM_400000_NS6detail17trampoline_kernelINS0_14default_configENS1_25transform_config_selectorIN3c104HalfELb1EEEZNS1_14transform_implILb1ES3_S7_PS6_S9_NS0_8identityIS6_EEEE10hipError_tT2_T3_mT4_P12ihipStream_tbEUlT_E_NS1_11comp_targetILNS1_3genE8ELNS1_11target_archE1030ELNS1_3gpuE2ELNS1_3repE0EEENS1_30default_config_static_selectorELNS0_4arch9wavefront6targetE0EEEvT1_: ; @_ZN7rocprim17ROCPRIM_400000_NS6detail17trampoline_kernelINS0_14default_configENS1_25transform_config_selectorIN3c104HalfELb1EEEZNS1_14transform_implILb1ES3_S7_PS6_S9_NS0_8identityIS6_EEEE10hipError_tT2_T3_mT4_P12ihipStream_tbEUlT_E_NS1_11comp_targetILNS1_3genE8ELNS1_11target_archE1030ELNS1_3gpuE2ELNS1_3repE0EEENS1_30default_config_static_selectorELNS0_4arch9wavefront6targetE0EEEvT1_
; %bb.0:
	.section	.rodata,"a",@progbits
	.p2align	6, 0x0
	.amdhsa_kernel _ZN7rocprim17ROCPRIM_400000_NS6detail17trampoline_kernelINS0_14default_configENS1_25transform_config_selectorIN3c104HalfELb1EEEZNS1_14transform_implILb1ES3_S7_PS6_S9_NS0_8identityIS6_EEEE10hipError_tT2_T3_mT4_P12ihipStream_tbEUlT_E_NS1_11comp_targetILNS1_3genE8ELNS1_11target_archE1030ELNS1_3gpuE2ELNS1_3repE0EEENS1_30default_config_static_selectorELNS0_4arch9wavefront6targetE0EEEvT1_
		.amdhsa_group_segment_fixed_size 0
		.amdhsa_private_segment_fixed_size 0
		.amdhsa_kernarg_size 40
		.amdhsa_user_sgpr_count 15
		.amdhsa_user_sgpr_dispatch_ptr 0
		.amdhsa_user_sgpr_queue_ptr 0
		.amdhsa_user_sgpr_kernarg_segment_ptr 1
		.amdhsa_user_sgpr_dispatch_id 0
		.amdhsa_user_sgpr_private_segment_size 0
		.amdhsa_wavefront_size32 1
		.amdhsa_uses_dynamic_stack 0
		.amdhsa_enable_private_segment 0
		.amdhsa_system_sgpr_workgroup_id_x 1
		.amdhsa_system_sgpr_workgroup_id_y 0
		.amdhsa_system_sgpr_workgroup_id_z 0
		.amdhsa_system_sgpr_workgroup_info 0
		.amdhsa_system_vgpr_workitem_id 0
		.amdhsa_next_free_vgpr 1
		.amdhsa_next_free_sgpr 1
		.amdhsa_reserve_vcc 0
		.amdhsa_float_round_mode_32 0
		.amdhsa_float_round_mode_16_64 0
		.amdhsa_float_denorm_mode_32 3
		.amdhsa_float_denorm_mode_16_64 3
		.amdhsa_dx10_clamp 1
		.amdhsa_ieee_mode 1
		.amdhsa_fp16_overflow 0
		.amdhsa_workgroup_processor_mode 1
		.amdhsa_memory_ordered 1
		.amdhsa_forward_progress 0
		.amdhsa_shared_vgpr_count 0
		.amdhsa_exception_fp_ieee_invalid_op 0
		.amdhsa_exception_fp_denorm_src 0
		.amdhsa_exception_fp_ieee_div_zero 0
		.amdhsa_exception_fp_ieee_overflow 0
		.amdhsa_exception_fp_ieee_underflow 0
		.amdhsa_exception_fp_ieee_inexact 0
		.amdhsa_exception_int_div_zero 0
	.end_amdhsa_kernel
	.section	.text._ZN7rocprim17ROCPRIM_400000_NS6detail17trampoline_kernelINS0_14default_configENS1_25transform_config_selectorIN3c104HalfELb1EEEZNS1_14transform_implILb1ES3_S7_PS6_S9_NS0_8identityIS6_EEEE10hipError_tT2_T3_mT4_P12ihipStream_tbEUlT_E_NS1_11comp_targetILNS1_3genE8ELNS1_11target_archE1030ELNS1_3gpuE2ELNS1_3repE0EEENS1_30default_config_static_selectorELNS0_4arch9wavefront6targetE0EEEvT1_,"axG",@progbits,_ZN7rocprim17ROCPRIM_400000_NS6detail17trampoline_kernelINS0_14default_configENS1_25transform_config_selectorIN3c104HalfELb1EEEZNS1_14transform_implILb1ES3_S7_PS6_S9_NS0_8identityIS6_EEEE10hipError_tT2_T3_mT4_P12ihipStream_tbEUlT_E_NS1_11comp_targetILNS1_3genE8ELNS1_11target_archE1030ELNS1_3gpuE2ELNS1_3repE0EEENS1_30default_config_static_selectorELNS0_4arch9wavefront6targetE0EEEvT1_,comdat
.Lfunc_end372:
	.size	_ZN7rocprim17ROCPRIM_400000_NS6detail17trampoline_kernelINS0_14default_configENS1_25transform_config_selectorIN3c104HalfELb1EEEZNS1_14transform_implILb1ES3_S7_PS6_S9_NS0_8identityIS6_EEEE10hipError_tT2_T3_mT4_P12ihipStream_tbEUlT_E_NS1_11comp_targetILNS1_3genE8ELNS1_11target_archE1030ELNS1_3gpuE2ELNS1_3repE0EEENS1_30default_config_static_selectorELNS0_4arch9wavefront6targetE0EEEvT1_, .Lfunc_end372-_ZN7rocprim17ROCPRIM_400000_NS6detail17trampoline_kernelINS0_14default_configENS1_25transform_config_selectorIN3c104HalfELb1EEEZNS1_14transform_implILb1ES3_S7_PS6_S9_NS0_8identityIS6_EEEE10hipError_tT2_T3_mT4_P12ihipStream_tbEUlT_E_NS1_11comp_targetILNS1_3genE8ELNS1_11target_archE1030ELNS1_3gpuE2ELNS1_3repE0EEENS1_30default_config_static_selectorELNS0_4arch9wavefront6targetE0EEEvT1_
                                        ; -- End function
	.section	.AMDGPU.csdata,"",@progbits
; Kernel info:
; codeLenInByte = 0
; NumSgprs: 0
; NumVgprs: 0
; ScratchSize: 0
; MemoryBound: 0
; FloatMode: 240
; IeeeMode: 1
; LDSByteSize: 0 bytes/workgroup (compile time only)
; SGPRBlocks: 0
; VGPRBlocks: 0
; NumSGPRsForWavesPerEU: 1
; NumVGPRsForWavesPerEU: 1
; Occupancy: 16
; WaveLimiterHint : 0
; COMPUTE_PGM_RSRC2:SCRATCH_EN: 0
; COMPUTE_PGM_RSRC2:USER_SGPR: 15
; COMPUTE_PGM_RSRC2:TRAP_HANDLER: 0
; COMPUTE_PGM_RSRC2:TGID_X_EN: 1
; COMPUTE_PGM_RSRC2:TGID_Y_EN: 0
; COMPUTE_PGM_RSRC2:TGID_Z_EN: 0
; COMPUTE_PGM_RSRC2:TIDIG_COMP_CNT: 0
	.section	.text._ZN7rocprim17ROCPRIM_400000_NS6detail17trampoline_kernelINS0_14default_configENS1_20scan_config_selectorIN3c104HalfEEEZZNS1_9scan_implILNS1_25lookback_scan_determinismE0ELb0ELb0ES3_PKS6_PS6_S6_ZZZN2at6native31launch_logcumsumexp_cuda_kernelERKNSD_10TensorBaseESH_lENKUlvE_clEvENKUlvE3_clEvEUlS6_S6_E_S6_EEDaPvRmT3_T4_T5_mT6_P12ihipStream_tbENKUlT_T0_E_clISt17integral_constantIbLb0EESY_EEDaST_SU_EUlST_E0_NS1_11comp_targetILNS1_3genE0ELNS1_11target_archE4294967295ELNS1_3gpuE0ELNS1_3repE0EEENS1_30default_config_static_selectorELNS0_4arch9wavefront6targetE0EEEvT1_,"axG",@progbits,_ZN7rocprim17ROCPRIM_400000_NS6detail17trampoline_kernelINS0_14default_configENS1_20scan_config_selectorIN3c104HalfEEEZZNS1_9scan_implILNS1_25lookback_scan_determinismE0ELb0ELb0ES3_PKS6_PS6_S6_ZZZN2at6native31launch_logcumsumexp_cuda_kernelERKNSD_10TensorBaseESH_lENKUlvE_clEvENKUlvE3_clEvEUlS6_S6_E_S6_EEDaPvRmT3_T4_T5_mT6_P12ihipStream_tbENKUlT_T0_E_clISt17integral_constantIbLb0EESY_EEDaST_SU_EUlST_E0_NS1_11comp_targetILNS1_3genE0ELNS1_11target_archE4294967295ELNS1_3gpuE0ELNS1_3repE0EEENS1_30default_config_static_selectorELNS0_4arch9wavefront6targetE0EEEvT1_,comdat
	.globl	_ZN7rocprim17ROCPRIM_400000_NS6detail17trampoline_kernelINS0_14default_configENS1_20scan_config_selectorIN3c104HalfEEEZZNS1_9scan_implILNS1_25lookback_scan_determinismE0ELb0ELb0ES3_PKS6_PS6_S6_ZZZN2at6native31launch_logcumsumexp_cuda_kernelERKNSD_10TensorBaseESH_lENKUlvE_clEvENKUlvE3_clEvEUlS6_S6_E_S6_EEDaPvRmT3_T4_T5_mT6_P12ihipStream_tbENKUlT_T0_E_clISt17integral_constantIbLb0EESY_EEDaST_SU_EUlST_E0_NS1_11comp_targetILNS1_3genE0ELNS1_11target_archE4294967295ELNS1_3gpuE0ELNS1_3repE0EEENS1_30default_config_static_selectorELNS0_4arch9wavefront6targetE0EEEvT1_ ; -- Begin function _ZN7rocprim17ROCPRIM_400000_NS6detail17trampoline_kernelINS0_14default_configENS1_20scan_config_selectorIN3c104HalfEEEZZNS1_9scan_implILNS1_25lookback_scan_determinismE0ELb0ELb0ES3_PKS6_PS6_S6_ZZZN2at6native31launch_logcumsumexp_cuda_kernelERKNSD_10TensorBaseESH_lENKUlvE_clEvENKUlvE3_clEvEUlS6_S6_E_S6_EEDaPvRmT3_T4_T5_mT6_P12ihipStream_tbENKUlT_T0_E_clISt17integral_constantIbLb0EESY_EEDaST_SU_EUlST_E0_NS1_11comp_targetILNS1_3genE0ELNS1_11target_archE4294967295ELNS1_3gpuE0ELNS1_3repE0EEENS1_30default_config_static_selectorELNS0_4arch9wavefront6targetE0EEEvT1_
	.p2align	8
	.type	_ZN7rocprim17ROCPRIM_400000_NS6detail17trampoline_kernelINS0_14default_configENS1_20scan_config_selectorIN3c104HalfEEEZZNS1_9scan_implILNS1_25lookback_scan_determinismE0ELb0ELb0ES3_PKS6_PS6_S6_ZZZN2at6native31launch_logcumsumexp_cuda_kernelERKNSD_10TensorBaseESH_lENKUlvE_clEvENKUlvE3_clEvEUlS6_S6_E_S6_EEDaPvRmT3_T4_T5_mT6_P12ihipStream_tbENKUlT_T0_E_clISt17integral_constantIbLb0EESY_EEDaST_SU_EUlST_E0_NS1_11comp_targetILNS1_3genE0ELNS1_11target_archE4294967295ELNS1_3gpuE0ELNS1_3repE0EEENS1_30default_config_static_selectorELNS0_4arch9wavefront6targetE0EEEvT1_,@function
_ZN7rocprim17ROCPRIM_400000_NS6detail17trampoline_kernelINS0_14default_configENS1_20scan_config_selectorIN3c104HalfEEEZZNS1_9scan_implILNS1_25lookback_scan_determinismE0ELb0ELb0ES3_PKS6_PS6_S6_ZZZN2at6native31launch_logcumsumexp_cuda_kernelERKNSD_10TensorBaseESH_lENKUlvE_clEvENKUlvE3_clEvEUlS6_S6_E_S6_EEDaPvRmT3_T4_T5_mT6_P12ihipStream_tbENKUlT_T0_E_clISt17integral_constantIbLb0EESY_EEDaST_SU_EUlST_E0_NS1_11comp_targetILNS1_3genE0ELNS1_11target_archE4294967295ELNS1_3gpuE0ELNS1_3repE0EEENS1_30default_config_static_selectorELNS0_4arch9wavefront6targetE0EEEvT1_: ; @_ZN7rocprim17ROCPRIM_400000_NS6detail17trampoline_kernelINS0_14default_configENS1_20scan_config_selectorIN3c104HalfEEEZZNS1_9scan_implILNS1_25lookback_scan_determinismE0ELb0ELb0ES3_PKS6_PS6_S6_ZZZN2at6native31launch_logcumsumexp_cuda_kernelERKNSD_10TensorBaseESH_lENKUlvE_clEvENKUlvE3_clEvEUlS6_S6_E_S6_EEDaPvRmT3_T4_T5_mT6_P12ihipStream_tbENKUlT_T0_E_clISt17integral_constantIbLb0EESY_EEDaST_SU_EUlST_E0_NS1_11comp_targetILNS1_3genE0ELNS1_11target_archE4294967295ELNS1_3gpuE0ELNS1_3repE0EEENS1_30default_config_static_selectorELNS0_4arch9wavefront6targetE0EEEvT1_
; %bb.0:
	.section	.rodata,"a",@progbits
	.p2align	6, 0x0
	.amdhsa_kernel _ZN7rocprim17ROCPRIM_400000_NS6detail17trampoline_kernelINS0_14default_configENS1_20scan_config_selectorIN3c104HalfEEEZZNS1_9scan_implILNS1_25lookback_scan_determinismE0ELb0ELb0ES3_PKS6_PS6_S6_ZZZN2at6native31launch_logcumsumexp_cuda_kernelERKNSD_10TensorBaseESH_lENKUlvE_clEvENKUlvE3_clEvEUlS6_S6_E_S6_EEDaPvRmT3_T4_T5_mT6_P12ihipStream_tbENKUlT_T0_E_clISt17integral_constantIbLb0EESY_EEDaST_SU_EUlST_E0_NS1_11comp_targetILNS1_3genE0ELNS1_11target_archE4294967295ELNS1_3gpuE0ELNS1_3repE0EEENS1_30default_config_static_selectorELNS0_4arch9wavefront6targetE0EEEvT1_
		.amdhsa_group_segment_fixed_size 0
		.amdhsa_private_segment_fixed_size 0
		.amdhsa_kernarg_size 32
		.amdhsa_user_sgpr_count 15
		.amdhsa_user_sgpr_dispatch_ptr 0
		.amdhsa_user_sgpr_queue_ptr 0
		.amdhsa_user_sgpr_kernarg_segment_ptr 1
		.amdhsa_user_sgpr_dispatch_id 0
		.amdhsa_user_sgpr_private_segment_size 0
		.amdhsa_wavefront_size32 1
		.amdhsa_uses_dynamic_stack 0
		.amdhsa_enable_private_segment 0
		.amdhsa_system_sgpr_workgroup_id_x 1
		.amdhsa_system_sgpr_workgroup_id_y 0
		.amdhsa_system_sgpr_workgroup_id_z 0
		.amdhsa_system_sgpr_workgroup_info 0
		.amdhsa_system_vgpr_workitem_id 0
		.amdhsa_next_free_vgpr 1
		.amdhsa_next_free_sgpr 1
		.amdhsa_reserve_vcc 0
		.amdhsa_float_round_mode_32 0
		.amdhsa_float_round_mode_16_64 0
		.amdhsa_float_denorm_mode_32 3
		.amdhsa_float_denorm_mode_16_64 3
		.amdhsa_dx10_clamp 1
		.amdhsa_ieee_mode 1
		.amdhsa_fp16_overflow 0
		.amdhsa_workgroup_processor_mode 1
		.amdhsa_memory_ordered 1
		.amdhsa_forward_progress 0
		.amdhsa_shared_vgpr_count 0
		.amdhsa_exception_fp_ieee_invalid_op 0
		.amdhsa_exception_fp_denorm_src 0
		.amdhsa_exception_fp_ieee_div_zero 0
		.amdhsa_exception_fp_ieee_overflow 0
		.amdhsa_exception_fp_ieee_underflow 0
		.amdhsa_exception_fp_ieee_inexact 0
		.amdhsa_exception_int_div_zero 0
	.end_amdhsa_kernel
	.section	.text._ZN7rocprim17ROCPRIM_400000_NS6detail17trampoline_kernelINS0_14default_configENS1_20scan_config_selectorIN3c104HalfEEEZZNS1_9scan_implILNS1_25lookback_scan_determinismE0ELb0ELb0ES3_PKS6_PS6_S6_ZZZN2at6native31launch_logcumsumexp_cuda_kernelERKNSD_10TensorBaseESH_lENKUlvE_clEvENKUlvE3_clEvEUlS6_S6_E_S6_EEDaPvRmT3_T4_T5_mT6_P12ihipStream_tbENKUlT_T0_E_clISt17integral_constantIbLb0EESY_EEDaST_SU_EUlST_E0_NS1_11comp_targetILNS1_3genE0ELNS1_11target_archE4294967295ELNS1_3gpuE0ELNS1_3repE0EEENS1_30default_config_static_selectorELNS0_4arch9wavefront6targetE0EEEvT1_,"axG",@progbits,_ZN7rocprim17ROCPRIM_400000_NS6detail17trampoline_kernelINS0_14default_configENS1_20scan_config_selectorIN3c104HalfEEEZZNS1_9scan_implILNS1_25lookback_scan_determinismE0ELb0ELb0ES3_PKS6_PS6_S6_ZZZN2at6native31launch_logcumsumexp_cuda_kernelERKNSD_10TensorBaseESH_lENKUlvE_clEvENKUlvE3_clEvEUlS6_S6_E_S6_EEDaPvRmT3_T4_T5_mT6_P12ihipStream_tbENKUlT_T0_E_clISt17integral_constantIbLb0EESY_EEDaST_SU_EUlST_E0_NS1_11comp_targetILNS1_3genE0ELNS1_11target_archE4294967295ELNS1_3gpuE0ELNS1_3repE0EEENS1_30default_config_static_selectorELNS0_4arch9wavefront6targetE0EEEvT1_,comdat
.Lfunc_end373:
	.size	_ZN7rocprim17ROCPRIM_400000_NS6detail17trampoline_kernelINS0_14default_configENS1_20scan_config_selectorIN3c104HalfEEEZZNS1_9scan_implILNS1_25lookback_scan_determinismE0ELb0ELb0ES3_PKS6_PS6_S6_ZZZN2at6native31launch_logcumsumexp_cuda_kernelERKNSD_10TensorBaseESH_lENKUlvE_clEvENKUlvE3_clEvEUlS6_S6_E_S6_EEDaPvRmT3_T4_T5_mT6_P12ihipStream_tbENKUlT_T0_E_clISt17integral_constantIbLb0EESY_EEDaST_SU_EUlST_E0_NS1_11comp_targetILNS1_3genE0ELNS1_11target_archE4294967295ELNS1_3gpuE0ELNS1_3repE0EEENS1_30default_config_static_selectorELNS0_4arch9wavefront6targetE0EEEvT1_, .Lfunc_end373-_ZN7rocprim17ROCPRIM_400000_NS6detail17trampoline_kernelINS0_14default_configENS1_20scan_config_selectorIN3c104HalfEEEZZNS1_9scan_implILNS1_25lookback_scan_determinismE0ELb0ELb0ES3_PKS6_PS6_S6_ZZZN2at6native31launch_logcumsumexp_cuda_kernelERKNSD_10TensorBaseESH_lENKUlvE_clEvENKUlvE3_clEvEUlS6_S6_E_S6_EEDaPvRmT3_T4_T5_mT6_P12ihipStream_tbENKUlT_T0_E_clISt17integral_constantIbLb0EESY_EEDaST_SU_EUlST_E0_NS1_11comp_targetILNS1_3genE0ELNS1_11target_archE4294967295ELNS1_3gpuE0ELNS1_3repE0EEENS1_30default_config_static_selectorELNS0_4arch9wavefront6targetE0EEEvT1_
                                        ; -- End function
	.section	.AMDGPU.csdata,"",@progbits
; Kernel info:
; codeLenInByte = 0
; NumSgprs: 0
; NumVgprs: 0
; ScratchSize: 0
; MemoryBound: 0
; FloatMode: 240
; IeeeMode: 1
; LDSByteSize: 0 bytes/workgroup (compile time only)
; SGPRBlocks: 0
; VGPRBlocks: 0
; NumSGPRsForWavesPerEU: 1
; NumVGPRsForWavesPerEU: 1
; Occupancy: 16
; WaveLimiterHint : 0
; COMPUTE_PGM_RSRC2:SCRATCH_EN: 0
; COMPUTE_PGM_RSRC2:USER_SGPR: 15
; COMPUTE_PGM_RSRC2:TRAP_HANDLER: 0
; COMPUTE_PGM_RSRC2:TGID_X_EN: 1
; COMPUTE_PGM_RSRC2:TGID_Y_EN: 0
; COMPUTE_PGM_RSRC2:TGID_Z_EN: 0
; COMPUTE_PGM_RSRC2:TIDIG_COMP_CNT: 0
	.section	.text._ZN7rocprim17ROCPRIM_400000_NS6detail17trampoline_kernelINS0_14default_configENS1_20scan_config_selectorIN3c104HalfEEEZZNS1_9scan_implILNS1_25lookback_scan_determinismE0ELb0ELb0ES3_PKS6_PS6_S6_ZZZN2at6native31launch_logcumsumexp_cuda_kernelERKNSD_10TensorBaseESH_lENKUlvE_clEvENKUlvE3_clEvEUlS6_S6_E_S6_EEDaPvRmT3_T4_T5_mT6_P12ihipStream_tbENKUlT_T0_E_clISt17integral_constantIbLb0EESY_EEDaST_SU_EUlST_E0_NS1_11comp_targetILNS1_3genE5ELNS1_11target_archE942ELNS1_3gpuE9ELNS1_3repE0EEENS1_30default_config_static_selectorELNS0_4arch9wavefront6targetE0EEEvT1_,"axG",@progbits,_ZN7rocprim17ROCPRIM_400000_NS6detail17trampoline_kernelINS0_14default_configENS1_20scan_config_selectorIN3c104HalfEEEZZNS1_9scan_implILNS1_25lookback_scan_determinismE0ELb0ELb0ES3_PKS6_PS6_S6_ZZZN2at6native31launch_logcumsumexp_cuda_kernelERKNSD_10TensorBaseESH_lENKUlvE_clEvENKUlvE3_clEvEUlS6_S6_E_S6_EEDaPvRmT3_T4_T5_mT6_P12ihipStream_tbENKUlT_T0_E_clISt17integral_constantIbLb0EESY_EEDaST_SU_EUlST_E0_NS1_11comp_targetILNS1_3genE5ELNS1_11target_archE942ELNS1_3gpuE9ELNS1_3repE0EEENS1_30default_config_static_selectorELNS0_4arch9wavefront6targetE0EEEvT1_,comdat
	.globl	_ZN7rocprim17ROCPRIM_400000_NS6detail17trampoline_kernelINS0_14default_configENS1_20scan_config_selectorIN3c104HalfEEEZZNS1_9scan_implILNS1_25lookback_scan_determinismE0ELb0ELb0ES3_PKS6_PS6_S6_ZZZN2at6native31launch_logcumsumexp_cuda_kernelERKNSD_10TensorBaseESH_lENKUlvE_clEvENKUlvE3_clEvEUlS6_S6_E_S6_EEDaPvRmT3_T4_T5_mT6_P12ihipStream_tbENKUlT_T0_E_clISt17integral_constantIbLb0EESY_EEDaST_SU_EUlST_E0_NS1_11comp_targetILNS1_3genE5ELNS1_11target_archE942ELNS1_3gpuE9ELNS1_3repE0EEENS1_30default_config_static_selectorELNS0_4arch9wavefront6targetE0EEEvT1_ ; -- Begin function _ZN7rocprim17ROCPRIM_400000_NS6detail17trampoline_kernelINS0_14default_configENS1_20scan_config_selectorIN3c104HalfEEEZZNS1_9scan_implILNS1_25lookback_scan_determinismE0ELb0ELb0ES3_PKS6_PS6_S6_ZZZN2at6native31launch_logcumsumexp_cuda_kernelERKNSD_10TensorBaseESH_lENKUlvE_clEvENKUlvE3_clEvEUlS6_S6_E_S6_EEDaPvRmT3_T4_T5_mT6_P12ihipStream_tbENKUlT_T0_E_clISt17integral_constantIbLb0EESY_EEDaST_SU_EUlST_E0_NS1_11comp_targetILNS1_3genE5ELNS1_11target_archE942ELNS1_3gpuE9ELNS1_3repE0EEENS1_30default_config_static_selectorELNS0_4arch9wavefront6targetE0EEEvT1_
	.p2align	8
	.type	_ZN7rocprim17ROCPRIM_400000_NS6detail17trampoline_kernelINS0_14default_configENS1_20scan_config_selectorIN3c104HalfEEEZZNS1_9scan_implILNS1_25lookback_scan_determinismE0ELb0ELb0ES3_PKS6_PS6_S6_ZZZN2at6native31launch_logcumsumexp_cuda_kernelERKNSD_10TensorBaseESH_lENKUlvE_clEvENKUlvE3_clEvEUlS6_S6_E_S6_EEDaPvRmT3_T4_T5_mT6_P12ihipStream_tbENKUlT_T0_E_clISt17integral_constantIbLb0EESY_EEDaST_SU_EUlST_E0_NS1_11comp_targetILNS1_3genE5ELNS1_11target_archE942ELNS1_3gpuE9ELNS1_3repE0EEENS1_30default_config_static_selectorELNS0_4arch9wavefront6targetE0EEEvT1_,@function
_ZN7rocprim17ROCPRIM_400000_NS6detail17trampoline_kernelINS0_14default_configENS1_20scan_config_selectorIN3c104HalfEEEZZNS1_9scan_implILNS1_25lookback_scan_determinismE0ELb0ELb0ES3_PKS6_PS6_S6_ZZZN2at6native31launch_logcumsumexp_cuda_kernelERKNSD_10TensorBaseESH_lENKUlvE_clEvENKUlvE3_clEvEUlS6_S6_E_S6_EEDaPvRmT3_T4_T5_mT6_P12ihipStream_tbENKUlT_T0_E_clISt17integral_constantIbLb0EESY_EEDaST_SU_EUlST_E0_NS1_11comp_targetILNS1_3genE5ELNS1_11target_archE942ELNS1_3gpuE9ELNS1_3repE0EEENS1_30default_config_static_selectorELNS0_4arch9wavefront6targetE0EEEvT1_: ; @_ZN7rocprim17ROCPRIM_400000_NS6detail17trampoline_kernelINS0_14default_configENS1_20scan_config_selectorIN3c104HalfEEEZZNS1_9scan_implILNS1_25lookback_scan_determinismE0ELb0ELb0ES3_PKS6_PS6_S6_ZZZN2at6native31launch_logcumsumexp_cuda_kernelERKNSD_10TensorBaseESH_lENKUlvE_clEvENKUlvE3_clEvEUlS6_S6_E_S6_EEDaPvRmT3_T4_T5_mT6_P12ihipStream_tbENKUlT_T0_E_clISt17integral_constantIbLb0EESY_EEDaST_SU_EUlST_E0_NS1_11comp_targetILNS1_3genE5ELNS1_11target_archE942ELNS1_3gpuE9ELNS1_3repE0EEENS1_30default_config_static_selectorELNS0_4arch9wavefront6targetE0EEEvT1_
; %bb.0:
	.section	.rodata,"a",@progbits
	.p2align	6, 0x0
	.amdhsa_kernel _ZN7rocprim17ROCPRIM_400000_NS6detail17trampoline_kernelINS0_14default_configENS1_20scan_config_selectorIN3c104HalfEEEZZNS1_9scan_implILNS1_25lookback_scan_determinismE0ELb0ELb0ES3_PKS6_PS6_S6_ZZZN2at6native31launch_logcumsumexp_cuda_kernelERKNSD_10TensorBaseESH_lENKUlvE_clEvENKUlvE3_clEvEUlS6_S6_E_S6_EEDaPvRmT3_T4_T5_mT6_P12ihipStream_tbENKUlT_T0_E_clISt17integral_constantIbLb0EESY_EEDaST_SU_EUlST_E0_NS1_11comp_targetILNS1_3genE5ELNS1_11target_archE942ELNS1_3gpuE9ELNS1_3repE0EEENS1_30default_config_static_selectorELNS0_4arch9wavefront6targetE0EEEvT1_
		.amdhsa_group_segment_fixed_size 0
		.amdhsa_private_segment_fixed_size 0
		.amdhsa_kernarg_size 32
		.amdhsa_user_sgpr_count 15
		.amdhsa_user_sgpr_dispatch_ptr 0
		.amdhsa_user_sgpr_queue_ptr 0
		.amdhsa_user_sgpr_kernarg_segment_ptr 1
		.amdhsa_user_sgpr_dispatch_id 0
		.amdhsa_user_sgpr_private_segment_size 0
		.amdhsa_wavefront_size32 1
		.amdhsa_uses_dynamic_stack 0
		.amdhsa_enable_private_segment 0
		.amdhsa_system_sgpr_workgroup_id_x 1
		.amdhsa_system_sgpr_workgroup_id_y 0
		.amdhsa_system_sgpr_workgroup_id_z 0
		.amdhsa_system_sgpr_workgroup_info 0
		.amdhsa_system_vgpr_workitem_id 0
		.amdhsa_next_free_vgpr 1
		.amdhsa_next_free_sgpr 1
		.amdhsa_reserve_vcc 0
		.amdhsa_float_round_mode_32 0
		.amdhsa_float_round_mode_16_64 0
		.amdhsa_float_denorm_mode_32 3
		.amdhsa_float_denorm_mode_16_64 3
		.amdhsa_dx10_clamp 1
		.amdhsa_ieee_mode 1
		.amdhsa_fp16_overflow 0
		.amdhsa_workgroup_processor_mode 1
		.amdhsa_memory_ordered 1
		.amdhsa_forward_progress 0
		.amdhsa_shared_vgpr_count 0
		.amdhsa_exception_fp_ieee_invalid_op 0
		.amdhsa_exception_fp_denorm_src 0
		.amdhsa_exception_fp_ieee_div_zero 0
		.amdhsa_exception_fp_ieee_overflow 0
		.amdhsa_exception_fp_ieee_underflow 0
		.amdhsa_exception_fp_ieee_inexact 0
		.amdhsa_exception_int_div_zero 0
	.end_amdhsa_kernel
	.section	.text._ZN7rocprim17ROCPRIM_400000_NS6detail17trampoline_kernelINS0_14default_configENS1_20scan_config_selectorIN3c104HalfEEEZZNS1_9scan_implILNS1_25lookback_scan_determinismE0ELb0ELb0ES3_PKS6_PS6_S6_ZZZN2at6native31launch_logcumsumexp_cuda_kernelERKNSD_10TensorBaseESH_lENKUlvE_clEvENKUlvE3_clEvEUlS6_S6_E_S6_EEDaPvRmT3_T4_T5_mT6_P12ihipStream_tbENKUlT_T0_E_clISt17integral_constantIbLb0EESY_EEDaST_SU_EUlST_E0_NS1_11comp_targetILNS1_3genE5ELNS1_11target_archE942ELNS1_3gpuE9ELNS1_3repE0EEENS1_30default_config_static_selectorELNS0_4arch9wavefront6targetE0EEEvT1_,"axG",@progbits,_ZN7rocprim17ROCPRIM_400000_NS6detail17trampoline_kernelINS0_14default_configENS1_20scan_config_selectorIN3c104HalfEEEZZNS1_9scan_implILNS1_25lookback_scan_determinismE0ELb0ELb0ES3_PKS6_PS6_S6_ZZZN2at6native31launch_logcumsumexp_cuda_kernelERKNSD_10TensorBaseESH_lENKUlvE_clEvENKUlvE3_clEvEUlS6_S6_E_S6_EEDaPvRmT3_T4_T5_mT6_P12ihipStream_tbENKUlT_T0_E_clISt17integral_constantIbLb0EESY_EEDaST_SU_EUlST_E0_NS1_11comp_targetILNS1_3genE5ELNS1_11target_archE942ELNS1_3gpuE9ELNS1_3repE0EEENS1_30default_config_static_selectorELNS0_4arch9wavefront6targetE0EEEvT1_,comdat
.Lfunc_end374:
	.size	_ZN7rocprim17ROCPRIM_400000_NS6detail17trampoline_kernelINS0_14default_configENS1_20scan_config_selectorIN3c104HalfEEEZZNS1_9scan_implILNS1_25lookback_scan_determinismE0ELb0ELb0ES3_PKS6_PS6_S6_ZZZN2at6native31launch_logcumsumexp_cuda_kernelERKNSD_10TensorBaseESH_lENKUlvE_clEvENKUlvE3_clEvEUlS6_S6_E_S6_EEDaPvRmT3_T4_T5_mT6_P12ihipStream_tbENKUlT_T0_E_clISt17integral_constantIbLb0EESY_EEDaST_SU_EUlST_E0_NS1_11comp_targetILNS1_3genE5ELNS1_11target_archE942ELNS1_3gpuE9ELNS1_3repE0EEENS1_30default_config_static_selectorELNS0_4arch9wavefront6targetE0EEEvT1_, .Lfunc_end374-_ZN7rocprim17ROCPRIM_400000_NS6detail17trampoline_kernelINS0_14default_configENS1_20scan_config_selectorIN3c104HalfEEEZZNS1_9scan_implILNS1_25lookback_scan_determinismE0ELb0ELb0ES3_PKS6_PS6_S6_ZZZN2at6native31launch_logcumsumexp_cuda_kernelERKNSD_10TensorBaseESH_lENKUlvE_clEvENKUlvE3_clEvEUlS6_S6_E_S6_EEDaPvRmT3_T4_T5_mT6_P12ihipStream_tbENKUlT_T0_E_clISt17integral_constantIbLb0EESY_EEDaST_SU_EUlST_E0_NS1_11comp_targetILNS1_3genE5ELNS1_11target_archE942ELNS1_3gpuE9ELNS1_3repE0EEENS1_30default_config_static_selectorELNS0_4arch9wavefront6targetE0EEEvT1_
                                        ; -- End function
	.section	.AMDGPU.csdata,"",@progbits
; Kernel info:
; codeLenInByte = 0
; NumSgprs: 0
; NumVgprs: 0
; ScratchSize: 0
; MemoryBound: 0
; FloatMode: 240
; IeeeMode: 1
; LDSByteSize: 0 bytes/workgroup (compile time only)
; SGPRBlocks: 0
; VGPRBlocks: 0
; NumSGPRsForWavesPerEU: 1
; NumVGPRsForWavesPerEU: 1
; Occupancy: 16
; WaveLimiterHint : 0
; COMPUTE_PGM_RSRC2:SCRATCH_EN: 0
; COMPUTE_PGM_RSRC2:USER_SGPR: 15
; COMPUTE_PGM_RSRC2:TRAP_HANDLER: 0
; COMPUTE_PGM_RSRC2:TGID_X_EN: 1
; COMPUTE_PGM_RSRC2:TGID_Y_EN: 0
; COMPUTE_PGM_RSRC2:TGID_Z_EN: 0
; COMPUTE_PGM_RSRC2:TIDIG_COMP_CNT: 0
	.section	.text._ZN7rocprim17ROCPRIM_400000_NS6detail17trampoline_kernelINS0_14default_configENS1_20scan_config_selectorIN3c104HalfEEEZZNS1_9scan_implILNS1_25lookback_scan_determinismE0ELb0ELb0ES3_PKS6_PS6_S6_ZZZN2at6native31launch_logcumsumexp_cuda_kernelERKNSD_10TensorBaseESH_lENKUlvE_clEvENKUlvE3_clEvEUlS6_S6_E_S6_EEDaPvRmT3_T4_T5_mT6_P12ihipStream_tbENKUlT_T0_E_clISt17integral_constantIbLb0EESY_EEDaST_SU_EUlST_E0_NS1_11comp_targetILNS1_3genE4ELNS1_11target_archE910ELNS1_3gpuE8ELNS1_3repE0EEENS1_30default_config_static_selectorELNS0_4arch9wavefront6targetE0EEEvT1_,"axG",@progbits,_ZN7rocprim17ROCPRIM_400000_NS6detail17trampoline_kernelINS0_14default_configENS1_20scan_config_selectorIN3c104HalfEEEZZNS1_9scan_implILNS1_25lookback_scan_determinismE0ELb0ELb0ES3_PKS6_PS6_S6_ZZZN2at6native31launch_logcumsumexp_cuda_kernelERKNSD_10TensorBaseESH_lENKUlvE_clEvENKUlvE3_clEvEUlS6_S6_E_S6_EEDaPvRmT3_T4_T5_mT6_P12ihipStream_tbENKUlT_T0_E_clISt17integral_constantIbLb0EESY_EEDaST_SU_EUlST_E0_NS1_11comp_targetILNS1_3genE4ELNS1_11target_archE910ELNS1_3gpuE8ELNS1_3repE0EEENS1_30default_config_static_selectorELNS0_4arch9wavefront6targetE0EEEvT1_,comdat
	.globl	_ZN7rocprim17ROCPRIM_400000_NS6detail17trampoline_kernelINS0_14default_configENS1_20scan_config_selectorIN3c104HalfEEEZZNS1_9scan_implILNS1_25lookback_scan_determinismE0ELb0ELb0ES3_PKS6_PS6_S6_ZZZN2at6native31launch_logcumsumexp_cuda_kernelERKNSD_10TensorBaseESH_lENKUlvE_clEvENKUlvE3_clEvEUlS6_S6_E_S6_EEDaPvRmT3_T4_T5_mT6_P12ihipStream_tbENKUlT_T0_E_clISt17integral_constantIbLb0EESY_EEDaST_SU_EUlST_E0_NS1_11comp_targetILNS1_3genE4ELNS1_11target_archE910ELNS1_3gpuE8ELNS1_3repE0EEENS1_30default_config_static_selectorELNS0_4arch9wavefront6targetE0EEEvT1_ ; -- Begin function _ZN7rocprim17ROCPRIM_400000_NS6detail17trampoline_kernelINS0_14default_configENS1_20scan_config_selectorIN3c104HalfEEEZZNS1_9scan_implILNS1_25lookback_scan_determinismE0ELb0ELb0ES3_PKS6_PS6_S6_ZZZN2at6native31launch_logcumsumexp_cuda_kernelERKNSD_10TensorBaseESH_lENKUlvE_clEvENKUlvE3_clEvEUlS6_S6_E_S6_EEDaPvRmT3_T4_T5_mT6_P12ihipStream_tbENKUlT_T0_E_clISt17integral_constantIbLb0EESY_EEDaST_SU_EUlST_E0_NS1_11comp_targetILNS1_3genE4ELNS1_11target_archE910ELNS1_3gpuE8ELNS1_3repE0EEENS1_30default_config_static_selectorELNS0_4arch9wavefront6targetE0EEEvT1_
	.p2align	8
	.type	_ZN7rocprim17ROCPRIM_400000_NS6detail17trampoline_kernelINS0_14default_configENS1_20scan_config_selectorIN3c104HalfEEEZZNS1_9scan_implILNS1_25lookback_scan_determinismE0ELb0ELb0ES3_PKS6_PS6_S6_ZZZN2at6native31launch_logcumsumexp_cuda_kernelERKNSD_10TensorBaseESH_lENKUlvE_clEvENKUlvE3_clEvEUlS6_S6_E_S6_EEDaPvRmT3_T4_T5_mT6_P12ihipStream_tbENKUlT_T0_E_clISt17integral_constantIbLb0EESY_EEDaST_SU_EUlST_E0_NS1_11comp_targetILNS1_3genE4ELNS1_11target_archE910ELNS1_3gpuE8ELNS1_3repE0EEENS1_30default_config_static_selectorELNS0_4arch9wavefront6targetE0EEEvT1_,@function
_ZN7rocprim17ROCPRIM_400000_NS6detail17trampoline_kernelINS0_14default_configENS1_20scan_config_selectorIN3c104HalfEEEZZNS1_9scan_implILNS1_25lookback_scan_determinismE0ELb0ELb0ES3_PKS6_PS6_S6_ZZZN2at6native31launch_logcumsumexp_cuda_kernelERKNSD_10TensorBaseESH_lENKUlvE_clEvENKUlvE3_clEvEUlS6_S6_E_S6_EEDaPvRmT3_T4_T5_mT6_P12ihipStream_tbENKUlT_T0_E_clISt17integral_constantIbLb0EESY_EEDaST_SU_EUlST_E0_NS1_11comp_targetILNS1_3genE4ELNS1_11target_archE910ELNS1_3gpuE8ELNS1_3repE0EEENS1_30default_config_static_selectorELNS0_4arch9wavefront6targetE0EEEvT1_: ; @_ZN7rocprim17ROCPRIM_400000_NS6detail17trampoline_kernelINS0_14default_configENS1_20scan_config_selectorIN3c104HalfEEEZZNS1_9scan_implILNS1_25lookback_scan_determinismE0ELb0ELb0ES3_PKS6_PS6_S6_ZZZN2at6native31launch_logcumsumexp_cuda_kernelERKNSD_10TensorBaseESH_lENKUlvE_clEvENKUlvE3_clEvEUlS6_S6_E_S6_EEDaPvRmT3_T4_T5_mT6_P12ihipStream_tbENKUlT_T0_E_clISt17integral_constantIbLb0EESY_EEDaST_SU_EUlST_E0_NS1_11comp_targetILNS1_3genE4ELNS1_11target_archE910ELNS1_3gpuE8ELNS1_3repE0EEENS1_30default_config_static_selectorELNS0_4arch9wavefront6targetE0EEEvT1_
; %bb.0:
	.section	.rodata,"a",@progbits
	.p2align	6, 0x0
	.amdhsa_kernel _ZN7rocprim17ROCPRIM_400000_NS6detail17trampoline_kernelINS0_14default_configENS1_20scan_config_selectorIN3c104HalfEEEZZNS1_9scan_implILNS1_25lookback_scan_determinismE0ELb0ELb0ES3_PKS6_PS6_S6_ZZZN2at6native31launch_logcumsumexp_cuda_kernelERKNSD_10TensorBaseESH_lENKUlvE_clEvENKUlvE3_clEvEUlS6_S6_E_S6_EEDaPvRmT3_T4_T5_mT6_P12ihipStream_tbENKUlT_T0_E_clISt17integral_constantIbLb0EESY_EEDaST_SU_EUlST_E0_NS1_11comp_targetILNS1_3genE4ELNS1_11target_archE910ELNS1_3gpuE8ELNS1_3repE0EEENS1_30default_config_static_selectorELNS0_4arch9wavefront6targetE0EEEvT1_
		.amdhsa_group_segment_fixed_size 0
		.amdhsa_private_segment_fixed_size 0
		.amdhsa_kernarg_size 32
		.amdhsa_user_sgpr_count 15
		.amdhsa_user_sgpr_dispatch_ptr 0
		.amdhsa_user_sgpr_queue_ptr 0
		.amdhsa_user_sgpr_kernarg_segment_ptr 1
		.amdhsa_user_sgpr_dispatch_id 0
		.amdhsa_user_sgpr_private_segment_size 0
		.amdhsa_wavefront_size32 1
		.amdhsa_uses_dynamic_stack 0
		.amdhsa_enable_private_segment 0
		.amdhsa_system_sgpr_workgroup_id_x 1
		.amdhsa_system_sgpr_workgroup_id_y 0
		.amdhsa_system_sgpr_workgroup_id_z 0
		.amdhsa_system_sgpr_workgroup_info 0
		.amdhsa_system_vgpr_workitem_id 0
		.amdhsa_next_free_vgpr 1
		.amdhsa_next_free_sgpr 1
		.amdhsa_reserve_vcc 0
		.amdhsa_float_round_mode_32 0
		.amdhsa_float_round_mode_16_64 0
		.amdhsa_float_denorm_mode_32 3
		.amdhsa_float_denorm_mode_16_64 3
		.amdhsa_dx10_clamp 1
		.amdhsa_ieee_mode 1
		.amdhsa_fp16_overflow 0
		.amdhsa_workgroup_processor_mode 1
		.amdhsa_memory_ordered 1
		.amdhsa_forward_progress 0
		.amdhsa_shared_vgpr_count 0
		.amdhsa_exception_fp_ieee_invalid_op 0
		.amdhsa_exception_fp_denorm_src 0
		.amdhsa_exception_fp_ieee_div_zero 0
		.amdhsa_exception_fp_ieee_overflow 0
		.amdhsa_exception_fp_ieee_underflow 0
		.amdhsa_exception_fp_ieee_inexact 0
		.amdhsa_exception_int_div_zero 0
	.end_amdhsa_kernel
	.section	.text._ZN7rocprim17ROCPRIM_400000_NS6detail17trampoline_kernelINS0_14default_configENS1_20scan_config_selectorIN3c104HalfEEEZZNS1_9scan_implILNS1_25lookback_scan_determinismE0ELb0ELb0ES3_PKS6_PS6_S6_ZZZN2at6native31launch_logcumsumexp_cuda_kernelERKNSD_10TensorBaseESH_lENKUlvE_clEvENKUlvE3_clEvEUlS6_S6_E_S6_EEDaPvRmT3_T4_T5_mT6_P12ihipStream_tbENKUlT_T0_E_clISt17integral_constantIbLb0EESY_EEDaST_SU_EUlST_E0_NS1_11comp_targetILNS1_3genE4ELNS1_11target_archE910ELNS1_3gpuE8ELNS1_3repE0EEENS1_30default_config_static_selectorELNS0_4arch9wavefront6targetE0EEEvT1_,"axG",@progbits,_ZN7rocprim17ROCPRIM_400000_NS6detail17trampoline_kernelINS0_14default_configENS1_20scan_config_selectorIN3c104HalfEEEZZNS1_9scan_implILNS1_25lookback_scan_determinismE0ELb0ELb0ES3_PKS6_PS6_S6_ZZZN2at6native31launch_logcumsumexp_cuda_kernelERKNSD_10TensorBaseESH_lENKUlvE_clEvENKUlvE3_clEvEUlS6_S6_E_S6_EEDaPvRmT3_T4_T5_mT6_P12ihipStream_tbENKUlT_T0_E_clISt17integral_constantIbLb0EESY_EEDaST_SU_EUlST_E0_NS1_11comp_targetILNS1_3genE4ELNS1_11target_archE910ELNS1_3gpuE8ELNS1_3repE0EEENS1_30default_config_static_selectorELNS0_4arch9wavefront6targetE0EEEvT1_,comdat
.Lfunc_end375:
	.size	_ZN7rocprim17ROCPRIM_400000_NS6detail17trampoline_kernelINS0_14default_configENS1_20scan_config_selectorIN3c104HalfEEEZZNS1_9scan_implILNS1_25lookback_scan_determinismE0ELb0ELb0ES3_PKS6_PS6_S6_ZZZN2at6native31launch_logcumsumexp_cuda_kernelERKNSD_10TensorBaseESH_lENKUlvE_clEvENKUlvE3_clEvEUlS6_S6_E_S6_EEDaPvRmT3_T4_T5_mT6_P12ihipStream_tbENKUlT_T0_E_clISt17integral_constantIbLb0EESY_EEDaST_SU_EUlST_E0_NS1_11comp_targetILNS1_3genE4ELNS1_11target_archE910ELNS1_3gpuE8ELNS1_3repE0EEENS1_30default_config_static_selectorELNS0_4arch9wavefront6targetE0EEEvT1_, .Lfunc_end375-_ZN7rocprim17ROCPRIM_400000_NS6detail17trampoline_kernelINS0_14default_configENS1_20scan_config_selectorIN3c104HalfEEEZZNS1_9scan_implILNS1_25lookback_scan_determinismE0ELb0ELb0ES3_PKS6_PS6_S6_ZZZN2at6native31launch_logcumsumexp_cuda_kernelERKNSD_10TensorBaseESH_lENKUlvE_clEvENKUlvE3_clEvEUlS6_S6_E_S6_EEDaPvRmT3_T4_T5_mT6_P12ihipStream_tbENKUlT_T0_E_clISt17integral_constantIbLb0EESY_EEDaST_SU_EUlST_E0_NS1_11comp_targetILNS1_3genE4ELNS1_11target_archE910ELNS1_3gpuE8ELNS1_3repE0EEENS1_30default_config_static_selectorELNS0_4arch9wavefront6targetE0EEEvT1_
                                        ; -- End function
	.section	.AMDGPU.csdata,"",@progbits
; Kernel info:
; codeLenInByte = 0
; NumSgprs: 0
; NumVgprs: 0
; ScratchSize: 0
; MemoryBound: 0
; FloatMode: 240
; IeeeMode: 1
; LDSByteSize: 0 bytes/workgroup (compile time only)
; SGPRBlocks: 0
; VGPRBlocks: 0
; NumSGPRsForWavesPerEU: 1
; NumVGPRsForWavesPerEU: 1
; Occupancy: 16
; WaveLimiterHint : 0
; COMPUTE_PGM_RSRC2:SCRATCH_EN: 0
; COMPUTE_PGM_RSRC2:USER_SGPR: 15
; COMPUTE_PGM_RSRC2:TRAP_HANDLER: 0
; COMPUTE_PGM_RSRC2:TGID_X_EN: 1
; COMPUTE_PGM_RSRC2:TGID_Y_EN: 0
; COMPUTE_PGM_RSRC2:TGID_Z_EN: 0
; COMPUTE_PGM_RSRC2:TIDIG_COMP_CNT: 0
	.section	.text._ZN7rocprim17ROCPRIM_400000_NS6detail17trampoline_kernelINS0_14default_configENS1_20scan_config_selectorIN3c104HalfEEEZZNS1_9scan_implILNS1_25lookback_scan_determinismE0ELb0ELb0ES3_PKS6_PS6_S6_ZZZN2at6native31launch_logcumsumexp_cuda_kernelERKNSD_10TensorBaseESH_lENKUlvE_clEvENKUlvE3_clEvEUlS6_S6_E_S6_EEDaPvRmT3_T4_T5_mT6_P12ihipStream_tbENKUlT_T0_E_clISt17integral_constantIbLb0EESY_EEDaST_SU_EUlST_E0_NS1_11comp_targetILNS1_3genE3ELNS1_11target_archE908ELNS1_3gpuE7ELNS1_3repE0EEENS1_30default_config_static_selectorELNS0_4arch9wavefront6targetE0EEEvT1_,"axG",@progbits,_ZN7rocprim17ROCPRIM_400000_NS6detail17trampoline_kernelINS0_14default_configENS1_20scan_config_selectorIN3c104HalfEEEZZNS1_9scan_implILNS1_25lookback_scan_determinismE0ELb0ELb0ES3_PKS6_PS6_S6_ZZZN2at6native31launch_logcumsumexp_cuda_kernelERKNSD_10TensorBaseESH_lENKUlvE_clEvENKUlvE3_clEvEUlS6_S6_E_S6_EEDaPvRmT3_T4_T5_mT6_P12ihipStream_tbENKUlT_T0_E_clISt17integral_constantIbLb0EESY_EEDaST_SU_EUlST_E0_NS1_11comp_targetILNS1_3genE3ELNS1_11target_archE908ELNS1_3gpuE7ELNS1_3repE0EEENS1_30default_config_static_selectorELNS0_4arch9wavefront6targetE0EEEvT1_,comdat
	.globl	_ZN7rocprim17ROCPRIM_400000_NS6detail17trampoline_kernelINS0_14default_configENS1_20scan_config_selectorIN3c104HalfEEEZZNS1_9scan_implILNS1_25lookback_scan_determinismE0ELb0ELb0ES3_PKS6_PS6_S6_ZZZN2at6native31launch_logcumsumexp_cuda_kernelERKNSD_10TensorBaseESH_lENKUlvE_clEvENKUlvE3_clEvEUlS6_S6_E_S6_EEDaPvRmT3_T4_T5_mT6_P12ihipStream_tbENKUlT_T0_E_clISt17integral_constantIbLb0EESY_EEDaST_SU_EUlST_E0_NS1_11comp_targetILNS1_3genE3ELNS1_11target_archE908ELNS1_3gpuE7ELNS1_3repE0EEENS1_30default_config_static_selectorELNS0_4arch9wavefront6targetE0EEEvT1_ ; -- Begin function _ZN7rocprim17ROCPRIM_400000_NS6detail17trampoline_kernelINS0_14default_configENS1_20scan_config_selectorIN3c104HalfEEEZZNS1_9scan_implILNS1_25lookback_scan_determinismE0ELb0ELb0ES3_PKS6_PS6_S6_ZZZN2at6native31launch_logcumsumexp_cuda_kernelERKNSD_10TensorBaseESH_lENKUlvE_clEvENKUlvE3_clEvEUlS6_S6_E_S6_EEDaPvRmT3_T4_T5_mT6_P12ihipStream_tbENKUlT_T0_E_clISt17integral_constantIbLb0EESY_EEDaST_SU_EUlST_E0_NS1_11comp_targetILNS1_3genE3ELNS1_11target_archE908ELNS1_3gpuE7ELNS1_3repE0EEENS1_30default_config_static_selectorELNS0_4arch9wavefront6targetE0EEEvT1_
	.p2align	8
	.type	_ZN7rocprim17ROCPRIM_400000_NS6detail17trampoline_kernelINS0_14default_configENS1_20scan_config_selectorIN3c104HalfEEEZZNS1_9scan_implILNS1_25lookback_scan_determinismE0ELb0ELb0ES3_PKS6_PS6_S6_ZZZN2at6native31launch_logcumsumexp_cuda_kernelERKNSD_10TensorBaseESH_lENKUlvE_clEvENKUlvE3_clEvEUlS6_S6_E_S6_EEDaPvRmT3_T4_T5_mT6_P12ihipStream_tbENKUlT_T0_E_clISt17integral_constantIbLb0EESY_EEDaST_SU_EUlST_E0_NS1_11comp_targetILNS1_3genE3ELNS1_11target_archE908ELNS1_3gpuE7ELNS1_3repE0EEENS1_30default_config_static_selectorELNS0_4arch9wavefront6targetE0EEEvT1_,@function
_ZN7rocprim17ROCPRIM_400000_NS6detail17trampoline_kernelINS0_14default_configENS1_20scan_config_selectorIN3c104HalfEEEZZNS1_9scan_implILNS1_25lookback_scan_determinismE0ELb0ELb0ES3_PKS6_PS6_S6_ZZZN2at6native31launch_logcumsumexp_cuda_kernelERKNSD_10TensorBaseESH_lENKUlvE_clEvENKUlvE3_clEvEUlS6_S6_E_S6_EEDaPvRmT3_T4_T5_mT6_P12ihipStream_tbENKUlT_T0_E_clISt17integral_constantIbLb0EESY_EEDaST_SU_EUlST_E0_NS1_11comp_targetILNS1_3genE3ELNS1_11target_archE908ELNS1_3gpuE7ELNS1_3repE0EEENS1_30default_config_static_selectorELNS0_4arch9wavefront6targetE0EEEvT1_: ; @_ZN7rocprim17ROCPRIM_400000_NS6detail17trampoline_kernelINS0_14default_configENS1_20scan_config_selectorIN3c104HalfEEEZZNS1_9scan_implILNS1_25lookback_scan_determinismE0ELb0ELb0ES3_PKS6_PS6_S6_ZZZN2at6native31launch_logcumsumexp_cuda_kernelERKNSD_10TensorBaseESH_lENKUlvE_clEvENKUlvE3_clEvEUlS6_S6_E_S6_EEDaPvRmT3_T4_T5_mT6_P12ihipStream_tbENKUlT_T0_E_clISt17integral_constantIbLb0EESY_EEDaST_SU_EUlST_E0_NS1_11comp_targetILNS1_3genE3ELNS1_11target_archE908ELNS1_3gpuE7ELNS1_3repE0EEENS1_30default_config_static_selectorELNS0_4arch9wavefront6targetE0EEEvT1_
; %bb.0:
	.section	.rodata,"a",@progbits
	.p2align	6, 0x0
	.amdhsa_kernel _ZN7rocprim17ROCPRIM_400000_NS6detail17trampoline_kernelINS0_14default_configENS1_20scan_config_selectorIN3c104HalfEEEZZNS1_9scan_implILNS1_25lookback_scan_determinismE0ELb0ELb0ES3_PKS6_PS6_S6_ZZZN2at6native31launch_logcumsumexp_cuda_kernelERKNSD_10TensorBaseESH_lENKUlvE_clEvENKUlvE3_clEvEUlS6_S6_E_S6_EEDaPvRmT3_T4_T5_mT6_P12ihipStream_tbENKUlT_T0_E_clISt17integral_constantIbLb0EESY_EEDaST_SU_EUlST_E0_NS1_11comp_targetILNS1_3genE3ELNS1_11target_archE908ELNS1_3gpuE7ELNS1_3repE0EEENS1_30default_config_static_selectorELNS0_4arch9wavefront6targetE0EEEvT1_
		.amdhsa_group_segment_fixed_size 0
		.amdhsa_private_segment_fixed_size 0
		.amdhsa_kernarg_size 32
		.amdhsa_user_sgpr_count 15
		.amdhsa_user_sgpr_dispatch_ptr 0
		.amdhsa_user_sgpr_queue_ptr 0
		.amdhsa_user_sgpr_kernarg_segment_ptr 1
		.amdhsa_user_sgpr_dispatch_id 0
		.amdhsa_user_sgpr_private_segment_size 0
		.amdhsa_wavefront_size32 1
		.amdhsa_uses_dynamic_stack 0
		.amdhsa_enable_private_segment 0
		.amdhsa_system_sgpr_workgroup_id_x 1
		.amdhsa_system_sgpr_workgroup_id_y 0
		.amdhsa_system_sgpr_workgroup_id_z 0
		.amdhsa_system_sgpr_workgroup_info 0
		.amdhsa_system_vgpr_workitem_id 0
		.amdhsa_next_free_vgpr 1
		.amdhsa_next_free_sgpr 1
		.amdhsa_reserve_vcc 0
		.amdhsa_float_round_mode_32 0
		.amdhsa_float_round_mode_16_64 0
		.amdhsa_float_denorm_mode_32 3
		.amdhsa_float_denorm_mode_16_64 3
		.amdhsa_dx10_clamp 1
		.amdhsa_ieee_mode 1
		.amdhsa_fp16_overflow 0
		.amdhsa_workgroup_processor_mode 1
		.amdhsa_memory_ordered 1
		.amdhsa_forward_progress 0
		.amdhsa_shared_vgpr_count 0
		.amdhsa_exception_fp_ieee_invalid_op 0
		.amdhsa_exception_fp_denorm_src 0
		.amdhsa_exception_fp_ieee_div_zero 0
		.amdhsa_exception_fp_ieee_overflow 0
		.amdhsa_exception_fp_ieee_underflow 0
		.amdhsa_exception_fp_ieee_inexact 0
		.amdhsa_exception_int_div_zero 0
	.end_amdhsa_kernel
	.section	.text._ZN7rocprim17ROCPRIM_400000_NS6detail17trampoline_kernelINS0_14default_configENS1_20scan_config_selectorIN3c104HalfEEEZZNS1_9scan_implILNS1_25lookback_scan_determinismE0ELb0ELb0ES3_PKS6_PS6_S6_ZZZN2at6native31launch_logcumsumexp_cuda_kernelERKNSD_10TensorBaseESH_lENKUlvE_clEvENKUlvE3_clEvEUlS6_S6_E_S6_EEDaPvRmT3_T4_T5_mT6_P12ihipStream_tbENKUlT_T0_E_clISt17integral_constantIbLb0EESY_EEDaST_SU_EUlST_E0_NS1_11comp_targetILNS1_3genE3ELNS1_11target_archE908ELNS1_3gpuE7ELNS1_3repE0EEENS1_30default_config_static_selectorELNS0_4arch9wavefront6targetE0EEEvT1_,"axG",@progbits,_ZN7rocprim17ROCPRIM_400000_NS6detail17trampoline_kernelINS0_14default_configENS1_20scan_config_selectorIN3c104HalfEEEZZNS1_9scan_implILNS1_25lookback_scan_determinismE0ELb0ELb0ES3_PKS6_PS6_S6_ZZZN2at6native31launch_logcumsumexp_cuda_kernelERKNSD_10TensorBaseESH_lENKUlvE_clEvENKUlvE3_clEvEUlS6_S6_E_S6_EEDaPvRmT3_T4_T5_mT6_P12ihipStream_tbENKUlT_T0_E_clISt17integral_constantIbLb0EESY_EEDaST_SU_EUlST_E0_NS1_11comp_targetILNS1_3genE3ELNS1_11target_archE908ELNS1_3gpuE7ELNS1_3repE0EEENS1_30default_config_static_selectorELNS0_4arch9wavefront6targetE0EEEvT1_,comdat
.Lfunc_end376:
	.size	_ZN7rocprim17ROCPRIM_400000_NS6detail17trampoline_kernelINS0_14default_configENS1_20scan_config_selectorIN3c104HalfEEEZZNS1_9scan_implILNS1_25lookback_scan_determinismE0ELb0ELb0ES3_PKS6_PS6_S6_ZZZN2at6native31launch_logcumsumexp_cuda_kernelERKNSD_10TensorBaseESH_lENKUlvE_clEvENKUlvE3_clEvEUlS6_S6_E_S6_EEDaPvRmT3_T4_T5_mT6_P12ihipStream_tbENKUlT_T0_E_clISt17integral_constantIbLb0EESY_EEDaST_SU_EUlST_E0_NS1_11comp_targetILNS1_3genE3ELNS1_11target_archE908ELNS1_3gpuE7ELNS1_3repE0EEENS1_30default_config_static_selectorELNS0_4arch9wavefront6targetE0EEEvT1_, .Lfunc_end376-_ZN7rocprim17ROCPRIM_400000_NS6detail17trampoline_kernelINS0_14default_configENS1_20scan_config_selectorIN3c104HalfEEEZZNS1_9scan_implILNS1_25lookback_scan_determinismE0ELb0ELb0ES3_PKS6_PS6_S6_ZZZN2at6native31launch_logcumsumexp_cuda_kernelERKNSD_10TensorBaseESH_lENKUlvE_clEvENKUlvE3_clEvEUlS6_S6_E_S6_EEDaPvRmT3_T4_T5_mT6_P12ihipStream_tbENKUlT_T0_E_clISt17integral_constantIbLb0EESY_EEDaST_SU_EUlST_E0_NS1_11comp_targetILNS1_3genE3ELNS1_11target_archE908ELNS1_3gpuE7ELNS1_3repE0EEENS1_30default_config_static_selectorELNS0_4arch9wavefront6targetE0EEEvT1_
                                        ; -- End function
	.section	.AMDGPU.csdata,"",@progbits
; Kernel info:
; codeLenInByte = 0
; NumSgprs: 0
; NumVgprs: 0
; ScratchSize: 0
; MemoryBound: 0
; FloatMode: 240
; IeeeMode: 1
; LDSByteSize: 0 bytes/workgroup (compile time only)
; SGPRBlocks: 0
; VGPRBlocks: 0
; NumSGPRsForWavesPerEU: 1
; NumVGPRsForWavesPerEU: 1
; Occupancy: 16
; WaveLimiterHint : 0
; COMPUTE_PGM_RSRC2:SCRATCH_EN: 0
; COMPUTE_PGM_RSRC2:USER_SGPR: 15
; COMPUTE_PGM_RSRC2:TRAP_HANDLER: 0
; COMPUTE_PGM_RSRC2:TGID_X_EN: 1
; COMPUTE_PGM_RSRC2:TGID_Y_EN: 0
; COMPUTE_PGM_RSRC2:TGID_Z_EN: 0
; COMPUTE_PGM_RSRC2:TIDIG_COMP_CNT: 0
	.section	.text._ZN7rocprim17ROCPRIM_400000_NS6detail17trampoline_kernelINS0_14default_configENS1_20scan_config_selectorIN3c104HalfEEEZZNS1_9scan_implILNS1_25lookback_scan_determinismE0ELb0ELb0ES3_PKS6_PS6_S6_ZZZN2at6native31launch_logcumsumexp_cuda_kernelERKNSD_10TensorBaseESH_lENKUlvE_clEvENKUlvE3_clEvEUlS6_S6_E_S6_EEDaPvRmT3_T4_T5_mT6_P12ihipStream_tbENKUlT_T0_E_clISt17integral_constantIbLb0EESY_EEDaST_SU_EUlST_E0_NS1_11comp_targetILNS1_3genE2ELNS1_11target_archE906ELNS1_3gpuE6ELNS1_3repE0EEENS1_30default_config_static_selectorELNS0_4arch9wavefront6targetE0EEEvT1_,"axG",@progbits,_ZN7rocprim17ROCPRIM_400000_NS6detail17trampoline_kernelINS0_14default_configENS1_20scan_config_selectorIN3c104HalfEEEZZNS1_9scan_implILNS1_25lookback_scan_determinismE0ELb0ELb0ES3_PKS6_PS6_S6_ZZZN2at6native31launch_logcumsumexp_cuda_kernelERKNSD_10TensorBaseESH_lENKUlvE_clEvENKUlvE3_clEvEUlS6_S6_E_S6_EEDaPvRmT3_T4_T5_mT6_P12ihipStream_tbENKUlT_T0_E_clISt17integral_constantIbLb0EESY_EEDaST_SU_EUlST_E0_NS1_11comp_targetILNS1_3genE2ELNS1_11target_archE906ELNS1_3gpuE6ELNS1_3repE0EEENS1_30default_config_static_selectorELNS0_4arch9wavefront6targetE0EEEvT1_,comdat
	.globl	_ZN7rocprim17ROCPRIM_400000_NS6detail17trampoline_kernelINS0_14default_configENS1_20scan_config_selectorIN3c104HalfEEEZZNS1_9scan_implILNS1_25lookback_scan_determinismE0ELb0ELb0ES3_PKS6_PS6_S6_ZZZN2at6native31launch_logcumsumexp_cuda_kernelERKNSD_10TensorBaseESH_lENKUlvE_clEvENKUlvE3_clEvEUlS6_S6_E_S6_EEDaPvRmT3_T4_T5_mT6_P12ihipStream_tbENKUlT_T0_E_clISt17integral_constantIbLb0EESY_EEDaST_SU_EUlST_E0_NS1_11comp_targetILNS1_3genE2ELNS1_11target_archE906ELNS1_3gpuE6ELNS1_3repE0EEENS1_30default_config_static_selectorELNS0_4arch9wavefront6targetE0EEEvT1_ ; -- Begin function _ZN7rocprim17ROCPRIM_400000_NS6detail17trampoline_kernelINS0_14default_configENS1_20scan_config_selectorIN3c104HalfEEEZZNS1_9scan_implILNS1_25lookback_scan_determinismE0ELb0ELb0ES3_PKS6_PS6_S6_ZZZN2at6native31launch_logcumsumexp_cuda_kernelERKNSD_10TensorBaseESH_lENKUlvE_clEvENKUlvE3_clEvEUlS6_S6_E_S6_EEDaPvRmT3_T4_T5_mT6_P12ihipStream_tbENKUlT_T0_E_clISt17integral_constantIbLb0EESY_EEDaST_SU_EUlST_E0_NS1_11comp_targetILNS1_3genE2ELNS1_11target_archE906ELNS1_3gpuE6ELNS1_3repE0EEENS1_30default_config_static_selectorELNS0_4arch9wavefront6targetE0EEEvT1_
	.p2align	8
	.type	_ZN7rocprim17ROCPRIM_400000_NS6detail17trampoline_kernelINS0_14default_configENS1_20scan_config_selectorIN3c104HalfEEEZZNS1_9scan_implILNS1_25lookback_scan_determinismE0ELb0ELb0ES3_PKS6_PS6_S6_ZZZN2at6native31launch_logcumsumexp_cuda_kernelERKNSD_10TensorBaseESH_lENKUlvE_clEvENKUlvE3_clEvEUlS6_S6_E_S6_EEDaPvRmT3_T4_T5_mT6_P12ihipStream_tbENKUlT_T0_E_clISt17integral_constantIbLb0EESY_EEDaST_SU_EUlST_E0_NS1_11comp_targetILNS1_3genE2ELNS1_11target_archE906ELNS1_3gpuE6ELNS1_3repE0EEENS1_30default_config_static_selectorELNS0_4arch9wavefront6targetE0EEEvT1_,@function
_ZN7rocprim17ROCPRIM_400000_NS6detail17trampoline_kernelINS0_14default_configENS1_20scan_config_selectorIN3c104HalfEEEZZNS1_9scan_implILNS1_25lookback_scan_determinismE0ELb0ELb0ES3_PKS6_PS6_S6_ZZZN2at6native31launch_logcumsumexp_cuda_kernelERKNSD_10TensorBaseESH_lENKUlvE_clEvENKUlvE3_clEvEUlS6_S6_E_S6_EEDaPvRmT3_T4_T5_mT6_P12ihipStream_tbENKUlT_T0_E_clISt17integral_constantIbLb0EESY_EEDaST_SU_EUlST_E0_NS1_11comp_targetILNS1_3genE2ELNS1_11target_archE906ELNS1_3gpuE6ELNS1_3repE0EEENS1_30default_config_static_selectorELNS0_4arch9wavefront6targetE0EEEvT1_: ; @_ZN7rocprim17ROCPRIM_400000_NS6detail17trampoline_kernelINS0_14default_configENS1_20scan_config_selectorIN3c104HalfEEEZZNS1_9scan_implILNS1_25lookback_scan_determinismE0ELb0ELb0ES3_PKS6_PS6_S6_ZZZN2at6native31launch_logcumsumexp_cuda_kernelERKNSD_10TensorBaseESH_lENKUlvE_clEvENKUlvE3_clEvEUlS6_S6_E_S6_EEDaPvRmT3_T4_T5_mT6_P12ihipStream_tbENKUlT_T0_E_clISt17integral_constantIbLb0EESY_EEDaST_SU_EUlST_E0_NS1_11comp_targetILNS1_3genE2ELNS1_11target_archE906ELNS1_3gpuE6ELNS1_3repE0EEENS1_30default_config_static_selectorELNS0_4arch9wavefront6targetE0EEEvT1_
; %bb.0:
	.section	.rodata,"a",@progbits
	.p2align	6, 0x0
	.amdhsa_kernel _ZN7rocprim17ROCPRIM_400000_NS6detail17trampoline_kernelINS0_14default_configENS1_20scan_config_selectorIN3c104HalfEEEZZNS1_9scan_implILNS1_25lookback_scan_determinismE0ELb0ELb0ES3_PKS6_PS6_S6_ZZZN2at6native31launch_logcumsumexp_cuda_kernelERKNSD_10TensorBaseESH_lENKUlvE_clEvENKUlvE3_clEvEUlS6_S6_E_S6_EEDaPvRmT3_T4_T5_mT6_P12ihipStream_tbENKUlT_T0_E_clISt17integral_constantIbLb0EESY_EEDaST_SU_EUlST_E0_NS1_11comp_targetILNS1_3genE2ELNS1_11target_archE906ELNS1_3gpuE6ELNS1_3repE0EEENS1_30default_config_static_selectorELNS0_4arch9wavefront6targetE0EEEvT1_
		.amdhsa_group_segment_fixed_size 0
		.amdhsa_private_segment_fixed_size 0
		.amdhsa_kernarg_size 32
		.amdhsa_user_sgpr_count 15
		.amdhsa_user_sgpr_dispatch_ptr 0
		.amdhsa_user_sgpr_queue_ptr 0
		.amdhsa_user_sgpr_kernarg_segment_ptr 1
		.amdhsa_user_sgpr_dispatch_id 0
		.amdhsa_user_sgpr_private_segment_size 0
		.amdhsa_wavefront_size32 1
		.amdhsa_uses_dynamic_stack 0
		.amdhsa_enable_private_segment 0
		.amdhsa_system_sgpr_workgroup_id_x 1
		.amdhsa_system_sgpr_workgroup_id_y 0
		.amdhsa_system_sgpr_workgroup_id_z 0
		.amdhsa_system_sgpr_workgroup_info 0
		.amdhsa_system_vgpr_workitem_id 0
		.amdhsa_next_free_vgpr 1
		.amdhsa_next_free_sgpr 1
		.amdhsa_reserve_vcc 0
		.amdhsa_float_round_mode_32 0
		.amdhsa_float_round_mode_16_64 0
		.amdhsa_float_denorm_mode_32 3
		.amdhsa_float_denorm_mode_16_64 3
		.amdhsa_dx10_clamp 1
		.amdhsa_ieee_mode 1
		.amdhsa_fp16_overflow 0
		.amdhsa_workgroup_processor_mode 1
		.amdhsa_memory_ordered 1
		.amdhsa_forward_progress 0
		.amdhsa_shared_vgpr_count 0
		.amdhsa_exception_fp_ieee_invalid_op 0
		.amdhsa_exception_fp_denorm_src 0
		.amdhsa_exception_fp_ieee_div_zero 0
		.amdhsa_exception_fp_ieee_overflow 0
		.amdhsa_exception_fp_ieee_underflow 0
		.amdhsa_exception_fp_ieee_inexact 0
		.amdhsa_exception_int_div_zero 0
	.end_amdhsa_kernel
	.section	.text._ZN7rocprim17ROCPRIM_400000_NS6detail17trampoline_kernelINS0_14default_configENS1_20scan_config_selectorIN3c104HalfEEEZZNS1_9scan_implILNS1_25lookback_scan_determinismE0ELb0ELb0ES3_PKS6_PS6_S6_ZZZN2at6native31launch_logcumsumexp_cuda_kernelERKNSD_10TensorBaseESH_lENKUlvE_clEvENKUlvE3_clEvEUlS6_S6_E_S6_EEDaPvRmT3_T4_T5_mT6_P12ihipStream_tbENKUlT_T0_E_clISt17integral_constantIbLb0EESY_EEDaST_SU_EUlST_E0_NS1_11comp_targetILNS1_3genE2ELNS1_11target_archE906ELNS1_3gpuE6ELNS1_3repE0EEENS1_30default_config_static_selectorELNS0_4arch9wavefront6targetE0EEEvT1_,"axG",@progbits,_ZN7rocprim17ROCPRIM_400000_NS6detail17trampoline_kernelINS0_14default_configENS1_20scan_config_selectorIN3c104HalfEEEZZNS1_9scan_implILNS1_25lookback_scan_determinismE0ELb0ELb0ES3_PKS6_PS6_S6_ZZZN2at6native31launch_logcumsumexp_cuda_kernelERKNSD_10TensorBaseESH_lENKUlvE_clEvENKUlvE3_clEvEUlS6_S6_E_S6_EEDaPvRmT3_T4_T5_mT6_P12ihipStream_tbENKUlT_T0_E_clISt17integral_constantIbLb0EESY_EEDaST_SU_EUlST_E0_NS1_11comp_targetILNS1_3genE2ELNS1_11target_archE906ELNS1_3gpuE6ELNS1_3repE0EEENS1_30default_config_static_selectorELNS0_4arch9wavefront6targetE0EEEvT1_,comdat
.Lfunc_end377:
	.size	_ZN7rocprim17ROCPRIM_400000_NS6detail17trampoline_kernelINS0_14default_configENS1_20scan_config_selectorIN3c104HalfEEEZZNS1_9scan_implILNS1_25lookback_scan_determinismE0ELb0ELb0ES3_PKS6_PS6_S6_ZZZN2at6native31launch_logcumsumexp_cuda_kernelERKNSD_10TensorBaseESH_lENKUlvE_clEvENKUlvE3_clEvEUlS6_S6_E_S6_EEDaPvRmT3_T4_T5_mT6_P12ihipStream_tbENKUlT_T0_E_clISt17integral_constantIbLb0EESY_EEDaST_SU_EUlST_E0_NS1_11comp_targetILNS1_3genE2ELNS1_11target_archE906ELNS1_3gpuE6ELNS1_3repE0EEENS1_30default_config_static_selectorELNS0_4arch9wavefront6targetE0EEEvT1_, .Lfunc_end377-_ZN7rocprim17ROCPRIM_400000_NS6detail17trampoline_kernelINS0_14default_configENS1_20scan_config_selectorIN3c104HalfEEEZZNS1_9scan_implILNS1_25lookback_scan_determinismE0ELb0ELb0ES3_PKS6_PS6_S6_ZZZN2at6native31launch_logcumsumexp_cuda_kernelERKNSD_10TensorBaseESH_lENKUlvE_clEvENKUlvE3_clEvEUlS6_S6_E_S6_EEDaPvRmT3_T4_T5_mT6_P12ihipStream_tbENKUlT_T0_E_clISt17integral_constantIbLb0EESY_EEDaST_SU_EUlST_E0_NS1_11comp_targetILNS1_3genE2ELNS1_11target_archE906ELNS1_3gpuE6ELNS1_3repE0EEENS1_30default_config_static_selectorELNS0_4arch9wavefront6targetE0EEEvT1_
                                        ; -- End function
	.section	.AMDGPU.csdata,"",@progbits
; Kernel info:
; codeLenInByte = 0
; NumSgprs: 0
; NumVgprs: 0
; ScratchSize: 0
; MemoryBound: 0
; FloatMode: 240
; IeeeMode: 1
; LDSByteSize: 0 bytes/workgroup (compile time only)
; SGPRBlocks: 0
; VGPRBlocks: 0
; NumSGPRsForWavesPerEU: 1
; NumVGPRsForWavesPerEU: 1
; Occupancy: 16
; WaveLimiterHint : 0
; COMPUTE_PGM_RSRC2:SCRATCH_EN: 0
; COMPUTE_PGM_RSRC2:USER_SGPR: 15
; COMPUTE_PGM_RSRC2:TRAP_HANDLER: 0
; COMPUTE_PGM_RSRC2:TGID_X_EN: 1
; COMPUTE_PGM_RSRC2:TGID_Y_EN: 0
; COMPUTE_PGM_RSRC2:TGID_Z_EN: 0
; COMPUTE_PGM_RSRC2:TIDIG_COMP_CNT: 0
	.section	.text._ZN7rocprim17ROCPRIM_400000_NS6detail17trampoline_kernelINS0_14default_configENS1_20scan_config_selectorIN3c104HalfEEEZZNS1_9scan_implILNS1_25lookback_scan_determinismE0ELb0ELb0ES3_PKS6_PS6_S6_ZZZN2at6native31launch_logcumsumexp_cuda_kernelERKNSD_10TensorBaseESH_lENKUlvE_clEvENKUlvE3_clEvEUlS6_S6_E_S6_EEDaPvRmT3_T4_T5_mT6_P12ihipStream_tbENKUlT_T0_E_clISt17integral_constantIbLb0EESY_EEDaST_SU_EUlST_E0_NS1_11comp_targetILNS1_3genE10ELNS1_11target_archE1201ELNS1_3gpuE5ELNS1_3repE0EEENS1_30default_config_static_selectorELNS0_4arch9wavefront6targetE0EEEvT1_,"axG",@progbits,_ZN7rocprim17ROCPRIM_400000_NS6detail17trampoline_kernelINS0_14default_configENS1_20scan_config_selectorIN3c104HalfEEEZZNS1_9scan_implILNS1_25lookback_scan_determinismE0ELb0ELb0ES3_PKS6_PS6_S6_ZZZN2at6native31launch_logcumsumexp_cuda_kernelERKNSD_10TensorBaseESH_lENKUlvE_clEvENKUlvE3_clEvEUlS6_S6_E_S6_EEDaPvRmT3_T4_T5_mT6_P12ihipStream_tbENKUlT_T0_E_clISt17integral_constantIbLb0EESY_EEDaST_SU_EUlST_E0_NS1_11comp_targetILNS1_3genE10ELNS1_11target_archE1201ELNS1_3gpuE5ELNS1_3repE0EEENS1_30default_config_static_selectorELNS0_4arch9wavefront6targetE0EEEvT1_,comdat
	.globl	_ZN7rocprim17ROCPRIM_400000_NS6detail17trampoline_kernelINS0_14default_configENS1_20scan_config_selectorIN3c104HalfEEEZZNS1_9scan_implILNS1_25lookback_scan_determinismE0ELb0ELb0ES3_PKS6_PS6_S6_ZZZN2at6native31launch_logcumsumexp_cuda_kernelERKNSD_10TensorBaseESH_lENKUlvE_clEvENKUlvE3_clEvEUlS6_S6_E_S6_EEDaPvRmT3_T4_T5_mT6_P12ihipStream_tbENKUlT_T0_E_clISt17integral_constantIbLb0EESY_EEDaST_SU_EUlST_E0_NS1_11comp_targetILNS1_3genE10ELNS1_11target_archE1201ELNS1_3gpuE5ELNS1_3repE0EEENS1_30default_config_static_selectorELNS0_4arch9wavefront6targetE0EEEvT1_ ; -- Begin function _ZN7rocprim17ROCPRIM_400000_NS6detail17trampoline_kernelINS0_14default_configENS1_20scan_config_selectorIN3c104HalfEEEZZNS1_9scan_implILNS1_25lookback_scan_determinismE0ELb0ELb0ES3_PKS6_PS6_S6_ZZZN2at6native31launch_logcumsumexp_cuda_kernelERKNSD_10TensorBaseESH_lENKUlvE_clEvENKUlvE3_clEvEUlS6_S6_E_S6_EEDaPvRmT3_T4_T5_mT6_P12ihipStream_tbENKUlT_T0_E_clISt17integral_constantIbLb0EESY_EEDaST_SU_EUlST_E0_NS1_11comp_targetILNS1_3genE10ELNS1_11target_archE1201ELNS1_3gpuE5ELNS1_3repE0EEENS1_30default_config_static_selectorELNS0_4arch9wavefront6targetE0EEEvT1_
	.p2align	8
	.type	_ZN7rocprim17ROCPRIM_400000_NS6detail17trampoline_kernelINS0_14default_configENS1_20scan_config_selectorIN3c104HalfEEEZZNS1_9scan_implILNS1_25lookback_scan_determinismE0ELb0ELb0ES3_PKS6_PS6_S6_ZZZN2at6native31launch_logcumsumexp_cuda_kernelERKNSD_10TensorBaseESH_lENKUlvE_clEvENKUlvE3_clEvEUlS6_S6_E_S6_EEDaPvRmT3_T4_T5_mT6_P12ihipStream_tbENKUlT_T0_E_clISt17integral_constantIbLb0EESY_EEDaST_SU_EUlST_E0_NS1_11comp_targetILNS1_3genE10ELNS1_11target_archE1201ELNS1_3gpuE5ELNS1_3repE0EEENS1_30default_config_static_selectorELNS0_4arch9wavefront6targetE0EEEvT1_,@function
_ZN7rocprim17ROCPRIM_400000_NS6detail17trampoline_kernelINS0_14default_configENS1_20scan_config_selectorIN3c104HalfEEEZZNS1_9scan_implILNS1_25lookback_scan_determinismE0ELb0ELb0ES3_PKS6_PS6_S6_ZZZN2at6native31launch_logcumsumexp_cuda_kernelERKNSD_10TensorBaseESH_lENKUlvE_clEvENKUlvE3_clEvEUlS6_S6_E_S6_EEDaPvRmT3_T4_T5_mT6_P12ihipStream_tbENKUlT_T0_E_clISt17integral_constantIbLb0EESY_EEDaST_SU_EUlST_E0_NS1_11comp_targetILNS1_3genE10ELNS1_11target_archE1201ELNS1_3gpuE5ELNS1_3repE0EEENS1_30default_config_static_selectorELNS0_4arch9wavefront6targetE0EEEvT1_: ; @_ZN7rocprim17ROCPRIM_400000_NS6detail17trampoline_kernelINS0_14default_configENS1_20scan_config_selectorIN3c104HalfEEEZZNS1_9scan_implILNS1_25lookback_scan_determinismE0ELb0ELb0ES3_PKS6_PS6_S6_ZZZN2at6native31launch_logcumsumexp_cuda_kernelERKNSD_10TensorBaseESH_lENKUlvE_clEvENKUlvE3_clEvEUlS6_S6_E_S6_EEDaPvRmT3_T4_T5_mT6_P12ihipStream_tbENKUlT_T0_E_clISt17integral_constantIbLb0EESY_EEDaST_SU_EUlST_E0_NS1_11comp_targetILNS1_3genE10ELNS1_11target_archE1201ELNS1_3gpuE5ELNS1_3repE0EEENS1_30default_config_static_selectorELNS0_4arch9wavefront6targetE0EEEvT1_
; %bb.0:
	.section	.rodata,"a",@progbits
	.p2align	6, 0x0
	.amdhsa_kernel _ZN7rocprim17ROCPRIM_400000_NS6detail17trampoline_kernelINS0_14default_configENS1_20scan_config_selectorIN3c104HalfEEEZZNS1_9scan_implILNS1_25lookback_scan_determinismE0ELb0ELb0ES3_PKS6_PS6_S6_ZZZN2at6native31launch_logcumsumexp_cuda_kernelERKNSD_10TensorBaseESH_lENKUlvE_clEvENKUlvE3_clEvEUlS6_S6_E_S6_EEDaPvRmT3_T4_T5_mT6_P12ihipStream_tbENKUlT_T0_E_clISt17integral_constantIbLb0EESY_EEDaST_SU_EUlST_E0_NS1_11comp_targetILNS1_3genE10ELNS1_11target_archE1201ELNS1_3gpuE5ELNS1_3repE0EEENS1_30default_config_static_selectorELNS0_4arch9wavefront6targetE0EEEvT1_
		.amdhsa_group_segment_fixed_size 0
		.amdhsa_private_segment_fixed_size 0
		.amdhsa_kernarg_size 32
		.amdhsa_user_sgpr_count 15
		.amdhsa_user_sgpr_dispatch_ptr 0
		.amdhsa_user_sgpr_queue_ptr 0
		.amdhsa_user_sgpr_kernarg_segment_ptr 1
		.amdhsa_user_sgpr_dispatch_id 0
		.amdhsa_user_sgpr_private_segment_size 0
		.amdhsa_wavefront_size32 1
		.amdhsa_uses_dynamic_stack 0
		.amdhsa_enable_private_segment 0
		.amdhsa_system_sgpr_workgroup_id_x 1
		.amdhsa_system_sgpr_workgroup_id_y 0
		.amdhsa_system_sgpr_workgroup_id_z 0
		.amdhsa_system_sgpr_workgroup_info 0
		.amdhsa_system_vgpr_workitem_id 0
		.amdhsa_next_free_vgpr 1
		.amdhsa_next_free_sgpr 1
		.amdhsa_reserve_vcc 0
		.amdhsa_float_round_mode_32 0
		.amdhsa_float_round_mode_16_64 0
		.amdhsa_float_denorm_mode_32 3
		.amdhsa_float_denorm_mode_16_64 3
		.amdhsa_dx10_clamp 1
		.amdhsa_ieee_mode 1
		.amdhsa_fp16_overflow 0
		.amdhsa_workgroup_processor_mode 1
		.amdhsa_memory_ordered 1
		.amdhsa_forward_progress 0
		.amdhsa_shared_vgpr_count 0
		.amdhsa_exception_fp_ieee_invalid_op 0
		.amdhsa_exception_fp_denorm_src 0
		.amdhsa_exception_fp_ieee_div_zero 0
		.amdhsa_exception_fp_ieee_overflow 0
		.amdhsa_exception_fp_ieee_underflow 0
		.amdhsa_exception_fp_ieee_inexact 0
		.amdhsa_exception_int_div_zero 0
	.end_amdhsa_kernel
	.section	.text._ZN7rocprim17ROCPRIM_400000_NS6detail17trampoline_kernelINS0_14default_configENS1_20scan_config_selectorIN3c104HalfEEEZZNS1_9scan_implILNS1_25lookback_scan_determinismE0ELb0ELb0ES3_PKS6_PS6_S6_ZZZN2at6native31launch_logcumsumexp_cuda_kernelERKNSD_10TensorBaseESH_lENKUlvE_clEvENKUlvE3_clEvEUlS6_S6_E_S6_EEDaPvRmT3_T4_T5_mT6_P12ihipStream_tbENKUlT_T0_E_clISt17integral_constantIbLb0EESY_EEDaST_SU_EUlST_E0_NS1_11comp_targetILNS1_3genE10ELNS1_11target_archE1201ELNS1_3gpuE5ELNS1_3repE0EEENS1_30default_config_static_selectorELNS0_4arch9wavefront6targetE0EEEvT1_,"axG",@progbits,_ZN7rocprim17ROCPRIM_400000_NS6detail17trampoline_kernelINS0_14default_configENS1_20scan_config_selectorIN3c104HalfEEEZZNS1_9scan_implILNS1_25lookback_scan_determinismE0ELb0ELb0ES3_PKS6_PS6_S6_ZZZN2at6native31launch_logcumsumexp_cuda_kernelERKNSD_10TensorBaseESH_lENKUlvE_clEvENKUlvE3_clEvEUlS6_S6_E_S6_EEDaPvRmT3_T4_T5_mT6_P12ihipStream_tbENKUlT_T0_E_clISt17integral_constantIbLb0EESY_EEDaST_SU_EUlST_E0_NS1_11comp_targetILNS1_3genE10ELNS1_11target_archE1201ELNS1_3gpuE5ELNS1_3repE0EEENS1_30default_config_static_selectorELNS0_4arch9wavefront6targetE0EEEvT1_,comdat
.Lfunc_end378:
	.size	_ZN7rocprim17ROCPRIM_400000_NS6detail17trampoline_kernelINS0_14default_configENS1_20scan_config_selectorIN3c104HalfEEEZZNS1_9scan_implILNS1_25lookback_scan_determinismE0ELb0ELb0ES3_PKS6_PS6_S6_ZZZN2at6native31launch_logcumsumexp_cuda_kernelERKNSD_10TensorBaseESH_lENKUlvE_clEvENKUlvE3_clEvEUlS6_S6_E_S6_EEDaPvRmT3_T4_T5_mT6_P12ihipStream_tbENKUlT_T0_E_clISt17integral_constantIbLb0EESY_EEDaST_SU_EUlST_E0_NS1_11comp_targetILNS1_3genE10ELNS1_11target_archE1201ELNS1_3gpuE5ELNS1_3repE0EEENS1_30default_config_static_selectorELNS0_4arch9wavefront6targetE0EEEvT1_, .Lfunc_end378-_ZN7rocprim17ROCPRIM_400000_NS6detail17trampoline_kernelINS0_14default_configENS1_20scan_config_selectorIN3c104HalfEEEZZNS1_9scan_implILNS1_25lookback_scan_determinismE0ELb0ELb0ES3_PKS6_PS6_S6_ZZZN2at6native31launch_logcumsumexp_cuda_kernelERKNSD_10TensorBaseESH_lENKUlvE_clEvENKUlvE3_clEvEUlS6_S6_E_S6_EEDaPvRmT3_T4_T5_mT6_P12ihipStream_tbENKUlT_T0_E_clISt17integral_constantIbLb0EESY_EEDaST_SU_EUlST_E0_NS1_11comp_targetILNS1_3genE10ELNS1_11target_archE1201ELNS1_3gpuE5ELNS1_3repE0EEENS1_30default_config_static_selectorELNS0_4arch9wavefront6targetE0EEEvT1_
                                        ; -- End function
	.section	.AMDGPU.csdata,"",@progbits
; Kernel info:
; codeLenInByte = 0
; NumSgprs: 0
; NumVgprs: 0
; ScratchSize: 0
; MemoryBound: 0
; FloatMode: 240
; IeeeMode: 1
; LDSByteSize: 0 bytes/workgroup (compile time only)
; SGPRBlocks: 0
; VGPRBlocks: 0
; NumSGPRsForWavesPerEU: 1
; NumVGPRsForWavesPerEU: 1
; Occupancy: 16
; WaveLimiterHint : 0
; COMPUTE_PGM_RSRC2:SCRATCH_EN: 0
; COMPUTE_PGM_RSRC2:USER_SGPR: 15
; COMPUTE_PGM_RSRC2:TRAP_HANDLER: 0
; COMPUTE_PGM_RSRC2:TGID_X_EN: 1
; COMPUTE_PGM_RSRC2:TGID_Y_EN: 0
; COMPUTE_PGM_RSRC2:TGID_Z_EN: 0
; COMPUTE_PGM_RSRC2:TIDIG_COMP_CNT: 0
	.section	.text._ZN7rocprim17ROCPRIM_400000_NS6detail17trampoline_kernelINS0_14default_configENS1_20scan_config_selectorIN3c104HalfEEEZZNS1_9scan_implILNS1_25lookback_scan_determinismE0ELb0ELb0ES3_PKS6_PS6_S6_ZZZN2at6native31launch_logcumsumexp_cuda_kernelERKNSD_10TensorBaseESH_lENKUlvE_clEvENKUlvE3_clEvEUlS6_S6_E_S6_EEDaPvRmT3_T4_T5_mT6_P12ihipStream_tbENKUlT_T0_E_clISt17integral_constantIbLb0EESY_EEDaST_SU_EUlST_E0_NS1_11comp_targetILNS1_3genE10ELNS1_11target_archE1200ELNS1_3gpuE4ELNS1_3repE0EEENS1_30default_config_static_selectorELNS0_4arch9wavefront6targetE0EEEvT1_,"axG",@progbits,_ZN7rocprim17ROCPRIM_400000_NS6detail17trampoline_kernelINS0_14default_configENS1_20scan_config_selectorIN3c104HalfEEEZZNS1_9scan_implILNS1_25lookback_scan_determinismE0ELb0ELb0ES3_PKS6_PS6_S6_ZZZN2at6native31launch_logcumsumexp_cuda_kernelERKNSD_10TensorBaseESH_lENKUlvE_clEvENKUlvE3_clEvEUlS6_S6_E_S6_EEDaPvRmT3_T4_T5_mT6_P12ihipStream_tbENKUlT_T0_E_clISt17integral_constantIbLb0EESY_EEDaST_SU_EUlST_E0_NS1_11comp_targetILNS1_3genE10ELNS1_11target_archE1200ELNS1_3gpuE4ELNS1_3repE0EEENS1_30default_config_static_selectorELNS0_4arch9wavefront6targetE0EEEvT1_,comdat
	.globl	_ZN7rocprim17ROCPRIM_400000_NS6detail17trampoline_kernelINS0_14default_configENS1_20scan_config_selectorIN3c104HalfEEEZZNS1_9scan_implILNS1_25lookback_scan_determinismE0ELb0ELb0ES3_PKS6_PS6_S6_ZZZN2at6native31launch_logcumsumexp_cuda_kernelERKNSD_10TensorBaseESH_lENKUlvE_clEvENKUlvE3_clEvEUlS6_S6_E_S6_EEDaPvRmT3_T4_T5_mT6_P12ihipStream_tbENKUlT_T0_E_clISt17integral_constantIbLb0EESY_EEDaST_SU_EUlST_E0_NS1_11comp_targetILNS1_3genE10ELNS1_11target_archE1200ELNS1_3gpuE4ELNS1_3repE0EEENS1_30default_config_static_selectorELNS0_4arch9wavefront6targetE0EEEvT1_ ; -- Begin function _ZN7rocprim17ROCPRIM_400000_NS6detail17trampoline_kernelINS0_14default_configENS1_20scan_config_selectorIN3c104HalfEEEZZNS1_9scan_implILNS1_25lookback_scan_determinismE0ELb0ELb0ES3_PKS6_PS6_S6_ZZZN2at6native31launch_logcumsumexp_cuda_kernelERKNSD_10TensorBaseESH_lENKUlvE_clEvENKUlvE3_clEvEUlS6_S6_E_S6_EEDaPvRmT3_T4_T5_mT6_P12ihipStream_tbENKUlT_T0_E_clISt17integral_constantIbLb0EESY_EEDaST_SU_EUlST_E0_NS1_11comp_targetILNS1_3genE10ELNS1_11target_archE1200ELNS1_3gpuE4ELNS1_3repE0EEENS1_30default_config_static_selectorELNS0_4arch9wavefront6targetE0EEEvT1_
	.p2align	8
	.type	_ZN7rocprim17ROCPRIM_400000_NS6detail17trampoline_kernelINS0_14default_configENS1_20scan_config_selectorIN3c104HalfEEEZZNS1_9scan_implILNS1_25lookback_scan_determinismE0ELb0ELb0ES3_PKS6_PS6_S6_ZZZN2at6native31launch_logcumsumexp_cuda_kernelERKNSD_10TensorBaseESH_lENKUlvE_clEvENKUlvE3_clEvEUlS6_S6_E_S6_EEDaPvRmT3_T4_T5_mT6_P12ihipStream_tbENKUlT_T0_E_clISt17integral_constantIbLb0EESY_EEDaST_SU_EUlST_E0_NS1_11comp_targetILNS1_3genE10ELNS1_11target_archE1200ELNS1_3gpuE4ELNS1_3repE0EEENS1_30default_config_static_selectorELNS0_4arch9wavefront6targetE0EEEvT1_,@function
_ZN7rocprim17ROCPRIM_400000_NS6detail17trampoline_kernelINS0_14default_configENS1_20scan_config_selectorIN3c104HalfEEEZZNS1_9scan_implILNS1_25lookback_scan_determinismE0ELb0ELb0ES3_PKS6_PS6_S6_ZZZN2at6native31launch_logcumsumexp_cuda_kernelERKNSD_10TensorBaseESH_lENKUlvE_clEvENKUlvE3_clEvEUlS6_S6_E_S6_EEDaPvRmT3_T4_T5_mT6_P12ihipStream_tbENKUlT_T0_E_clISt17integral_constantIbLb0EESY_EEDaST_SU_EUlST_E0_NS1_11comp_targetILNS1_3genE10ELNS1_11target_archE1200ELNS1_3gpuE4ELNS1_3repE0EEENS1_30default_config_static_selectorELNS0_4arch9wavefront6targetE0EEEvT1_: ; @_ZN7rocprim17ROCPRIM_400000_NS6detail17trampoline_kernelINS0_14default_configENS1_20scan_config_selectorIN3c104HalfEEEZZNS1_9scan_implILNS1_25lookback_scan_determinismE0ELb0ELb0ES3_PKS6_PS6_S6_ZZZN2at6native31launch_logcumsumexp_cuda_kernelERKNSD_10TensorBaseESH_lENKUlvE_clEvENKUlvE3_clEvEUlS6_S6_E_S6_EEDaPvRmT3_T4_T5_mT6_P12ihipStream_tbENKUlT_T0_E_clISt17integral_constantIbLb0EESY_EEDaST_SU_EUlST_E0_NS1_11comp_targetILNS1_3genE10ELNS1_11target_archE1200ELNS1_3gpuE4ELNS1_3repE0EEENS1_30default_config_static_selectorELNS0_4arch9wavefront6targetE0EEEvT1_
; %bb.0:
	.section	.rodata,"a",@progbits
	.p2align	6, 0x0
	.amdhsa_kernel _ZN7rocprim17ROCPRIM_400000_NS6detail17trampoline_kernelINS0_14default_configENS1_20scan_config_selectorIN3c104HalfEEEZZNS1_9scan_implILNS1_25lookback_scan_determinismE0ELb0ELb0ES3_PKS6_PS6_S6_ZZZN2at6native31launch_logcumsumexp_cuda_kernelERKNSD_10TensorBaseESH_lENKUlvE_clEvENKUlvE3_clEvEUlS6_S6_E_S6_EEDaPvRmT3_T4_T5_mT6_P12ihipStream_tbENKUlT_T0_E_clISt17integral_constantIbLb0EESY_EEDaST_SU_EUlST_E0_NS1_11comp_targetILNS1_3genE10ELNS1_11target_archE1200ELNS1_3gpuE4ELNS1_3repE0EEENS1_30default_config_static_selectorELNS0_4arch9wavefront6targetE0EEEvT1_
		.amdhsa_group_segment_fixed_size 0
		.amdhsa_private_segment_fixed_size 0
		.amdhsa_kernarg_size 32
		.amdhsa_user_sgpr_count 15
		.amdhsa_user_sgpr_dispatch_ptr 0
		.amdhsa_user_sgpr_queue_ptr 0
		.amdhsa_user_sgpr_kernarg_segment_ptr 1
		.amdhsa_user_sgpr_dispatch_id 0
		.amdhsa_user_sgpr_private_segment_size 0
		.amdhsa_wavefront_size32 1
		.amdhsa_uses_dynamic_stack 0
		.amdhsa_enable_private_segment 0
		.amdhsa_system_sgpr_workgroup_id_x 1
		.amdhsa_system_sgpr_workgroup_id_y 0
		.amdhsa_system_sgpr_workgroup_id_z 0
		.amdhsa_system_sgpr_workgroup_info 0
		.amdhsa_system_vgpr_workitem_id 0
		.amdhsa_next_free_vgpr 1
		.amdhsa_next_free_sgpr 1
		.amdhsa_reserve_vcc 0
		.amdhsa_float_round_mode_32 0
		.amdhsa_float_round_mode_16_64 0
		.amdhsa_float_denorm_mode_32 3
		.amdhsa_float_denorm_mode_16_64 3
		.amdhsa_dx10_clamp 1
		.amdhsa_ieee_mode 1
		.amdhsa_fp16_overflow 0
		.amdhsa_workgroup_processor_mode 1
		.amdhsa_memory_ordered 1
		.amdhsa_forward_progress 0
		.amdhsa_shared_vgpr_count 0
		.amdhsa_exception_fp_ieee_invalid_op 0
		.amdhsa_exception_fp_denorm_src 0
		.amdhsa_exception_fp_ieee_div_zero 0
		.amdhsa_exception_fp_ieee_overflow 0
		.amdhsa_exception_fp_ieee_underflow 0
		.amdhsa_exception_fp_ieee_inexact 0
		.amdhsa_exception_int_div_zero 0
	.end_amdhsa_kernel
	.section	.text._ZN7rocprim17ROCPRIM_400000_NS6detail17trampoline_kernelINS0_14default_configENS1_20scan_config_selectorIN3c104HalfEEEZZNS1_9scan_implILNS1_25lookback_scan_determinismE0ELb0ELb0ES3_PKS6_PS6_S6_ZZZN2at6native31launch_logcumsumexp_cuda_kernelERKNSD_10TensorBaseESH_lENKUlvE_clEvENKUlvE3_clEvEUlS6_S6_E_S6_EEDaPvRmT3_T4_T5_mT6_P12ihipStream_tbENKUlT_T0_E_clISt17integral_constantIbLb0EESY_EEDaST_SU_EUlST_E0_NS1_11comp_targetILNS1_3genE10ELNS1_11target_archE1200ELNS1_3gpuE4ELNS1_3repE0EEENS1_30default_config_static_selectorELNS0_4arch9wavefront6targetE0EEEvT1_,"axG",@progbits,_ZN7rocprim17ROCPRIM_400000_NS6detail17trampoline_kernelINS0_14default_configENS1_20scan_config_selectorIN3c104HalfEEEZZNS1_9scan_implILNS1_25lookback_scan_determinismE0ELb0ELb0ES3_PKS6_PS6_S6_ZZZN2at6native31launch_logcumsumexp_cuda_kernelERKNSD_10TensorBaseESH_lENKUlvE_clEvENKUlvE3_clEvEUlS6_S6_E_S6_EEDaPvRmT3_T4_T5_mT6_P12ihipStream_tbENKUlT_T0_E_clISt17integral_constantIbLb0EESY_EEDaST_SU_EUlST_E0_NS1_11comp_targetILNS1_3genE10ELNS1_11target_archE1200ELNS1_3gpuE4ELNS1_3repE0EEENS1_30default_config_static_selectorELNS0_4arch9wavefront6targetE0EEEvT1_,comdat
.Lfunc_end379:
	.size	_ZN7rocprim17ROCPRIM_400000_NS6detail17trampoline_kernelINS0_14default_configENS1_20scan_config_selectorIN3c104HalfEEEZZNS1_9scan_implILNS1_25lookback_scan_determinismE0ELb0ELb0ES3_PKS6_PS6_S6_ZZZN2at6native31launch_logcumsumexp_cuda_kernelERKNSD_10TensorBaseESH_lENKUlvE_clEvENKUlvE3_clEvEUlS6_S6_E_S6_EEDaPvRmT3_T4_T5_mT6_P12ihipStream_tbENKUlT_T0_E_clISt17integral_constantIbLb0EESY_EEDaST_SU_EUlST_E0_NS1_11comp_targetILNS1_3genE10ELNS1_11target_archE1200ELNS1_3gpuE4ELNS1_3repE0EEENS1_30default_config_static_selectorELNS0_4arch9wavefront6targetE0EEEvT1_, .Lfunc_end379-_ZN7rocprim17ROCPRIM_400000_NS6detail17trampoline_kernelINS0_14default_configENS1_20scan_config_selectorIN3c104HalfEEEZZNS1_9scan_implILNS1_25lookback_scan_determinismE0ELb0ELb0ES3_PKS6_PS6_S6_ZZZN2at6native31launch_logcumsumexp_cuda_kernelERKNSD_10TensorBaseESH_lENKUlvE_clEvENKUlvE3_clEvEUlS6_S6_E_S6_EEDaPvRmT3_T4_T5_mT6_P12ihipStream_tbENKUlT_T0_E_clISt17integral_constantIbLb0EESY_EEDaST_SU_EUlST_E0_NS1_11comp_targetILNS1_3genE10ELNS1_11target_archE1200ELNS1_3gpuE4ELNS1_3repE0EEENS1_30default_config_static_selectorELNS0_4arch9wavefront6targetE0EEEvT1_
                                        ; -- End function
	.section	.AMDGPU.csdata,"",@progbits
; Kernel info:
; codeLenInByte = 0
; NumSgprs: 0
; NumVgprs: 0
; ScratchSize: 0
; MemoryBound: 0
; FloatMode: 240
; IeeeMode: 1
; LDSByteSize: 0 bytes/workgroup (compile time only)
; SGPRBlocks: 0
; VGPRBlocks: 0
; NumSGPRsForWavesPerEU: 1
; NumVGPRsForWavesPerEU: 1
; Occupancy: 16
; WaveLimiterHint : 0
; COMPUTE_PGM_RSRC2:SCRATCH_EN: 0
; COMPUTE_PGM_RSRC2:USER_SGPR: 15
; COMPUTE_PGM_RSRC2:TRAP_HANDLER: 0
; COMPUTE_PGM_RSRC2:TGID_X_EN: 1
; COMPUTE_PGM_RSRC2:TGID_Y_EN: 0
; COMPUTE_PGM_RSRC2:TGID_Z_EN: 0
; COMPUTE_PGM_RSRC2:TIDIG_COMP_CNT: 0
	.section	.text._ZN7rocprim17ROCPRIM_400000_NS6detail17trampoline_kernelINS0_14default_configENS1_20scan_config_selectorIN3c104HalfEEEZZNS1_9scan_implILNS1_25lookback_scan_determinismE0ELb0ELb0ES3_PKS6_PS6_S6_ZZZN2at6native31launch_logcumsumexp_cuda_kernelERKNSD_10TensorBaseESH_lENKUlvE_clEvENKUlvE3_clEvEUlS6_S6_E_S6_EEDaPvRmT3_T4_T5_mT6_P12ihipStream_tbENKUlT_T0_E_clISt17integral_constantIbLb0EESY_EEDaST_SU_EUlST_E0_NS1_11comp_targetILNS1_3genE9ELNS1_11target_archE1100ELNS1_3gpuE3ELNS1_3repE0EEENS1_30default_config_static_selectorELNS0_4arch9wavefront6targetE0EEEvT1_,"axG",@progbits,_ZN7rocprim17ROCPRIM_400000_NS6detail17trampoline_kernelINS0_14default_configENS1_20scan_config_selectorIN3c104HalfEEEZZNS1_9scan_implILNS1_25lookback_scan_determinismE0ELb0ELb0ES3_PKS6_PS6_S6_ZZZN2at6native31launch_logcumsumexp_cuda_kernelERKNSD_10TensorBaseESH_lENKUlvE_clEvENKUlvE3_clEvEUlS6_S6_E_S6_EEDaPvRmT3_T4_T5_mT6_P12ihipStream_tbENKUlT_T0_E_clISt17integral_constantIbLb0EESY_EEDaST_SU_EUlST_E0_NS1_11comp_targetILNS1_3genE9ELNS1_11target_archE1100ELNS1_3gpuE3ELNS1_3repE0EEENS1_30default_config_static_selectorELNS0_4arch9wavefront6targetE0EEEvT1_,comdat
	.globl	_ZN7rocprim17ROCPRIM_400000_NS6detail17trampoline_kernelINS0_14default_configENS1_20scan_config_selectorIN3c104HalfEEEZZNS1_9scan_implILNS1_25lookback_scan_determinismE0ELb0ELb0ES3_PKS6_PS6_S6_ZZZN2at6native31launch_logcumsumexp_cuda_kernelERKNSD_10TensorBaseESH_lENKUlvE_clEvENKUlvE3_clEvEUlS6_S6_E_S6_EEDaPvRmT3_T4_T5_mT6_P12ihipStream_tbENKUlT_T0_E_clISt17integral_constantIbLb0EESY_EEDaST_SU_EUlST_E0_NS1_11comp_targetILNS1_3genE9ELNS1_11target_archE1100ELNS1_3gpuE3ELNS1_3repE0EEENS1_30default_config_static_selectorELNS0_4arch9wavefront6targetE0EEEvT1_ ; -- Begin function _ZN7rocprim17ROCPRIM_400000_NS6detail17trampoline_kernelINS0_14default_configENS1_20scan_config_selectorIN3c104HalfEEEZZNS1_9scan_implILNS1_25lookback_scan_determinismE0ELb0ELb0ES3_PKS6_PS6_S6_ZZZN2at6native31launch_logcumsumexp_cuda_kernelERKNSD_10TensorBaseESH_lENKUlvE_clEvENKUlvE3_clEvEUlS6_S6_E_S6_EEDaPvRmT3_T4_T5_mT6_P12ihipStream_tbENKUlT_T0_E_clISt17integral_constantIbLb0EESY_EEDaST_SU_EUlST_E0_NS1_11comp_targetILNS1_3genE9ELNS1_11target_archE1100ELNS1_3gpuE3ELNS1_3repE0EEENS1_30default_config_static_selectorELNS0_4arch9wavefront6targetE0EEEvT1_
	.p2align	8
	.type	_ZN7rocprim17ROCPRIM_400000_NS6detail17trampoline_kernelINS0_14default_configENS1_20scan_config_selectorIN3c104HalfEEEZZNS1_9scan_implILNS1_25lookback_scan_determinismE0ELb0ELb0ES3_PKS6_PS6_S6_ZZZN2at6native31launch_logcumsumexp_cuda_kernelERKNSD_10TensorBaseESH_lENKUlvE_clEvENKUlvE3_clEvEUlS6_S6_E_S6_EEDaPvRmT3_T4_T5_mT6_P12ihipStream_tbENKUlT_T0_E_clISt17integral_constantIbLb0EESY_EEDaST_SU_EUlST_E0_NS1_11comp_targetILNS1_3genE9ELNS1_11target_archE1100ELNS1_3gpuE3ELNS1_3repE0EEENS1_30default_config_static_selectorELNS0_4arch9wavefront6targetE0EEEvT1_,@function
_ZN7rocprim17ROCPRIM_400000_NS6detail17trampoline_kernelINS0_14default_configENS1_20scan_config_selectorIN3c104HalfEEEZZNS1_9scan_implILNS1_25lookback_scan_determinismE0ELb0ELb0ES3_PKS6_PS6_S6_ZZZN2at6native31launch_logcumsumexp_cuda_kernelERKNSD_10TensorBaseESH_lENKUlvE_clEvENKUlvE3_clEvEUlS6_S6_E_S6_EEDaPvRmT3_T4_T5_mT6_P12ihipStream_tbENKUlT_T0_E_clISt17integral_constantIbLb0EESY_EEDaST_SU_EUlST_E0_NS1_11comp_targetILNS1_3genE9ELNS1_11target_archE1100ELNS1_3gpuE3ELNS1_3repE0EEENS1_30default_config_static_selectorELNS0_4arch9wavefront6targetE0EEEvT1_: ; @_ZN7rocprim17ROCPRIM_400000_NS6detail17trampoline_kernelINS0_14default_configENS1_20scan_config_selectorIN3c104HalfEEEZZNS1_9scan_implILNS1_25lookback_scan_determinismE0ELb0ELb0ES3_PKS6_PS6_S6_ZZZN2at6native31launch_logcumsumexp_cuda_kernelERKNSD_10TensorBaseESH_lENKUlvE_clEvENKUlvE3_clEvEUlS6_S6_E_S6_EEDaPvRmT3_T4_T5_mT6_P12ihipStream_tbENKUlT_T0_E_clISt17integral_constantIbLb0EESY_EEDaST_SU_EUlST_E0_NS1_11comp_targetILNS1_3genE9ELNS1_11target_archE1100ELNS1_3gpuE3ELNS1_3repE0EEENS1_30default_config_static_selectorELNS0_4arch9wavefront6targetE0EEEvT1_
; %bb.0:
	s_load_b128 s[24:27], s[0:1], 0x0
	v_dual_mov_b32 v1, 0 :: v_dual_lshlrev_b32 v12, 1, v0
	s_waitcnt lgkmcnt(0)
	global_load_u16 v2, v1, s[24:25]
	v_cmp_gt_u32_e32 vcc_lo, s26, v0
	s_waitcnt vmcnt(0)
	v_mov_b32_e32 v3, v2
	s_and_saveexec_b32 s2, vcc_lo
	s_cbranch_execz .LBB380_2
; %bb.1:
	global_load_u16 v3, v12, s[24:25]
.LBB380_2:
	s_or_b32 exec_lo, exec_lo, s2
	v_or_b32_e32 v1, 64, v0
	v_mov_b32_e32 v4, v2
	s_delay_alu instid0(VALU_DEP_2) | instskip(NEXT) | instid1(VALU_DEP_1)
	v_cmp_gt_u32_e64 s2, s26, v1
	s_and_saveexec_b32 s3, s2
	s_cbranch_execz .LBB380_4
; %bb.3:
	global_load_u16 v4, v12, s[24:25] offset:128
.LBB380_4:
	s_or_b32 exec_lo, exec_lo, s3
	v_or_b32_e32 v1, 0x80, v0
	v_mov_b32_e32 v5, v2
	s_delay_alu instid0(VALU_DEP_2) | instskip(NEXT) | instid1(VALU_DEP_1)
	v_cmp_gt_u32_e64 s3, s26, v1
	s_and_saveexec_b32 s4, s3
	s_cbranch_execz .LBB380_6
; %bb.5:
	global_load_u16 v5, v12, s[24:25] offset:256
.LBB380_6:
	s_or_b32 exec_lo, exec_lo, s4
	v_or_b32_e32 v1, 0xc0, v0
	v_mov_b32_e32 v6, v2
	s_delay_alu instid0(VALU_DEP_2) | instskip(NEXT) | instid1(VALU_DEP_1)
	v_cmp_gt_u32_e64 s4, s26, v1
	s_and_saveexec_b32 s5, s4
	s_cbranch_execz .LBB380_8
; %bb.7:
	global_load_u16 v6, v12, s[24:25] offset:384
.LBB380_8:
	s_or_b32 exec_lo, exec_lo, s5
	v_or_b32_e32 v1, 0x100, v0
	v_mov_b32_e32 v7, v2
	s_delay_alu instid0(VALU_DEP_2) | instskip(NEXT) | instid1(VALU_DEP_1)
	v_cmp_gt_u32_e64 s5, s26, v1
	s_and_saveexec_b32 s6, s5
	s_cbranch_execz .LBB380_10
; %bb.9:
	global_load_u16 v7, v12, s[24:25] offset:512
.LBB380_10:
	s_or_b32 exec_lo, exec_lo, s6
	v_or_b32_e32 v1, 0x140, v0
	v_mov_b32_e32 v8, v2
	s_delay_alu instid0(VALU_DEP_2) | instskip(NEXT) | instid1(VALU_DEP_1)
	v_cmp_gt_u32_e64 s6, s26, v1
	s_and_saveexec_b32 s7, s6
	s_cbranch_execz .LBB380_12
; %bb.11:
	global_load_u16 v8, v12, s[24:25] offset:640
.LBB380_12:
	s_or_b32 exec_lo, exec_lo, s7
	v_or_b32_e32 v1, 0x180, v0
	v_mov_b32_e32 v9, v2
	s_delay_alu instid0(VALU_DEP_2) | instskip(NEXT) | instid1(VALU_DEP_1)
	v_cmp_gt_u32_e64 s7, s26, v1
	s_and_saveexec_b32 s8, s7
	s_cbranch_execz .LBB380_14
; %bb.13:
	global_load_u16 v9, v12, s[24:25] offset:768
.LBB380_14:
	s_or_b32 exec_lo, exec_lo, s8
	v_or_b32_e32 v1, 0x1c0, v0
	v_mov_b32_e32 v10, v2
	s_delay_alu instid0(VALU_DEP_2) | instskip(NEXT) | instid1(VALU_DEP_1)
	v_cmp_gt_u32_e64 s8, s26, v1
	s_and_saveexec_b32 s9, s8
	s_cbranch_execz .LBB380_16
; %bb.15:
	global_load_u16 v10, v12, s[24:25] offset:896
.LBB380_16:
	s_or_b32 exec_lo, exec_lo, s9
	v_or_b32_e32 v1, 0x200, v0
	v_mov_b32_e32 v11, v2
	s_delay_alu instid0(VALU_DEP_2) | instskip(NEXT) | instid1(VALU_DEP_1)
	v_cmp_gt_u32_e64 s9, s26, v1
	s_and_saveexec_b32 s10, s9
	s_cbranch_execz .LBB380_18
; %bb.17:
	global_load_u16 v11, v12, s[24:25] offset:1024
.LBB380_18:
	s_or_b32 exec_lo, exec_lo, s10
	v_or_b32_e32 v1, 0x240, v0
	v_mov_b32_e32 v13, v2
	s_delay_alu instid0(VALU_DEP_2) | instskip(NEXT) | instid1(VALU_DEP_1)
	v_cmp_gt_u32_e64 s10, s26, v1
	s_and_saveexec_b32 s11, s10
	s_cbranch_execz .LBB380_20
; %bb.19:
	global_load_u16 v13, v12, s[24:25] offset:1152
.LBB380_20:
	s_or_b32 exec_lo, exec_lo, s11
	v_or_b32_e32 v1, 0x280, v0
	v_mov_b32_e32 v14, v2
	s_delay_alu instid0(VALU_DEP_2) | instskip(NEXT) | instid1(VALU_DEP_1)
	v_cmp_gt_u32_e64 s11, s26, v1
	s_and_saveexec_b32 s12, s11
	s_cbranch_execz .LBB380_22
; %bb.21:
	global_load_u16 v14, v12, s[24:25] offset:1280
.LBB380_22:
	s_or_b32 exec_lo, exec_lo, s12
	v_or_b32_e32 v1, 0x2c0, v0
	v_mov_b32_e32 v15, v2
	s_delay_alu instid0(VALU_DEP_2) | instskip(NEXT) | instid1(VALU_DEP_1)
	v_cmp_gt_u32_e64 s12, s26, v1
	s_and_saveexec_b32 s13, s12
	s_cbranch_execz .LBB380_24
; %bb.23:
	global_load_u16 v15, v12, s[24:25] offset:1408
.LBB380_24:
	s_or_b32 exec_lo, exec_lo, s13
	v_or_b32_e32 v1, 0x300, v0
	v_mov_b32_e32 v16, v2
	s_delay_alu instid0(VALU_DEP_2) | instskip(NEXT) | instid1(VALU_DEP_1)
	v_cmp_gt_u32_e64 s13, s26, v1
	s_and_saveexec_b32 s14, s13
	s_cbranch_execz .LBB380_26
; %bb.25:
	global_load_u16 v16, v12, s[24:25] offset:1536
.LBB380_26:
	s_or_b32 exec_lo, exec_lo, s14
	v_or_b32_e32 v1, 0x340, v0
	v_mov_b32_e32 v17, v2
	s_delay_alu instid0(VALU_DEP_2) | instskip(NEXT) | instid1(VALU_DEP_1)
	v_cmp_gt_u32_e64 s14, s26, v1
	s_and_saveexec_b32 s15, s14
	s_cbranch_execz .LBB380_28
; %bb.27:
	global_load_u16 v17, v12, s[24:25] offset:1664
.LBB380_28:
	s_or_b32 exec_lo, exec_lo, s15
	v_or_b32_e32 v1, 0x380, v0
	v_mov_b32_e32 v18, v2
	s_delay_alu instid0(VALU_DEP_2) | instskip(NEXT) | instid1(VALU_DEP_1)
	v_cmp_gt_u32_e64 s15, s26, v1
	s_and_saveexec_b32 s16, s15
	s_cbranch_execz .LBB380_30
; %bb.29:
	global_load_u16 v18, v12, s[24:25] offset:1792
.LBB380_30:
	s_or_b32 exec_lo, exec_lo, s16
	v_or_b32_e32 v1, 0x3c0, v0
	v_mov_b32_e32 v19, v2
	s_delay_alu instid0(VALU_DEP_2) | instskip(NEXT) | instid1(VALU_DEP_1)
	v_cmp_gt_u32_e64 s16, s26, v1
	s_and_saveexec_b32 s17, s16
	s_cbranch_execz .LBB380_32
; %bb.31:
	global_load_u16 v19, v12, s[24:25] offset:1920
.LBB380_32:
	s_or_b32 exec_lo, exec_lo, s17
	v_or_b32_e32 v1, 0x400, v0
	v_mov_b32_e32 v20, v2
	s_delay_alu instid0(VALU_DEP_2) | instskip(NEXT) | instid1(VALU_DEP_1)
	v_cmp_gt_u32_e64 s17, s26, v1
	s_and_saveexec_b32 s18, s17
	s_cbranch_execz .LBB380_34
; %bb.33:
	global_load_u16 v20, v12, s[24:25] offset:2048
.LBB380_34:
	s_or_b32 exec_lo, exec_lo, s18
	v_or_b32_e32 v1, 0x440, v0
	v_mov_b32_e32 v21, v2
	s_delay_alu instid0(VALU_DEP_2) | instskip(NEXT) | instid1(VALU_DEP_1)
	v_cmp_gt_u32_e64 s18, s26, v1
	s_and_saveexec_b32 s19, s18
	s_cbranch_execz .LBB380_36
; %bb.35:
	global_load_u16 v21, v12, s[24:25] offset:2176
.LBB380_36:
	s_or_b32 exec_lo, exec_lo, s19
	v_or_b32_e32 v1, 0x480, v0
	v_mov_b32_e32 v22, v2
	s_delay_alu instid0(VALU_DEP_2) | instskip(NEXT) | instid1(VALU_DEP_1)
	v_cmp_gt_u32_e64 s19, s26, v1
	s_and_saveexec_b32 s20, s19
	s_cbranch_execz .LBB380_38
; %bb.37:
	global_load_u16 v22, v12, s[24:25] offset:2304
.LBB380_38:
	s_or_b32 exec_lo, exec_lo, s20
	v_or_b32_e32 v1, 0x4c0, v0
	v_mov_b32_e32 v23, v2
	s_delay_alu instid0(VALU_DEP_2) | instskip(NEXT) | instid1(VALU_DEP_1)
	v_cmp_gt_u32_e64 s20, s26, v1
	s_and_saveexec_b32 s21, s20
	s_cbranch_execz .LBB380_40
; %bb.39:
	global_load_u16 v23, v12, s[24:25] offset:2432
.LBB380_40:
	s_or_b32 exec_lo, exec_lo, s21
	v_or_b32_e32 v1, 0x500, v0
	v_mov_b32_e32 v24, v2
	s_delay_alu instid0(VALU_DEP_2) | instskip(NEXT) | instid1(VALU_DEP_1)
	v_cmp_gt_u32_e64 s21, s26, v1
	s_and_saveexec_b32 s22, s21
	s_cbranch_execz .LBB380_42
; %bb.41:
	global_load_u16 v24, v12, s[24:25] offset:2560
.LBB380_42:
	s_or_b32 exec_lo, exec_lo, s22
	v_or_b32_e32 v1, 0x540, v0
	s_delay_alu instid0(VALU_DEP_1) | instskip(SKIP_1) | instid1(VALU_DEP_1)
	v_cmp_gt_u32_e64 s22, s26, v1
	v_cmp_le_u32_e64 s23, s26, v1
	s_and_saveexec_b32 s26, s23
	s_delay_alu instid0(SALU_CYCLE_1)
	s_xor_b32 s23, exec_lo, s26
; %bb.43:
	v_mov_b32_e32 v1, 0
; %bb.44:
	s_and_not1_saveexec_b32 s23, s23
	s_cbranch_execz .LBB380_46
; %bb.45:
	global_load_u16 v2, v12, s[24:25] offset:2688
	v_mov_b32_e32 v1, 0
.LBB380_46:
	s_or_b32 exec_lo, exec_lo, s23
	s_waitcnt vmcnt(0)
	ds_store_b16 v12, v3
	ds_store_b16 v12, v4 offset:128
	ds_store_b16 v12, v5 offset:256
	;; [unrolled: 1-line block ×15, first 2 shown]
	v_mad_u32_u24 v15, v0, 42, v12
	ds_store_b16 v12, v20 offset:2048
	ds_store_b16 v12, v21 offset:2176
	ds_store_b16 v12, v22 offset:2304
	ds_store_b16 v12, v23 offset:2432
	ds_store_b16 v12, v24 offset:2560
	ds_store_b16 v12, v2 offset:2688
	s_waitcnt lgkmcnt(0)
	s_barrier
	buffer_gl0_inv
	ds_load_2addr_b32 v[2:3], v15 offset1:1
	ds_load_2addr_b32 v[10:11], v15 offset0:2 offset1:3
	ds_load_2addr_b32 v[8:9], v15 offset0:4 offset1:5
	;; [unrolled: 1-line block ×4, first 2 shown]
	ds_load_b32 v25, v15 offset:40
	s_waitcnt lgkmcnt(0)
	s_barrier
	buffer_gl0_inv
	v_lshrrev_b32_e32 v16, 16, v2
	v_cvt_f32_f16_e32 v13, v2
	v_cmp_u_f16_e64 s45, v2, v2
	v_mov_b32_e32 v28, v2
	v_mov_b32_e32 v29, v2
	v_cvt_f32_f16_e32 v14, v16
	v_cmp_u_f16_e64 s23, v16, v16
	v_mov_b32_e32 v30, v13
	s_delay_alu instid0(VALU_DEP_3) | instskip(SKIP_1) | instid1(VALU_DEP_2)
	v_min_f32_e32 v26, v13, v14
	v_max_f32_e32 v27, v13, v14
	v_cndmask_b32_e64 v15, v26, v13, s45
	s_delay_alu instid0(VALU_DEP_2) | instskip(NEXT) | instid1(VALU_DEP_2)
	v_cndmask_b32_e64 v17, v27, v13, s45
	v_cndmask_b32_e64 v16, v15, v14, s23
	s_delay_alu instid0(VALU_DEP_2) | instskip(NEXT) | instid1(VALU_DEP_2)
	v_cndmask_b32_e64 v15, v17, v14, s23
	v_cmp_class_f32_e64 s25, v16, 0x1f8
	s_delay_alu instid0(VALU_DEP_2) | instskip(NEXT) | instid1(VALU_DEP_1)
	v_cmp_neq_f32_e64 s24, v16, v15
	s_or_b32 s24, s24, s25
	s_delay_alu instid0(SALU_CYCLE_1)
	s_and_saveexec_b32 s25, s24
	s_cbranch_execz .LBB380_48
; %bb.47:
	v_sub_f32_e32 v16, v16, v15
	s_delay_alu instid0(VALU_DEP_1) | instskip(NEXT) | instid1(VALU_DEP_1)
	v_mul_f32_e32 v17, 0x3fb8aa3b, v16
	v_fma_f32 v18, 0x3fb8aa3b, v16, -v17
	v_rndne_f32_e32 v19, v17
	s_delay_alu instid0(VALU_DEP_1) | instskip(NEXT) | instid1(VALU_DEP_1)
	v_dual_fmamk_f32 v18, v16, 0x32a5705f, v18 :: v_dual_sub_f32 v17, v17, v19
	v_add_f32_e32 v17, v17, v18
	v_cvt_i32_f32_e32 v18, v19
	v_cmp_ngt_f32_e64 s24, 0xc2ce8ed0, v16
	s_delay_alu instid0(VALU_DEP_3) | instskip(SKIP_2) | instid1(VALU_DEP_1)
	v_exp_f32_e32 v17, v17
	s_waitcnt_depctr 0xfff
	v_ldexp_f32 v17, v17, v18
	v_cndmask_b32_e64 v17, 0, v17, s24
	v_cmp_nlt_f32_e64 s24, 0x42b17218, v16
	s_delay_alu instid0(VALU_DEP_1) | instskip(NEXT) | instid1(VALU_DEP_1)
	v_cndmask_b32_e64 v18, 0x7f800000, v17, s24
	v_add_f32_e32 v19, 1.0, v18
	v_cmp_gt_f32_e64 s26, 0x33800000, |v18|
	s_delay_alu instid0(VALU_DEP_2) | instskip(NEXT) | instid1(VALU_DEP_1)
	v_cvt_f64_f32_e32 v[16:17], v19
	v_frexp_exp_i32_f64_e32 v16, v[16:17]
	v_frexp_mant_f32_e32 v17, v19
	s_delay_alu instid0(VALU_DEP_1) | instskip(SKIP_1) | instid1(VALU_DEP_1)
	v_cmp_gt_f32_e64 s24, 0x3f2aaaab, v17
	v_add_f32_e32 v17, -1.0, v19
	v_sub_f32_e32 v21, v17, v19
	s_delay_alu instid0(VALU_DEP_1) | instskip(NEXT) | instid1(VALU_DEP_4)
	v_add_f32_e32 v21, 1.0, v21
	v_subrev_co_ci_u32_e64 v16, s24, 0, v16, s24
	s_mov_b32 s24, 0x3e9b6dac
	s_delay_alu instid0(VALU_DEP_1) | instskip(SKIP_1) | instid1(VALU_DEP_2)
	v_sub_nc_u32_e32 v20, 0, v16
	v_cvt_f32_i32_e32 v16, v16
	v_ldexp_f32 v19, v19, v20
	s_delay_alu instid0(VALU_DEP_1) | instskip(NEXT) | instid1(VALU_DEP_1)
	v_dual_sub_f32 v17, v18, v17 :: v_dual_add_f32 v22, 1.0, v19
	v_add_f32_e32 v17, v17, v21
	s_delay_alu instid0(VALU_DEP_2) | instskip(NEXT) | instid1(VALU_DEP_2)
	v_add_f32_e32 v21, -1.0, v22
	v_ldexp_f32 v17, v17, v20
	s_delay_alu instid0(VALU_DEP_2) | instskip(NEXT) | instid1(VALU_DEP_1)
	v_dual_add_f32 v20, -1.0, v19 :: v_dual_sub_f32 v21, v19, v21
	v_add_f32_e32 v23, 1.0, v20
	s_delay_alu instid0(VALU_DEP_2) | instskip(NEXT) | instid1(VALU_DEP_2)
	v_add_f32_e32 v21, v17, v21
	v_sub_f32_e32 v19, v19, v23
	s_delay_alu instid0(VALU_DEP_2) | instskip(NEXT) | instid1(VALU_DEP_2)
	v_add_f32_e32 v23, v22, v21
	v_add_f32_e32 v17, v17, v19
	s_delay_alu instid0(VALU_DEP_2) | instskip(SKIP_1) | instid1(VALU_DEP_1)
	v_rcp_f32_e32 v19, v23
	v_sub_f32_e32 v22, v22, v23
	v_dual_add_f32 v24, v20, v17 :: v_dual_add_f32 v21, v21, v22
	s_delay_alu instid0(VALU_DEP_1) | instskip(SKIP_2) | instid1(VALU_DEP_1)
	v_sub_f32_e32 v20, v20, v24
	s_waitcnt_depctr 0xfff
	v_dual_mul_f32 v28, v24, v19 :: v_dual_add_f32 v17, v17, v20
	v_mul_f32_e32 v29, v23, v28
	s_delay_alu instid0(VALU_DEP_1) | instskip(NEXT) | instid1(VALU_DEP_1)
	v_fma_f32 v22, v28, v23, -v29
	v_fmac_f32_e32 v22, v28, v21
	s_delay_alu instid0(VALU_DEP_1) | instskip(NEXT) | instid1(VALU_DEP_1)
	v_add_f32_e32 v30, v29, v22
	v_dual_sub_f32 v31, v24, v30 :: v_dual_sub_f32 v20, v30, v29
	s_delay_alu instid0(VALU_DEP_1) | instskip(NEXT) | instid1(VALU_DEP_2)
	v_sub_f32_e32 v24, v24, v31
	v_sub_f32_e32 v20, v20, v22
	s_delay_alu instid0(VALU_DEP_2) | instskip(NEXT) | instid1(VALU_DEP_1)
	v_sub_f32_e32 v24, v24, v30
	v_add_f32_e32 v17, v17, v24
	s_delay_alu instid0(VALU_DEP_1) | instskip(NEXT) | instid1(VALU_DEP_1)
	v_add_f32_e32 v17, v20, v17
	v_add_f32_e32 v20, v31, v17
	s_delay_alu instid0(VALU_DEP_1) | instskip(NEXT) | instid1(VALU_DEP_1)
	v_mul_f32_e32 v22, v19, v20
	v_mul_f32_e32 v24, v23, v22
	s_delay_alu instid0(VALU_DEP_1) | instskip(NEXT) | instid1(VALU_DEP_1)
	v_fma_f32 v23, v22, v23, -v24
	v_fmac_f32_e32 v23, v22, v21
	s_delay_alu instid0(VALU_DEP_1) | instskip(NEXT) | instid1(VALU_DEP_1)
	v_add_f32_e32 v21, v24, v23
	v_dual_sub_f32 v29, v20, v21 :: v_dual_sub_f32 v24, v21, v24
	v_sub_f32_e32 v30, v31, v20
	s_delay_alu instid0(VALU_DEP_1) | instskip(NEXT) | instid1(VALU_DEP_1)
	v_dual_sub_f32 v20, v20, v29 :: v_dual_add_f32 v17, v17, v30
	v_sub_f32_e32 v20, v20, v21
	s_delay_alu instid0(VALU_DEP_4) | instskip(NEXT) | instid1(VALU_DEP_2)
	v_sub_f32_e32 v21, v24, v23
	v_dual_add_f32 v17, v17, v20 :: v_dual_add_f32 v20, v28, v22
	s_delay_alu instid0(VALU_DEP_1) | instskip(NEXT) | instid1(VALU_DEP_2)
	v_add_f32_e32 v17, v21, v17
	v_sub_f32_e32 v21, v20, v28
	s_delay_alu instid0(VALU_DEP_2) | instskip(NEXT) | instid1(VALU_DEP_2)
	v_add_f32_e32 v17, v29, v17
	v_sub_f32_e32 v21, v22, v21
	s_delay_alu instid0(VALU_DEP_2) | instskip(NEXT) | instid1(VALU_DEP_1)
	v_mul_f32_e32 v17, v19, v17
	v_add_f32_e32 v17, v21, v17
	s_delay_alu instid0(VALU_DEP_1) | instskip(NEXT) | instid1(VALU_DEP_1)
	v_add_f32_e32 v19, v20, v17
	v_mul_f32_e32 v21, v19, v19
	s_delay_alu instid0(VALU_DEP_1) | instskip(SKIP_2) | instid1(VALU_DEP_3)
	v_fmaak_f32 v22, s24, v21, 0x3ecc95a3
	v_mul_f32_e32 v23, v19, v21
	v_cmp_eq_f32_e64 s24, 0x7f800000, v18
	v_fmaak_f32 v21, v21, v22, 0x3f2aaada
	v_ldexp_f32 v22, v19, 1
	v_sub_f32_e32 v19, v19, v20
	s_delay_alu instid0(VALU_DEP_4) | instskip(NEXT) | instid1(VALU_DEP_3)
	s_or_b32 s24, s24, s26
	v_mul_f32_e32 v21, v23, v21
	s_delay_alu instid0(VALU_DEP_1) | instskip(NEXT) | instid1(VALU_DEP_1)
	v_dual_sub_f32 v17, v17, v19 :: v_dual_add_f32 v20, v22, v21
	v_ldexp_f32 v17, v17, 1
	s_delay_alu instid0(VALU_DEP_2) | instskip(NEXT) | instid1(VALU_DEP_1)
	v_sub_f32_e32 v19, v20, v22
	v_sub_f32_e32 v19, v21, v19
	s_delay_alu instid0(VALU_DEP_1) | instskip(NEXT) | instid1(VALU_DEP_1)
	v_add_f32_e32 v17, v17, v19
	v_add_f32_e32 v21, v20, v17
	v_mul_f32_e32 v23, 0x3f317218, v16
	s_delay_alu instid0(VALU_DEP_2) | instskip(NEXT) | instid1(VALU_DEP_2)
	v_sub_f32_e32 v20, v21, v20
	v_fma_f32 v22, 0x3f317218, v16, -v23
	s_delay_alu instid0(VALU_DEP_1) | instskip(NEXT) | instid1(VALU_DEP_1)
	v_dual_sub_f32 v17, v17, v20 :: v_dual_fmamk_f32 v16, v16, 0xb102e308, v22
	v_add_f32_e32 v19, v23, v16
	s_delay_alu instid0(VALU_DEP_1) | instskip(SKIP_1) | instid1(VALU_DEP_2)
	v_add_f32_e32 v22, v19, v21
	v_sub_f32_e32 v23, v19, v23
	v_sub_f32_e32 v24, v22, v19
	s_delay_alu instid0(VALU_DEP_2) | instskip(NEXT) | instid1(VALU_DEP_2)
	v_sub_f32_e32 v16, v16, v23
	v_sub_f32_e32 v28, v22, v24
	s_delay_alu instid0(VALU_DEP_2) | instskip(NEXT) | instid1(VALU_DEP_2)
	v_dual_sub_f32 v20, v21, v24 :: v_dual_add_f32 v21, v16, v17
	v_sub_f32_e32 v19, v19, v28
	s_delay_alu instid0(VALU_DEP_1) | instskip(NEXT) | instid1(VALU_DEP_1)
	v_dual_add_f32 v19, v20, v19 :: v_dual_sub_f32 v20, v21, v16
	v_add_f32_e32 v19, v21, v19
	s_delay_alu instid0(VALU_DEP_2) | instskip(SKIP_1) | instid1(VALU_DEP_2)
	v_sub_f32_e32 v21, v21, v20
	v_sub_f32_e32 v17, v17, v20
	v_dual_add_f32 v23, v22, v19 :: v_dual_sub_f32 v16, v16, v21
	s_delay_alu instid0(VALU_DEP_1) | instskip(NEXT) | instid1(VALU_DEP_2)
	v_sub_f32_e32 v20, v23, v22
	v_add_f32_e32 v16, v17, v16
	s_delay_alu instid0(VALU_DEP_2) | instskip(NEXT) | instid1(VALU_DEP_1)
	v_sub_f32_e32 v17, v19, v20
	v_add_f32_e32 v16, v16, v17
	s_delay_alu instid0(VALU_DEP_1) | instskip(NEXT) | instid1(VALU_DEP_1)
	v_add_f32_e32 v16, v23, v16
	v_cndmask_b32_e64 v16, v16, v18, s24
	s_delay_alu instid0(VALU_DEP_1) | instskip(NEXT) | instid1(VALU_DEP_1)
	v_add_f32_e32 v15, v15, v16
	v_cvt_f16_f32_e32 v28, v15
	s_delay_alu instid0(VALU_DEP_1)
	v_cvt_f32_f16_e32 v30, v28
	v_mov_b32_e32 v29, v28
.LBB380_48:
	s_or_b32 exec_lo, exec_lo, s25
	v_cvt_f32_f16_e32 v15, v3
	s_delay_alu instid0(VALU_DEP_3) | instskip(SKIP_1) | instid1(VALU_DEP_2)
	v_max_f32_e32 v16, v30, v30
	v_cmp_u_f16_e64 s24, v28, v28
	v_min_f32_e32 v17, v16, v15
	v_max_f32_e32 v16, v16, v15
	s_delay_alu instid0(VALU_DEP_2) | instskip(NEXT) | instid1(VALU_DEP_2)
	v_cndmask_b32_e64 v17, v17, v30, s24
	v_cndmask_b32_e64 v16, v16, v30, s24
	v_cmp_u_f16_e64 s24, v3, v3
	s_delay_alu instid0(VALU_DEP_1) | instskip(NEXT) | instid1(VALU_DEP_3)
	v_cndmask_b32_e64 v17, v17, v15, s24
	v_cndmask_b32_e64 v16, v16, v15, s24
	s_delay_alu instid0(VALU_DEP_2) | instskip(NEXT) | instid1(VALU_DEP_2)
	v_cmp_class_f32_e64 s26, v17, 0x1f8
	v_cmp_neq_f32_e64 s25, v17, v16
	s_delay_alu instid0(VALU_DEP_1) | instskip(NEXT) | instid1(SALU_CYCLE_1)
	s_or_b32 s25, s25, s26
	s_and_saveexec_b32 s26, s25
	s_cbranch_execz .LBB380_50
; %bb.49:
	v_sub_f32_e32 v17, v17, v16
	s_delay_alu instid0(VALU_DEP_1) | instskip(NEXT) | instid1(VALU_DEP_1)
	v_mul_f32_e32 v18, 0x3fb8aa3b, v17
	v_fma_f32 v19, 0x3fb8aa3b, v17, -v18
	v_rndne_f32_e32 v20, v18
	s_delay_alu instid0(VALU_DEP_1) | instskip(NEXT) | instid1(VALU_DEP_1)
	v_dual_fmamk_f32 v19, v17, 0x32a5705f, v19 :: v_dual_sub_f32 v18, v18, v20
	v_add_f32_e32 v18, v18, v19
	v_cvt_i32_f32_e32 v19, v20
	v_cmp_ngt_f32_e64 s25, 0xc2ce8ed0, v17
	s_delay_alu instid0(VALU_DEP_3) | instskip(SKIP_2) | instid1(VALU_DEP_1)
	v_exp_f32_e32 v18, v18
	s_waitcnt_depctr 0xfff
	v_ldexp_f32 v18, v18, v19
	v_cndmask_b32_e64 v18, 0, v18, s25
	v_cmp_nlt_f32_e64 s25, 0x42b17218, v17
	s_delay_alu instid0(VALU_DEP_1) | instskip(NEXT) | instid1(VALU_DEP_1)
	v_cndmask_b32_e64 v19, 0x7f800000, v18, s25
	v_add_f32_e32 v20, 1.0, v19
	v_cmp_gt_f32_e64 s27, 0x33800000, |v19|
	s_delay_alu instid0(VALU_DEP_2) | instskip(NEXT) | instid1(VALU_DEP_1)
	v_cvt_f64_f32_e32 v[17:18], v20
	v_frexp_exp_i32_f64_e32 v17, v[17:18]
	v_frexp_mant_f32_e32 v18, v20
	s_delay_alu instid0(VALU_DEP_1) | instskip(SKIP_1) | instid1(VALU_DEP_1)
	v_cmp_gt_f32_e64 s25, 0x3f2aaaab, v18
	v_add_f32_e32 v18, -1.0, v20
	v_sub_f32_e32 v22, v18, v20
	s_delay_alu instid0(VALU_DEP_1) | instskip(NEXT) | instid1(VALU_DEP_4)
	v_add_f32_e32 v22, 1.0, v22
	v_subrev_co_ci_u32_e64 v17, s25, 0, v17, s25
	s_mov_b32 s25, 0x3e9b6dac
	s_delay_alu instid0(VALU_DEP_1) | instskip(SKIP_1) | instid1(VALU_DEP_2)
	v_sub_nc_u32_e32 v21, 0, v17
	v_cvt_f32_i32_e32 v17, v17
	v_ldexp_f32 v20, v20, v21
	s_delay_alu instid0(VALU_DEP_1) | instskip(NEXT) | instid1(VALU_DEP_1)
	v_dual_sub_f32 v18, v19, v18 :: v_dual_add_f32 v23, 1.0, v20
	v_add_f32_e32 v18, v18, v22
	s_delay_alu instid0(VALU_DEP_2) | instskip(NEXT) | instid1(VALU_DEP_2)
	v_add_f32_e32 v22, -1.0, v23
	v_ldexp_f32 v18, v18, v21
	s_delay_alu instid0(VALU_DEP_2) | instskip(NEXT) | instid1(VALU_DEP_1)
	v_dual_add_f32 v21, -1.0, v20 :: v_dual_sub_f32 v22, v20, v22
	v_add_f32_e32 v24, 1.0, v21
	s_delay_alu instid0(VALU_DEP_2) | instskip(NEXT) | instid1(VALU_DEP_2)
	v_add_f32_e32 v22, v18, v22
	v_sub_f32_e32 v20, v20, v24
	s_delay_alu instid0(VALU_DEP_2) | instskip(NEXT) | instid1(VALU_DEP_2)
	v_add_f32_e32 v24, v23, v22
	v_add_f32_e32 v18, v18, v20
	s_delay_alu instid0(VALU_DEP_2) | instskip(NEXT) | instid1(VALU_DEP_1)
	v_rcp_f32_e32 v20, v24
	v_dual_sub_f32 v23, v23, v24 :: v_dual_add_f32 v28, v21, v18
	s_delay_alu instid0(VALU_DEP_1) | instskip(SKIP_2) | instid1(VALU_DEP_1)
	v_dual_add_f32 v22, v22, v23 :: v_dual_sub_f32 v21, v21, v28
	s_waitcnt_depctr 0xfff
	v_dual_mul_f32 v29, v28, v20 :: v_dual_add_f32 v18, v18, v21
	v_mul_f32_e32 v30, v24, v29
	s_delay_alu instid0(VALU_DEP_1) | instskip(NEXT) | instid1(VALU_DEP_1)
	v_fma_f32 v23, v29, v24, -v30
	v_fmac_f32_e32 v23, v29, v22
	s_delay_alu instid0(VALU_DEP_1) | instskip(NEXT) | instid1(VALU_DEP_1)
	v_add_f32_e32 v31, v30, v23
	v_dual_sub_f32 v32, v28, v31 :: v_dual_sub_f32 v21, v31, v30
	s_delay_alu instid0(VALU_DEP_1) | instskip(NEXT) | instid1(VALU_DEP_1)
	v_dual_sub_f32 v28, v28, v32 :: v_dual_sub_f32 v21, v21, v23
	v_sub_f32_e32 v28, v28, v31
	s_delay_alu instid0(VALU_DEP_1) | instskip(NEXT) | instid1(VALU_DEP_1)
	v_add_f32_e32 v18, v18, v28
	v_add_f32_e32 v18, v21, v18
	s_delay_alu instid0(VALU_DEP_1) | instskip(NEXT) | instid1(VALU_DEP_1)
	v_add_f32_e32 v21, v32, v18
	v_mul_f32_e32 v23, v20, v21
	v_sub_f32_e32 v31, v32, v21
	s_delay_alu instid0(VALU_DEP_2) | instskip(NEXT) | instid1(VALU_DEP_2)
	v_mul_f32_e32 v28, v24, v23
	v_add_f32_e32 v18, v18, v31
	s_delay_alu instid0(VALU_DEP_2) | instskip(NEXT) | instid1(VALU_DEP_1)
	v_fma_f32 v24, v23, v24, -v28
	v_fmac_f32_e32 v24, v23, v22
	s_delay_alu instid0(VALU_DEP_1) | instskip(NEXT) | instid1(VALU_DEP_1)
	v_add_f32_e32 v22, v28, v24
	v_sub_f32_e32 v30, v21, v22
	s_delay_alu instid0(VALU_DEP_1) | instskip(NEXT) | instid1(VALU_DEP_1)
	v_dual_sub_f32 v28, v22, v28 :: v_dual_sub_f32 v21, v21, v30
	v_dual_sub_f32 v21, v21, v22 :: v_dual_sub_f32 v22, v28, v24
	s_delay_alu instid0(VALU_DEP_1) | instskip(NEXT) | instid1(VALU_DEP_1)
	v_dual_add_f32 v18, v18, v21 :: v_dual_add_f32 v21, v29, v23
	v_add_f32_e32 v18, v22, v18
	s_delay_alu instid0(VALU_DEP_2) | instskip(NEXT) | instid1(VALU_DEP_2)
	v_sub_f32_e32 v22, v21, v29
	v_add_f32_e32 v18, v30, v18
	s_delay_alu instid0(VALU_DEP_2) | instskip(NEXT) | instid1(VALU_DEP_2)
	v_sub_f32_e32 v22, v23, v22
	v_mul_f32_e32 v18, v20, v18
	s_delay_alu instid0(VALU_DEP_1) | instskip(NEXT) | instid1(VALU_DEP_1)
	v_add_f32_e32 v18, v22, v18
	v_add_f32_e32 v20, v21, v18
	s_delay_alu instid0(VALU_DEP_1) | instskip(NEXT) | instid1(VALU_DEP_1)
	v_mul_f32_e32 v22, v20, v20
	v_fmaak_f32 v23, s25, v22, 0x3ecc95a3
	v_mul_f32_e32 v24, v20, v22
	v_cmp_eq_f32_e64 s25, 0x7f800000, v19
	s_delay_alu instid0(VALU_DEP_3) | instskip(SKIP_2) | instid1(VALU_DEP_4)
	v_fmaak_f32 v22, v22, v23, 0x3f2aaada
	v_ldexp_f32 v23, v20, 1
	v_sub_f32_e32 v20, v20, v21
	s_or_b32 s25, s25, s27
	s_delay_alu instid0(VALU_DEP_3) | instskip(SKIP_1) | instid1(VALU_DEP_2)
	v_mul_f32_e32 v22, v24, v22
	v_mul_f32_e32 v24, 0x3f317218, v17
	v_dual_sub_f32 v18, v18, v20 :: v_dual_add_f32 v21, v23, v22
	s_delay_alu instid0(VALU_DEP_1) | instskip(NEXT) | instid1(VALU_DEP_2)
	v_ldexp_f32 v18, v18, 1
	v_sub_f32_e32 v20, v21, v23
	s_delay_alu instid0(VALU_DEP_4) | instskip(NEXT) | instid1(VALU_DEP_1)
	v_fma_f32 v23, 0x3f317218, v17, -v24
	v_dual_sub_f32 v20, v22, v20 :: v_dual_fmamk_f32 v17, v17, 0xb102e308, v23
	s_delay_alu instid0(VALU_DEP_1) | instskip(NEXT) | instid1(VALU_DEP_2)
	v_add_f32_e32 v18, v18, v20
	v_add_f32_e32 v20, v24, v17
	s_delay_alu instid0(VALU_DEP_2) | instskip(NEXT) | instid1(VALU_DEP_2)
	v_add_f32_e32 v22, v21, v18
	v_sub_f32_e32 v24, v20, v24
	s_delay_alu instid0(VALU_DEP_2) | instskip(SKIP_1) | instid1(VALU_DEP_3)
	v_add_f32_e32 v23, v20, v22
	v_sub_f32_e32 v21, v22, v21
	v_sub_f32_e32 v17, v17, v24
	s_delay_alu instid0(VALU_DEP_3) | instskip(NEXT) | instid1(VALU_DEP_1)
	v_sub_f32_e32 v28, v23, v20
	v_dual_sub_f32 v18, v18, v21 :: v_dual_sub_f32 v29, v23, v28
	s_delay_alu instid0(VALU_DEP_1) | instskip(NEXT) | instid1(VALU_DEP_2)
	v_dual_sub_f32 v21, v22, v28 :: v_dual_add_f32 v22, v17, v18
	v_sub_f32_e32 v20, v20, v29
	s_delay_alu instid0(VALU_DEP_1) | instskip(NEXT) | instid1(VALU_DEP_1)
	v_dual_add_f32 v20, v21, v20 :: v_dual_sub_f32 v21, v22, v17
	v_add_f32_e32 v20, v22, v20
	s_delay_alu instid0(VALU_DEP_2) | instskip(SKIP_1) | instid1(VALU_DEP_2)
	v_sub_f32_e32 v22, v22, v21
	v_sub_f32_e32 v18, v18, v21
	v_dual_add_f32 v24, v23, v20 :: v_dual_sub_f32 v17, v17, v22
	s_delay_alu instid0(VALU_DEP_1) | instskip(NEXT) | instid1(VALU_DEP_2)
	v_sub_f32_e32 v21, v24, v23
	v_add_f32_e32 v17, v18, v17
	s_delay_alu instid0(VALU_DEP_2) | instskip(NEXT) | instid1(VALU_DEP_1)
	v_sub_f32_e32 v18, v20, v21
	v_add_f32_e32 v17, v17, v18
	s_delay_alu instid0(VALU_DEP_1) | instskip(NEXT) | instid1(VALU_DEP_1)
	v_add_f32_e32 v17, v24, v17
	v_cndmask_b32_e64 v17, v17, v19, s25
	s_delay_alu instid0(VALU_DEP_1) | instskip(NEXT) | instid1(VALU_DEP_1)
	v_add_f32_e32 v16, v16, v17
	v_cvt_f16_f32_e32 v28, v16
	s_delay_alu instid0(VALU_DEP_1)
	v_mov_b32_e32 v29, v28
	v_cvt_f32_f16_e32 v30, v28
.LBB380_50:
	s_or_b32 exec_lo, exec_lo, s26
	v_lshrrev_b32_e32 v3, 16, v3
	s_delay_alu instid0(VALU_DEP_2) | instskip(SKIP_1) | instid1(VALU_DEP_3)
	v_max_f32_e32 v17, v30, v30
	v_cmp_u_f16_e64 s25, v28, v28
	v_cvt_f32_f16_e32 v16, v3
	s_delay_alu instid0(VALU_DEP_1) | instskip(SKIP_1) | instid1(VALU_DEP_2)
	v_min_f32_e32 v18, v17, v16
	v_max_f32_e32 v17, v17, v16
	v_cndmask_b32_e64 v18, v18, v30, s25
	s_delay_alu instid0(VALU_DEP_2) | instskip(SKIP_1) | instid1(VALU_DEP_1)
	v_cndmask_b32_e64 v19, v17, v30, s25
	v_cmp_u_f16_e64 s25, v3, v3
	v_cndmask_b32_e64 v17, v18, v16, s25
	s_delay_alu instid0(VALU_DEP_3) | instskip(NEXT) | instid1(VALU_DEP_2)
	v_cndmask_b32_e64 v3, v19, v16, s25
	v_cmp_class_f32_e64 s27, v17, 0x1f8
	s_delay_alu instid0(VALU_DEP_2) | instskip(NEXT) | instid1(VALU_DEP_1)
	v_cmp_neq_f32_e64 s26, v17, v3
	s_or_b32 s26, s26, s27
	s_delay_alu instid0(SALU_CYCLE_1)
	s_and_saveexec_b32 s27, s26
	s_cbranch_execz .LBB380_52
; %bb.51:
	v_sub_f32_e32 v17, v17, v3
	s_delay_alu instid0(VALU_DEP_1) | instskip(NEXT) | instid1(VALU_DEP_1)
	v_mul_f32_e32 v18, 0x3fb8aa3b, v17
	v_fma_f32 v19, 0x3fb8aa3b, v17, -v18
	v_rndne_f32_e32 v20, v18
	s_delay_alu instid0(VALU_DEP_1) | instskip(SKIP_1) | instid1(VALU_DEP_2)
	v_dual_sub_f32 v18, v18, v20 :: v_dual_fmamk_f32 v19, v17, 0x32a5705f, v19
	v_cmp_ngt_f32_e64 s26, 0xc2ce8ed0, v17
	v_add_f32_e32 v18, v18, v19
	v_cvt_i32_f32_e32 v19, v20
	s_delay_alu instid0(VALU_DEP_2) | instskip(SKIP_2) | instid1(VALU_DEP_1)
	v_exp_f32_e32 v18, v18
	s_waitcnt_depctr 0xfff
	v_ldexp_f32 v18, v18, v19
	v_cndmask_b32_e64 v18, 0, v18, s26
	v_cmp_nlt_f32_e64 s26, 0x42b17218, v17
	s_delay_alu instid0(VALU_DEP_1) | instskip(NEXT) | instid1(VALU_DEP_1)
	v_cndmask_b32_e64 v19, 0x7f800000, v18, s26
	v_add_f32_e32 v20, 1.0, v19
	v_cmp_gt_f32_e64 s28, 0x33800000, |v19|
	s_delay_alu instid0(VALU_DEP_2) | instskip(NEXT) | instid1(VALU_DEP_1)
	v_cvt_f64_f32_e32 v[17:18], v20
	v_frexp_exp_i32_f64_e32 v17, v[17:18]
	v_frexp_mant_f32_e32 v18, v20
	s_delay_alu instid0(VALU_DEP_1) | instskip(SKIP_1) | instid1(VALU_DEP_1)
	v_cmp_gt_f32_e64 s26, 0x3f2aaaab, v18
	v_add_f32_e32 v18, -1.0, v20
	v_sub_f32_e32 v22, v18, v20
	v_sub_f32_e32 v18, v19, v18
	s_delay_alu instid0(VALU_DEP_2) | instskip(NEXT) | instid1(VALU_DEP_1)
	v_add_f32_e32 v22, 1.0, v22
	v_add_f32_e32 v18, v18, v22
	v_subrev_co_ci_u32_e64 v17, s26, 0, v17, s26
	s_mov_b32 s26, 0x3e9b6dac
	s_delay_alu instid0(VALU_DEP_1) | instskip(SKIP_1) | instid1(VALU_DEP_2)
	v_sub_nc_u32_e32 v21, 0, v17
	v_cvt_f32_i32_e32 v17, v17
	v_ldexp_f32 v20, v20, v21
	v_ldexp_f32 v18, v18, v21
	s_delay_alu instid0(VALU_DEP_2) | instskip(NEXT) | instid1(VALU_DEP_1)
	v_add_f32_e32 v23, 1.0, v20
	v_dual_add_f32 v21, -1.0, v20 :: v_dual_add_f32 v22, -1.0, v23
	s_delay_alu instid0(VALU_DEP_1) | instskip(NEXT) | instid1(VALU_DEP_2)
	v_add_f32_e32 v24, 1.0, v21
	v_sub_f32_e32 v22, v20, v22
	s_delay_alu instid0(VALU_DEP_2) | instskip(NEXT) | instid1(VALU_DEP_2)
	v_sub_f32_e32 v20, v20, v24
	v_add_f32_e32 v22, v18, v22
	s_delay_alu instid0(VALU_DEP_2) | instskip(NEXT) | instid1(VALU_DEP_2)
	v_add_f32_e32 v18, v18, v20
	v_add_f32_e32 v24, v23, v22
	s_delay_alu instid0(VALU_DEP_2) | instskip(NEXT) | instid1(VALU_DEP_2)
	v_add_f32_e32 v28, v21, v18
	v_rcp_f32_e32 v20, v24
	v_sub_f32_e32 v23, v23, v24
	s_delay_alu instid0(VALU_DEP_1) | instskip(SKIP_2) | instid1(VALU_DEP_1)
	v_dual_sub_f32 v21, v21, v28 :: v_dual_add_f32 v22, v22, v23
	s_waitcnt_depctr 0xfff
	v_dual_add_f32 v18, v18, v21 :: v_dual_mul_f32 v29, v28, v20
	v_mul_f32_e32 v30, v24, v29
	s_delay_alu instid0(VALU_DEP_1) | instskip(NEXT) | instid1(VALU_DEP_1)
	v_fma_f32 v23, v29, v24, -v30
	v_fmac_f32_e32 v23, v29, v22
	s_delay_alu instid0(VALU_DEP_1) | instskip(NEXT) | instid1(VALU_DEP_1)
	v_add_f32_e32 v31, v30, v23
	v_dual_sub_f32 v32, v28, v31 :: v_dual_sub_f32 v21, v31, v30
	s_delay_alu instid0(VALU_DEP_1) | instskip(NEXT) | instid1(VALU_DEP_1)
	v_dual_sub_f32 v28, v28, v32 :: v_dual_sub_f32 v21, v21, v23
	v_sub_f32_e32 v28, v28, v31
	s_delay_alu instid0(VALU_DEP_1) | instskip(NEXT) | instid1(VALU_DEP_1)
	v_add_f32_e32 v18, v18, v28
	v_add_f32_e32 v18, v21, v18
	s_delay_alu instid0(VALU_DEP_1) | instskip(NEXT) | instid1(VALU_DEP_1)
	v_add_f32_e32 v21, v32, v18
	v_mul_f32_e32 v23, v20, v21
	v_sub_f32_e32 v31, v32, v21
	s_delay_alu instid0(VALU_DEP_2) | instskip(NEXT) | instid1(VALU_DEP_2)
	v_mul_f32_e32 v28, v24, v23
	v_add_f32_e32 v18, v18, v31
	s_delay_alu instid0(VALU_DEP_2) | instskip(NEXT) | instid1(VALU_DEP_1)
	v_fma_f32 v24, v23, v24, -v28
	v_fmac_f32_e32 v24, v23, v22
	s_delay_alu instid0(VALU_DEP_1) | instskip(NEXT) | instid1(VALU_DEP_1)
	v_add_f32_e32 v22, v28, v24
	v_sub_f32_e32 v30, v21, v22
	s_delay_alu instid0(VALU_DEP_1) | instskip(NEXT) | instid1(VALU_DEP_1)
	v_dual_sub_f32 v28, v22, v28 :: v_dual_sub_f32 v21, v21, v30
	v_dual_sub_f32 v21, v21, v22 :: v_dual_sub_f32 v22, v28, v24
	s_delay_alu instid0(VALU_DEP_1) | instskip(NEXT) | instid1(VALU_DEP_1)
	v_dual_add_f32 v18, v18, v21 :: v_dual_add_f32 v21, v29, v23
	v_add_f32_e32 v18, v22, v18
	s_delay_alu instid0(VALU_DEP_2) | instskip(NEXT) | instid1(VALU_DEP_2)
	v_sub_f32_e32 v22, v21, v29
	v_add_f32_e32 v18, v30, v18
	s_delay_alu instid0(VALU_DEP_2) | instskip(NEXT) | instid1(VALU_DEP_2)
	v_sub_f32_e32 v22, v23, v22
	v_mul_f32_e32 v18, v20, v18
	s_delay_alu instid0(VALU_DEP_1) | instskip(NEXT) | instid1(VALU_DEP_1)
	v_add_f32_e32 v18, v22, v18
	v_add_f32_e32 v20, v21, v18
	s_delay_alu instid0(VALU_DEP_1) | instskip(NEXT) | instid1(VALU_DEP_1)
	v_mul_f32_e32 v22, v20, v20
	v_fmaak_f32 v23, s26, v22, 0x3ecc95a3
	v_mul_f32_e32 v24, v20, v22
	v_cmp_eq_f32_e64 s26, 0x7f800000, v19
	s_delay_alu instid0(VALU_DEP_3) | instskip(SKIP_2) | instid1(VALU_DEP_4)
	v_fmaak_f32 v22, v22, v23, 0x3f2aaada
	v_ldexp_f32 v23, v20, 1
	v_sub_f32_e32 v20, v20, v21
	s_or_b32 s26, s26, s28
	s_delay_alu instid0(VALU_DEP_3) | instskip(SKIP_1) | instid1(VALU_DEP_2)
	v_mul_f32_e32 v22, v24, v22
	v_mul_f32_e32 v24, 0x3f317218, v17
	v_dual_sub_f32 v18, v18, v20 :: v_dual_add_f32 v21, v23, v22
	s_delay_alu instid0(VALU_DEP_1) | instskip(NEXT) | instid1(VALU_DEP_2)
	v_ldexp_f32 v18, v18, 1
	v_sub_f32_e32 v20, v21, v23
	s_delay_alu instid0(VALU_DEP_4) | instskip(NEXT) | instid1(VALU_DEP_1)
	v_fma_f32 v23, 0x3f317218, v17, -v24
	v_dual_sub_f32 v20, v22, v20 :: v_dual_fmamk_f32 v17, v17, 0xb102e308, v23
	s_delay_alu instid0(VALU_DEP_1) | instskip(NEXT) | instid1(VALU_DEP_2)
	v_add_f32_e32 v18, v18, v20
	v_add_f32_e32 v20, v24, v17
	s_delay_alu instid0(VALU_DEP_2) | instskip(NEXT) | instid1(VALU_DEP_2)
	v_add_f32_e32 v22, v21, v18
	v_sub_f32_e32 v24, v20, v24
	s_delay_alu instid0(VALU_DEP_2) | instskip(SKIP_1) | instid1(VALU_DEP_3)
	v_add_f32_e32 v23, v20, v22
	v_sub_f32_e32 v21, v22, v21
	v_sub_f32_e32 v17, v17, v24
	s_delay_alu instid0(VALU_DEP_3) | instskip(NEXT) | instid1(VALU_DEP_1)
	v_sub_f32_e32 v28, v23, v20
	v_dual_sub_f32 v18, v18, v21 :: v_dual_sub_f32 v29, v23, v28
	s_delay_alu instid0(VALU_DEP_1) | instskip(NEXT) | instid1(VALU_DEP_2)
	v_dual_sub_f32 v21, v22, v28 :: v_dual_add_f32 v22, v17, v18
	v_sub_f32_e32 v20, v20, v29
	s_delay_alu instid0(VALU_DEP_1) | instskip(NEXT) | instid1(VALU_DEP_1)
	v_dual_add_f32 v20, v21, v20 :: v_dual_sub_f32 v21, v22, v17
	v_add_f32_e32 v20, v22, v20
	s_delay_alu instid0(VALU_DEP_2) | instskip(SKIP_1) | instid1(VALU_DEP_2)
	v_sub_f32_e32 v22, v22, v21
	v_sub_f32_e32 v18, v18, v21
	v_dual_add_f32 v24, v23, v20 :: v_dual_sub_f32 v17, v17, v22
	s_delay_alu instid0(VALU_DEP_1) | instskip(NEXT) | instid1(VALU_DEP_2)
	v_sub_f32_e32 v21, v24, v23
	v_add_f32_e32 v17, v18, v17
	s_delay_alu instid0(VALU_DEP_2) | instskip(NEXT) | instid1(VALU_DEP_1)
	v_sub_f32_e32 v18, v20, v21
	v_add_f32_e32 v17, v17, v18
	s_delay_alu instid0(VALU_DEP_1) | instskip(NEXT) | instid1(VALU_DEP_1)
	v_add_f32_e32 v17, v24, v17
	v_cndmask_b32_e64 v17, v17, v19, s26
	s_delay_alu instid0(VALU_DEP_1) | instskip(NEXT) | instid1(VALU_DEP_1)
	v_add_f32_e32 v3, v3, v17
	v_cvt_f16_f32_e32 v28, v3
	s_delay_alu instid0(VALU_DEP_1)
	v_mov_b32_e32 v29, v28
	v_cvt_f32_f16_e32 v30, v28
.LBB380_52:
	s_or_b32 exec_lo, exec_lo, s27
	v_cvt_f32_f16_e32 v3, v10
	s_delay_alu instid0(VALU_DEP_2) | instskip(SKIP_1) | instid1(VALU_DEP_2)
	v_max_f32_e32 v17, v30, v30
	v_cmp_u_f16_e64 s26, v28, v28
	v_min_f32_e32 v18, v17, v3
	v_max_f32_e32 v17, v17, v3
	s_delay_alu instid0(VALU_DEP_2) | instskip(NEXT) | instid1(VALU_DEP_2)
	v_cndmask_b32_e64 v18, v18, v30, s26
	v_cndmask_b32_e64 v17, v17, v30, s26
	v_cmp_u_f16_e64 s26, v10, v10
	s_delay_alu instid0(VALU_DEP_1) | instskip(NEXT) | instid1(VALU_DEP_3)
	v_cndmask_b32_e64 v18, v18, v3, s26
	v_cndmask_b32_e64 v17, v17, v3, s26
	s_delay_alu instid0(VALU_DEP_2) | instskip(NEXT) | instid1(VALU_DEP_2)
	v_cmp_class_f32_e64 s28, v18, 0x1f8
	v_cmp_neq_f32_e64 s27, v18, v17
	s_delay_alu instid0(VALU_DEP_1) | instskip(NEXT) | instid1(SALU_CYCLE_1)
	s_or_b32 s27, s27, s28
	s_and_saveexec_b32 s28, s27
	s_cbranch_execz .LBB380_54
; %bb.53:
	v_sub_f32_e32 v18, v18, v17
	s_delay_alu instid0(VALU_DEP_1) | instskip(NEXT) | instid1(VALU_DEP_1)
	v_mul_f32_e32 v19, 0x3fb8aa3b, v18
	v_fma_f32 v20, 0x3fb8aa3b, v18, -v19
	v_rndne_f32_e32 v21, v19
	s_delay_alu instid0(VALU_DEP_1) | instskip(NEXT) | instid1(VALU_DEP_1)
	v_dual_fmamk_f32 v20, v18, 0x32a5705f, v20 :: v_dual_sub_f32 v19, v19, v21
	v_add_f32_e32 v19, v19, v20
	v_cvt_i32_f32_e32 v20, v21
	v_cmp_ngt_f32_e64 s27, 0xc2ce8ed0, v18
	s_delay_alu instid0(VALU_DEP_3) | instskip(SKIP_2) | instid1(VALU_DEP_1)
	v_exp_f32_e32 v19, v19
	s_waitcnt_depctr 0xfff
	v_ldexp_f32 v19, v19, v20
	v_cndmask_b32_e64 v19, 0, v19, s27
	v_cmp_nlt_f32_e64 s27, 0x42b17218, v18
	s_delay_alu instid0(VALU_DEP_1) | instskip(NEXT) | instid1(VALU_DEP_1)
	v_cndmask_b32_e64 v20, 0x7f800000, v19, s27
	v_add_f32_e32 v21, 1.0, v20
	v_cmp_gt_f32_e64 s29, 0x33800000, |v20|
	s_delay_alu instid0(VALU_DEP_2) | instskip(NEXT) | instid1(VALU_DEP_1)
	v_cvt_f64_f32_e32 v[18:19], v21
	v_frexp_exp_i32_f64_e32 v18, v[18:19]
	v_frexp_mant_f32_e32 v19, v21
	s_delay_alu instid0(VALU_DEP_1) | instskip(SKIP_1) | instid1(VALU_DEP_1)
	v_cmp_gt_f32_e64 s27, 0x3f2aaaab, v19
	v_add_f32_e32 v19, -1.0, v21
	v_sub_f32_e32 v23, v19, v21
	s_delay_alu instid0(VALU_DEP_1) | instskip(NEXT) | instid1(VALU_DEP_4)
	v_add_f32_e32 v23, 1.0, v23
	v_subrev_co_ci_u32_e64 v18, s27, 0, v18, s27
	s_mov_b32 s27, 0x3e9b6dac
	s_delay_alu instid0(VALU_DEP_1) | instskip(SKIP_1) | instid1(VALU_DEP_2)
	v_sub_nc_u32_e32 v22, 0, v18
	v_cvt_f32_i32_e32 v18, v18
	v_ldexp_f32 v21, v21, v22
	s_delay_alu instid0(VALU_DEP_1) | instskip(NEXT) | instid1(VALU_DEP_1)
	v_dual_sub_f32 v19, v20, v19 :: v_dual_add_f32 v24, 1.0, v21
	v_add_f32_e32 v19, v19, v23
	s_delay_alu instid0(VALU_DEP_2) | instskip(NEXT) | instid1(VALU_DEP_2)
	v_add_f32_e32 v23, -1.0, v24
	v_ldexp_f32 v19, v19, v22
	s_delay_alu instid0(VALU_DEP_2) | instskip(NEXT) | instid1(VALU_DEP_1)
	v_dual_add_f32 v22, -1.0, v21 :: v_dual_sub_f32 v23, v21, v23
	v_dual_add_f32 v28, 1.0, v22 :: v_dual_add_f32 v23, v19, v23
	s_delay_alu instid0(VALU_DEP_1) | instskip(NEXT) | instid1(VALU_DEP_1)
	v_dual_sub_f32 v21, v21, v28 :: v_dual_add_f32 v28, v24, v23
	v_add_f32_e32 v19, v19, v21
	s_delay_alu instid0(VALU_DEP_2) | instskip(NEXT) | instid1(VALU_DEP_1)
	v_rcp_f32_e32 v21, v28
	v_dual_sub_f32 v24, v24, v28 :: v_dual_add_f32 v29, v22, v19
	s_delay_alu instid0(VALU_DEP_1) | instskip(SKIP_2) | instid1(VALU_DEP_1)
	v_dual_add_f32 v23, v23, v24 :: v_dual_sub_f32 v22, v22, v29
	s_waitcnt_depctr 0xfff
	v_dual_mul_f32 v30, v29, v21 :: v_dual_add_f32 v19, v19, v22
	v_mul_f32_e32 v31, v28, v30
	s_delay_alu instid0(VALU_DEP_1) | instskip(NEXT) | instid1(VALU_DEP_1)
	v_fma_f32 v24, v30, v28, -v31
	v_fmac_f32_e32 v24, v30, v23
	s_delay_alu instid0(VALU_DEP_1) | instskip(NEXT) | instid1(VALU_DEP_1)
	v_add_f32_e32 v32, v31, v24
	v_dual_sub_f32 v33, v29, v32 :: v_dual_sub_f32 v22, v32, v31
	s_delay_alu instid0(VALU_DEP_1) | instskip(NEXT) | instid1(VALU_DEP_1)
	v_dual_sub_f32 v29, v29, v33 :: v_dual_sub_f32 v22, v22, v24
	v_sub_f32_e32 v29, v29, v32
	s_delay_alu instid0(VALU_DEP_1) | instskip(NEXT) | instid1(VALU_DEP_1)
	v_add_f32_e32 v19, v19, v29
	v_add_f32_e32 v19, v22, v19
	s_delay_alu instid0(VALU_DEP_1) | instskip(NEXT) | instid1(VALU_DEP_1)
	v_add_f32_e32 v22, v33, v19
	v_mul_f32_e32 v24, v21, v22
	s_delay_alu instid0(VALU_DEP_1) | instskip(NEXT) | instid1(VALU_DEP_1)
	v_mul_f32_e32 v29, v28, v24
	v_fma_f32 v28, v24, v28, -v29
	s_delay_alu instid0(VALU_DEP_1) | instskip(SKIP_1) | instid1(VALU_DEP_2)
	v_fmac_f32_e32 v28, v24, v23
	v_sub_f32_e32 v32, v33, v22
	v_add_f32_e32 v23, v29, v28
	s_delay_alu instid0(VALU_DEP_2) | instskip(NEXT) | instid1(VALU_DEP_2)
	v_add_f32_e32 v19, v19, v32
	v_sub_f32_e32 v31, v22, v23
	s_delay_alu instid0(VALU_DEP_1) | instskip(NEXT) | instid1(VALU_DEP_1)
	v_dual_sub_f32 v29, v23, v29 :: v_dual_sub_f32 v22, v22, v31
	v_dual_sub_f32 v22, v22, v23 :: v_dual_sub_f32 v23, v29, v28
	s_delay_alu instid0(VALU_DEP_1) | instskip(NEXT) | instid1(VALU_DEP_1)
	v_dual_add_f32 v19, v19, v22 :: v_dual_add_f32 v22, v30, v24
	v_add_f32_e32 v19, v23, v19
	s_delay_alu instid0(VALU_DEP_2) | instskip(NEXT) | instid1(VALU_DEP_2)
	v_sub_f32_e32 v23, v22, v30
	v_add_f32_e32 v19, v31, v19
	s_delay_alu instid0(VALU_DEP_2) | instskip(NEXT) | instid1(VALU_DEP_2)
	v_sub_f32_e32 v23, v24, v23
	v_mul_f32_e32 v19, v21, v19
	s_delay_alu instid0(VALU_DEP_1) | instskip(NEXT) | instid1(VALU_DEP_1)
	v_add_f32_e32 v19, v23, v19
	v_add_f32_e32 v21, v22, v19
	s_delay_alu instid0(VALU_DEP_1) | instskip(NEXT) | instid1(VALU_DEP_1)
	v_mul_f32_e32 v23, v21, v21
	v_fmaak_f32 v24, s27, v23, 0x3ecc95a3
	v_mul_f32_e32 v28, v21, v23
	v_cmp_eq_f32_e64 s27, 0x7f800000, v20
	s_delay_alu instid0(VALU_DEP_3) | instskip(SKIP_2) | instid1(VALU_DEP_4)
	v_fmaak_f32 v23, v23, v24, 0x3f2aaada
	v_ldexp_f32 v24, v21, 1
	v_sub_f32_e32 v21, v21, v22
	s_or_b32 s27, s27, s29
	s_delay_alu instid0(VALU_DEP_3) | instskip(NEXT) | instid1(VALU_DEP_1)
	v_dual_mul_f32 v23, v28, v23 :: v_dual_mul_f32 v28, 0x3f317218, v18
	v_dual_sub_f32 v19, v19, v21 :: v_dual_add_f32 v22, v24, v23
	s_delay_alu instid0(VALU_DEP_1) | instskip(NEXT) | instid1(VALU_DEP_2)
	v_ldexp_f32 v19, v19, 1
	v_sub_f32_e32 v21, v22, v24
	s_delay_alu instid0(VALU_DEP_4) | instskip(NEXT) | instid1(VALU_DEP_1)
	v_fma_f32 v24, 0x3f317218, v18, -v28
	v_dual_sub_f32 v21, v23, v21 :: v_dual_fmamk_f32 v18, v18, 0xb102e308, v24
	s_delay_alu instid0(VALU_DEP_1) | instskip(NEXT) | instid1(VALU_DEP_2)
	v_add_f32_e32 v19, v19, v21
	v_add_f32_e32 v21, v28, v18
	s_delay_alu instid0(VALU_DEP_1) | instskip(NEXT) | instid1(VALU_DEP_1)
	v_dual_add_f32 v23, v22, v19 :: v_dual_sub_f32 v28, v21, v28
	v_add_f32_e32 v24, v21, v23
	v_sub_f32_e32 v22, v23, v22
	s_delay_alu instid0(VALU_DEP_2) | instskip(NEXT) | instid1(VALU_DEP_1)
	v_dual_sub_f32 v18, v18, v28 :: v_dual_sub_f32 v29, v24, v21
	v_dual_sub_f32 v19, v19, v22 :: v_dual_sub_f32 v30, v24, v29
	s_delay_alu instid0(VALU_DEP_1) | instskip(NEXT) | instid1(VALU_DEP_2)
	v_dual_sub_f32 v22, v23, v29 :: v_dual_add_f32 v23, v18, v19
	v_sub_f32_e32 v21, v21, v30
	s_delay_alu instid0(VALU_DEP_1) | instskip(NEXT) | instid1(VALU_DEP_1)
	v_dual_add_f32 v21, v22, v21 :: v_dual_sub_f32 v22, v23, v18
	v_add_f32_e32 v21, v23, v21
	s_delay_alu instid0(VALU_DEP_2) | instskip(NEXT) | instid1(VALU_DEP_2)
	v_sub_f32_e32 v23, v23, v22
	v_dual_sub_f32 v19, v19, v22 :: v_dual_add_f32 v28, v24, v21
	s_delay_alu instid0(VALU_DEP_2) | instskip(NEXT) | instid1(VALU_DEP_2)
	v_sub_f32_e32 v18, v18, v23
	v_sub_f32_e32 v22, v28, v24
	s_delay_alu instid0(VALU_DEP_2) | instskip(NEXT) | instid1(VALU_DEP_2)
	v_add_f32_e32 v18, v19, v18
	v_sub_f32_e32 v19, v21, v22
	s_delay_alu instid0(VALU_DEP_1) | instskip(NEXT) | instid1(VALU_DEP_1)
	v_add_f32_e32 v18, v18, v19
	v_add_f32_e32 v18, v28, v18
	s_delay_alu instid0(VALU_DEP_1) | instskip(NEXT) | instid1(VALU_DEP_1)
	v_cndmask_b32_e64 v18, v18, v20, s27
	v_add_f32_e32 v17, v17, v18
	s_delay_alu instid0(VALU_DEP_1) | instskip(NEXT) | instid1(VALU_DEP_1)
	v_cvt_f16_f32_e32 v28, v17
	v_cvt_f32_f16_e32 v30, v28
	v_mov_b32_e32 v29, v28
.LBB380_54:
	s_or_b32 exec_lo, exec_lo, s28
	v_lshrrev_b32_e32 v10, 16, v10
	s_delay_alu instid0(VALU_DEP_3) | instskip(SKIP_1) | instid1(VALU_DEP_3)
	v_max_f32_e32 v18, v30, v30
	v_cmp_u_f16_e64 s27, v28, v28
	v_cvt_f32_f16_e32 v17, v10
	s_delay_alu instid0(VALU_DEP_1) | instskip(SKIP_1) | instid1(VALU_DEP_2)
	v_min_f32_e32 v19, v18, v17
	v_max_f32_e32 v18, v18, v17
	v_cndmask_b32_e64 v19, v19, v30, s27
	s_delay_alu instid0(VALU_DEP_2) | instskip(SKIP_1) | instid1(VALU_DEP_1)
	v_cndmask_b32_e64 v20, v18, v30, s27
	v_cmp_u_f16_e64 s27, v10, v10
	v_cndmask_b32_e64 v18, v19, v17, s27
	s_delay_alu instid0(VALU_DEP_3) | instskip(NEXT) | instid1(VALU_DEP_2)
	v_cndmask_b32_e64 v10, v20, v17, s27
	v_cmp_class_f32_e64 s29, v18, 0x1f8
	s_delay_alu instid0(VALU_DEP_2) | instskip(NEXT) | instid1(VALU_DEP_1)
	v_cmp_neq_f32_e64 s28, v18, v10
	s_or_b32 s28, s28, s29
	s_delay_alu instid0(SALU_CYCLE_1)
	s_and_saveexec_b32 s29, s28
	s_cbranch_execz .LBB380_56
; %bb.55:
	v_sub_f32_e32 v18, v18, v10
	s_delay_alu instid0(VALU_DEP_1) | instskip(NEXT) | instid1(VALU_DEP_1)
	v_mul_f32_e32 v19, 0x3fb8aa3b, v18
	v_fma_f32 v20, 0x3fb8aa3b, v18, -v19
	v_rndne_f32_e32 v21, v19
	s_delay_alu instid0(VALU_DEP_1) | instskip(SKIP_1) | instid1(VALU_DEP_2)
	v_dual_sub_f32 v19, v19, v21 :: v_dual_fmamk_f32 v20, v18, 0x32a5705f, v20
	v_cmp_ngt_f32_e64 s28, 0xc2ce8ed0, v18
	v_add_f32_e32 v19, v19, v20
	v_cvt_i32_f32_e32 v20, v21
	s_delay_alu instid0(VALU_DEP_2) | instskip(SKIP_2) | instid1(VALU_DEP_1)
	v_exp_f32_e32 v19, v19
	s_waitcnt_depctr 0xfff
	v_ldexp_f32 v19, v19, v20
	v_cndmask_b32_e64 v19, 0, v19, s28
	v_cmp_nlt_f32_e64 s28, 0x42b17218, v18
	s_delay_alu instid0(VALU_DEP_1) | instskip(NEXT) | instid1(VALU_DEP_1)
	v_cndmask_b32_e64 v20, 0x7f800000, v19, s28
	v_add_f32_e32 v21, 1.0, v20
	v_cmp_gt_f32_e64 s30, 0x33800000, |v20|
	s_delay_alu instid0(VALU_DEP_2) | instskip(NEXT) | instid1(VALU_DEP_1)
	v_cvt_f64_f32_e32 v[18:19], v21
	v_frexp_exp_i32_f64_e32 v18, v[18:19]
	v_frexp_mant_f32_e32 v19, v21
	s_delay_alu instid0(VALU_DEP_1) | instskip(SKIP_1) | instid1(VALU_DEP_1)
	v_cmp_gt_f32_e64 s28, 0x3f2aaaab, v19
	v_add_f32_e32 v19, -1.0, v21
	v_sub_f32_e32 v23, v19, v21
	v_sub_f32_e32 v19, v20, v19
	s_delay_alu instid0(VALU_DEP_2) | instskip(NEXT) | instid1(VALU_DEP_1)
	v_add_f32_e32 v23, 1.0, v23
	v_add_f32_e32 v19, v19, v23
	v_subrev_co_ci_u32_e64 v18, s28, 0, v18, s28
	s_mov_b32 s28, 0x3e9b6dac
	s_delay_alu instid0(VALU_DEP_1) | instskip(SKIP_1) | instid1(VALU_DEP_2)
	v_sub_nc_u32_e32 v22, 0, v18
	v_cvt_f32_i32_e32 v18, v18
	v_ldexp_f32 v21, v21, v22
	v_ldexp_f32 v19, v19, v22
	s_delay_alu instid0(VALU_DEP_2) | instskip(NEXT) | instid1(VALU_DEP_1)
	v_add_f32_e32 v24, 1.0, v21
	v_dual_add_f32 v22, -1.0, v21 :: v_dual_add_f32 v23, -1.0, v24
	s_delay_alu instid0(VALU_DEP_1) | instskip(NEXT) | instid1(VALU_DEP_1)
	v_dual_add_f32 v28, 1.0, v22 :: v_dual_sub_f32 v23, v21, v23
	v_add_f32_e32 v23, v19, v23
	s_delay_alu instid0(VALU_DEP_1) | instskip(NEXT) | instid1(VALU_DEP_1)
	v_dual_sub_f32 v21, v21, v28 :: v_dual_add_f32 v28, v24, v23
	v_sub_f32_e32 v24, v24, v28
	s_delay_alu instid0(VALU_DEP_1) | instskip(NEXT) | instid1(VALU_DEP_3)
	v_add_f32_e32 v23, v23, v24
	v_add_f32_e32 v19, v19, v21
	v_rcp_f32_e32 v21, v28
	s_delay_alu instid0(VALU_DEP_1) | instskip(NEXT) | instid1(VALU_DEP_1)
	v_add_f32_e32 v29, v22, v19
	v_sub_f32_e32 v22, v22, v29
	s_waitcnt_depctr 0xfff
	v_mul_f32_e32 v30, v29, v21
	s_delay_alu instid0(VALU_DEP_1) | instskip(NEXT) | instid1(VALU_DEP_1)
	v_mul_f32_e32 v31, v28, v30
	v_fma_f32 v24, v30, v28, -v31
	s_delay_alu instid0(VALU_DEP_1) | instskip(NEXT) | instid1(VALU_DEP_1)
	v_dual_fmac_f32 v24, v30, v23 :: v_dual_add_f32 v19, v19, v22
	v_add_f32_e32 v32, v31, v24
	s_delay_alu instid0(VALU_DEP_1) | instskip(NEXT) | instid1(VALU_DEP_1)
	v_dual_sub_f32 v33, v29, v32 :: v_dual_sub_f32 v22, v32, v31
	v_dual_sub_f32 v29, v29, v33 :: v_dual_sub_f32 v22, v22, v24
	s_delay_alu instid0(VALU_DEP_1) | instskip(NEXT) | instid1(VALU_DEP_1)
	v_sub_f32_e32 v29, v29, v32
	v_add_f32_e32 v19, v19, v29
	s_delay_alu instid0(VALU_DEP_1) | instskip(NEXT) | instid1(VALU_DEP_1)
	v_add_f32_e32 v19, v22, v19
	v_add_f32_e32 v22, v33, v19
	s_delay_alu instid0(VALU_DEP_1) | instskip(NEXT) | instid1(VALU_DEP_1)
	v_mul_f32_e32 v24, v21, v22
	v_mul_f32_e32 v29, v28, v24
	s_delay_alu instid0(VALU_DEP_1) | instskip(NEXT) | instid1(VALU_DEP_1)
	v_fma_f32 v28, v24, v28, -v29
	v_fmac_f32_e32 v28, v24, v23
	v_sub_f32_e32 v32, v33, v22
	s_delay_alu instid0(VALU_DEP_2) | instskip(NEXT) | instid1(VALU_DEP_2)
	v_add_f32_e32 v23, v29, v28
	v_add_f32_e32 v19, v19, v32
	s_delay_alu instid0(VALU_DEP_2) | instskip(NEXT) | instid1(VALU_DEP_1)
	v_sub_f32_e32 v31, v22, v23
	v_dual_sub_f32 v29, v23, v29 :: v_dual_sub_f32 v22, v22, v31
	s_delay_alu instid0(VALU_DEP_1) | instskip(NEXT) | instid1(VALU_DEP_1)
	v_dual_sub_f32 v22, v22, v23 :: v_dual_sub_f32 v23, v29, v28
	v_dual_add_f32 v19, v19, v22 :: v_dual_add_f32 v22, v30, v24
	s_delay_alu instid0(VALU_DEP_1) | instskip(NEXT) | instid1(VALU_DEP_2)
	v_add_f32_e32 v19, v23, v19
	v_sub_f32_e32 v23, v22, v30
	s_delay_alu instid0(VALU_DEP_2) | instskip(NEXT) | instid1(VALU_DEP_2)
	v_add_f32_e32 v19, v31, v19
	v_sub_f32_e32 v23, v24, v23
	s_delay_alu instid0(VALU_DEP_2) | instskip(NEXT) | instid1(VALU_DEP_1)
	v_mul_f32_e32 v19, v21, v19
	v_add_f32_e32 v19, v23, v19
	s_delay_alu instid0(VALU_DEP_1) | instskip(NEXT) | instid1(VALU_DEP_1)
	v_add_f32_e32 v21, v22, v19
	v_mul_f32_e32 v23, v21, v21
	s_delay_alu instid0(VALU_DEP_1) | instskip(SKIP_2) | instid1(VALU_DEP_3)
	v_fmaak_f32 v24, s28, v23, 0x3ecc95a3
	v_mul_f32_e32 v28, v21, v23
	v_cmp_eq_f32_e64 s28, 0x7f800000, v20
	v_fmaak_f32 v23, v23, v24, 0x3f2aaada
	v_ldexp_f32 v24, v21, 1
	v_sub_f32_e32 v21, v21, v22
	s_delay_alu instid0(VALU_DEP_4) | instskip(NEXT) | instid1(VALU_DEP_3)
	s_or_b32 s28, s28, s30
	v_dual_mul_f32 v23, v28, v23 :: v_dual_mul_f32 v28, 0x3f317218, v18
	s_delay_alu instid0(VALU_DEP_1) | instskip(NEXT) | instid1(VALU_DEP_1)
	v_dual_sub_f32 v19, v19, v21 :: v_dual_add_f32 v22, v24, v23
	v_ldexp_f32 v19, v19, 1
	s_delay_alu instid0(VALU_DEP_2) | instskip(NEXT) | instid1(VALU_DEP_4)
	v_sub_f32_e32 v21, v22, v24
	v_fma_f32 v24, 0x3f317218, v18, -v28
	s_delay_alu instid0(VALU_DEP_1) | instskip(NEXT) | instid1(VALU_DEP_1)
	v_dual_sub_f32 v21, v23, v21 :: v_dual_fmamk_f32 v18, v18, 0xb102e308, v24
	v_add_f32_e32 v19, v19, v21
	s_delay_alu instid0(VALU_DEP_2) | instskip(NEXT) | instid1(VALU_DEP_1)
	v_add_f32_e32 v21, v28, v18
	v_dual_add_f32 v23, v22, v19 :: v_dual_sub_f32 v28, v21, v28
	s_delay_alu instid0(VALU_DEP_1) | instskip(SKIP_1) | instid1(VALU_DEP_2)
	v_add_f32_e32 v24, v21, v23
	v_sub_f32_e32 v22, v23, v22
	v_dual_sub_f32 v18, v18, v28 :: v_dual_sub_f32 v29, v24, v21
	s_delay_alu instid0(VALU_DEP_1) | instskip(NEXT) | instid1(VALU_DEP_1)
	v_dual_sub_f32 v19, v19, v22 :: v_dual_sub_f32 v30, v24, v29
	v_dual_sub_f32 v22, v23, v29 :: v_dual_add_f32 v23, v18, v19
	s_delay_alu instid0(VALU_DEP_2) | instskip(NEXT) | instid1(VALU_DEP_1)
	v_sub_f32_e32 v21, v21, v30
	v_dual_add_f32 v21, v22, v21 :: v_dual_sub_f32 v22, v23, v18
	s_delay_alu instid0(VALU_DEP_1) | instskip(NEXT) | instid1(VALU_DEP_2)
	v_add_f32_e32 v21, v23, v21
	v_sub_f32_e32 v23, v23, v22
	s_delay_alu instid0(VALU_DEP_2) | instskip(NEXT) | instid1(VALU_DEP_2)
	v_dual_sub_f32 v19, v19, v22 :: v_dual_add_f32 v28, v24, v21
	v_sub_f32_e32 v18, v18, v23
	s_delay_alu instid0(VALU_DEP_2) | instskip(NEXT) | instid1(VALU_DEP_2)
	v_sub_f32_e32 v22, v28, v24
	v_add_f32_e32 v18, v19, v18
	s_delay_alu instid0(VALU_DEP_2) | instskip(NEXT) | instid1(VALU_DEP_1)
	v_sub_f32_e32 v19, v21, v22
	v_add_f32_e32 v18, v18, v19
	s_delay_alu instid0(VALU_DEP_1) | instskip(NEXT) | instid1(VALU_DEP_1)
	v_add_f32_e32 v18, v28, v18
	v_cndmask_b32_e64 v18, v18, v20, s28
	s_delay_alu instid0(VALU_DEP_1) | instskip(NEXT) | instid1(VALU_DEP_1)
	v_add_f32_e32 v10, v10, v18
	v_cvt_f16_f32_e32 v28, v10
	s_delay_alu instid0(VALU_DEP_1)
	v_cvt_f32_f16_e32 v30, v28
	v_mov_b32_e32 v29, v28
.LBB380_56:
	s_or_b32 exec_lo, exec_lo, s29
	v_cvt_f32_f16_e32 v10, v11
	s_delay_alu instid0(VALU_DEP_3) | instskip(SKIP_1) | instid1(VALU_DEP_2)
	v_max_f32_e32 v18, v30, v30
	v_cmp_u_f16_e64 s28, v28, v28
	v_min_f32_e32 v19, v18, v10
	v_max_f32_e32 v18, v18, v10
	s_delay_alu instid0(VALU_DEP_2) | instskip(NEXT) | instid1(VALU_DEP_2)
	v_cndmask_b32_e64 v19, v19, v30, s28
	v_cndmask_b32_e64 v18, v18, v30, s28
	v_cmp_u_f16_e64 s28, v11, v11
	s_delay_alu instid0(VALU_DEP_1) | instskip(NEXT) | instid1(VALU_DEP_3)
	v_cndmask_b32_e64 v19, v19, v10, s28
	v_cndmask_b32_e64 v18, v18, v10, s28
	s_delay_alu instid0(VALU_DEP_2) | instskip(NEXT) | instid1(VALU_DEP_2)
	v_cmp_class_f32_e64 s30, v19, 0x1f8
	v_cmp_neq_f32_e64 s29, v19, v18
	s_delay_alu instid0(VALU_DEP_1) | instskip(NEXT) | instid1(SALU_CYCLE_1)
	s_or_b32 s29, s29, s30
	s_and_saveexec_b32 s30, s29
	s_cbranch_execz .LBB380_58
; %bb.57:
	v_sub_f32_e32 v19, v19, v18
	s_delay_alu instid0(VALU_DEP_1) | instskip(NEXT) | instid1(VALU_DEP_1)
	v_mul_f32_e32 v20, 0x3fb8aa3b, v19
	v_fma_f32 v21, 0x3fb8aa3b, v19, -v20
	v_rndne_f32_e32 v22, v20
	s_delay_alu instid0(VALU_DEP_1) | instskip(NEXT) | instid1(VALU_DEP_1)
	v_dual_fmamk_f32 v21, v19, 0x32a5705f, v21 :: v_dual_sub_f32 v20, v20, v22
	v_add_f32_e32 v20, v20, v21
	v_cvt_i32_f32_e32 v21, v22
	v_cmp_ngt_f32_e64 s29, 0xc2ce8ed0, v19
	s_delay_alu instid0(VALU_DEP_3) | instskip(SKIP_2) | instid1(VALU_DEP_1)
	v_exp_f32_e32 v20, v20
	s_waitcnt_depctr 0xfff
	v_ldexp_f32 v20, v20, v21
	v_cndmask_b32_e64 v20, 0, v20, s29
	v_cmp_nlt_f32_e64 s29, 0x42b17218, v19
	s_delay_alu instid0(VALU_DEP_1) | instskip(NEXT) | instid1(VALU_DEP_1)
	v_cndmask_b32_e64 v21, 0x7f800000, v20, s29
	v_add_f32_e32 v22, 1.0, v21
	v_cmp_gt_f32_e64 s31, 0x33800000, |v21|
	s_delay_alu instid0(VALU_DEP_2) | instskip(NEXT) | instid1(VALU_DEP_1)
	v_cvt_f64_f32_e32 v[19:20], v22
	v_frexp_exp_i32_f64_e32 v19, v[19:20]
	v_frexp_mant_f32_e32 v20, v22
	s_delay_alu instid0(VALU_DEP_1) | instskip(SKIP_1) | instid1(VALU_DEP_1)
	v_cmp_gt_f32_e64 s29, 0x3f2aaaab, v20
	v_add_f32_e32 v20, -1.0, v22
	v_sub_f32_e32 v24, v20, v22
	v_sub_f32_e32 v20, v21, v20
	s_delay_alu instid0(VALU_DEP_2) | instskip(NEXT) | instid1(VALU_DEP_1)
	v_add_f32_e32 v24, 1.0, v24
	v_add_f32_e32 v20, v20, v24
	v_subrev_co_ci_u32_e64 v19, s29, 0, v19, s29
	s_mov_b32 s29, 0x3e9b6dac
	s_delay_alu instid0(VALU_DEP_1) | instskip(SKIP_1) | instid1(VALU_DEP_2)
	v_sub_nc_u32_e32 v23, 0, v19
	v_cvt_f32_i32_e32 v19, v19
	v_ldexp_f32 v22, v22, v23
	v_ldexp_f32 v20, v20, v23
	s_delay_alu instid0(VALU_DEP_2) | instskip(NEXT) | instid1(VALU_DEP_1)
	v_add_f32_e32 v28, 1.0, v22
	v_dual_add_f32 v23, -1.0, v22 :: v_dual_add_f32 v24, -1.0, v28
	s_delay_alu instid0(VALU_DEP_1) | instskip(NEXT) | instid1(VALU_DEP_1)
	v_dual_add_f32 v29, 1.0, v23 :: v_dual_sub_f32 v24, v22, v24
	v_sub_f32_e32 v22, v22, v29
	s_delay_alu instid0(VALU_DEP_2) | instskip(NEXT) | instid1(VALU_DEP_2)
	v_add_f32_e32 v24, v20, v24
	v_add_f32_e32 v20, v20, v22
	s_delay_alu instid0(VALU_DEP_2) | instskip(NEXT) | instid1(VALU_DEP_2)
	v_add_f32_e32 v29, v28, v24
	v_add_f32_e32 v30, v23, v20
	s_delay_alu instid0(VALU_DEP_2) | instskip(NEXT) | instid1(VALU_DEP_1)
	v_rcp_f32_e32 v22, v29
	v_dual_sub_f32 v28, v28, v29 :: v_dual_sub_f32 v23, v23, v30
	s_delay_alu instid0(VALU_DEP_1) | instskip(SKIP_2) | instid1(VALU_DEP_1)
	v_add_f32_e32 v24, v24, v28
	s_waitcnt_depctr 0xfff
	v_dual_add_f32 v20, v20, v23 :: v_dual_mul_f32 v31, v30, v22
	v_mul_f32_e32 v32, v29, v31
	s_delay_alu instid0(VALU_DEP_1) | instskip(NEXT) | instid1(VALU_DEP_1)
	v_fma_f32 v28, v31, v29, -v32
	v_fmac_f32_e32 v28, v31, v24
	s_delay_alu instid0(VALU_DEP_1) | instskip(NEXT) | instid1(VALU_DEP_1)
	v_add_f32_e32 v33, v32, v28
	v_dual_sub_f32 v34, v30, v33 :: v_dual_sub_f32 v23, v33, v32
	s_delay_alu instid0(VALU_DEP_1) | instskip(NEXT) | instid1(VALU_DEP_1)
	v_dual_sub_f32 v30, v30, v34 :: v_dual_sub_f32 v23, v23, v28
	v_sub_f32_e32 v30, v30, v33
	s_delay_alu instid0(VALU_DEP_1) | instskip(NEXT) | instid1(VALU_DEP_1)
	v_add_f32_e32 v20, v20, v30
	v_add_f32_e32 v20, v23, v20
	s_delay_alu instid0(VALU_DEP_1) | instskip(NEXT) | instid1(VALU_DEP_1)
	v_add_f32_e32 v23, v34, v20
	v_mul_f32_e32 v28, v22, v23
	s_delay_alu instid0(VALU_DEP_1) | instskip(NEXT) | instid1(VALU_DEP_1)
	v_dual_sub_f32 v33, v34, v23 :: v_dual_mul_f32 v30, v29, v28
	v_add_f32_e32 v20, v20, v33
	s_delay_alu instid0(VALU_DEP_2) | instskip(NEXT) | instid1(VALU_DEP_1)
	v_fma_f32 v29, v28, v29, -v30
	v_fmac_f32_e32 v29, v28, v24
	s_delay_alu instid0(VALU_DEP_1) | instskip(NEXT) | instid1(VALU_DEP_1)
	v_add_f32_e32 v24, v30, v29
	v_sub_f32_e32 v32, v23, v24
	s_delay_alu instid0(VALU_DEP_1) | instskip(NEXT) | instid1(VALU_DEP_1)
	v_dual_sub_f32 v30, v24, v30 :: v_dual_sub_f32 v23, v23, v32
	v_dual_sub_f32 v23, v23, v24 :: v_dual_sub_f32 v24, v30, v29
	s_delay_alu instid0(VALU_DEP_1) | instskip(NEXT) | instid1(VALU_DEP_1)
	v_dual_add_f32 v20, v20, v23 :: v_dual_add_f32 v23, v31, v28
	v_add_f32_e32 v20, v24, v20
	s_delay_alu instid0(VALU_DEP_2) | instskip(NEXT) | instid1(VALU_DEP_2)
	v_sub_f32_e32 v24, v23, v31
	v_add_f32_e32 v20, v32, v20
	s_delay_alu instid0(VALU_DEP_2) | instskip(NEXT) | instid1(VALU_DEP_2)
	v_sub_f32_e32 v24, v28, v24
	v_mul_f32_e32 v20, v22, v20
	s_delay_alu instid0(VALU_DEP_1) | instskip(NEXT) | instid1(VALU_DEP_1)
	v_add_f32_e32 v20, v24, v20
	v_add_f32_e32 v22, v23, v20
	s_delay_alu instid0(VALU_DEP_1) | instskip(NEXT) | instid1(VALU_DEP_1)
	v_mul_f32_e32 v24, v22, v22
	v_fmaak_f32 v28, s29, v24, 0x3ecc95a3
	v_mul_f32_e32 v29, v22, v24
	v_cmp_eq_f32_e64 s29, 0x7f800000, v21
	s_delay_alu instid0(VALU_DEP_3) | instskip(SKIP_2) | instid1(VALU_DEP_4)
	v_fmaak_f32 v24, v24, v28, 0x3f2aaada
	v_ldexp_f32 v28, v22, 1
	v_sub_f32_e32 v22, v22, v23
	s_or_b32 s29, s29, s31
	s_delay_alu instid0(VALU_DEP_3) | instskip(NEXT) | instid1(VALU_DEP_2)
	v_dual_mul_f32 v24, v29, v24 :: v_dual_mul_f32 v29, 0x3f317218, v19
	v_sub_f32_e32 v20, v20, v22
	s_delay_alu instid0(VALU_DEP_2) | instskip(NEXT) | instid1(VALU_DEP_2)
	v_add_f32_e32 v23, v28, v24
	v_ldexp_f32 v20, v20, 1
	s_delay_alu instid0(VALU_DEP_2) | instskip(SKIP_1) | instid1(VALU_DEP_1)
	v_sub_f32_e32 v22, v23, v28
	v_fma_f32 v28, 0x3f317218, v19, -v29
	v_dual_sub_f32 v22, v24, v22 :: v_dual_fmamk_f32 v19, v19, 0xb102e308, v28
	s_delay_alu instid0(VALU_DEP_1) | instskip(NEXT) | instid1(VALU_DEP_2)
	v_add_f32_e32 v20, v20, v22
	v_add_f32_e32 v22, v29, v19
	s_delay_alu instid0(VALU_DEP_1) | instskip(NEXT) | instid1(VALU_DEP_1)
	v_dual_add_f32 v24, v23, v20 :: v_dual_sub_f32 v29, v22, v29
	v_dual_add_f32 v28, v22, v24 :: v_dual_sub_f32 v23, v24, v23
	s_delay_alu instid0(VALU_DEP_1) | instskip(NEXT) | instid1(VALU_DEP_2)
	v_dual_sub_f32 v19, v19, v29 :: v_dual_sub_f32 v30, v28, v22
	v_sub_f32_e32 v20, v20, v23
	s_delay_alu instid0(VALU_DEP_2) | instskip(NEXT) | instid1(VALU_DEP_2)
	v_sub_f32_e32 v31, v28, v30
	v_dual_sub_f32 v23, v24, v30 :: v_dual_add_f32 v24, v19, v20
	s_delay_alu instid0(VALU_DEP_2) | instskip(NEXT) | instid1(VALU_DEP_1)
	v_sub_f32_e32 v22, v22, v31
	v_dual_add_f32 v22, v23, v22 :: v_dual_sub_f32 v23, v24, v19
	s_delay_alu instid0(VALU_DEP_1) | instskip(NEXT) | instid1(VALU_DEP_2)
	v_add_f32_e32 v22, v24, v22
	v_sub_f32_e32 v24, v24, v23
	v_sub_f32_e32 v20, v20, v23
	s_delay_alu instid0(VALU_DEP_3) | instskip(NEXT) | instid1(VALU_DEP_3)
	v_add_f32_e32 v29, v28, v22
	v_sub_f32_e32 v19, v19, v24
	s_delay_alu instid0(VALU_DEP_2) | instskip(NEXT) | instid1(VALU_DEP_2)
	v_sub_f32_e32 v23, v29, v28
	v_add_f32_e32 v19, v20, v19
	s_delay_alu instid0(VALU_DEP_2) | instskip(NEXT) | instid1(VALU_DEP_1)
	v_sub_f32_e32 v20, v22, v23
	v_add_f32_e32 v19, v19, v20
	s_delay_alu instid0(VALU_DEP_1) | instskip(NEXT) | instid1(VALU_DEP_1)
	v_add_f32_e32 v19, v29, v19
	v_cndmask_b32_e64 v19, v19, v21, s29
	s_delay_alu instid0(VALU_DEP_1) | instskip(NEXT) | instid1(VALU_DEP_1)
	v_add_f32_e32 v18, v18, v19
	v_cvt_f16_f32_e32 v28, v18
	s_delay_alu instid0(VALU_DEP_1)
	v_mov_b32_e32 v29, v28
	v_cvt_f32_f16_e32 v30, v28
.LBB380_58:
	s_or_b32 exec_lo, exec_lo, s30
	v_lshrrev_b32_e32 v11, 16, v11
	s_delay_alu instid0(VALU_DEP_2) | instskip(SKIP_1) | instid1(VALU_DEP_3)
	v_max_f32_e32 v19, v30, v30
	v_cmp_u_f16_e64 s29, v28, v28
	v_cvt_f32_f16_e32 v18, v11
	s_delay_alu instid0(VALU_DEP_1) | instskip(SKIP_1) | instid1(VALU_DEP_2)
	v_min_f32_e32 v20, v19, v18
	v_max_f32_e32 v19, v19, v18
	v_cndmask_b32_e64 v20, v20, v30, s29
	s_delay_alu instid0(VALU_DEP_2) | instskip(SKIP_1) | instid1(VALU_DEP_1)
	v_cndmask_b32_e64 v21, v19, v30, s29
	v_cmp_u_f16_e64 s29, v11, v11
	v_cndmask_b32_e64 v19, v20, v18, s29
	s_delay_alu instid0(VALU_DEP_3) | instskip(NEXT) | instid1(VALU_DEP_2)
	v_cndmask_b32_e64 v11, v21, v18, s29
	v_cmp_class_f32_e64 s31, v19, 0x1f8
	s_delay_alu instid0(VALU_DEP_2) | instskip(NEXT) | instid1(VALU_DEP_1)
	v_cmp_neq_f32_e64 s30, v19, v11
	s_or_b32 s30, s30, s31
	s_delay_alu instid0(SALU_CYCLE_1)
	s_and_saveexec_b32 s31, s30
	s_cbranch_execz .LBB380_60
; %bb.59:
	v_sub_f32_e32 v19, v19, v11
	s_delay_alu instid0(VALU_DEP_1) | instskip(NEXT) | instid1(VALU_DEP_1)
	v_mul_f32_e32 v20, 0x3fb8aa3b, v19
	v_fma_f32 v21, 0x3fb8aa3b, v19, -v20
	v_rndne_f32_e32 v22, v20
	s_delay_alu instid0(VALU_DEP_1) | instskip(SKIP_1) | instid1(VALU_DEP_2)
	v_dual_sub_f32 v20, v20, v22 :: v_dual_fmamk_f32 v21, v19, 0x32a5705f, v21
	v_cmp_ngt_f32_e64 s30, 0xc2ce8ed0, v19
	v_add_f32_e32 v20, v20, v21
	v_cvt_i32_f32_e32 v21, v22
	s_delay_alu instid0(VALU_DEP_2) | instskip(SKIP_2) | instid1(VALU_DEP_1)
	v_exp_f32_e32 v20, v20
	s_waitcnt_depctr 0xfff
	v_ldexp_f32 v20, v20, v21
	v_cndmask_b32_e64 v20, 0, v20, s30
	v_cmp_nlt_f32_e64 s30, 0x42b17218, v19
	s_delay_alu instid0(VALU_DEP_1) | instskip(NEXT) | instid1(VALU_DEP_1)
	v_cndmask_b32_e64 v21, 0x7f800000, v20, s30
	v_add_f32_e32 v22, 1.0, v21
	v_cmp_gt_f32_e64 s33, 0x33800000, |v21|
	s_delay_alu instid0(VALU_DEP_2) | instskip(NEXT) | instid1(VALU_DEP_1)
	v_cvt_f64_f32_e32 v[19:20], v22
	v_frexp_exp_i32_f64_e32 v19, v[19:20]
	v_frexp_mant_f32_e32 v20, v22
	s_delay_alu instid0(VALU_DEP_1) | instskip(SKIP_1) | instid1(VALU_DEP_1)
	v_cmp_gt_f32_e64 s30, 0x3f2aaaab, v20
	v_add_f32_e32 v20, -1.0, v22
	v_sub_f32_e32 v24, v20, v22
	v_sub_f32_e32 v20, v21, v20
	s_delay_alu instid0(VALU_DEP_2) | instskip(NEXT) | instid1(VALU_DEP_1)
	v_add_f32_e32 v24, 1.0, v24
	v_add_f32_e32 v20, v20, v24
	v_subrev_co_ci_u32_e64 v19, s30, 0, v19, s30
	s_mov_b32 s30, 0x3e9b6dac
	s_delay_alu instid0(VALU_DEP_1) | instskip(SKIP_1) | instid1(VALU_DEP_2)
	v_sub_nc_u32_e32 v23, 0, v19
	v_cvt_f32_i32_e32 v19, v19
	v_ldexp_f32 v22, v22, v23
	v_ldexp_f32 v20, v20, v23
	s_delay_alu instid0(VALU_DEP_2) | instskip(NEXT) | instid1(VALU_DEP_1)
	v_add_f32_e32 v28, 1.0, v22
	v_dual_add_f32 v23, -1.0, v22 :: v_dual_add_f32 v24, -1.0, v28
	s_delay_alu instid0(VALU_DEP_1) | instskip(NEXT) | instid1(VALU_DEP_1)
	v_dual_add_f32 v29, 1.0, v23 :: v_dual_sub_f32 v24, v22, v24
	v_sub_f32_e32 v22, v22, v29
	s_delay_alu instid0(VALU_DEP_2) | instskip(NEXT) | instid1(VALU_DEP_2)
	v_add_f32_e32 v24, v20, v24
	v_add_f32_e32 v20, v20, v22
	s_delay_alu instid0(VALU_DEP_2) | instskip(NEXT) | instid1(VALU_DEP_2)
	v_add_f32_e32 v29, v28, v24
	v_add_f32_e32 v30, v23, v20
	s_delay_alu instid0(VALU_DEP_2) | instskip(NEXT) | instid1(VALU_DEP_1)
	v_rcp_f32_e32 v22, v29
	v_dual_sub_f32 v28, v28, v29 :: v_dual_sub_f32 v23, v23, v30
	s_delay_alu instid0(VALU_DEP_1) | instskip(SKIP_2) | instid1(VALU_DEP_1)
	v_add_f32_e32 v24, v24, v28
	s_waitcnt_depctr 0xfff
	v_dual_add_f32 v20, v20, v23 :: v_dual_mul_f32 v31, v30, v22
	v_mul_f32_e32 v32, v29, v31
	s_delay_alu instid0(VALU_DEP_1) | instskip(NEXT) | instid1(VALU_DEP_1)
	v_fma_f32 v28, v31, v29, -v32
	v_fmac_f32_e32 v28, v31, v24
	s_delay_alu instid0(VALU_DEP_1) | instskip(NEXT) | instid1(VALU_DEP_1)
	v_add_f32_e32 v33, v32, v28
	v_dual_sub_f32 v34, v30, v33 :: v_dual_sub_f32 v23, v33, v32
	s_delay_alu instid0(VALU_DEP_1) | instskip(NEXT) | instid1(VALU_DEP_1)
	v_dual_sub_f32 v30, v30, v34 :: v_dual_sub_f32 v23, v23, v28
	v_sub_f32_e32 v30, v30, v33
	s_delay_alu instid0(VALU_DEP_1) | instskip(NEXT) | instid1(VALU_DEP_1)
	v_add_f32_e32 v20, v20, v30
	v_add_f32_e32 v20, v23, v20
	s_delay_alu instid0(VALU_DEP_1) | instskip(NEXT) | instid1(VALU_DEP_1)
	v_add_f32_e32 v23, v34, v20
	v_mul_f32_e32 v28, v22, v23
	s_delay_alu instid0(VALU_DEP_1) | instskip(NEXT) | instid1(VALU_DEP_1)
	v_dual_sub_f32 v33, v34, v23 :: v_dual_mul_f32 v30, v29, v28
	v_add_f32_e32 v20, v20, v33
	s_delay_alu instid0(VALU_DEP_2) | instskip(NEXT) | instid1(VALU_DEP_1)
	v_fma_f32 v29, v28, v29, -v30
	v_fmac_f32_e32 v29, v28, v24
	s_delay_alu instid0(VALU_DEP_1) | instskip(NEXT) | instid1(VALU_DEP_1)
	v_add_f32_e32 v24, v30, v29
	v_sub_f32_e32 v32, v23, v24
	s_delay_alu instid0(VALU_DEP_1) | instskip(NEXT) | instid1(VALU_DEP_1)
	v_dual_sub_f32 v30, v24, v30 :: v_dual_sub_f32 v23, v23, v32
	v_dual_sub_f32 v23, v23, v24 :: v_dual_sub_f32 v24, v30, v29
	s_delay_alu instid0(VALU_DEP_1) | instskip(NEXT) | instid1(VALU_DEP_1)
	v_dual_add_f32 v20, v20, v23 :: v_dual_add_f32 v23, v31, v28
	v_add_f32_e32 v20, v24, v20
	s_delay_alu instid0(VALU_DEP_2) | instskip(NEXT) | instid1(VALU_DEP_2)
	v_sub_f32_e32 v24, v23, v31
	v_add_f32_e32 v20, v32, v20
	s_delay_alu instid0(VALU_DEP_2) | instskip(NEXT) | instid1(VALU_DEP_2)
	v_sub_f32_e32 v24, v28, v24
	v_mul_f32_e32 v20, v22, v20
	s_delay_alu instid0(VALU_DEP_1) | instskip(NEXT) | instid1(VALU_DEP_1)
	v_add_f32_e32 v20, v24, v20
	v_add_f32_e32 v22, v23, v20
	s_delay_alu instid0(VALU_DEP_1) | instskip(NEXT) | instid1(VALU_DEP_1)
	v_mul_f32_e32 v24, v22, v22
	v_fmaak_f32 v28, s30, v24, 0x3ecc95a3
	v_mul_f32_e32 v29, v22, v24
	v_cmp_eq_f32_e64 s30, 0x7f800000, v21
	s_delay_alu instid0(VALU_DEP_3) | instskip(SKIP_2) | instid1(VALU_DEP_4)
	v_fmaak_f32 v24, v24, v28, 0x3f2aaada
	v_ldexp_f32 v28, v22, 1
	v_sub_f32_e32 v22, v22, v23
	s_or_b32 s30, s30, s33
	s_delay_alu instid0(VALU_DEP_3) | instskip(NEXT) | instid1(VALU_DEP_2)
	v_dual_mul_f32 v24, v29, v24 :: v_dual_mul_f32 v29, 0x3f317218, v19
	v_sub_f32_e32 v20, v20, v22
	s_delay_alu instid0(VALU_DEP_2) | instskip(NEXT) | instid1(VALU_DEP_2)
	v_add_f32_e32 v23, v28, v24
	v_ldexp_f32 v20, v20, 1
	s_delay_alu instid0(VALU_DEP_2) | instskip(SKIP_1) | instid1(VALU_DEP_1)
	v_sub_f32_e32 v22, v23, v28
	v_fma_f32 v28, 0x3f317218, v19, -v29
	v_dual_sub_f32 v22, v24, v22 :: v_dual_fmamk_f32 v19, v19, 0xb102e308, v28
	s_delay_alu instid0(VALU_DEP_1) | instskip(NEXT) | instid1(VALU_DEP_2)
	v_add_f32_e32 v20, v20, v22
	v_add_f32_e32 v22, v29, v19
	s_delay_alu instid0(VALU_DEP_1) | instskip(NEXT) | instid1(VALU_DEP_1)
	v_dual_add_f32 v24, v23, v20 :: v_dual_sub_f32 v29, v22, v29
	v_dual_add_f32 v28, v22, v24 :: v_dual_sub_f32 v23, v24, v23
	s_delay_alu instid0(VALU_DEP_1) | instskip(NEXT) | instid1(VALU_DEP_2)
	v_dual_sub_f32 v19, v19, v29 :: v_dual_sub_f32 v30, v28, v22
	v_sub_f32_e32 v20, v20, v23
	s_delay_alu instid0(VALU_DEP_2) | instskip(NEXT) | instid1(VALU_DEP_2)
	v_sub_f32_e32 v31, v28, v30
	v_dual_sub_f32 v23, v24, v30 :: v_dual_add_f32 v24, v19, v20
	s_delay_alu instid0(VALU_DEP_2) | instskip(NEXT) | instid1(VALU_DEP_1)
	v_sub_f32_e32 v22, v22, v31
	v_dual_add_f32 v22, v23, v22 :: v_dual_sub_f32 v23, v24, v19
	s_delay_alu instid0(VALU_DEP_1) | instskip(NEXT) | instid1(VALU_DEP_2)
	v_add_f32_e32 v22, v24, v22
	v_sub_f32_e32 v24, v24, v23
	v_sub_f32_e32 v20, v20, v23
	s_delay_alu instid0(VALU_DEP_3) | instskip(NEXT) | instid1(VALU_DEP_3)
	v_add_f32_e32 v29, v28, v22
	v_sub_f32_e32 v19, v19, v24
	s_delay_alu instid0(VALU_DEP_2) | instskip(NEXT) | instid1(VALU_DEP_2)
	v_sub_f32_e32 v23, v29, v28
	v_add_f32_e32 v19, v20, v19
	s_delay_alu instid0(VALU_DEP_2) | instskip(NEXT) | instid1(VALU_DEP_1)
	v_sub_f32_e32 v20, v22, v23
	v_add_f32_e32 v19, v19, v20
	s_delay_alu instid0(VALU_DEP_1) | instskip(NEXT) | instid1(VALU_DEP_1)
	v_add_f32_e32 v19, v29, v19
	v_cndmask_b32_e64 v19, v19, v21, s30
	s_delay_alu instid0(VALU_DEP_1) | instskip(NEXT) | instid1(VALU_DEP_1)
	v_add_f32_e32 v11, v11, v19
	v_cvt_f16_f32_e32 v28, v11
	s_delay_alu instid0(VALU_DEP_1)
	v_mov_b32_e32 v29, v28
	v_cvt_f32_f16_e32 v30, v28
.LBB380_60:
	s_or_b32 exec_lo, exec_lo, s31
	v_cvt_f32_f16_e32 v11, v8
	s_delay_alu instid0(VALU_DEP_2) | instskip(SKIP_1) | instid1(VALU_DEP_2)
	v_max_f32_e32 v19, v30, v30
	v_cmp_u_f16_e64 s30, v28, v28
	v_min_f32_e32 v20, v19, v11
	v_max_f32_e32 v19, v19, v11
	s_delay_alu instid0(VALU_DEP_2) | instskip(NEXT) | instid1(VALU_DEP_2)
	v_cndmask_b32_e64 v20, v20, v30, s30
	v_cndmask_b32_e64 v19, v19, v30, s30
	v_cmp_u_f16_e64 s30, v8, v8
	s_delay_alu instid0(VALU_DEP_1) | instskip(NEXT) | instid1(VALU_DEP_3)
	v_cndmask_b32_e64 v20, v20, v11, s30
	v_cndmask_b32_e64 v19, v19, v11, s30
	s_delay_alu instid0(VALU_DEP_2) | instskip(NEXT) | instid1(VALU_DEP_2)
	v_cmp_class_f32_e64 s33, v20, 0x1f8
	v_cmp_neq_f32_e64 s31, v20, v19
	s_delay_alu instid0(VALU_DEP_1) | instskip(NEXT) | instid1(SALU_CYCLE_1)
	s_or_b32 s31, s31, s33
	s_and_saveexec_b32 s33, s31
	s_cbranch_execz .LBB380_62
; %bb.61:
	v_sub_f32_e32 v20, v20, v19
	s_delay_alu instid0(VALU_DEP_1) | instskip(NEXT) | instid1(VALU_DEP_1)
	v_mul_f32_e32 v21, 0x3fb8aa3b, v20
	v_fma_f32 v22, 0x3fb8aa3b, v20, -v21
	v_rndne_f32_e32 v23, v21
	s_delay_alu instid0(VALU_DEP_1) | instskip(NEXT) | instid1(VALU_DEP_1)
	v_dual_fmamk_f32 v22, v20, 0x32a5705f, v22 :: v_dual_sub_f32 v21, v21, v23
	v_add_f32_e32 v21, v21, v22
	v_cvt_i32_f32_e32 v22, v23
	v_cmp_ngt_f32_e64 s31, 0xc2ce8ed0, v20
	s_delay_alu instid0(VALU_DEP_3) | instskip(SKIP_2) | instid1(VALU_DEP_1)
	v_exp_f32_e32 v21, v21
	s_waitcnt_depctr 0xfff
	v_ldexp_f32 v21, v21, v22
	v_cndmask_b32_e64 v21, 0, v21, s31
	v_cmp_nlt_f32_e64 s31, 0x42b17218, v20
	s_delay_alu instid0(VALU_DEP_1) | instskip(NEXT) | instid1(VALU_DEP_1)
	v_cndmask_b32_e64 v22, 0x7f800000, v21, s31
	v_add_f32_e32 v23, 1.0, v22
	v_cmp_gt_f32_e64 s34, 0x33800000, |v22|
	s_delay_alu instid0(VALU_DEP_2) | instskip(NEXT) | instid1(VALU_DEP_1)
	v_cvt_f64_f32_e32 v[20:21], v23
	v_frexp_exp_i32_f64_e32 v20, v[20:21]
	v_frexp_mant_f32_e32 v21, v23
	s_delay_alu instid0(VALU_DEP_1) | instskip(SKIP_1) | instid1(VALU_DEP_1)
	v_cmp_gt_f32_e64 s31, 0x3f2aaaab, v21
	v_add_f32_e32 v21, -1.0, v23
	v_dual_sub_f32 v28, v21, v23 :: v_dual_sub_f32 v21, v22, v21
	s_delay_alu instid0(VALU_DEP_1) | instskip(NEXT) | instid1(VALU_DEP_4)
	v_add_f32_e32 v28, 1.0, v28
	v_subrev_co_ci_u32_e64 v20, s31, 0, v20, s31
	s_mov_b32 s31, 0x3e9b6dac
	s_delay_alu instid0(VALU_DEP_1) | instskip(SKIP_1) | instid1(VALU_DEP_2)
	v_sub_nc_u32_e32 v24, 0, v20
	v_cvt_f32_i32_e32 v20, v20
	v_ldexp_f32 v23, v23, v24
	v_add_f32_e32 v21, v21, v28
	s_delay_alu instid0(VALU_DEP_1) | instskip(NEXT) | instid1(VALU_DEP_3)
	v_ldexp_f32 v21, v21, v24
	v_add_f32_e32 v24, -1.0, v23
	s_delay_alu instid0(VALU_DEP_1) | instskip(NEXT) | instid1(VALU_DEP_1)
	v_dual_add_f32 v29, 1.0, v23 :: v_dual_add_f32 v30, 1.0, v24
	v_add_f32_e32 v28, -1.0, v29
	s_delay_alu instid0(VALU_DEP_1) | instskip(NEXT) | instid1(VALU_DEP_1)
	v_sub_f32_e32 v28, v23, v28
	v_dual_sub_f32 v23, v23, v30 :: v_dual_add_f32 v28, v21, v28
	s_delay_alu instid0(VALU_DEP_1) | instskip(NEXT) | instid1(VALU_DEP_1)
	v_add_f32_e32 v21, v21, v23
	v_dual_add_f32 v30, v29, v28 :: v_dual_add_f32 v31, v24, v21
	s_delay_alu instid0(VALU_DEP_1) | instskip(NEXT) | instid1(VALU_DEP_1)
	v_rcp_f32_e32 v23, v30
	v_dual_sub_f32 v29, v29, v30 :: v_dual_sub_f32 v24, v24, v31
	s_delay_alu instid0(VALU_DEP_1) | instskip(SKIP_2) | instid1(VALU_DEP_1)
	v_dual_add_f32 v28, v28, v29 :: v_dual_add_f32 v21, v21, v24
	s_waitcnt_depctr 0xfff
	v_mul_f32_e32 v32, v31, v23
	v_mul_f32_e32 v33, v30, v32
	s_delay_alu instid0(VALU_DEP_1) | instskip(NEXT) | instid1(VALU_DEP_1)
	v_fma_f32 v29, v32, v30, -v33
	v_fmac_f32_e32 v29, v32, v28
	s_delay_alu instid0(VALU_DEP_1) | instskip(NEXT) | instid1(VALU_DEP_1)
	v_add_f32_e32 v34, v33, v29
	v_sub_f32_e32 v35, v31, v34
	s_delay_alu instid0(VALU_DEP_1) | instskip(NEXT) | instid1(VALU_DEP_1)
	v_dual_sub_f32 v31, v31, v35 :: v_dual_sub_f32 v24, v34, v33
	v_dual_sub_f32 v31, v31, v34 :: v_dual_sub_f32 v24, v24, v29
	s_delay_alu instid0(VALU_DEP_1) | instskip(NEXT) | instid1(VALU_DEP_1)
	v_add_f32_e32 v21, v21, v31
	v_add_f32_e32 v21, v24, v21
	s_delay_alu instid0(VALU_DEP_1) | instskip(NEXT) | instid1(VALU_DEP_1)
	v_add_f32_e32 v24, v35, v21
	v_mul_f32_e32 v29, v23, v24
	s_delay_alu instid0(VALU_DEP_1) | instskip(NEXT) | instid1(VALU_DEP_1)
	v_dual_sub_f32 v34, v35, v24 :: v_dual_mul_f32 v31, v30, v29
	v_fma_f32 v30, v29, v30, -v31
	s_delay_alu instid0(VALU_DEP_1) | instskip(NEXT) | instid1(VALU_DEP_1)
	v_fmac_f32_e32 v30, v29, v28
	v_add_f32_e32 v28, v31, v30
	s_delay_alu instid0(VALU_DEP_1) | instskip(NEXT) | instid1(VALU_DEP_1)
	v_sub_f32_e32 v33, v24, v28
	v_sub_f32_e32 v24, v24, v33
	s_delay_alu instid0(VALU_DEP_1) | instskip(SKIP_1) | instid1(VALU_DEP_1)
	v_sub_f32_e32 v24, v24, v28
	v_sub_f32_e32 v31, v28, v31
	;; [unrolled: 1-line block ×3, first 2 shown]
	v_add_f32_e32 v21, v21, v34
	s_delay_alu instid0(VALU_DEP_1) | instskip(NEXT) | instid1(VALU_DEP_1)
	v_dual_add_f32 v21, v21, v24 :: v_dual_add_f32 v24, v32, v29
	v_add_f32_e32 v21, v28, v21
	s_delay_alu instid0(VALU_DEP_1) | instskip(NEXT) | instid1(VALU_DEP_1)
	v_dual_sub_f32 v28, v24, v32 :: v_dual_add_f32 v21, v33, v21
	v_dual_sub_f32 v28, v29, v28 :: v_dual_mul_f32 v21, v23, v21
	s_delay_alu instid0(VALU_DEP_1) | instskip(NEXT) | instid1(VALU_DEP_1)
	v_add_f32_e32 v21, v28, v21
	v_add_f32_e32 v23, v24, v21
	s_delay_alu instid0(VALU_DEP_1) | instskip(NEXT) | instid1(VALU_DEP_1)
	v_mul_f32_e32 v28, v23, v23
	v_fmaak_f32 v29, s31, v28, 0x3ecc95a3
	v_mul_f32_e32 v30, v23, v28
	v_cmp_eq_f32_e64 s31, 0x7f800000, v22
	s_delay_alu instid0(VALU_DEP_3) | instskip(NEXT) | instid1(VALU_DEP_2)
	v_fmaak_f32 v28, v28, v29, 0x3f2aaada
	s_or_b32 s31, s31, s34
	s_delay_alu instid0(VALU_DEP_1) | instskip(SKIP_3) | instid1(VALU_DEP_2)
	v_mul_f32_e32 v28, v30, v28
	v_mul_f32_e32 v30, 0x3f317218, v20
	v_ldexp_f32 v29, v23, 1
	v_sub_f32_e32 v23, v23, v24
	v_add_f32_e32 v24, v29, v28
	s_delay_alu instid0(VALU_DEP_2) | instskip(NEXT) | instid1(VALU_DEP_2)
	v_sub_f32_e32 v21, v21, v23
	v_sub_f32_e32 v23, v24, v29
	v_fma_f32 v29, 0x3f317218, v20, -v30
	s_delay_alu instid0(VALU_DEP_2) | instskip(NEXT) | instid1(VALU_DEP_2)
	v_sub_f32_e32 v23, v28, v23
	v_fmamk_f32 v20, v20, 0xb102e308, v29
	v_ldexp_f32 v21, v21, 1
	s_delay_alu instid0(VALU_DEP_1) | instskip(NEXT) | instid1(VALU_DEP_3)
	v_add_f32_e32 v21, v21, v23
	v_add_f32_e32 v23, v30, v20
	s_delay_alu instid0(VALU_DEP_1) | instskip(NEXT) | instid1(VALU_DEP_3)
	v_sub_f32_e32 v30, v23, v30
	v_add_f32_e32 v28, v24, v21
	s_delay_alu instid0(VALU_DEP_1) | instskip(NEXT) | instid1(VALU_DEP_1)
	v_dual_sub_f32 v20, v20, v30 :: v_dual_add_f32 v29, v23, v28
	v_dual_sub_f32 v24, v28, v24 :: v_dual_sub_f32 v31, v29, v23
	s_delay_alu instid0(VALU_DEP_1) | instskip(SKIP_1) | instid1(VALU_DEP_1)
	v_dual_sub_f32 v21, v21, v24 :: v_dual_sub_f32 v24, v28, v31
	v_sub_f32_e32 v32, v29, v31
	v_dual_add_f32 v28, v20, v21 :: v_dual_sub_f32 v23, v23, v32
	s_delay_alu instid0(VALU_DEP_1) | instskip(NEXT) | instid1(VALU_DEP_2)
	v_add_f32_e32 v23, v24, v23
	v_sub_f32_e32 v24, v28, v20
	s_delay_alu instid0(VALU_DEP_2) | instskip(NEXT) | instid1(VALU_DEP_2)
	v_add_f32_e32 v23, v28, v23
	v_sub_f32_e32 v28, v28, v24
	v_sub_f32_e32 v21, v21, v24
	s_delay_alu instid0(VALU_DEP_3) | instskip(NEXT) | instid1(VALU_DEP_3)
	v_add_f32_e32 v30, v29, v23
	v_sub_f32_e32 v20, v20, v28
	s_delay_alu instid0(VALU_DEP_2) | instskip(NEXT) | instid1(VALU_DEP_2)
	v_sub_f32_e32 v24, v30, v29
	v_add_f32_e32 v20, v21, v20
	s_delay_alu instid0(VALU_DEP_2) | instskip(NEXT) | instid1(VALU_DEP_1)
	v_sub_f32_e32 v21, v23, v24
	v_add_f32_e32 v20, v20, v21
	s_delay_alu instid0(VALU_DEP_1) | instskip(NEXT) | instid1(VALU_DEP_1)
	v_add_f32_e32 v20, v30, v20
	v_cndmask_b32_e64 v20, v20, v22, s31
	s_delay_alu instid0(VALU_DEP_1) | instskip(NEXT) | instid1(VALU_DEP_1)
	v_add_f32_e32 v19, v19, v20
	v_cvt_f16_f32_e32 v28, v19
	s_delay_alu instid0(VALU_DEP_1)
	v_cvt_f32_f16_e32 v30, v28
	v_mov_b32_e32 v29, v28
.LBB380_62:
	s_or_b32 exec_lo, exec_lo, s33
	v_lshrrev_b32_e32 v8, 16, v8
	s_delay_alu instid0(VALU_DEP_3) | instskip(SKIP_1) | instid1(VALU_DEP_3)
	v_max_f32_e32 v20, v30, v30
	v_cmp_u_f16_e64 s31, v28, v28
	v_cvt_f32_f16_e32 v19, v8
	s_delay_alu instid0(VALU_DEP_1) | instskip(SKIP_1) | instid1(VALU_DEP_2)
	v_min_f32_e32 v21, v20, v19
	v_max_f32_e32 v20, v20, v19
	v_cndmask_b32_e64 v21, v21, v30, s31
	s_delay_alu instid0(VALU_DEP_2) | instskip(SKIP_1) | instid1(VALU_DEP_1)
	v_cndmask_b32_e64 v22, v20, v30, s31
	v_cmp_u_f16_e64 s31, v8, v8
	v_cndmask_b32_e64 v20, v21, v19, s31
	s_delay_alu instid0(VALU_DEP_3) | instskip(NEXT) | instid1(VALU_DEP_2)
	v_cndmask_b32_e64 v8, v22, v19, s31
	v_cmp_class_f32_e64 s34, v20, 0x1f8
	s_delay_alu instid0(VALU_DEP_2) | instskip(NEXT) | instid1(VALU_DEP_1)
	v_cmp_neq_f32_e64 s33, v20, v8
	s_or_b32 s33, s33, s34
	s_delay_alu instid0(SALU_CYCLE_1)
	s_and_saveexec_b32 s34, s33
	s_cbranch_execz .LBB380_64
; %bb.63:
	v_sub_f32_e32 v20, v20, v8
	s_delay_alu instid0(VALU_DEP_1) | instskip(NEXT) | instid1(VALU_DEP_1)
	v_mul_f32_e32 v21, 0x3fb8aa3b, v20
	v_fma_f32 v22, 0x3fb8aa3b, v20, -v21
	v_rndne_f32_e32 v23, v21
	s_delay_alu instid0(VALU_DEP_1) | instskip(SKIP_1) | instid1(VALU_DEP_2)
	v_dual_sub_f32 v21, v21, v23 :: v_dual_fmamk_f32 v22, v20, 0x32a5705f, v22
	v_cmp_ngt_f32_e64 s33, 0xc2ce8ed0, v20
	v_add_f32_e32 v21, v21, v22
	v_cvt_i32_f32_e32 v22, v23
	s_delay_alu instid0(VALU_DEP_2) | instskip(SKIP_2) | instid1(VALU_DEP_1)
	v_exp_f32_e32 v21, v21
	s_waitcnt_depctr 0xfff
	v_ldexp_f32 v21, v21, v22
	v_cndmask_b32_e64 v21, 0, v21, s33
	v_cmp_nlt_f32_e64 s33, 0x42b17218, v20
	s_delay_alu instid0(VALU_DEP_1) | instskip(NEXT) | instid1(VALU_DEP_1)
	v_cndmask_b32_e64 v22, 0x7f800000, v21, s33
	v_add_f32_e32 v23, 1.0, v22
	v_cmp_gt_f32_e64 s35, 0x33800000, |v22|
	s_delay_alu instid0(VALU_DEP_2) | instskip(NEXT) | instid1(VALU_DEP_1)
	v_cvt_f64_f32_e32 v[20:21], v23
	v_frexp_exp_i32_f64_e32 v20, v[20:21]
	v_frexp_mant_f32_e32 v21, v23
	s_delay_alu instid0(VALU_DEP_1) | instskip(SKIP_1) | instid1(VALU_DEP_1)
	v_cmp_gt_f32_e64 s33, 0x3f2aaaab, v21
	v_add_f32_e32 v21, -1.0, v23
	v_dual_sub_f32 v28, v21, v23 :: v_dual_sub_f32 v21, v22, v21
	s_delay_alu instid0(VALU_DEP_1) | instskip(NEXT) | instid1(VALU_DEP_4)
	v_add_f32_e32 v28, 1.0, v28
	v_subrev_co_ci_u32_e64 v20, s33, 0, v20, s33
	s_mov_b32 s33, 0x3e9b6dac
	s_delay_alu instid0(VALU_DEP_1) | instskip(SKIP_1) | instid1(VALU_DEP_2)
	v_sub_nc_u32_e32 v24, 0, v20
	v_cvt_f32_i32_e32 v20, v20
	v_ldexp_f32 v23, v23, v24
	v_add_f32_e32 v21, v21, v28
	s_delay_alu instid0(VALU_DEP_2) | instskip(NEXT) | instid1(VALU_DEP_2)
	v_add_f32_e32 v29, 1.0, v23
	v_ldexp_f32 v21, v21, v24
	v_add_f32_e32 v24, -1.0, v23
	s_delay_alu instid0(VALU_DEP_3) | instskip(NEXT) | instid1(VALU_DEP_2)
	v_add_f32_e32 v28, -1.0, v29
	v_add_f32_e32 v30, 1.0, v24
	s_delay_alu instid0(VALU_DEP_2) | instskip(NEXT) | instid1(VALU_DEP_1)
	v_sub_f32_e32 v28, v23, v28
	v_dual_sub_f32 v23, v23, v30 :: v_dual_add_f32 v28, v21, v28
	s_delay_alu instid0(VALU_DEP_1) | instskip(NEXT) | instid1(VALU_DEP_1)
	v_add_f32_e32 v21, v21, v23
	v_dual_add_f32 v30, v29, v28 :: v_dual_add_f32 v31, v24, v21
	s_delay_alu instid0(VALU_DEP_1) | instskip(NEXT) | instid1(VALU_DEP_1)
	v_rcp_f32_e32 v23, v30
	v_dual_sub_f32 v29, v29, v30 :: v_dual_sub_f32 v24, v24, v31
	s_delay_alu instid0(VALU_DEP_1) | instskip(SKIP_2) | instid1(VALU_DEP_1)
	v_dual_add_f32 v28, v28, v29 :: v_dual_add_f32 v21, v21, v24
	s_waitcnt_depctr 0xfff
	v_mul_f32_e32 v32, v31, v23
	v_mul_f32_e32 v33, v30, v32
	s_delay_alu instid0(VALU_DEP_1) | instskip(NEXT) | instid1(VALU_DEP_1)
	v_fma_f32 v29, v32, v30, -v33
	v_fmac_f32_e32 v29, v32, v28
	s_delay_alu instid0(VALU_DEP_1) | instskip(NEXT) | instid1(VALU_DEP_1)
	v_add_f32_e32 v34, v33, v29
	v_sub_f32_e32 v35, v31, v34
	s_delay_alu instid0(VALU_DEP_1) | instskip(NEXT) | instid1(VALU_DEP_1)
	v_dual_sub_f32 v31, v31, v35 :: v_dual_sub_f32 v24, v34, v33
	v_dual_sub_f32 v31, v31, v34 :: v_dual_sub_f32 v24, v24, v29
	s_delay_alu instid0(VALU_DEP_1) | instskip(NEXT) | instid1(VALU_DEP_1)
	v_add_f32_e32 v21, v21, v31
	v_add_f32_e32 v21, v24, v21
	s_delay_alu instid0(VALU_DEP_1) | instskip(NEXT) | instid1(VALU_DEP_1)
	v_add_f32_e32 v24, v35, v21
	v_mul_f32_e32 v29, v23, v24
	s_delay_alu instid0(VALU_DEP_1) | instskip(NEXT) | instid1(VALU_DEP_1)
	v_dual_sub_f32 v34, v35, v24 :: v_dual_mul_f32 v31, v30, v29
	v_fma_f32 v30, v29, v30, -v31
	s_delay_alu instid0(VALU_DEP_1) | instskip(NEXT) | instid1(VALU_DEP_1)
	v_fmac_f32_e32 v30, v29, v28
	v_add_f32_e32 v28, v31, v30
	s_delay_alu instid0(VALU_DEP_1) | instskip(NEXT) | instid1(VALU_DEP_1)
	v_sub_f32_e32 v33, v24, v28
	v_sub_f32_e32 v24, v24, v33
	s_delay_alu instid0(VALU_DEP_1) | instskip(SKIP_1) | instid1(VALU_DEP_1)
	v_sub_f32_e32 v24, v24, v28
	v_sub_f32_e32 v31, v28, v31
	;; [unrolled: 1-line block ×3, first 2 shown]
	v_add_f32_e32 v21, v21, v34
	s_delay_alu instid0(VALU_DEP_1) | instskip(NEXT) | instid1(VALU_DEP_1)
	v_dual_add_f32 v21, v21, v24 :: v_dual_add_f32 v24, v32, v29
	v_add_f32_e32 v21, v28, v21
	s_delay_alu instid0(VALU_DEP_1) | instskip(NEXT) | instid1(VALU_DEP_1)
	v_dual_sub_f32 v28, v24, v32 :: v_dual_add_f32 v21, v33, v21
	v_dual_sub_f32 v28, v29, v28 :: v_dual_mul_f32 v21, v23, v21
	s_delay_alu instid0(VALU_DEP_1) | instskip(NEXT) | instid1(VALU_DEP_1)
	v_add_f32_e32 v21, v28, v21
	v_add_f32_e32 v23, v24, v21
	s_delay_alu instid0(VALU_DEP_1) | instskip(NEXT) | instid1(VALU_DEP_1)
	v_mul_f32_e32 v28, v23, v23
	v_fmaak_f32 v29, s33, v28, 0x3ecc95a3
	v_mul_f32_e32 v30, v23, v28
	v_cmp_eq_f32_e64 s33, 0x7f800000, v22
	s_delay_alu instid0(VALU_DEP_3) | instskip(NEXT) | instid1(VALU_DEP_2)
	v_fmaak_f32 v28, v28, v29, 0x3f2aaada
	s_or_b32 s33, s33, s35
	s_delay_alu instid0(VALU_DEP_1) | instskip(SKIP_3) | instid1(VALU_DEP_2)
	v_mul_f32_e32 v28, v30, v28
	v_mul_f32_e32 v30, 0x3f317218, v20
	v_ldexp_f32 v29, v23, 1
	v_sub_f32_e32 v23, v23, v24
	v_add_f32_e32 v24, v29, v28
	s_delay_alu instid0(VALU_DEP_2) | instskip(NEXT) | instid1(VALU_DEP_2)
	v_sub_f32_e32 v21, v21, v23
	v_sub_f32_e32 v23, v24, v29
	v_fma_f32 v29, 0x3f317218, v20, -v30
	s_delay_alu instid0(VALU_DEP_2) | instskip(NEXT) | instid1(VALU_DEP_2)
	v_sub_f32_e32 v23, v28, v23
	v_fmamk_f32 v20, v20, 0xb102e308, v29
	v_ldexp_f32 v21, v21, 1
	s_delay_alu instid0(VALU_DEP_1) | instskip(NEXT) | instid1(VALU_DEP_3)
	v_add_f32_e32 v21, v21, v23
	v_add_f32_e32 v23, v30, v20
	s_delay_alu instid0(VALU_DEP_1) | instskip(NEXT) | instid1(VALU_DEP_3)
	v_sub_f32_e32 v30, v23, v30
	v_add_f32_e32 v28, v24, v21
	s_delay_alu instid0(VALU_DEP_1) | instskip(NEXT) | instid1(VALU_DEP_1)
	v_dual_sub_f32 v20, v20, v30 :: v_dual_add_f32 v29, v23, v28
	v_dual_sub_f32 v24, v28, v24 :: v_dual_sub_f32 v31, v29, v23
	s_delay_alu instid0(VALU_DEP_1) | instskip(SKIP_1) | instid1(VALU_DEP_1)
	v_dual_sub_f32 v21, v21, v24 :: v_dual_sub_f32 v24, v28, v31
	v_sub_f32_e32 v32, v29, v31
	v_dual_add_f32 v28, v20, v21 :: v_dual_sub_f32 v23, v23, v32
	s_delay_alu instid0(VALU_DEP_1) | instskip(NEXT) | instid1(VALU_DEP_2)
	v_add_f32_e32 v23, v24, v23
	v_sub_f32_e32 v24, v28, v20
	s_delay_alu instid0(VALU_DEP_2) | instskip(NEXT) | instid1(VALU_DEP_2)
	v_add_f32_e32 v23, v28, v23
	v_sub_f32_e32 v28, v28, v24
	v_sub_f32_e32 v21, v21, v24
	s_delay_alu instid0(VALU_DEP_3) | instskip(NEXT) | instid1(VALU_DEP_3)
	v_add_f32_e32 v30, v29, v23
	v_sub_f32_e32 v20, v20, v28
	s_delay_alu instid0(VALU_DEP_2) | instskip(NEXT) | instid1(VALU_DEP_2)
	v_sub_f32_e32 v24, v30, v29
	v_add_f32_e32 v20, v21, v20
	s_delay_alu instid0(VALU_DEP_2) | instskip(NEXT) | instid1(VALU_DEP_1)
	v_sub_f32_e32 v21, v23, v24
	v_add_f32_e32 v20, v20, v21
	s_delay_alu instid0(VALU_DEP_1) | instskip(NEXT) | instid1(VALU_DEP_1)
	v_add_f32_e32 v20, v30, v20
	v_cndmask_b32_e64 v20, v20, v22, s33
	s_delay_alu instid0(VALU_DEP_1) | instskip(NEXT) | instid1(VALU_DEP_1)
	v_add_f32_e32 v8, v8, v20
	v_cvt_f16_f32_e32 v28, v8
	s_delay_alu instid0(VALU_DEP_1)
	v_cvt_f32_f16_e32 v30, v28
	v_mov_b32_e32 v29, v28
.LBB380_64:
	s_or_b32 exec_lo, exec_lo, s34
	v_cvt_f32_f16_e32 v8, v9
	s_delay_alu instid0(VALU_DEP_3) | instskip(SKIP_1) | instid1(VALU_DEP_2)
	v_max_f32_e32 v20, v30, v30
	v_cmp_u_f16_e64 s33, v28, v28
	v_min_f32_e32 v21, v20, v8
	v_max_f32_e32 v20, v20, v8
	s_delay_alu instid0(VALU_DEP_2) | instskip(NEXT) | instid1(VALU_DEP_2)
	v_cndmask_b32_e64 v21, v21, v30, s33
	v_cndmask_b32_e64 v20, v20, v30, s33
	v_cmp_u_f16_e64 s33, v9, v9
	s_delay_alu instid0(VALU_DEP_1) | instskip(NEXT) | instid1(VALU_DEP_3)
	v_cndmask_b32_e64 v21, v21, v8, s33
	v_cndmask_b32_e64 v20, v20, v8, s33
	s_delay_alu instid0(VALU_DEP_2) | instskip(NEXT) | instid1(VALU_DEP_2)
	v_cmp_class_f32_e64 s35, v21, 0x1f8
	v_cmp_neq_f32_e64 s34, v21, v20
	s_delay_alu instid0(VALU_DEP_1) | instskip(NEXT) | instid1(SALU_CYCLE_1)
	s_or_b32 s34, s34, s35
	s_and_saveexec_b32 s35, s34
	s_cbranch_execz .LBB380_66
; %bb.65:
	v_sub_f32_e32 v21, v21, v20
	s_delay_alu instid0(VALU_DEP_1) | instskip(NEXT) | instid1(VALU_DEP_1)
	v_mul_f32_e32 v22, 0x3fb8aa3b, v21
	v_fma_f32 v23, 0x3fb8aa3b, v21, -v22
	v_rndne_f32_e32 v24, v22
	s_delay_alu instid0(VALU_DEP_1) | instskip(NEXT) | instid1(VALU_DEP_1)
	v_dual_fmamk_f32 v23, v21, 0x32a5705f, v23 :: v_dual_sub_f32 v22, v22, v24
	v_add_f32_e32 v22, v22, v23
	v_cvt_i32_f32_e32 v23, v24
	v_cmp_ngt_f32_e64 s34, 0xc2ce8ed0, v21
	s_delay_alu instid0(VALU_DEP_3) | instskip(SKIP_2) | instid1(VALU_DEP_1)
	v_exp_f32_e32 v22, v22
	s_waitcnt_depctr 0xfff
	v_ldexp_f32 v22, v22, v23
	v_cndmask_b32_e64 v22, 0, v22, s34
	v_cmp_nlt_f32_e64 s34, 0x42b17218, v21
	s_delay_alu instid0(VALU_DEP_1) | instskip(NEXT) | instid1(VALU_DEP_1)
	v_cndmask_b32_e64 v23, 0x7f800000, v22, s34
	v_add_f32_e32 v24, 1.0, v23
	v_cmp_gt_f32_e64 s36, 0x33800000, |v23|
	s_delay_alu instid0(VALU_DEP_2) | instskip(NEXT) | instid1(VALU_DEP_1)
	v_cvt_f64_f32_e32 v[21:22], v24
	v_frexp_exp_i32_f64_e32 v21, v[21:22]
	v_frexp_mant_f32_e32 v22, v24
	s_delay_alu instid0(VALU_DEP_1) | instskip(SKIP_1) | instid1(VALU_DEP_1)
	v_cmp_gt_f32_e64 s34, 0x3f2aaaab, v22
	v_add_f32_e32 v22, -1.0, v24
	v_dual_sub_f32 v29, v22, v24 :: v_dual_sub_f32 v22, v23, v22
	s_delay_alu instid0(VALU_DEP_1) | instskip(NEXT) | instid1(VALU_DEP_1)
	v_add_f32_e32 v29, 1.0, v29
	v_add_f32_e32 v22, v22, v29
	v_subrev_co_ci_u32_e64 v21, s34, 0, v21, s34
	s_mov_b32 s34, 0x3e9b6dac
	s_delay_alu instid0(VALU_DEP_1) | instskip(SKIP_1) | instid1(VALU_DEP_2)
	v_sub_nc_u32_e32 v28, 0, v21
	v_cvt_f32_i32_e32 v21, v21
	v_ldexp_f32 v24, v24, v28
	v_ldexp_f32 v22, v22, v28
	s_delay_alu instid0(VALU_DEP_2) | instskip(NEXT) | instid1(VALU_DEP_1)
	v_add_f32_e32 v30, 1.0, v24
	v_add_f32_e32 v29, -1.0, v30
	s_delay_alu instid0(VALU_DEP_1) | instskip(NEXT) | instid1(VALU_DEP_1)
	v_sub_f32_e32 v29, v24, v29
	v_dual_add_f32 v29, v22, v29 :: v_dual_add_f32 v28, -1.0, v24
	s_delay_alu instid0(VALU_DEP_1) | instskip(NEXT) | instid1(VALU_DEP_1)
	v_add_f32_e32 v31, 1.0, v28
	v_dual_sub_f32 v24, v24, v31 :: v_dual_add_f32 v31, v30, v29
	s_delay_alu instid0(VALU_DEP_1) | instskip(NEXT) | instid1(VALU_DEP_1)
	v_sub_f32_e32 v30, v30, v31
	v_dual_add_f32 v29, v29, v30 :: v_dual_add_f32 v22, v22, v24
	v_rcp_f32_e32 v24, v31
	s_delay_alu instid0(VALU_DEP_1) | instskip(NEXT) | instid1(VALU_DEP_1)
	v_add_f32_e32 v32, v28, v22
	v_sub_f32_e32 v28, v28, v32
	s_waitcnt_depctr 0xfff
	v_mul_f32_e32 v33, v32, v24
	v_add_f32_e32 v22, v22, v28
	s_delay_alu instid0(VALU_DEP_2) | instskip(NEXT) | instid1(VALU_DEP_1)
	v_mul_f32_e32 v34, v31, v33
	v_fma_f32 v30, v33, v31, -v34
	s_delay_alu instid0(VALU_DEP_1) | instskip(NEXT) | instid1(VALU_DEP_1)
	v_fmac_f32_e32 v30, v33, v29
	v_add_f32_e32 v35, v34, v30
	s_delay_alu instid0(VALU_DEP_1) | instskip(SKIP_1) | instid1(VALU_DEP_2)
	v_sub_f32_e32 v36, v32, v35
	v_sub_f32_e32 v28, v35, v34
	;; [unrolled: 1-line block ×3, first 2 shown]
	s_delay_alu instid0(VALU_DEP_2) | instskip(NEXT) | instid1(VALU_DEP_2)
	v_sub_f32_e32 v28, v28, v30
	v_sub_f32_e32 v32, v32, v35
	s_delay_alu instid0(VALU_DEP_1) | instskip(NEXT) | instid1(VALU_DEP_1)
	v_add_f32_e32 v22, v22, v32
	v_add_f32_e32 v22, v28, v22
	s_delay_alu instid0(VALU_DEP_1) | instskip(NEXT) | instid1(VALU_DEP_1)
	v_add_f32_e32 v28, v36, v22
	v_mul_f32_e32 v30, v24, v28
	s_delay_alu instid0(VALU_DEP_1) | instskip(NEXT) | instid1(VALU_DEP_1)
	v_dual_sub_f32 v35, v36, v28 :: v_dual_mul_f32 v32, v31, v30
	v_add_f32_e32 v22, v22, v35
	s_delay_alu instid0(VALU_DEP_2) | instskip(NEXT) | instid1(VALU_DEP_1)
	v_fma_f32 v31, v30, v31, -v32
	v_fmac_f32_e32 v31, v30, v29
	s_delay_alu instid0(VALU_DEP_1) | instskip(NEXT) | instid1(VALU_DEP_1)
	v_add_f32_e32 v29, v32, v31
	v_sub_f32_e32 v34, v28, v29
	v_sub_f32_e32 v32, v29, v32
	s_delay_alu instid0(VALU_DEP_2) | instskip(NEXT) | instid1(VALU_DEP_1)
	v_sub_f32_e32 v28, v28, v34
	v_sub_f32_e32 v28, v28, v29
	s_delay_alu instid0(VALU_DEP_1) | instskip(SKIP_1) | instid1(VALU_DEP_1)
	v_dual_sub_f32 v29, v32, v31 :: v_dual_add_f32 v22, v22, v28
	v_add_f32_e32 v28, v33, v30
	v_dual_add_f32 v22, v29, v22 :: v_dual_sub_f32 v29, v28, v33
	s_delay_alu instid0(VALU_DEP_1) | instskip(NEXT) | instid1(VALU_DEP_1)
	v_add_f32_e32 v22, v34, v22
	v_dual_sub_f32 v29, v30, v29 :: v_dual_mul_f32 v22, v24, v22
	s_delay_alu instid0(VALU_DEP_1) | instskip(NEXT) | instid1(VALU_DEP_1)
	v_add_f32_e32 v22, v29, v22
	v_add_f32_e32 v24, v28, v22
	s_delay_alu instid0(VALU_DEP_1) | instskip(NEXT) | instid1(VALU_DEP_1)
	v_mul_f32_e32 v29, v24, v24
	v_fmaak_f32 v30, s34, v29, 0x3ecc95a3
	v_mul_f32_e32 v31, v24, v29
	v_cmp_eq_f32_e64 s34, 0x7f800000, v23
	s_delay_alu instid0(VALU_DEP_3) | instskip(SKIP_2) | instid1(VALU_DEP_4)
	v_fmaak_f32 v29, v29, v30, 0x3f2aaada
	v_ldexp_f32 v30, v24, 1
	v_sub_f32_e32 v24, v24, v28
	s_or_b32 s34, s34, s36
	s_delay_alu instid0(VALU_DEP_3) | instskip(NEXT) | instid1(VALU_DEP_2)
	v_mul_f32_e32 v29, v31, v29
	v_dual_mul_f32 v31, 0x3f317218, v21 :: v_dual_sub_f32 v22, v22, v24
	s_delay_alu instid0(VALU_DEP_2) | instskip(NEXT) | instid1(VALU_DEP_2)
	v_add_f32_e32 v28, v30, v29
	v_ldexp_f32 v22, v22, 1
	s_delay_alu instid0(VALU_DEP_2) | instskip(NEXT) | instid1(VALU_DEP_4)
	v_sub_f32_e32 v24, v28, v30
	v_fma_f32 v30, 0x3f317218, v21, -v31
	s_delay_alu instid0(VALU_DEP_2) | instskip(NEXT) | instid1(VALU_DEP_1)
	v_sub_f32_e32 v24, v29, v24
	v_dual_fmamk_f32 v21, v21, 0xb102e308, v30 :: v_dual_add_f32 v22, v22, v24
	s_delay_alu instid0(VALU_DEP_1) | instskip(NEXT) | instid1(VALU_DEP_1)
	v_dual_add_f32 v24, v31, v21 :: v_dual_add_f32 v29, v28, v22
	v_sub_f32_e32 v31, v24, v31
	s_delay_alu instid0(VALU_DEP_2) | instskip(SKIP_1) | instid1(VALU_DEP_2)
	v_add_f32_e32 v30, v24, v29
	v_sub_f32_e32 v28, v29, v28
	v_dual_sub_f32 v21, v21, v31 :: v_dual_sub_f32 v32, v30, v24
	s_delay_alu instid0(VALU_DEP_2) | instskip(NEXT) | instid1(VALU_DEP_2)
	v_sub_f32_e32 v22, v22, v28
	v_sub_f32_e32 v33, v30, v32
	;; [unrolled: 1-line block ×3, first 2 shown]
	s_delay_alu instid0(VALU_DEP_2) | instskip(NEXT) | instid1(VALU_DEP_1)
	v_dual_add_f32 v29, v21, v22 :: v_dual_sub_f32 v24, v24, v33
	v_add_f32_e32 v24, v28, v24
	s_delay_alu instid0(VALU_DEP_2) | instskip(NEXT) | instid1(VALU_DEP_2)
	v_sub_f32_e32 v28, v29, v21
	v_add_f32_e32 v24, v29, v24
	s_delay_alu instid0(VALU_DEP_2) | instskip(SKIP_1) | instid1(VALU_DEP_3)
	v_sub_f32_e32 v29, v29, v28
	v_sub_f32_e32 v22, v22, v28
	v_add_f32_e32 v31, v30, v24
	s_delay_alu instid0(VALU_DEP_1) | instskip(NEXT) | instid1(VALU_DEP_1)
	v_dual_sub_f32 v21, v21, v29 :: v_dual_sub_f32 v28, v31, v30
	v_dual_add_f32 v21, v22, v21 :: v_dual_sub_f32 v22, v24, v28
	s_delay_alu instid0(VALU_DEP_1) | instskip(NEXT) | instid1(VALU_DEP_1)
	v_add_f32_e32 v21, v21, v22
	v_add_f32_e32 v21, v31, v21
	s_delay_alu instid0(VALU_DEP_1) | instskip(NEXT) | instid1(VALU_DEP_1)
	v_cndmask_b32_e64 v21, v21, v23, s34
	v_add_f32_e32 v20, v20, v21
	s_delay_alu instid0(VALU_DEP_1) | instskip(NEXT) | instid1(VALU_DEP_1)
	v_cvt_f16_f32_e32 v28, v20
	v_mov_b32_e32 v29, v28
	v_cvt_f32_f16_e32 v30, v28
.LBB380_66:
	s_or_b32 exec_lo, exec_lo, s35
	v_lshrrev_b32_e32 v9, 16, v9
	s_delay_alu instid0(VALU_DEP_2) | instskip(SKIP_1) | instid1(VALU_DEP_3)
	v_max_f32_e32 v21, v30, v30
	v_cmp_u_f16_e64 s34, v28, v28
	v_cvt_f32_f16_e32 v20, v9
	s_delay_alu instid0(VALU_DEP_1) | instskip(SKIP_1) | instid1(VALU_DEP_2)
	v_min_f32_e32 v22, v21, v20
	v_max_f32_e32 v21, v21, v20
	v_cndmask_b32_e64 v22, v22, v30, s34
	s_delay_alu instid0(VALU_DEP_2) | instskip(SKIP_1) | instid1(VALU_DEP_1)
	v_cndmask_b32_e64 v23, v21, v30, s34
	v_cmp_u_f16_e64 s34, v9, v9
	v_cndmask_b32_e64 v21, v22, v20, s34
	s_delay_alu instid0(VALU_DEP_3) | instskip(NEXT) | instid1(VALU_DEP_2)
	v_cndmask_b32_e64 v9, v23, v20, s34
	v_cmp_class_f32_e64 s36, v21, 0x1f8
	s_delay_alu instid0(VALU_DEP_2) | instskip(NEXT) | instid1(VALU_DEP_1)
	v_cmp_neq_f32_e64 s35, v21, v9
	s_or_b32 s35, s35, s36
	s_delay_alu instid0(SALU_CYCLE_1)
	s_and_saveexec_b32 s36, s35
	s_cbranch_execz .LBB380_68
; %bb.67:
	v_sub_f32_e32 v21, v21, v9
	s_delay_alu instid0(VALU_DEP_1) | instskip(NEXT) | instid1(VALU_DEP_1)
	v_mul_f32_e32 v22, 0x3fb8aa3b, v21
	v_fma_f32 v23, 0x3fb8aa3b, v21, -v22
	v_rndne_f32_e32 v24, v22
	s_delay_alu instid0(VALU_DEP_1) | instskip(SKIP_1) | instid1(VALU_DEP_2)
	v_dual_sub_f32 v22, v22, v24 :: v_dual_fmamk_f32 v23, v21, 0x32a5705f, v23
	v_cmp_ngt_f32_e64 s35, 0xc2ce8ed0, v21
	v_add_f32_e32 v22, v22, v23
	v_cvt_i32_f32_e32 v23, v24
	s_delay_alu instid0(VALU_DEP_2) | instskip(SKIP_2) | instid1(VALU_DEP_1)
	v_exp_f32_e32 v22, v22
	s_waitcnt_depctr 0xfff
	v_ldexp_f32 v22, v22, v23
	v_cndmask_b32_e64 v22, 0, v22, s35
	v_cmp_nlt_f32_e64 s35, 0x42b17218, v21
	s_delay_alu instid0(VALU_DEP_1) | instskip(NEXT) | instid1(VALU_DEP_1)
	v_cndmask_b32_e64 v23, 0x7f800000, v22, s35
	v_add_f32_e32 v24, 1.0, v23
	v_cmp_gt_f32_e64 s37, 0x33800000, |v23|
	s_delay_alu instid0(VALU_DEP_2) | instskip(NEXT) | instid1(VALU_DEP_1)
	v_cvt_f64_f32_e32 v[21:22], v24
	v_frexp_exp_i32_f64_e32 v21, v[21:22]
	v_frexp_mant_f32_e32 v22, v24
	s_delay_alu instid0(VALU_DEP_1) | instskip(SKIP_1) | instid1(VALU_DEP_1)
	v_cmp_gt_f32_e64 s35, 0x3f2aaaab, v22
	v_add_f32_e32 v22, -1.0, v24
	v_dual_sub_f32 v29, v22, v24 :: v_dual_sub_f32 v22, v23, v22
	s_delay_alu instid0(VALU_DEP_1) | instskip(NEXT) | instid1(VALU_DEP_1)
	v_add_f32_e32 v29, 1.0, v29
	v_add_f32_e32 v22, v22, v29
	v_subrev_co_ci_u32_e64 v21, s35, 0, v21, s35
	s_mov_b32 s35, 0x3e9b6dac
	s_delay_alu instid0(VALU_DEP_1) | instskip(SKIP_1) | instid1(VALU_DEP_2)
	v_sub_nc_u32_e32 v28, 0, v21
	v_cvt_f32_i32_e32 v21, v21
	v_ldexp_f32 v24, v24, v28
	v_ldexp_f32 v22, v22, v28
	s_delay_alu instid0(VALU_DEP_2) | instskip(NEXT) | instid1(VALU_DEP_1)
	v_add_f32_e32 v30, 1.0, v24
	v_add_f32_e32 v29, -1.0, v30
	s_delay_alu instid0(VALU_DEP_1) | instskip(NEXT) | instid1(VALU_DEP_1)
	v_dual_sub_f32 v29, v24, v29 :: v_dual_add_f32 v28, -1.0, v24
	v_add_f32_e32 v29, v22, v29
	s_delay_alu instid0(VALU_DEP_2) | instskip(NEXT) | instid1(VALU_DEP_1)
	v_add_f32_e32 v31, 1.0, v28
	v_dual_sub_f32 v24, v24, v31 :: v_dual_add_f32 v31, v30, v29
	s_delay_alu instid0(VALU_DEP_1) | instskip(NEXT) | instid1(VALU_DEP_2)
	v_sub_f32_e32 v30, v30, v31
	v_add_f32_e32 v22, v22, v24
	v_rcp_f32_e32 v24, v31
	s_delay_alu instid0(VALU_DEP_2) | instskip(NEXT) | instid1(VALU_DEP_2)
	v_add_f32_e32 v29, v29, v30
	v_add_f32_e32 v32, v28, v22
	s_delay_alu instid0(VALU_DEP_1) | instskip(SKIP_3) | instid1(VALU_DEP_2)
	v_sub_f32_e32 v28, v28, v32
	s_waitcnt_depctr 0xfff
	v_mul_f32_e32 v33, v32, v24
	v_add_f32_e32 v22, v22, v28
	v_mul_f32_e32 v34, v31, v33
	s_delay_alu instid0(VALU_DEP_1) | instskip(NEXT) | instid1(VALU_DEP_1)
	v_fma_f32 v30, v33, v31, -v34
	v_fmac_f32_e32 v30, v33, v29
	s_delay_alu instid0(VALU_DEP_1) | instskip(NEXT) | instid1(VALU_DEP_1)
	v_add_f32_e32 v35, v34, v30
	v_sub_f32_e32 v36, v32, v35
	v_sub_f32_e32 v28, v35, v34
	s_delay_alu instid0(VALU_DEP_2) | instskip(NEXT) | instid1(VALU_DEP_2)
	v_sub_f32_e32 v32, v32, v36
	v_sub_f32_e32 v28, v28, v30
	s_delay_alu instid0(VALU_DEP_2) | instskip(NEXT) | instid1(VALU_DEP_1)
	v_sub_f32_e32 v32, v32, v35
	v_add_f32_e32 v22, v22, v32
	s_delay_alu instid0(VALU_DEP_1) | instskip(NEXT) | instid1(VALU_DEP_1)
	v_add_f32_e32 v22, v28, v22
	v_add_f32_e32 v28, v36, v22
	s_delay_alu instid0(VALU_DEP_1) | instskip(NEXT) | instid1(VALU_DEP_1)
	v_mul_f32_e32 v30, v24, v28
	v_dual_sub_f32 v35, v36, v28 :: v_dual_mul_f32 v32, v31, v30
	s_delay_alu instid0(VALU_DEP_1) | instskip(NEXT) | instid1(VALU_DEP_2)
	v_add_f32_e32 v22, v22, v35
	v_fma_f32 v31, v30, v31, -v32
	s_delay_alu instid0(VALU_DEP_1) | instskip(NEXT) | instid1(VALU_DEP_1)
	v_fmac_f32_e32 v31, v30, v29
	v_add_f32_e32 v29, v32, v31
	s_delay_alu instid0(VALU_DEP_1) | instskip(SKIP_1) | instid1(VALU_DEP_2)
	v_sub_f32_e32 v34, v28, v29
	v_sub_f32_e32 v32, v29, v32
	;; [unrolled: 1-line block ×3, first 2 shown]
	s_delay_alu instid0(VALU_DEP_1) | instskip(NEXT) | instid1(VALU_DEP_1)
	v_sub_f32_e32 v28, v28, v29
	v_dual_sub_f32 v29, v32, v31 :: v_dual_add_f32 v22, v22, v28
	v_add_f32_e32 v28, v33, v30
	s_delay_alu instid0(VALU_DEP_1) | instskip(NEXT) | instid1(VALU_DEP_1)
	v_dual_add_f32 v22, v29, v22 :: v_dual_sub_f32 v29, v28, v33
	v_add_f32_e32 v22, v34, v22
	s_delay_alu instid0(VALU_DEP_1) | instskip(NEXT) | instid1(VALU_DEP_1)
	v_dual_sub_f32 v29, v30, v29 :: v_dual_mul_f32 v22, v24, v22
	v_add_f32_e32 v22, v29, v22
	s_delay_alu instid0(VALU_DEP_1) | instskip(NEXT) | instid1(VALU_DEP_1)
	v_add_f32_e32 v24, v28, v22
	v_mul_f32_e32 v29, v24, v24
	s_delay_alu instid0(VALU_DEP_1) | instskip(SKIP_2) | instid1(VALU_DEP_3)
	v_fmaak_f32 v30, s35, v29, 0x3ecc95a3
	v_mul_f32_e32 v31, v24, v29
	v_cmp_eq_f32_e64 s35, 0x7f800000, v23
	v_fmaak_f32 v29, v29, v30, 0x3f2aaada
	v_ldexp_f32 v30, v24, 1
	v_sub_f32_e32 v24, v24, v28
	s_delay_alu instid0(VALU_DEP_4) | instskip(NEXT) | instid1(VALU_DEP_3)
	s_or_b32 s35, s35, s37
	v_mul_f32_e32 v29, v31, v29
	s_delay_alu instid0(VALU_DEP_2) | instskip(NEXT) | instid1(VALU_DEP_2)
	v_dual_mul_f32 v31, 0x3f317218, v21 :: v_dual_sub_f32 v22, v22, v24
	v_add_f32_e32 v28, v30, v29
	s_delay_alu instid0(VALU_DEP_2) | instskip(NEXT) | instid1(VALU_DEP_2)
	v_ldexp_f32 v22, v22, 1
	v_sub_f32_e32 v24, v28, v30
	s_delay_alu instid0(VALU_DEP_4) | instskip(NEXT) | instid1(VALU_DEP_2)
	v_fma_f32 v30, 0x3f317218, v21, -v31
	v_sub_f32_e32 v24, v29, v24
	s_delay_alu instid0(VALU_DEP_1) | instskip(NEXT) | instid1(VALU_DEP_1)
	v_dual_fmamk_f32 v21, v21, 0xb102e308, v30 :: v_dual_add_f32 v22, v22, v24
	v_dual_add_f32 v24, v31, v21 :: v_dual_add_f32 v29, v28, v22
	s_delay_alu instid0(VALU_DEP_1) | instskip(NEXT) | instid1(VALU_DEP_2)
	v_sub_f32_e32 v31, v24, v31
	v_add_f32_e32 v30, v24, v29
	v_sub_f32_e32 v28, v29, v28
	s_delay_alu instid0(VALU_DEP_2) | instskip(NEXT) | instid1(VALU_DEP_2)
	v_dual_sub_f32 v21, v21, v31 :: v_dual_sub_f32 v32, v30, v24
	v_sub_f32_e32 v22, v22, v28
	s_delay_alu instid0(VALU_DEP_2) | instskip(SKIP_1) | instid1(VALU_DEP_2)
	v_sub_f32_e32 v33, v30, v32
	v_sub_f32_e32 v28, v29, v32
	v_dual_add_f32 v29, v21, v22 :: v_dual_sub_f32 v24, v24, v33
	s_delay_alu instid0(VALU_DEP_1) | instskip(NEXT) | instid1(VALU_DEP_2)
	v_add_f32_e32 v24, v28, v24
	v_sub_f32_e32 v28, v29, v21
	s_delay_alu instid0(VALU_DEP_2) | instskip(NEXT) | instid1(VALU_DEP_2)
	v_add_f32_e32 v24, v29, v24
	v_sub_f32_e32 v29, v29, v28
	v_sub_f32_e32 v22, v22, v28
	s_delay_alu instid0(VALU_DEP_3) | instskip(NEXT) | instid1(VALU_DEP_1)
	v_add_f32_e32 v31, v30, v24
	v_dual_sub_f32 v21, v21, v29 :: v_dual_sub_f32 v28, v31, v30
	s_delay_alu instid0(VALU_DEP_1) | instskip(NEXT) | instid1(VALU_DEP_1)
	v_dual_add_f32 v21, v22, v21 :: v_dual_sub_f32 v22, v24, v28
	v_add_f32_e32 v21, v21, v22
	s_delay_alu instid0(VALU_DEP_1) | instskip(NEXT) | instid1(VALU_DEP_1)
	v_add_f32_e32 v21, v31, v21
	v_cndmask_b32_e64 v21, v21, v23, s35
	s_delay_alu instid0(VALU_DEP_1) | instskip(NEXT) | instid1(VALU_DEP_1)
	v_add_f32_e32 v9, v9, v21
	v_cvt_f16_f32_e32 v28, v9
	s_delay_alu instid0(VALU_DEP_1)
	v_mov_b32_e32 v29, v28
	v_cvt_f32_f16_e32 v30, v28
.LBB380_68:
	s_or_b32 exec_lo, exec_lo, s36
	v_cvt_f32_f16_e32 v9, v6
	s_delay_alu instid0(VALU_DEP_2) | instskip(SKIP_1) | instid1(VALU_DEP_2)
	v_max_f32_e32 v21, v30, v30
	v_cmp_u_f16_e64 s35, v28, v28
	v_min_f32_e32 v22, v21, v9
	v_max_f32_e32 v21, v21, v9
	s_delay_alu instid0(VALU_DEP_2) | instskip(NEXT) | instid1(VALU_DEP_2)
	v_cndmask_b32_e64 v22, v22, v30, s35
	v_cndmask_b32_e64 v21, v21, v30, s35
	v_cmp_u_f16_e64 s35, v6, v6
	s_delay_alu instid0(VALU_DEP_1) | instskip(NEXT) | instid1(VALU_DEP_3)
	v_cndmask_b32_e64 v22, v22, v9, s35
	v_cndmask_b32_e64 v21, v21, v9, s35
	s_delay_alu instid0(VALU_DEP_2) | instskip(NEXT) | instid1(VALU_DEP_2)
	v_cmp_class_f32_e64 s37, v22, 0x1f8
	v_cmp_neq_f32_e64 s36, v22, v21
	s_delay_alu instid0(VALU_DEP_1) | instskip(NEXT) | instid1(SALU_CYCLE_1)
	s_or_b32 s36, s36, s37
	s_and_saveexec_b32 s37, s36
	s_cbranch_execz .LBB380_70
; %bb.69:
	v_sub_f32_e32 v22, v22, v21
	s_delay_alu instid0(VALU_DEP_1) | instskip(NEXT) | instid1(VALU_DEP_1)
	v_mul_f32_e32 v23, 0x3fb8aa3b, v22
	v_fma_f32 v24, 0x3fb8aa3b, v22, -v23
	v_rndne_f32_e32 v28, v23
	s_delay_alu instid0(VALU_DEP_1) | instskip(SKIP_1) | instid1(VALU_DEP_2)
	v_dual_sub_f32 v23, v23, v28 :: v_dual_fmamk_f32 v24, v22, 0x32a5705f, v24
	v_cmp_ngt_f32_e64 s36, 0xc2ce8ed0, v22
	v_add_f32_e32 v23, v23, v24
	v_cvt_i32_f32_e32 v24, v28
	s_delay_alu instid0(VALU_DEP_2) | instskip(SKIP_2) | instid1(VALU_DEP_1)
	v_exp_f32_e32 v23, v23
	s_waitcnt_depctr 0xfff
	v_ldexp_f32 v23, v23, v24
	v_cndmask_b32_e64 v23, 0, v23, s36
	v_cmp_nlt_f32_e64 s36, 0x42b17218, v22
	s_delay_alu instid0(VALU_DEP_1) | instskip(NEXT) | instid1(VALU_DEP_1)
	v_cndmask_b32_e64 v24, 0x7f800000, v23, s36
	v_add_f32_e32 v28, 1.0, v24
	v_cmp_gt_f32_e64 s38, 0x33800000, |v24|
	s_delay_alu instid0(VALU_DEP_2) | instskip(NEXT) | instid1(VALU_DEP_1)
	v_cvt_f64_f32_e32 v[22:23], v28
	v_frexp_exp_i32_f64_e32 v22, v[22:23]
	v_frexp_mant_f32_e32 v23, v28
	s_delay_alu instid0(VALU_DEP_1) | instskip(SKIP_1) | instid1(VALU_DEP_1)
	v_cmp_gt_f32_e64 s36, 0x3f2aaaab, v23
	v_add_f32_e32 v23, -1.0, v28
	v_dual_sub_f32 v30, v23, v28 :: v_dual_sub_f32 v23, v24, v23
	s_delay_alu instid0(VALU_DEP_1) | instskip(NEXT) | instid1(VALU_DEP_4)
	v_add_f32_e32 v30, 1.0, v30
	v_subrev_co_ci_u32_e64 v22, s36, 0, v22, s36
	s_mov_b32 s36, 0x3e9b6dac
	s_delay_alu instid0(VALU_DEP_1) | instskip(SKIP_1) | instid1(VALU_DEP_2)
	v_sub_nc_u32_e32 v29, 0, v22
	v_cvt_f32_i32_e32 v22, v22
	v_ldexp_f32 v28, v28, v29
	s_delay_alu instid0(VALU_DEP_1) | instskip(NEXT) | instid1(VALU_DEP_1)
	v_add_f32_e32 v31, 1.0, v28
	v_dual_add_f32 v23, v23, v30 :: v_dual_add_f32 v30, -1.0, v31
	s_delay_alu instid0(VALU_DEP_1) | instskip(NEXT) | instid1(VALU_DEP_2)
	v_ldexp_f32 v23, v23, v29
	v_dual_sub_f32 v30, v28, v30 :: v_dual_add_f32 v29, -1.0, v28
	s_delay_alu instid0(VALU_DEP_1) | instskip(NEXT) | instid1(VALU_DEP_2)
	v_add_f32_e32 v30, v23, v30
	v_add_f32_e32 v32, 1.0, v29
	s_delay_alu instid0(VALU_DEP_1) | instskip(NEXT) | instid1(VALU_DEP_1)
	v_sub_f32_e32 v28, v28, v32
	v_add_f32_e32 v23, v23, v28
	s_delay_alu instid0(VALU_DEP_1) | instskip(NEXT) | instid1(VALU_DEP_1)
	v_dual_add_f32 v33, v29, v23 :: v_dual_add_f32 v32, v31, v30
	v_sub_f32_e32 v29, v29, v33
	s_delay_alu instid0(VALU_DEP_2) | instskip(SKIP_1) | instid1(VALU_DEP_1)
	v_rcp_f32_e32 v28, v32
	v_sub_f32_e32 v31, v31, v32
	v_dual_add_f32 v23, v23, v29 :: v_dual_add_f32 v30, v30, v31
	s_waitcnt_depctr 0xfff
	v_mul_f32_e32 v34, v33, v28
	s_delay_alu instid0(VALU_DEP_1) | instskip(NEXT) | instid1(VALU_DEP_1)
	v_mul_f32_e32 v35, v32, v34
	v_fma_f32 v31, v34, v32, -v35
	s_delay_alu instid0(VALU_DEP_1) | instskip(NEXT) | instid1(VALU_DEP_1)
	v_fmac_f32_e32 v31, v34, v30
	v_add_f32_e32 v36, v35, v31
	s_delay_alu instid0(VALU_DEP_1) | instskip(NEXT) | instid1(VALU_DEP_1)
	v_sub_f32_e32 v37, v33, v36
	v_sub_f32_e32 v33, v33, v37
	;; [unrolled: 1-line block ×3, first 2 shown]
	s_delay_alu instid0(VALU_DEP_2) | instskip(NEXT) | instid1(VALU_DEP_2)
	v_sub_f32_e32 v33, v33, v36
	v_sub_f32_e32 v29, v29, v31
	s_delay_alu instid0(VALU_DEP_2) | instskip(NEXT) | instid1(VALU_DEP_1)
	v_add_f32_e32 v23, v23, v33
	v_add_f32_e32 v23, v29, v23
	s_delay_alu instid0(VALU_DEP_1) | instskip(NEXT) | instid1(VALU_DEP_1)
	v_add_f32_e32 v29, v37, v23
	v_mul_f32_e32 v31, v28, v29
	s_delay_alu instid0(VALU_DEP_1) | instskip(NEXT) | instid1(VALU_DEP_1)
	v_dual_sub_f32 v36, v37, v29 :: v_dual_mul_f32 v33, v32, v31
	v_add_f32_e32 v23, v23, v36
	s_delay_alu instid0(VALU_DEP_2) | instskip(NEXT) | instid1(VALU_DEP_1)
	v_fma_f32 v32, v31, v32, -v33
	v_fmac_f32_e32 v32, v31, v30
	s_delay_alu instid0(VALU_DEP_1) | instskip(NEXT) | instid1(VALU_DEP_1)
	v_add_f32_e32 v30, v33, v32
	v_sub_f32_e32 v35, v29, v30
	v_sub_f32_e32 v33, v30, v33
	s_delay_alu instid0(VALU_DEP_2) | instskip(NEXT) | instid1(VALU_DEP_1)
	v_sub_f32_e32 v29, v29, v35
	v_sub_f32_e32 v29, v29, v30
	s_delay_alu instid0(VALU_DEP_1) | instskip(SKIP_1) | instid1(VALU_DEP_1)
	v_dual_sub_f32 v30, v33, v32 :: v_dual_add_f32 v23, v23, v29
	v_add_f32_e32 v29, v34, v31
	v_dual_add_f32 v23, v30, v23 :: v_dual_sub_f32 v30, v29, v34
	s_delay_alu instid0(VALU_DEP_1) | instskip(NEXT) | instid1(VALU_DEP_1)
	v_add_f32_e32 v23, v35, v23
	v_dual_sub_f32 v30, v31, v30 :: v_dual_mul_f32 v23, v28, v23
	s_delay_alu instid0(VALU_DEP_1) | instskip(NEXT) | instid1(VALU_DEP_1)
	v_add_f32_e32 v23, v30, v23
	v_add_f32_e32 v28, v29, v23
	s_delay_alu instid0(VALU_DEP_1) | instskip(NEXT) | instid1(VALU_DEP_1)
	v_mul_f32_e32 v30, v28, v28
	v_fmaak_f32 v31, s36, v30, 0x3ecc95a3
	v_mul_f32_e32 v32, v28, v30
	v_cmp_eq_f32_e64 s36, 0x7f800000, v24
	s_delay_alu instid0(VALU_DEP_3) | instskip(SKIP_2) | instid1(VALU_DEP_4)
	v_fmaak_f32 v30, v30, v31, 0x3f2aaada
	v_ldexp_f32 v31, v28, 1
	v_sub_f32_e32 v28, v28, v29
	s_or_b32 s36, s36, s38
	s_delay_alu instid0(VALU_DEP_3) | instskip(NEXT) | instid1(VALU_DEP_2)
	v_mul_f32_e32 v30, v32, v30
	v_dual_mul_f32 v32, 0x3f317218, v22 :: v_dual_sub_f32 v23, v23, v28
	s_delay_alu instid0(VALU_DEP_2) | instskip(NEXT) | instid1(VALU_DEP_2)
	v_add_f32_e32 v29, v31, v30
	v_ldexp_f32 v23, v23, 1
	s_delay_alu instid0(VALU_DEP_2) | instskip(NEXT) | instid1(VALU_DEP_4)
	v_sub_f32_e32 v28, v29, v31
	v_fma_f32 v31, 0x3f317218, v22, -v32
	s_delay_alu instid0(VALU_DEP_2) | instskip(NEXT) | instid1(VALU_DEP_1)
	v_sub_f32_e32 v28, v30, v28
	v_dual_fmamk_f32 v22, v22, 0xb102e308, v31 :: v_dual_add_f32 v23, v23, v28
	s_delay_alu instid0(VALU_DEP_1) | instskip(NEXT) | instid1(VALU_DEP_2)
	v_add_f32_e32 v28, v32, v22
	v_add_f32_e32 v30, v29, v23
	s_delay_alu instid0(VALU_DEP_2) | instskip(NEXT) | instid1(VALU_DEP_2)
	v_sub_f32_e32 v32, v28, v32
	v_add_f32_e32 v31, v28, v30
	v_sub_f32_e32 v29, v30, v29
	s_delay_alu instid0(VALU_DEP_3) | instskip(NEXT) | instid1(VALU_DEP_3)
	v_sub_f32_e32 v22, v22, v32
	v_sub_f32_e32 v33, v31, v28
	s_delay_alu instid0(VALU_DEP_3) | instskip(NEXT) | instid1(VALU_DEP_2)
	v_sub_f32_e32 v23, v23, v29
	v_sub_f32_e32 v34, v31, v33
	;; [unrolled: 1-line block ×3, first 2 shown]
	s_delay_alu instid0(VALU_DEP_3) | instskip(NEXT) | instid1(VALU_DEP_3)
	v_add_f32_e32 v30, v22, v23
	v_sub_f32_e32 v28, v28, v34
	s_delay_alu instid0(VALU_DEP_1) | instskip(NEXT) | instid1(VALU_DEP_1)
	v_dual_add_f32 v28, v29, v28 :: v_dual_sub_f32 v29, v30, v22
	v_add_f32_e32 v28, v30, v28
	s_delay_alu instid0(VALU_DEP_2) | instskip(SKIP_1) | instid1(VALU_DEP_3)
	v_sub_f32_e32 v30, v30, v29
	v_sub_f32_e32 v23, v23, v29
	v_add_f32_e32 v32, v31, v28
	s_delay_alu instid0(VALU_DEP_1) | instskip(NEXT) | instid1(VALU_DEP_1)
	v_dual_sub_f32 v22, v22, v30 :: v_dual_sub_f32 v29, v32, v31
	v_dual_add_f32 v22, v23, v22 :: v_dual_sub_f32 v23, v28, v29
	s_delay_alu instid0(VALU_DEP_1) | instskip(NEXT) | instid1(VALU_DEP_1)
	v_add_f32_e32 v22, v22, v23
	v_add_f32_e32 v22, v32, v22
	s_delay_alu instid0(VALU_DEP_1) | instskip(NEXT) | instid1(VALU_DEP_1)
	v_cndmask_b32_e64 v22, v22, v24, s36
	v_add_f32_e32 v21, v21, v22
	s_delay_alu instid0(VALU_DEP_1) | instskip(NEXT) | instid1(VALU_DEP_1)
	v_cvt_f16_f32_e32 v28, v21
	v_cvt_f32_f16_e32 v30, v28
	v_mov_b32_e32 v29, v28
.LBB380_70:
	s_or_b32 exec_lo, exec_lo, s37
	v_lshrrev_b32_e32 v6, 16, v6
	s_delay_alu instid0(VALU_DEP_3) | instskip(SKIP_1) | instid1(VALU_DEP_3)
	v_max_f32_e32 v22, v30, v30
	v_cmp_u_f16_e64 s36, v28, v28
	v_cvt_f32_f16_e32 v21, v6
	s_delay_alu instid0(VALU_DEP_1) | instskip(SKIP_1) | instid1(VALU_DEP_2)
	v_min_f32_e32 v23, v22, v21
	v_max_f32_e32 v22, v22, v21
	v_cndmask_b32_e64 v23, v23, v30, s36
	s_delay_alu instid0(VALU_DEP_2) | instskip(SKIP_1) | instid1(VALU_DEP_1)
	v_cndmask_b32_e64 v24, v22, v30, s36
	v_cmp_u_f16_e64 s36, v6, v6
	v_cndmask_b32_e64 v22, v23, v21, s36
	s_delay_alu instid0(VALU_DEP_3) | instskip(NEXT) | instid1(VALU_DEP_2)
	v_cndmask_b32_e64 v6, v24, v21, s36
	v_cmp_class_f32_e64 s38, v22, 0x1f8
	s_delay_alu instid0(VALU_DEP_2) | instskip(NEXT) | instid1(VALU_DEP_1)
	v_cmp_neq_f32_e64 s37, v22, v6
	s_or_b32 s37, s37, s38
	s_delay_alu instid0(SALU_CYCLE_1)
	s_and_saveexec_b32 s38, s37
	s_cbranch_execz .LBB380_72
; %bb.71:
	v_sub_f32_e32 v22, v22, v6
	s_delay_alu instid0(VALU_DEP_1) | instskip(NEXT) | instid1(VALU_DEP_1)
	v_mul_f32_e32 v23, 0x3fb8aa3b, v22
	v_fma_f32 v24, 0x3fb8aa3b, v22, -v23
	v_rndne_f32_e32 v28, v23
	s_delay_alu instid0(VALU_DEP_1) | instskip(SKIP_1) | instid1(VALU_DEP_2)
	v_dual_sub_f32 v23, v23, v28 :: v_dual_fmamk_f32 v24, v22, 0x32a5705f, v24
	v_cmp_ngt_f32_e64 s37, 0xc2ce8ed0, v22
	v_add_f32_e32 v23, v23, v24
	v_cvt_i32_f32_e32 v24, v28
	s_delay_alu instid0(VALU_DEP_2) | instskip(SKIP_2) | instid1(VALU_DEP_1)
	v_exp_f32_e32 v23, v23
	s_waitcnt_depctr 0xfff
	v_ldexp_f32 v23, v23, v24
	v_cndmask_b32_e64 v23, 0, v23, s37
	v_cmp_nlt_f32_e64 s37, 0x42b17218, v22
	s_delay_alu instid0(VALU_DEP_1) | instskip(NEXT) | instid1(VALU_DEP_1)
	v_cndmask_b32_e64 v24, 0x7f800000, v23, s37
	v_add_f32_e32 v28, 1.0, v24
	v_cmp_gt_f32_e64 s39, 0x33800000, |v24|
	s_delay_alu instid0(VALU_DEP_2) | instskip(NEXT) | instid1(VALU_DEP_1)
	v_cvt_f64_f32_e32 v[22:23], v28
	v_frexp_exp_i32_f64_e32 v22, v[22:23]
	v_frexp_mant_f32_e32 v23, v28
	s_delay_alu instid0(VALU_DEP_1) | instskip(SKIP_1) | instid1(VALU_DEP_1)
	v_cmp_gt_f32_e64 s37, 0x3f2aaaab, v23
	v_add_f32_e32 v23, -1.0, v28
	v_dual_sub_f32 v30, v23, v28 :: v_dual_sub_f32 v23, v24, v23
	s_delay_alu instid0(VALU_DEP_1) | instskip(NEXT) | instid1(VALU_DEP_4)
	v_add_f32_e32 v30, 1.0, v30
	v_subrev_co_ci_u32_e64 v22, s37, 0, v22, s37
	s_mov_b32 s37, 0x3e9b6dac
	s_delay_alu instid0(VALU_DEP_1) | instskip(SKIP_1) | instid1(VALU_DEP_2)
	v_sub_nc_u32_e32 v29, 0, v22
	v_cvt_f32_i32_e32 v22, v22
	v_ldexp_f32 v28, v28, v29
	s_delay_alu instid0(VALU_DEP_1) | instskip(NEXT) | instid1(VALU_DEP_1)
	v_add_f32_e32 v31, 1.0, v28
	v_dual_add_f32 v23, v23, v30 :: v_dual_add_f32 v30, -1.0, v31
	s_delay_alu instid0(VALU_DEP_1) | instskip(NEXT) | instid1(VALU_DEP_2)
	v_ldexp_f32 v23, v23, v29
	v_dual_sub_f32 v30, v28, v30 :: v_dual_add_f32 v29, -1.0, v28
	s_delay_alu instid0(VALU_DEP_1) | instskip(NEXT) | instid1(VALU_DEP_2)
	v_add_f32_e32 v30, v23, v30
	v_add_f32_e32 v32, 1.0, v29
	s_delay_alu instid0(VALU_DEP_1) | instskip(NEXT) | instid1(VALU_DEP_1)
	v_sub_f32_e32 v28, v28, v32
	v_add_f32_e32 v23, v23, v28
	s_delay_alu instid0(VALU_DEP_1) | instskip(NEXT) | instid1(VALU_DEP_1)
	v_dual_add_f32 v33, v29, v23 :: v_dual_add_f32 v32, v31, v30
	v_sub_f32_e32 v29, v29, v33
	s_delay_alu instid0(VALU_DEP_2) | instskip(SKIP_1) | instid1(VALU_DEP_1)
	v_rcp_f32_e32 v28, v32
	v_sub_f32_e32 v31, v31, v32
	v_dual_add_f32 v23, v23, v29 :: v_dual_add_f32 v30, v30, v31
	s_waitcnt_depctr 0xfff
	v_mul_f32_e32 v34, v33, v28
	s_delay_alu instid0(VALU_DEP_1) | instskip(NEXT) | instid1(VALU_DEP_1)
	v_mul_f32_e32 v35, v32, v34
	v_fma_f32 v31, v34, v32, -v35
	s_delay_alu instid0(VALU_DEP_1) | instskip(NEXT) | instid1(VALU_DEP_1)
	v_fmac_f32_e32 v31, v34, v30
	v_add_f32_e32 v36, v35, v31
	s_delay_alu instid0(VALU_DEP_1) | instskip(NEXT) | instid1(VALU_DEP_1)
	v_sub_f32_e32 v37, v33, v36
	v_sub_f32_e32 v33, v33, v37
	;; [unrolled: 1-line block ×3, first 2 shown]
	s_delay_alu instid0(VALU_DEP_2) | instskip(NEXT) | instid1(VALU_DEP_2)
	v_sub_f32_e32 v33, v33, v36
	v_sub_f32_e32 v29, v29, v31
	s_delay_alu instid0(VALU_DEP_2) | instskip(NEXT) | instid1(VALU_DEP_1)
	v_add_f32_e32 v23, v23, v33
	v_add_f32_e32 v23, v29, v23
	s_delay_alu instid0(VALU_DEP_1) | instskip(NEXT) | instid1(VALU_DEP_1)
	v_add_f32_e32 v29, v37, v23
	v_mul_f32_e32 v31, v28, v29
	s_delay_alu instid0(VALU_DEP_1) | instskip(NEXT) | instid1(VALU_DEP_1)
	v_dual_sub_f32 v36, v37, v29 :: v_dual_mul_f32 v33, v32, v31
	v_add_f32_e32 v23, v23, v36
	s_delay_alu instid0(VALU_DEP_2) | instskip(NEXT) | instid1(VALU_DEP_1)
	v_fma_f32 v32, v31, v32, -v33
	v_fmac_f32_e32 v32, v31, v30
	s_delay_alu instid0(VALU_DEP_1) | instskip(NEXT) | instid1(VALU_DEP_1)
	v_add_f32_e32 v30, v33, v32
	v_sub_f32_e32 v35, v29, v30
	v_sub_f32_e32 v33, v30, v33
	s_delay_alu instid0(VALU_DEP_2) | instskip(NEXT) | instid1(VALU_DEP_1)
	v_sub_f32_e32 v29, v29, v35
	v_sub_f32_e32 v29, v29, v30
	s_delay_alu instid0(VALU_DEP_1) | instskip(SKIP_1) | instid1(VALU_DEP_1)
	v_dual_sub_f32 v30, v33, v32 :: v_dual_add_f32 v23, v23, v29
	v_add_f32_e32 v29, v34, v31
	v_dual_add_f32 v23, v30, v23 :: v_dual_sub_f32 v30, v29, v34
	s_delay_alu instid0(VALU_DEP_1) | instskip(NEXT) | instid1(VALU_DEP_1)
	v_add_f32_e32 v23, v35, v23
	v_dual_sub_f32 v30, v31, v30 :: v_dual_mul_f32 v23, v28, v23
	s_delay_alu instid0(VALU_DEP_1) | instskip(NEXT) | instid1(VALU_DEP_1)
	v_add_f32_e32 v23, v30, v23
	v_add_f32_e32 v28, v29, v23
	s_delay_alu instid0(VALU_DEP_1) | instskip(NEXT) | instid1(VALU_DEP_1)
	v_mul_f32_e32 v30, v28, v28
	v_fmaak_f32 v31, s37, v30, 0x3ecc95a3
	v_mul_f32_e32 v32, v28, v30
	v_cmp_eq_f32_e64 s37, 0x7f800000, v24
	s_delay_alu instid0(VALU_DEP_3) | instskip(SKIP_2) | instid1(VALU_DEP_4)
	v_fmaak_f32 v30, v30, v31, 0x3f2aaada
	v_ldexp_f32 v31, v28, 1
	v_sub_f32_e32 v28, v28, v29
	s_or_b32 s37, s37, s39
	s_delay_alu instid0(VALU_DEP_3) | instskip(NEXT) | instid1(VALU_DEP_2)
	v_mul_f32_e32 v30, v32, v30
	v_dual_mul_f32 v32, 0x3f317218, v22 :: v_dual_sub_f32 v23, v23, v28
	s_delay_alu instid0(VALU_DEP_2) | instskip(NEXT) | instid1(VALU_DEP_2)
	v_add_f32_e32 v29, v31, v30
	v_ldexp_f32 v23, v23, 1
	s_delay_alu instid0(VALU_DEP_2) | instskip(NEXT) | instid1(VALU_DEP_4)
	v_sub_f32_e32 v28, v29, v31
	v_fma_f32 v31, 0x3f317218, v22, -v32
	s_delay_alu instid0(VALU_DEP_2) | instskip(NEXT) | instid1(VALU_DEP_1)
	v_sub_f32_e32 v28, v30, v28
	v_dual_fmamk_f32 v22, v22, 0xb102e308, v31 :: v_dual_add_f32 v23, v23, v28
	s_delay_alu instid0(VALU_DEP_1) | instskip(NEXT) | instid1(VALU_DEP_2)
	v_add_f32_e32 v28, v32, v22
	v_add_f32_e32 v30, v29, v23
	s_delay_alu instid0(VALU_DEP_2) | instskip(NEXT) | instid1(VALU_DEP_2)
	v_sub_f32_e32 v32, v28, v32
	v_add_f32_e32 v31, v28, v30
	v_sub_f32_e32 v29, v30, v29
	s_delay_alu instid0(VALU_DEP_3) | instskip(NEXT) | instid1(VALU_DEP_3)
	v_sub_f32_e32 v22, v22, v32
	v_sub_f32_e32 v33, v31, v28
	s_delay_alu instid0(VALU_DEP_3) | instskip(NEXT) | instid1(VALU_DEP_2)
	v_sub_f32_e32 v23, v23, v29
	v_sub_f32_e32 v34, v31, v33
	;; [unrolled: 1-line block ×3, first 2 shown]
	s_delay_alu instid0(VALU_DEP_3) | instskip(NEXT) | instid1(VALU_DEP_3)
	v_add_f32_e32 v30, v22, v23
	v_sub_f32_e32 v28, v28, v34
	s_delay_alu instid0(VALU_DEP_1) | instskip(NEXT) | instid1(VALU_DEP_1)
	v_dual_add_f32 v28, v29, v28 :: v_dual_sub_f32 v29, v30, v22
	v_add_f32_e32 v28, v30, v28
	s_delay_alu instid0(VALU_DEP_2) | instskip(SKIP_1) | instid1(VALU_DEP_3)
	v_sub_f32_e32 v30, v30, v29
	v_sub_f32_e32 v23, v23, v29
	v_add_f32_e32 v32, v31, v28
	s_delay_alu instid0(VALU_DEP_1) | instskip(NEXT) | instid1(VALU_DEP_1)
	v_dual_sub_f32 v22, v22, v30 :: v_dual_sub_f32 v29, v32, v31
	v_dual_add_f32 v22, v23, v22 :: v_dual_sub_f32 v23, v28, v29
	s_delay_alu instid0(VALU_DEP_1) | instskip(NEXT) | instid1(VALU_DEP_1)
	v_add_f32_e32 v22, v22, v23
	v_add_f32_e32 v22, v32, v22
	s_delay_alu instid0(VALU_DEP_1) | instskip(NEXT) | instid1(VALU_DEP_1)
	v_cndmask_b32_e64 v22, v22, v24, s37
	v_add_f32_e32 v6, v6, v22
	s_delay_alu instid0(VALU_DEP_1) | instskip(NEXT) | instid1(VALU_DEP_1)
	v_cvt_f16_f32_e32 v28, v6
	v_cvt_f32_f16_e32 v30, v28
	v_mov_b32_e32 v29, v28
.LBB380_72:
	s_or_b32 exec_lo, exec_lo, s38
	v_cvt_f32_f16_e32 v6, v7
	s_delay_alu instid0(VALU_DEP_3) | instskip(SKIP_1) | instid1(VALU_DEP_2)
	v_max_f32_e32 v22, v30, v30
	v_cmp_u_f16_e64 s37, v28, v28
	v_min_f32_e32 v23, v22, v6
	v_max_f32_e32 v22, v22, v6
	s_delay_alu instid0(VALU_DEP_2) | instskip(NEXT) | instid1(VALU_DEP_2)
	v_cndmask_b32_e64 v23, v23, v30, s37
	v_cndmask_b32_e64 v22, v22, v30, s37
	v_cmp_u_f16_e64 s37, v7, v7
	s_delay_alu instid0(VALU_DEP_1) | instskip(NEXT) | instid1(VALU_DEP_3)
	v_cndmask_b32_e64 v23, v23, v6, s37
	v_cndmask_b32_e64 v22, v22, v6, s37
	s_delay_alu instid0(VALU_DEP_2) | instskip(NEXT) | instid1(VALU_DEP_2)
	v_cmp_class_f32_e64 s39, v23, 0x1f8
	v_cmp_neq_f32_e64 s38, v23, v22
	s_delay_alu instid0(VALU_DEP_1) | instskip(NEXT) | instid1(SALU_CYCLE_1)
	s_or_b32 s38, s38, s39
	s_and_saveexec_b32 s39, s38
	s_cbranch_execz .LBB380_74
; %bb.73:
	v_sub_f32_e32 v23, v23, v22
	s_delay_alu instid0(VALU_DEP_1) | instskip(NEXT) | instid1(VALU_DEP_1)
	v_mul_f32_e32 v24, 0x3fb8aa3b, v23
	v_fma_f32 v28, 0x3fb8aa3b, v23, -v24
	v_rndne_f32_e32 v29, v24
	s_delay_alu instid0(VALU_DEP_1) | instskip(NEXT) | instid1(VALU_DEP_3)
	v_sub_f32_e32 v24, v24, v29
	v_fmamk_f32 v28, v23, 0x32a5705f, v28
	v_cmp_ngt_f32_e64 s38, 0xc2ce8ed0, v23
	s_delay_alu instid0(VALU_DEP_2) | instskip(SKIP_1) | instid1(VALU_DEP_2)
	v_add_f32_e32 v24, v24, v28
	v_cvt_i32_f32_e32 v28, v29
	v_exp_f32_e32 v24, v24
	s_waitcnt_depctr 0xfff
	v_ldexp_f32 v24, v24, v28
	s_delay_alu instid0(VALU_DEP_1) | instskip(SKIP_1) | instid1(VALU_DEP_1)
	v_cndmask_b32_e64 v24, 0, v24, s38
	v_cmp_nlt_f32_e64 s38, 0x42b17218, v23
	v_cndmask_b32_e64 v28, 0x7f800000, v24, s38
	s_delay_alu instid0(VALU_DEP_1) | instskip(SKIP_1) | instid1(VALU_DEP_2)
	v_add_f32_e32 v29, 1.0, v28
	v_cmp_gt_f32_e64 s40, 0x33800000, |v28|
	v_cvt_f64_f32_e32 v[23:24], v29
	s_delay_alu instid0(VALU_DEP_1) | instskip(SKIP_1) | instid1(VALU_DEP_1)
	v_frexp_exp_i32_f64_e32 v23, v[23:24]
	v_frexp_mant_f32_e32 v24, v29
	v_cmp_gt_f32_e64 s38, 0x3f2aaaab, v24
	v_add_f32_e32 v24, -1.0, v29
	s_delay_alu instid0(VALU_DEP_1) | instskip(NEXT) | instid1(VALU_DEP_1)
	v_sub_f32_e32 v31, v24, v29
	v_add_f32_e32 v31, 1.0, v31
	s_delay_alu instid0(VALU_DEP_4) | instskip(SKIP_1) | instid1(VALU_DEP_1)
	v_subrev_co_ci_u32_e64 v23, s38, 0, v23, s38
	s_mov_b32 s38, 0x3e9b6dac
	v_sub_nc_u32_e32 v30, 0, v23
	v_cvt_f32_i32_e32 v23, v23
	s_delay_alu instid0(VALU_DEP_2) | instskip(SKIP_1) | instid1(VALU_DEP_1)
	v_ldexp_f32 v29, v29, v30
	v_sub_f32_e32 v24, v28, v24
	v_add_f32_e32 v24, v24, v31
	s_delay_alu instid0(VALU_DEP_1) | instskip(NEXT) | instid1(VALU_DEP_4)
	v_ldexp_f32 v24, v24, v30
	v_add_f32_e32 v30, -1.0, v29
	s_delay_alu instid0(VALU_DEP_1) | instskip(NEXT) | instid1(VALU_DEP_1)
	v_dual_add_f32 v32, 1.0, v29 :: v_dual_add_f32 v33, 1.0, v30
	v_add_f32_e32 v31, -1.0, v32
	s_delay_alu instid0(VALU_DEP_1) | instskip(NEXT) | instid1(VALU_DEP_3)
	v_sub_f32_e32 v31, v29, v31
	v_sub_f32_e32 v29, v29, v33
	s_delay_alu instid0(VALU_DEP_2) | instskip(NEXT) | instid1(VALU_DEP_2)
	v_add_f32_e32 v31, v24, v31
	v_add_f32_e32 v24, v24, v29
	s_delay_alu instid0(VALU_DEP_1) | instskip(NEXT) | instid1(VALU_DEP_1)
	v_dual_add_f32 v33, v32, v31 :: v_dual_add_f32 v34, v30, v24
	v_rcp_f32_e32 v29, v33
	v_sub_f32_e32 v32, v32, v33
	s_delay_alu instid0(VALU_DEP_1) | instskip(SKIP_2) | instid1(VALU_DEP_1)
	v_dual_sub_f32 v30, v30, v34 :: v_dual_add_f32 v31, v31, v32
	s_waitcnt_depctr 0xfff
	v_dual_add_f32 v24, v24, v30 :: v_dual_mul_f32 v35, v34, v29
	v_mul_f32_e32 v36, v33, v35
	s_delay_alu instid0(VALU_DEP_1) | instskip(NEXT) | instid1(VALU_DEP_1)
	v_fma_f32 v32, v35, v33, -v36
	v_fmac_f32_e32 v32, v35, v31
	s_delay_alu instid0(VALU_DEP_1) | instskip(NEXT) | instid1(VALU_DEP_1)
	v_add_f32_e32 v37, v36, v32
	v_sub_f32_e32 v38, v34, v37
	s_delay_alu instid0(VALU_DEP_1) | instskip(SKIP_1) | instid1(VALU_DEP_2)
	v_sub_f32_e32 v34, v34, v38
	v_sub_f32_e32 v30, v37, v36
	;; [unrolled: 1-line block ×3, first 2 shown]
	s_delay_alu instid0(VALU_DEP_2) | instskip(NEXT) | instid1(VALU_DEP_2)
	v_sub_f32_e32 v30, v30, v32
	v_add_f32_e32 v24, v24, v34
	s_delay_alu instid0(VALU_DEP_1) | instskip(NEXT) | instid1(VALU_DEP_1)
	v_add_f32_e32 v24, v30, v24
	v_add_f32_e32 v30, v38, v24
	s_delay_alu instid0(VALU_DEP_1) | instskip(NEXT) | instid1(VALU_DEP_1)
	v_mul_f32_e32 v32, v29, v30
	v_mul_f32_e32 v34, v33, v32
	s_delay_alu instid0(VALU_DEP_1) | instskip(NEXT) | instid1(VALU_DEP_1)
	v_fma_f32 v33, v32, v33, -v34
	v_fmac_f32_e32 v33, v32, v31
	v_sub_f32_e32 v37, v38, v30
	s_delay_alu instid0(VALU_DEP_2) | instskip(NEXT) | instid1(VALU_DEP_2)
	v_add_f32_e32 v31, v34, v33
	v_add_f32_e32 v24, v24, v37
	s_delay_alu instid0(VALU_DEP_2) | instskip(SKIP_1) | instid1(VALU_DEP_2)
	v_sub_f32_e32 v36, v30, v31
	v_sub_f32_e32 v34, v31, v34
	;; [unrolled: 1-line block ×3, first 2 shown]
	s_delay_alu instid0(VALU_DEP_1) | instskip(NEXT) | instid1(VALU_DEP_1)
	v_sub_f32_e32 v30, v30, v31
	v_dual_sub_f32 v31, v34, v33 :: v_dual_add_f32 v24, v24, v30
	v_add_f32_e32 v30, v35, v32
	s_delay_alu instid0(VALU_DEP_1) | instskip(NEXT) | instid1(VALU_DEP_1)
	v_dual_add_f32 v24, v31, v24 :: v_dual_sub_f32 v31, v30, v35
	v_add_f32_e32 v24, v36, v24
	s_delay_alu instid0(VALU_DEP_1) | instskip(NEXT) | instid1(VALU_DEP_1)
	v_dual_sub_f32 v31, v32, v31 :: v_dual_mul_f32 v24, v29, v24
	v_add_f32_e32 v24, v31, v24
	s_delay_alu instid0(VALU_DEP_1) | instskip(NEXT) | instid1(VALU_DEP_1)
	v_add_f32_e32 v29, v30, v24
	v_mul_f32_e32 v31, v29, v29
	s_delay_alu instid0(VALU_DEP_1) | instskip(SKIP_2) | instid1(VALU_DEP_3)
	v_fmaak_f32 v32, s38, v31, 0x3ecc95a3
	v_mul_f32_e32 v33, v29, v31
	v_cmp_eq_f32_e64 s38, 0x7f800000, v28
	v_fmaak_f32 v31, v31, v32, 0x3f2aaada
	v_ldexp_f32 v32, v29, 1
	v_sub_f32_e32 v29, v29, v30
	s_delay_alu instid0(VALU_DEP_4) | instskip(NEXT) | instid1(VALU_DEP_3)
	s_or_b32 s38, s38, s40
	v_mul_f32_e32 v31, v33, v31
	s_delay_alu instid0(VALU_DEP_2) | instskip(NEXT) | instid1(VALU_DEP_2)
	v_dual_mul_f32 v33, 0x3f317218, v23 :: v_dual_sub_f32 v24, v24, v29
	v_add_f32_e32 v30, v32, v31
	s_delay_alu instid0(VALU_DEP_2) | instskip(NEXT) | instid1(VALU_DEP_2)
	v_ldexp_f32 v24, v24, 1
	v_sub_f32_e32 v29, v30, v32
	s_delay_alu instid0(VALU_DEP_4) | instskip(NEXT) | instid1(VALU_DEP_2)
	v_fma_f32 v32, 0x3f317218, v23, -v33
	v_sub_f32_e32 v29, v31, v29
	s_delay_alu instid0(VALU_DEP_1) | instskip(NEXT) | instid1(VALU_DEP_1)
	v_dual_fmamk_f32 v23, v23, 0xb102e308, v32 :: v_dual_add_f32 v24, v24, v29
	v_add_f32_e32 v29, v33, v23
	s_delay_alu instid0(VALU_DEP_2) | instskip(NEXT) | instid1(VALU_DEP_2)
	v_add_f32_e32 v31, v30, v24
	v_sub_f32_e32 v33, v29, v33
	s_delay_alu instid0(VALU_DEP_2) | instskip(SKIP_1) | instid1(VALU_DEP_3)
	v_add_f32_e32 v32, v29, v31
	v_sub_f32_e32 v30, v31, v30
	v_sub_f32_e32 v23, v23, v33
	s_delay_alu instid0(VALU_DEP_3) | instskip(NEXT) | instid1(VALU_DEP_3)
	v_sub_f32_e32 v34, v32, v29
	v_sub_f32_e32 v24, v24, v30
	s_delay_alu instid0(VALU_DEP_2) | instskip(SKIP_1) | instid1(VALU_DEP_3)
	v_sub_f32_e32 v35, v32, v34
	v_sub_f32_e32 v30, v31, v34
	v_add_f32_e32 v31, v23, v24
	s_delay_alu instid0(VALU_DEP_3) | instskip(NEXT) | instid1(VALU_DEP_1)
	v_sub_f32_e32 v29, v29, v35
	v_dual_add_f32 v29, v30, v29 :: v_dual_sub_f32 v30, v31, v23
	s_delay_alu instid0(VALU_DEP_1) | instskip(NEXT) | instid1(VALU_DEP_2)
	v_add_f32_e32 v29, v31, v29
	v_sub_f32_e32 v31, v31, v30
	v_sub_f32_e32 v24, v24, v30
	s_delay_alu instid0(VALU_DEP_3) | instskip(NEXT) | instid1(VALU_DEP_1)
	v_add_f32_e32 v33, v32, v29
	v_dual_sub_f32 v23, v23, v31 :: v_dual_sub_f32 v30, v33, v32
	s_delay_alu instid0(VALU_DEP_1) | instskip(NEXT) | instid1(VALU_DEP_1)
	v_dual_add_f32 v23, v24, v23 :: v_dual_sub_f32 v24, v29, v30
	v_add_f32_e32 v23, v23, v24
	s_delay_alu instid0(VALU_DEP_1) | instskip(NEXT) | instid1(VALU_DEP_1)
	v_add_f32_e32 v23, v33, v23
	v_cndmask_b32_e64 v23, v23, v28, s38
	s_delay_alu instid0(VALU_DEP_1) | instskip(NEXT) | instid1(VALU_DEP_1)
	v_add_f32_e32 v22, v22, v23
	v_cvt_f16_f32_e32 v28, v22
	s_delay_alu instid0(VALU_DEP_1)
	v_mov_b32_e32 v29, v28
	v_cvt_f32_f16_e32 v30, v28
.LBB380_74:
	s_or_b32 exec_lo, exec_lo, s39
	v_lshrrev_b32_e32 v7, 16, v7
	s_delay_alu instid0(VALU_DEP_2) | instskip(SKIP_1) | instid1(VALU_DEP_3)
	v_max_f32_e32 v23, v30, v30
	v_cmp_u_f16_e64 s38, v28, v28
	v_cvt_f32_f16_e32 v22, v7
	s_delay_alu instid0(VALU_DEP_1) | instskip(SKIP_1) | instid1(VALU_DEP_2)
	v_min_f32_e32 v24, v23, v22
	v_max_f32_e32 v23, v23, v22
	v_cndmask_b32_e64 v24, v24, v30, s38
	s_delay_alu instid0(VALU_DEP_2) | instskip(SKIP_1) | instid1(VALU_DEP_1)
	v_cndmask_b32_e64 v31, v23, v30, s38
	v_cmp_u_f16_e64 s38, v7, v7
	v_cndmask_b32_e64 v23, v24, v22, s38
	s_delay_alu instid0(VALU_DEP_3) | instskip(NEXT) | instid1(VALU_DEP_2)
	v_cndmask_b32_e64 v7, v31, v22, s38
	v_cmp_class_f32_e64 s40, v23, 0x1f8
	s_delay_alu instid0(VALU_DEP_2) | instskip(NEXT) | instid1(VALU_DEP_1)
	v_cmp_neq_f32_e64 s39, v23, v7
	s_or_b32 s39, s39, s40
	s_delay_alu instid0(SALU_CYCLE_1)
	s_and_saveexec_b32 s40, s39
	s_cbranch_execz .LBB380_76
; %bb.75:
	v_sub_f32_e32 v23, v23, v7
	s_delay_alu instid0(VALU_DEP_1) | instskip(NEXT) | instid1(VALU_DEP_1)
	v_mul_f32_e32 v24, 0x3fb8aa3b, v23
	v_fma_f32 v28, 0x3fb8aa3b, v23, -v24
	v_rndne_f32_e32 v29, v24
	s_delay_alu instid0(VALU_DEP_1) | instskip(NEXT) | instid1(VALU_DEP_3)
	v_sub_f32_e32 v24, v24, v29
	v_fmamk_f32 v28, v23, 0x32a5705f, v28
	v_cmp_ngt_f32_e64 s39, 0xc2ce8ed0, v23
	s_delay_alu instid0(VALU_DEP_2) | instskip(SKIP_1) | instid1(VALU_DEP_2)
	v_add_f32_e32 v24, v24, v28
	v_cvt_i32_f32_e32 v28, v29
	v_exp_f32_e32 v24, v24
	s_waitcnt_depctr 0xfff
	v_ldexp_f32 v24, v24, v28
	s_delay_alu instid0(VALU_DEP_1) | instskip(SKIP_1) | instid1(VALU_DEP_1)
	v_cndmask_b32_e64 v24, 0, v24, s39
	v_cmp_nlt_f32_e64 s39, 0x42b17218, v23
	v_cndmask_b32_e64 v28, 0x7f800000, v24, s39
	s_delay_alu instid0(VALU_DEP_1) | instskip(SKIP_1) | instid1(VALU_DEP_2)
	v_add_f32_e32 v29, 1.0, v28
	v_cmp_gt_f32_e64 s41, 0x33800000, |v28|
	v_cvt_f64_f32_e32 v[23:24], v29
	s_delay_alu instid0(VALU_DEP_1) | instskip(SKIP_1) | instid1(VALU_DEP_1)
	v_frexp_exp_i32_f64_e32 v23, v[23:24]
	v_frexp_mant_f32_e32 v24, v29
	v_cmp_gt_f32_e64 s39, 0x3f2aaaab, v24
	v_add_f32_e32 v24, -1.0, v29
	s_delay_alu instid0(VALU_DEP_1) | instskip(NEXT) | instid1(VALU_DEP_1)
	v_sub_f32_e32 v31, v24, v29
	v_add_f32_e32 v31, 1.0, v31
	s_delay_alu instid0(VALU_DEP_4) | instskip(SKIP_1) | instid1(VALU_DEP_1)
	v_subrev_co_ci_u32_e64 v23, s39, 0, v23, s39
	s_mov_b32 s39, 0x3e9b6dac
	v_sub_nc_u32_e32 v30, 0, v23
	v_cvt_f32_i32_e32 v23, v23
	s_delay_alu instid0(VALU_DEP_2) | instskip(SKIP_1) | instid1(VALU_DEP_1)
	v_ldexp_f32 v29, v29, v30
	v_sub_f32_e32 v24, v28, v24
	v_add_f32_e32 v24, v24, v31
	s_delay_alu instid0(VALU_DEP_1) | instskip(NEXT) | instid1(VALU_DEP_4)
	v_ldexp_f32 v24, v24, v30
	v_add_f32_e32 v30, -1.0, v29
	s_delay_alu instid0(VALU_DEP_1) | instskip(NEXT) | instid1(VALU_DEP_1)
	v_dual_add_f32 v32, 1.0, v29 :: v_dual_add_f32 v33, 1.0, v30
	v_add_f32_e32 v31, -1.0, v32
	s_delay_alu instid0(VALU_DEP_1) | instskip(NEXT) | instid1(VALU_DEP_3)
	v_sub_f32_e32 v31, v29, v31
	v_sub_f32_e32 v29, v29, v33
	s_delay_alu instid0(VALU_DEP_2) | instskip(NEXT) | instid1(VALU_DEP_2)
	v_add_f32_e32 v31, v24, v31
	v_add_f32_e32 v24, v24, v29
	s_delay_alu instid0(VALU_DEP_1) | instskip(NEXT) | instid1(VALU_DEP_1)
	v_dual_add_f32 v33, v32, v31 :: v_dual_add_f32 v34, v30, v24
	v_rcp_f32_e32 v29, v33
	v_sub_f32_e32 v32, v32, v33
	s_delay_alu instid0(VALU_DEP_1) | instskip(SKIP_2) | instid1(VALU_DEP_1)
	v_dual_sub_f32 v30, v30, v34 :: v_dual_add_f32 v31, v31, v32
	s_waitcnt_depctr 0xfff
	v_dual_add_f32 v24, v24, v30 :: v_dual_mul_f32 v35, v34, v29
	v_mul_f32_e32 v36, v33, v35
	s_delay_alu instid0(VALU_DEP_1) | instskip(NEXT) | instid1(VALU_DEP_1)
	v_fma_f32 v32, v35, v33, -v36
	v_fmac_f32_e32 v32, v35, v31
	s_delay_alu instid0(VALU_DEP_1) | instskip(NEXT) | instid1(VALU_DEP_1)
	v_add_f32_e32 v37, v36, v32
	v_sub_f32_e32 v38, v34, v37
	s_delay_alu instid0(VALU_DEP_1) | instskip(SKIP_1) | instid1(VALU_DEP_2)
	v_sub_f32_e32 v34, v34, v38
	v_sub_f32_e32 v30, v37, v36
	;; [unrolled: 1-line block ×3, first 2 shown]
	s_delay_alu instid0(VALU_DEP_2) | instskip(NEXT) | instid1(VALU_DEP_2)
	v_sub_f32_e32 v30, v30, v32
	v_add_f32_e32 v24, v24, v34
	s_delay_alu instid0(VALU_DEP_1) | instskip(NEXT) | instid1(VALU_DEP_1)
	v_add_f32_e32 v24, v30, v24
	v_add_f32_e32 v30, v38, v24
	s_delay_alu instid0(VALU_DEP_1) | instskip(NEXT) | instid1(VALU_DEP_1)
	v_mul_f32_e32 v32, v29, v30
	v_mul_f32_e32 v34, v33, v32
	s_delay_alu instid0(VALU_DEP_1) | instskip(NEXT) | instid1(VALU_DEP_1)
	v_fma_f32 v33, v32, v33, -v34
	v_fmac_f32_e32 v33, v32, v31
	v_sub_f32_e32 v37, v38, v30
	s_delay_alu instid0(VALU_DEP_2) | instskip(NEXT) | instid1(VALU_DEP_2)
	v_add_f32_e32 v31, v34, v33
	v_add_f32_e32 v24, v24, v37
	s_delay_alu instid0(VALU_DEP_2) | instskip(SKIP_1) | instid1(VALU_DEP_2)
	v_sub_f32_e32 v36, v30, v31
	v_sub_f32_e32 v34, v31, v34
	;; [unrolled: 1-line block ×3, first 2 shown]
	s_delay_alu instid0(VALU_DEP_1) | instskip(NEXT) | instid1(VALU_DEP_1)
	v_sub_f32_e32 v30, v30, v31
	v_dual_sub_f32 v31, v34, v33 :: v_dual_add_f32 v24, v24, v30
	v_add_f32_e32 v30, v35, v32
	s_delay_alu instid0(VALU_DEP_1) | instskip(NEXT) | instid1(VALU_DEP_1)
	v_dual_add_f32 v24, v31, v24 :: v_dual_sub_f32 v31, v30, v35
	v_add_f32_e32 v24, v36, v24
	s_delay_alu instid0(VALU_DEP_1) | instskip(NEXT) | instid1(VALU_DEP_1)
	v_dual_sub_f32 v31, v32, v31 :: v_dual_mul_f32 v24, v29, v24
	v_add_f32_e32 v24, v31, v24
	s_delay_alu instid0(VALU_DEP_1) | instskip(NEXT) | instid1(VALU_DEP_1)
	v_add_f32_e32 v29, v30, v24
	v_mul_f32_e32 v31, v29, v29
	s_delay_alu instid0(VALU_DEP_1) | instskip(SKIP_2) | instid1(VALU_DEP_3)
	v_fmaak_f32 v32, s39, v31, 0x3ecc95a3
	v_mul_f32_e32 v33, v29, v31
	v_cmp_eq_f32_e64 s39, 0x7f800000, v28
	v_fmaak_f32 v31, v31, v32, 0x3f2aaada
	v_ldexp_f32 v32, v29, 1
	v_sub_f32_e32 v29, v29, v30
	s_delay_alu instid0(VALU_DEP_4) | instskip(NEXT) | instid1(VALU_DEP_3)
	s_or_b32 s39, s39, s41
	v_mul_f32_e32 v31, v33, v31
	s_delay_alu instid0(VALU_DEP_2) | instskip(NEXT) | instid1(VALU_DEP_2)
	v_dual_mul_f32 v33, 0x3f317218, v23 :: v_dual_sub_f32 v24, v24, v29
	v_add_f32_e32 v30, v32, v31
	s_delay_alu instid0(VALU_DEP_2) | instskip(NEXT) | instid1(VALU_DEP_2)
	v_ldexp_f32 v24, v24, 1
	v_sub_f32_e32 v29, v30, v32
	s_delay_alu instid0(VALU_DEP_4) | instskip(NEXT) | instid1(VALU_DEP_2)
	v_fma_f32 v32, 0x3f317218, v23, -v33
	v_sub_f32_e32 v29, v31, v29
	s_delay_alu instid0(VALU_DEP_1) | instskip(NEXT) | instid1(VALU_DEP_1)
	v_dual_fmamk_f32 v23, v23, 0xb102e308, v32 :: v_dual_add_f32 v24, v24, v29
	v_add_f32_e32 v29, v33, v23
	s_delay_alu instid0(VALU_DEP_2) | instskip(NEXT) | instid1(VALU_DEP_2)
	v_add_f32_e32 v31, v30, v24
	v_sub_f32_e32 v33, v29, v33
	s_delay_alu instid0(VALU_DEP_2) | instskip(SKIP_1) | instid1(VALU_DEP_3)
	v_add_f32_e32 v32, v29, v31
	v_sub_f32_e32 v30, v31, v30
	v_sub_f32_e32 v23, v23, v33
	s_delay_alu instid0(VALU_DEP_3) | instskip(NEXT) | instid1(VALU_DEP_3)
	v_sub_f32_e32 v34, v32, v29
	v_sub_f32_e32 v24, v24, v30
	s_delay_alu instid0(VALU_DEP_2) | instskip(SKIP_1) | instid1(VALU_DEP_3)
	v_sub_f32_e32 v35, v32, v34
	v_sub_f32_e32 v30, v31, v34
	v_add_f32_e32 v31, v23, v24
	s_delay_alu instid0(VALU_DEP_3) | instskip(NEXT) | instid1(VALU_DEP_1)
	v_sub_f32_e32 v29, v29, v35
	v_dual_add_f32 v29, v30, v29 :: v_dual_sub_f32 v30, v31, v23
	s_delay_alu instid0(VALU_DEP_1) | instskip(NEXT) | instid1(VALU_DEP_2)
	v_add_f32_e32 v29, v31, v29
	v_sub_f32_e32 v31, v31, v30
	v_sub_f32_e32 v24, v24, v30
	s_delay_alu instid0(VALU_DEP_3) | instskip(NEXT) | instid1(VALU_DEP_1)
	v_add_f32_e32 v33, v32, v29
	v_dual_sub_f32 v23, v23, v31 :: v_dual_sub_f32 v30, v33, v32
	s_delay_alu instid0(VALU_DEP_1) | instskip(NEXT) | instid1(VALU_DEP_1)
	v_dual_add_f32 v23, v24, v23 :: v_dual_sub_f32 v24, v29, v30
	v_add_f32_e32 v23, v23, v24
	s_delay_alu instid0(VALU_DEP_1) | instskip(NEXT) | instid1(VALU_DEP_1)
	v_add_f32_e32 v23, v33, v23
	v_cndmask_b32_e64 v23, v23, v28, s39
	s_delay_alu instid0(VALU_DEP_1) | instskip(NEXT) | instid1(VALU_DEP_1)
	v_add_f32_e32 v7, v7, v23
	v_cvt_f16_f32_e32 v28, v7
	s_delay_alu instid0(VALU_DEP_1)
	v_mov_b32_e32 v29, v28
	v_cvt_f32_f16_e32 v30, v28
.LBB380_76:
	s_or_b32 exec_lo, exec_lo, s40
	v_cvt_f32_f16_e32 v7, v4
	s_delay_alu instid0(VALU_DEP_2) | instskip(SKIP_1) | instid1(VALU_DEP_2)
	v_max_f32_e32 v23, v30, v30
	v_cmp_u_f16_e64 s39, v28, v28
	v_min_f32_e32 v24, v23, v7
	v_max_f32_e32 v23, v23, v7
	s_delay_alu instid0(VALU_DEP_2) | instskip(NEXT) | instid1(VALU_DEP_2)
	v_cndmask_b32_e64 v24, v24, v30, s39
	v_cndmask_b32_e64 v23, v23, v30, s39
	v_cmp_u_f16_e64 s39, v4, v4
	s_delay_alu instid0(VALU_DEP_1) | instskip(NEXT) | instid1(VALU_DEP_3)
	v_cndmask_b32_e64 v24, v24, v7, s39
	v_cndmask_b32_e64 v23, v23, v7, s39
	s_delay_alu instid0(VALU_DEP_2) | instskip(NEXT) | instid1(VALU_DEP_2)
	v_cmp_class_f32_e64 s41, v24, 0x1f8
	v_cmp_neq_f32_e64 s40, v24, v23
	s_delay_alu instid0(VALU_DEP_1) | instskip(NEXT) | instid1(SALU_CYCLE_1)
	s_or_b32 s40, s40, s41
	s_and_saveexec_b32 s41, s40
	s_cbranch_execz .LBB380_78
; %bb.77:
	v_sub_f32_e32 v24, v24, v23
	s_delay_alu instid0(VALU_DEP_1) | instskip(SKIP_1) | instid1(VALU_DEP_2)
	v_mul_f32_e32 v28, 0x3fb8aa3b, v24
	v_cmp_ngt_f32_e64 s40, 0xc2ce8ed0, v24
	v_fma_f32 v29, 0x3fb8aa3b, v24, -v28
	v_rndne_f32_e32 v30, v28
	s_delay_alu instid0(VALU_DEP_2) | instskip(NEXT) | instid1(VALU_DEP_2)
	v_fmamk_f32 v29, v24, 0x32a5705f, v29
	v_sub_f32_e32 v28, v28, v30
	s_delay_alu instid0(VALU_DEP_1) | instskip(SKIP_1) | instid1(VALU_DEP_2)
	v_add_f32_e32 v28, v28, v29
	v_cvt_i32_f32_e32 v29, v30
	v_exp_f32_e32 v28, v28
	s_waitcnt_depctr 0xfff
	v_ldexp_f32 v28, v28, v29
	s_delay_alu instid0(VALU_DEP_1) | instskip(SKIP_1) | instid1(VALU_DEP_1)
	v_cndmask_b32_e64 v28, 0, v28, s40
	v_cmp_nlt_f32_e64 s40, 0x42b17218, v24
	v_cndmask_b32_e64 v24, 0x7f800000, v28, s40
	s_delay_alu instid0(VALU_DEP_1) | instskip(SKIP_1) | instid1(VALU_DEP_2)
	v_add_f32_e32 v30, 1.0, v24
	v_cmp_gt_f32_e64 s42, 0x33800000, |v24|
	v_cvt_f64_f32_e32 v[28:29], v30
	s_delay_alu instid0(VALU_DEP_1) | instskip(SKIP_1) | instid1(VALU_DEP_1)
	v_frexp_exp_i32_f64_e32 v28, v[28:29]
	v_frexp_mant_f32_e32 v29, v30
	v_cmp_gt_f32_e64 s40, 0x3f2aaaab, v29
	v_add_f32_e32 v29, -1.0, v30
	s_delay_alu instid0(VALU_DEP_1) | instskip(NEXT) | instid1(VALU_DEP_3)
	v_dual_sub_f32 v32, v29, v30 :: v_dual_sub_f32 v29, v24, v29
	v_subrev_co_ci_u32_e64 v28, s40, 0, v28, s40
	s_mov_b32 s40, 0x3e9b6dac
	s_delay_alu instid0(VALU_DEP_1) | instskip(SKIP_1) | instid1(VALU_DEP_2)
	v_sub_nc_u32_e32 v31, 0, v28
	v_cvt_f32_i32_e32 v28, v28
	v_ldexp_f32 v30, v30, v31
	s_delay_alu instid0(VALU_DEP_1) | instskip(NEXT) | instid1(VALU_DEP_1)
	v_dual_add_f32 v32, 1.0, v32 :: v_dual_add_f32 v33, 1.0, v30
	v_add_f32_e32 v29, v29, v32
	s_delay_alu instid0(VALU_DEP_1) | instskip(NEXT) | instid1(VALU_DEP_3)
	v_ldexp_f32 v29, v29, v31
	v_dual_add_f32 v31, -1.0, v30 :: v_dual_add_f32 v32, -1.0, v33
	s_delay_alu instid0(VALU_DEP_1) | instskip(NEXT) | instid1(VALU_DEP_2)
	v_add_f32_e32 v34, 1.0, v31
	v_sub_f32_e32 v32, v30, v32
	s_delay_alu instid0(VALU_DEP_2) | instskip(NEXT) | instid1(VALU_DEP_2)
	v_sub_f32_e32 v30, v30, v34
	v_add_f32_e32 v32, v29, v32
	s_delay_alu instid0(VALU_DEP_2) | instskip(NEXT) | instid1(VALU_DEP_1)
	v_add_f32_e32 v29, v29, v30
	v_dual_add_f32 v35, v31, v29 :: v_dual_add_f32 v34, v33, v32
	s_delay_alu instid0(VALU_DEP_1) | instskip(NEXT) | instid1(VALU_DEP_2)
	v_sub_f32_e32 v31, v31, v35
	v_rcp_f32_e32 v30, v34
	v_sub_f32_e32 v33, v33, v34
	s_delay_alu instid0(VALU_DEP_1) | instskip(SKIP_2) | instid1(VALU_DEP_1)
	v_dual_add_f32 v29, v29, v31 :: v_dual_add_f32 v32, v32, v33
	s_waitcnt_depctr 0xfff
	v_mul_f32_e32 v36, v35, v30
	v_mul_f32_e32 v37, v34, v36
	s_delay_alu instid0(VALU_DEP_1) | instskip(NEXT) | instid1(VALU_DEP_1)
	v_fma_f32 v33, v36, v34, -v37
	v_fmac_f32_e32 v33, v36, v32
	s_delay_alu instid0(VALU_DEP_1) | instskip(NEXT) | instid1(VALU_DEP_1)
	v_add_f32_e32 v38, v37, v33
	v_sub_f32_e32 v39, v35, v38
	v_sub_f32_e32 v31, v38, v37
	s_delay_alu instid0(VALU_DEP_2) | instskip(NEXT) | instid1(VALU_DEP_2)
	v_sub_f32_e32 v35, v35, v39
	v_sub_f32_e32 v31, v31, v33
	s_delay_alu instid0(VALU_DEP_2) | instskip(NEXT) | instid1(VALU_DEP_1)
	v_sub_f32_e32 v35, v35, v38
	v_add_f32_e32 v29, v29, v35
	s_delay_alu instid0(VALU_DEP_1) | instskip(NEXT) | instid1(VALU_DEP_1)
	v_add_f32_e32 v29, v31, v29
	v_add_f32_e32 v31, v39, v29
	s_delay_alu instid0(VALU_DEP_1) | instskip(NEXT) | instid1(VALU_DEP_1)
	v_mul_f32_e32 v33, v30, v31
	v_dual_sub_f32 v38, v39, v31 :: v_dual_mul_f32 v35, v34, v33
	s_delay_alu instid0(VALU_DEP_1) | instskip(NEXT) | instid1(VALU_DEP_2)
	v_add_f32_e32 v29, v29, v38
	v_fma_f32 v34, v33, v34, -v35
	s_delay_alu instid0(VALU_DEP_1) | instskip(NEXT) | instid1(VALU_DEP_1)
	v_fmac_f32_e32 v34, v33, v32
	v_add_f32_e32 v32, v35, v34
	s_delay_alu instid0(VALU_DEP_1) | instskip(NEXT) | instid1(VALU_DEP_1)
	v_sub_f32_e32 v37, v31, v32
	v_sub_f32_e32 v31, v31, v37
	s_delay_alu instid0(VALU_DEP_1) | instskip(NEXT) | instid1(VALU_DEP_1)
	v_sub_f32_e32 v31, v31, v32
	v_add_f32_e32 v29, v29, v31
	v_add_f32_e32 v31, v36, v33
	v_sub_f32_e32 v35, v32, v35
	s_delay_alu instid0(VALU_DEP_1) | instskip(NEXT) | instid1(VALU_DEP_1)
	v_sub_f32_e32 v32, v35, v34
	v_dual_add_f32 v29, v32, v29 :: v_dual_sub_f32 v32, v31, v36
	s_delay_alu instid0(VALU_DEP_1) | instskip(NEXT) | instid1(VALU_DEP_1)
	v_add_f32_e32 v29, v37, v29
	v_dual_sub_f32 v32, v33, v32 :: v_dual_mul_f32 v29, v30, v29
	s_delay_alu instid0(VALU_DEP_1) | instskip(NEXT) | instid1(VALU_DEP_1)
	v_add_f32_e32 v29, v32, v29
	v_add_f32_e32 v30, v31, v29
	s_delay_alu instid0(VALU_DEP_1) | instskip(NEXT) | instid1(VALU_DEP_1)
	v_mul_f32_e32 v32, v30, v30
	v_fmaak_f32 v33, s40, v32, 0x3ecc95a3
	v_mul_f32_e32 v34, v30, v32
	v_cmp_eq_f32_e64 s40, 0x7f800000, v24
	s_delay_alu instid0(VALU_DEP_3) | instskip(SKIP_2) | instid1(VALU_DEP_4)
	v_fmaak_f32 v32, v32, v33, 0x3f2aaada
	v_ldexp_f32 v33, v30, 1
	v_sub_f32_e32 v30, v30, v31
	s_or_b32 s40, s40, s42
	s_delay_alu instid0(VALU_DEP_3) | instskip(NEXT) | instid1(VALU_DEP_2)
	v_mul_f32_e32 v32, v34, v32
	v_dual_mul_f32 v34, 0x3f317218, v28 :: v_dual_sub_f32 v29, v29, v30
	s_delay_alu instid0(VALU_DEP_2) | instskip(NEXT) | instid1(VALU_DEP_2)
	v_add_f32_e32 v31, v33, v32
	v_ldexp_f32 v29, v29, 1
	s_delay_alu instid0(VALU_DEP_2) | instskip(NEXT) | instid1(VALU_DEP_4)
	v_sub_f32_e32 v30, v31, v33
	v_fma_f32 v33, 0x3f317218, v28, -v34
	s_delay_alu instid0(VALU_DEP_2) | instskip(NEXT) | instid1(VALU_DEP_1)
	v_sub_f32_e32 v30, v32, v30
	v_dual_fmamk_f32 v28, v28, 0xb102e308, v33 :: v_dual_add_f32 v29, v29, v30
	s_delay_alu instid0(VALU_DEP_1) | instskip(NEXT) | instid1(VALU_DEP_1)
	v_add_f32_e32 v30, v34, v28
	v_sub_f32_e32 v34, v30, v34
	s_delay_alu instid0(VALU_DEP_1) | instskip(NEXT) | instid1(VALU_DEP_4)
	v_sub_f32_e32 v28, v28, v34
	v_add_f32_e32 v32, v31, v29
	s_delay_alu instid0(VALU_DEP_1) | instskip(NEXT) | instid1(VALU_DEP_1)
	v_sub_f32_e32 v31, v32, v31
	v_sub_f32_e32 v29, v29, v31
	v_add_f32_e32 v33, v30, v32
	s_delay_alu instid0(VALU_DEP_1) | instskip(NEXT) | instid1(VALU_DEP_1)
	v_sub_f32_e32 v35, v33, v30
	v_sub_f32_e32 v31, v32, v35
	s_delay_alu instid0(VALU_DEP_4) | instskip(SKIP_1) | instid1(VALU_DEP_1)
	v_add_f32_e32 v32, v28, v29
	v_sub_f32_e32 v36, v33, v35
	v_sub_f32_e32 v30, v30, v36
	s_delay_alu instid0(VALU_DEP_1) | instskip(NEXT) | instid1(VALU_DEP_1)
	v_dual_add_f32 v30, v31, v30 :: v_dual_sub_f32 v31, v32, v28
	v_dual_add_f32 v30, v32, v30 :: v_dual_sub_f32 v29, v29, v31
	v_sub_f32_e32 v32, v32, v31
	s_delay_alu instid0(VALU_DEP_2) | instskip(NEXT) | instid1(VALU_DEP_1)
	v_add_f32_e32 v34, v33, v30
	v_dual_sub_f32 v28, v28, v32 :: v_dual_sub_f32 v31, v34, v33
	s_delay_alu instid0(VALU_DEP_1) | instskip(NEXT) | instid1(VALU_DEP_1)
	v_dual_add_f32 v28, v29, v28 :: v_dual_sub_f32 v29, v30, v31
	v_add_f32_e32 v28, v28, v29
	s_delay_alu instid0(VALU_DEP_1) | instskip(NEXT) | instid1(VALU_DEP_1)
	v_add_f32_e32 v28, v34, v28
	v_cndmask_b32_e64 v24, v28, v24, s40
	s_delay_alu instid0(VALU_DEP_1) | instskip(NEXT) | instid1(VALU_DEP_1)
	v_add_f32_e32 v23, v23, v24
	v_cvt_f16_f32_e32 v28, v23
	s_delay_alu instid0(VALU_DEP_1)
	v_cvt_f32_f16_e32 v30, v28
	v_mov_b32_e32 v29, v28
.LBB380_78:
	s_or_b32 exec_lo, exec_lo, s41
	v_lshrrev_b32_e32 v4, 16, v4
	s_delay_alu instid0(VALU_DEP_3) | instskip(SKIP_1) | instid1(VALU_DEP_3)
	v_max_f32_e32 v24, v30, v30
	v_cmp_u_f16_e64 s40, v28, v28
	v_cvt_f32_f16_e32 v23, v4
	s_delay_alu instid0(VALU_DEP_1) | instskip(SKIP_1) | instid1(VALU_DEP_2)
	v_min_f32_e32 v31, v24, v23
	v_max_f32_e32 v24, v24, v23
	v_cndmask_b32_e64 v31, v31, v30, s40
	s_delay_alu instid0(VALU_DEP_2) | instskip(SKIP_1) | instid1(VALU_DEP_1)
	v_cndmask_b32_e64 v32, v24, v30, s40
	v_cmp_u_f16_e64 s40, v4, v4
	v_cndmask_b32_e64 v24, v31, v23, s40
	s_delay_alu instid0(VALU_DEP_3) | instskip(NEXT) | instid1(VALU_DEP_2)
	v_cndmask_b32_e64 v4, v32, v23, s40
	v_cmp_class_f32_e64 s42, v24, 0x1f8
	s_delay_alu instid0(VALU_DEP_2) | instskip(NEXT) | instid1(VALU_DEP_1)
	v_cmp_neq_f32_e64 s41, v24, v4
	s_or_b32 s41, s41, s42
	s_delay_alu instid0(SALU_CYCLE_1)
	s_and_saveexec_b32 s42, s41
	s_cbranch_execz .LBB380_80
; %bb.79:
	v_sub_f32_e32 v24, v24, v4
	s_delay_alu instid0(VALU_DEP_1) | instskip(SKIP_1) | instid1(VALU_DEP_2)
	v_mul_f32_e32 v28, 0x3fb8aa3b, v24
	v_cmp_ngt_f32_e64 s41, 0xc2ce8ed0, v24
	v_fma_f32 v29, 0x3fb8aa3b, v24, -v28
	v_rndne_f32_e32 v30, v28
	s_delay_alu instid0(VALU_DEP_2) | instskip(NEXT) | instid1(VALU_DEP_2)
	v_fmamk_f32 v29, v24, 0x32a5705f, v29
	v_sub_f32_e32 v28, v28, v30
	s_delay_alu instid0(VALU_DEP_1) | instskip(SKIP_1) | instid1(VALU_DEP_2)
	v_add_f32_e32 v28, v28, v29
	v_cvt_i32_f32_e32 v29, v30
	v_exp_f32_e32 v28, v28
	s_waitcnt_depctr 0xfff
	v_ldexp_f32 v28, v28, v29
	s_delay_alu instid0(VALU_DEP_1) | instskip(SKIP_1) | instid1(VALU_DEP_1)
	v_cndmask_b32_e64 v28, 0, v28, s41
	v_cmp_nlt_f32_e64 s41, 0x42b17218, v24
	v_cndmask_b32_e64 v24, 0x7f800000, v28, s41
	s_delay_alu instid0(VALU_DEP_1) | instskip(SKIP_1) | instid1(VALU_DEP_2)
	v_add_f32_e32 v30, 1.0, v24
	v_cmp_gt_f32_e64 s43, 0x33800000, |v24|
	v_cvt_f64_f32_e32 v[28:29], v30
	s_delay_alu instid0(VALU_DEP_1) | instskip(SKIP_1) | instid1(VALU_DEP_1)
	v_frexp_exp_i32_f64_e32 v28, v[28:29]
	v_frexp_mant_f32_e32 v29, v30
	v_cmp_gt_f32_e64 s41, 0x3f2aaaab, v29
	v_add_f32_e32 v29, -1.0, v30
	s_delay_alu instid0(VALU_DEP_1) | instskip(NEXT) | instid1(VALU_DEP_3)
	v_dual_sub_f32 v32, v29, v30 :: v_dual_sub_f32 v29, v24, v29
	v_subrev_co_ci_u32_e64 v28, s41, 0, v28, s41
	s_mov_b32 s41, 0x3e9b6dac
	s_delay_alu instid0(VALU_DEP_1) | instskip(SKIP_1) | instid1(VALU_DEP_2)
	v_sub_nc_u32_e32 v31, 0, v28
	v_cvt_f32_i32_e32 v28, v28
	v_ldexp_f32 v30, v30, v31
	s_delay_alu instid0(VALU_DEP_1) | instskip(NEXT) | instid1(VALU_DEP_1)
	v_dual_add_f32 v32, 1.0, v32 :: v_dual_add_f32 v33, 1.0, v30
	v_add_f32_e32 v29, v29, v32
	s_delay_alu instid0(VALU_DEP_1) | instskip(NEXT) | instid1(VALU_DEP_3)
	v_ldexp_f32 v29, v29, v31
	v_dual_add_f32 v31, -1.0, v30 :: v_dual_add_f32 v32, -1.0, v33
	s_delay_alu instid0(VALU_DEP_1) | instskip(NEXT) | instid1(VALU_DEP_2)
	v_add_f32_e32 v34, 1.0, v31
	v_sub_f32_e32 v32, v30, v32
	s_delay_alu instid0(VALU_DEP_2) | instskip(NEXT) | instid1(VALU_DEP_2)
	v_sub_f32_e32 v30, v30, v34
	v_add_f32_e32 v32, v29, v32
	s_delay_alu instid0(VALU_DEP_2) | instskip(NEXT) | instid1(VALU_DEP_1)
	v_add_f32_e32 v29, v29, v30
	v_dual_add_f32 v35, v31, v29 :: v_dual_add_f32 v34, v33, v32
	s_delay_alu instid0(VALU_DEP_1) | instskip(NEXT) | instid1(VALU_DEP_2)
	v_sub_f32_e32 v31, v31, v35
	v_rcp_f32_e32 v30, v34
	v_sub_f32_e32 v33, v33, v34
	s_delay_alu instid0(VALU_DEP_1) | instskip(SKIP_2) | instid1(VALU_DEP_1)
	v_dual_add_f32 v29, v29, v31 :: v_dual_add_f32 v32, v32, v33
	s_waitcnt_depctr 0xfff
	v_mul_f32_e32 v36, v35, v30
	v_mul_f32_e32 v37, v34, v36
	s_delay_alu instid0(VALU_DEP_1) | instskip(NEXT) | instid1(VALU_DEP_1)
	v_fma_f32 v33, v36, v34, -v37
	v_fmac_f32_e32 v33, v36, v32
	s_delay_alu instid0(VALU_DEP_1) | instskip(NEXT) | instid1(VALU_DEP_1)
	v_add_f32_e32 v38, v37, v33
	v_sub_f32_e32 v39, v35, v38
	v_sub_f32_e32 v31, v38, v37
	s_delay_alu instid0(VALU_DEP_2) | instskip(NEXT) | instid1(VALU_DEP_2)
	v_sub_f32_e32 v35, v35, v39
	v_sub_f32_e32 v31, v31, v33
	s_delay_alu instid0(VALU_DEP_2) | instskip(NEXT) | instid1(VALU_DEP_1)
	v_sub_f32_e32 v35, v35, v38
	v_add_f32_e32 v29, v29, v35
	s_delay_alu instid0(VALU_DEP_1) | instskip(NEXT) | instid1(VALU_DEP_1)
	v_add_f32_e32 v29, v31, v29
	v_add_f32_e32 v31, v39, v29
	s_delay_alu instid0(VALU_DEP_1) | instskip(NEXT) | instid1(VALU_DEP_1)
	v_mul_f32_e32 v33, v30, v31
	v_dual_sub_f32 v38, v39, v31 :: v_dual_mul_f32 v35, v34, v33
	s_delay_alu instid0(VALU_DEP_1) | instskip(NEXT) | instid1(VALU_DEP_2)
	v_add_f32_e32 v29, v29, v38
	v_fma_f32 v34, v33, v34, -v35
	s_delay_alu instid0(VALU_DEP_1) | instskip(NEXT) | instid1(VALU_DEP_1)
	v_fmac_f32_e32 v34, v33, v32
	v_add_f32_e32 v32, v35, v34
	s_delay_alu instid0(VALU_DEP_1) | instskip(NEXT) | instid1(VALU_DEP_1)
	v_sub_f32_e32 v37, v31, v32
	v_sub_f32_e32 v31, v31, v37
	s_delay_alu instid0(VALU_DEP_1) | instskip(NEXT) | instid1(VALU_DEP_1)
	v_sub_f32_e32 v31, v31, v32
	v_add_f32_e32 v29, v29, v31
	v_add_f32_e32 v31, v36, v33
	v_sub_f32_e32 v35, v32, v35
	s_delay_alu instid0(VALU_DEP_1) | instskip(NEXT) | instid1(VALU_DEP_1)
	v_sub_f32_e32 v32, v35, v34
	v_dual_add_f32 v29, v32, v29 :: v_dual_sub_f32 v32, v31, v36
	s_delay_alu instid0(VALU_DEP_1) | instskip(NEXT) | instid1(VALU_DEP_1)
	v_add_f32_e32 v29, v37, v29
	v_dual_sub_f32 v32, v33, v32 :: v_dual_mul_f32 v29, v30, v29
	s_delay_alu instid0(VALU_DEP_1) | instskip(NEXT) | instid1(VALU_DEP_1)
	v_add_f32_e32 v29, v32, v29
	v_add_f32_e32 v30, v31, v29
	s_delay_alu instid0(VALU_DEP_1) | instskip(NEXT) | instid1(VALU_DEP_1)
	v_mul_f32_e32 v32, v30, v30
	v_fmaak_f32 v33, s41, v32, 0x3ecc95a3
	v_mul_f32_e32 v34, v30, v32
	v_cmp_eq_f32_e64 s41, 0x7f800000, v24
	s_delay_alu instid0(VALU_DEP_3) | instskip(SKIP_2) | instid1(VALU_DEP_4)
	v_fmaak_f32 v32, v32, v33, 0x3f2aaada
	v_ldexp_f32 v33, v30, 1
	v_sub_f32_e32 v30, v30, v31
	s_or_b32 s41, s41, s43
	s_delay_alu instid0(VALU_DEP_3) | instskip(NEXT) | instid1(VALU_DEP_2)
	v_mul_f32_e32 v32, v34, v32
	v_dual_mul_f32 v34, 0x3f317218, v28 :: v_dual_sub_f32 v29, v29, v30
	s_delay_alu instid0(VALU_DEP_2) | instskip(NEXT) | instid1(VALU_DEP_2)
	v_add_f32_e32 v31, v33, v32
	v_ldexp_f32 v29, v29, 1
	s_delay_alu instid0(VALU_DEP_2) | instskip(NEXT) | instid1(VALU_DEP_4)
	v_sub_f32_e32 v30, v31, v33
	v_fma_f32 v33, 0x3f317218, v28, -v34
	s_delay_alu instid0(VALU_DEP_2) | instskip(NEXT) | instid1(VALU_DEP_1)
	v_sub_f32_e32 v30, v32, v30
	v_dual_fmamk_f32 v28, v28, 0xb102e308, v33 :: v_dual_add_f32 v29, v29, v30
	s_delay_alu instid0(VALU_DEP_1) | instskip(NEXT) | instid1(VALU_DEP_1)
	v_add_f32_e32 v30, v34, v28
	v_sub_f32_e32 v34, v30, v34
	s_delay_alu instid0(VALU_DEP_1) | instskip(NEXT) | instid1(VALU_DEP_4)
	v_sub_f32_e32 v28, v28, v34
	v_add_f32_e32 v32, v31, v29
	s_delay_alu instid0(VALU_DEP_1) | instskip(NEXT) | instid1(VALU_DEP_1)
	v_sub_f32_e32 v31, v32, v31
	v_sub_f32_e32 v29, v29, v31
	v_add_f32_e32 v33, v30, v32
	s_delay_alu instid0(VALU_DEP_1) | instskip(NEXT) | instid1(VALU_DEP_1)
	v_sub_f32_e32 v35, v33, v30
	v_sub_f32_e32 v31, v32, v35
	s_delay_alu instid0(VALU_DEP_4) | instskip(SKIP_1) | instid1(VALU_DEP_1)
	v_add_f32_e32 v32, v28, v29
	v_sub_f32_e32 v36, v33, v35
	v_sub_f32_e32 v30, v30, v36
	s_delay_alu instid0(VALU_DEP_1) | instskip(NEXT) | instid1(VALU_DEP_1)
	v_dual_add_f32 v30, v31, v30 :: v_dual_sub_f32 v31, v32, v28
	v_dual_add_f32 v30, v32, v30 :: v_dual_sub_f32 v29, v29, v31
	v_sub_f32_e32 v32, v32, v31
	s_delay_alu instid0(VALU_DEP_2) | instskip(NEXT) | instid1(VALU_DEP_1)
	v_add_f32_e32 v34, v33, v30
	v_dual_sub_f32 v28, v28, v32 :: v_dual_sub_f32 v31, v34, v33
	s_delay_alu instid0(VALU_DEP_1) | instskip(NEXT) | instid1(VALU_DEP_1)
	v_dual_add_f32 v28, v29, v28 :: v_dual_sub_f32 v29, v30, v31
	v_add_f32_e32 v28, v28, v29
	s_delay_alu instid0(VALU_DEP_1) | instskip(NEXT) | instid1(VALU_DEP_1)
	v_add_f32_e32 v28, v34, v28
	v_cndmask_b32_e64 v24, v28, v24, s41
	s_delay_alu instid0(VALU_DEP_1) | instskip(NEXT) | instid1(VALU_DEP_1)
	v_add_f32_e32 v4, v4, v24
	v_cvt_f16_f32_e32 v28, v4
	s_delay_alu instid0(VALU_DEP_1)
	v_cvt_f32_f16_e32 v30, v28
	v_mov_b32_e32 v29, v28
.LBB380_80:
	s_or_b32 exec_lo, exec_lo, s42
	v_cvt_f32_f16_e32 v4, v5
	s_delay_alu instid0(VALU_DEP_3) | instskip(SKIP_1) | instid1(VALU_DEP_2)
	v_max_f32_e32 v24, v30, v30
	v_cmp_u_f16_e64 s41, v28, v28
	v_min_f32_e32 v31, v24, v4
	v_max_f32_e32 v24, v24, v4
	s_delay_alu instid0(VALU_DEP_2) | instskip(NEXT) | instid1(VALU_DEP_2)
	v_cndmask_b32_e64 v31, v31, v30, s41
	v_cndmask_b32_e64 v24, v24, v30, s41
	v_cmp_u_f16_e64 s41, v5, v5
	s_delay_alu instid0(VALU_DEP_1) | instskip(NEXT) | instid1(VALU_DEP_3)
	v_cndmask_b32_e64 v31, v31, v4, s41
	v_cndmask_b32_e64 v24, v24, v4, s41
	s_delay_alu instid0(VALU_DEP_2) | instskip(NEXT) | instid1(VALU_DEP_2)
	v_cmp_class_f32_e64 s43, v31, 0x1f8
	v_cmp_neq_f32_e64 s42, v31, v24
	s_delay_alu instid0(VALU_DEP_1) | instskip(NEXT) | instid1(SALU_CYCLE_1)
	s_or_b32 s42, s42, s43
	s_and_saveexec_b32 s43, s42
	s_cbranch_execz .LBB380_82
; %bb.81:
	v_sub_f32_e32 v28, v31, v24
	s_delay_alu instid0(VALU_DEP_1) | instskip(NEXT) | instid1(VALU_DEP_1)
	v_mul_f32_e32 v29, 0x3fb8aa3b, v28
	v_fma_f32 v30, 0x3fb8aa3b, v28, -v29
	v_rndne_f32_e32 v31, v29
	s_delay_alu instid0(VALU_DEP_1) | instskip(SKIP_1) | instid1(VALU_DEP_2)
	v_dual_sub_f32 v29, v29, v31 :: v_dual_fmamk_f32 v30, v28, 0x32a5705f, v30
	v_cmp_ngt_f32_e64 s42, 0xc2ce8ed0, v28
	v_add_f32_e32 v29, v29, v30
	v_cvt_i32_f32_e32 v30, v31
	s_delay_alu instid0(VALU_DEP_2) | instskip(SKIP_2) | instid1(VALU_DEP_1)
	v_exp_f32_e32 v29, v29
	s_waitcnt_depctr 0xfff
	v_ldexp_f32 v29, v29, v30
	v_cndmask_b32_e64 v29, 0, v29, s42
	v_cmp_nlt_f32_e64 s42, 0x42b17218, v28
	s_delay_alu instid0(VALU_DEP_1) | instskip(NEXT) | instid1(VALU_DEP_1)
	v_cndmask_b32_e64 v30, 0x7f800000, v29, s42
	v_add_f32_e32 v31, 1.0, v30
	v_cmp_gt_f32_e64 s44, 0x33800000, |v30|
	s_delay_alu instid0(VALU_DEP_2) | instskip(NEXT) | instid1(VALU_DEP_1)
	v_cvt_f64_f32_e32 v[28:29], v31
	v_frexp_exp_i32_f64_e32 v28, v[28:29]
	v_frexp_mant_f32_e32 v29, v31
	s_delay_alu instid0(VALU_DEP_1) | instskip(SKIP_1) | instid1(VALU_DEP_1)
	v_cmp_gt_f32_e64 s42, 0x3f2aaaab, v29
	v_add_f32_e32 v29, -1.0, v31
	v_sub_f32_e32 v33, v29, v31
	v_sub_f32_e32 v29, v30, v29
	s_delay_alu instid0(VALU_DEP_4) | instskip(SKIP_1) | instid1(VALU_DEP_1)
	v_subrev_co_ci_u32_e64 v28, s42, 0, v28, s42
	s_mov_b32 s42, 0x3e9b6dac
	v_sub_nc_u32_e32 v32, 0, v28
	v_cvt_f32_i32_e32 v28, v28
	s_delay_alu instid0(VALU_DEP_2) | instskip(NEXT) | instid1(VALU_DEP_1)
	v_ldexp_f32 v31, v31, v32
	v_dual_add_f32 v34, 1.0, v31 :: v_dual_add_f32 v33, 1.0, v33
	s_delay_alu instid0(VALU_DEP_1) | instskip(NEXT) | instid1(VALU_DEP_2)
	v_add_f32_e32 v29, v29, v33
	v_add_f32_e32 v33, -1.0, v34
	s_delay_alu instid0(VALU_DEP_2) | instskip(NEXT) | instid1(VALU_DEP_2)
	v_ldexp_f32 v29, v29, v32
	v_dual_add_f32 v32, -1.0, v31 :: v_dual_sub_f32 v33, v31, v33
	s_delay_alu instid0(VALU_DEP_1) | instskip(NEXT) | instid1(VALU_DEP_2)
	v_add_f32_e32 v35, 1.0, v32
	v_add_f32_e32 v33, v29, v33
	s_delay_alu instid0(VALU_DEP_2) | instskip(NEXT) | instid1(VALU_DEP_2)
	v_sub_f32_e32 v31, v31, v35
	v_add_f32_e32 v35, v34, v33
	s_delay_alu instid0(VALU_DEP_2) | instskip(NEXT) | instid1(VALU_DEP_2)
	v_add_f32_e32 v29, v29, v31
	v_rcp_f32_e32 v31, v35
	v_sub_f32_e32 v34, v34, v35
	s_delay_alu instid0(VALU_DEP_1) | instskip(NEXT) | instid1(VALU_DEP_1)
	v_dual_add_f32 v36, v32, v29 :: v_dual_add_f32 v33, v33, v34
	v_sub_f32_e32 v32, v32, v36
	s_waitcnt_depctr 0xfff
	v_mul_f32_e32 v37, v36, v31
	s_delay_alu instid0(VALU_DEP_1) | instskip(NEXT) | instid1(VALU_DEP_1)
	v_dual_add_f32 v29, v29, v32 :: v_dual_mul_f32 v38, v35, v37
	v_fma_f32 v34, v37, v35, -v38
	s_delay_alu instid0(VALU_DEP_1) | instskip(NEXT) | instid1(VALU_DEP_1)
	v_fmac_f32_e32 v34, v37, v33
	v_add_f32_e32 v39, v38, v34
	s_delay_alu instid0(VALU_DEP_1) | instskip(SKIP_1) | instid1(VALU_DEP_2)
	v_sub_f32_e32 v40, v36, v39
	v_sub_f32_e32 v32, v39, v38
	;; [unrolled: 1-line block ×3, first 2 shown]
	s_delay_alu instid0(VALU_DEP_2) | instskip(NEXT) | instid1(VALU_DEP_2)
	v_sub_f32_e32 v32, v32, v34
	v_sub_f32_e32 v36, v36, v39
	s_delay_alu instid0(VALU_DEP_1) | instskip(NEXT) | instid1(VALU_DEP_1)
	v_add_f32_e32 v29, v29, v36
	v_add_f32_e32 v29, v32, v29
	s_delay_alu instid0(VALU_DEP_1) | instskip(NEXT) | instid1(VALU_DEP_1)
	v_add_f32_e32 v32, v40, v29
	v_mul_f32_e32 v34, v31, v32
	s_delay_alu instid0(VALU_DEP_1) | instskip(NEXT) | instid1(VALU_DEP_1)
	v_dual_sub_f32 v39, v40, v32 :: v_dual_mul_f32 v36, v35, v34
	v_add_f32_e32 v29, v29, v39
	s_delay_alu instid0(VALU_DEP_2) | instskip(NEXT) | instid1(VALU_DEP_1)
	v_fma_f32 v35, v34, v35, -v36
	v_fmac_f32_e32 v35, v34, v33
	s_delay_alu instid0(VALU_DEP_1) | instskip(NEXT) | instid1(VALU_DEP_1)
	v_add_f32_e32 v33, v36, v35
	v_sub_f32_e32 v38, v32, v33
	v_sub_f32_e32 v36, v33, v36
	s_delay_alu instid0(VALU_DEP_2) | instskip(NEXT) | instid1(VALU_DEP_1)
	v_sub_f32_e32 v32, v32, v38
	v_sub_f32_e32 v32, v32, v33
	s_delay_alu instid0(VALU_DEP_3) | instskip(NEXT) | instid1(VALU_DEP_2)
	v_sub_f32_e32 v33, v36, v35
	v_add_f32_e32 v29, v29, v32
	v_add_f32_e32 v32, v37, v34
	s_delay_alu instid0(VALU_DEP_2) | instskip(NEXT) | instid1(VALU_DEP_2)
	v_add_f32_e32 v29, v33, v29
	v_sub_f32_e32 v33, v32, v37
	s_delay_alu instid0(VALU_DEP_2) | instskip(NEXT) | instid1(VALU_DEP_2)
	v_add_f32_e32 v29, v38, v29
	v_sub_f32_e32 v33, v34, v33
	s_delay_alu instid0(VALU_DEP_2) | instskip(NEXT) | instid1(VALU_DEP_1)
	v_mul_f32_e32 v29, v31, v29
	v_add_f32_e32 v29, v33, v29
	s_delay_alu instid0(VALU_DEP_1) | instskip(NEXT) | instid1(VALU_DEP_1)
	v_add_f32_e32 v31, v32, v29
	v_mul_f32_e32 v33, v31, v31
	s_delay_alu instid0(VALU_DEP_1) | instskip(SKIP_2) | instid1(VALU_DEP_3)
	v_fmaak_f32 v34, s42, v33, 0x3ecc95a3
	v_mul_f32_e32 v35, v31, v33
	v_cmp_eq_f32_e64 s42, 0x7f800000, v30
	v_fmaak_f32 v33, v33, v34, 0x3f2aaada
	v_ldexp_f32 v34, v31, 1
	v_sub_f32_e32 v31, v31, v32
	s_delay_alu instid0(VALU_DEP_4) | instskip(NEXT) | instid1(VALU_DEP_3)
	s_or_b32 s42, s42, s44
	v_mul_f32_e32 v33, v35, v33
	v_mul_f32_e32 v35, 0x3f317218, v28
	s_delay_alu instid0(VALU_DEP_2) | instskip(NEXT) | instid1(VALU_DEP_1)
	v_dual_sub_f32 v29, v29, v31 :: v_dual_add_f32 v32, v34, v33
	v_ldexp_f32 v29, v29, 1
	s_delay_alu instid0(VALU_DEP_2) | instskip(NEXT) | instid1(VALU_DEP_4)
	v_sub_f32_e32 v31, v32, v34
	v_fma_f32 v34, 0x3f317218, v28, -v35
	s_delay_alu instid0(VALU_DEP_1) | instskip(NEXT) | instid1(VALU_DEP_1)
	v_dual_sub_f32 v31, v33, v31 :: v_dual_fmamk_f32 v28, v28, 0xb102e308, v34
	v_add_f32_e32 v29, v29, v31
	s_delay_alu instid0(VALU_DEP_2) | instskip(NEXT) | instid1(VALU_DEP_2)
	v_add_f32_e32 v31, v35, v28
	v_add_f32_e32 v33, v32, v29
	s_delay_alu instid0(VALU_DEP_2) | instskip(NEXT) | instid1(VALU_DEP_2)
	v_sub_f32_e32 v35, v31, v35
	v_add_f32_e32 v34, v31, v33
	v_sub_f32_e32 v32, v33, v32
	s_delay_alu instid0(VALU_DEP_3) | instskip(NEXT) | instid1(VALU_DEP_2)
	v_sub_f32_e32 v28, v28, v35
	v_dual_sub_f32 v36, v34, v31 :: v_dual_sub_f32 v29, v29, v32
	s_delay_alu instid0(VALU_DEP_1) | instskip(NEXT) | instid1(VALU_DEP_2)
	v_sub_f32_e32 v37, v34, v36
	v_dual_sub_f32 v32, v33, v36 :: v_dual_add_f32 v33, v28, v29
	s_delay_alu instid0(VALU_DEP_2) | instskip(NEXT) | instid1(VALU_DEP_1)
	v_sub_f32_e32 v31, v31, v37
	v_dual_add_f32 v31, v32, v31 :: v_dual_sub_f32 v32, v33, v28
	s_delay_alu instid0(VALU_DEP_1) | instskip(NEXT) | instid1(VALU_DEP_2)
	v_add_f32_e32 v31, v33, v31
	v_sub_f32_e32 v33, v33, v32
	v_sub_f32_e32 v29, v29, v32
	s_delay_alu instid0(VALU_DEP_2) | instskip(NEXT) | instid1(VALU_DEP_1)
	v_dual_add_f32 v35, v34, v31 :: v_dual_sub_f32 v28, v28, v33
	v_sub_f32_e32 v32, v35, v34
	s_delay_alu instid0(VALU_DEP_2) | instskip(NEXT) | instid1(VALU_DEP_2)
	v_add_f32_e32 v28, v29, v28
	v_sub_f32_e32 v29, v31, v32
	s_delay_alu instid0(VALU_DEP_1) | instskip(NEXT) | instid1(VALU_DEP_1)
	v_add_f32_e32 v28, v28, v29
	v_add_f32_e32 v28, v35, v28
	s_delay_alu instid0(VALU_DEP_1) | instskip(NEXT) | instid1(VALU_DEP_1)
	v_cndmask_b32_e64 v28, v28, v30, s42
	v_add_f32_e32 v24, v24, v28
	s_delay_alu instid0(VALU_DEP_1) | instskip(NEXT) | instid1(VALU_DEP_1)
	v_cvt_f16_f32_e32 v28, v24
	v_cvt_f32_f16_e32 v30, v28
	v_mov_b32_e32 v29, v28
.LBB380_82:
	s_or_b32 exec_lo, exec_lo, s43
	v_lshrrev_b32_e32 v5, 16, v5
	s_delay_alu instid0(VALU_DEP_3) | instskip(SKIP_1) | instid1(VALU_DEP_3)
	v_max_f32_e32 v31, v30, v30
	v_cmp_u_f16_e64 s42, v28, v28
	v_cvt_f32_f16_e32 v24, v5
	s_delay_alu instid0(VALU_DEP_1) | instskip(SKIP_1) | instid1(VALU_DEP_2)
	v_min_f32_e32 v32, v31, v24
	v_max_f32_e32 v31, v31, v24
	v_cndmask_b32_e64 v32, v32, v30, s42
	s_delay_alu instid0(VALU_DEP_2) | instskip(SKIP_1) | instid1(VALU_DEP_1)
	v_cndmask_b32_e64 v33, v31, v30, s42
	v_cmp_u_f16_e64 s42, v5, v5
	v_cndmask_b32_e64 v31, v32, v24, s42
	s_delay_alu instid0(VALU_DEP_3) | instskip(NEXT) | instid1(VALU_DEP_2)
	v_cndmask_b32_e64 v5, v33, v24, s42
	v_cmp_class_f32_e64 s44, v31, 0x1f8
	s_delay_alu instid0(VALU_DEP_2) | instskip(NEXT) | instid1(VALU_DEP_1)
	v_cmp_neq_f32_e64 s43, v31, v5
	s_or_b32 s43, s43, s44
	s_delay_alu instid0(SALU_CYCLE_1)
	s_and_saveexec_b32 s44, s43
	s_cbranch_execz .LBB380_84
; %bb.83:
	v_sub_f32_e32 v28, v31, v5
	s_delay_alu instid0(VALU_DEP_1) | instskip(NEXT) | instid1(VALU_DEP_1)
	v_mul_f32_e32 v29, 0x3fb8aa3b, v28
	v_fma_f32 v30, 0x3fb8aa3b, v28, -v29
	v_rndne_f32_e32 v31, v29
	s_delay_alu instid0(VALU_DEP_1) | instskip(SKIP_1) | instid1(VALU_DEP_2)
	v_dual_sub_f32 v29, v29, v31 :: v_dual_fmamk_f32 v30, v28, 0x32a5705f, v30
	v_cmp_ngt_f32_e64 s43, 0xc2ce8ed0, v28
	v_add_f32_e32 v29, v29, v30
	v_cvt_i32_f32_e32 v30, v31
	s_delay_alu instid0(VALU_DEP_2) | instskip(SKIP_2) | instid1(VALU_DEP_1)
	v_exp_f32_e32 v29, v29
	s_waitcnt_depctr 0xfff
	v_ldexp_f32 v29, v29, v30
	v_cndmask_b32_e64 v29, 0, v29, s43
	v_cmp_nlt_f32_e64 s43, 0x42b17218, v28
	s_delay_alu instid0(VALU_DEP_1) | instskip(NEXT) | instid1(VALU_DEP_1)
	v_cndmask_b32_e64 v30, 0x7f800000, v29, s43
	v_add_f32_e32 v31, 1.0, v30
	v_cmp_gt_f32_e64 s46, 0x33800000, |v30|
	s_delay_alu instid0(VALU_DEP_2) | instskip(NEXT) | instid1(VALU_DEP_1)
	v_cvt_f64_f32_e32 v[28:29], v31
	v_frexp_exp_i32_f64_e32 v28, v[28:29]
	v_frexp_mant_f32_e32 v29, v31
	s_delay_alu instid0(VALU_DEP_1) | instskip(SKIP_1) | instid1(VALU_DEP_1)
	v_cmp_gt_f32_e64 s43, 0x3f2aaaab, v29
	v_add_f32_e32 v29, -1.0, v31
	v_sub_f32_e32 v33, v29, v31
	v_sub_f32_e32 v29, v30, v29
	s_delay_alu instid0(VALU_DEP_4) | instskip(SKIP_1) | instid1(VALU_DEP_1)
	v_subrev_co_ci_u32_e64 v28, s43, 0, v28, s43
	s_mov_b32 s43, 0x3e9b6dac
	v_sub_nc_u32_e32 v32, 0, v28
	v_cvt_f32_i32_e32 v28, v28
	s_delay_alu instid0(VALU_DEP_2) | instskip(NEXT) | instid1(VALU_DEP_1)
	v_ldexp_f32 v31, v31, v32
	v_dual_add_f32 v34, 1.0, v31 :: v_dual_add_f32 v33, 1.0, v33
	s_delay_alu instid0(VALU_DEP_1) | instskip(NEXT) | instid1(VALU_DEP_2)
	v_add_f32_e32 v29, v29, v33
	v_add_f32_e32 v33, -1.0, v34
	s_delay_alu instid0(VALU_DEP_2) | instskip(NEXT) | instid1(VALU_DEP_2)
	v_ldexp_f32 v29, v29, v32
	v_dual_add_f32 v32, -1.0, v31 :: v_dual_sub_f32 v33, v31, v33
	s_delay_alu instid0(VALU_DEP_1) | instskip(NEXT) | instid1(VALU_DEP_2)
	v_add_f32_e32 v35, 1.0, v32
	v_add_f32_e32 v33, v29, v33
	s_delay_alu instid0(VALU_DEP_2) | instskip(NEXT) | instid1(VALU_DEP_2)
	v_sub_f32_e32 v31, v31, v35
	v_add_f32_e32 v35, v34, v33
	s_delay_alu instid0(VALU_DEP_2) | instskip(NEXT) | instid1(VALU_DEP_2)
	v_add_f32_e32 v29, v29, v31
	v_rcp_f32_e32 v31, v35
	v_sub_f32_e32 v34, v34, v35
	s_delay_alu instid0(VALU_DEP_1) | instskip(NEXT) | instid1(VALU_DEP_1)
	v_dual_add_f32 v36, v32, v29 :: v_dual_add_f32 v33, v33, v34
	v_sub_f32_e32 v32, v32, v36
	s_waitcnt_depctr 0xfff
	v_mul_f32_e32 v37, v36, v31
	s_delay_alu instid0(VALU_DEP_1) | instskip(NEXT) | instid1(VALU_DEP_1)
	v_dual_add_f32 v29, v29, v32 :: v_dual_mul_f32 v38, v35, v37
	v_fma_f32 v34, v37, v35, -v38
	s_delay_alu instid0(VALU_DEP_1) | instskip(NEXT) | instid1(VALU_DEP_1)
	v_fmac_f32_e32 v34, v37, v33
	v_add_f32_e32 v39, v38, v34
	s_delay_alu instid0(VALU_DEP_1) | instskip(SKIP_1) | instid1(VALU_DEP_2)
	v_sub_f32_e32 v40, v36, v39
	v_sub_f32_e32 v32, v39, v38
	v_sub_f32_e32 v36, v36, v40
	s_delay_alu instid0(VALU_DEP_2) | instskip(NEXT) | instid1(VALU_DEP_2)
	v_sub_f32_e32 v32, v32, v34
	v_sub_f32_e32 v36, v36, v39
	s_delay_alu instid0(VALU_DEP_1) | instskip(NEXT) | instid1(VALU_DEP_1)
	v_add_f32_e32 v29, v29, v36
	v_add_f32_e32 v29, v32, v29
	s_delay_alu instid0(VALU_DEP_1) | instskip(NEXT) | instid1(VALU_DEP_1)
	v_add_f32_e32 v32, v40, v29
	v_mul_f32_e32 v34, v31, v32
	s_delay_alu instid0(VALU_DEP_1) | instskip(NEXT) | instid1(VALU_DEP_1)
	v_dual_sub_f32 v39, v40, v32 :: v_dual_mul_f32 v36, v35, v34
	v_add_f32_e32 v29, v29, v39
	s_delay_alu instid0(VALU_DEP_2) | instskip(NEXT) | instid1(VALU_DEP_1)
	v_fma_f32 v35, v34, v35, -v36
	v_fmac_f32_e32 v35, v34, v33
	s_delay_alu instid0(VALU_DEP_1) | instskip(NEXT) | instid1(VALU_DEP_1)
	v_add_f32_e32 v33, v36, v35
	v_sub_f32_e32 v38, v32, v33
	v_sub_f32_e32 v36, v33, v36
	s_delay_alu instid0(VALU_DEP_2) | instskip(NEXT) | instid1(VALU_DEP_1)
	v_sub_f32_e32 v32, v32, v38
	v_sub_f32_e32 v32, v32, v33
	s_delay_alu instid0(VALU_DEP_3) | instskip(NEXT) | instid1(VALU_DEP_2)
	v_sub_f32_e32 v33, v36, v35
	v_add_f32_e32 v29, v29, v32
	v_add_f32_e32 v32, v37, v34
	s_delay_alu instid0(VALU_DEP_2) | instskip(NEXT) | instid1(VALU_DEP_2)
	v_add_f32_e32 v29, v33, v29
	v_sub_f32_e32 v33, v32, v37
	s_delay_alu instid0(VALU_DEP_2) | instskip(NEXT) | instid1(VALU_DEP_2)
	v_add_f32_e32 v29, v38, v29
	v_sub_f32_e32 v33, v34, v33
	s_delay_alu instid0(VALU_DEP_2) | instskip(NEXT) | instid1(VALU_DEP_1)
	v_mul_f32_e32 v29, v31, v29
	v_add_f32_e32 v29, v33, v29
	s_delay_alu instid0(VALU_DEP_1) | instskip(NEXT) | instid1(VALU_DEP_1)
	v_add_f32_e32 v31, v32, v29
	v_mul_f32_e32 v33, v31, v31
	s_delay_alu instid0(VALU_DEP_1) | instskip(SKIP_2) | instid1(VALU_DEP_3)
	v_fmaak_f32 v34, s43, v33, 0x3ecc95a3
	v_mul_f32_e32 v35, v31, v33
	v_cmp_eq_f32_e64 s43, 0x7f800000, v30
	v_fmaak_f32 v33, v33, v34, 0x3f2aaada
	v_ldexp_f32 v34, v31, 1
	v_sub_f32_e32 v31, v31, v32
	s_delay_alu instid0(VALU_DEP_4) | instskip(NEXT) | instid1(VALU_DEP_3)
	s_or_b32 s43, s43, s46
	v_mul_f32_e32 v33, v35, v33
	v_mul_f32_e32 v35, 0x3f317218, v28
	s_delay_alu instid0(VALU_DEP_2) | instskip(NEXT) | instid1(VALU_DEP_1)
	v_dual_sub_f32 v29, v29, v31 :: v_dual_add_f32 v32, v34, v33
	v_ldexp_f32 v29, v29, 1
	s_delay_alu instid0(VALU_DEP_2) | instskip(NEXT) | instid1(VALU_DEP_4)
	v_sub_f32_e32 v31, v32, v34
	v_fma_f32 v34, 0x3f317218, v28, -v35
	s_delay_alu instid0(VALU_DEP_1) | instskip(NEXT) | instid1(VALU_DEP_1)
	v_dual_sub_f32 v31, v33, v31 :: v_dual_fmamk_f32 v28, v28, 0xb102e308, v34
	v_add_f32_e32 v29, v29, v31
	s_delay_alu instid0(VALU_DEP_2) | instskip(NEXT) | instid1(VALU_DEP_2)
	v_add_f32_e32 v31, v35, v28
	v_add_f32_e32 v33, v32, v29
	s_delay_alu instid0(VALU_DEP_2) | instskip(NEXT) | instid1(VALU_DEP_2)
	v_sub_f32_e32 v35, v31, v35
	v_add_f32_e32 v34, v31, v33
	v_sub_f32_e32 v32, v33, v32
	s_delay_alu instid0(VALU_DEP_3) | instskip(NEXT) | instid1(VALU_DEP_2)
	v_sub_f32_e32 v28, v28, v35
	v_dual_sub_f32 v36, v34, v31 :: v_dual_sub_f32 v29, v29, v32
	s_delay_alu instid0(VALU_DEP_1) | instskip(NEXT) | instid1(VALU_DEP_2)
	v_sub_f32_e32 v37, v34, v36
	v_dual_sub_f32 v32, v33, v36 :: v_dual_add_f32 v33, v28, v29
	s_delay_alu instid0(VALU_DEP_2) | instskip(NEXT) | instid1(VALU_DEP_1)
	v_sub_f32_e32 v31, v31, v37
	v_dual_add_f32 v31, v32, v31 :: v_dual_sub_f32 v32, v33, v28
	s_delay_alu instid0(VALU_DEP_1) | instskip(NEXT) | instid1(VALU_DEP_2)
	v_add_f32_e32 v31, v33, v31
	v_sub_f32_e32 v33, v33, v32
	v_sub_f32_e32 v29, v29, v32
	s_delay_alu instid0(VALU_DEP_2) | instskip(NEXT) | instid1(VALU_DEP_1)
	v_dual_add_f32 v35, v34, v31 :: v_dual_sub_f32 v28, v28, v33
	v_sub_f32_e32 v32, v35, v34
	s_delay_alu instid0(VALU_DEP_2) | instskip(NEXT) | instid1(VALU_DEP_2)
	v_add_f32_e32 v28, v29, v28
	v_sub_f32_e32 v29, v31, v32
	s_delay_alu instid0(VALU_DEP_1) | instskip(NEXT) | instid1(VALU_DEP_1)
	v_add_f32_e32 v28, v28, v29
	v_add_f32_e32 v28, v35, v28
	s_delay_alu instid0(VALU_DEP_1) | instskip(NEXT) | instid1(VALU_DEP_1)
	v_cndmask_b32_e64 v28, v28, v30, s43
	v_add_f32_e32 v5, v5, v28
	s_delay_alu instid0(VALU_DEP_1) | instskip(NEXT) | instid1(VALU_DEP_1)
	v_cvt_f16_f32_e32 v28, v5
	v_cvt_f32_f16_e32 v30, v28
	v_mov_b32_e32 v29, v28
.LBB380_84:
	s_or_b32 exec_lo, exec_lo, s44
	v_cvt_f32_f16_e32 v5, v25
	s_delay_alu instid0(VALU_DEP_3) | instskip(SKIP_1) | instid1(VALU_DEP_2)
	v_max_f32_e32 v31, v30, v30
	v_cmp_u_f16_e64 s43, v28, v28
	v_min_f32_e32 v32, v31, v5
	v_max_f32_e32 v31, v31, v5
	s_delay_alu instid0(VALU_DEP_2) | instskip(NEXT) | instid1(VALU_DEP_2)
	v_cndmask_b32_e64 v32, v32, v30, s43
	v_cndmask_b32_e64 v31, v31, v30, s43
	v_cmp_u_f16_e64 s43, v25, v25
	s_delay_alu instid0(VALU_DEP_1) | instskip(NEXT) | instid1(VALU_DEP_3)
	v_cndmask_b32_e64 v32, v32, v5, s43
	v_cndmask_b32_e64 v31, v31, v5, s43
	s_delay_alu instid0(VALU_DEP_2) | instskip(NEXT) | instid1(VALU_DEP_2)
	v_cmp_class_f32_e64 s46, v32, 0x1f8
	v_cmp_neq_f32_e64 s44, v32, v31
	s_delay_alu instid0(VALU_DEP_1) | instskip(NEXT) | instid1(SALU_CYCLE_1)
	s_or_b32 s44, s44, s46
	s_and_saveexec_b32 s46, s44
	s_cbranch_execz .LBB380_86
; %bb.85:
	v_sub_f32_e32 v28, v32, v31
	s_delay_alu instid0(VALU_DEP_1) | instskip(NEXT) | instid1(VALU_DEP_1)
	v_mul_f32_e32 v29, 0x3fb8aa3b, v28
	v_fma_f32 v30, 0x3fb8aa3b, v28, -v29
	v_rndne_f32_e32 v32, v29
	s_delay_alu instid0(VALU_DEP_1) | instskip(SKIP_1) | instid1(VALU_DEP_2)
	v_dual_sub_f32 v29, v29, v32 :: v_dual_fmamk_f32 v30, v28, 0x32a5705f, v30
	v_cmp_ngt_f32_e64 s44, 0xc2ce8ed0, v28
	v_add_f32_e32 v29, v29, v30
	v_cvt_i32_f32_e32 v30, v32
	s_delay_alu instid0(VALU_DEP_2) | instskip(SKIP_2) | instid1(VALU_DEP_1)
	v_exp_f32_e32 v29, v29
	s_waitcnt_depctr 0xfff
	v_ldexp_f32 v29, v29, v30
	v_cndmask_b32_e64 v29, 0, v29, s44
	v_cmp_nlt_f32_e64 s44, 0x42b17218, v28
	s_delay_alu instid0(VALU_DEP_1) | instskip(NEXT) | instid1(VALU_DEP_1)
	v_cndmask_b32_e64 v30, 0x7f800000, v29, s44
	v_add_f32_e32 v32, 1.0, v30
	v_cmp_gt_f32_e64 s47, 0x33800000, |v30|
	s_delay_alu instid0(VALU_DEP_2) | instskip(NEXT) | instid1(VALU_DEP_1)
	v_cvt_f64_f32_e32 v[28:29], v32
	v_frexp_exp_i32_f64_e32 v28, v[28:29]
	v_frexp_mant_f32_e32 v29, v32
	s_delay_alu instid0(VALU_DEP_1) | instskip(SKIP_1) | instid1(VALU_DEP_1)
	v_cmp_gt_f32_e64 s44, 0x3f2aaaab, v29
	v_add_f32_e32 v29, -1.0, v32
	v_dual_sub_f32 v34, v29, v32 :: v_dual_sub_f32 v29, v30, v29
	s_delay_alu instid0(VALU_DEP_3) | instskip(SKIP_1) | instid1(VALU_DEP_1)
	v_subrev_co_ci_u32_e64 v28, s44, 0, v28, s44
	s_mov_b32 s44, 0x3e9b6dac
	v_sub_nc_u32_e32 v33, 0, v28
	v_cvt_f32_i32_e32 v28, v28
	s_delay_alu instid0(VALU_DEP_2) | instskip(NEXT) | instid1(VALU_DEP_1)
	v_ldexp_f32 v32, v32, v33
	v_dual_add_f32 v34, 1.0, v34 :: v_dual_add_f32 v35, 1.0, v32
	s_delay_alu instid0(VALU_DEP_1) | instskip(NEXT) | instid1(VALU_DEP_1)
	v_dual_add_f32 v29, v29, v34 :: v_dual_add_f32 v34, -1.0, v35
	v_ldexp_f32 v29, v29, v33
	s_delay_alu instid0(VALU_DEP_2) | instskip(NEXT) | instid1(VALU_DEP_1)
	v_dual_add_f32 v33, -1.0, v32 :: v_dual_sub_f32 v34, v32, v34
	v_add_f32_e32 v36, 1.0, v33
	s_delay_alu instid0(VALU_DEP_2) | instskip(NEXT) | instid1(VALU_DEP_2)
	v_add_f32_e32 v34, v29, v34
	v_sub_f32_e32 v32, v32, v36
	s_delay_alu instid0(VALU_DEP_1) | instskip(NEXT) | instid1(VALU_DEP_1)
	v_dual_add_f32 v36, v35, v34 :: v_dual_add_f32 v29, v29, v32
	v_rcp_f32_e32 v32, v36
	v_sub_f32_e32 v35, v35, v36
	s_delay_alu instid0(VALU_DEP_1) | instskip(NEXT) | instid1(VALU_DEP_1)
	v_dual_add_f32 v37, v33, v29 :: v_dual_add_f32 v34, v34, v35
	v_sub_f32_e32 v33, v33, v37
	s_waitcnt_depctr 0xfff
	v_mul_f32_e32 v38, v37, v32
	v_add_f32_e32 v29, v29, v33
	s_delay_alu instid0(VALU_DEP_2) | instskip(NEXT) | instid1(VALU_DEP_1)
	v_mul_f32_e32 v39, v36, v38
	v_fma_f32 v35, v38, v36, -v39
	s_delay_alu instid0(VALU_DEP_1) | instskip(NEXT) | instid1(VALU_DEP_1)
	v_fmac_f32_e32 v35, v38, v34
	v_add_f32_e32 v40, v39, v35
	s_delay_alu instid0(VALU_DEP_1) | instskip(SKIP_1) | instid1(VALU_DEP_2)
	v_sub_f32_e32 v41, v37, v40
	v_sub_f32_e32 v33, v40, v39
	;; [unrolled: 1-line block ×3, first 2 shown]
	s_delay_alu instid0(VALU_DEP_2) | instskip(NEXT) | instid1(VALU_DEP_2)
	v_sub_f32_e32 v33, v33, v35
	v_sub_f32_e32 v37, v37, v40
	s_delay_alu instid0(VALU_DEP_1) | instskip(NEXT) | instid1(VALU_DEP_1)
	v_add_f32_e32 v29, v29, v37
	v_add_f32_e32 v29, v33, v29
	s_delay_alu instid0(VALU_DEP_1) | instskip(NEXT) | instid1(VALU_DEP_1)
	v_add_f32_e32 v33, v41, v29
	v_mul_f32_e32 v35, v32, v33
	s_delay_alu instid0(VALU_DEP_1) | instskip(NEXT) | instid1(VALU_DEP_1)
	v_mul_f32_e32 v37, v36, v35
	v_fma_f32 v36, v35, v36, -v37
	s_delay_alu instid0(VALU_DEP_1) | instskip(SKIP_1) | instid1(VALU_DEP_2)
	v_fmac_f32_e32 v36, v35, v34
	v_sub_f32_e32 v40, v41, v33
	v_add_f32_e32 v34, v37, v36
	s_delay_alu instid0(VALU_DEP_2) | instskip(NEXT) | instid1(VALU_DEP_2)
	v_add_f32_e32 v29, v29, v40
	v_sub_f32_e32 v39, v33, v34
	v_sub_f32_e32 v37, v34, v37
	s_delay_alu instid0(VALU_DEP_2) | instskip(NEXT) | instid1(VALU_DEP_1)
	v_sub_f32_e32 v33, v33, v39
	v_sub_f32_e32 v33, v33, v34
	s_delay_alu instid0(VALU_DEP_3) | instskip(NEXT) | instid1(VALU_DEP_2)
	v_sub_f32_e32 v34, v37, v36
	v_add_f32_e32 v29, v29, v33
	v_add_f32_e32 v33, v38, v35
	s_delay_alu instid0(VALU_DEP_1) | instskip(NEXT) | instid1(VALU_DEP_1)
	v_dual_add_f32 v29, v34, v29 :: v_dual_sub_f32 v34, v33, v38
	v_add_f32_e32 v29, v39, v29
	s_delay_alu instid0(VALU_DEP_1) | instskip(NEXT) | instid1(VALU_DEP_1)
	v_dual_sub_f32 v34, v35, v34 :: v_dual_mul_f32 v29, v32, v29
	v_add_f32_e32 v29, v34, v29
	s_delay_alu instid0(VALU_DEP_1) | instskip(NEXT) | instid1(VALU_DEP_1)
	v_add_f32_e32 v32, v33, v29
	v_mul_f32_e32 v34, v32, v32
	s_delay_alu instid0(VALU_DEP_1) | instskip(SKIP_2) | instid1(VALU_DEP_3)
	v_fmaak_f32 v35, s44, v34, 0x3ecc95a3
	v_mul_f32_e32 v36, v32, v34
	v_cmp_eq_f32_e64 s44, 0x7f800000, v30
	v_fmaak_f32 v34, v34, v35, 0x3f2aaada
	v_ldexp_f32 v35, v32, 1
	v_sub_f32_e32 v32, v32, v33
	s_delay_alu instid0(VALU_DEP_4) | instskip(NEXT) | instid1(VALU_DEP_3)
	s_or_b32 s44, s44, s47
	v_mul_f32_e32 v34, v36, v34
	v_mul_f32_e32 v36, 0x3f317218, v28
	s_delay_alu instid0(VALU_DEP_3) | instskip(NEXT) | instid1(VALU_DEP_3)
	v_sub_f32_e32 v29, v29, v32
	v_add_f32_e32 v33, v35, v34
	s_delay_alu instid0(VALU_DEP_2) | instskip(NEXT) | instid1(VALU_DEP_2)
	v_ldexp_f32 v29, v29, 1
	v_sub_f32_e32 v32, v33, v35
	v_fma_f32 v35, 0x3f317218, v28, -v36
	s_delay_alu instid0(VALU_DEP_2) | instskip(NEXT) | instid1(VALU_DEP_1)
	v_sub_f32_e32 v32, v34, v32
	v_dual_fmamk_f32 v28, v28, 0xb102e308, v35 :: v_dual_add_f32 v29, v29, v32
	s_delay_alu instid0(VALU_DEP_1) | instskip(NEXT) | instid1(VALU_DEP_2)
	v_add_f32_e32 v32, v36, v28
	v_add_f32_e32 v34, v33, v29
	s_delay_alu instid0(VALU_DEP_2) | instskip(NEXT) | instid1(VALU_DEP_2)
	v_sub_f32_e32 v36, v32, v36
	v_add_f32_e32 v35, v32, v34
	s_delay_alu instid0(VALU_DEP_2) | instskip(NEXT) | instid1(VALU_DEP_2)
	v_sub_f32_e32 v28, v28, v36
	v_sub_f32_e32 v37, v35, v32
	;; [unrolled: 1-line block ×3, first 2 shown]
	s_delay_alu instid0(VALU_DEP_2) | instskip(NEXT) | instid1(VALU_DEP_2)
	v_sub_f32_e32 v38, v35, v37
	v_sub_f32_e32 v29, v29, v33
	s_delay_alu instid0(VALU_DEP_2) | instskip(NEXT) | instid1(VALU_DEP_2)
	v_dual_sub_f32 v33, v34, v37 :: v_dual_sub_f32 v32, v32, v38
	v_add_f32_e32 v34, v28, v29
	s_delay_alu instid0(VALU_DEP_2) | instskip(NEXT) | instid1(VALU_DEP_2)
	v_add_f32_e32 v32, v33, v32
	v_sub_f32_e32 v33, v34, v28
	s_delay_alu instid0(VALU_DEP_2) | instskip(NEXT) | instid1(VALU_DEP_2)
	v_add_f32_e32 v32, v34, v32
	v_sub_f32_e32 v34, v34, v33
	s_delay_alu instid0(VALU_DEP_2) | instskip(NEXT) | instid1(VALU_DEP_2)
	v_dual_sub_f32 v29, v29, v33 :: v_dual_add_f32 v36, v35, v32
	v_sub_f32_e32 v28, v28, v34
	s_delay_alu instid0(VALU_DEP_1) | instskip(NEXT) | instid1(VALU_DEP_1)
	v_dual_sub_f32 v33, v36, v35 :: v_dual_add_f32 v28, v29, v28
	v_sub_f32_e32 v29, v32, v33
	s_delay_alu instid0(VALU_DEP_1) | instskip(NEXT) | instid1(VALU_DEP_1)
	v_add_f32_e32 v28, v28, v29
	v_add_f32_e32 v28, v36, v28
	s_delay_alu instid0(VALU_DEP_1) | instskip(NEXT) | instid1(VALU_DEP_1)
	v_cndmask_b32_e64 v28, v28, v30, s44
	v_add_f32_e32 v28, v31, v28
	s_delay_alu instid0(VALU_DEP_1) | instskip(NEXT) | instid1(VALU_DEP_1)
	v_cvt_f16_f32_e32 v28, v28
	v_cvt_f32_f16_e32 v30, v28
	v_mov_b32_e32 v29, v28
.LBB380_86:
	s_or_b32 exec_lo, exec_lo, s46
	v_lshrrev_b32_e32 v31, 16, v25
	s_delay_alu instid0(VALU_DEP_3) | instskip(SKIP_1) | instid1(VALU_DEP_3)
	v_max_f32_e32 v32, v30, v30
	v_cmp_u_f16_e64 s44, v28, v28
	v_cvt_f32_f16_e32 v25, v31
	s_delay_alu instid0(VALU_DEP_1) | instskip(SKIP_1) | instid1(VALU_DEP_2)
	v_min_f32_e32 v33, v32, v25
	v_max_f32_e32 v32, v32, v25
	v_cndmask_b32_e64 v28, v33, v30, s44
	s_delay_alu instid0(VALU_DEP_2) | instskip(SKIP_1) | instid1(VALU_DEP_1)
	v_cndmask_b32_e64 v32, v32, v30, s44
	v_cmp_u_f16_e64 s44, v31, v31
	v_cndmask_b32_e64 v30, v28, v25, s44
	s_delay_alu instid0(VALU_DEP_3) | instskip(NEXT) | instid1(VALU_DEP_2)
	v_cndmask_b32_e64 v28, v32, v25, s44
	v_cmp_class_f32_e64 s47, v30, 0x1f8
	s_delay_alu instid0(VALU_DEP_2) | instskip(NEXT) | instid1(VALU_DEP_1)
	v_cmp_neq_f32_e64 s46, v30, v28
	s_or_b32 s46, s46, s47
	s_delay_alu instid0(SALU_CYCLE_1)
	s_and_saveexec_b32 s47, s46
	s_cbranch_execz .LBB380_88
; %bb.87:
	v_sub_f32_e32 v29, v30, v28
	s_delay_alu instid0(VALU_DEP_1) | instskip(SKIP_1) | instid1(VALU_DEP_2)
	v_mul_f32_e32 v30, 0x3fb8aa3b, v29
	v_cmp_ngt_f32_e64 s46, 0xc2ce8ed0, v29
	v_fma_f32 v31, 0x3fb8aa3b, v29, -v30
	v_rndne_f32_e32 v32, v30
	s_delay_alu instid0(VALU_DEP_1) | instskip(NEXT) | instid1(VALU_DEP_1)
	v_dual_fmamk_f32 v31, v29, 0x32a5705f, v31 :: v_dual_sub_f32 v30, v30, v32
	v_add_f32_e32 v30, v30, v31
	v_cvt_i32_f32_e32 v31, v32
	s_delay_alu instid0(VALU_DEP_2) | instskip(SKIP_2) | instid1(VALU_DEP_1)
	v_exp_f32_e32 v30, v30
	s_waitcnt_depctr 0xfff
	v_ldexp_f32 v30, v30, v31
	v_cndmask_b32_e64 v30, 0, v30, s46
	v_cmp_nlt_f32_e64 s46, 0x42b17218, v29
	s_delay_alu instid0(VALU_DEP_1) | instskip(NEXT) | instid1(VALU_DEP_1)
	v_cndmask_b32_e64 v31, 0x7f800000, v30, s46
	v_add_f32_e32 v32, 1.0, v31
	v_cmp_gt_f32_e64 s48, 0x33800000, |v31|
	s_delay_alu instid0(VALU_DEP_2) | instskip(NEXT) | instid1(VALU_DEP_1)
	v_cvt_f64_f32_e32 v[29:30], v32
	v_frexp_exp_i32_f64_e32 v29, v[29:30]
	v_frexp_mant_f32_e32 v30, v32
	s_delay_alu instid0(VALU_DEP_1) | instskip(SKIP_1) | instid1(VALU_DEP_1)
	v_cmp_gt_f32_e64 s46, 0x3f2aaaab, v30
	v_add_f32_e32 v30, -1.0, v32
	v_sub_f32_e32 v34, v30, v32
	v_sub_f32_e32 v30, v31, v30
	s_delay_alu instid0(VALU_DEP_4) | instskip(SKIP_1) | instid1(VALU_DEP_1)
	v_subrev_co_ci_u32_e64 v29, s46, 0, v29, s46
	s_mov_b32 s46, 0x3e9b6dac
	v_sub_nc_u32_e32 v33, 0, v29
	v_cvt_f32_i32_e32 v29, v29
	s_delay_alu instid0(VALU_DEP_2) | instskip(NEXT) | instid1(VALU_DEP_1)
	v_ldexp_f32 v32, v32, v33
	v_dual_add_f32 v35, 1.0, v32 :: v_dual_add_f32 v34, 1.0, v34
	s_delay_alu instid0(VALU_DEP_1) | instskip(NEXT) | instid1(VALU_DEP_2)
	v_add_f32_e32 v30, v30, v34
	v_add_f32_e32 v34, -1.0, v35
	s_delay_alu instid0(VALU_DEP_2) | instskip(NEXT) | instid1(VALU_DEP_2)
	v_ldexp_f32 v30, v30, v33
	v_dual_add_f32 v33, -1.0, v32 :: v_dual_sub_f32 v34, v32, v34
	s_delay_alu instid0(VALU_DEP_1) | instskip(NEXT) | instid1(VALU_DEP_2)
	v_add_f32_e32 v36, 1.0, v33
	v_add_f32_e32 v34, v30, v34
	s_delay_alu instid0(VALU_DEP_2) | instskip(NEXT) | instid1(VALU_DEP_2)
	v_sub_f32_e32 v32, v32, v36
	v_add_f32_e32 v36, v35, v34
	s_delay_alu instid0(VALU_DEP_2) | instskip(NEXT) | instid1(VALU_DEP_2)
	v_add_f32_e32 v30, v30, v32
	v_rcp_f32_e32 v32, v36
	v_sub_f32_e32 v35, v35, v36
	s_delay_alu instid0(VALU_DEP_1) | instskip(NEXT) | instid1(VALU_DEP_1)
	v_dual_add_f32 v37, v33, v30 :: v_dual_add_f32 v34, v34, v35
	v_sub_f32_e32 v33, v33, v37
	s_waitcnt_depctr 0xfff
	v_mul_f32_e32 v38, v37, v32
	s_delay_alu instid0(VALU_DEP_1) | instskip(NEXT) | instid1(VALU_DEP_1)
	v_dual_add_f32 v30, v30, v33 :: v_dual_mul_f32 v39, v36, v38
	v_fma_f32 v35, v38, v36, -v39
	s_delay_alu instid0(VALU_DEP_1) | instskip(NEXT) | instid1(VALU_DEP_1)
	v_fmac_f32_e32 v35, v38, v34
	v_add_f32_e32 v40, v39, v35
	s_delay_alu instid0(VALU_DEP_1) | instskip(SKIP_1) | instid1(VALU_DEP_2)
	v_sub_f32_e32 v41, v37, v40
	v_sub_f32_e32 v33, v40, v39
	;; [unrolled: 1-line block ×3, first 2 shown]
	s_delay_alu instid0(VALU_DEP_2) | instskip(NEXT) | instid1(VALU_DEP_2)
	v_sub_f32_e32 v33, v33, v35
	v_sub_f32_e32 v37, v37, v40
	s_delay_alu instid0(VALU_DEP_1) | instskip(NEXT) | instid1(VALU_DEP_1)
	v_add_f32_e32 v30, v30, v37
	v_add_f32_e32 v30, v33, v30
	s_delay_alu instid0(VALU_DEP_1) | instskip(NEXT) | instid1(VALU_DEP_1)
	v_add_f32_e32 v33, v41, v30
	v_mul_f32_e32 v35, v32, v33
	s_delay_alu instid0(VALU_DEP_1) | instskip(NEXT) | instid1(VALU_DEP_1)
	v_dual_sub_f32 v40, v41, v33 :: v_dual_mul_f32 v37, v36, v35
	v_add_f32_e32 v30, v30, v40
	s_delay_alu instid0(VALU_DEP_2) | instskip(NEXT) | instid1(VALU_DEP_1)
	v_fma_f32 v36, v35, v36, -v37
	v_fmac_f32_e32 v36, v35, v34
	s_delay_alu instid0(VALU_DEP_1) | instskip(NEXT) | instid1(VALU_DEP_1)
	v_add_f32_e32 v34, v37, v36
	v_sub_f32_e32 v39, v33, v34
	v_sub_f32_e32 v37, v34, v37
	s_delay_alu instid0(VALU_DEP_2) | instskip(NEXT) | instid1(VALU_DEP_1)
	v_sub_f32_e32 v33, v33, v39
	v_sub_f32_e32 v33, v33, v34
	s_delay_alu instid0(VALU_DEP_3) | instskip(NEXT) | instid1(VALU_DEP_2)
	v_sub_f32_e32 v34, v37, v36
	v_add_f32_e32 v30, v30, v33
	v_add_f32_e32 v33, v38, v35
	s_delay_alu instid0(VALU_DEP_2) | instskip(NEXT) | instid1(VALU_DEP_2)
	v_add_f32_e32 v30, v34, v30
	v_sub_f32_e32 v34, v33, v38
	s_delay_alu instid0(VALU_DEP_2) | instskip(NEXT) | instid1(VALU_DEP_2)
	v_add_f32_e32 v30, v39, v30
	v_sub_f32_e32 v34, v35, v34
	s_delay_alu instid0(VALU_DEP_2) | instskip(NEXT) | instid1(VALU_DEP_1)
	v_mul_f32_e32 v30, v32, v30
	v_add_f32_e32 v30, v34, v30
	s_delay_alu instid0(VALU_DEP_1) | instskip(NEXT) | instid1(VALU_DEP_1)
	v_add_f32_e32 v32, v33, v30
	v_mul_f32_e32 v34, v32, v32
	s_delay_alu instid0(VALU_DEP_1) | instskip(SKIP_2) | instid1(VALU_DEP_3)
	v_fmaak_f32 v35, s46, v34, 0x3ecc95a3
	v_mul_f32_e32 v36, v32, v34
	v_cmp_eq_f32_e64 s46, 0x7f800000, v31
	v_fmaak_f32 v34, v34, v35, 0x3f2aaada
	v_ldexp_f32 v35, v32, 1
	v_sub_f32_e32 v32, v32, v33
	s_delay_alu instid0(VALU_DEP_4) | instskip(NEXT) | instid1(VALU_DEP_3)
	s_or_b32 s46, s46, s48
	v_mul_f32_e32 v34, v36, v34
	v_mul_f32_e32 v36, 0x3f317218, v29
	s_delay_alu instid0(VALU_DEP_2) | instskip(NEXT) | instid1(VALU_DEP_1)
	v_dual_sub_f32 v30, v30, v32 :: v_dual_add_f32 v33, v35, v34
	v_ldexp_f32 v30, v30, 1
	s_delay_alu instid0(VALU_DEP_2) | instskip(NEXT) | instid1(VALU_DEP_4)
	v_sub_f32_e32 v32, v33, v35
	v_fma_f32 v35, 0x3f317218, v29, -v36
	s_delay_alu instid0(VALU_DEP_1) | instskip(NEXT) | instid1(VALU_DEP_1)
	v_dual_sub_f32 v32, v34, v32 :: v_dual_fmamk_f32 v29, v29, 0xb102e308, v35
	v_add_f32_e32 v30, v30, v32
	s_delay_alu instid0(VALU_DEP_2) | instskip(NEXT) | instid1(VALU_DEP_2)
	v_add_f32_e32 v32, v36, v29
	v_add_f32_e32 v34, v33, v30
	s_delay_alu instid0(VALU_DEP_2) | instskip(NEXT) | instid1(VALU_DEP_2)
	v_sub_f32_e32 v36, v32, v36
	v_add_f32_e32 v35, v32, v34
	v_sub_f32_e32 v33, v34, v33
	s_delay_alu instid0(VALU_DEP_3) | instskip(NEXT) | instid1(VALU_DEP_2)
	v_sub_f32_e32 v29, v29, v36
	v_dual_sub_f32 v37, v35, v32 :: v_dual_sub_f32 v30, v30, v33
	s_delay_alu instid0(VALU_DEP_1) | instskip(NEXT) | instid1(VALU_DEP_2)
	v_sub_f32_e32 v38, v35, v37
	v_dual_sub_f32 v33, v34, v37 :: v_dual_add_f32 v34, v29, v30
	s_delay_alu instid0(VALU_DEP_2) | instskip(NEXT) | instid1(VALU_DEP_1)
	v_sub_f32_e32 v32, v32, v38
	v_dual_add_f32 v32, v33, v32 :: v_dual_sub_f32 v33, v34, v29
	s_delay_alu instid0(VALU_DEP_1) | instskip(NEXT) | instid1(VALU_DEP_2)
	v_add_f32_e32 v32, v34, v32
	v_sub_f32_e32 v34, v34, v33
	v_sub_f32_e32 v30, v30, v33
	s_delay_alu instid0(VALU_DEP_2) | instskip(NEXT) | instid1(VALU_DEP_1)
	v_dual_add_f32 v36, v35, v32 :: v_dual_sub_f32 v29, v29, v34
	v_sub_f32_e32 v33, v36, v35
	s_delay_alu instid0(VALU_DEP_2) | instskip(NEXT) | instid1(VALU_DEP_2)
	v_add_f32_e32 v29, v30, v29
	v_sub_f32_e32 v30, v32, v33
	s_delay_alu instid0(VALU_DEP_1) | instskip(NEXT) | instid1(VALU_DEP_1)
	v_add_f32_e32 v29, v29, v30
	v_add_f32_e32 v29, v36, v29
	s_delay_alu instid0(VALU_DEP_1) | instskip(NEXT) | instid1(VALU_DEP_1)
	v_cndmask_b32_e64 v29, v29, v31, s46
	v_add_f32_e32 v28, v28, v29
	s_delay_alu instid0(VALU_DEP_1)
	v_cvt_f16_f32_e32 v29, v28
.LBB380_88:
	s_or_b32 exec_lo, exec_lo, s47
	s_load_b64 s[46:47], s[0:1], 0x18
	v_lshrrev_b32_e32 v28, 4, v0
	s_mov_b32 s48, exec_lo
	s_delay_alu instid0(VALU_DEP_1) | instskip(NEXT) | instid1(VALU_DEP_1)
	v_and_b32_e32 v28, 2, v28
	v_add_nc_u32_e32 v28, v12, v28
	ds_store_b16 v28, v29
	s_waitcnt lgkmcnt(0)
	s_barrier
	buffer_gl0_inv
	v_cmpx_gt_u32_e32 32, v0
	s_cbranch_execz .LBB380_116
; %bb.89:
	v_lshrrev_b32_e32 v28, 3, v0
	s_delay_alu instid0(VALU_DEP_1) | instskip(NEXT) | instid1(VALU_DEP_1)
	v_and_b32_e32 v28, 6, v28
	v_lshl_or_b32 v28, v0, 2, v28
	ds_load_u16 v33, v28
	ds_load_u16 v31, v28 offset:2
	s_waitcnt lgkmcnt(1)
	v_cvt_f32_f16_e32 v30, v33
	s_waitcnt lgkmcnt(0)
	v_cvt_f32_f16_e32 v34, v31
	v_cmp_u_f16_e64 s0, v33, v33
	v_cmp_u_f16_e64 s1, v31, v31
	s_delay_alu instid0(VALU_DEP_3) | instskip(SKIP_1) | instid1(VALU_DEP_2)
	v_max_f32_e32 v35, v30, v34
	v_min_f32_e32 v32, v30, v34
	v_cndmask_b32_e64 v35, v35, v30, s0
	s_delay_alu instid0(VALU_DEP_2) | instskip(NEXT) | instid1(VALU_DEP_2)
	v_cndmask_b32_e64 v32, v32, v30, s0
	v_cndmask_b32_e64 v31, v35, v34, s1
	s_delay_alu instid0(VALU_DEP_2) | instskip(NEXT) | instid1(VALU_DEP_1)
	v_cndmask_b32_e64 v32, v32, v34, s1
	v_cmp_neq_f32_e64 s1, v32, v31
	v_cmp_class_f32_e64 s49, v32, 0x1f8
	s_delay_alu instid0(VALU_DEP_1) | instskip(NEXT) | instid1(SALU_CYCLE_1)
	s_or_b32 s1, s1, s49
	s_and_saveexec_b32 s49, s1
	s_cbranch_execz .LBB380_91
; %bb.90:
	v_sub_f32_e32 v32, v32, v31
	s_delay_alu instid0(VALU_DEP_1) | instskip(NEXT) | instid1(VALU_DEP_1)
	v_mul_f32_e32 v33, 0x3fb8aa3b, v32
	v_fma_f32 v34, 0x3fb8aa3b, v32, -v33
	v_rndne_f32_e32 v35, v33
	s_delay_alu instid0(VALU_DEP_1) | instskip(NEXT) | instid1(VALU_DEP_1)
	v_dual_fmamk_f32 v34, v32, 0x32a5705f, v34 :: v_dual_sub_f32 v33, v33, v35
	v_add_f32_e32 v33, v33, v34
	v_cvt_i32_f32_e32 v34, v35
	v_cmp_ngt_f32_e64 s1, 0xc2ce8ed0, v32
	s_delay_alu instid0(VALU_DEP_3) | instskip(SKIP_2) | instid1(VALU_DEP_1)
	v_exp_f32_e32 v33, v33
	s_waitcnt_depctr 0xfff
	v_ldexp_f32 v33, v33, v34
	v_cndmask_b32_e64 v33, 0, v33, s1
	v_cmp_nlt_f32_e64 s1, 0x42b17218, v32
	s_delay_alu instid0(VALU_DEP_1) | instskip(NEXT) | instid1(VALU_DEP_1)
	v_cndmask_b32_e64 v34, 0x7f800000, v33, s1
	v_add_f32_e32 v35, 1.0, v34
	v_cmp_gt_f32_e64 s50, 0x33800000, |v34|
	s_delay_alu instid0(VALU_DEP_2) | instskip(NEXT) | instid1(VALU_DEP_1)
	v_cvt_f64_f32_e32 v[32:33], v35
	v_frexp_exp_i32_f64_e32 v32, v[32:33]
	v_frexp_mant_f32_e32 v33, v35
	s_delay_alu instid0(VALU_DEP_1) | instskip(SKIP_1) | instid1(VALU_DEP_1)
	v_cmp_gt_f32_e64 s1, 0x3f2aaaab, v33
	v_add_f32_e32 v33, -1.0, v35
	v_sub_f32_e32 v37, v33, v35
	s_delay_alu instid0(VALU_DEP_3) | instskip(SKIP_1) | instid1(VALU_DEP_1)
	v_subrev_co_ci_u32_e64 v32, s1, 0, v32, s1
	s_mov_b32 s1, 0x3e9b6dac
	v_sub_nc_u32_e32 v36, 0, v32
	v_cvt_f32_i32_e32 v32, v32
	s_delay_alu instid0(VALU_DEP_2) | instskip(NEXT) | instid1(VALU_DEP_1)
	v_ldexp_f32 v35, v35, v36
	v_dual_sub_f32 v33, v34, v33 :: v_dual_add_f32 v38, 1.0, v35
	v_add_f32_e32 v37, 1.0, v37
	s_delay_alu instid0(VALU_DEP_1) | instskip(NEXT) | instid1(VALU_DEP_3)
	v_add_f32_e32 v33, v33, v37
	v_add_f32_e32 v37, -1.0, v38
	s_delay_alu instid0(VALU_DEP_2) | instskip(NEXT) | instid1(VALU_DEP_2)
	v_ldexp_f32 v33, v33, v36
	v_dual_add_f32 v36, -1.0, v35 :: v_dual_sub_f32 v37, v35, v37
	s_delay_alu instid0(VALU_DEP_1) | instskip(NEXT) | instid1(VALU_DEP_2)
	v_add_f32_e32 v39, 1.0, v36
	v_add_f32_e32 v37, v33, v37
	s_delay_alu instid0(VALU_DEP_2) | instskip(NEXT) | instid1(VALU_DEP_2)
	v_sub_f32_e32 v35, v35, v39
	v_add_f32_e32 v39, v38, v37
	s_delay_alu instid0(VALU_DEP_2) | instskip(NEXT) | instid1(VALU_DEP_2)
	v_add_f32_e32 v33, v33, v35
	v_rcp_f32_e32 v35, v39
	v_sub_f32_e32 v38, v38, v39
	s_delay_alu instid0(VALU_DEP_1) | instskip(NEXT) | instid1(VALU_DEP_1)
	v_dual_add_f32 v40, v36, v33 :: v_dual_add_f32 v37, v37, v38
	v_sub_f32_e32 v36, v36, v40
	s_waitcnt_depctr 0xfff
	v_mul_f32_e32 v41, v40, v35
	s_delay_alu instid0(VALU_DEP_1) | instskip(NEXT) | instid1(VALU_DEP_1)
	v_dual_add_f32 v33, v33, v36 :: v_dual_mul_f32 v42, v39, v41
	v_fma_f32 v38, v41, v39, -v42
	s_delay_alu instid0(VALU_DEP_1) | instskip(NEXT) | instid1(VALU_DEP_1)
	v_fmac_f32_e32 v38, v41, v37
	v_add_f32_e32 v43, v42, v38
	s_delay_alu instid0(VALU_DEP_1) | instskip(SKIP_1) | instid1(VALU_DEP_2)
	v_sub_f32_e32 v44, v40, v43
	v_sub_f32_e32 v36, v43, v42
	v_sub_f32_e32 v40, v40, v44
	s_delay_alu instid0(VALU_DEP_2) | instskip(NEXT) | instid1(VALU_DEP_2)
	v_sub_f32_e32 v36, v36, v38
	v_sub_f32_e32 v40, v40, v43
	s_delay_alu instid0(VALU_DEP_1) | instskip(NEXT) | instid1(VALU_DEP_1)
	v_add_f32_e32 v33, v33, v40
	v_add_f32_e32 v33, v36, v33
	s_delay_alu instid0(VALU_DEP_1) | instskip(NEXT) | instid1(VALU_DEP_1)
	v_add_f32_e32 v36, v44, v33
	v_mul_f32_e32 v38, v35, v36
	s_delay_alu instid0(VALU_DEP_1) | instskip(NEXT) | instid1(VALU_DEP_1)
	v_dual_sub_f32 v43, v44, v36 :: v_dual_mul_f32 v40, v39, v38
	v_add_f32_e32 v33, v33, v43
	s_delay_alu instid0(VALU_DEP_2) | instskip(NEXT) | instid1(VALU_DEP_1)
	v_fma_f32 v39, v38, v39, -v40
	v_fmac_f32_e32 v39, v38, v37
	s_delay_alu instid0(VALU_DEP_1) | instskip(NEXT) | instid1(VALU_DEP_1)
	v_add_f32_e32 v37, v40, v39
	v_sub_f32_e32 v42, v36, v37
	v_sub_f32_e32 v40, v37, v40
	s_delay_alu instid0(VALU_DEP_2) | instskip(NEXT) | instid1(VALU_DEP_1)
	v_sub_f32_e32 v36, v36, v42
	v_sub_f32_e32 v36, v36, v37
	s_delay_alu instid0(VALU_DEP_3) | instskip(NEXT) | instid1(VALU_DEP_2)
	v_sub_f32_e32 v37, v40, v39
	v_add_f32_e32 v33, v33, v36
	v_add_f32_e32 v36, v41, v38
	s_delay_alu instid0(VALU_DEP_2) | instskip(NEXT) | instid1(VALU_DEP_2)
	v_add_f32_e32 v33, v37, v33
	v_sub_f32_e32 v37, v36, v41
	s_delay_alu instid0(VALU_DEP_2) | instskip(NEXT) | instid1(VALU_DEP_2)
	v_add_f32_e32 v33, v42, v33
	v_sub_f32_e32 v37, v38, v37
	s_delay_alu instid0(VALU_DEP_2) | instskip(NEXT) | instid1(VALU_DEP_1)
	v_mul_f32_e32 v33, v35, v33
	v_add_f32_e32 v33, v37, v33
	s_delay_alu instid0(VALU_DEP_1) | instskip(NEXT) | instid1(VALU_DEP_1)
	v_add_f32_e32 v35, v36, v33
	v_mul_f32_e32 v37, v35, v35
	s_delay_alu instid0(VALU_DEP_1) | instskip(SKIP_2) | instid1(VALU_DEP_3)
	v_fmaak_f32 v38, s1, v37, 0x3ecc95a3
	v_mul_f32_e32 v39, v35, v37
	v_cmp_eq_f32_e64 s1, 0x7f800000, v34
	v_fmaak_f32 v37, v37, v38, 0x3f2aaada
	v_ldexp_f32 v38, v35, 1
	v_sub_f32_e32 v35, v35, v36
	s_delay_alu instid0(VALU_DEP_4) | instskip(NEXT) | instid1(VALU_DEP_3)
	s_or_b32 s1, s1, s50
	v_mul_f32_e32 v37, v39, v37
	v_mul_f32_e32 v39, 0x3f317218, v32
	s_delay_alu instid0(VALU_DEP_2) | instskip(NEXT) | instid1(VALU_DEP_1)
	v_dual_sub_f32 v33, v33, v35 :: v_dual_add_f32 v36, v38, v37
	v_ldexp_f32 v33, v33, 1
	s_delay_alu instid0(VALU_DEP_2) | instskip(NEXT) | instid1(VALU_DEP_4)
	v_sub_f32_e32 v35, v36, v38
	v_fma_f32 v38, 0x3f317218, v32, -v39
	s_delay_alu instid0(VALU_DEP_1) | instskip(NEXT) | instid1(VALU_DEP_1)
	v_dual_sub_f32 v35, v37, v35 :: v_dual_fmamk_f32 v32, v32, 0xb102e308, v38
	v_add_f32_e32 v33, v33, v35
	s_delay_alu instid0(VALU_DEP_2) | instskip(NEXT) | instid1(VALU_DEP_2)
	v_add_f32_e32 v35, v39, v32
	v_add_f32_e32 v37, v36, v33
	s_delay_alu instid0(VALU_DEP_2) | instskip(NEXT) | instid1(VALU_DEP_2)
	v_sub_f32_e32 v39, v35, v39
	v_add_f32_e32 v38, v35, v37
	v_sub_f32_e32 v36, v37, v36
	s_delay_alu instid0(VALU_DEP_3) | instskip(NEXT) | instid1(VALU_DEP_2)
	v_sub_f32_e32 v32, v32, v39
	v_dual_sub_f32 v40, v38, v35 :: v_dual_sub_f32 v33, v33, v36
	s_delay_alu instid0(VALU_DEP_1) | instskip(NEXT) | instid1(VALU_DEP_2)
	v_sub_f32_e32 v41, v38, v40
	v_dual_sub_f32 v36, v37, v40 :: v_dual_add_f32 v37, v32, v33
	s_delay_alu instid0(VALU_DEP_2) | instskip(NEXT) | instid1(VALU_DEP_1)
	v_sub_f32_e32 v35, v35, v41
	v_dual_add_f32 v35, v36, v35 :: v_dual_sub_f32 v36, v37, v32
	s_delay_alu instid0(VALU_DEP_1) | instskip(NEXT) | instid1(VALU_DEP_2)
	v_add_f32_e32 v35, v37, v35
	v_sub_f32_e32 v37, v37, v36
	v_sub_f32_e32 v33, v33, v36
	s_delay_alu instid0(VALU_DEP_2) | instskip(NEXT) | instid1(VALU_DEP_1)
	v_dual_add_f32 v39, v38, v35 :: v_dual_sub_f32 v32, v32, v37
	v_sub_f32_e32 v36, v39, v38
	s_delay_alu instid0(VALU_DEP_2) | instskip(NEXT) | instid1(VALU_DEP_2)
	v_add_f32_e32 v32, v33, v32
	v_sub_f32_e32 v33, v35, v36
	s_delay_alu instid0(VALU_DEP_1) | instskip(NEXT) | instid1(VALU_DEP_1)
	v_add_f32_e32 v32, v32, v33
	v_add_f32_e32 v32, v39, v32
	s_delay_alu instid0(VALU_DEP_1) | instskip(NEXT) | instid1(VALU_DEP_1)
	v_cndmask_b32_e64 v32, v32, v34, s1
	v_add_f32_e32 v31, v31, v32
	s_delay_alu instid0(VALU_DEP_1)
	v_cvt_f16_f32_e32 v33, v31
.LBB380_91:
	s_or_b32 exec_lo, exec_lo, s49
	v_mbcnt_lo_u32_b32 v31, -1, 0
	s_delay_alu instid0(VALU_DEP_2) | instskip(SKIP_1) | instid1(VALU_DEP_2)
	v_and_b32_e32 v34, 0xffff, v33
	s_mov_b32 s49, exec_lo
	v_and_b32_e32 v32, 15, v31
	s_delay_alu instid0(VALU_DEP_2) | instskip(NEXT) | instid1(VALU_DEP_2)
	v_mov_b32_dpp v35, v34 row_shr:1 row_mask:0xf bank_mask:0xf
	v_cmpx_ne_u32_e32 0, v32
	s_cbranch_execz .LBB380_95
; %bb.92:
	s_delay_alu instid0(VALU_DEP_2) | instskip(SKIP_2) | instid1(VALU_DEP_2)
	v_cvt_f32_f16_e32 v34, v35
	v_cvt_f32_f16_e32 v36, v33
	v_cmp_u_f16_e64 s1, v35, v35
	v_min_f32_e32 v37, v34, v36
	v_max_f32_e32 v38, v34, v36
	s_delay_alu instid0(VALU_DEP_2) | instskip(NEXT) | instid1(VALU_DEP_2)
	v_cndmask_b32_e64 v37, v37, v34, s1
	v_cndmask_b32_e64 v38, v38, v34, s1
	v_cmp_u_f16_e64 s1, v33, v33
	s_delay_alu instid0(VALU_DEP_1) | instskip(NEXT) | instid1(VALU_DEP_3)
	v_cndmask_b32_e64 v34, v37, v36, s1
	v_cndmask_b32_e64 v33, v38, v36, s1
	s_delay_alu instid0(VALU_DEP_2) | instskip(NEXT) | instid1(VALU_DEP_2)
	v_cmp_class_f32_e64 s50, v34, 0x1f8
	v_cmp_neq_f32_e64 s1, v34, v33
	s_delay_alu instid0(VALU_DEP_1) | instskip(NEXT) | instid1(SALU_CYCLE_1)
	s_or_b32 s1, s1, s50
	s_and_saveexec_b32 s50, s1
	s_cbranch_execz .LBB380_94
; %bb.93:
	v_sub_f32_e32 v34, v34, v33
	s_delay_alu instid0(VALU_DEP_1) | instskip(NEXT) | instid1(VALU_DEP_1)
	v_mul_f32_e32 v35, 0x3fb8aa3b, v34
	v_fma_f32 v36, 0x3fb8aa3b, v34, -v35
	v_rndne_f32_e32 v37, v35
	s_delay_alu instid0(VALU_DEP_1) | instskip(NEXT) | instid1(VALU_DEP_1)
	v_dual_fmamk_f32 v36, v34, 0x32a5705f, v36 :: v_dual_sub_f32 v35, v35, v37
	v_add_f32_e32 v35, v35, v36
	v_cvt_i32_f32_e32 v36, v37
	v_cmp_ngt_f32_e64 s1, 0xc2ce8ed0, v34
	s_delay_alu instid0(VALU_DEP_3) | instskip(SKIP_2) | instid1(VALU_DEP_1)
	v_exp_f32_e32 v35, v35
	s_waitcnt_depctr 0xfff
	v_ldexp_f32 v35, v35, v36
	v_cndmask_b32_e64 v35, 0, v35, s1
	v_cmp_nlt_f32_e64 s1, 0x42b17218, v34
	s_delay_alu instid0(VALU_DEP_1) | instskip(NEXT) | instid1(VALU_DEP_1)
	v_cndmask_b32_e64 v36, 0x7f800000, v35, s1
	v_add_f32_e32 v37, 1.0, v36
	v_cmp_gt_f32_e64 s51, 0x33800000, |v36|
	s_delay_alu instid0(VALU_DEP_2) | instskip(NEXT) | instid1(VALU_DEP_1)
	v_cvt_f64_f32_e32 v[34:35], v37
	v_frexp_exp_i32_f64_e32 v34, v[34:35]
	v_frexp_mant_f32_e32 v35, v37
	s_delay_alu instid0(VALU_DEP_1) | instskip(SKIP_1) | instid1(VALU_DEP_1)
	v_cmp_gt_f32_e64 s1, 0x3f2aaaab, v35
	v_add_f32_e32 v35, -1.0, v37
	v_sub_f32_e32 v39, v35, v37
	s_delay_alu instid0(VALU_DEP_3) | instskip(SKIP_1) | instid1(VALU_DEP_1)
	v_subrev_co_ci_u32_e64 v34, s1, 0, v34, s1
	s_mov_b32 s1, 0x3e9b6dac
	v_sub_nc_u32_e32 v38, 0, v34
	v_cvt_f32_i32_e32 v34, v34
	s_delay_alu instid0(VALU_DEP_2) | instskip(NEXT) | instid1(VALU_DEP_1)
	v_ldexp_f32 v37, v37, v38
	v_dual_sub_f32 v35, v36, v35 :: v_dual_add_f32 v40, 1.0, v37
	v_add_f32_e32 v39, 1.0, v39
	s_delay_alu instid0(VALU_DEP_1) | instskip(NEXT) | instid1(VALU_DEP_3)
	v_add_f32_e32 v35, v35, v39
	v_add_f32_e32 v39, -1.0, v40
	s_delay_alu instid0(VALU_DEP_2) | instskip(NEXT) | instid1(VALU_DEP_2)
	v_ldexp_f32 v35, v35, v38
	v_dual_add_f32 v38, -1.0, v37 :: v_dual_sub_f32 v39, v37, v39
	s_delay_alu instid0(VALU_DEP_1) | instskip(NEXT) | instid1(VALU_DEP_2)
	v_add_f32_e32 v41, 1.0, v38
	v_add_f32_e32 v39, v35, v39
	s_delay_alu instid0(VALU_DEP_2) | instskip(NEXT) | instid1(VALU_DEP_2)
	v_sub_f32_e32 v37, v37, v41
	v_add_f32_e32 v41, v40, v39
	s_delay_alu instid0(VALU_DEP_2) | instskip(NEXT) | instid1(VALU_DEP_2)
	v_add_f32_e32 v35, v35, v37
	v_rcp_f32_e32 v37, v41
	v_sub_f32_e32 v40, v40, v41
	s_delay_alu instid0(VALU_DEP_1) | instskip(NEXT) | instid1(VALU_DEP_1)
	v_dual_add_f32 v42, v38, v35 :: v_dual_add_f32 v39, v39, v40
	v_sub_f32_e32 v38, v38, v42
	s_waitcnt_depctr 0xfff
	v_mul_f32_e32 v43, v42, v37
	s_delay_alu instid0(VALU_DEP_1) | instskip(NEXT) | instid1(VALU_DEP_1)
	v_dual_add_f32 v35, v35, v38 :: v_dual_mul_f32 v44, v41, v43
	v_fma_f32 v40, v43, v41, -v44
	s_delay_alu instid0(VALU_DEP_1) | instskip(NEXT) | instid1(VALU_DEP_1)
	v_fmac_f32_e32 v40, v43, v39
	v_add_f32_e32 v45, v44, v40
	s_delay_alu instid0(VALU_DEP_1) | instskip(SKIP_1) | instid1(VALU_DEP_2)
	v_sub_f32_e32 v46, v42, v45
	v_sub_f32_e32 v38, v45, v44
	v_sub_f32_e32 v42, v42, v46
	s_delay_alu instid0(VALU_DEP_2) | instskip(NEXT) | instid1(VALU_DEP_2)
	v_sub_f32_e32 v38, v38, v40
	v_sub_f32_e32 v42, v42, v45
	s_delay_alu instid0(VALU_DEP_1) | instskip(NEXT) | instid1(VALU_DEP_1)
	v_add_f32_e32 v35, v35, v42
	v_add_f32_e32 v35, v38, v35
	s_delay_alu instid0(VALU_DEP_1) | instskip(NEXT) | instid1(VALU_DEP_1)
	v_add_f32_e32 v38, v46, v35
	v_mul_f32_e32 v40, v37, v38
	s_delay_alu instid0(VALU_DEP_1) | instskip(NEXT) | instid1(VALU_DEP_1)
	v_dual_sub_f32 v45, v46, v38 :: v_dual_mul_f32 v42, v41, v40
	v_add_f32_e32 v35, v35, v45
	s_delay_alu instid0(VALU_DEP_2) | instskip(NEXT) | instid1(VALU_DEP_1)
	v_fma_f32 v41, v40, v41, -v42
	v_fmac_f32_e32 v41, v40, v39
	s_delay_alu instid0(VALU_DEP_1) | instskip(NEXT) | instid1(VALU_DEP_1)
	v_add_f32_e32 v39, v42, v41
	v_sub_f32_e32 v44, v38, v39
	v_sub_f32_e32 v42, v39, v42
	s_delay_alu instid0(VALU_DEP_2) | instskip(NEXT) | instid1(VALU_DEP_1)
	v_sub_f32_e32 v38, v38, v44
	v_sub_f32_e32 v38, v38, v39
	s_delay_alu instid0(VALU_DEP_3) | instskip(NEXT) | instid1(VALU_DEP_2)
	v_sub_f32_e32 v39, v42, v41
	v_add_f32_e32 v35, v35, v38
	v_add_f32_e32 v38, v43, v40
	s_delay_alu instid0(VALU_DEP_2) | instskip(NEXT) | instid1(VALU_DEP_2)
	v_add_f32_e32 v35, v39, v35
	v_sub_f32_e32 v39, v38, v43
	s_delay_alu instid0(VALU_DEP_2) | instskip(NEXT) | instid1(VALU_DEP_2)
	v_add_f32_e32 v35, v44, v35
	v_sub_f32_e32 v39, v40, v39
	s_delay_alu instid0(VALU_DEP_2) | instskip(NEXT) | instid1(VALU_DEP_1)
	v_mul_f32_e32 v35, v37, v35
	v_add_f32_e32 v35, v39, v35
	s_delay_alu instid0(VALU_DEP_1) | instskip(NEXT) | instid1(VALU_DEP_1)
	v_add_f32_e32 v37, v38, v35
	v_mul_f32_e32 v39, v37, v37
	s_delay_alu instid0(VALU_DEP_1) | instskip(SKIP_2) | instid1(VALU_DEP_3)
	v_fmaak_f32 v40, s1, v39, 0x3ecc95a3
	v_mul_f32_e32 v41, v37, v39
	v_cmp_eq_f32_e64 s1, 0x7f800000, v36
	v_fmaak_f32 v39, v39, v40, 0x3f2aaada
	v_ldexp_f32 v40, v37, 1
	v_sub_f32_e32 v37, v37, v38
	s_delay_alu instid0(VALU_DEP_4) | instskip(NEXT) | instid1(VALU_DEP_3)
	s_or_b32 s1, s1, s51
	v_mul_f32_e32 v39, v41, v39
	v_mul_f32_e32 v41, 0x3f317218, v34
	s_delay_alu instid0(VALU_DEP_2) | instskip(NEXT) | instid1(VALU_DEP_1)
	v_dual_sub_f32 v35, v35, v37 :: v_dual_add_f32 v38, v40, v39
	v_ldexp_f32 v35, v35, 1
	s_delay_alu instid0(VALU_DEP_2) | instskip(NEXT) | instid1(VALU_DEP_4)
	v_sub_f32_e32 v37, v38, v40
	v_fma_f32 v40, 0x3f317218, v34, -v41
	s_delay_alu instid0(VALU_DEP_1) | instskip(NEXT) | instid1(VALU_DEP_1)
	v_dual_sub_f32 v37, v39, v37 :: v_dual_fmamk_f32 v34, v34, 0xb102e308, v40
	v_add_f32_e32 v35, v35, v37
	s_delay_alu instid0(VALU_DEP_2) | instskip(NEXT) | instid1(VALU_DEP_2)
	v_add_f32_e32 v37, v41, v34
	v_add_f32_e32 v39, v38, v35
	s_delay_alu instid0(VALU_DEP_2) | instskip(NEXT) | instid1(VALU_DEP_2)
	v_sub_f32_e32 v41, v37, v41
	v_add_f32_e32 v40, v37, v39
	v_sub_f32_e32 v38, v39, v38
	s_delay_alu instid0(VALU_DEP_3) | instskip(NEXT) | instid1(VALU_DEP_2)
	v_sub_f32_e32 v34, v34, v41
	v_dual_sub_f32 v42, v40, v37 :: v_dual_sub_f32 v35, v35, v38
	s_delay_alu instid0(VALU_DEP_1) | instskip(NEXT) | instid1(VALU_DEP_2)
	v_sub_f32_e32 v43, v40, v42
	v_dual_sub_f32 v38, v39, v42 :: v_dual_add_f32 v39, v34, v35
	s_delay_alu instid0(VALU_DEP_2) | instskip(NEXT) | instid1(VALU_DEP_1)
	v_sub_f32_e32 v37, v37, v43
	v_dual_add_f32 v37, v38, v37 :: v_dual_sub_f32 v38, v39, v34
	s_delay_alu instid0(VALU_DEP_1) | instskip(NEXT) | instid1(VALU_DEP_2)
	v_add_f32_e32 v37, v39, v37
	v_sub_f32_e32 v39, v39, v38
	v_sub_f32_e32 v35, v35, v38
	s_delay_alu instid0(VALU_DEP_2) | instskip(NEXT) | instid1(VALU_DEP_1)
	v_dual_add_f32 v41, v40, v37 :: v_dual_sub_f32 v34, v34, v39
	v_sub_f32_e32 v38, v41, v40
	s_delay_alu instid0(VALU_DEP_2) | instskip(NEXT) | instid1(VALU_DEP_2)
	v_add_f32_e32 v34, v35, v34
	v_sub_f32_e32 v35, v37, v38
	s_delay_alu instid0(VALU_DEP_1) | instskip(NEXT) | instid1(VALU_DEP_1)
	v_add_f32_e32 v34, v34, v35
	v_add_f32_e32 v34, v41, v34
	s_delay_alu instid0(VALU_DEP_1) | instskip(NEXT) | instid1(VALU_DEP_1)
	v_cndmask_b32_e64 v34, v34, v36, s1
	v_add_f32_e32 v33, v33, v34
	s_delay_alu instid0(VALU_DEP_1)
	v_cvt_f16_f32_e32 v35, v33
.LBB380_94:
	s_or_b32 exec_lo, exec_lo, s50
	s_delay_alu instid0(VALU_DEP_1)
	v_dual_mov_b32 v33, v35 :: v_dual_and_b32 v34, 0xffff, v35
.LBB380_95:
	s_or_b32 exec_lo, exec_lo, s49
	s_delay_alu instid0(VALU_DEP_1)
	v_mov_b32_dpp v35, v34 row_shr:2 row_mask:0xf bank_mask:0xf
	s_mov_b32 s49, exec_lo
	v_cmpx_lt_u32_e32 1, v32
	s_cbranch_execz .LBB380_99
; %bb.96:
	s_delay_alu instid0(VALU_DEP_2) | instskip(SKIP_2) | instid1(VALU_DEP_2)
	v_cvt_f32_f16_e32 v34, v35
	v_cvt_f32_f16_e32 v36, v33
	v_cmp_u_f16_e64 s1, v35, v35
	v_min_f32_e32 v37, v34, v36
	v_max_f32_e32 v38, v34, v36
	s_delay_alu instid0(VALU_DEP_2) | instskip(NEXT) | instid1(VALU_DEP_2)
	v_cndmask_b32_e64 v37, v37, v34, s1
	v_cndmask_b32_e64 v38, v38, v34, s1
	v_cmp_u_f16_e64 s1, v33, v33
	s_delay_alu instid0(VALU_DEP_1) | instskip(NEXT) | instid1(VALU_DEP_3)
	v_cndmask_b32_e64 v34, v37, v36, s1
	v_cndmask_b32_e64 v33, v38, v36, s1
	s_delay_alu instid0(VALU_DEP_2) | instskip(NEXT) | instid1(VALU_DEP_2)
	v_cmp_class_f32_e64 s50, v34, 0x1f8
	v_cmp_neq_f32_e64 s1, v34, v33
	s_delay_alu instid0(VALU_DEP_1) | instskip(NEXT) | instid1(SALU_CYCLE_1)
	s_or_b32 s1, s1, s50
	s_and_saveexec_b32 s50, s1
	s_cbranch_execz .LBB380_98
; %bb.97:
	v_sub_f32_e32 v34, v34, v33
	s_delay_alu instid0(VALU_DEP_1) | instskip(NEXT) | instid1(VALU_DEP_1)
	v_mul_f32_e32 v35, 0x3fb8aa3b, v34
	v_fma_f32 v36, 0x3fb8aa3b, v34, -v35
	v_rndne_f32_e32 v37, v35
	s_delay_alu instid0(VALU_DEP_1) | instskip(NEXT) | instid1(VALU_DEP_1)
	v_dual_fmamk_f32 v36, v34, 0x32a5705f, v36 :: v_dual_sub_f32 v35, v35, v37
	v_add_f32_e32 v35, v35, v36
	v_cvt_i32_f32_e32 v36, v37
	v_cmp_ngt_f32_e64 s1, 0xc2ce8ed0, v34
	s_delay_alu instid0(VALU_DEP_3) | instskip(SKIP_2) | instid1(VALU_DEP_1)
	v_exp_f32_e32 v35, v35
	s_waitcnt_depctr 0xfff
	v_ldexp_f32 v35, v35, v36
	v_cndmask_b32_e64 v35, 0, v35, s1
	v_cmp_nlt_f32_e64 s1, 0x42b17218, v34
	s_delay_alu instid0(VALU_DEP_1) | instskip(NEXT) | instid1(VALU_DEP_1)
	v_cndmask_b32_e64 v36, 0x7f800000, v35, s1
	v_add_f32_e32 v37, 1.0, v36
	v_cmp_gt_f32_e64 s51, 0x33800000, |v36|
	s_delay_alu instid0(VALU_DEP_2) | instskip(NEXT) | instid1(VALU_DEP_1)
	v_cvt_f64_f32_e32 v[34:35], v37
	v_frexp_exp_i32_f64_e32 v34, v[34:35]
	v_frexp_mant_f32_e32 v35, v37
	s_delay_alu instid0(VALU_DEP_1) | instskip(SKIP_1) | instid1(VALU_DEP_1)
	v_cmp_gt_f32_e64 s1, 0x3f2aaaab, v35
	v_add_f32_e32 v35, -1.0, v37
	v_sub_f32_e32 v39, v35, v37
	s_delay_alu instid0(VALU_DEP_3) | instskip(SKIP_1) | instid1(VALU_DEP_1)
	v_subrev_co_ci_u32_e64 v34, s1, 0, v34, s1
	s_mov_b32 s1, 0x3e9b6dac
	v_sub_nc_u32_e32 v38, 0, v34
	v_cvt_f32_i32_e32 v34, v34
	s_delay_alu instid0(VALU_DEP_2) | instskip(NEXT) | instid1(VALU_DEP_1)
	v_ldexp_f32 v37, v37, v38
	v_dual_sub_f32 v35, v36, v35 :: v_dual_add_f32 v40, 1.0, v37
	v_add_f32_e32 v39, 1.0, v39
	s_delay_alu instid0(VALU_DEP_1) | instskip(NEXT) | instid1(VALU_DEP_3)
	v_add_f32_e32 v35, v35, v39
	v_add_f32_e32 v39, -1.0, v40
	s_delay_alu instid0(VALU_DEP_2) | instskip(NEXT) | instid1(VALU_DEP_2)
	v_ldexp_f32 v35, v35, v38
	v_dual_add_f32 v38, -1.0, v37 :: v_dual_sub_f32 v39, v37, v39
	s_delay_alu instid0(VALU_DEP_1) | instskip(NEXT) | instid1(VALU_DEP_2)
	v_add_f32_e32 v41, 1.0, v38
	v_add_f32_e32 v39, v35, v39
	s_delay_alu instid0(VALU_DEP_2) | instskip(NEXT) | instid1(VALU_DEP_2)
	v_sub_f32_e32 v37, v37, v41
	v_add_f32_e32 v41, v40, v39
	s_delay_alu instid0(VALU_DEP_2) | instskip(NEXT) | instid1(VALU_DEP_2)
	v_add_f32_e32 v35, v35, v37
	v_rcp_f32_e32 v37, v41
	v_sub_f32_e32 v40, v40, v41
	s_delay_alu instid0(VALU_DEP_1) | instskip(NEXT) | instid1(VALU_DEP_1)
	v_dual_add_f32 v42, v38, v35 :: v_dual_add_f32 v39, v39, v40
	v_sub_f32_e32 v38, v38, v42
	s_waitcnt_depctr 0xfff
	v_mul_f32_e32 v43, v42, v37
	s_delay_alu instid0(VALU_DEP_1) | instskip(NEXT) | instid1(VALU_DEP_1)
	v_dual_add_f32 v35, v35, v38 :: v_dual_mul_f32 v44, v41, v43
	v_fma_f32 v40, v43, v41, -v44
	s_delay_alu instid0(VALU_DEP_1) | instskip(NEXT) | instid1(VALU_DEP_1)
	v_fmac_f32_e32 v40, v43, v39
	v_add_f32_e32 v45, v44, v40
	s_delay_alu instid0(VALU_DEP_1) | instskip(SKIP_1) | instid1(VALU_DEP_2)
	v_sub_f32_e32 v46, v42, v45
	v_sub_f32_e32 v38, v45, v44
	;; [unrolled: 1-line block ×3, first 2 shown]
	s_delay_alu instid0(VALU_DEP_2) | instskip(NEXT) | instid1(VALU_DEP_2)
	v_sub_f32_e32 v38, v38, v40
	v_sub_f32_e32 v42, v42, v45
	s_delay_alu instid0(VALU_DEP_1) | instskip(NEXT) | instid1(VALU_DEP_1)
	v_add_f32_e32 v35, v35, v42
	v_add_f32_e32 v35, v38, v35
	s_delay_alu instid0(VALU_DEP_1) | instskip(NEXT) | instid1(VALU_DEP_1)
	v_add_f32_e32 v38, v46, v35
	v_mul_f32_e32 v40, v37, v38
	s_delay_alu instid0(VALU_DEP_1) | instskip(NEXT) | instid1(VALU_DEP_1)
	v_dual_sub_f32 v45, v46, v38 :: v_dual_mul_f32 v42, v41, v40
	v_add_f32_e32 v35, v35, v45
	s_delay_alu instid0(VALU_DEP_2) | instskip(NEXT) | instid1(VALU_DEP_1)
	v_fma_f32 v41, v40, v41, -v42
	v_fmac_f32_e32 v41, v40, v39
	s_delay_alu instid0(VALU_DEP_1) | instskip(NEXT) | instid1(VALU_DEP_1)
	v_add_f32_e32 v39, v42, v41
	v_sub_f32_e32 v44, v38, v39
	v_sub_f32_e32 v42, v39, v42
	s_delay_alu instid0(VALU_DEP_2) | instskip(NEXT) | instid1(VALU_DEP_1)
	v_sub_f32_e32 v38, v38, v44
	v_sub_f32_e32 v38, v38, v39
	s_delay_alu instid0(VALU_DEP_3) | instskip(NEXT) | instid1(VALU_DEP_2)
	v_sub_f32_e32 v39, v42, v41
	v_add_f32_e32 v35, v35, v38
	v_add_f32_e32 v38, v43, v40
	s_delay_alu instid0(VALU_DEP_2) | instskip(NEXT) | instid1(VALU_DEP_2)
	v_add_f32_e32 v35, v39, v35
	v_sub_f32_e32 v39, v38, v43
	s_delay_alu instid0(VALU_DEP_2) | instskip(NEXT) | instid1(VALU_DEP_2)
	v_add_f32_e32 v35, v44, v35
	v_sub_f32_e32 v39, v40, v39
	s_delay_alu instid0(VALU_DEP_2) | instskip(NEXT) | instid1(VALU_DEP_1)
	v_mul_f32_e32 v35, v37, v35
	v_add_f32_e32 v35, v39, v35
	s_delay_alu instid0(VALU_DEP_1) | instskip(NEXT) | instid1(VALU_DEP_1)
	v_add_f32_e32 v37, v38, v35
	v_mul_f32_e32 v39, v37, v37
	s_delay_alu instid0(VALU_DEP_1) | instskip(SKIP_2) | instid1(VALU_DEP_3)
	v_fmaak_f32 v40, s1, v39, 0x3ecc95a3
	v_mul_f32_e32 v41, v37, v39
	v_cmp_eq_f32_e64 s1, 0x7f800000, v36
	v_fmaak_f32 v39, v39, v40, 0x3f2aaada
	v_ldexp_f32 v40, v37, 1
	v_sub_f32_e32 v37, v37, v38
	s_delay_alu instid0(VALU_DEP_4) | instskip(NEXT) | instid1(VALU_DEP_3)
	s_or_b32 s1, s1, s51
	v_mul_f32_e32 v39, v41, v39
	v_mul_f32_e32 v41, 0x3f317218, v34
	s_delay_alu instid0(VALU_DEP_2) | instskip(NEXT) | instid1(VALU_DEP_1)
	v_dual_sub_f32 v35, v35, v37 :: v_dual_add_f32 v38, v40, v39
	v_ldexp_f32 v35, v35, 1
	s_delay_alu instid0(VALU_DEP_2) | instskip(NEXT) | instid1(VALU_DEP_4)
	v_sub_f32_e32 v37, v38, v40
	v_fma_f32 v40, 0x3f317218, v34, -v41
	s_delay_alu instid0(VALU_DEP_1) | instskip(NEXT) | instid1(VALU_DEP_1)
	v_dual_sub_f32 v37, v39, v37 :: v_dual_fmamk_f32 v34, v34, 0xb102e308, v40
	v_add_f32_e32 v35, v35, v37
	s_delay_alu instid0(VALU_DEP_2) | instskip(NEXT) | instid1(VALU_DEP_2)
	v_add_f32_e32 v37, v41, v34
	v_add_f32_e32 v39, v38, v35
	s_delay_alu instid0(VALU_DEP_2) | instskip(NEXT) | instid1(VALU_DEP_2)
	v_sub_f32_e32 v41, v37, v41
	v_add_f32_e32 v40, v37, v39
	v_sub_f32_e32 v38, v39, v38
	s_delay_alu instid0(VALU_DEP_3) | instskip(NEXT) | instid1(VALU_DEP_2)
	v_sub_f32_e32 v34, v34, v41
	v_dual_sub_f32 v42, v40, v37 :: v_dual_sub_f32 v35, v35, v38
	s_delay_alu instid0(VALU_DEP_1) | instskip(NEXT) | instid1(VALU_DEP_2)
	v_sub_f32_e32 v43, v40, v42
	v_dual_sub_f32 v38, v39, v42 :: v_dual_add_f32 v39, v34, v35
	s_delay_alu instid0(VALU_DEP_2) | instskip(NEXT) | instid1(VALU_DEP_1)
	v_sub_f32_e32 v37, v37, v43
	v_dual_add_f32 v37, v38, v37 :: v_dual_sub_f32 v38, v39, v34
	s_delay_alu instid0(VALU_DEP_1) | instskip(NEXT) | instid1(VALU_DEP_2)
	v_add_f32_e32 v37, v39, v37
	v_sub_f32_e32 v39, v39, v38
	v_sub_f32_e32 v35, v35, v38
	s_delay_alu instid0(VALU_DEP_2) | instskip(NEXT) | instid1(VALU_DEP_1)
	v_dual_add_f32 v41, v40, v37 :: v_dual_sub_f32 v34, v34, v39
	v_sub_f32_e32 v38, v41, v40
	s_delay_alu instid0(VALU_DEP_2) | instskip(NEXT) | instid1(VALU_DEP_2)
	v_add_f32_e32 v34, v35, v34
	v_sub_f32_e32 v35, v37, v38
	s_delay_alu instid0(VALU_DEP_1) | instskip(NEXT) | instid1(VALU_DEP_1)
	v_add_f32_e32 v34, v34, v35
	v_add_f32_e32 v34, v41, v34
	s_delay_alu instid0(VALU_DEP_1) | instskip(NEXT) | instid1(VALU_DEP_1)
	v_cndmask_b32_e64 v34, v34, v36, s1
	v_add_f32_e32 v33, v33, v34
	s_delay_alu instid0(VALU_DEP_1)
	v_cvt_f16_f32_e32 v35, v33
.LBB380_98:
	s_or_b32 exec_lo, exec_lo, s50
	s_delay_alu instid0(VALU_DEP_1)
	v_dual_mov_b32 v33, v35 :: v_dual_and_b32 v34, 0xffff, v35
.LBB380_99:
	s_or_b32 exec_lo, exec_lo, s49
	s_delay_alu instid0(VALU_DEP_1)
	v_mov_b32_dpp v35, v34 row_shr:4 row_mask:0xf bank_mask:0xf
	s_mov_b32 s49, exec_lo
	v_cmpx_lt_u32_e32 3, v32
	s_cbranch_execz .LBB380_103
; %bb.100:
	s_delay_alu instid0(VALU_DEP_2) | instskip(SKIP_2) | instid1(VALU_DEP_2)
	v_cvt_f32_f16_e32 v34, v35
	v_cvt_f32_f16_e32 v36, v33
	v_cmp_u_f16_e64 s1, v35, v35
	v_min_f32_e32 v37, v34, v36
	v_max_f32_e32 v38, v34, v36
	s_delay_alu instid0(VALU_DEP_2) | instskip(NEXT) | instid1(VALU_DEP_2)
	v_cndmask_b32_e64 v37, v37, v34, s1
	v_cndmask_b32_e64 v38, v38, v34, s1
	v_cmp_u_f16_e64 s1, v33, v33
	s_delay_alu instid0(VALU_DEP_1) | instskip(NEXT) | instid1(VALU_DEP_3)
	v_cndmask_b32_e64 v34, v37, v36, s1
	v_cndmask_b32_e64 v33, v38, v36, s1
	s_delay_alu instid0(VALU_DEP_2) | instskip(NEXT) | instid1(VALU_DEP_2)
	v_cmp_class_f32_e64 s50, v34, 0x1f8
	v_cmp_neq_f32_e64 s1, v34, v33
	s_delay_alu instid0(VALU_DEP_1) | instskip(NEXT) | instid1(SALU_CYCLE_1)
	s_or_b32 s1, s1, s50
	s_and_saveexec_b32 s50, s1
	s_cbranch_execz .LBB380_102
; %bb.101:
	v_sub_f32_e32 v34, v34, v33
	s_delay_alu instid0(VALU_DEP_1) | instskip(NEXT) | instid1(VALU_DEP_1)
	v_mul_f32_e32 v35, 0x3fb8aa3b, v34
	v_fma_f32 v36, 0x3fb8aa3b, v34, -v35
	v_rndne_f32_e32 v37, v35
	s_delay_alu instid0(VALU_DEP_1) | instskip(NEXT) | instid1(VALU_DEP_1)
	v_dual_fmamk_f32 v36, v34, 0x32a5705f, v36 :: v_dual_sub_f32 v35, v35, v37
	v_add_f32_e32 v35, v35, v36
	v_cvt_i32_f32_e32 v36, v37
	v_cmp_ngt_f32_e64 s1, 0xc2ce8ed0, v34
	s_delay_alu instid0(VALU_DEP_3) | instskip(SKIP_2) | instid1(VALU_DEP_1)
	v_exp_f32_e32 v35, v35
	s_waitcnt_depctr 0xfff
	v_ldexp_f32 v35, v35, v36
	v_cndmask_b32_e64 v35, 0, v35, s1
	v_cmp_nlt_f32_e64 s1, 0x42b17218, v34
	s_delay_alu instid0(VALU_DEP_1) | instskip(NEXT) | instid1(VALU_DEP_1)
	v_cndmask_b32_e64 v36, 0x7f800000, v35, s1
	v_add_f32_e32 v37, 1.0, v36
	v_cmp_gt_f32_e64 s51, 0x33800000, |v36|
	s_delay_alu instid0(VALU_DEP_2) | instskip(NEXT) | instid1(VALU_DEP_1)
	v_cvt_f64_f32_e32 v[34:35], v37
	v_frexp_exp_i32_f64_e32 v34, v[34:35]
	v_frexp_mant_f32_e32 v35, v37
	s_delay_alu instid0(VALU_DEP_1) | instskip(SKIP_1) | instid1(VALU_DEP_1)
	v_cmp_gt_f32_e64 s1, 0x3f2aaaab, v35
	v_add_f32_e32 v35, -1.0, v37
	v_sub_f32_e32 v39, v35, v37
	s_delay_alu instid0(VALU_DEP_3) | instskip(SKIP_1) | instid1(VALU_DEP_1)
	v_subrev_co_ci_u32_e64 v34, s1, 0, v34, s1
	s_mov_b32 s1, 0x3e9b6dac
	v_sub_nc_u32_e32 v38, 0, v34
	v_cvt_f32_i32_e32 v34, v34
	s_delay_alu instid0(VALU_DEP_2) | instskip(NEXT) | instid1(VALU_DEP_1)
	v_ldexp_f32 v37, v37, v38
	v_dual_sub_f32 v35, v36, v35 :: v_dual_add_f32 v40, 1.0, v37
	v_add_f32_e32 v39, 1.0, v39
	s_delay_alu instid0(VALU_DEP_1) | instskip(NEXT) | instid1(VALU_DEP_3)
	v_add_f32_e32 v35, v35, v39
	v_add_f32_e32 v39, -1.0, v40
	s_delay_alu instid0(VALU_DEP_2) | instskip(NEXT) | instid1(VALU_DEP_2)
	v_ldexp_f32 v35, v35, v38
	v_dual_add_f32 v38, -1.0, v37 :: v_dual_sub_f32 v39, v37, v39
	s_delay_alu instid0(VALU_DEP_1) | instskip(NEXT) | instid1(VALU_DEP_2)
	v_add_f32_e32 v41, 1.0, v38
	v_add_f32_e32 v39, v35, v39
	s_delay_alu instid0(VALU_DEP_2) | instskip(NEXT) | instid1(VALU_DEP_2)
	v_sub_f32_e32 v37, v37, v41
	v_add_f32_e32 v41, v40, v39
	s_delay_alu instid0(VALU_DEP_2) | instskip(NEXT) | instid1(VALU_DEP_2)
	v_add_f32_e32 v35, v35, v37
	v_rcp_f32_e32 v37, v41
	v_sub_f32_e32 v40, v40, v41
	s_delay_alu instid0(VALU_DEP_1) | instskip(NEXT) | instid1(VALU_DEP_1)
	v_dual_add_f32 v42, v38, v35 :: v_dual_add_f32 v39, v39, v40
	v_sub_f32_e32 v38, v38, v42
	s_waitcnt_depctr 0xfff
	v_mul_f32_e32 v43, v42, v37
	s_delay_alu instid0(VALU_DEP_1) | instskip(NEXT) | instid1(VALU_DEP_1)
	v_dual_add_f32 v35, v35, v38 :: v_dual_mul_f32 v44, v41, v43
	v_fma_f32 v40, v43, v41, -v44
	s_delay_alu instid0(VALU_DEP_1) | instskip(NEXT) | instid1(VALU_DEP_1)
	v_fmac_f32_e32 v40, v43, v39
	v_add_f32_e32 v45, v44, v40
	s_delay_alu instid0(VALU_DEP_1) | instskip(SKIP_1) | instid1(VALU_DEP_2)
	v_sub_f32_e32 v46, v42, v45
	v_sub_f32_e32 v38, v45, v44
	;; [unrolled: 1-line block ×3, first 2 shown]
	s_delay_alu instid0(VALU_DEP_2) | instskip(NEXT) | instid1(VALU_DEP_2)
	v_sub_f32_e32 v38, v38, v40
	v_sub_f32_e32 v42, v42, v45
	s_delay_alu instid0(VALU_DEP_1) | instskip(NEXT) | instid1(VALU_DEP_1)
	v_add_f32_e32 v35, v35, v42
	v_add_f32_e32 v35, v38, v35
	s_delay_alu instid0(VALU_DEP_1) | instskip(NEXT) | instid1(VALU_DEP_1)
	v_add_f32_e32 v38, v46, v35
	v_mul_f32_e32 v40, v37, v38
	s_delay_alu instid0(VALU_DEP_1) | instskip(NEXT) | instid1(VALU_DEP_1)
	v_dual_sub_f32 v45, v46, v38 :: v_dual_mul_f32 v42, v41, v40
	v_add_f32_e32 v35, v35, v45
	s_delay_alu instid0(VALU_DEP_2) | instskip(NEXT) | instid1(VALU_DEP_1)
	v_fma_f32 v41, v40, v41, -v42
	v_fmac_f32_e32 v41, v40, v39
	s_delay_alu instid0(VALU_DEP_1) | instskip(NEXT) | instid1(VALU_DEP_1)
	v_add_f32_e32 v39, v42, v41
	v_sub_f32_e32 v44, v38, v39
	v_sub_f32_e32 v42, v39, v42
	s_delay_alu instid0(VALU_DEP_2) | instskip(NEXT) | instid1(VALU_DEP_1)
	v_sub_f32_e32 v38, v38, v44
	v_sub_f32_e32 v38, v38, v39
	s_delay_alu instid0(VALU_DEP_3) | instskip(NEXT) | instid1(VALU_DEP_2)
	v_sub_f32_e32 v39, v42, v41
	v_add_f32_e32 v35, v35, v38
	v_add_f32_e32 v38, v43, v40
	s_delay_alu instid0(VALU_DEP_2) | instskip(NEXT) | instid1(VALU_DEP_2)
	v_add_f32_e32 v35, v39, v35
	v_sub_f32_e32 v39, v38, v43
	s_delay_alu instid0(VALU_DEP_2) | instskip(NEXT) | instid1(VALU_DEP_2)
	v_add_f32_e32 v35, v44, v35
	v_sub_f32_e32 v39, v40, v39
	s_delay_alu instid0(VALU_DEP_2) | instskip(NEXT) | instid1(VALU_DEP_1)
	v_mul_f32_e32 v35, v37, v35
	v_add_f32_e32 v35, v39, v35
	s_delay_alu instid0(VALU_DEP_1) | instskip(NEXT) | instid1(VALU_DEP_1)
	v_add_f32_e32 v37, v38, v35
	v_mul_f32_e32 v39, v37, v37
	s_delay_alu instid0(VALU_DEP_1) | instskip(SKIP_2) | instid1(VALU_DEP_3)
	v_fmaak_f32 v40, s1, v39, 0x3ecc95a3
	v_mul_f32_e32 v41, v37, v39
	v_cmp_eq_f32_e64 s1, 0x7f800000, v36
	v_fmaak_f32 v39, v39, v40, 0x3f2aaada
	v_ldexp_f32 v40, v37, 1
	v_sub_f32_e32 v37, v37, v38
	s_delay_alu instid0(VALU_DEP_4) | instskip(NEXT) | instid1(VALU_DEP_3)
	s_or_b32 s1, s1, s51
	v_mul_f32_e32 v39, v41, v39
	v_mul_f32_e32 v41, 0x3f317218, v34
	s_delay_alu instid0(VALU_DEP_2) | instskip(NEXT) | instid1(VALU_DEP_1)
	v_dual_sub_f32 v35, v35, v37 :: v_dual_add_f32 v38, v40, v39
	v_ldexp_f32 v35, v35, 1
	s_delay_alu instid0(VALU_DEP_2) | instskip(NEXT) | instid1(VALU_DEP_4)
	v_sub_f32_e32 v37, v38, v40
	v_fma_f32 v40, 0x3f317218, v34, -v41
	s_delay_alu instid0(VALU_DEP_1) | instskip(NEXT) | instid1(VALU_DEP_1)
	v_dual_sub_f32 v37, v39, v37 :: v_dual_fmamk_f32 v34, v34, 0xb102e308, v40
	v_add_f32_e32 v35, v35, v37
	s_delay_alu instid0(VALU_DEP_2) | instskip(NEXT) | instid1(VALU_DEP_2)
	v_add_f32_e32 v37, v41, v34
	v_add_f32_e32 v39, v38, v35
	s_delay_alu instid0(VALU_DEP_2) | instskip(NEXT) | instid1(VALU_DEP_2)
	v_sub_f32_e32 v41, v37, v41
	v_add_f32_e32 v40, v37, v39
	v_sub_f32_e32 v38, v39, v38
	s_delay_alu instid0(VALU_DEP_3) | instskip(NEXT) | instid1(VALU_DEP_2)
	v_sub_f32_e32 v34, v34, v41
	v_dual_sub_f32 v42, v40, v37 :: v_dual_sub_f32 v35, v35, v38
	s_delay_alu instid0(VALU_DEP_1) | instskip(NEXT) | instid1(VALU_DEP_2)
	v_sub_f32_e32 v43, v40, v42
	v_dual_sub_f32 v38, v39, v42 :: v_dual_add_f32 v39, v34, v35
	s_delay_alu instid0(VALU_DEP_2) | instskip(NEXT) | instid1(VALU_DEP_1)
	v_sub_f32_e32 v37, v37, v43
	v_dual_add_f32 v37, v38, v37 :: v_dual_sub_f32 v38, v39, v34
	s_delay_alu instid0(VALU_DEP_1) | instskip(NEXT) | instid1(VALU_DEP_2)
	v_add_f32_e32 v37, v39, v37
	v_sub_f32_e32 v39, v39, v38
	v_sub_f32_e32 v35, v35, v38
	s_delay_alu instid0(VALU_DEP_2) | instskip(NEXT) | instid1(VALU_DEP_1)
	v_dual_add_f32 v41, v40, v37 :: v_dual_sub_f32 v34, v34, v39
	v_sub_f32_e32 v38, v41, v40
	s_delay_alu instid0(VALU_DEP_2) | instskip(NEXT) | instid1(VALU_DEP_2)
	v_add_f32_e32 v34, v35, v34
	v_sub_f32_e32 v35, v37, v38
	s_delay_alu instid0(VALU_DEP_1) | instskip(NEXT) | instid1(VALU_DEP_1)
	v_add_f32_e32 v34, v34, v35
	v_add_f32_e32 v34, v41, v34
	s_delay_alu instid0(VALU_DEP_1) | instskip(NEXT) | instid1(VALU_DEP_1)
	v_cndmask_b32_e64 v34, v34, v36, s1
	v_add_f32_e32 v33, v33, v34
	s_delay_alu instid0(VALU_DEP_1)
	v_cvt_f16_f32_e32 v35, v33
.LBB380_102:
	s_or_b32 exec_lo, exec_lo, s50
	s_delay_alu instid0(VALU_DEP_1)
	v_dual_mov_b32 v33, v35 :: v_dual_and_b32 v34, 0xffff, v35
.LBB380_103:
	s_or_b32 exec_lo, exec_lo, s49
	s_delay_alu instid0(VALU_DEP_1)
	v_mov_b32_dpp v35, v34 row_shr:8 row_mask:0xf bank_mask:0xf
	s_mov_b32 s49, exec_lo
	v_cmpx_lt_u32_e32 7, v32
	s_cbranch_execz .LBB380_107
; %bb.104:
	s_delay_alu instid0(VALU_DEP_2) | instskip(SKIP_2) | instid1(VALU_DEP_2)
	v_cvt_f32_f16_e32 v32, v35
	v_cvt_f32_f16_e32 v34, v33
	v_cmp_u_f16_e64 s1, v35, v35
	v_min_f32_e32 v36, v32, v34
	v_max_f32_e32 v37, v32, v34
	s_delay_alu instid0(VALU_DEP_2) | instskip(NEXT) | instid1(VALU_DEP_2)
	v_cndmask_b32_e64 v36, v36, v32, s1
	v_cndmask_b32_e64 v32, v37, v32, s1
	v_cmp_u_f16_e64 s1, v33, v33
	s_delay_alu instid0(VALU_DEP_1) | instskip(NEXT) | instid1(VALU_DEP_3)
	v_cndmask_b32_e64 v33, v36, v34, s1
	v_cndmask_b32_e64 v32, v32, v34, s1
	s_delay_alu instid0(VALU_DEP_2) | instskip(NEXT) | instid1(VALU_DEP_2)
	v_cmp_class_f32_e64 s50, v33, 0x1f8
	v_cmp_neq_f32_e64 s1, v33, v32
	s_delay_alu instid0(VALU_DEP_1) | instskip(NEXT) | instid1(SALU_CYCLE_1)
	s_or_b32 s1, s1, s50
	s_and_saveexec_b32 s50, s1
	s_cbranch_execz .LBB380_106
; %bb.105:
	v_sub_f32_e32 v33, v33, v32
	s_delay_alu instid0(VALU_DEP_1) | instskip(NEXT) | instid1(VALU_DEP_1)
	v_mul_f32_e32 v34, 0x3fb8aa3b, v33
	v_fma_f32 v35, 0x3fb8aa3b, v33, -v34
	v_rndne_f32_e32 v36, v34
	s_delay_alu instid0(VALU_DEP_1) | instskip(NEXT) | instid1(VALU_DEP_1)
	v_dual_fmamk_f32 v35, v33, 0x32a5705f, v35 :: v_dual_sub_f32 v34, v34, v36
	v_add_f32_e32 v34, v34, v35
	v_cvt_i32_f32_e32 v35, v36
	v_cmp_ngt_f32_e64 s1, 0xc2ce8ed0, v33
	s_delay_alu instid0(VALU_DEP_3) | instskip(SKIP_2) | instid1(VALU_DEP_1)
	v_exp_f32_e32 v34, v34
	s_waitcnt_depctr 0xfff
	v_ldexp_f32 v34, v34, v35
	v_cndmask_b32_e64 v34, 0, v34, s1
	v_cmp_nlt_f32_e64 s1, 0x42b17218, v33
	s_delay_alu instid0(VALU_DEP_1) | instskip(NEXT) | instid1(VALU_DEP_1)
	v_cndmask_b32_e64 v35, 0x7f800000, v34, s1
	v_add_f32_e32 v36, 1.0, v35
	v_cmp_gt_f32_e64 s51, 0x33800000, |v35|
	s_delay_alu instid0(VALU_DEP_2) | instskip(NEXT) | instid1(VALU_DEP_1)
	v_cvt_f64_f32_e32 v[33:34], v36
	v_frexp_exp_i32_f64_e32 v33, v[33:34]
	v_frexp_mant_f32_e32 v34, v36
	s_delay_alu instid0(VALU_DEP_1) | instskip(SKIP_1) | instid1(VALU_DEP_1)
	v_cmp_gt_f32_e64 s1, 0x3f2aaaab, v34
	v_add_f32_e32 v34, -1.0, v36
	v_sub_f32_e32 v38, v34, v36
	s_delay_alu instid0(VALU_DEP_3) | instskip(SKIP_1) | instid1(VALU_DEP_1)
	v_subrev_co_ci_u32_e64 v33, s1, 0, v33, s1
	s_mov_b32 s1, 0x3e9b6dac
	v_sub_nc_u32_e32 v37, 0, v33
	v_cvt_f32_i32_e32 v33, v33
	s_delay_alu instid0(VALU_DEP_2) | instskip(NEXT) | instid1(VALU_DEP_1)
	v_ldexp_f32 v36, v36, v37
	v_dual_sub_f32 v34, v35, v34 :: v_dual_add_f32 v39, 1.0, v36
	v_add_f32_e32 v38, 1.0, v38
	s_delay_alu instid0(VALU_DEP_1) | instskip(NEXT) | instid1(VALU_DEP_3)
	v_add_f32_e32 v34, v34, v38
	v_add_f32_e32 v38, -1.0, v39
	s_delay_alu instid0(VALU_DEP_2) | instskip(NEXT) | instid1(VALU_DEP_2)
	v_ldexp_f32 v34, v34, v37
	v_dual_add_f32 v37, -1.0, v36 :: v_dual_sub_f32 v38, v36, v38
	s_delay_alu instid0(VALU_DEP_1) | instskip(NEXT) | instid1(VALU_DEP_2)
	v_add_f32_e32 v40, 1.0, v37
	v_add_f32_e32 v38, v34, v38
	s_delay_alu instid0(VALU_DEP_2) | instskip(NEXT) | instid1(VALU_DEP_2)
	v_sub_f32_e32 v36, v36, v40
	v_add_f32_e32 v40, v39, v38
	s_delay_alu instid0(VALU_DEP_2) | instskip(NEXT) | instid1(VALU_DEP_2)
	v_add_f32_e32 v34, v34, v36
	v_rcp_f32_e32 v36, v40
	v_sub_f32_e32 v39, v39, v40
	s_delay_alu instid0(VALU_DEP_1) | instskip(NEXT) | instid1(VALU_DEP_1)
	v_dual_add_f32 v41, v37, v34 :: v_dual_add_f32 v38, v38, v39
	v_sub_f32_e32 v37, v37, v41
	s_waitcnt_depctr 0xfff
	v_mul_f32_e32 v42, v41, v36
	s_delay_alu instid0(VALU_DEP_1) | instskip(NEXT) | instid1(VALU_DEP_1)
	v_dual_add_f32 v34, v34, v37 :: v_dual_mul_f32 v43, v40, v42
	v_fma_f32 v39, v42, v40, -v43
	s_delay_alu instid0(VALU_DEP_1) | instskip(NEXT) | instid1(VALU_DEP_1)
	v_fmac_f32_e32 v39, v42, v38
	v_add_f32_e32 v44, v43, v39
	s_delay_alu instid0(VALU_DEP_1) | instskip(SKIP_1) | instid1(VALU_DEP_2)
	v_sub_f32_e32 v45, v41, v44
	v_sub_f32_e32 v37, v44, v43
	;; [unrolled: 1-line block ×3, first 2 shown]
	s_delay_alu instid0(VALU_DEP_2) | instskip(NEXT) | instid1(VALU_DEP_2)
	v_sub_f32_e32 v37, v37, v39
	v_sub_f32_e32 v41, v41, v44
	s_delay_alu instid0(VALU_DEP_1) | instskip(NEXT) | instid1(VALU_DEP_1)
	v_add_f32_e32 v34, v34, v41
	v_add_f32_e32 v34, v37, v34
	s_delay_alu instid0(VALU_DEP_1) | instskip(NEXT) | instid1(VALU_DEP_1)
	v_add_f32_e32 v37, v45, v34
	v_mul_f32_e32 v39, v36, v37
	s_delay_alu instid0(VALU_DEP_1) | instskip(NEXT) | instid1(VALU_DEP_1)
	v_dual_sub_f32 v44, v45, v37 :: v_dual_mul_f32 v41, v40, v39
	v_add_f32_e32 v34, v34, v44
	s_delay_alu instid0(VALU_DEP_2) | instskip(NEXT) | instid1(VALU_DEP_1)
	v_fma_f32 v40, v39, v40, -v41
	v_fmac_f32_e32 v40, v39, v38
	s_delay_alu instid0(VALU_DEP_1) | instskip(NEXT) | instid1(VALU_DEP_1)
	v_add_f32_e32 v38, v41, v40
	v_sub_f32_e32 v43, v37, v38
	v_sub_f32_e32 v41, v38, v41
	s_delay_alu instid0(VALU_DEP_2) | instskip(NEXT) | instid1(VALU_DEP_1)
	v_sub_f32_e32 v37, v37, v43
	v_sub_f32_e32 v37, v37, v38
	s_delay_alu instid0(VALU_DEP_3) | instskip(NEXT) | instid1(VALU_DEP_2)
	v_sub_f32_e32 v38, v41, v40
	v_add_f32_e32 v34, v34, v37
	v_add_f32_e32 v37, v42, v39
	s_delay_alu instid0(VALU_DEP_2) | instskip(NEXT) | instid1(VALU_DEP_2)
	v_add_f32_e32 v34, v38, v34
	v_sub_f32_e32 v38, v37, v42
	s_delay_alu instid0(VALU_DEP_2) | instskip(NEXT) | instid1(VALU_DEP_2)
	v_add_f32_e32 v34, v43, v34
	v_sub_f32_e32 v38, v39, v38
	s_delay_alu instid0(VALU_DEP_2) | instskip(NEXT) | instid1(VALU_DEP_1)
	v_mul_f32_e32 v34, v36, v34
	v_add_f32_e32 v34, v38, v34
	s_delay_alu instid0(VALU_DEP_1) | instskip(NEXT) | instid1(VALU_DEP_1)
	v_add_f32_e32 v36, v37, v34
	v_mul_f32_e32 v38, v36, v36
	s_delay_alu instid0(VALU_DEP_1) | instskip(SKIP_2) | instid1(VALU_DEP_3)
	v_fmaak_f32 v39, s1, v38, 0x3ecc95a3
	v_mul_f32_e32 v40, v36, v38
	v_cmp_eq_f32_e64 s1, 0x7f800000, v35
	v_fmaak_f32 v38, v38, v39, 0x3f2aaada
	v_ldexp_f32 v39, v36, 1
	v_sub_f32_e32 v36, v36, v37
	s_delay_alu instid0(VALU_DEP_4) | instskip(NEXT) | instid1(VALU_DEP_3)
	s_or_b32 s1, s1, s51
	v_mul_f32_e32 v38, v40, v38
	v_mul_f32_e32 v40, 0x3f317218, v33
	s_delay_alu instid0(VALU_DEP_2) | instskip(NEXT) | instid1(VALU_DEP_1)
	v_dual_sub_f32 v34, v34, v36 :: v_dual_add_f32 v37, v39, v38
	v_ldexp_f32 v34, v34, 1
	s_delay_alu instid0(VALU_DEP_2) | instskip(NEXT) | instid1(VALU_DEP_4)
	v_sub_f32_e32 v36, v37, v39
	v_fma_f32 v39, 0x3f317218, v33, -v40
	s_delay_alu instid0(VALU_DEP_1) | instskip(NEXT) | instid1(VALU_DEP_1)
	v_dual_sub_f32 v36, v38, v36 :: v_dual_fmamk_f32 v33, v33, 0xb102e308, v39
	v_add_f32_e32 v34, v34, v36
	s_delay_alu instid0(VALU_DEP_2) | instskip(NEXT) | instid1(VALU_DEP_2)
	v_add_f32_e32 v36, v40, v33
	v_add_f32_e32 v38, v37, v34
	s_delay_alu instid0(VALU_DEP_2) | instskip(NEXT) | instid1(VALU_DEP_2)
	v_sub_f32_e32 v40, v36, v40
	v_add_f32_e32 v39, v36, v38
	v_sub_f32_e32 v37, v38, v37
	s_delay_alu instid0(VALU_DEP_3) | instskip(NEXT) | instid1(VALU_DEP_2)
	v_sub_f32_e32 v33, v33, v40
	v_dual_sub_f32 v41, v39, v36 :: v_dual_sub_f32 v34, v34, v37
	s_delay_alu instid0(VALU_DEP_1) | instskip(NEXT) | instid1(VALU_DEP_2)
	v_sub_f32_e32 v42, v39, v41
	v_dual_sub_f32 v37, v38, v41 :: v_dual_add_f32 v38, v33, v34
	s_delay_alu instid0(VALU_DEP_2) | instskip(NEXT) | instid1(VALU_DEP_1)
	v_sub_f32_e32 v36, v36, v42
	v_dual_add_f32 v36, v37, v36 :: v_dual_sub_f32 v37, v38, v33
	s_delay_alu instid0(VALU_DEP_1) | instskip(NEXT) | instid1(VALU_DEP_2)
	v_add_f32_e32 v36, v38, v36
	v_sub_f32_e32 v38, v38, v37
	v_sub_f32_e32 v34, v34, v37
	s_delay_alu instid0(VALU_DEP_2) | instskip(NEXT) | instid1(VALU_DEP_1)
	v_dual_add_f32 v40, v39, v36 :: v_dual_sub_f32 v33, v33, v38
	v_sub_f32_e32 v37, v40, v39
	s_delay_alu instid0(VALU_DEP_2) | instskip(NEXT) | instid1(VALU_DEP_2)
	v_add_f32_e32 v33, v34, v33
	v_sub_f32_e32 v34, v36, v37
	s_delay_alu instid0(VALU_DEP_1) | instskip(NEXT) | instid1(VALU_DEP_1)
	v_add_f32_e32 v33, v33, v34
	v_add_f32_e32 v33, v40, v33
	s_delay_alu instid0(VALU_DEP_1) | instskip(NEXT) | instid1(VALU_DEP_1)
	v_cndmask_b32_e64 v33, v33, v35, s1
	v_add_f32_e32 v32, v32, v33
	s_delay_alu instid0(VALU_DEP_1)
	v_cvt_f16_f32_e32 v35, v32
.LBB380_106:
	s_or_b32 exec_lo, exec_lo, s50
	s_delay_alu instid0(VALU_DEP_1)
	v_dual_mov_b32 v33, v35 :: v_dual_and_b32 v34, 0xffff, v35
.LBB380_107:
	s_or_b32 exec_lo, exec_lo, s49
	ds_swizzle_b32 v34, v34 offset:swizzle(BROADCAST,32,15)
	v_and_b32_e32 v32, 16, v31
	s_mov_b32 s49, exec_lo
	s_delay_alu instid0(VALU_DEP_1)
	v_cmpx_ne_u32_e32 0, v32
	s_cbranch_execz .LBB380_111
; %bb.108:
	s_waitcnt lgkmcnt(0)
	v_cvt_f32_f16_e32 v32, v34
	v_cvt_f32_f16_e32 v35, v33
	v_cmp_u_f16_e64 s1, v34, v34
	s_delay_alu instid0(VALU_DEP_2) | instskip(SKIP_1) | instid1(VALU_DEP_2)
	v_min_f32_e32 v36, v32, v35
	v_max_f32_e32 v37, v32, v35
	v_cndmask_b32_e64 v36, v36, v32, s1
	s_delay_alu instid0(VALU_DEP_2) | instskip(SKIP_1) | instid1(VALU_DEP_1)
	v_cndmask_b32_e64 v32, v37, v32, s1
	v_cmp_u_f16_e64 s1, v33, v33
	v_cndmask_b32_e64 v33, v36, v35, s1
	s_delay_alu instid0(VALU_DEP_3) | instskip(NEXT) | instid1(VALU_DEP_2)
	v_cndmask_b32_e64 v32, v32, v35, s1
	v_cmp_class_f32_e64 s50, v33, 0x1f8
	s_delay_alu instid0(VALU_DEP_2) | instskip(NEXT) | instid1(VALU_DEP_1)
	v_cmp_neq_f32_e64 s1, v33, v32
	s_or_b32 s1, s1, s50
	s_delay_alu instid0(SALU_CYCLE_1)
	s_and_saveexec_b32 s50, s1
	s_cbranch_execz .LBB380_110
; %bb.109:
	v_sub_f32_e32 v33, v33, v32
	s_delay_alu instid0(VALU_DEP_1) | instskip(NEXT) | instid1(VALU_DEP_1)
	v_mul_f32_e32 v34, 0x3fb8aa3b, v33
	v_fma_f32 v35, 0x3fb8aa3b, v33, -v34
	v_rndne_f32_e32 v36, v34
	s_delay_alu instid0(VALU_DEP_1) | instskip(NEXT) | instid1(VALU_DEP_1)
	v_dual_fmamk_f32 v35, v33, 0x32a5705f, v35 :: v_dual_sub_f32 v34, v34, v36
	v_add_f32_e32 v34, v34, v35
	v_cvt_i32_f32_e32 v35, v36
	v_cmp_ngt_f32_e64 s1, 0xc2ce8ed0, v33
	s_delay_alu instid0(VALU_DEP_3) | instskip(SKIP_2) | instid1(VALU_DEP_1)
	v_exp_f32_e32 v34, v34
	s_waitcnt_depctr 0xfff
	v_ldexp_f32 v34, v34, v35
	v_cndmask_b32_e64 v34, 0, v34, s1
	v_cmp_nlt_f32_e64 s1, 0x42b17218, v33
	s_delay_alu instid0(VALU_DEP_1) | instskip(NEXT) | instid1(VALU_DEP_1)
	v_cndmask_b32_e64 v35, 0x7f800000, v34, s1
	v_add_f32_e32 v36, 1.0, v35
	v_cmp_gt_f32_e64 s51, 0x33800000, |v35|
	s_delay_alu instid0(VALU_DEP_2) | instskip(NEXT) | instid1(VALU_DEP_1)
	v_cvt_f64_f32_e32 v[33:34], v36
	v_frexp_exp_i32_f64_e32 v33, v[33:34]
	v_frexp_mant_f32_e32 v34, v36
	s_delay_alu instid0(VALU_DEP_1) | instskip(SKIP_1) | instid1(VALU_DEP_1)
	v_cmp_gt_f32_e64 s1, 0x3f2aaaab, v34
	v_add_f32_e32 v34, -1.0, v36
	v_sub_f32_e32 v38, v34, v36
	s_delay_alu instid0(VALU_DEP_3) | instskip(SKIP_1) | instid1(VALU_DEP_1)
	v_subrev_co_ci_u32_e64 v33, s1, 0, v33, s1
	s_mov_b32 s1, 0x3e9b6dac
	v_sub_nc_u32_e32 v37, 0, v33
	v_cvt_f32_i32_e32 v33, v33
	s_delay_alu instid0(VALU_DEP_2) | instskip(NEXT) | instid1(VALU_DEP_1)
	v_ldexp_f32 v36, v36, v37
	v_dual_sub_f32 v34, v35, v34 :: v_dual_add_f32 v39, 1.0, v36
	v_add_f32_e32 v38, 1.0, v38
	s_delay_alu instid0(VALU_DEP_1) | instskip(NEXT) | instid1(VALU_DEP_3)
	v_add_f32_e32 v34, v34, v38
	v_add_f32_e32 v38, -1.0, v39
	s_delay_alu instid0(VALU_DEP_2) | instskip(NEXT) | instid1(VALU_DEP_2)
	v_ldexp_f32 v34, v34, v37
	v_dual_add_f32 v37, -1.0, v36 :: v_dual_sub_f32 v38, v36, v38
	s_delay_alu instid0(VALU_DEP_1) | instskip(NEXT) | instid1(VALU_DEP_2)
	v_add_f32_e32 v40, 1.0, v37
	v_add_f32_e32 v38, v34, v38
	s_delay_alu instid0(VALU_DEP_2) | instskip(NEXT) | instid1(VALU_DEP_2)
	v_sub_f32_e32 v36, v36, v40
	v_add_f32_e32 v40, v39, v38
	s_delay_alu instid0(VALU_DEP_2) | instskip(NEXT) | instid1(VALU_DEP_2)
	v_add_f32_e32 v34, v34, v36
	v_rcp_f32_e32 v36, v40
	v_sub_f32_e32 v39, v39, v40
	s_delay_alu instid0(VALU_DEP_1) | instskip(NEXT) | instid1(VALU_DEP_1)
	v_dual_add_f32 v41, v37, v34 :: v_dual_add_f32 v38, v38, v39
	v_sub_f32_e32 v37, v37, v41
	s_waitcnt_depctr 0xfff
	v_mul_f32_e32 v42, v41, v36
	s_delay_alu instid0(VALU_DEP_1) | instskip(NEXT) | instid1(VALU_DEP_1)
	v_dual_add_f32 v34, v34, v37 :: v_dual_mul_f32 v43, v40, v42
	v_fma_f32 v39, v42, v40, -v43
	s_delay_alu instid0(VALU_DEP_1) | instskip(NEXT) | instid1(VALU_DEP_1)
	v_fmac_f32_e32 v39, v42, v38
	v_add_f32_e32 v44, v43, v39
	s_delay_alu instid0(VALU_DEP_1) | instskip(SKIP_1) | instid1(VALU_DEP_2)
	v_sub_f32_e32 v45, v41, v44
	v_sub_f32_e32 v37, v44, v43
	;; [unrolled: 1-line block ×3, first 2 shown]
	s_delay_alu instid0(VALU_DEP_2) | instskip(NEXT) | instid1(VALU_DEP_2)
	v_sub_f32_e32 v37, v37, v39
	v_sub_f32_e32 v41, v41, v44
	s_delay_alu instid0(VALU_DEP_1) | instskip(NEXT) | instid1(VALU_DEP_1)
	v_add_f32_e32 v34, v34, v41
	v_add_f32_e32 v34, v37, v34
	s_delay_alu instid0(VALU_DEP_1) | instskip(NEXT) | instid1(VALU_DEP_1)
	v_add_f32_e32 v37, v45, v34
	v_mul_f32_e32 v39, v36, v37
	s_delay_alu instid0(VALU_DEP_1) | instskip(NEXT) | instid1(VALU_DEP_1)
	v_dual_sub_f32 v44, v45, v37 :: v_dual_mul_f32 v41, v40, v39
	v_add_f32_e32 v34, v34, v44
	s_delay_alu instid0(VALU_DEP_2) | instskip(NEXT) | instid1(VALU_DEP_1)
	v_fma_f32 v40, v39, v40, -v41
	v_fmac_f32_e32 v40, v39, v38
	s_delay_alu instid0(VALU_DEP_1) | instskip(NEXT) | instid1(VALU_DEP_1)
	v_add_f32_e32 v38, v41, v40
	v_sub_f32_e32 v43, v37, v38
	v_sub_f32_e32 v41, v38, v41
	s_delay_alu instid0(VALU_DEP_2) | instskip(NEXT) | instid1(VALU_DEP_1)
	v_sub_f32_e32 v37, v37, v43
	v_sub_f32_e32 v37, v37, v38
	s_delay_alu instid0(VALU_DEP_3) | instskip(NEXT) | instid1(VALU_DEP_2)
	v_sub_f32_e32 v38, v41, v40
	v_add_f32_e32 v34, v34, v37
	v_add_f32_e32 v37, v42, v39
	s_delay_alu instid0(VALU_DEP_2) | instskip(NEXT) | instid1(VALU_DEP_2)
	v_add_f32_e32 v34, v38, v34
	v_sub_f32_e32 v38, v37, v42
	s_delay_alu instid0(VALU_DEP_2) | instskip(NEXT) | instid1(VALU_DEP_2)
	v_add_f32_e32 v34, v43, v34
	v_sub_f32_e32 v38, v39, v38
	s_delay_alu instid0(VALU_DEP_2) | instskip(NEXT) | instid1(VALU_DEP_1)
	v_mul_f32_e32 v34, v36, v34
	v_add_f32_e32 v34, v38, v34
	s_delay_alu instid0(VALU_DEP_1) | instskip(NEXT) | instid1(VALU_DEP_1)
	v_add_f32_e32 v36, v37, v34
	v_mul_f32_e32 v38, v36, v36
	s_delay_alu instid0(VALU_DEP_1) | instskip(SKIP_2) | instid1(VALU_DEP_3)
	v_fmaak_f32 v39, s1, v38, 0x3ecc95a3
	v_mul_f32_e32 v40, v36, v38
	v_cmp_eq_f32_e64 s1, 0x7f800000, v35
	v_fmaak_f32 v38, v38, v39, 0x3f2aaada
	v_ldexp_f32 v39, v36, 1
	v_sub_f32_e32 v36, v36, v37
	s_delay_alu instid0(VALU_DEP_4) | instskip(NEXT) | instid1(VALU_DEP_3)
	s_or_b32 s1, s1, s51
	v_mul_f32_e32 v38, v40, v38
	v_mul_f32_e32 v40, 0x3f317218, v33
	s_delay_alu instid0(VALU_DEP_2) | instskip(NEXT) | instid1(VALU_DEP_1)
	v_dual_sub_f32 v34, v34, v36 :: v_dual_add_f32 v37, v39, v38
	v_ldexp_f32 v34, v34, 1
	s_delay_alu instid0(VALU_DEP_2) | instskip(NEXT) | instid1(VALU_DEP_4)
	v_sub_f32_e32 v36, v37, v39
	v_fma_f32 v39, 0x3f317218, v33, -v40
	s_delay_alu instid0(VALU_DEP_1) | instskip(NEXT) | instid1(VALU_DEP_1)
	v_dual_sub_f32 v36, v38, v36 :: v_dual_fmamk_f32 v33, v33, 0xb102e308, v39
	v_add_f32_e32 v34, v34, v36
	s_delay_alu instid0(VALU_DEP_2) | instskip(NEXT) | instid1(VALU_DEP_2)
	v_add_f32_e32 v36, v40, v33
	v_add_f32_e32 v38, v37, v34
	s_delay_alu instid0(VALU_DEP_2) | instskip(NEXT) | instid1(VALU_DEP_2)
	v_sub_f32_e32 v40, v36, v40
	v_add_f32_e32 v39, v36, v38
	v_sub_f32_e32 v37, v38, v37
	s_delay_alu instid0(VALU_DEP_3) | instskip(NEXT) | instid1(VALU_DEP_2)
	v_sub_f32_e32 v33, v33, v40
	v_dual_sub_f32 v41, v39, v36 :: v_dual_sub_f32 v34, v34, v37
	s_delay_alu instid0(VALU_DEP_1) | instskip(NEXT) | instid1(VALU_DEP_2)
	v_sub_f32_e32 v42, v39, v41
	v_dual_sub_f32 v37, v38, v41 :: v_dual_add_f32 v38, v33, v34
	s_delay_alu instid0(VALU_DEP_2) | instskip(NEXT) | instid1(VALU_DEP_1)
	v_sub_f32_e32 v36, v36, v42
	v_dual_add_f32 v36, v37, v36 :: v_dual_sub_f32 v37, v38, v33
	s_delay_alu instid0(VALU_DEP_1) | instskip(NEXT) | instid1(VALU_DEP_2)
	v_add_f32_e32 v36, v38, v36
	v_sub_f32_e32 v38, v38, v37
	v_sub_f32_e32 v34, v34, v37
	s_delay_alu instid0(VALU_DEP_2) | instskip(NEXT) | instid1(VALU_DEP_1)
	v_dual_add_f32 v40, v39, v36 :: v_dual_sub_f32 v33, v33, v38
	v_sub_f32_e32 v37, v40, v39
	s_delay_alu instid0(VALU_DEP_2) | instskip(NEXT) | instid1(VALU_DEP_2)
	v_add_f32_e32 v33, v34, v33
	v_sub_f32_e32 v34, v36, v37
	s_delay_alu instid0(VALU_DEP_1) | instskip(NEXT) | instid1(VALU_DEP_1)
	v_add_f32_e32 v33, v33, v34
	v_add_f32_e32 v33, v40, v33
	s_delay_alu instid0(VALU_DEP_1) | instskip(NEXT) | instid1(VALU_DEP_1)
	v_cndmask_b32_e64 v33, v33, v35, s1
	v_add_f32_e32 v32, v32, v33
	s_delay_alu instid0(VALU_DEP_1)
	v_cvt_f16_f32_e32 v34, v32
.LBB380_110:
	s_or_b32 exec_lo, exec_lo, s50
	s_delay_alu instid0(VALU_DEP_1)
	v_mov_b32_e32 v33, v34
.LBB380_111:
	s_or_b32 exec_lo, exec_lo, s49
	v_add_nc_u32_e32 v32, -1, v31
	s_delay_alu instid0(VALU_DEP_1) | instskip(NEXT) | instid1(VALU_DEP_1)
	v_cmp_gt_i32_e64 s1, 0, v32
	v_cndmask_b32_e64 v31, v32, v31, s1
	v_and_b32_e32 v32, 0xffff, v33
	s_delay_alu instid0(VALU_DEP_2)
	v_lshlrev_b32_e32 v31, 2, v31
	ds_bpermute_b32 v31, v31, v32
	v_max_f32_e32 v32, v30, v30
	s_waitcnt lgkmcnt(0)
	v_cvt_f32_f16_e32 v33, v31
	v_cmp_u_f16_e64 s1, v31, v31
	s_delay_alu instid0(VALU_DEP_2) | instskip(SKIP_1) | instid1(VALU_DEP_2)
	v_min_f32_e32 v34, v33, v32
	v_max_f32_e32 v32, v33, v32
	v_cndmask_b32_e64 v34, v34, v33, s1
	s_delay_alu instid0(VALU_DEP_2) | instskip(NEXT) | instid1(VALU_DEP_2)
	v_cndmask_b32_e64 v33, v32, v33, s1
	v_cndmask_b32_e64 v32, v34, v30, s0
	s_delay_alu instid0(VALU_DEP_2) | instskip(NEXT) | instid1(VALU_DEP_2)
	v_cndmask_b32_e64 v30, v33, v30, s0
	v_cmp_class_f32_e64 s1, v32, 0x1f8
	s_delay_alu instid0(VALU_DEP_2) | instskip(NEXT) | instid1(VALU_DEP_1)
	v_cmp_neq_f32_e64 s0, v32, v30
	s_or_b32 s0, s0, s1
	s_delay_alu instid0(SALU_CYCLE_1)
	s_and_saveexec_b32 s1, s0
	s_cbranch_execz .LBB380_113
; %bb.112:
	v_sub_f32_e32 v31, v32, v30
	s_delay_alu instid0(VALU_DEP_1) | instskip(SKIP_1) | instid1(VALU_DEP_2)
	v_mul_f32_e32 v32, 0x3fb8aa3b, v31
	v_cmp_ngt_f32_e64 s0, 0xc2ce8ed0, v31
	v_fma_f32 v33, 0x3fb8aa3b, v31, -v32
	v_rndne_f32_e32 v34, v32
	s_delay_alu instid0(VALU_DEP_1) | instskip(NEXT) | instid1(VALU_DEP_1)
	v_dual_fmamk_f32 v33, v31, 0x32a5705f, v33 :: v_dual_sub_f32 v32, v32, v34
	v_add_f32_e32 v32, v32, v33
	v_cvt_i32_f32_e32 v33, v34
	s_delay_alu instid0(VALU_DEP_2) | instskip(SKIP_2) | instid1(VALU_DEP_1)
	v_exp_f32_e32 v32, v32
	s_waitcnt_depctr 0xfff
	v_ldexp_f32 v32, v32, v33
	v_cndmask_b32_e64 v32, 0, v32, s0
	v_cmp_nlt_f32_e64 s0, 0x42b17218, v31
	s_delay_alu instid0(VALU_DEP_1) | instskip(NEXT) | instid1(VALU_DEP_1)
	v_cndmask_b32_e64 v33, 0x7f800000, v32, s0
	v_add_f32_e32 v34, 1.0, v33
	v_cmp_gt_f32_e64 s49, 0x33800000, |v33|
	s_delay_alu instid0(VALU_DEP_2) | instskip(NEXT) | instid1(VALU_DEP_1)
	v_cvt_f64_f32_e32 v[31:32], v34
	v_frexp_exp_i32_f64_e32 v31, v[31:32]
	v_frexp_mant_f32_e32 v32, v34
	s_delay_alu instid0(VALU_DEP_1) | instskip(SKIP_1) | instid1(VALU_DEP_1)
	v_cmp_gt_f32_e64 s0, 0x3f2aaaab, v32
	v_add_f32_e32 v32, -1.0, v34
	v_sub_f32_e32 v36, v32, v34
	v_sub_f32_e32 v32, v33, v32
	s_delay_alu instid0(VALU_DEP_4) | instskip(SKIP_1) | instid1(VALU_DEP_1)
	v_subrev_co_ci_u32_e64 v31, s0, 0, v31, s0
	s_mov_b32 s0, 0x3e9b6dac
	v_sub_nc_u32_e32 v35, 0, v31
	v_cvt_f32_i32_e32 v31, v31
	s_delay_alu instid0(VALU_DEP_2) | instskip(NEXT) | instid1(VALU_DEP_1)
	v_ldexp_f32 v34, v34, v35
	v_dual_add_f32 v37, 1.0, v34 :: v_dual_add_f32 v36, 1.0, v36
	s_delay_alu instid0(VALU_DEP_1) | instskip(NEXT) | instid1(VALU_DEP_2)
	v_add_f32_e32 v32, v32, v36
	v_add_f32_e32 v36, -1.0, v37
	s_delay_alu instid0(VALU_DEP_2) | instskip(NEXT) | instid1(VALU_DEP_2)
	v_ldexp_f32 v32, v32, v35
	v_dual_add_f32 v35, -1.0, v34 :: v_dual_sub_f32 v36, v34, v36
	s_delay_alu instid0(VALU_DEP_1) | instskip(NEXT) | instid1(VALU_DEP_2)
	v_add_f32_e32 v38, 1.0, v35
	v_add_f32_e32 v36, v32, v36
	s_delay_alu instid0(VALU_DEP_2) | instskip(NEXT) | instid1(VALU_DEP_2)
	v_sub_f32_e32 v34, v34, v38
	v_add_f32_e32 v38, v37, v36
	s_delay_alu instid0(VALU_DEP_2) | instskip(NEXT) | instid1(VALU_DEP_2)
	v_add_f32_e32 v32, v32, v34
	v_rcp_f32_e32 v34, v38
	v_sub_f32_e32 v37, v37, v38
	s_delay_alu instid0(VALU_DEP_1) | instskip(NEXT) | instid1(VALU_DEP_1)
	v_dual_add_f32 v39, v35, v32 :: v_dual_add_f32 v36, v36, v37
	v_sub_f32_e32 v35, v35, v39
	s_waitcnt_depctr 0xfff
	v_mul_f32_e32 v40, v39, v34
	s_delay_alu instid0(VALU_DEP_1) | instskip(NEXT) | instid1(VALU_DEP_1)
	v_dual_add_f32 v32, v32, v35 :: v_dual_mul_f32 v41, v38, v40
	v_fma_f32 v37, v40, v38, -v41
	s_delay_alu instid0(VALU_DEP_1) | instskip(NEXT) | instid1(VALU_DEP_1)
	v_fmac_f32_e32 v37, v40, v36
	v_add_f32_e32 v42, v41, v37
	s_delay_alu instid0(VALU_DEP_1) | instskip(SKIP_1) | instid1(VALU_DEP_2)
	v_sub_f32_e32 v43, v39, v42
	v_sub_f32_e32 v35, v42, v41
	;; [unrolled: 1-line block ×3, first 2 shown]
	s_delay_alu instid0(VALU_DEP_2) | instskip(NEXT) | instid1(VALU_DEP_2)
	v_sub_f32_e32 v35, v35, v37
	v_sub_f32_e32 v39, v39, v42
	s_delay_alu instid0(VALU_DEP_1) | instskip(NEXT) | instid1(VALU_DEP_1)
	v_add_f32_e32 v32, v32, v39
	v_add_f32_e32 v32, v35, v32
	s_delay_alu instid0(VALU_DEP_1) | instskip(NEXT) | instid1(VALU_DEP_1)
	v_add_f32_e32 v35, v43, v32
	v_mul_f32_e32 v37, v34, v35
	s_delay_alu instid0(VALU_DEP_1) | instskip(NEXT) | instid1(VALU_DEP_1)
	v_dual_sub_f32 v42, v43, v35 :: v_dual_mul_f32 v39, v38, v37
	v_add_f32_e32 v32, v32, v42
	s_delay_alu instid0(VALU_DEP_2) | instskip(NEXT) | instid1(VALU_DEP_1)
	v_fma_f32 v38, v37, v38, -v39
	v_fmac_f32_e32 v38, v37, v36
	s_delay_alu instid0(VALU_DEP_1) | instskip(NEXT) | instid1(VALU_DEP_1)
	v_add_f32_e32 v36, v39, v38
	v_sub_f32_e32 v41, v35, v36
	v_sub_f32_e32 v39, v36, v39
	s_delay_alu instid0(VALU_DEP_2) | instskip(NEXT) | instid1(VALU_DEP_1)
	v_sub_f32_e32 v35, v35, v41
	v_sub_f32_e32 v35, v35, v36
	s_delay_alu instid0(VALU_DEP_3) | instskip(NEXT) | instid1(VALU_DEP_2)
	v_sub_f32_e32 v36, v39, v38
	v_add_f32_e32 v32, v32, v35
	v_add_f32_e32 v35, v40, v37
	s_delay_alu instid0(VALU_DEP_2) | instskip(NEXT) | instid1(VALU_DEP_2)
	v_add_f32_e32 v32, v36, v32
	v_sub_f32_e32 v36, v35, v40
	s_delay_alu instid0(VALU_DEP_2) | instskip(NEXT) | instid1(VALU_DEP_2)
	v_add_f32_e32 v32, v41, v32
	v_sub_f32_e32 v36, v37, v36
	s_delay_alu instid0(VALU_DEP_2) | instskip(NEXT) | instid1(VALU_DEP_1)
	v_mul_f32_e32 v32, v34, v32
	v_add_f32_e32 v32, v36, v32
	s_delay_alu instid0(VALU_DEP_1) | instskip(NEXT) | instid1(VALU_DEP_1)
	v_add_f32_e32 v34, v35, v32
	v_mul_f32_e32 v36, v34, v34
	s_delay_alu instid0(VALU_DEP_1) | instskip(SKIP_2) | instid1(VALU_DEP_3)
	v_fmaak_f32 v37, s0, v36, 0x3ecc95a3
	v_mul_f32_e32 v38, v34, v36
	v_cmp_eq_f32_e64 s0, 0x7f800000, v33
	v_fmaak_f32 v36, v36, v37, 0x3f2aaada
	v_ldexp_f32 v37, v34, 1
	v_sub_f32_e32 v34, v34, v35
	s_delay_alu instid0(VALU_DEP_4) | instskip(NEXT) | instid1(VALU_DEP_3)
	s_or_b32 s0, s0, s49
	v_mul_f32_e32 v36, v38, v36
	v_mul_f32_e32 v38, 0x3f317218, v31
	s_delay_alu instid0(VALU_DEP_2) | instskip(NEXT) | instid1(VALU_DEP_1)
	v_dual_sub_f32 v32, v32, v34 :: v_dual_add_f32 v35, v37, v36
	v_ldexp_f32 v32, v32, 1
	s_delay_alu instid0(VALU_DEP_2) | instskip(NEXT) | instid1(VALU_DEP_4)
	v_sub_f32_e32 v34, v35, v37
	v_fma_f32 v37, 0x3f317218, v31, -v38
	s_delay_alu instid0(VALU_DEP_1) | instskip(NEXT) | instid1(VALU_DEP_1)
	v_dual_sub_f32 v34, v36, v34 :: v_dual_fmamk_f32 v31, v31, 0xb102e308, v37
	v_add_f32_e32 v32, v32, v34
	s_delay_alu instid0(VALU_DEP_2) | instskip(NEXT) | instid1(VALU_DEP_2)
	v_add_f32_e32 v34, v38, v31
	v_add_f32_e32 v36, v35, v32
	s_delay_alu instid0(VALU_DEP_2) | instskip(NEXT) | instid1(VALU_DEP_2)
	v_sub_f32_e32 v38, v34, v38
	v_add_f32_e32 v37, v34, v36
	v_sub_f32_e32 v35, v36, v35
	s_delay_alu instid0(VALU_DEP_3) | instskip(NEXT) | instid1(VALU_DEP_2)
	v_sub_f32_e32 v31, v31, v38
	v_dual_sub_f32 v39, v37, v34 :: v_dual_sub_f32 v32, v32, v35
	s_delay_alu instid0(VALU_DEP_1) | instskip(NEXT) | instid1(VALU_DEP_2)
	v_sub_f32_e32 v40, v37, v39
	v_dual_sub_f32 v35, v36, v39 :: v_dual_add_f32 v36, v31, v32
	s_delay_alu instid0(VALU_DEP_2) | instskip(NEXT) | instid1(VALU_DEP_1)
	v_sub_f32_e32 v34, v34, v40
	v_dual_add_f32 v34, v35, v34 :: v_dual_sub_f32 v35, v36, v31
	s_delay_alu instid0(VALU_DEP_1) | instskip(NEXT) | instid1(VALU_DEP_2)
	v_add_f32_e32 v34, v36, v34
	v_sub_f32_e32 v36, v36, v35
	v_sub_f32_e32 v32, v32, v35
	s_delay_alu instid0(VALU_DEP_2) | instskip(NEXT) | instid1(VALU_DEP_1)
	v_dual_add_f32 v38, v37, v34 :: v_dual_sub_f32 v31, v31, v36
	v_sub_f32_e32 v35, v38, v37
	s_delay_alu instid0(VALU_DEP_2) | instskip(NEXT) | instid1(VALU_DEP_2)
	v_add_f32_e32 v31, v32, v31
	v_sub_f32_e32 v32, v34, v35
	s_delay_alu instid0(VALU_DEP_1) | instskip(NEXT) | instid1(VALU_DEP_1)
	v_add_f32_e32 v31, v31, v32
	v_add_f32_e32 v31, v38, v31
	s_delay_alu instid0(VALU_DEP_1) | instskip(NEXT) | instid1(VALU_DEP_1)
	v_cndmask_b32_e64 v31, v31, v33, s0
	v_add_f32_e32 v30, v30, v31
	s_delay_alu instid0(VALU_DEP_1)
	v_cvt_f16_f32_e32 v31, v30
.LBB380_113:
	s_or_b32 exec_lo, exec_lo, s1
	v_cmp_eq_u32_e64 s0, 0, v0
	; wave barrier
	s_delay_alu instid0(VALU_DEP_1)
	v_cndmask_b32_e64 v31, v31, v29, s0
	ds_store_b16 v28, v31
	; wave barrier
	ds_load_u16 v30, v28 offset:2
	v_cvt_f32_f16_e32 v32, v31
	v_cmp_u_f16_e64 s0, v31, v31
	s_waitcnt lgkmcnt(0)
	v_cvt_f32_f16_e32 v33, v30
	s_delay_alu instid0(VALU_DEP_1) | instskip(SKIP_1) | instid1(VALU_DEP_2)
	v_min_f32_e32 v34, v32, v33
	v_max_f32_e32 v35, v32, v33
	v_cndmask_b32_e64 v34, v34, v32, s0
	s_delay_alu instid0(VALU_DEP_2) | instskip(SKIP_1) | instid1(VALU_DEP_1)
	v_cndmask_b32_e64 v35, v35, v32, s0
	v_cmp_u_f16_e64 s0, v30, v30
	v_cndmask_b32_e64 v32, v34, v33, s0
	s_delay_alu instid0(VALU_DEP_3) | instskip(NEXT) | instid1(VALU_DEP_2)
	v_cndmask_b32_e64 v30, v35, v33, s0
	v_cmp_class_f32_e64 s1, v32, 0x1f8
	s_delay_alu instid0(VALU_DEP_2) | instskip(NEXT) | instid1(VALU_DEP_1)
	v_cmp_neq_f32_e64 s0, v32, v30
	s_or_b32 s0, s0, s1
	s_delay_alu instid0(SALU_CYCLE_1)
	s_and_saveexec_b32 s1, s0
	s_cbranch_execz .LBB380_115
; %bb.114:
	v_sub_f32_e32 v31, v32, v30
	s_delay_alu instid0(VALU_DEP_1) | instskip(SKIP_1) | instid1(VALU_DEP_2)
	v_mul_f32_e32 v32, 0x3fb8aa3b, v31
	v_cmp_ngt_f32_e64 s0, 0xc2ce8ed0, v31
	v_fma_f32 v33, 0x3fb8aa3b, v31, -v32
	v_rndne_f32_e32 v34, v32
	s_delay_alu instid0(VALU_DEP_1) | instskip(NEXT) | instid1(VALU_DEP_1)
	v_dual_fmamk_f32 v33, v31, 0x32a5705f, v33 :: v_dual_sub_f32 v32, v32, v34
	v_add_f32_e32 v32, v32, v33
	v_cvt_i32_f32_e32 v33, v34
	s_delay_alu instid0(VALU_DEP_2) | instskip(SKIP_2) | instid1(VALU_DEP_1)
	v_exp_f32_e32 v32, v32
	s_waitcnt_depctr 0xfff
	v_ldexp_f32 v32, v32, v33
	v_cndmask_b32_e64 v32, 0, v32, s0
	v_cmp_nlt_f32_e64 s0, 0x42b17218, v31
	s_delay_alu instid0(VALU_DEP_1) | instskip(NEXT) | instid1(VALU_DEP_1)
	v_cndmask_b32_e64 v33, 0x7f800000, v32, s0
	v_add_f32_e32 v34, 1.0, v33
	v_cmp_gt_f32_e64 s49, 0x33800000, |v33|
	s_delay_alu instid0(VALU_DEP_2) | instskip(NEXT) | instid1(VALU_DEP_1)
	v_cvt_f64_f32_e32 v[31:32], v34
	v_frexp_exp_i32_f64_e32 v31, v[31:32]
	v_frexp_mant_f32_e32 v32, v34
	s_delay_alu instid0(VALU_DEP_1) | instskip(SKIP_1) | instid1(VALU_DEP_1)
	v_cmp_gt_f32_e64 s0, 0x3f2aaaab, v32
	v_add_f32_e32 v32, -1.0, v34
	v_sub_f32_e32 v36, v32, v34
	v_sub_f32_e32 v32, v33, v32
	s_delay_alu instid0(VALU_DEP_4) | instskip(SKIP_1) | instid1(VALU_DEP_1)
	v_subrev_co_ci_u32_e64 v31, s0, 0, v31, s0
	s_mov_b32 s0, 0x3e9b6dac
	v_sub_nc_u32_e32 v35, 0, v31
	v_cvt_f32_i32_e32 v31, v31
	s_delay_alu instid0(VALU_DEP_2) | instskip(NEXT) | instid1(VALU_DEP_1)
	v_ldexp_f32 v34, v34, v35
	v_dual_add_f32 v37, 1.0, v34 :: v_dual_add_f32 v36, 1.0, v36
	s_delay_alu instid0(VALU_DEP_1) | instskip(NEXT) | instid1(VALU_DEP_2)
	v_add_f32_e32 v32, v32, v36
	v_add_f32_e32 v36, -1.0, v37
	s_delay_alu instid0(VALU_DEP_2) | instskip(NEXT) | instid1(VALU_DEP_2)
	v_ldexp_f32 v32, v32, v35
	v_dual_add_f32 v35, -1.0, v34 :: v_dual_sub_f32 v36, v34, v36
	s_delay_alu instid0(VALU_DEP_1) | instskip(NEXT) | instid1(VALU_DEP_2)
	v_add_f32_e32 v38, 1.0, v35
	v_add_f32_e32 v36, v32, v36
	s_delay_alu instid0(VALU_DEP_2) | instskip(NEXT) | instid1(VALU_DEP_2)
	v_sub_f32_e32 v34, v34, v38
	v_add_f32_e32 v38, v37, v36
	s_delay_alu instid0(VALU_DEP_2) | instskip(NEXT) | instid1(VALU_DEP_2)
	v_add_f32_e32 v32, v32, v34
	v_rcp_f32_e32 v34, v38
	v_sub_f32_e32 v37, v37, v38
	s_delay_alu instid0(VALU_DEP_1) | instskip(NEXT) | instid1(VALU_DEP_1)
	v_dual_add_f32 v39, v35, v32 :: v_dual_add_f32 v36, v36, v37
	v_sub_f32_e32 v35, v35, v39
	s_waitcnt_depctr 0xfff
	v_mul_f32_e32 v40, v39, v34
	s_delay_alu instid0(VALU_DEP_1) | instskip(NEXT) | instid1(VALU_DEP_1)
	v_dual_add_f32 v32, v32, v35 :: v_dual_mul_f32 v41, v38, v40
	v_fma_f32 v37, v40, v38, -v41
	s_delay_alu instid0(VALU_DEP_1) | instskip(NEXT) | instid1(VALU_DEP_1)
	v_fmac_f32_e32 v37, v40, v36
	v_add_f32_e32 v42, v41, v37
	s_delay_alu instid0(VALU_DEP_1) | instskip(SKIP_1) | instid1(VALU_DEP_2)
	v_sub_f32_e32 v43, v39, v42
	v_sub_f32_e32 v35, v42, v41
	;; [unrolled: 1-line block ×3, first 2 shown]
	s_delay_alu instid0(VALU_DEP_2) | instskip(NEXT) | instid1(VALU_DEP_2)
	v_sub_f32_e32 v35, v35, v37
	v_sub_f32_e32 v39, v39, v42
	s_delay_alu instid0(VALU_DEP_1) | instskip(NEXT) | instid1(VALU_DEP_1)
	v_add_f32_e32 v32, v32, v39
	v_add_f32_e32 v32, v35, v32
	s_delay_alu instid0(VALU_DEP_1) | instskip(NEXT) | instid1(VALU_DEP_1)
	v_add_f32_e32 v35, v43, v32
	v_mul_f32_e32 v37, v34, v35
	s_delay_alu instid0(VALU_DEP_1) | instskip(NEXT) | instid1(VALU_DEP_1)
	v_dual_sub_f32 v42, v43, v35 :: v_dual_mul_f32 v39, v38, v37
	v_add_f32_e32 v32, v32, v42
	s_delay_alu instid0(VALU_DEP_2) | instskip(NEXT) | instid1(VALU_DEP_1)
	v_fma_f32 v38, v37, v38, -v39
	v_fmac_f32_e32 v38, v37, v36
	s_delay_alu instid0(VALU_DEP_1) | instskip(NEXT) | instid1(VALU_DEP_1)
	v_add_f32_e32 v36, v39, v38
	v_sub_f32_e32 v41, v35, v36
	v_sub_f32_e32 v39, v36, v39
	s_delay_alu instid0(VALU_DEP_2) | instskip(NEXT) | instid1(VALU_DEP_1)
	v_sub_f32_e32 v35, v35, v41
	v_sub_f32_e32 v35, v35, v36
	s_delay_alu instid0(VALU_DEP_3) | instskip(NEXT) | instid1(VALU_DEP_2)
	v_sub_f32_e32 v36, v39, v38
	v_add_f32_e32 v32, v32, v35
	v_add_f32_e32 v35, v40, v37
	s_delay_alu instid0(VALU_DEP_2) | instskip(NEXT) | instid1(VALU_DEP_2)
	v_add_f32_e32 v32, v36, v32
	v_sub_f32_e32 v36, v35, v40
	s_delay_alu instid0(VALU_DEP_2) | instskip(NEXT) | instid1(VALU_DEP_2)
	v_add_f32_e32 v32, v41, v32
	v_sub_f32_e32 v36, v37, v36
	s_delay_alu instid0(VALU_DEP_2) | instskip(NEXT) | instid1(VALU_DEP_1)
	v_mul_f32_e32 v32, v34, v32
	v_add_f32_e32 v32, v36, v32
	s_delay_alu instid0(VALU_DEP_1) | instskip(NEXT) | instid1(VALU_DEP_1)
	v_add_f32_e32 v34, v35, v32
	v_mul_f32_e32 v36, v34, v34
	s_delay_alu instid0(VALU_DEP_1) | instskip(SKIP_2) | instid1(VALU_DEP_3)
	v_fmaak_f32 v37, s0, v36, 0x3ecc95a3
	v_mul_f32_e32 v38, v34, v36
	v_cmp_eq_f32_e64 s0, 0x7f800000, v33
	v_fmaak_f32 v36, v36, v37, 0x3f2aaada
	v_ldexp_f32 v37, v34, 1
	v_sub_f32_e32 v34, v34, v35
	s_delay_alu instid0(VALU_DEP_4) | instskip(NEXT) | instid1(VALU_DEP_3)
	s_or_b32 s0, s0, s49
	v_mul_f32_e32 v36, v38, v36
	v_mul_f32_e32 v38, 0x3f317218, v31
	s_delay_alu instid0(VALU_DEP_2) | instskip(NEXT) | instid1(VALU_DEP_1)
	v_dual_sub_f32 v32, v32, v34 :: v_dual_add_f32 v35, v37, v36
	v_ldexp_f32 v32, v32, 1
	s_delay_alu instid0(VALU_DEP_2) | instskip(NEXT) | instid1(VALU_DEP_4)
	v_sub_f32_e32 v34, v35, v37
	v_fma_f32 v37, 0x3f317218, v31, -v38
	s_delay_alu instid0(VALU_DEP_1) | instskip(NEXT) | instid1(VALU_DEP_1)
	v_dual_sub_f32 v34, v36, v34 :: v_dual_fmamk_f32 v31, v31, 0xb102e308, v37
	v_add_f32_e32 v32, v32, v34
	s_delay_alu instid0(VALU_DEP_2) | instskip(NEXT) | instid1(VALU_DEP_2)
	v_add_f32_e32 v34, v38, v31
	v_add_f32_e32 v36, v35, v32
	s_delay_alu instid0(VALU_DEP_2) | instskip(NEXT) | instid1(VALU_DEP_2)
	v_sub_f32_e32 v38, v34, v38
	v_add_f32_e32 v37, v34, v36
	v_sub_f32_e32 v35, v36, v35
	s_delay_alu instid0(VALU_DEP_3) | instskip(NEXT) | instid1(VALU_DEP_2)
	v_sub_f32_e32 v31, v31, v38
	v_dual_sub_f32 v39, v37, v34 :: v_dual_sub_f32 v32, v32, v35
	s_delay_alu instid0(VALU_DEP_1) | instskip(NEXT) | instid1(VALU_DEP_2)
	v_sub_f32_e32 v40, v37, v39
	v_dual_sub_f32 v35, v36, v39 :: v_dual_add_f32 v36, v31, v32
	s_delay_alu instid0(VALU_DEP_2) | instskip(NEXT) | instid1(VALU_DEP_1)
	v_sub_f32_e32 v34, v34, v40
	v_dual_add_f32 v34, v35, v34 :: v_dual_sub_f32 v35, v36, v31
	s_delay_alu instid0(VALU_DEP_1) | instskip(NEXT) | instid1(VALU_DEP_2)
	v_add_f32_e32 v34, v36, v34
	v_sub_f32_e32 v36, v36, v35
	v_sub_f32_e32 v32, v32, v35
	s_delay_alu instid0(VALU_DEP_2) | instskip(NEXT) | instid1(VALU_DEP_1)
	v_dual_add_f32 v38, v37, v34 :: v_dual_sub_f32 v31, v31, v36
	v_sub_f32_e32 v35, v38, v37
	s_delay_alu instid0(VALU_DEP_2) | instskip(NEXT) | instid1(VALU_DEP_2)
	v_add_f32_e32 v31, v32, v31
	v_sub_f32_e32 v32, v34, v35
	s_delay_alu instid0(VALU_DEP_1) | instskip(NEXT) | instid1(VALU_DEP_1)
	v_add_f32_e32 v31, v31, v32
	v_add_f32_e32 v31, v38, v31
	s_delay_alu instid0(VALU_DEP_1) | instskip(NEXT) | instid1(VALU_DEP_1)
	v_cndmask_b32_e64 v31, v31, v33, s0
	v_add_f32_e32 v30, v30, v31
	s_delay_alu instid0(VALU_DEP_1)
	v_cvt_f16_f32_e32 v31, v30
.LBB380_115:
	s_or_b32 exec_lo, exec_lo, s1
	ds_store_b16 v28, v31 offset:2
.LBB380_116:
	s_or_b32 exec_lo, exec_lo, s48
	v_mul_u32_u24_e32 v28, 42, v0
	v_cmp_ne_u32_e64 s0, 0, v0
	s_waitcnt lgkmcnt(0)
	s_barrier
	buffer_gl0_inv
	s_and_saveexec_b32 s1, s0
	s_cbranch_execz .LBB380_118
; %bb.117:
	v_add_nc_u32_e32 v29, -1, v0
	s_delay_alu instid0(VALU_DEP_1) | instskip(NEXT) | instid1(VALU_DEP_1)
	v_lshrrev_b32_e32 v30, 5, v29
	v_add_lshl_u32 v29, v30, v29, 1
	ds_load_u16 v29, v29
.LBB380_118:
	s_or_b32 exec_lo, exec_lo, s1
	v_mov_b32_e32 v30, v2
	s_and_saveexec_b32 s1, s0
	s_cbranch_execz .LBB380_122
; %bb.119:
	s_waitcnt lgkmcnt(0)
	v_cvt_f32_f16_e32 v31, v29
	v_max_f32_e32 v2, v13, v13
	v_cmp_u_f16_e64 s0, v29, v29
	s_delay_alu instid0(VALU_DEP_2) | instskip(SKIP_1) | instid1(VALU_DEP_2)
	v_min_f32_e32 v26, v31, v2
	v_max_f32_e32 v2, v31, v2
	v_cndmask_b32_e64 v26, v26, v31, s0
	s_delay_alu instid0(VALU_DEP_2) | instskip(NEXT) | instid1(VALU_DEP_2)
	v_cndmask_b32_e64 v2, v2, v31, s0
	v_cndmask_b32_e64 v26, v26, v13, s45
	s_delay_alu instid0(VALU_DEP_2) | instskip(NEXT) | instid1(VALU_DEP_2)
	v_cndmask_b32_e64 v2, v2, v13, s45
	v_cmp_class_f32_e64 s45, v26, 0x1f8
	s_delay_alu instid0(VALU_DEP_2) | instskip(NEXT) | instid1(VALU_DEP_1)
	v_cmp_neq_f32_e64 s0, v26, v2
	s_or_b32 s0, s0, s45
	s_delay_alu instid0(SALU_CYCLE_1)
	s_and_saveexec_b32 s45, s0
	s_cbranch_execz .LBB380_121
; %bb.120:
	v_sub_f32_e32 v13, v26, v2
	s_delay_alu instid0(VALU_DEP_1) | instskip(SKIP_1) | instid1(VALU_DEP_2)
	v_mul_f32_e32 v26, 0x3fb8aa3b, v13
	v_cmp_ngt_f32_e64 s0, 0xc2ce8ed0, v13
	v_fma_f32 v27, 0x3fb8aa3b, v13, -v26
	v_rndne_f32_e32 v29, v26
	s_delay_alu instid0(VALU_DEP_1) | instskip(NEXT) | instid1(VALU_DEP_1)
	v_dual_fmamk_f32 v27, v13, 0x32a5705f, v27 :: v_dual_sub_f32 v26, v26, v29
	v_add_f32_e32 v26, v26, v27
	v_cvt_i32_f32_e32 v27, v29
	s_delay_alu instid0(VALU_DEP_2) | instskip(SKIP_2) | instid1(VALU_DEP_1)
	v_exp_f32_e32 v26, v26
	s_waitcnt_depctr 0xfff
	v_ldexp_f32 v26, v26, v27
	v_cndmask_b32_e64 v26, 0, v26, s0
	v_cmp_nlt_f32_e64 s0, 0x42b17218, v13
	s_delay_alu instid0(VALU_DEP_1) | instskip(NEXT) | instid1(VALU_DEP_1)
	v_cndmask_b32_e64 v13, 0x7f800000, v26, s0
	v_add_f32_e32 v29, 1.0, v13
	v_cmp_gt_f32_e64 s48, 0x33800000, |v13|
	s_delay_alu instid0(VALU_DEP_2) | instskip(NEXT) | instid1(VALU_DEP_1)
	v_cvt_f64_f32_e32 v[26:27], v29
	v_frexp_exp_i32_f64_e32 v26, v[26:27]
	v_frexp_mant_f32_e32 v27, v29
	s_delay_alu instid0(VALU_DEP_1) | instskip(SKIP_1) | instid1(VALU_DEP_1)
	v_cmp_gt_f32_e64 s0, 0x3f2aaaab, v27
	v_add_f32_e32 v27, -1.0, v29
	v_sub_f32_e32 v31, v27, v29
	v_sub_f32_e32 v27, v13, v27
	s_delay_alu instid0(VALU_DEP_4) | instskip(SKIP_1) | instid1(VALU_DEP_1)
	v_subrev_co_ci_u32_e64 v26, s0, 0, v26, s0
	s_mov_b32 s0, 0x3e9b6dac
	v_sub_nc_u32_e32 v30, 0, v26
	v_cvt_f32_i32_e32 v26, v26
	s_delay_alu instid0(VALU_DEP_2) | instskip(NEXT) | instid1(VALU_DEP_1)
	v_ldexp_f32 v29, v29, v30
	v_dual_add_f32 v31, 1.0, v31 :: v_dual_add_f32 v32, 1.0, v29
	s_delay_alu instid0(VALU_DEP_1) | instskip(NEXT) | instid1(VALU_DEP_2)
	v_add_f32_e32 v27, v27, v31
	v_add_f32_e32 v31, -1.0, v32
	s_delay_alu instid0(VALU_DEP_2) | instskip(NEXT) | instid1(VALU_DEP_2)
	v_ldexp_f32 v27, v27, v30
	v_dual_add_f32 v30, -1.0, v29 :: v_dual_sub_f32 v31, v29, v31
	s_delay_alu instid0(VALU_DEP_1) | instskip(NEXT) | instid1(VALU_DEP_2)
	v_add_f32_e32 v33, 1.0, v30
	v_add_f32_e32 v31, v27, v31
	s_delay_alu instid0(VALU_DEP_2) | instskip(NEXT) | instid1(VALU_DEP_2)
	v_sub_f32_e32 v29, v29, v33
	v_add_f32_e32 v33, v32, v31
	s_delay_alu instid0(VALU_DEP_2) | instskip(NEXT) | instid1(VALU_DEP_2)
	v_add_f32_e32 v27, v27, v29
	v_rcp_f32_e32 v29, v33
	v_sub_f32_e32 v32, v32, v33
	s_delay_alu instid0(VALU_DEP_1) | instskip(NEXT) | instid1(VALU_DEP_1)
	v_dual_add_f32 v34, v30, v27 :: v_dual_add_f32 v31, v31, v32
	v_sub_f32_e32 v30, v30, v34
	s_waitcnt_depctr 0xfff
	v_mul_f32_e32 v35, v34, v29
	s_delay_alu instid0(VALU_DEP_1) | instskip(NEXT) | instid1(VALU_DEP_1)
	v_dual_add_f32 v27, v27, v30 :: v_dual_mul_f32 v36, v33, v35
	v_fma_f32 v32, v35, v33, -v36
	s_delay_alu instid0(VALU_DEP_1) | instskip(NEXT) | instid1(VALU_DEP_1)
	v_fmac_f32_e32 v32, v35, v31
	v_add_f32_e32 v37, v36, v32
	s_delay_alu instid0(VALU_DEP_1) | instskip(SKIP_1) | instid1(VALU_DEP_2)
	v_sub_f32_e32 v38, v34, v37
	v_sub_f32_e32 v30, v37, v36
	;; [unrolled: 1-line block ×3, first 2 shown]
	s_delay_alu instid0(VALU_DEP_2) | instskip(NEXT) | instid1(VALU_DEP_2)
	v_sub_f32_e32 v30, v30, v32
	v_sub_f32_e32 v34, v34, v37
	s_delay_alu instid0(VALU_DEP_1) | instskip(NEXT) | instid1(VALU_DEP_1)
	v_add_f32_e32 v27, v27, v34
	v_add_f32_e32 v27, v30, v27
	s_delay_alu instid0(VALU_DEP_1) | instskip(NEXT) | instid1(VALU_DEP_1)
	v_add_f32_e32 v30, v38, v27
	v_mul_f32_e32 v32, v29, v30
	s_delay_alu instid0(VALU_DEP_1) | instskip(NEXT) | instid1(VALU_DEP_1)
	v_dual_sub_f32 v37, v38, v30 :: v_dual_mul_f32 v34, v33, v32
	v_fma_f32 v33, v32, v33, -v34
	s_delay_alu instid0(VALU_DEP_1) | instskip(NEXT) | instid1(VALU_DEP_1)
	v_fmac_f32_e32 v33, v32, v31
	v_add_f32_e32 v31, v34, v33
	s_delay_alu instid0(VALU_DEP_1) | instskip(SKIP_1) | instid1(VALU_DEP_2)
	v_sub_f32_e32 v36, v30, v31
	v_sub_f32_e32 v34, v31, v34
	v_dual_sub_f32 v30, v30, v36 :: v_dual_add_f32 v27, v27, v37
	s_delay_alu instid0(VALU_DEP_1) | instskip(NEXT) | instid1(VALU_DEP_1)
	v_sub_f32_e32 v30, v30, v31
	v_add_f32_e32 v27, v27, v30
	s_delay_alu instid0(VALU_DEP_4) | instskip(NEXT) | instid1(VALU_DEP_1)
	v_dual_add_f32 v30, v35, v32 :: v_dual_sub_f32 v31, v34, v33
	v_add_f32_e32 v27, v31, v27
	s_delay_alu instid0(VALU_DEP_2) | instskip(NEXT) | instid1(VALU_DEP_2)
	v_sub_f32_e32 v31, v30, v35
	v_add_f32_e32 v27, v36, v27
	s_delay_alu instid0(VALU_DEP_2) | instskip(NEXT) | instid1(VALU_DEP_2)
	v_sub_f32_e32 v31, v32, v31
	v_mul_f32_e32 v27, v29, v27
	s_delay_alu instid0(VALU_DEP_1) | instskip(NEXT) | instid1(VALU_DEP_1)
	v_add_f32_e32 v27, v31, v27
	v_add_f32_e32 v29, v30, v27
	s_delay_alu instid0(VALU_DEP_1) | instskip(NEXT) | instid1(VALU_DEP_1)
	v_mul_f32_e32 v31, v29, v29
	v_fmaak_f32 v32, s0, v31, 0x3ecc95a3
	v_mul_f32_e32 v33, v29, v31
	v_cmp_eq_f32_e64 s0, 0x7f800000, v13
	s_delay_alu instid0(VALU_DEP_3) | instskip(SKIP_2) | instid1(VALU_DEP_4)
	v_fmaak_f32 v31, v31, v32, 0x3f2aaada
	v_ldexp_f32 v32, v29, 1
	v_sub_f32_e32 v29, v29, v30
	s_or_b32 s0, s0, s48
	s_delay_alu instid0(VALU_DEP_3) | instskip(NEXT) | instid1(VALU_DEP_1)
	v_mul_f32_e32 v31, v33, v31
	v_dual_sub_f32 v27, v27, v29 :: v_dual_add_f32 v30, v32, v31
	s_delay_alu instid0(VALU_DEP_1) | instskip(NEXT) | instid1(VALU_DEP_2)
	v_ldexp_f32 v27, v27, 1
	v_sub_f32_e32 v29, v30, v32
	s_delay_alu instid0(VALU_DEP_1) | instskip(NEXT) | instid1(VALU_DEP_1)
	v_sub_f32_e32 v29, v31, v29
	v_add_f32_e32 v27, v27, v29
	s_delay_alu instid0(VALU_DEP_1) | instskip(SKIP_1) | instid1(VALU_DEP_2)
	v_add_f32_e32 v31, v30, v27
	v_mul_f32_e32 v33, 0x3f317218, v26
	v_sub_f32_e32 v30, v31, v30
	s_delay_alu instid0(VALU_DEP_2) | instskip(NEXT) | instid1(VALU_DEP_1)
	v_fma_f32 v32, 0x3f317218, v26, -v33
	v_dual_sub_f32 v27, v27, v30 :: v_dual_fmamk_f32 v26, v26, 0xb102e308, v32
	s_delay_alu instid0(VALU_DEP_1) | instskip(NEXT) | instid1(VALU_DEP_1)
	v_add_f32_e32 v29, v33, v26
	v_add_f32_e32 v32, v29, v31
	v_sub_f32_e32 v33, v29, v33
	s_delay_alu instid0(VALU_DEP_2) | instskip(NEXT) | instid1(VALU_DEP_1)
	v_sub_f32_e32 v34, v32, v29
	v_dual_sub_f32 v26, v26, v33 :: v_dual_sub_f32 v35, v32, v34
	s_delay_alu instid0(VALU_DEP_1) | instskip(NEXT) | instid1(VALU_DEP_2)
	v_dual_sub_f32 v30, v31, v34 :: v_dual_add_f32 v31, v26, v27
	v_sub_f32_e32 v29, v29, v35
	s_delay_alu instid0(VALU_DEP_1) | instskip(NEXT) | instid1(VALU_DEP_1)
	v_dual_add_f32 v29, v30, v29 :: v_dual_sub_f32 v30, v31, v26
	v_add_f32_e32 v29, v31, v29
	s_delay_alu instid0(VALU_DEP_2) | instskip(SKIP_1) | instid1(VALU_DEP_2)
	v_sub_f32_e32 v31, v31, v30
	v_sub_f32_e32 v27, v27, v30
	v_dual_add_f32 v33, v32, v29 :: v_dual_sub_f32 v26, v26, v31
	s_delay_alu instid0(VALU_DEP_1) | instskip(NEXT) | instid1(VALU_DEP_2)
	v_sub_f32_e32 v30, v33, v32
	v_add_f32_e32 v26, v27, v26
	s_delay_alu instid0(VALU_DEP_2) | instskip(NEXT) | instid1(VALU_DEP_1)
	v_sub_f32_e32 v27, v29, v30
	v_add_f32_e32 v26, v26, v27
	s_delay_alu instid0(VALU_DEP_1) | instskip(NEXT) | instid1(VALU_DEP_1)
	v_add_f32_e32 v26, v33, v26
	v_cndmask_b32_e64 v13, v26, v13, s0
	s_delay_alu instid0(VALU_DEP_1) | instskip(NEXT) | instid1(VALU_DEP_1)
	v_add_f32_e32 v2, v2, v13
	v_cvt_f16_f32_e32 v29, v2
	s_delay_alu instid0(VALU_DEP_1)
	v_cvt_f32_f16_e32 v31, v29
.LBB380_121:
	s_or_b32 exec_lo, exec_lo, s45
	v_dual_max_f32 v13, v14, v14 :: v_dual_mov_b32 v2, v29
	s_delay_alu instid0(VALU_DEP_2) | instskip(SKIP_1) | instid1(VALU_DEP_1)
	v_dual_max_f32 v27, v31, v31 :: v_dual_mov_b32 v30, v29
	;;#ASMSTART
	;;#ASMEND
	v_min_f32_e32 v26, v27, v13
	v_max_f32_e32 v27, v27, v13
	v_mov_b32_e32 v13, v31
.LBB380_122:
	s_or_b32 exec_lo, exec_lo, s1
	s_delay_alu instid0(VALU_DEP_1) | instskip(NEXT) | instid1(VALU_DEP_1)
	v_cmp_u_f16_e64 s0, v30, v30
	v_cndmask_b32_e64 v26, v26, v13, s0
	s_waitcnt lgkmcnt(0)
	v_cndmask_b32_e64 v29, v27, v13, s0
	s_delay_alu instid0(VALU_DEP_2) | instskip(NEXT) | instid1(VALU_DEP_2)
	v_cndmask_b32_e64 v27, v26, v14, s23
	v_cndmask_b32_e64 v26, v29, v14, s23
	v_mov_b32_e32 v14, v2
	s_delay_alu instid0(VALU_DEP_3) | instskip(NEXT) | instid1(VALU_DEP_3)
	v_cmp_class_f32_e64 s1, v27, 0x1f8
	v_cmp_neq_f32_e64 s0, v27, v26
	s_delay_alu instid0(VALU_DEP_1) | instskip(NEXT) | instid1(SALU_CYCLE_1)
	s_or_b32 s0, s0, s1
	s_and_saveexec_b32 s1, s0
	s_cbranch_execz .LBB380_124
; %bb.123:
	v_sub_f32_e32 v13, v27, v26
	s_delay_alu instid0(VALU_DEP_1) | instskip(NEXT) | instid1(VALU_DEP_1)
	v_mul_f32_e32 v14, 0x3fb8aa3b, v13
	v_fma_f32 v27, 0x3fb8aa3b, v13, -v14
	v_rndne_f32_e32 v29, v14
	s_delay_alu instid0(VALU_DEP_1) | instskip(SKIP_1) | instid1(VALU_DEP_2)
	v_dual_sub_f32 v14, v14, v29 :: v_dual_fmamk_f32 v27, v13, 0x32a5705f, v27
	v_cmp_ngt_f32_e64 s0, 0xc2ce8ed0, v13
	v_add_f32_e32 v14, v14, v27
	v_cvt_i32_f32_e32 v27, v29
	s_delay_alu instid0(VALU_DEP_2) | instskip(SKIP_2) | instid1(VALU_DEP_1)
	v_exp_f32_e32 v14, v14
	s_waitcnt_depctr 0xfff
	v_ldexp_f32 v14, v14, v27
	v_cndmask_b32_e64 v14, 0, v14, s0
	v_cmp_nlt_f32_e64 s0, 0x42b17218, v13
	s_delay_alu instid0(VALU_DEP_1) | instskip(NEXT) | instid1(VALU_DEP_1)
	v_cndmask_b32_e64 v27, 0x7f800000, v14, s0
	v_add_f32_e32 v29, 1.0, v27
	v_cmp_gt_f32_e64 s23, 0x33800000, |v27|
	s_delay_alu instid0(VALU_DEP_2) | instskip(NEXT) | instid1(VALU_DEP_1)
	v_cvt_f64_f32_e32 v[13:14], v29
	v_frexp_exp_i32_f64_e32 v13, v[13:14]
	v_frexp_mant_f32_e32 v14, v29
	s_delay_alu instid0(VALU_DEP_1) | instskip(SKIP_1) | instid1(VALU_DEP_1)
	v_cmp_gt_f32_e64 s0, 0x3f2aaaab, v14
	v_add_f32_e32 v14, -1.0, v29
	v_dual_sub_f32 v31, v14, v29 :: v_dual_sub_f32 v14, v27, v14
	s_delay_alu instid0(VALU_DEP_3) | instskip(SKIP_1) | instid1(VALU_DEP_1)
	v_subrev_co_ci_u32_e64 v13, s0, 0, v13, s0
	s_mov_b32 s0, 0x3e9b6dac
	v_sub_nc_u32_e32 v30, 0, v13
	v_cvt_f32_i32_e32 v13, v13
	s_delay_alu instid0(VALU_DEP_2) | instskip(NEXT) | instid1(VALU_DEP_1)
	v_ldexp_f32 v29, v29, v30
	v_dual_add_f32 v31, 1.0, v31 :: v_dual_add_f32 v32, 1.0, v29
	s_delay_alu instid0(VALU_DEP_1) | instskip(NEXT) | instid1(VALU_DEP_1)
	v_dual_add_f32 v14, v14, v31 :: v_dual_add_f32 v31, -1.0, v32
	v_ldexp_f32 v14, v14, v30
	s_delay_alu instid0(VALU_DEP_2) | instskip(NEXT) | instid1(VALU_DEP_1)
	v_dual_add_f32 v30, -1.0, v29 :: v_dual_sub_f32 v31, v29, v31
	v_add_f32_e32 v33, 1.0, v30
	s_delay_alu instid0(VALU_DEP_2) | instskip(NEXT) | instid1(VALU_DEP_2)
	v_add_f32_e32 v31, v14, v31
	v_sub_f32_e32 v29, v29, v33
	s_delay_alu instid0(VALU_DEP_1) | instskip(NEXT) | instid1(VALU_DEP_1)
	v_dual_add_f32 v33, v32, v31 :: v_dual_add_f32 v14, v14, v29
	v_rcp_f32_e32 v29, v33
	v_sub_f32_e32 v32, v32, v33
	s_delay_alu instid0(VALU_DEP_1) | instskip(NEXT) | instid1(VALU_DEP_1)
	v_dual_add_f32 v34, v30, v14 :: v_dual_add_f32 v31, v31, v32
	v_sub_f32_e32 v30, v30, v34
	s_waitcnt_depctr 0xfff
	v_mul_f32_e32 v35, v34, v29
	v_add_f32_e32 v14, v14, v30
	s_delay_alu instid0(VALU_DEP_2) | instskip(NEXT) | instid1(VALU_DEP_1)
	v_mul_f32_e32 v36, v33, v35
	v_fma_f32 v32, v35, v33, -v36
	s_delay_alu instid0(VALU_DEP_1) | instskip(NEXT) | instid1(VALU_DEP_1)
	v_fmac_f32_e32 v32, v35, v31
	v_add_f32_e32 v37, v36, v32
	s_delay_alu instid0(VALU_DEP_1) | instskip(SKIP_1) | instid1(VALU_DEP_2)
	v_sub_f32_e32 v38, v34, v37
	v_sub_f32_e32 v30, v37, v36
	v_sub_f32_e32 v34, v34, v38
	s_delay_alu instid0(VALU_DEP_2) | instskip(NEXT) | instid1(VALU_DEP_2)
	v_sub_f32_e32 v30, v30, v32
	v_sub_f32_e32 v34, v34, v37
	s_delay_alu instid0(VALU_DEP_1) | instskip(NEXT) | instid1(VALU_DEP_1)
	v_add_f32_e32 v14, v14, v34
	v_add_f32_e32 v14, v30, v14
	s_delay_alu instid0(VALU_DEP_1) | instskip(NEXT) | instid1(VALU_DEP_1)
	v_add_f32_e32 v30, v38, v14
	v_mul_f32_e32 v32, v29, v30
	s_delay_alu instid0(VALU_DEP_1) | instskip(NEXT) | instid1(VALU_DEP_1)
	v_mul_f32_e32 v34, v33, v32
	v_fma_f32 v33, v32, v33, -v34
	s_delay_alu instid0(VALU_DEP_1) | instskip(SKIP_1) | instid1(VALU_DEP_2)
	v_fmac_f32_e32 v33, v32, v31
	v_sub_f32_e32 v37, v38, v30
	v_add_f32_e32 v31, v34, v33
	s_delay_alu instid0(VALU_DEP_2) | instskip(NEXT) | instid1(VALU_DEP_2)
	v_add_f32_e32 v14, v14, v37
	v_sub_f32_e32 v36, v30, v31
	v_sub_f32_e32 v34, v31, v34
	s_delay_alu instid0(VALU_DEP_2) | instskip(NEXT) | instid1(VALU_DEP_1)
	v_sub_f32_e32 v30, v30, v36
	v_sub_f32_e32 v30, v30, v31
	s_delay_alu instid0(VALU_DEP_3) | instskip(NEXT) | instid1(VALU_DEP_2)
	v_sub_f32_e32 v31, v34, v33
	v_add_f32_e32 v14, v14, v30
	v_add_f32_e32 v30, v35, v32
	s_delay_alu instid0(VALU_DEP_1) | instskip(NEXT) | instid1(VALU_DEP_1)
	v_dual_add_f32 v14, v31, v14 :: v_dual_sub_f32 v31, v30, v35
	v_add_f32_e32 v14, v36, v14
	s_delay_alu instid0(VALU_DEP_1) | instskip(NEXT) | instid1(VALU_DEP_1)
	v_dual_sub_f32 v31, v32, v31 :: v_dual_mul_f32 v14, v29, v14
	v_add_f32_e32 v14, v31, v14
	s_delay_alu instid0(VALU_DEP_1) | instskip(NEXT) | instid1(VALU_DEP_1)
	v_add_f32_e32 v29, v30, v14
	v_mul_f32_e32 v31, v29, v29
	s_delay_alu instid0(VALU_DEP_1) | instskip(SKIP_2) | instid1(VALU_DEP_3)
	v_fmaak_f32 v32, s0, v31, 0x3ecc95a3
	v_mul_f32_e32 v33, v29, v31
	v_cmp_eq_f32_e64 s0, 0x7f800000, v27
	v_fmaak_f32 v31, v31, v32, 0x3f2aaada
	v_ldexp_f32 v32, v29, 1
	v_sub_f32_e32 v29, v29, v30
	s_delay_alu instid0(VALU_DEP_4) | instskip(NEXT) | instid1(VALU_DEP_3)
	s_or_b32 s0, s0, s23
	v_mul_f32_e32 v31, v33, v31
	v_mul_f32_e32 v33, 0x3f317218, v13
	s_delay_alu instid0(VALU_DEP_3) | instskip(NEXT) | instid1(VALU_DEP_3)
	v_sub_f32_e32 v14, v14, v29
	v_add_f32_e32 v30, v32, v31
	s_delay_alu instid0(VALU_DEP_2) | instskip(NEXT) | instid1(VALU_DEP_2)
	v_ldexp_f32 v14, v14, 1
	v_sub_f32_e32 v29, v30, v32
	v_fma_f32 v32, 0x3f317218, v13, -v33
	s_delay_alu instid0(VALU_DEP_2) | instskip(NEXT) | instid1(VALU_DEP_1)
	v_sub_f32_e32 v29, v31, v29
	v_dual_fmamk_f32 v13, v13, 0xb102e308, v32 :: v_dual_add_f32 v14, v14, v29
	s_delay_alu instid0(VALU_DEP_1) | instskip(NEXT) | instid1(VALU_DEP_2)
	v_add_f32_e32 v29, v33, v13
	v_add_f32_e32 v31, v30, v14
	s_delay_alu instid0(VALU_DEP_2) | instskip(NEXT) | instid1(VALU_DEP_2)
	v_sub_f32_e32 v33, v29, v33
	v_add_f32_e32 v32, v29, v31
	s_delay_alu instid0(VALU_DEP_2) | instskip(NEXT) | instid1(VALU_DEP_2)
	v_sub_f32_e32 v13, v13, v33
	v_sub_f32_e32 v34, v32, v29
	;; [unrolled: 1-line block ×3, first 2 shown]
	s_delay_alu instid0(VALU_DEP_2) | instskip(NEXT) | instid1(VALU_DEP_2)
	v_sub_f32_e32 v35, v32, v34
	v_sub_f32_e32 v14, v14, v30
	s_delay_alu instid0(VALU_DEP_2) | instskip(NEXT) | instid1(VALU_DEP_2)
	v_dual_sub_f32 v30, v31, v34 :: v_dual_sub_f32 v29, v29, v35
	v_add_f32_e32 v31, v13, v14
	s_delay_alu instid0(VALU_DEP_2) | instskip(NEXT) | instid1(VALU_DEP_2)
	v_add_f32_e32 v29, v30, v29
	v_sub_f32_e32 v30, v31, v13
	s_delay_alu instid0(VALU_DEP_2) | instskip(NEXT) | instid1(VALU_DEP_2)
	v_add_f32_e32 v29, v31, v29
	v_sub_f32_e32 v31, v31, v30
	s_delay_alu instid0(VALU_DEP_2) | instskip(NEXT) | instid1(VALU_DEP_2)
	v_dual_sub_f32 v14, v14, v30 :: v_dual_add_f32 v33, v32, v29
	v_sub_f32_e32 v13, v13, v31
	s_delay_alu instid0(VALU_DEP_1) | instskip(NEXT) | instid1(VALU_DEP_1)
	v_dual_sub_f32 v30, v33, v32 :: v_dual_add_f32 v13, v14, v13
	v_sub_f32_e32 v14, v29, v30
	s_delay_alu instid0(VALU_DEP_1) | instskip(NEXT) | instid1(VALU_DEP_1)
	v_add_f32_e32 v13, v13, v14
	v_add_f32_e32 v13, v33, v13
	s_delay_alu instid0(VALU_DEP_1) | instskip(NEXT) | instid1(VALU_DEP_1)
	v_cndmask_b32_e64 v13, v13, v27, s0
	v_add_f32_e32 v13, v26, v13
	s_delay_alu instid0(VALU_DEP_1) | instskip(NEXT) | instid1(VALU_DEP_1)
	v_cvt_f16_f32_e32 v30, v13
	v_cvt_f32_f16_e32 v13, v30
	v_mov_b32_e32 v14, v30
.LBB380_124:
	s_or_b32 exec_lo, exec_lo, s1
	s_delay_alu instid0(VALU_DEP_2) | instskip(SKIP_1) | instid1(VALU_DEP_2)
	v_dual_max_f32 v26, v15, v15 :: v_dual_max_f32 v27, v13, v13
	v_cmp_u_f16_e64 s0, v30, v30
	v_min_f32_e32 v29, v27, v26
	v_max_f32_e32 v26, v27, v26
	s_delay_alu instid0(VALU_DEP_2) | instskip(NEXT) | instid1(VALU_DEP_2)
	v_cndmask_b32_e64 v27, v29, v13, s0
	v_cndmask_b32_e64 v26, v26, v13, s0
	s_delay_alu instid0(VALU_DEP_2) | instskip(NEXT) | instid1(VALU_DEP_2)
	v_cndmask_b32_e64 v27, v27, v15, s24
	v_cndmask_b32_e64 v26, v26, v15, s24
	v_mov_b32_e32 v15, v14
	s_delay_alu instid0(VALU_DEP_3) | instskip(NEXT) | instid1(VALU_DEP_3)
	v_cmp_class_f32_e64 s1, v27, 0x1f8
	v_cmp_neq_f32_e64 s0, v27, v26
	s_delay_alu instid0(VALU_DEP_1) | instskip(NEXT) | instid1(SALU_CYCLE_1)
	s_or_b32 s0, s0, s1
	s_and_saveexec_b32 s1, s0
	s_cbranch_execz .LBB380_126
; %bb.125:
	v_sub_f32_e32 v13, v27, v26
	s_delay_alu instid0(VALU_DEP_1) | instskip(SKIP_1) | instid1(VALU_DEP_2)
	v_mul_f32_e32 v15, 0x3fb8aa3b, v13
	v_cmp_ngt_f32_e64 s0, 0xc2ce8ed0, v13
	v_fma_f32 v27, 0x3fb8aa3b, v13, -v15
	v_rndne_f32_e32 v29, v15
	s_delay_alu instid0(VALU_DEP_2) | instskip(NEXT) | instid1(VALU_DEP_2)
	v_fmamk_f32 v27, v13, 0x32a5705f, v27
	v_sub_f32_e32 v15, v15, v29
	s_delay_alu instid0(VALU_DEP_1) | instskip(SKIP_1) | instid1(VALU_DEP_2)
	v_add_f32_e32 v15, v15, v27
	v_cvt_i32_f32_e32 v27, v29
	v_exp_f32_e32 v15, v15
	s_waitcnt_depctr 0xfff
	v_ldexp_f32 v15, v15, v27
	s_delay_alu instid0(VALU_DEP_1) | instskip(SKIP_1) | instid1(VALU_DEP_1)
	v_cndmask_b32_e64 v15, 0, v15, s0
	v_cmp_nlt_f32_e64 s0, 0x42b17218, v13
	v_cndmask_b32_e64 v13, 0x7f800000, v15, s0
	s_delay_alu instid0(VALU_DEP_1) | instskip(SKIP_1) | instid1(VALU_DEP_2)
	v_add_f32_e32 v15, 1.0, v13
	v_cmp_gt_f32_e64 s23, 0x33800000, |v13|
	v_cvt_f64_f32_e32 v[29:30], v15
	s_delay_alu instid0(VALU_DEP_1) | instskip(SKIP_1) | instid1(VALU_DEP_1)
	v_frexp_exp_i32_f64_e32 v27, v[29:30]
	v_frexp_mant_f32_e32 v29, v15
	v_cmp_gt_f32_e64 s0, 0x3f2aaaab, v29
	v_add_f32_e32 v29, -1.0, v15
	s_delay_alu instid0(VALU_DEP_1) | instskip(SKIP_1) | instid1(VALU_DEP_2)
	v_sub_f32_e32 v31, v29, v15
	v_sub_f32_e32 v29, v13, v29
	v_add_f32_e32 v31, 1.0, v31
	s_delay_alu instid0(VALU_DEP_1) | instskip(SKIP_2) | instid1(VALU_DEP_1)
	v_add_f32_e32 v29, v29, v31
	v_subrev_co_ci_u32_e64 v27, s0, 0, v27, s0
	s_mov_b32 s0, 0x3e9b6dac
	v_sub_nc_u32_e32 v30, 0, v27
	v_cvt_f32_i32_e32 v27, v27
	s_delay_alu instid0(VALU_DEP_2) | instskip(SKIP_1) | instid1(VALU_DEP_2)
	v_ldexp_f32 v15, v15, v30
	v_ldexp_f32 v29, v29, v30
	v_add_f32_e32 v32, 1.0, v15
	s_delay_alu instid0(VALU_DEP_1) | instskip(NEXT) | instid1(VALU_DEP_1)
	v_dual_add_f32 v30, -1.0, v15 :: v_dual_add_f32 v31, -1.0, v32
	v_add_f32_e32 v33, 1.0, v30
	s_delay_alu instid0(VALU_DEP_2) | instskip(NEXT) | instid1(VALU_DEP_2)
	v_sub_f32_e32 v31, v15, v31
	v_sub_f32_e32 v15, v15, v33
	s_delay_alu instid0(VALU_DEP_2) | instskip(NEXT) | instid1(VALU_DEP_2)
	v_add_f32_e32 v31, v29, v31
	v_add_f32_e32 v15, v29, v15
	s_delay_alu instid0(VALU_DEP_2) | instskip(NEXT) | instid1(VALU_DEP_2)
	v_add_f32_e32 v33, v32, v31
	v_add_f32_e32 v34, v30, v15
	s_delay_alu instid0(VALU_DEP_2) | instskip(SKIP_1) | instid1(VALU_DEP_1)
	v_rcp_f32_e32 v29, v33
	v_sub_f32_e32 v32, v32, v33
	v_dual_sub_f32 v30, v30, v34 :: v_dual_add_f32 v31, v31, v32
	s_delay_alu instid0(VALU_DEP_1) | instskip(SKIP_2) | instid1(VALU_DEP_1)
	v_add_f32_e32 v15, v15, v30
	s_waitcnt_depctr 0xfff
	v_mul_f32_e32 v35, v34, v29
	v_mul_f32_e32 v36, v33, v35
	s_delay_alu instid0(VALU_DEP_1) | instskip(NEXT) | instid1(VALU_DEP_1)
	v_fma_f32 v32, v35, v33, -v36
	v_fmac_f32_e32 v32, v35, v31
	s_delay_alu instid0(VALU_DEP_1) | instskip(NEXT) | instid1(VALU_DEP_1)
	v_add_f32_e32 v37, v36, v32
	v_sub_f32_e32 v38, v34, v37
	v_sub_f32_e32 v30, v37, v36
	s_delay_alu instid0(VALU_DEP_2) | instskip(NEXT) | instid1(VALU_DEP_2)
	v_sub_f32_e32 v34, v34, v38
	v_sub_f32_e32 v30, v30, v32
	s_delay_alu instid0(VALU_DEP_2) | instskip(NEXT) | instid1(VALU_DEP_1)
	v_sub_f32_e32 v34, v34, v37
	v_add_f32_e32 v15, v15, v34
	s_delay_alu instid0(VALU_DEP_1) | instskip(NEXT) | instid1(VALU_DEP_1)
	v_add_f32_e32 v15, v30, v15
	v_add_f32_e32 v30, v38, v15
	s_delay_alu instid0(VALU_DEP_1) | instskip(NEXT) | instid1(VALU_DEP_1)
	v_mul_f32_e32 v32, v29, v30
	v_dual_sub_f32 v37, v38, v30 :: v_dual_mul_f32 v34, v33, v32
	s_delay_alu instid0(VALU_DEP_1) | instskip(NEXT) | instid1(VALU_DEP_2)
	v_add_f32_e32 v15, v15, v37
	v_fma_f32 v33, v32, v33, -v34
	s_delay_alu instid0(VALU_DEP_1) | instskip(NEXT) | instid1(VALU_DEP_1)
	v_fmac_f32_e32 v33, v32, v31
	v_add_f32_e32 v31, v34, v33
	s_delay_alu instid0(VALU_DEP_1) | instskip(SKIP_1) | instid1(VALU_DEP_2)
	v_sub_f32_e32 v36, v30, v31
	v_sub_f32_e32 v34, v31, v34
	;; [unrolled: 1-line block ×3, first 2 shown]
	s_delay_alu instid0(VALU_DEP_1) | instskip(NEXT) | instid1(VALU_DEP_3)
	v_sub_f32_e32 v30, v30, v31
	v_sub_f32_e32 v31, v34, v33
	s_delay_alu instid0(VALU_DEP_2) | instskip(SKIP_1) | instid1(VALU_DEP_2)
	v_add_f32_e32 v15, v15, v30
	v_add_f32_e32 v30, v35, v32
	;; [unrolled: 1-line block ×3, first 2 shown]
	s_delay_alu instid0(VALU_DEP_2) | instskip(NEXT) | instid1(VALU_DEP_2)
	v_sub_f32_e32 v31, v30, v35
	v_add_f32_e32 v15, v36, v15
	s_delay_alu instid0(VALU_DEP_2) | instskip(NEXT) | instid1(VALU_DEP_2)
	v_sub_f32_e32 v31, v32, v31
	v_mul_f32_e32 v15, v29, v15
	s_delay_alu instid0(VALU_DEP_1) | instskip(NEXT) | instid1(VALU_DEP_1)
	v_add_f32_e32 v15, v31, v15
	v_add_f32_e32 v29, v30, v15
	s_delay_alu instid0(VALU_DEP_1) | instskip(NEXT) | instid1(VALU_DEP_1)
	v_mul_f32_e32 v31, v29, v29
	v_fmaak_f32 v32, s0, v31, 0x3ecc95a3
	v_mul_f32_e32 v33, v29, v31
	v_cmp_eq_f32_e64 s0, 0x7f800000, v13
	s_delay_alu instid0(VALU_DEP_3) | instskip(SKIP_2) | instid1(VALU_DEP_4)
	v_fmaak_f32 v31, v31, v32, 0x3f2aaada
	v_ldexp_f32 v32, v29, 1
	v_sub_f32_e32 v29, v29, v30
	s_or_b32 s0, s0, s23
	s_delay_alu instid0(VALU_DEP_3) | instskip(SKIP_1) | instid1(VALU_DEP_2)
	v_mul_f32_e32 v31, v33, v31
	v_mul_f32_e32 v33, 0x3f317218, v27
	v_dual_sub_f32 v15, v15, v29 :: v_dual_add_f32 v30, v32, v31
	s_delay_alu instid0(VALU_DEP_1) | instskip(NEXT) | instid1(VALU_DEP_2)
	v_ldexp_f32 v15, v15, 1
	v_sub_f32_e32 v29, v30, v32
	s_delay_alu instid0(VALU_DEP_4) | instskip(NEXT) | instid1(VALU_DEP_2)
	v_fma_f32 v32, 0x3f317218, v27, -v33
	v_sub_f32_e32 v29, v31, v29
	s_delay_alu instid0(VALU_DEP_2) | instskip(NEXT) | instid1(VALU_DEP_2)
	v_fmamk_f32 v27, v27, 0xb102e308, v32
	v_add_f32_e32 v15, v15, v29
	s_delay_alu instid0(VALU_DEP_2) | instskip(NEXT) | instid1(VALU_DEP_2)
	v_add_f32_e32 v29, v33, v27
	v_add_f32_e32 v31, v30, v15
	s_delay_alu instid0(VALU_DEP_2) | instskip(NEXT) | instid1(VALU_DEP_2)
	v_sub_f32_e32 v33, v29, v33
	v_add_f32_e32 v32, v29, v31
	v_sub_f32_e32 v30, v31, v30
	s_delay_alu instid0(VALU_DEP_3) | instskip(NEXT) | instid1(VALU_DEP_2)
	v_sub_f32_e32 v27, v27, v33
	v_dual_sub_f32 v34, v32, v29 :: v_dual_sub_f32 v15, v15, v30
	s_delay_alu instid0(VALU_DEP_1) | instskip(SKIP_1) | instid1(VALU_DEP_3)
	v_sub_f32_e32 v35, v32, v34
	v_sub_f32_e32 v30, v31, v34
	v_add_f32_e32 v31, v27, v15
	s_delay_alu instid0(VALU_DEP_3) | instskip(NEXT) | instid1(VALU_DEP_1)
	v_sub_f32_e32 v29, v29, v35
	v_dual_add_f32 v29, v30, v29 :: v_dual_sub_f32 v30, v31, v27
	s_delay_alu instid0(VALU_DEP_1) | instskip(NEXT) | instid1(VALU_DEP_2)
	v_add_f32_e32 v29, v31, v29
	v_sub_f32_e32 v31, v31, v30
	v_sub_f32_e32 v15, v15, v30
	s_delay_alu instid0(VALU_DEP_3) | instskip(NEXT) | instid1(VALU_DEP_1)
	v_add_f32_e32 v33, v32, v29
	v_dual_sub_f32 v27, v27, v31 :: v_dual_sub_f32 v30, v33, v32
	s_delay_alu instid0(VALU_DEP_1) | instskip(NEXT) | instid1(VALU_DEP_2)
	v_add_f32_e32 v15, v15, v27
	v_sub_f32_e32 v27, v29, v30
	s_delay_alu instid0(VALU_DEP_1) | instskip(NEXT) | instid1(VALU_DEP_1)
	v_add_f32_e32 v15, v15, v27
	v_add_f32_e32 v15, v33, v15
	s_delay_alu instid0(VALU_DEP_1) | instskip(NEXT) | instid1(VALU_DEP_1)
	v_cndmask_b32_e64 v13, v15, v13, s0
	v_add_f32_e32 v13, v26, v13
	s_delay_alu instid0(VALU_DEP_1) | instskip(NEXT) | instid1(VALU_DEP_1)
	v_cvt_f16_f32_e32 v30, v13
	v_cvt_f32_f16_e32 v13, v30
	v_mov_b32_e32 v15, v30
.LBB380_126:
	s_or_b32 exec_lo, exec_lo, s1
	s_delay_alu instid0(VALU_DEP_2) | instskip(SKIP_1) | instid1(VALU_DEP_2)
	v_dual_max_f32 v26, v16, v16 :: v_dual_max_f32 v27, v13, v13
	v_cmp_u_f16_e64 s0, v30, v30
	v_min_f32_e32 v29, v27, v26
	v_max_f32_e32 v26, v27, v26
	s_delay_alu instid0(VALU_DEP_2) | instskip(NEXT) | instid1(VALU_DEP_2)
	v_cndmask_b32_e64 v27, v29, v13, s0
	v_cndmask_b32_e64 v26, v26, v13, s0
	s_delay_alu instid0(VALU_DEP_2) | instskip(NEXT) | instid1(VALU_DEP_2)
	v_cndmask_b32_e64 v27, v27, v16, s25
	v_cndmask_b32_e64 v26, v26, v16, s25
	v_mov_b32_e32 v16, v15
	s_delay_alu instid0(VALU_DEP_3) | instskip(NEXT) | instid1(VALU_DEP_3)
	v_cmp_class_f32_e64 s1, v27, 0x1f8
	v_cmp_neq_f32_e64 s0, v27, v26
	s_delay_alu instid0(VALU_DEP_1) | instskip(NEXT) | instid1(SALU_CYCLE_1)
	s_or_b32 s0, s0, s1
	s_and_saveexec_b32 s1, s0
	s_cbranch_execz .LBB380_128
; %bb.127:
	v_sub_f32_e32 v13, v27, v26
	s_delay_alu instid0(VALU_DEP_1) | instskip(NEXT) | instid1(VALU_DEP_1)
	v_mul_f32_e32 v16, 0x3fb8aa3b, v13
	v_fma_f32 v27, 0x3fb8aa3b, v13, -v16
	v_rndne_f32_e32 v29, v16
	s_delay_alu instid0(VALU_DEP_1) | instskip(SKIP_1) | instid1(VALU_DEP_2)
	v_dual_sub_f32 v16, v16, v29 :: v_dual_fmamk_f32 v27, v13, 0x32a5705f, v27
	v_cmp_ngt_f32_e64 s0, 0xc2ce8ed0, v13
	v_add_f32_e32 v16, v16, v27
	v_cvt_i32_f32_e32 v27, v29
	s_delay_alu instid0(VALU_DEP_2) | instskip(SKIP_2) | instid1(VALU_DEP_1)
	v_exp_f32_e32 v16, v16
	s_waitcnt_depctr 0xfff
	v_ldexp_f32 v16, v16, v27
	v_cndmask_b32_e64 v16, 0, v16, s0
	v_cmp_nlt_f32_e64 s0, 0x42b17218, v13
	s_delay_alu instid0(VALU_DEP_1) | instskip(NEXT) | instid1(VALU_DEP_1)
	v_cndmask_b32_e64 v13, 0x7f800000, v16, s0
	v_add_f32_e32 v16, 1.0, v13
	v_cmp_gt_f32_e64 s23, 0x33800000, |v13|
	s_delay_alu instid0(VALU_DEP_2) | instskip(NEXT) | instid1(VALU_DEP_1)
	v_cvt_f64_f32_e32 v[29:30], v16
	v_frexp_exp_i32_f64_e32 v27, v[29:30]
	v_frexp_mant_f32_e32 v29, v16
	s_delay_alu instid0(VALU_DEP_1) | instskip(SKIP_1) | instid1(VALU_DEP_1)
	v_cmp_gt_f32_e64 s0, 0x3f2aaaab, v29
	v_add_f32_e32 v29, -1.0, v16
	v_sub_f32_e32 v31, v29, v16
	v_sub_f32_e32 v29, v13, v29
	s_delay_alu instid0(VALU_DEP_2) | instskip(NEXT) | instid1(VALU_DEP_1)
	v_add_f32_e32 v31, 1.0, v31
	v_add_f32_e32 v29, v29, v31
	v_subrev_co_ci_u32_e64 v27, s0, 0, v27, s0
	s_mov_b32 s0, 0x3e9b6dac
	s_delay_alu instid0(VALU_DEP_1) | instskip(SKIP_1) | instid1(VALU_DEP_2)
	v_sub_nc_u32_e32 v30, 0, v27
	v_cvt_f32_i32_e32 v27, v27
	v_ldexp_f32 v16, v16, v30
	v_ldexp_f32 v29, v29, v30
	s_delay_alu instid0(VALU_DEP_2) | instskip(NEXT) | instid1(VALU_DEP_1)
	v_add_f32_e32 v32, 1.0, v16
	v_add_f32_e32 v31, -1.0, v32
	s_delay_alu instid0(VALU_DEP_1) | instskip(NEXT) | instid1(VALU_DEP_1)
	v_dual_add_f32 v30, -1.0, v16 :: v_dual_sub_f32 v31, v16, v31
	v_add_f32_e32 v33, 1.0, v30
	s_delay_alu instid0(VALU_DEP_1) | instskip(NEXT) | instid1(VALU_DEP_1)
	v_sub_f32_e32 v16, v16, v33
	v_add_f32_e32 v16, v29, v16
	s_delay_alu instid0(VALU_DEP_1) | instskip(NEXT) | instid1(VALU_DEP_1)
	v_dual_add_f32 v31, v29, v31 :: v_dual_add_f32 v34, v30, v16
	v_dual_add_f32 v33, v32, v31 :: v_dual_sub_f32 v30, v30, v34
	s_delay_alu instid0(VALU_DEP_1) | instskip(SKIP_1) | instid1(VALU_DEP_1)
	v_rcp_f32_e32 v29, v33
	v_sub_f32_e32 v32, v32, v33
	v_dual_add_f32 v16, v16, v30 :: v_dual_add_f32 v31, v31, v32
	s_waitcnt_depctr 0xfff
	v_mul_f32_e32 v35, v34, v29
	s_delay_alu instid0(VALU_DEP_1) | instskip(NEXT) | instid1(VALU_DEP_1)
	v_mul_f32_e32 v36, v33, v35
	v_fma_f32 v32, v35, v33, -v36
	s_delay_alu instid0(VALU_DEP_1) | instskip(NEXT) | instid1(VALU_DEP_1)
	v_fmac_f32_e32 v32, v35, v31
	v_add_f32_e32 v37, v36, v32
	s_delay_alu instid0(VALU_DEP_1) | instskip(NEXT) | instid1(VALU_DEP_1)
	v_sub_f32_e32 v38, v34, v37
	v_sub_f32_e32 v34, v34, v38
	;; [unrolled: 1-line block ×3, first 2 shown]
	s_delay_alu instid0(VALU_DEP_2) | instskip(NEXT) | instid1(VALU_DEP_2)
	v_sub_f32_e32 v34, v34, v37
	v_sub_f32_e32 v30, v30, v32
	s_delay_alu instid0(VALU_DEP_2) | instskip(NEXT) | instid1(VALU_DEP_1)
	v_add_f32_e32 v16, v16, v34
	v_add_f32_e32 v16, v30, v16
	s_delay_alu instid0(VALU_DEP_1) | instskip(NEXT) | instid1(VALU_DEP_1)
	v_add_f32_e32 v30, v38, v16
	v_mul_f32_e32 v32, v29, v30
	s_delay_alu instid0(VALU_DEP_1) | instskip(NEXT) | instid1(VALU_DEP_1)
	v_dual_sub_f32 v37, v38, v30 :: v_dual_mul_f32 v34, v33, v32
	v_add_f32_e32 v16, v16, v37
	s_delay_alu instid0(VALU_DEP_2) | instskip(NEXT) | instid1(VALU_DEP_1)
	v_fma_f32 v33, v32, v33, -v34
	v_fmac_f32_e32 v33, v32, v31
	s_delay_alu instid0(VALU_DEP_1) | instskip(NEXT) | instid1(VALU_DEP_1)
	v_add_f32_e32 v31, v34, v33
	v_sub_f32_e32 v36, v30, v31
	s_delay_alu instid0(VALU_DEP_1) | instskip(NEXT) | instid1(VALU_DEP_1)
	v_sub_f32_e32 v30, v30, v36
	v_sub_f32_e32 v30, v30, v31
	s_delay_alu instid0(VALU_DEP_1) | instskip(SKIP_2) | instid1(VALU_DEP_1)
	v_add_f32_e32 v16, v16, v30
	v_add_f32_e32 v30, v35, v32
	v_sub_f32_e32 v34, v31, v34
	v_sub_f32_e32 v31, v34, v33
	s_delay_alu instid0(VALU_DEP_1) | instskip(NEXT) | instid1(VALU_DEP_1)
	v_dual_add_f32 v16, v31, v16 :: v_dual_sub_f32 v31, v30, v35
	v_add_f32_e32 v16, v36, v16
	s_delay_alu instid0(VALU_DEP_1) | instskip(NEXT) | instid1(VALU_DEP_1)
	v_dual_sub_f32 v31, v32, v31 :: v_dual_mul_f32 v16, v29, v16
	v_add_f32_e32 v16, v31, v16
	s_delay_alu instid0(VALU_DEP_1) | instskip(NEXT) | instid1(VALU_DEP_1)
	v_add_f32_e32 v29, v30, v16
	v_mul_f32_e32 v31, v29, v29
	s_delay_alu instid0(VALU_DEP_1) | instskip(SKIP_2) | instid1(VALU_DEP_3)
	v_fmaak_f32 v32, s0, v31, 0x3ecc95a3
	v_mul_f32_e32 v33, v29, v31
	v_cmp_eq_f32_e64 s0, 0x7f800000, v13
	v_fmaak_f32 v31, v31, v32, 0x3f2aaada
	v_ldexp_f32 v32, v29, 1
	v_sub_f32_e32 v29, v29, v30
	s_delay_alu instid0(VALU_DEP_4) | instskip(NEXT) | instid1(VALU_DEP_3)
	s_or_b32 s0, s0, s23
	v_mul_f32_e32 v31, v33, v31
	s_delay_alu instid0(VALU_DEP_2) | instskip(NEXT) | instid1(VALU_DEP_2)
	v_dual_mul_f32 v33, 0x3f317218, v27 :: v_dual_sub_f32 v16, v16, v29
	v_add_f32_e32 v30, v32, v31
	s_delay_alu instid0(VALU_DEP_2) | instskip(NEXT) | instid1(VALU_DEP_2)
	v_ldexp_f32 v16, v16, 1
	v_sub_f32_e32 v29, v30, v32
	s_delay_alu instid0(VALU_DEP_4) | instskip(NEXT) | instid1(VALU_DEP_2)
	v_fma_f32 v32, 0x3f317218, v27, -v33
	v_sub_f32_e32 v29, v31, v29
	s_delay_alu instid0(VALU_DEP_1) | instskip(NEXT) | instid1(VALU_DEP_1)
	v_dual_fmamk_f32 v27, v27, 0xb102e308, v32 :: v_dual_add_f32 v16, v16, v29
	v_add_f32_e32 v29, v33, v27
	s_delay_alu instid0(VALU_DEP_1) | instskip(NEXT) | instid1(VALU_DEP_1)
	v_sub_f32_e32 v33, v29, v33
	v_sub_f32_e32 v27, v27, v33
	s_delay_alu instid0(VALU_DEP_4) | instskip(NEXT) | instid1(VALU_DEP_1)
	v_add_f32_e32 v31, v30, v16
	v_sub_f32_e32 v30, v31, v30
	s_delay_alu instid0(VALU_DEP_1) | instskip(SKIP_1) | instid1(VALU_DEP_1)
	v_sub_f32_e32 v16, v16, v30
	v_add_f32_e32 v32, v29, v31
	v_sub_f32_e32 v34, v32, v29
	s_delay_alu instid0(VALU_DEP_1) | instskip(NEXT) | instid1(VALU_DEP_4)
	v_sub_f32_e32 v30, v31, v34
	v_add_f32_e32 v31, v27, v16
	v_sub_f32_e32 v35, v32, v34
	s_delay_alu instid0(VALU_DEP_1) | instskip(NEXT) | instid1(VALU_DEP_1)
	v_sub_f32_e32 v29, v29, v35
	v_dual_add_f32 v29, v30, v29 :: v_dual_sub_f32 v30, v31, v27
	s_delay_alu instid0(VALU_DEP_1) | instskip(SKIP_1) | instid1(VALU_DEP_2)
	v_dual_add_f32 v29, v31, v29 :: v_dual_sub_f32 v16, v16, v30
	v_sub_f32_e32 v31, v31, v30
	v_add_f32_e32 v33, v32, v29
	s_delay_alu instid0(VALU_DEP_1) | instskip(NEXT) | instid1(VALU_DEP_1)
	v_dual_sub_f32 v27, v27, v31 :: v_dual_sub_f32 v30, v33, v32
	v_dual_add_f32 v16, v16, v27 :: v_dual_sub_f32 v27, v29, v30
	s_delay_alu instid0(VALU_DEP_1) | instskip(NEXT) | instid1(VALU_DEP_1)
	v_add_f32_e32 v16, v16, v27
	v_add_f32_e32 v16, v33, v16
	s_delay_alu instid0(VALU_DEP_1) | instskip(NEXT) | instid1(VALU_DEP_1)
	v_cndmask_b32_e64 v13, v16, v13, s0
	v_add_f32_e32 v13, v26, v13
	s_delay_alu instid0(VALU_DEP_1) | instskip(NEXT) | instid1(VALU_DEP_1)
	v_cvt_f16_f32_e32 v30, v13
	v_cvt_f32_f16_e32 v13, v30
	v_mov_b32_e32 v16, v30
.LBB380_128:
	s_or_b32 exec_lo, exec_lo, s1
	s_delay_alu instid0(VALU_DEP_2) | instskip(SKIP_1) | instid1(VALU_DEP_2)
	v_dual_max_f32 v26, v3, v3 :: v_dual_max_f32 v27, v13, v13
	v_cmp_u_f16_e64 s0, v30, v30
	v_min_f32_e32 v29, v27, v26
	v_max_f32_e32 v26, v27, v26
	s_delay_alu instid0(VALU_DEP_2) | instskip(NEXT) | instid1(VALU_DEP_2)
	v_cndmask_b32_e64 v27, v29, v13, s0
	v_cndmask_b32_e64 v26, v26, v13, s0
	s_delay_alu instid0(VALU_DEP_2) | instskip(NEXT) | instid1(VALU_DEP_2)
	v_cndmask_b32_e64 v27, v27, v3, s26
	v_cndmask_b32_e64 v26, v26, v3, s26
	v_mov_b32_e32 v3, v16
	s_delay_alu instid0(VALU_DEP_3) | instskip(NEXT) | instid1(VALU_DEP_3)
	v_cmp_class_f32_e64 s1, v27, 0x1f8
	v_cmp_neq_f32_e64 s0, v27, v26
	s_delay_alu instid0(VALU_DEP_1) | instskip(NEXT) | instid1(SALU_CYCLE_1)
	s_or_b32 s0, s0, s1
	s_and_saveexec_b32 s1, s0
	s_cbranch_execz .LBB380_130
; %bb.129:
	v_sub_f32_e32 v3, v27, v26
	s_delay_alu instid0(VALU_DEP_1) | instskip(SKIP_1) | instid1(VALU_DEP_2)
	v_mul_f32_e32 v13, 0x3fb8aa3b, v3
	v_cmp_ngt_f32_e64 s0, 0xc2ce8ed0, v3
	v_fma_f32 v27, 0x3fb8aa3b, v3, -v13
	v_rndne_f32_e32 v29, v13
	s_delay_alu instid0(VALU_DEP_2) | instskip(NEXT) | instid1(VALU_DEP_2)
	v_fmamk_f32 v27, v3, 0x32a5705f, v27
	v_sub_f32_e32 v13, v13, v29
	s_delay_alu instid0(VALU_DEP_1) | instskip(SKIP_1) | instid1(VALU_DEP_2)
	v_add_f32_e32 v13, v13, v27
	v_cvt_i32_f32_e32 v27, v29
	v_exp_f32_e32 v13, v13
	s_waitcnt_depctr 0xfff
	v_ldexp_f32 v13, v13, v27
	s_delay_alu instid0(VALU_DEP_1) | instskip(SKIP_1) | instid1(VALU_DEP_1)
	v_cndmask_b32_e64 v13, 0, v13, s0
	v_cmp_nlt_f32_e64 s0, 0x42b17218, v3
	v_cndmask_b32_e64 v3, 0x7f800000, v13, s0
	s_delay_alu instid0(VALU_DEP_1) | instskip(SKIP_1) | instid1(VALU_DEP_2)
	v_add_f32_e32 v13, 1.0, v3
	v_cmp_gt_f32_e64 s23, 0x33800000, |v3|
	v_cvt_f64_f32_e32 v[29:30], v13
	s_delay_alu instid0(VALU_DEP_1) | instskip(SKIP_1) | instid1(VALU_DEP_1)
	v_frexp_exp_i32_f64_e32 v27, v[29:30]
	v_frexp_mant_f32_e32 v29, v13
	v_cmp_gt_f32_e64 s0, 0x3f2aaaab, v29
	v_add_f32_e32 v29, -1.0, v13
	s_delay_alu instid0(VALU_DEP_1) | instskip(SKIP_1) | instid1(VALU_DEP_2)
	v_sub_f32_e32 v31, v29, v13
	v_sub_f32_e32 v29, v3, v29
	v_add_f32_e32 v31, 1.0, v31
	s_delay_alu instid0(VALU_DEP_1) | instskip(SKIP_2) | instid1(VALU_DEP_1)
	v_add_f32_e32 v29, v29, v31
	v_subrev_co_ci_u32_e64 v27, s0, 0, v27, s0
	s_mov_b32 s0, 0x3e9b6dac
	v_sub_nc_u32_e32 v30, 0, v27
	v_cvt_f32_i32_e32 v27, v27
	s_delay_alu instid0(VALU_DEP_2) | instskip(SKIP_1) | instid1(VALU_DEP_2)
	v_ldexp_f32 v13, v13, v30
	v_ldexp_f32 v29, v29, v30
	v_add_f32_e32 v32, 1.0, v13
	s_delay_alu instid0(VALU_DEP_1) | instskip(NEXT) | instid1(VALU_DEP_1)
	v_dual_add_f32 v30, -1.0, v13 :: v_dual_add_f32 v31, -1.0, v32
	v_add_f32_e32 v33, 1.0, v30
	s_delay_alu instid0(VALU_DEP_2) | instskip(NEXT) | instid1(VALU_DEP_2)
	v_sub_f32_e32 v31, v13, v31
	v_sub_f32_e32 v13, v13, v33
	s_delay_alu instid0(VALU_DEP_2) | instskip(NEXT) | instid1(VALU_DEP_2)
	v_add_f32_e32 v31, v29, v31
	v_add_f32_e32 v13, v29, v13
	s_delay_alu instid0(VALU_DEP_1) | instskip(NEXT) | instid1(VALU_DEP_1)
	v_dual_add_f32 v33, v32, v31 :: v_dual_add_f32 v34, v30, v13
	v_rcp_f32_e32 v29, v33
	v_sub_f32_e32 v32, v32, v33
	s_delay_alu instid0(VALU_DEP_1) | instskip(SKIP_3) | instid1(VALU_DEP_2)
	v_dual_sub_f32 v30, v30, v34 :: v_dual_add_f32 v31, v31, v32
	s_waitcnt_depctr 0xfff
	v_mul_f32_e32 v35, v34, v29
	v_add_f32_e32 v13, v13, v30
	v_mul_f32_e32 v36, v33, v35
	s_delay_alu instid0(VALU_DEP_1) | instskip(NEXT) | instid1(VALU_DEP_1)
	v_fma_f32 v32, v35, v33, -v36
	v_fmac_f32_e32 v32, v35, v31
	s_delay_alu instid0(VALU_DEP_1) | instskip(NEXT) | instid1(VALU_DEP_1)
	v_add_f32_e32 v37, v36, v32
	v_sub_f32_e32 v38, v34, v37
	v_sub_f32_e32 v30, v37, v36
	s_delay_alu instid0(VALU_DEP_2) | instskip(NEXT) | instid1(VALU_DEP_2)
	v_sub_f32_e32 v34, v34, v38
	v_sub_f32_e32 v30, v30, v32
	s_delay_alu instid0(VALU_DEP_2) | instskip(NEXT) | instid1(VALU_DEP_1)
	v_sub_f32_e32 v34, v34, v37
	v_add_f32_e32 v13, v13, v34
	s_delay_alu instid0(VALU_DEP_1) | instskip(NEXT) | instid1(VALU_DEP_1)
	v_add_f32_e32 v13, v30, v13
	v_add_f32_e32 v30, v38, v13
	s_delay_alu instid0(VALU_DEP_1) | instskip(NEXT) | instid1(VALU_DEP_1)
	v_mul_f32_e32 v32, v29, v30
	v_dual_sub_f32 v37, v38, v30 :: v_dual_mul_f32 v34, v33, v32
	s_delay_alu instid0(VALU_DEP_1) | instskip(NEXT) | instid1(VALU_DEP_2)
	v_add_f32_e32 v13, v13, v37
	v_fma_f32 v33, v32, v33, -v34
	s_delay_alu instid0(VALU_DEP_1) | instskip(NEXT) | instid1(VALU_DEP_1)
	v_fmac_f32_e32 v33, v32, v31
	v_add_f32_e32 v31, v34, v33
	s_delay_alu instid0(VALU_DEP_1) | instskip(SKIP_1) | instid1(VALU_DEP_2)
	v_sub_f32_e32 v36, v30, v31
	v_sub_f32_e32 v34, v31, v34
	;; [unrolled: 1-line block ×3, first 2 shown]
	s_delay_alu instid0(VALU_DEP_1) | instskip(NEXT) | instid1(VALU_DEP_3)
	v_sub_f32_e32 v30, v30, v31
	v_sub_f32_e32 v31, v34, v33
	s_delay_alu instid0(VALU_DEP_2) | instskip(NEXT) | instid1(VALU_DEP_1)
	v_dual_add_f32 v13, v13, v30 :: v_dual_add_f32 v30, v35, v32
	v_add_f32_e32 v13, v31, v13
	s_delay_alu instid0(VALU_DEP_2) | instskip(NEXT) | instid1(VALU_DEP_2)
	v_sub_f32_e32 v31, v30, v35
	v_add_f32_e32 v13, v36, v13
	s_delay_alu instid0(VALU_DEP_2) | instskip(NEXT) | instid1(VALU_DEP_2)
	v_sub_f32_e32 v31, v32, v31
	v_mul_f32_e32 v13, v29, v13
	s_delay_alu instid0(VALU_DEP_1) | instskip(NEXT) | instid1(VALU_DEP_1)
	v_add_f32_e32 v13, v31, v13
	v_add_f32_e32 v29, v30, v13
	s_delay_alu instid0(VALU_DEP_1) | instskip(NEXT) | instid1(VALU_DEP_1)
	v_mul_f32_e32 v31, v29, v29
	v_fmaak_f32 v32, s0, v31, 0x3ecc95a3
	v_mul_f32_e32 v33, v29, v31
	v_cmp_eq_f32_e64 s0, 0x7f800000, v3
	s_delay_alu instid0(VALU_DEP_3) | instskip(SKIP_2) | instid1(VALU_DEP_4)
	v_fmaak_f32 v31, v31, v32, 0x3f2aaada
	v_ldexp_f32 v32, v29, 1
	v_sub_f32_e32 v29, v29, v30
	s_or_b32 s0, s0, s23
	s_delay_alu instid0(VALU_DEP_3) | instskip(SKIP_1) | instid1(VALU_DEP_2)
	v_mul_f32_e32 v31, v33, v31
	v_mul_f32_e32 v33, 0x3f317218, v27
	v_dual_sub_f32 v13, v13, v29 :: v_dual_add_f32 v30, v32, v31
	s_delay_alu instid0(VALU_DEP_1) | instskip(NEXT) | instid1(VALU_DEP_2)
	v_ldexp_f32 v13, v13, 1
	v_sub_f32_e32 v29, v30, v32
	s_delay_alu instid0(VALU_DEP_4) | instskip(NEXT) | instid1(VALU_DEP_2)
	v_fma_f32 v32, 0x3f317218, v27, -v33
	v_sub_f32_e32 v29, v31, v29
	s_delay_alu instid0(VALU_DEP_2) | instskip(NEXT) | instid1(VALU_DEP_2)
	v_fmamk_f32 v27, v27, 0xb102e308, v32
	v_add_f32_e32 v13, v13, v29
	s_delay_alu instid0(VALU_DEP_2) | instskip(NEXT) | instid1(VALU_DEP_2)
	v_add_f32_e32 v29, v33, v27
	v_add_f32_e32 v31, v30, v13
	s_delay_alu instid0(VALU_DEP_2) | instskip(NEXT) | instid1(VALU_DEP_2)
	v_sub_f32_e32 v33, v29, v33
	v_add_f32_e32 v32, v29, v31
	v_sub_f32_e32 v30, v31, v30
	s_delay_alu instid0(VALU_DEP_3) | instskip(NEXT) | instid1(VALU_DEP_2)
	v_sub_f32_e32 v27, v27, v33
	v_dual_sub_f32 v34, v32, v29 :: v_dual_sub_f32 v13, v13, v30
	s_delay_alu instid0(VALU_DEP_1) | instskip(SKIP_1) | instid1(VALU_DEP_3)
	v_sub_f32_e32 v35, v32, v34
	v_sub_f32_e32 v30, v31, v34
	v_add_f32_e32 v31, v27, v13
	s_delay_alu instid0(VALU_DEP_3) | instskip(NEXT) | instid1(VALU_DEP_1)
	v_sub_f32_e32 v29, v29, v35
	v_dual_add_f32 v29, v30, v29 :: v_dual_sub_f32 v30, v31, v27
	s_delay_alu instid0(VALU_DEP_1) | instskip(NEXT) | instid1(VALU_DEP_2)
	v_add_f32_e32 v29, v31, v29
	v_sub_f32_e32 v31, v31, v30
	v_sub_f32_e32 v13, v13, v30
	s_delay_alu instid0(VALU_DEP_3) | instskip(NEXT) | instid1(VALU_DEP_1)
	v_add_f32_e32 v33, v32, v29
	v_dual_sub_f32 v27, v27, v31 :: v_dual_sub_f32 v30, v33, v32
	s_delay_alu instid0(VALU_DEP_1) | instskip(NEXT) | instid1(VALU_DEP_2)
	v_add_f32_e32 v13, v13, v27
	v_sub_f32_e32 v27, v29, v30
	s_delay_alu instid0(VALU_DEP_1) | instskip(NEXT) | instid1(VALU_DEP_1)
	v_add_f32_e32 v13, v13, v27
	v_add_f32_e32 v13, v33, v13
	s_delay_alu instid0(VALU_DEP_1) | instskip(NEXT) | instid1(VALU_DEP_1)
	v_cndmask_b32_e64 v3, v13, v3, s0
	v_add_f32_e32 v3, v26, v3
	s_delay_alu instid0(VALU_DEP_1) | instskip(NEXT) | instid1(VALU_DEP_1)
	v_cvt_f16_f32_e32 v30, v3
	v_cvt_f32_f16_e32 v13, v30
	v_mov_b32_e32 v3, v30
.LBB380_130:
	s_or_b32 exec_lo, exec_lo, s1
	v_max_f32_e32 v26, v17, v17
	s_delay_alu instid0(VALU_DEP_3) | instskip(SKIP_1) | instid1(VALU_DEP_2)
	v_max_f32_e32 v27, v13, v13
	v_cmp_u_f16_e64 s0, v30, v30
	v_min_f32_e32 v29, v27, v26
	v_max_f32_e32 v26, v27, v26
	s_delay_alu instid0(VALU_DEP_2) | instskip(NEXT) | instid1(VALU_DEP_2)
	v_cndmask_b32_e64 v27, v29, v13, s0
	v_cndmask_b32_e64 v26, v26, v13, s0
	s_delay_alu instid0(VALU_DEP_2) | instskip(NEXT) | instid1(VALU_DEP_2)
	v_cndmask_b32_e64 v27, v27, v17, s27
	v_cndmask_b32_e64 v26, v26, v17, s27
	v_mov_b32_e32 v17, v3
	s_delay_alu instid0(VALU_DEP_3) | instskip(NEXT) | instid1(VALU_DEP_3)
	v_cmp_class_f32_e64 s1, v27, 0x1f8
	v_cmp_neq_f32_e64 s0, v27, v26
	s_delay_alu instid0(VALU_DEP_1) | instskip(NEXT) | instid1(SALU_CYCLE_1)
	s_or_b32 s0, s0, s1
	s_and_saveexec_b32 s1, s0
	s_cbranch_execz .LBB380_132
; %bb.131:
	v_sub_f32_e32 v13, v27, v26
	s_delay_alu instid0(VALU_DEP_1) | instskip(SKIP_1) | instid1(VALU_DEP_2)
	v_mul_f32_e32 v17, 0x3fb8aa3b, v13
	v_cmp_ngt_f32_e64 s0, 0xc2ce8ed0, v13
	v_fma_f32 v27, 0x3fb8aa3b, v13, -v17
	v_rndne_f32_e32 v29, v17
	s_delay_alu instid0(VALU_DEP_2) | instskip(NEXT) | instid1(VALU_DEP_2)
	v_fmamk_f32 v27, v13, 0x32a5705f, v27
	v_sub_f32_e32 v17, v17, v29
	s_delay_alu instid0(VALU_DEP_1) | instskip(SKIP_1) | instid1(VALU_DEP_2)
	v_add_f32_e32 v17, v17, v27
	v_cvt_i32_f32_e32 v27, v29
	v_exp_f32_e32 v17, v17
	s_waitcnt_depctr 0xfff
	v_ldexp_f32 v17, v17, v27
	s_delay_alu instid0(VALU_DEP_1) | instskip(SKIP_1) | instid1(VALU_DEP_1)
	v_cndmask_b32_e64 v17, 0, v17, s0
	v_cmp_nlt_f32_e64 s0, 0x42b17218, v13
	v_cndmask_b32_e64 v13, 0x7f800000, v17, s0
	s_delay_alu instid0(VALU_DEP_1) | instskip(SKIP_1) | instid1(VALU_DEP_2)
	v_add_f32_e32 v17, 1.0, v13
	v_cmp_gt_f32_e64 s23, 0x33800000, |v13|
	v_cvt_f64_f32_e32 v[29:30], v17
	s_delay_alu instid0(VALU_DEP_1) | instskip(SKIP_1) | instid1(VALU_DEP_1)
	v_frexp_exp_i32_f64_e32 v27, v[29:30]
	v_frexp_mant_f32_e32 v29, v17
	v_cmp_gt_f32_e64 s0, 0x3f2aaaab, v29
	v_add_f32_e32 v29, -1.0, v17
	s_delay_alu instid0(VALU_DEP_1) | instskip(SKIP_1) | instid1(VALU_DEP_2)
	v_sub_f32_e32 v31, v29, v17
	v_sub_f32_e32 v29, v13, v29
	v_add_f32_e32 v31, 1.0, v31
	s_delay_alu instid0(VALU_DEP_1) | instskip(SKIP_2) | instid1(VALU_DEP_1)
	v_add_f32_e32 v29, v29, v31
	v_subrev_co_ci_u32_e64 v27, s0, 0, v27, s0
	s_mov_b32 s0, 0x3e9b6dac
	v_sub_nc_u32_e32 v30, 0, v27
	v_cvt_f32_i32_e32 v27, v27
	s_delay_alu instid0(VALU_DEP_2) | instskip(SKIP_1) | instid1(VALU_DEP_2)
	v_ldexp_f32 v17, v17, v30
	v_ldexp_f32 v29, v29, v30
	v_add_f32_e32 v32, 1.0, v17
	s_delay_alu instid0(VALU_DEP_1) | instskip(NEXT) | instid1(VALU_DEP_1)
	v_dual_add_f32 v30, -1.0, v17 :: v_dual_add_f32 v31, -1.0, v32
	v_add_f32_e32 v33, 1.0, v30
	s_delay_alu instid0(VALU_DEP_2) | instskip(NEXT) | instid1(VALU_DEP_2)
	v_sub_f32_e32 v31, v17, v31
	v_sub_f32_e32 v17, v17, v33
	s_delay_alu instid0(VALU_DEP_2) | instskip(NEXT) | instid1(VALU_DEP_2)
	v_add_f32_e32 v31, v29, v31
	v_add_f32_e32 v17, v29, v17
	s_delay_alu instid0(VALU_DEP_1) | instskip(NEXT) | instid1(VALU_DEP_1)
	v_dual_add_f32 v33, v32, v31 :: v_dual_add_f32 v34, v30, v17
	v_rcp_f32_e32 v29, v33
	v_sub_f32_e32 v32, v32, v33
	s_delay_alu instid0(VALU_DEP_1) | instskip(SKIP_3) | instid1(VALU_DEP_2)
	v_dual_sub_f32 v30, v30, v34 :: v_dual_add_f32 v31, v31, v32
	s_waitcnt_depctr 0xfff
	v_mul_f32_e32 v35, v34, v29
	v_add_f32_e32 v17, v17, v30
	v_mul_f32_e32 v36, v33, v35
	s_delay_alu instid0(VALU_DEP_1) | instskip(NEXT) | instid1(VALU_DEP_1)
	v_fma_f32 v32, v35, v33, -v36
	v_fmac_f32_e32 v32, v35, v31
	s_delay_alu instid0(VALU_DEP_1) | instskip(NEXT) | instid1(VALU_DEP_1)
	v_add_f32_e32 v37, v36, v32
	v_sub_f32_e32 v38, v34, v37
	v_sub_f32_e32 v30, v37, v36
	s_delay_alu instid0(VALU_DEP_2) | instskip(NEXT) | instid1(VALU_DEP_2)
	v_sub_f32_e32 v34, v34, v38
	v_sub_f32_e32 v30, v30, v32
	s_delay_alu instid0(VALU_DEP_2) | instskip(NEXT) | instid1(VALU_DEP_1)
	v_sub_f32_e32 v34, v34, v37
	v_add_f32_e32 v17, v17, v34
	s_delay_alu instid0(VALU_DEP_1) | instskip(NEXT) | instid1(VALU_DEP_1)
	v_add_f32_e32 v17, v30, v17
	v_add_f32_e32 v30, v38, v17
	s_delay_alu instid0(VALU_DEP_1) | instskip(NEXT) | instid1(VALU_DEP_1)
	v_mul_f32_e32 v32, v29, v30
	v_dual_sub_f32 v37, v38, v30 :: v_dual_mul_f32 v34, v33, v32
	s_delay_alu instid0(VALU_DEP_1) | instskip(NEXT) | instid1(VALU_DEP_2)
	v_add_f32_e32 v17, v17, v37
	v_fma_f32 v33, v32, v33, -v34
	s_delay_alu instid0(VALU_DEP_1) | instskip(NEXT) | instid1(VALU_DEP_1)
	v_fmac_f32_e32 v33, v32, v31
	v_add_f32_e32 v31, v34, v33
	s_delay_alu instid0(VALU_DEP_1) | instskip(SKIP_1) | instid1(VALU_DEP_2)
	v_sub_f32_e32 v36, v30, v31
	v_sub_f32_e32 v34, v31, v34
	;; [unrolled: 1-line block ×3, first 2 shown]
	s_delay_alu instid0(VALU_DEP_1) | instskip(NEXT) | instid1(VALU_DEP_3)
	v_sub_f32_e32 v30, v30, v31
	v_sub_f32_e32 v31, v34, v33
	s_delay_alu instid0(VALU_DEP_2) | instskip(NEXT) | instid1(VALU_DEP_1)
	v_dual_add_f32 v17, v17, v30 :: v_dual_add_f32 v30, v35, v32
	v_add_f32_e32 v17, v31, v17
	s_delay_alu instid0(VALU_DEP_2) | instskip(NEXT) | instid1(VALU_DEP_2)
	v_sub_f32_e32 v31, v30, v35
	v_add_f32_e32 v17, v36, v17
	s_delay_alu instid0(VALU_DEP_2) | instskip(NEXT) | instid1(VALU_DEP_2)
	v_sub_f32_e32 v31, v32, v31
	v_mul_f32_e32 v17, v29, v17
	s_delay_alu instid0(VALU_DEP_1) | instskip(NEXT) | instid1(VALU_DEP_1)
	v_add_f32_e32 v17, v31, v17
	v_add_f32_e32 v29, v30, v17
	s_delay_alu instid0(VALU_DEP_1) | instskip(NEXT) | instid1(VALU_DEP_1)
	v_mul_f32_e32 v31, v29, v29
	v_fmaak_f32 v32, s0, v31, 0x3ecc95a3
	v_mul_f32_e32 v33, v29, v31
	v_cmp_eq_f32_e64 s0, 0x7f800000, v13
	s_delay_alu instid0(VALU_DEP_3) | instskip(SKIP_2) | instid1(VALU_DEP_4)
	v_fmaak_f32 v31, v31, v32, 0x3f2aaada
	v_ldexp_f32 v32, v29, 1
	v_sub_f32_e32 v29, v29, v30
	s_or_b32 s0, s0, s23
	s_delay_alu instid0(VALU_DEP_3) | instskip(SKIP_1) | instid1(VALU_DEP_2)
	v_mul_f32_e32 v31, v33, v31
	v_mul_f32_e32 v33, 0x3f317218, v27
	v_dual_sub_f32 v17, v17, v29 :: v_dual_add_f32 v30, v32, v31
	s_delay_alu instid0(VALU_DEP_1) | instskip(NEXT) | instid1(VALU_DEP_2)
	v_ldexp_f32 v17, v17, 1
	v_sub_f32_e32 v29, v30, v32
	s_delay_alu instid0(VALU_DEP_4) | instskip(NEXT) | instid1(VALU_DEP_2)
	v_fma_f32 v32, 0x3f317218, v27, -v33
	v_sub_f32_e32 v29, v31, v29
	s_delay_alu instid0(VALU_DEP_2) | instskip(NEXT) | instid1(VALU_DEP_2)
	v_fmamk_f32 v27, v27, 0xb102e308, v32
	v_add_f32_e32 v17, v17, v29
	s_delay_alu instid0(VALU_DEP_2) | instskip(NEXT) | instid1(VALU_DEP_2)
	v_add_f32_e32 v29, v33, v27
	v_add_f32_e32 v31, v30, v17
	s_delay_alu instid0(VALU_DEP_2) | instskip(NEXT) | instid1(VALU_DEP_2)
	v_sub_f32_e32 v33, v29, v33
	v_add_f32_e32 v32, v29, v31
	v_sub_f32_e32 v30, v31, v30
	s_delay_alu instid0(VALU_DEP_3) | instskip(NEXT) | instid1(VALU_DEP_2)
	v_sub_f32_e32 v27, v27, v33
	v_dual_sub_f32 v34, v32, v29 :: v_dual_sub_f32 v17, v17, v30
	s_delay_alu instid0(VALU_DEP_1) | instskip(SKIP_1) | instid1(VALU_DEP_3)
	v_sub_f32_e32 v35, v32, v34
	v_sub_f32_e32 v30, v31, v34
	v_add_f32_e32 v31, v27, v17
	s_delay_alu instid0(VALU_DEP_3) | instskip(NEXT) | instid1(VALU_DEP_1)
	v_sub_f32_e32 v29, v29, v35
	v_dual_add_f32 v29, v30, v29 :: v_dual_sub_f32 v30, v31, v27
	s_delay_alu instid0(VALU_DEP_1) | instskip(NEXT) | instid1(VALU_DEP_2)
	v_add_f32_e32 v29, v31, v29
	v_sub_f32_e32 v31, v31, v30
	v_sub_f32_e32 v17, v17, v30
	s_delay_alu instid0(VALU_DEP_3) | instskip(NEXT) | instid1(VALU_DEP_1)
	v_add_f32_e32 v33, v32, v29
	v_dual_sub_f32 v27, v27, v31 :: v_dual_sub_f32 v30, v33, v32
	s_delay_alu instid0(VALU_DEP_1) | instskip(NEXT) | instid1(VALU_DEP_2)
	v_add_f32_e32 v17, v17, v27
	v_sub_f32_e32 v27, v29, v30
	s_delay_alu instid0(VALU_DEP_1) | instskip(NEXT) | instid1(VALU_DEP_1)
	v_add_f32_e32 v17, v17, v27
	v_add_f32_e32 v17, v33, v17
	s_delay_alu instid0(VALU_DEP_1) | instskip(NEXT) | instid1(VALU_DEP_1)
	v_cndmask_b32_e64 v13, v17, v13, s0
	v_add_f32_e32 v13, v26, v13
	s_delay_alu instid0(VALU_DEP_1) | instskip(NEXT) | instid1(VALU_DEP_1)
	v_cvt_f16_f32_e32 v30, v13
	v_cvt_f32_f16_e32 v13, v30
	v_mov_b32_e32 v17, v30
.LBB380_132:
	s_or_b32 exec_lo, exec_lo, s1
	s_delay_alu instid0(VALU_DEP_2) | instskip(SKIP_1) | instid1(VALU_DEP_2)
	v_dual_max_f32 v26, v10, v10 :: v_dual_max_f32 v27, v13, v13
	v_cmp_u_f16_e64 s0, v30, v30
	v_min_f32_e32 v29, v27, v26
	v_max_f32_e32 v26, v27, v26
	s_delay_alu instid0(VALU_DEP_2) | instskip(NEXT) | instid1(VALU_DEP_2)
	v_cndmask_b32_e64 v27, v29, v13, s0
	v_cndmask_b32_e64 v26, v26, v13, s0
	s_delay_alu instid0(VALU_DEP_2) | instskip(NEXT) | instid1(VALU_DEP_2)
	v_cndmask_b32_e64 v27, v27, v10, s28
	v_cndmask_b32_e64 v26, v26, v10, s28
	v_mov_b32_e32 v10, v17
	s_delay_alu instid0(VALU_DEP_3) | instskip(NEXT) | instid1(VALU_DEP_3)
	v_cmp_class_f32_e64 s1, v27, 0x1f8
	v_cmp_neq_f32_e64 s0, v27, v26
	s_delay_alu instid0(VALU_DEP_1) | instskip(NEXT) | instid1(SALU_CYCLE_1)
	s_or_b32 s0, s0, s1
	s_and_saveexec_b32 s1, s0
	s_cbranch_execz .LBB380_134
; %bb.133:
	v_sub_f32_e32 v10, v27, v26
	s_delay_alu instid0(VALU_DEP_1) | instskip(NEXT) | instid1(VALU_DEP_1)
	v_mul_f32_e32 v13, 0x3fb8aa3b, v10
	v_fma_f32 v27, 0x3fb8aa3b, v10, -v13
	v_rndne_f32_e32 v29, v13
	s_delay_alu instid0(VALU_DEP_1) | instskip(NEXT) | instid1(VALU_DEP_3)
	v_sub_f32_e32 v13, v13, v29
	v_fmamk_f32 v27, v10, 0x32a5705f, v27
	v_cmp_ngt_f32_e64 s0, 0xc2ce8ed0, v10
	s_delay_alu instid0(VALU_DEP_2) | instskip(SKIP_1) | instid1(VALU_DEP_2)
	v_add_f32_e32 v13, v13, v27
	v_cvt_i32_f32_e32 v27, v29
	v_exp_f32_e32 v13, v13
	s_waitcnt_depctr 0xfff
	v_ldexp_f32 v13, v13, v27
	s_delay_alu instid0(VALU_DEP_1) | instskip(SKIP_1) | instid1(VALU_DEP_1)
	v_cndmask_b32_e64 v13, 0, v13, s0
	v_cmp_nlt_f32_e64 s0, 0x42b17218, v10
	v_cndmask_b32_e64 v10, 0x7f800000, v13, s0
	s_delay_alu instid0(VALU_DEP_1) | instskip(SKIP_1) | instid1(VALU_DEP_2)
	v_add_f32_e32 v13, 1.0, v10
	v_cmp_gt_f32_e64 s23, 0x33800000, |v10|
	v_cvt_f64_f32_e32 v[29:30], v13
	s_delay_alu instid0(VALU_DEP_1) | instskip(SKIP_1) | instid1(VALU_DEP_1)
	v_frexp_exp_i32_f64_e32 v27, v[29:30]
	v_frexp_mant_f32_e32 v29, v13
	v_cmp_gt_f32_e64 s0, 0x3f2aaaab, v29
	v_add_f32_e32 v29, -1.0, v13
	s_delay_alu instid0(VALU_DEP_1) | instskip(SKIP_1) | instid1(VALU_DEP_4)
	v_sub_f32_e32 v31, v29, v13
	v_sub_f32_e32 v29, v10, v29
	v_subrev_co_ci_u32_e64 v27, s0, 0, v27, s0
	s_mov_b32 s0, 0x3e9b6dac
	s_delay_alu instid0(VALU_DEP_1) | instskip(SKIP_1) | instid1(VALU_DEP_2)
	v_sub_nc_u32_e32 v30, 0, v27
	v_cvt_f32_i32_e32 v27, v27
	v_ldexp_f32 v13, v13, v30
	s_delay_alu instid0(VALU_DEP_1) | instskip(NEXT) | instid1(VALU_DEP_1)
	v_dual_add_f32 v31, 1.0, v31 :: v_dual_add_f32 v32, 1.0, v13
	v_add_f32_e32 v29, v29, v31
	s_delay_alu instid0(VALU_DEP_2) | instskip(NEXT) | instid1(VALU_DEP_2)
	v_add_f32_e32 v31, -1.0, v32
	v_ldexp_f32 v29, v29, v30
	s_delay_alu instid0(VALU_DEP_2) | instskip(NEXT) | instid1(VALU_DEP_1)
	v_dual_add_f32 v30, -1.0, v13 :: v_dual_sub_f32 v31, v13, v31
	v_add_f32_e32 v33, 1.0, v30
	s_delay_alu instid0(VALU_DEP_2) | instskip(NEXT) | instid1(VALU_DEP_2)
	v_add_f32_e32 v31, v29, v31
	v_sub_f32_e32 v13, v13, v33
	s_delay_alu instid0(VALU_DEP_2) | instskip(NEXT) | instid1(VALU_DEP_2)
	v_add_f32_e32 v33, v32, v31
	v_add_f32_e32 v13, v29, v13
	s_delay_alu instid0(VALU_DEP_2) | instskip(SKIP_1) | instid1(VALU_DEP_1)
	v_rcp_f32_e32 v29, v33
	v_sub_f32_e32 v32, v32, v33
	v_dual_add_f32 v34, v30, v13 :: v_dual_add_f32 v31, v31, v32
	s_delay_alu instid0(VALU_DEP_1) | instskip(SKIP_3) | instid1(VALU_DEP_2)
	v_sub_f32_e32 v30, v30, v34
	s_waitcnt_depctr 0xfff
	v_mul_f32_e32 v35, v34, v29
	v_add_f32_e32 v13, v13, v30
	v_mul_f32_e32 v36, v33, v35
	s_delay_alu instid0(VALU_DEP_1) | instskip(NEXT) | instid1(VALU_DEP_1)
	v_fma_f32 v32, v35, v33, -v36
	v_fmac_f32_e32 v32, v35, v31
	s_delay_alu instid0(VALU_DEP_1) | instskip(NEXT) | instid1(VALU_DEP_1)
	v_add_f32_e32 v37, v36, v32
	v_sub_f32_e32 v38, v34, v37
	v_sub_f32_e32 v30, v37, v36
	s_delay_alu instid0(VALU_DEP_2) | instskip(NEXT) | instid1(VALU_DEP_2)
	v_sub_f32_e32 v34, v34, v38
	v_sub_f32_e32 v30, v30, v32
	s_delay_alu instid0(VALU_DEP_2) | instskip(NEXT) | instid1(VALU_DEP_1)
	v_sub_f32_e32 v34, v34, v37
	v_add_f32_e32 v13, v13, v34
	s_delay_alu instid0(VALU_DEP_1) | instskip(NEXT) | instid1(VALU_DEP_1)
	v_add_f32_e32 v13, v30, v13
	v_add_f32_e32 v30, v38, v13
	s_delay_alu instid0(VALU_DEP_1) | instskip(NEXT) | instid1(VALU_DEP_1)
	v_mul_f32_e32 v32, v29, v30
	v_dual_sub_f32 v37, v38, v30 :: v_dual_mul_f32 v34, v33, v32
	s_delay_alu instid0(VALU_DEP_1) | instskip(NEXT) | instid1(VALU_DEP_2)
	v_add_f32_e32 v13, v13, v37
	v_fma_f32 v33, v32, v33, -v34
	s_delay_alu instid0(VALU_DEP_1) | instskip(NEXT) | instid1(VALU_DEP_1)
	v_fmac_f32_e32 v33, v32, v31
	v_add_f32_e32 v31, v34, v33
	s_delay_alu instid0(VALU_DEP_1) | instskip(SKIP_1) | instid1(VALU_DEP_2)
	v_sub_f32_e32 v36, v30, v31
	v_sub_f32_e32 v34, v31, v34
	;; [unrolled: 1-line block ×3, first 2 shown]
	s_delay_alu instid0(VALU_DEP_1) | instskip(NEXT) | instid1(VALU_DEP_3)
	v_sub_f32_e32 v30, v30, v31
	v_sub_f32_e32 v31, v34, v33
	s_delay_alu instid0(VALU_DEP_2) | instskip(NEXT) | instid1(VALU_DEP_1)
	v_dual_add_f32 v13, v13, v30 :: v_dual_add_f32 v30, v35, v32
	v_add_f32_e32 v13, v31, v13
	s_delay_alu instid0(VALU_DEP_2) | instskip(NEXT) | instid1(VALU_DEP_2)
	v_sub_f32_e32 v31, v30, v35
	v_add_f32_e32 v13, v36, v13
	s_delay_alu instid0(VALU_DEP_2) | instskip(NEXT) | instid1(VALU_DEP_2)
	v_sub_f32_e32 v31, v32, v31
	v_mul_f32_e32 v13, v29, v13
	s_delay_alu instid0(VALU_DEP_1) | instskip(NEXT) | instid1(VALU_DEP_1)
	v_add_f32_e32 v13, v31, v13
	v_add_f32_e32 v29, v30, v13
	s_delay_alu instid0(VALU_DEP_1) | instskip(NEXT) | instid1(VALU_DEP_1)
	v_mul_f32_e32 v31, v29, v29
	v_fmaak_f32 v32, s0, v31, 0x3ecc95a3
	v_mul_f32_e32 v33, v29, v31
	v_cmp_eq_f32_e64 s0, 0x7f800000, v10
	s_delay_alu instid0(VALU_DEP_3) | instskip(SKIP_2) | instid1(VALU_DEP_4)
	v_fmaak_f32 v31, v31, v32, 0x3f2aaada
	v_ldexp_f32 v32, v29, 1
	v_sub_f32_e32 v29, v29, v30
	s_or_b32 s0, s0, s23
	s_delay_alu instid0(VALU_DEP_3) | instskip(SKIP_1) | instid1(VALU_DEP_2)
	v_mul_f32_e32 v31, v33, v31
	v_mul_f32_e32 v33, 0x3f317218, v27
	v_dual_sub_f32 v13, v13, v29 :: v_dual_add_f32 v30, v32, v31
	s_delay_alu instid0(VALU_DEP_1) | instskip(NEXT) | instid1(VALU_DEP_2)
	v_ldexp_f32 v13, v13, 1
	v_sub_f32_e32 v29, v30, v32
	s_delay_alu instid0(VALU_DEP_4) | instskip(NEXT) | instid1(VALU_DEP_2)
	v_fma_f32 v32, 0x3f317218, v27, -v33
	v_sub_f32_e32 v29, v31, v29
	s_delay_alu instid0(VALU_DEP_2) | instskip(NEXT) | instid1(VALU_DEP_2)
	v_fmamk_f32 v27, v27, 0xb102e308, v32
	v_add_f32_e32 v13, v13, v29
	s_delay_alu instid0(VALU_DEP_2) | instskip(NEXT) | instid1(VALU_DEP_2)
	v_add_f32_e32 v29, v33, v27
	v_add_f32_e32 v31, v30, v13
	s_delay_alu instid0(VALU_DEP_2) | instskip(NEXT) | instid1(VALU_DEP_2)
	v_sub_f32_e32 v33, v29, v33
	v_add_f32_e32 v32, v29, v31
	v_sub_f32_e32 v30, v31, v30
	s_delay_alu instid0(VALU_DEP_3) | instskip(NEXT) | instid1(VALU_DEP_2)
	v_sub_f32_e32 v27, v27, v33
	v_dual_sub_f32 v34, v32, v29 :: v_dual_sub_f32 v13, v13, v30
	s_delay_alu instid0(VALU_DEP_1) | instskip(SKIP_1) | instid1(VALU_DEP_3)
	v_sub_f32_e32 v35, v32, v34
	v_sub_f32_e32 v30, v31, v34
	v_add_f32_e32 v31, v27, v13
	s_delay_alu instid0(VALU_DEP_3) | instskip(NEXT) | instid1(VALU_DEP_1)
	v_sub_f32_e32 v29, v29, v35
	v_dual_add_f32 v29, v30, v29 :: v_dual_sub_f32 v30, v31, v27
	s_delay_alu instid0(VALU_DEP_1) | instskip(NEXT) | instid1(VALU_DEP_2)
	v_add_f32_e32 v29, v31, v29
	v_sub_f32_e32 v31, v31, v30
	v_sub_f32_e32 v13, v13, v30
	s_delay_alu instid0(VALU_DEP_3) | instskip(NEXT) | instid1(VALU_DEP_1)
	v_add_f32_e32 v33, v32, v29
	v_dual_sub_f32 v27, v27, v31 :: v_dual_sub_f32 v30, v33, v32
	s_delay_alu instid0(VALU_DEP_1) | instskip(NEXT) | instid1(VALU_DEP_2)
	v_add_f32_e32 v13, v13, v27
	v_sub_f32_e32 v27, v29, v30
	s_delay_alu instid0(VALU_DEP_1) | instskip(NEXT) | instid1(VALU_DEP_1)
	v_add_f32_e32 v13, v13, v27
	v_add_f32_e32 v13, v33, v13
	s_delay_alu instid0(VALU_DEP_1) | instskip(NEXT) | instid1(VALU_DEP_1)
	v_cndmask_b32_e64 v10, v13, v10, s0
	v_add_f32_e32 v10, v26, v10
	s_delay_alu instid0(VALU_DEP_1) | instskip(NEXT) | instid1(VALU_DEP_1)
	v_cvt_f16_f32_e32 v30, v10
	v_mov_b32_e32 v10, v30
	v_cvt_f32_f16_e32 v13, v30
.LBB380_134:
	s_or_b32 exec_lo, exec_lo, s1
	s_delay_alu instid0(VALU_DEP_1) | instskip(SKIP_1) | instid1(VALU_DEP_2)
	v_dual_max_f32 v26, v18, v18 :: v_dual_max_f32 v27, v13, v13
	v_cmp_u_f16_e64 s0, v30, v30
	v_min_f32_e32 v29, v27, v26
	v_max_f32_e32 v26, v27, v26
	s_delay_alu instid0(VALU_DEP_2) | instskip(NEXT) | instid1(VALU_DEP_2)
	v_cndmask_b32_e64 v27, v29, v13, s0
	v_cndmask_b32_e64 v26, v26, v13, s0
	s_delay_alu instid0(VALU_DEP_2) | instskip(NEXT) | instid1(VALU_DEP_2)
	v_cndmask_b32_e64 v27, v27, v18, s29
	v_cndmask_b32_e64 v26, v26, v18, s29
	v_mov_b32_e32 v18, v10
	s_delay_alu instid0(VALU_DEP_3) | instskip(NEXT) | instid1(VALU_DEP_3)
	v_cmp_class_f32_e64 s1, v27, 0x1f8
	v_cmp_neq_f32_e64 s0, v27, v26
	s_delay_alu instid0(VALU_DEP_1) | instskip(NEXT) | instid1(SALU_CYCLE_1)
	s_or_b32 s0, s0, s1
	s_and_saveexec_b32 s1, s0
	s_cbranch_execz .LBB380_136
; %bb.135:
	v_sub_f32_e32 v13, v27, v26
	s_delay_alu instid0(VALU_DEP_1) | instskip(NEXT) | instid1(VALU_DEP_1)
	v_mul_f32_e32 v18, 0x3fb8aa3b, v13
	v_fma_f32 v27, 0x3fb8aa3b, v13, -v18
	v_rndne_f32_e32 v29, v18
	s_delay_alu instid0(VALU_DEP_1) | instskip(SKIP_1) | instid1(VALU_DEP_2)
	v_dual_sub_f32 v18, v18, v29 :: v_dual_fmamk_f32 v27, v13, 0x32a5705f, v27
	v_cmp_ngt_f32_e64 s0, 0xc2ce8ed0, v13
	v_add_f32_e32 v18, v18, v27
	v_cvt_i32_f32_e32 v27, v29
	s_delay_alu instid0(VALU_DEP_2) | instskip(SKIP_2) | instid1(VALU_DEP_1)
	v_exp_f32_e32 v18, v18
	s_waitcnt_depctr 0xfff
	v_ldexp_f32 v18, v18, v27
	v_cndmask_b32_e64 v18, 0, v18, s0
	v_cmp_nlt_f32_e64 s0, 0x42b17218, v13
	s_delay_alu instid0(VALU_DEP_1) | instskip(NEXT) | instid1(VALU_DEP_1)
	v_cndmask_b32_e64 v13, 0x7f800000, v18, s0
	v_add_f32_e32 v18, 1.0, v13
	v_cmp_gt_f32_e64 s23, 0x33800000, |v13|
	s_delay_alu instid0(VALU_DEP_2) | instskip(NEXT) | instid1(VALU_DEP_1)
	v_cvt_f64_f32_e32 v[29:30], v18
	v_frexp_exp_i32_f64_e32 v27, v[29:30]
	v_frexp_mant_f32_e32 v29, v18
	s_delay_alu instid0(VALU_DEP_1) | instskip(SKIP_1) | instid1(VALU_DEP_1)
	v_cmp_gt_f32_e64 s0, 0x3f2aaaab, v29
	v_add_f32_e32 v29, -1.0, v18
	v_sub_f32_e32 v31, v29, v18
	v_sub_f32_e32 v29, v13, v29
	s_delay_alu instid0(VALU_DEP_2) | instskip(NEXT) | instid1(VALU_DEP_1)
	v_add_f32_e32 v31, 1.0, v31
	v_add_f32_e32 v29, v29, v31
	v_subrev_co_ci_u32_e64 v27, s0, 0, v27, s0
	s_mov_b32 s0, 0x3e9b6dac
	s_delay_alu instid0(VALU_DEP_1) | instskip(SKIP_1) | instid1(VALU_DEP_2)
	v_sub_nc_u32_e32 v30, 0, v27
	v_cvt_f32_i32_e32 v27, v27
	v_ldexp_f32 v18, v18, v30
	v_ldexp_f32 v29, v29, v30
	s_delay_alu instid0(VALU_DEP_2) | instskip(NEXT) | instid1(VALU_DEP_1)
	v_add_f32_e32 v32, 1.0, v18
	v_dual_add_f32 v30, -1.0, v18 :: v_dual_add_f32 v31, -1.0, v32
	s_delay_alu instid0(VALU_DEP_1) | instskip(NEXT) | instid1(VALU_DEP_2)
	v_add_f32_e32 v33, 1.0, v30
	v_sub_f32_e32 v31, v18, v31
	s_delay_alu instid0(VALU_DEP_2) | instskip(NEXT) | instid1(VALU_DEP_1)
	v_sub_f32_e32 v18, v18, v33
	v_add_f32_e32 v18, v29, v18
	s_delay_alu instid0(VALU_DEP_1) | instskip(NEXT) | instid1(VALU_DEP_1)
	v_dual_add_f32 v31, v29, v31 :: v_dual_add_f32 v34, v30, v18
	v_dual_add_f32 v33, v32, v31 :: v_dual_sub_f32 v30, v30, v34
	s_delay_alu instid0(VALU_DEP_1) | instskip(SKIP_1) | instid1(VALU_DEP_1)
	v_rcp_f32_e32 v29, v33
	v_sub_f32_e32 v32, v32, v33
	v_dual_add_f32 v18, v18, v30 :: v_dual_add_f32 v31, v31, v32
	s_waitcnt_depctr 0xfff
	v_mul_f32_e32 v35, v34, v29
	s_delay_alu instid0(VALU_DEP_1) | instskip(NEXT) | instid1(VALU_DEP_1)
	v_mul_f32_e32 v36, v33, v35
	v_fma_f32 v32, v35, v33, -v36
	s_delay_alu instid0(VALU_DEP_1) | instskip(NEXT) | instid1(VALU_DEP_1)
	v_fmac_f32_e32 v32, v35, v31
	v_add_f32_e32 v37, v36, v32
	s_delay_alu instid0(VALU_DEP_1) | instskip(SKIP_1) | instid1(VALU_DEP_2)
	v_sub_f32_e32 v38, v34, v37
	v_sub_f32_e32 v30, v37, v36
	;; [unrolled: 1-line block ×3, first 2 shown]
	s_delay_alu instid0(VALU_DEP_2) | instskip(NEXT) | instid1(VALU_DEP_2)
	v_sub_f32_e32 v30, v30, v32
	v_sub_f32_e32 v34, v34, v37
	s_delay_alu instid0(VALU_DEP_1) | instskip(NEXT) | instid1(VALU_DEP_1)
	v_add_f32_e32 v18, v18, v34
	v_add_f32_e32 v18, v30, v18
	s_delay_alu instid0(VALU_DEP_1) | instskip(NEXT) | instid1(VALU_DEP_1)
	v_add_f32_e32 v30, v38, v18
	v_mul_f32_e32 v32, v29, v30
	s_delay_alu instid0(VALU_DEP_1) | instskip(NEXT) | instid1(VALU_DEP_1)
	v_dual_sub_f32 v37, v38, v30 :: v_dual_mul_f32 v34, v33, v32
	v_add_f32_e32 v18, v18, v37
	s_delay_alu instid0(VALU_DEP_2) | instskip(NEXT) | instid1(VALU_DEP_1)
	v_fma_f32 v33, v32, v33, -v34
	v_fmac_f32_e32 v33, v32, v31
	s_delay_alu instid0(VALU_DEP_1) | instskip(NEXT) | instid1(VALU_DEP_1)
	v_add_f32_e32 v31, v34, v33
	v_sub_f32_e32 v36, v30, v31
	s_delay_alu instid0(VALU_DEP_1) | instskip(NEXT) | instid1(VALU_DEP_1)
	v_sub_f32_e32 v30, v30, v36
	v_sub_f32_e32 v30, v30, v31
	s_delay_alu instid0(VALU_DEP_1) | instskip(SKIP_2) | instid1(VALU_DEP_1)
	v_add_f32_e32 v18, v18, v30
	v_add_f32_e32 v30, v35, v32
	v_sub_f32_e32 v34, v31, v34
	v_sub_f32_e32 v31, v34, v33
	s_delay_alu instid0(VALU_DEP_1) | instskip(NEXT) | instid1(VALU_DEP_1)
	v_dual_add_f32 v18, v31, v18 :: v_dual_sub_f32 v31, v30, v35
	v_add_f32_e32 v18, v36, v18
	s_delay_alu instid0(VALU_DEP_1) | instskip(NEXT) | instid1(VALU_DEP_1)
	v_dual_sub_f32 v31, v32, v31 :: v_dual_mul_f32 v18, v29, v18
	v_add_f32_e32 v18, v31, v18
	s_delay_alu instid0(VALU_DEP_1) | instskip(NEXT) | instid1(VALU_DEP_1)
	v_add_f32_e32 v29, v30, v18
	v_mul_f32_e32 v31, v29, v29
	s_delay_alu instid0(VALU_DEP_1) | instskip(SKIP_2) | instid1(VALU_DEP_3)
	v_fmaak_f32 v32, s0, v31, 0x3ecc95a3
	v_mul_f32_e32 v33, v29, v31
	v_cmp_eq_f32_e64 s0, 0x7f800000, v13
	v_fmaak_f32 v31, v31, v32, 0x3f2aaada
	v_ldexp_f32 v32, v29, 1
	v_sub_f32_e32 v29, v29, v30
	s_delay_alu instid0(VALU_DEP_4) | instskip(NEXT) | instid1(VALU_DEP_3)
	s_or_b32 s0, s0, s23
	v_mul_f32_e32 v31, v33, v31
	s_delay_alu instid0(VALU_DEP_2) | instskip(NEXT) | instid1(VALU_DEP_2)
	v_dual_mul_f32 v33, 0x3f317218, v27 :: v_dual_sub_f32 v18, v18, v29
	v_add_f32_e32 v30, v32, v31
	s_delay_alu instid0(VALU_DEP_2) | instskip(NEXT) | instid1(VALU_DEP_2)
	v_ldexp_f32 v18, v18, 1
	v_sub_f32_e32 v29, v30, v32
	s_delay_alu instid0(VALU_DEP_4) | instskip(NEXT) | instid1(VALU_DEP_2)
	v_fma_f32 v32, 0x3f317218, v27, -v33
	v_sub_f32_e32 v29, v31, v29
	s_delay_alu instid0(VALU_DEP_1) | instskip(NEXT) | instid1(VALU_DEP_1)
	v_dual_fmamk_f32 v27, v27, 0xb102e308, v32 :: v_dual_add_f32 v18, v18, v29
	v_add_f32_e32 v29, v33, v27
	s_delay_alu instid0(VALU_DEP_2) | instskip(NEXT) | instid1(VALU_DEP_2)
	v_add_f32_e32 v31, v30, v18
	v_sub_f32_e32 v33, v29, v33
	s_delay_alu instid0(VALU_DEP_1) | instskip(NEXT) | instid1(VALU_DEP_1)
	v_dual_add_f32 v32, v29, v31 :: v_dual_sub_f32 v27, v27, v33
	v_sub_f32_e32 v34, v32, v29
	v_sub_f32_e32 v30, v31, v30
	s_delay_alu instid0(VALU_DEP_2) | instskip(NEXT) | instid1(VALU_DEP_2)
	v_sub_f32_e32 v35, v32, v34
	v_sub_f32_e32 v18, v18, v30
	s_delay_alu instid0(VALU_DEP_2) | instskip(NEXT) | instid1(VALU_DEP_2)
	v_dual_sub_f32 v30, v31, v34 :: v_dual_sub_f32 v29, v29, v35
	v_add_f32_e32 v31, v27, v18
	s_delay_alu instid0(VALU_DEP_1) | instskip(NEXT) | instid1(VALU_DEP_1)
	v_dual_add_f32 v29, v30, v29 :: v_dual_sub_f32 v30, v31, v27
	v_add_f32_e32 v29, v31, v29
	s_delay_alu instid0(VALU_DEP_2) | instskip(NEXT) | instid1(VALU_DEP_2)
	v_sub_f32_e32 v31, v31, v30
	v_dual_sub_f32 v18, v18, v30 :: v_dual_add_f32 v33, v32, v29
	s_delay_alu instid0(VALU_DEP_1) | instskip(NEXT) | instid1(VALU_DEP_1)
	v_dual_sub_f32 v27, v27, v31 :: v_dual_sub_f32 v30, v33, v32
	v_dual_add_f32 v18, v18, v27 :: v_dual_sub_f32 v27, v29, v30
	s_delay_alu instid0(VALU_DEP_1) | instskip(NEXT) | instid1(VALU_DEP_1)
	v_add_f32_e32 v18, v18, v27
	v_add_f32_e32 v18, v33, v18
	s_delay_alu instid0(VALU_DEP_1) | instskip(NEXT) | instid1(VALU_DEP_1)
	v_cndmask_b32_e64 v13, v18, v13, s0
	v_add_f32_e32 v13, v26, v13
	s_delay_alu instid0(VALU_DEP_1) | instskip(NEXT) | instid1(VALU_DEP_1)
	v_cvt_f16_f32_e32 v30, v13
	v_cvt_f32_f16_e32 v13, v30
	v_mov_b32_e32 v18, v30
.LBB380_136:
	s_or_b32 exec_lo, exec_lo, s1
	s_delay_alu instid0(VALU_DEP_2) | instskip(SKIP_1) | instid1(VALU_DEP_2)
	v_dual_max_f32 v26, v11, v11 :: v_dual_max_f32 v27, v13, v13
	v_cmp_u_f16_e64 s0, v30, v30
	v_min_f32_e32 v29, v27, v26
	v_max_f32_e32 v26, v27, v26
	s_delay_alu instid0(VALU_DEP_2) | instskip(NEXT) | instid1(VALU_DEP_2)
	v_cndmask_b32_e64 v27, v29, v13, s0
	v_cndmask_b32_e64 v26, v26, v13, s0
	s_delay_alu instid0(VALU_DEP_2) | instskip(NEXT) | instid1(VALU_DEP_2)
	v_cndmask_b32_e64 v27, v27, v11, s30
	v_cndmask_b32_e64 v26, v26, v11, s30
	v_mov_b32_e32 v11, v18
	s_delay_alu instid0(VALU_DEP_3) | instskip(NEXT) | instid1(VALU_DEP_3)
	v_cmp_class_f32_e64 s1, v27, 0x1f8
	v_cmp_neq_f32_e64 s0, v27, v26
	s_delay_alu instid0(VALU_DEP_1) | instskip(NEXT) | instid1(SALU_CYCLE_1)
	s_or_b32 s0, s0, s1
	s_and_saveexec_b32 s1, s0
	s_cbranch_execz .LBB380_138
; %bb.137:
	v_sub_f32_e32 v11, v27, v26
	s_delay_alu instid0(VALU_DEP_1) | instskip(SKIP_1) | instid1(VALU_DEP_2)
	v_mul_f32_e32 v13, 0x3fb8aa3b, v11
	v_cmp_ngt_f32_e64 s0, 0xc2ce8ed0, v11
	v_fma_f32 v27, 0x3fb8aa3b, v11, -v13
	v_rndne_f32_e32 v29, v13
	s_delay_alu instid0(VALU_DEP_2) | instskip(NEXT) | instid1(VALU_DEP_2)
	v_fmamk_f32 v27, v11, 0x32a5705f, v27
	v_sub_f32_e32 v13, v13, v29
	s_delay_alu instid0(VALU_DEP_1) | instskip(SKIP_1) | instid1(VALU_DEP_2)
	v_add_f32_e32 v13, v13, v27
	v_cvt_i32_f32_e32 v27, v29
	v_exp_f32_e32 v13, v13
	s_waitcnt_depctr 0xfff
	v_ldexp_f32 v13, v13, v27
	s_delay_alu instid0(VALU_DEP_1) | instskip(SKIP_1) | instid1(VALU_DEP_1)
	v_cndmask_b32_e64 v13, 0, v13, s0
	v_cmp_nlt_f32_e64 s0, 0x42b17218, v11
	v_cndmask_b32_e64 v11, 0x7f800000, v13, s0
	s_delay_alu instid0(VALU_DEP_1) | instskip(SKIP_1) | instid1(VALU_DEP_2)
	v_add_f32_e32 v13, 1.0, v11
	v_cmp_gt_f32_e64 s23, 0x33800000, |v11|
	v_cvt_f64_f32_e32 v[29:30], v13
	s_delay_alu instid0(VALU_DEP_1) | instskip(SKIP_1) | instid1(VALU_DEP_1)
	v_frexp_exp_i32_f64_e32 v27, v[29:30]
	v_frexp_mant_f32_e32 v29, v13
	v_cmp_gt_f32_e64 s0, 0x3f2aaaab, v29
	v_add_f32_e32 v29, -1.0, v13
	s_delay_alu instid0(VALU_DEP_1) | instskip(SKIP_1) | instid1(VALU_DEP_2)
	v_sub_f32_e32 v31, v29, v13
	v_sub_f32_e32 v29, v11, v29
	v_add_f32_e32 v31, 1.0, v31
	s_delay_alu instid0(VALU_DEP_1) | instskip(SKIP_2) | instid1(VALU_DEP_1)
	v_add_f32_e32 v29, v29, v31
	v_subrev_co_ci_u32_e64 v27, s0, 0, v27, s0
	s_mov_b32 s0, 0x3e9b6dac
	v_sub_nc_u32_e32 v30, 0, v27
	v_cvt_f32_i32_e32 v27, v27
	s_delay_alu instid0(VALU_DEP_2) | instskip(SKIP_1) | instid1(VALU_DEP_2)
	v_ldexp_f32 v13, v13, v30
	v_ldexp_f32 v29, v29, v30
	v_add_f32_e32 v32, 1.0, v13
	s_delay_alu instid0(VALU_DEP_1) | instskip(NEXT) | instid1(VALU_DEP_1)
	v_dual_add_f32 v30, -1.0, v13 :: v_dual_add_f32 v31, -1.0, v32
	v_add_f32_e32 v33, 1.0, v30
	s_delay_alu instid0(VALU_DEP_2) | instskip(NEXT) | instid1(VALU_DEP_2)
	v_sub_f32_e32 v31, v13, v31
	v_sub_f32_e32 v13, v13, v33
	s_delay_alu instid0(VALU_DEP_2) | instskip(NEXT) | instid1(VALU_DEP_2)
	v_add_f32_e32 v31, v29, v31
	v_add_f32_e32 v13, v29, v13
	s_delay_alu instid0(VALU_DEP_1) | instskip(NEXT) | instid1(VALU_DEP_1)
	v_dual_add_f32 v33, v32, v31 :: v_dual_add_f32 v34, v30, v13
	v_rcp_f32_e32 v29, v33
	v_sub_f32_e32 v32, v32, v33
	s_delay_alu instid0(VALU_DEP_1) | instskip(SKIP_3) | instid1(VALU_DEP_2)
	v_dual_sub_f32 v30, v30, v34 :: v_dual_add_f32 v31, v31, v32
	s_waitcnt_depctr 0xfff
	v_mul_f32_e32 v35, v34, v29
	v_add_f32_e32 v13, v13, v30
	v_mul_f32_e32 v36, v33, v35
	s_delay_alu instid0(VALU_DEP_1) | instskip(NEXT) | instid1(VALU_DEP_1)
	v_fma_f32 v32, v35, v33, -v36
	v_fmac_f32_e32 v32, v35, v31
	s_delay_alu instid0(VALU_DEP_1) | instskip(NEXT) | instid1(VALU_DEP_1)
	v_add_f32_e32 v37, v36, v32
	v_sub_f32_e32 v38, v34, v37
	v_sub_f32_e32 v30, v37, v36
	s_delay_alu instid0(VALU_DEP_2) | instskip(NEXT) | instid1(VALU_DEP_2)
	v_sub_f32_e32 v34, v34, v38
	v_sub_f32_e32 v30, v30, v32
	s_delay_alu instid0(VALU_DEP_2) | instskip(NEXT) | instid1(VALU_DEP_1)
	v_sub_f32_e32 v34, v34, v37
	v_add_f32_e32 v13, v13, v34
	s_delay_alu instid0(VALU_DEP_1) | instskip(NEXT) | instid1(VALU_DEP_1)
	v_add_f32_e32 v13, v30, v13
	v_add_f32_e32 v30, v38, v13
	s_delay_alu instid0(VALU_DEP_1) | instskip(NEXT) | instid1(VALU_DEP_1)
	v_mul_f32_e32 v32, v29, v30
	v_dual_sub_f32 v37, v38, v30 :: v_dual_mul_f32 v34, v33, v32
	s_delay_alu instid0(VALU_DEP_1) | instskip(NEXT) | instid1(VALU_DEP_2)
	v_add_f32_e32 v13, v13, v37
	v_fma_f32 v33, v32, v33, -v34
	s_delay_alu instid0(VALU_DEP_1) | instskip(NEXT) | instid1(VALU_DEP_1)
	v_fmac_f32_e32 v33, v32, v31
	v_add_f32_e32 v31, v34, v33
	s_delay_alu instid0(VALU_DEP_1) | instskip(SKIP_1) | instid1(VALU_DEP_2)
	v_sub_f32_e32 v36, v30, v31
	v_sub_f32_e32 v34, v31, v34
	;; [unrolled: 1-line block ×3, first 2 shown]
	s_delay_alu instid0(VALU_DEP_1) | instskip(NEXT) | instid1(VALU_DEP_3)
	v_sub_f32_e32 v30, v30, v31
	v_sub_f32_e32 v31, v34, v33
	s_delay_alu instid0(VALU_DEP_2) | instskip(NEXT) | instid1(VALU_DEP_1)
	v_dual_add_f32 v13, v13, v30 :: v_dual_add_f32 v30, v35, v32
	v_add_f32_e32 v13, v31, v13
	s_delay_alu instid0(VALU_DEP_2) | instskip(NEXT) | instid1(VALU_DEP_2)
	v_sub_f32_e32 v31, v30, v35
	v_add_f32_e32 v13, v36, v13
	s_delay_alu instid0(VALU_DEP_2) | instskip(NEXT) | instid1(VALU_DEP_2)
	v_sub_f32_e32 v31, v32, v31
	v_mul_f32_e32 v13, v29, v13
	s_delay_alu instid0(VALU_DEP_1) | instskip(NEXT) | instid1(VALU_DEP_1)
	v_add_f32_e32 v13, v31, v13
	v_add_f32_e32 v29, v30, v13
	s_delay_alu instid0(VALU_DEP_1) | instskip(NEXT) | instid1(VALU_DEP_1)
	v_mul_f32_e32 v31, v29, v29
	v_fmaak_f32 v32, s0, v31, 0x3ecc95a3
	v_mul_f32_e32 v33, v29, v31
	v_cmp_eq_f32_e64 s0, 0x7f800000, v11
	s_delay_alu instid0(VALU_DEP_3) | instskip(SKIP_2) | instid1(VALU_DEP_4)
	v_fmaak_f32 v31, v31, v32, 0x3f2aaada
	v_ldexp_f32 v32, v29, 1
	v_sub_f32_e32 v29, v29, v30
	s_or_b32 s0, s0, s23
	s_delay_alu instid0(VALU_DEP_3) | instskip(SKIP_1) | instid1(VALU_DEP_2)
	v_mul_f32_e32 v31, v33, v31
	v_mul_f32_e32 v33, 0x3f317218, v27
	v_dual_sub_f32 v13, v13, v29 :: v_dual_add_f32 v30, v32, v31
	s_delay_alu instid0(VALU_DEP_1) | instskip(NEXT) | instid1(VALU_DEP_2)
	v_ldexp_f32 v13, v13, 1
	v_sub_f32_e32 v29, v30, v32
	s_delay_alu instid0(VALU_DEP_4) | instskip(NEXT) | instid1(VALU_DEP_2)
	v_fma_f32 v32, 0x3f317218, v27, -v33
	v_sub_f32_e32 v29, v31, v29
	s_delay_alu instid0(VALU_DEP_2) | instskip(NEXT) | instid1(VALU_DEP_2)
	v_fmamk_f32 v27, v27, 0xb102e308, v32
	v_add_f32_e32 v13, v13, v29
	s_delay_alu instid0(VALU_DEP_2) | instskip(NEXT) | instid1(VALU_DEP_2)
	v_add_f32_e32 v29, v33, v27
	v_add_f32_e32 v31, v30, v13
	s_delay_alu instid0(VALU_DEP_2) | instskip(NEXT) | instid1(VALU_DEP_2)
	v_sub_f32_e32 v33, v29, v33
	v_add_f32_e32 v32, v29, v31
	v_sub_f32_e32 v30, v31, v30
	s_delay_alu instid0(VALU_DEP_3) | instskip(NEXT) | instid1(VALU_DEP_2)
	v_sub_f32_e32 v27, v27, v33
	v_dual_sub_f32 v34, v32, v29 :: v_dual_sub_f32 v13, v13, v30
	s_delay_alu instid0(VALU_DEP_1) | instskip(SKIP_1) | instid1(VALU_DEP_3)
	v_sub_f32_e32 v35, v32, v34
	v_sub_f32_e32 v30, v31, v34
	v_add_f32_e32 v31, v27, v13
	s_delay_alu instid0(VALU_DEP_3) | instskip(NEXT) | instid1(VALU_DEP_1)
	v_sub_f32_e32 v29, v29, v35
	v_dual_add_f32 v29, v30, v29 :: v_dual_sub_f32 v30, v31, v27
	s_delay_alu instid0(VALU_DEP_1) | instskip(NEXT) | instid1(VALU_DEP_2)
	v_add_f32_e32 v29, v31, v29
	v_sub_f32_e32 v31, v31, v30
	v_sub_f32_e32 v13, v13, v30
	s_delay_alu instid0(VALU_DEP_3) | instskip(NEXT) | instid1(VALU_DEP_1)
	v_add_f32_e32 v33, v32, v29
	v_dual_sub_f32 v27, v27, v31 :: v_dual_sub_f32 v30, v33, v32
	s_delay_alu instid0(VALU_DEP_1) | instskip(NEXT) | instid1(VALU_DEP_2)
	v_add_f32_e32 v13, v13, v27
	v_sub_f32_e32 v27, v29, v30
	s_delay_alu instid0(VALU_DEP_1) | instskip(NEXT) | instid1(VALU_DEP_1)
	v_add_f32_e32 v13, v13, v27
	v_add_f32_e32 v13, v33, v13
	s_delay_alu instid0(VALU_DEP_1) | instskip(NEXT) | instid1(VALU_DEP_1)
	v_cndmask_b32_e64 v11, v13, v11, s0
	v_add_f32_e32 v11, v26, v11
	s_delay_alu instid0(VALU_DEP_1) | instskip(NEXT) | instid1(VALU_DEP_1)
	v_cvt_f16_f32_e32 v30, v11
	v_cvt_f32_f16_e32 v13, v30
	v_mov_b32_e32 v11, v30
.LBB380_138:
	s_or_b32 exec_lo, exec_lo, s1
	s_delay_alu instid0(VALU_DEP_2) | instskip(SKIP_1) | instid1(VALU_DEP_2)
	v_dual_max_f32 v26, v19, v19 :: v_dual_max_f32 v27, v13, v13
	v_cmp_u_f16_e64 s0, v30, v30
	v_min_f32_e32 v29, v27, v26
	v_max_f32_e32 v26, v27, v26
	s_delay_alu instid0(VALU_DEP_2) | instskip(NEXT) | instid1(VALU_DEP_2)
	v_cndmask_b32_e64 v27, v29, v13, s0
	v_cndmask_b32_e64 v26, v26, v13, s0
	s_delay_alu instid0(VALU_DEP_2) | instskip(NEXT) | instid1(VALU_DEP_2)
	v_cndmask_b32_e64 v27, v27, v19, s31
	v_cndmask_b32_e64 v26, v26, v19, s31
	v_mov_b32_e32 v19, v11
	s_delay_alu instid0(VALU_DEP_3) | instskip(NEXT) | instid1(VALU_DEP_3)
	v_cmp_class_f32_e64 s1, v27, 0x1f8
	v_cmp_neq_f32_e64 s0, v27, v26
	s_delay_alu instid0(VALU_DEP_1) | instskip(NEXT) | instid1(SALU_CYCLE_1)
	s_or_b32 s0, s0, s1
	s_and_saveexec_b32 s1, s0
	s_cbranch_execz .LBB380_140
; %bb.139:
	v_sub_f32_e32 v13, v27, v26
	s_delay_alu instid0(VALU_DEP_1) | instskip(SKIP_1) | instid1(VALU_DEP_2)
	v_mul_f32_e32 v19, 0x3fb8aa3b, v13
	v_cmp_ngt_f32_e64 s0, 0xc2ce8ed0, v13
	v_fma_f32 v27, 0x3fb8aa3b, v13, -v19
	v_rndne_f32_e32 v29, v19
	s_delay_alu instid0(VALU_DEP_2) | instskip(NEXT) | instid1(VALU_DEP_2)
	v_fmamk_f32 v27, v13, 0x32a5705f, v27
	v_sub_f32_e32 v19, v19, v29
	s_delay_alu instid0(VALU_DEP_1) | instskip(SKIP_1) | instid1(VALU_DEP_2)
	v_add_f32_e32 v19, v19, v27
	v_cvt_i32_f32_e32 v27, v29
	v_exp_f32_e32 v19, v19
	s_waitcnt_depctr 0xfff
	v_ldexp_f32 v19, v19, v27
	s_delay_alu instid0(VALU_DEP_1) | instskip(SKIP_1) | instid1(VALU_DEP_1)
	v_cndmask_b32_e64 v19, 0, v19, s0
	v_cmp_nlt_f32_e64 s0, 0x42b17218, v13
	v_cndmask_b32_e64 v13, 0x7f800000, v19, s0
	s_delay_alu instid0(VALU_DEP_1) | instskip(SKIP_1) | instid1(VALU_DEP_2)
	v_add_f32_e32 v19, 1.0, v13
	v_cmp_gt_f32_e64 s23, 0x33800000, |v13|
	v_cvt_f64_f32_e32 v[29:30], v19
	s_delay_alu instid0(VALU_DEP_1) | instskip(SKIP_1) | instid1(VALU_DEP_1)
	v_frexp_exp_i32_f64_e32 v27, v[29:30]
	v_frexp_mant_f32_e32 v29, v19
	v_cmp_gt_f32_e64 s0, 0x3f2aaaab, v29
	v_add_f32_e32 v29, -1.0, v19
	s_delay_alu instid0(VALU_DEP_1) | instskip(SKIP_1) | instid1(VALU_DEP_2)
	v_sub_f32_e32 v31, v29, v19
	v_sub_f32_e32 v29, v13, v29
	v_add_f32_e32 v31, 1.0, v31
	s_delay_alu instid0(VALU_DEP_1) | instskip(SKIP_2) | instid1(VALU_DEP_1)
	v_add_f32_e32 v29, v29, v31
	v_subrev_co_ci_u32_e64 v27, s0, 0, v27, s0
	s_mov_b32 s0, 0x3e9b6dac
	v_sub_nc_u32_e32 v30, 0, v27
	v_cvt_f32_i32_e32 v27, v27
	s_delay_alu instid0(VALU_DEP_2) | instskip(SKIP_1) | instid1(VALU_DEP_2)
	v_ldexp_f32 v19, v19, v30
	v_ldexp_f32 v29, v29, v30
	v_add_f32_e32 v32, 1.0, v19
	s_delay_alu instid0(VALU_DEP_1) | instskip(NEXT) | instid1(VALU_DEP_1)
	v_dual_add_f32 v30, -1.0, v19 :: v_dual_add_f32 v31, -1.0, v32
	v_add_f32_e32 v33, 1.0, v30
	s_delay_alu instid0(VALU_DEP_2) | instskip(NEXT) | instid1(VALU_DEP_2)
	v_sub_f32_e32 v31, v19, v31
	v_sub_f32_e32 v19, v19, v33
	s_delay_alu instid0(VALU_DEP_2) | instskip(NEXT) | instid1(VALU_DEP_2)
	v_add_f32_e32 v31, v29, v31
	v_add_f32_e32 v19, v29, v19
	s_delay_alu instid0(VALU_DEP_2) | instskip(NEXT) | instid1(VALU_DEP_2)
	v_add_f32_e32 v33, v32, v31
	v_add_f32_e32 v34, v30, v19
	s_delay_alu instid0(VALU_DEP_2) | instskip(SKIP_1) | instid1(VALU_DEP_1)
	v_rcp_f32_e32 v29, v33
	v_sub_f32_e32 v32, v32, v33
	v_dual_sub_f32 v30, v30, v34 :: v_dual_add_f32 v31, v31, v32
	s_delay_alu instid0(VALU_DEP_1) | instskip(SKIP_2) | instid1(VALU_DEP_1)
	v_add_f32_e32 v19, v19, v30
	s_waitcnt_depctr 0xfff
	v_mul_f32_e32 v35, v34, v29
	v_mul_f32_e32 v36, v33, v35
	s_delay_alu instid0(VALU_DEP_1) | instskip(NEXT) | instid1(VALU_DEP_1)
	v_fma_f32 v32, v35, v33, -v36
	v_fmac_f32_e32 v32, v35, v31
	s_delay_alu instid0(VALU_DEP_1) | instskip(NEXT) | instid1(VALU_DEP_1)
	v_add_f32_e32 v37, v36, v32
	v_sub_f32_e32 v38, v34, v37
	v_sub_f32_e32 v30, v37, v36
	s_delay_alu instid0(VALU_DEP_2) | instskip(NEXT) | instid1(VALU_DEP_2)
	v_sub_f32_e32 v34, v34, v38
	v_sub_f32_e32 v30, v30, v32
	s_delay_alu instid0(VALU_DEP_2) | instskip(NEXT) | instid1(VALU_DEP_1)
	v_sub_f32_e32 v34, v34, v37
	v_add_f32_e32 v19, v19, v34
	s_delay_alu instid0(VALU_DEP_1) | instskip(NEXT) | instid1(VALU_DEP_1)
	v_add_f32_e32 v19, v30, v19
	v_add_f32_e32 v30, v38, v19
	s_delay_alu instid0(VALU_DEP_1) | instskip(NEXT) | instid1(VALU_DEP_1)
	v_mul_f32_e32 v32, v29, v30
	v_dual_sub_f32 v37, v38, v30 :: v_dual_mul_f32 v34, v33, v32
	s_delay_alu instid0(VALU_DEP_1) | instskip(NEXT) | instid1(VALU_DEP_2)
	v_add_f32_e32 v19, v19, v37
	v_fma_f32 v33, v32, v33, -v34
	s_delay_alu instid0(VALU_DEP_1) | instskip(NEXT) | instid1(VALU_DEP_1)
	v_fmac_f32_e32 v33, v32, v31
	v_add_f32_e32 v31, v34, v33
	s_delay_alu instid0(VALU_DEP_1) | instskip(SKIP_1) | instid1(VALU_DEP_2)
	v_sub_f32_e32 v36, v30, v31
	v_sub_f32_e32 v34, v31, v34
	;; [unrolled: 1-line block ×3, first 2 shown]
	s_delay_alu instid0(VALU_DEP_1) | instskip(NEXT) | instid1(VALU_DEP_3)
	v_sub_f32_e32 v30, v30, v31
	v_sub_f32_e32 v31, v34, v33
	s_delay_alu instid0(VALU_DEP_2) | instskip(SKIP_1) | instid1(VALU_DEP_2)
	v_add_f32_e32 v19, v19, v30
	v_add_f32_e32 v30, v35, v32
	;; [unrolled: 1-line block ×3, first 2 shown]
	s_delay_alu instid0(VALU_DEP_2) | instskip(NEXT) | instid1(VALU_DEP_2)
	v_sub_f32_e32 v31, v30, v35
	v_add_f32_e32 v19, v36, v19
	s_delay_alu instid0(VALU_DEP_2) | instskip(NEXT) | instid1(VALU_DEP_2)
	v_sub_f32_e32 v31, v32, v31
	v_mul_f32_e32 v19, v29, v19
	s_delay_alu instid0(VALU_DEP_1) | instskip(NEXT) | instid1(VALU_DEP_1)
	v_add_f32_e32 v19, v31, v19
	v_add_f32_e32 v29, v30, v19
	s_delay_alu instid0(VALU_DEP_1) | instskip(NEXT) | instid1(VALU_DEP_1)
	v_mul_f32_e32 v31, v29, v29
	v_fmaak_f32 v32, s0, v31, 0x3ecc95a3
	v_mul_f32_e32 v33, v29, v31
	v_cmp_eq_f32_e64 s0, 0x7f800000, v13
	s_delay_alu instid0(VALU_DEP_3) | instskip(SKIP_2) | instid1(VALU_DEP_4)
	v_fmaak_f32 v31, v31, v32, 0x3f2aaada
	v_ldexp_f32 v32, v29, 1
	v_sub_f32_e32 v29, v29, v30
	s_or_b32 s0, s0, s23
	s_delay_alu instid0(VALU_DEP_3) | instskip(SKIP_1) | instid1(VALU_DEP_2)
	v_mul_f32_e32 v31, v33, v31
	v_mul_f32_e32 v33, 0x3f317218, v27
	v_dual_sub_f32 v19, v19, v29 :: v_dual_add_f32 v30, v32, v31
	s_delay_alu instid0(VALU_DEP_1) | instskip(NEXT) | instid1(VALU_DEP_2)
	v_ldexp_f32 v19, v19, 1
	v_sub_f32_e32 v29, v30, v32
	s_delay_alu instid0(VALU_DEP_4) | instskip(NEXT) | instid1(VALU_DEP_2)
	v_fma_f32 v32, 0x3f317218, v27, -v33
	v_sub_f32_e32 v29, v31, v29
	s_delay_alu instid0(VALU_DEP_2) | instskip(NEXT) | instid1(VALU_DEP_2)
	v_fmamk_f32 v27, v27, 0xb102e308, v32
	v_add_f32_e32 v19, v19, v29
	s_delay_alu instid0(VALU_DEP_2) | instskip(NEXT) | instid1(VALU_DEP_2)
	v_add_f32_e32 v29, v33, v27
	v_add_f32_e32 v31, v30, v19
	s_delay_alu instid0(VALU_DEP_2) | instskip(NEXT) | instid1(VALU_DEP_2)
	v_sub_f32_e32 v33, v29, v33
	v_add_f32_e32 v32, v29, v31
	v_sub_f32_e32 v30, v31, v30
	s_delay_alu instid0(VALU_DEP_3) | instskip(NEXT) | instid1(VALU_DEP_2)
	v_sub_f32_e32 v27, v27, v33
	v_dual_sub_f32 v34, v32, v29 :: v_dual_sub_f32 v19, v19, v30
	s_delay_alu instid0(VALU_DEP_1) | instskip(SKIP_1) | instid1(VALU_DEP_3)
	v_sub_f32_e32 v35, v32, v34
	v_sub_f32_e32 v30, v31, v34
	v_add_f32_e32 v31, v27, v19
	s_delay_alu instid0(VALU_DEP_3) | instskip(NEXT) | instid1(VALU_DEP_1)
	v_sub_f32_e32 v29, v29, v35
	v_dual_add_f32 v29, v30, v29 :: v_dual_sub_f32 v30, v31, v27
	s_delay_alu instid0(VALU_DEP_1) | instskip(NEXT) | instid1(VALU_DEP_2)
	v_add_f32_e32 v29, v31, v29
	v_sub_f32_e32 v31, v31, v30
	v_sub_f32_e32 v19, v19, v30
	s_delay_alu instid0(VALU_DEP_3) | instskip(NEXT) | instid1(VALU_DEP_1)
	v_add_f32_e32 v33, v32, v29
	v_dual_sub_f32 v27, v27, v31 :: v_dual_sub_f32 v30, v33, v32
	s_delay_alu instid0(VALU_DEP_1) | instskip(NEXT) | instid1(VALU_DEP_2)
	v_add_f32_e32 v19, v19, v27
	v_sub_f32_e32 v27, v29, v30
	s_delay_alu instid0(VALU_DEP_1) | instskip(NEXT) | instid1(VALU_DEP_1)
	v_add_f32_e32 v19, v19, v27
	v_add_f32_e32 v19, v33, v19
	s_delay_alu instid0(VALU_DEP_1) | instskip(NEXT) | instid1(VALU_DEP_1)
	v_cndmask_b32_e64 v13, v19, v13, s0
	v_add_f32_e32 v13, v26, v13
	s_delay_alu instid0(VALU_DEP_1) | instskip(NEXT) | instid1(VALU_DEP_1)
	v_cvt_f16_f32_e32 v30, v13
	v_cvt_f32_f16_e32 v13, v30
	v_mov_b32_e32 v19, v30
.LBB380_140:
	s_or_b32 exec_lo, exec_lo, s1
	s_delay_alu instid0(VALU_DEP_2) | instskip(SKIP_1) | instid1(VALU_DEP_2)
	v_dual_max_f32 v26, v8, v8 :: v_dual_max_f32 v27, v13, v13
	v_cmp_u_f16_e64 s0, v30, v30
	v_min_f32_e32 v29, v27, v26
	v_max_f32_e32 v26, v27, v26
	s_delay_alu instid0(VALU_DEP_2) | instskip(NEXT) | instid1(VALU_DEP_2)
	v_cndmask_b32_e64 v27, v29, v13, s0
	v_cndmask_b32_e64 v26, v26, v13, s0
	s_delay_alu instid0(VALU_DEP_2) | instskip(NEXT) | instid1(VALU_DEP_2)
	v_cndmask_b32_e64 v27, v27, v8, s33
	v_cndmask_b32_e64 v26, v26, v8, s33
	v_mov_b32_e32 v8, v19
	s_delay_alu instid0(VALU_DEP_3) | instskip(NEXT) | instid1(VALU_DEP_3)
	v_cmp_class_f32_e64 s1, v27, 0x1f8
	v_cmp_neq_f32_e64 s0, v27, v26
	s_delay_alu instid0(VALU_DEP_1) | instskip(NEXT) | instid1(SALU_CYCLE_1)
	s_or_b32 s0, s0, s1
	s_and_saveexec_b32 s1, s0
	s_cbranch_execz .LBB380_142
; %bb.141:
	v_sub_f32_e32 v8, v27, v26
	s_delay_alu instid0(VALU_DEP_1) | instskip(NEXT) | instid1(VALU_DEP_1)
	v_mul_f32_e32 v13, 0x3fb8aa3b, v8
	v_fma_f32 v27, 0x3fb8aa3b, v8, -v13
	v_rndne_f32_e32 v29, v13
	s_delay_alu instid0(VALU_DEP_1) | instskip(NEXT) | instid1(VALU_DEP_3)
	v_sub_f32_e32 v13, v13, v29
	v_fmamk_f32 v27, v8, 0x32a5705f, v27
	v_cmp_ngt_f32_e64 s0, 0xc2ce8ed0, v8
	s_delay_alu instid0(VALU_DEP_2) | instskip(SKIP_1) | instid1(VALU_DEP_2)
	v_add_f32_e32 v13, v13, v27
	v_cvt_i32_f32_e32 v27, v29
	v_exp_f32_e32 v13, v13
	s_waitcnt_depctr 0xfff
	v_ldexp_f32 v13, v13, v27
	s_delay_alu instid0(VALU_DEP_1) | instskip(SKIP_1) | instid1(VALU_DEP_1)
	v_cndmask_b32_e64 v13, 0, v13, s0
	v_cmp_nlt_f32_e64 s0, 0x42b17218, v8
	v_cndmask_b32_e64 v8, 0x7f800000, v13, s0
	s_delay_alu instid0(VALU_DEP_1) | instskip(SKIP_1) | instid1(VALU_DEP_2)
	v_add_f32_e32 v13, 1.0, v8
	v_cmp_gt_f32_e64 s23, 0x33800000, |v8|
	v_cvt_f64_f32_e32 v[29:30], v13
	s_delay_alu instid0(VALU_DEP_1) | instskip(SKIP_1) | instid1(VALU_DEP_1)
	v_frexp_exp_i32_f64_e32 v27, v[29:30]
	v_frexp_mant_f32_e32 v29, v13
	v_cmp_gt_f32_e64 s0, 0x3f2aaaab, v29
	v_add_f32_e32 v29, -1.0, v13
	s_delay_alu instid0(VALU_DEP_1) | instskip(SKIP_1) | instid1(VALU_DEP_4)
	v_sub_f32_e32 v31, v29, v13
	v_sub_f32_e32 v29, v8, v29
	v_subrev_co_ci_u32_e64 v27, s0, 0, v27, s0
	s_mov_b32 s0, 0x3e9b6dac
	s_delay_alu instid0(VALU_DEP_1) | instskip(SKIP_1) | instid1(VALU_DEP_2)
	v_sub_nc_u32_e32 v30, 0, v27
	v_cvt_f32_i32_e32 v27, v27
	v_ldexp_f32 v13, v13, v30
	s_delay_alu instid0(VALU_DEP_1) | instskip(NEXT) | instid1(VALU_DEP_1)
	v_dual_add_f32 v31, 1.0, v31 :: v_dual_add_f32 v32, 1.0, v13
	v_add_f32_e32 v29, v29, v31
	s_delay_alu instid0(VALU_DEP_2) | instskip(NEXT) | instid1(VALU_DEP_2)
	v_add_f32_e32 v31, -1.0, v32
	v_ldexp_f32 v29, v29, v30
	s_delay_alu instid0(VALU_DEP_2) | instskip(NEXT) | instid1(VALU_DEP_1)
	v_dual_add_f32 v30, -1.0, v13 :: v_dual_sub_f32 v31, v13, v31
	v_add_f32_e32 v33, 1.0, v30
	s_delay_alu instid0(VALU_DEP_2) | instskip(NEXT) | instid1(VALU_DEP_2)
	v_add_f32_e32 v31, v29, v31
	v_sub_f32_e32 v13, v13, v33
	s_delay_alu instid0(VALU_DEP_2) | instskip(NEXT) | instid1(VALU_DEP_2)
	v_add_f32_e32 v33, v32, v31
	v_add_f32_e32 v13, v29, v13
	s_delay_alu instid0(VALU_DEP_2) | instskip(SKIP_1) | instid1(VALU_DEP_1)
	v_rcp_f32_e32 v29, v33
	v_sub_f32_e32 v32, v32, v33
	v_dual_add_f32 v34, v30, v13 :: v_dual_add_f32 v31, v31, v32
	s_delay_alu instid0(VALU_DEP_1) | instskip(SKIP_3) | instid1(VALU_DEP_2)
	v_sub_f32_e32 v30, v30, v34
	s_waitcnt_depctr 0xfff
	v_mul_f32_e32 v35, v34, v29
	v_add_f32_e32 v13, v13, v30
	v_mul_f32_e32 v36, v33, v35
	s_delay_alu instid0(VALU_DEP_1) | instskip(NEXT) | instid1(VALU_DEP_1)
	v_fma_f32 v32, v35, v33, -v36
	v_fmac_f32_e32 v32, v35, v31
	s_delay_alu instid0(VALU_DEP_1) | instskip(NEXT) | instid1(VALU_DEP_1)
	v_add_f32_e32 v37, v36, v32
	v_sub_f32_e32 v38, v34, v37
	v_sub_f32_e32 v30, v37, v36
	s_delay_alu instid0(VALU_DEP_2) | instskip(NEXT) | instid1(VALU_DEP_2)
	v_sub_f32_e32 v34, v34, v38
	v_sub_f32_e32 v30, v30, v32
	s_delay_alu instid0(VALU_DEP_2) | instskip(NEXT) | instid1(VALU_DEP_1)
	v_sub_f32_e32 v34, v34, v37
	v_add_f32_e32 v13, v13, v34
	s_delay_alu instid0(VALU_DEP_1) | instskip(NEXT) | instid1(VALU_DEP_1)
	v_add_f32_e32 v13, v30, v13
	v_add_f32_e32 v30, v38, v13
	s_delay_alu instid0(VALU_DEP_1) | instskip(NEXT) | instid1(VALU_DEP_1)
	v_mul_f32_e32 v32, v29, v30
	v_dual_sub_f32 v37, v38, v30 :: v_dual_mul_f32 v34, v33, v32
	s_delay_alu instid0(VALU_DEP_1) | instskip(NEXT) | instid1(VALU_DEP_2)
	v_add_f32_e32 v13, v13, v37
	v_fma_f32 v33, v32, v33, -v34
	s_delay_alu instid0(VALU_DEP_1) | instskip(NEXT) | instid1(VALU_DEP_1)
	v_fmac_f32_e32 v33, v32, v31
	v_add_f32_e32 v31, v34, v33
	s_delay_alu instid0(VALU_DEP_1) | instskip(SKIP_1) | instid1(VALU_DEP_2)
	v_sub_f32_e32 v36, v30, v31
	v_sub_f32_e32 v34, v31, v34
	;; [unrolled: 1-line block ×3, first 2 shown]
	s_delay_alu instid0(VALU_DEP_1) | instskip(NEXT) | instid1(VALU_DEP_3)
	v_sub_f32_e32 v30, v30, v31
	v_sub_f32_e32 v31, v34, v33
	s_delay_alu instid0(VALU_DEP_2) | instskip(NEXT) | instid1(VALU_DEP_1)
	v_dual_add_f32 v13, v13, v30 :: v_dual_add_f32 v30, v35, v32
	v_add_f32_e32 v13, v31, v13
	s_delay_alu instid0(VALU_DEP_2) | instskip(NEXT) | instid1(VALU_DEP_2)
	v_sub_f32_e32 v31, v30, v35
	v_add_f32_e32 v13, v36, v13
	s_delay_alu instid0(VALU_DEP_2) | instskip(NEXT) | instid1(VALU_DEP_2)
	v_sub_f32_e32 v31, v32, v31
	v_mul_f32_e32 v13, v29, v13
	s_delay_alu instid0(VALU_DEP_1) | instskip(NEXT) | instid1(VALU_DEP_1)
	v_add_f32_e32 v13, v31, v13
	v_add_f32_e32 v29, v30, v13
	s_delay_alu instid0(VALU_DEP_1) | instskip(NEXT) | instid1(VALU_DEP_1)
	v_mul_f32_e32 v31, v29, v29
	v_fmaak_f32 v32, s0, v31, 0x3ecc95a3
	v_mul_f32_e32 v33, v29, v31
	v_cmp_eq_f32_e64 s0, 0x7f800000, v8
	s_delay_alu instid0(VALU_DEP_3) | instskip(SKIP_2) | instid1(VALU_DEP_4)
	v_fmaak_f32 v31, v31, v32, 0x3f2aaada
	v_ldexp_f32 v32, v29, 1
	v_sub_f32_e32 v29, v29, v30
	s_or_b32 s0, s0, s23
	s_delay_alu instid0(VALU_DEP_3) | instskip(SKIP_1) | instid1(VALU_DEP_2)
	v_mul_f32_e32 v31, v33, v31
	v_mul_f32_e32 v33, 0x3f317218, v27
	v_dual_sub_f32 v13, v13, v29 :: v_dual_add_f32 v30, v32, v31
	s_delay_alu instid0(VALU_DEP_1) | instskip(NEXT) | instid1(VALU_DEP_2)
	v_ldexp_f32 v13, v13, 1
	v_sub_f32_e32 v29, v30, v32
	s_delay_alu instid0(VALU_DEP_4) | instskip(NEXT) | instid1(VALU_DEP_2)
	v_fma_f32 v32, 0x3f317218, v27, -v33
	v_sub_f32_e32 v29, v31, v29
	s_delay_alu instid0(VALU_DEP_2) | instskip(NEXT) | instid1(VALU_DEP_2)
	v_fmamk_f32 v27, v27, 0xb102e308, v32
	v_add_f32_e32 v13, v13, v29
	s_delay_alu instid0(VALU_DEP_2) | instskip(NEXT) | instid1(VALU_DEP_2)
	v_add_f32_e32 v29, v33, v27
	v_add_f32_e32 v31, v30, v13
	s_delay_alu instid0(VALU_DEP_2) | instskip(NEXT) | instid1(VALU_DEP_2)
	v_sub_f32_e32 v33, v29, v33
	v_add_f32_e32 v32, v29, v31
	v_sub_f32_e32 v30, v31, v30
	s_delay_alu instid0(VALU_DEP_3) | instskip(NEXT) | instid1(VALU_DEP_2)
	v_sub_f32_e32 v27, v27, v33
	v_dual_sub_f32 v34, v32, v29 :: v_dual_sub_f32 v13, v13, v30
	s_delay_alu instid0(VALU_DEP_1) | instskip(SKIP_1) | instid1(VALU_DEP_3)
	v_sub_f32_e32 v35, v32, v34
	v_sub_f32_e32 v30, v31, v34
	v_add_f32_e32 v31, v27, v13
	s_delay_alu instid0(VALU_DEP_3) | instskip(NEXT) | instid1(VALU_DEP_1)
	v_sub_f32_e32 v29, v29, v35
	v_dual_add_f32 v29, v30, v29 :: v_dual_sub_f32 v30, v31, v27
	s_delay_alu instid0(VALU_DEP_1) | instskip(NEXT) | instid1(VALU_DEP_2)
	v_add_f32_e32 v29, v31, v29
	v_sub_f32_e32 v31, v31, v30
	v_sub_f32_e32 v13, v13, v30
	s_delay_alu instid0(VALU_DEP_3) | instskip(NEXT) | instid1(VALU_DEP_1)
	v_add_f32_e32 v33, v32, v29
	v_dual_sub_f32 v27, v27, v31 :: v_dual_sub_f32 v30, v33, v32
	s_delay_alu instid0(VALU_DEP_1) | instskip(NEXT) | instid1(VALU_DEP_2)
	v_add_f32_e32 v13, v13, v27
	v_sub_f32_e32 v27, v29, v30
	s_delay_alu instid0(VALU_DEP_1) | instskip(NEXT) | instid1(VALU_DEP_1)
	v_add_f32_e32 v13, v13, v27
	v_add_f32_e32 v13, v33, v13
	s_delay_alu instid0(VALU_DEP_1) | instskip(NEXT) | instid1(VALU_DEP_1)
	v_cndmask_b32_e64 v8, v13, v8, s0
	v_add_f32_e32 v8, v26, v8
	s_delay_alu instid0(VALU_DEP_1) | instskip(NEXT) | instid1(VALU_DEP_1)
	v_cvt_f16_f32_e32 v30, v8
	v_mov_b32_e32 v8, v30
	v_cvt_f32_f16_e32 v13, v30
.LBB380_142:
	s_or_b32 exec_lo, exec_lo, s1
	s_delay_alu instid0(VALU_DEP_1) | instskip(SKIP_1) | instid1(VALU_DEP_2)
	v_dual_max_f32 v26, v20, v20 :: v_dual_max_f32 v27, v13, v13
	v_cmp_u_f16_e64 s0, v30, v30
	v_min_f32_e32 v29, v27, v26
	v_max_f32_e32 v26, v27, v26
	s_delay_alu instid0(VALU_DEP_2) | instskip(NEXT) | instid1(VALU_DEP_2)
	v_cndmask_b32_e64 v27, v29, v13, s0
	v_cndmask_b32_e64 v26, v26, v13, s0
	s_delay_alu instid0(VALU_DEP_2) | instskip(NEXT) | instid1(VALU_DEP_2)
	v_cndmask_b32_e64 v27, v27, v20, s34
	v_cndmask_b32_e64 v26, v26, v20, s34
	v_mov_b32_e32 v20, v8
	s_delay_alu instid0(VALU_DEP_3) | instskip(NEXT) | instid1(VALU_DEP_3)
	v_cmp_class_f32_e64 s1, v27, 0x1f8
	v_cmp_neq_f32_e64 s0, v27, v26
	s_delay_alu instid0(VALU_DEP_1) | instskip(NEXT) | instid1(SALU_CYCLE_1)
	s_or_b32 s0, s0, s1
	s_and_saveexec_b32 s1, s0
	s_cbranch_execz .LBB380_144
; %bb.143:
	v_sub_f32_e32 v13, v27, v26
	s_delay_alu instid0(VALU_DEP_1) | instskip(NEXT) | instid1(VALU_DEP_1)
	v_mul_f32_e32 v20, 0x3fb8aa3b, v13
	v_fma_f32 v27, 0x3fb8aa3b, v13, -v20
	v_rndne_f32_e32 v29, v20
	s_delay_alu instid0(VALU_DEP_1) | instskip(SKIP_1) | instid1(VALU_DEP_2)
	v_dual_sub_f32 v20, v20, v29 :: v_dual_fmamk_f32 v27, v13, 0x32a5705f, v27
	v_cmp_ngt_f32_e64 s0, 0xc2ce8ed0, v13
	v_add_f32_e32 v20, v20, v27
	v_cvt_i32_f32_e32 v27, v29
	s_delay_alu instid0(VALU_DEP_2) | instskip(SKIP_2) | instid1(VALU_DEP_1)
	v_exp_f32_e32 v20, v20
	s_waitcnt_depctr 0xfff
	v_ldexp_f32 v20, v20, v27
	v_cndmask_b32_e64 v20, 0, v20, s0
	v_cmp_nlt_f32_e64 s0, 0x42b17218, v13
	s_delay_alu instid0(VALU_DEP_1) | instskip(NEXT) | instid1(VALU_DEP_1)
	v_cndmask_b32_e64 v13, 0x7f800000, v20, s0
	v_add_f32_e32 v20, 1.0, v13
	v_cmp_gt_f32_e64 s23, 0x33800000, |v13|
	s_delay_alu instid0(VALU_DEP_2) | instskip(NEXT) | instid1(VALU_DEP_1)
	v_cvt_f64_f32_e32 v[29:30], v20
	v_frexp_exp_i32_f64_e32 v27, v[29:30]
	v_frexp_mant_f32_e32 v29, v20
	s_delay_alu instid0(VALU_DEP_1) | instskip(SKIP_1) | instid1(VALU_DEP_1)
	v_cmp_gt_f32_e64 s0, 0x3f2aaaab, v29
	v_add_f32_e32 v29, -1.0, v20
	v_sub_f32_e32 v31, v29, v20
	v_sub_f32_e32 v29, v13, v29
	s_delay_alu instid0(VALU_DEP_2) | instskip(NEXT) | instid1(VALU_DEP_1)
	v_add_f32_e32 v31, 1.0, v31
	v_add_f32_e32 v29, v29, v31
	v_subrev_co_ci_u32_e64 v27, s0, 0, v27, s0
	s_mov_b32 s0, 0x3e9b6dac
	s_delay_alu instid0(VALU_DEP_1) | instskip(SKIP_1) | instid1(VALU_DEP_2)
	v_sub_nc_u32_e32 v30, 0, v27
	v_cvt_f32_i32_e32 v27, v27
	v_ldexp_f32 v20, v20, v30
	v_ldexp_f32 v29, v29, v30
	s_delay_alu instid0(VALU_DEP_2) | instskip(NEXT) | instid1(VALU_DEP_1)
	v_add_f32_e32 v32, 1.0, v20
	v_add_f32_e32 v31, -1.0, v32
	s_delay_alu instid0(VALU_DEP_1) | instskip(NEXT) | instid1(VALU_DEP_1)
	v_dual_add_f32 v30, -1.0, v20 :: v_dual_sub_f32 v31, v20, v31
	v_add_f32_e32 v33, 1.0, v30
	s_delay_alu instid0(VALU_DEP_1) | instskip(NEXT) | instid1(VALU_DEP_1)
	v_sub_f32_e32 v20, v20, v33
	v_add_f32_e32 v20, v29, v20
	s_delay_alu instid0(VALU_DEP_1) | instskip(NEXT) | instid1(VALU_DEP_1)
	v_dual_add_f32 v31, v29, v31 :: v_dual_add_f32 v34, v30, v20
	v_dual_add_f32 v33, v32, v31 :: v_dual_sub_f32 v30, v30, v34
	s_delay_alu instid0(VALU_DEP_1) | instskip(SKIP_1) | instid1(VALU_DEP_1)
	v_rcp_f32_e32 v29, v33
	v_sub_f32_e32 v32, v32, v33
	v_dual_add_f32 v20, v20, v30 :: v_dual_add_f32 v31, v31, v32
	s_waitcnt_depctr 0xfff
	v_mul_f32_e32 v35, v34, v29
	s_delay_alu instid0(VALU_DEP_1) | instskip(NEXT) | instid1(VALU_DEP_1)
	v_mul_f32_e32 v36, v33, v35
	v_fma_f32 v32, v35, v33, -v36
	s_delay_alu instid0(VALU_DEP_1) | instskip(NEXT) | instid1(VALU_DEP_1)
	v_fmac_f32_e32 v32, v35, v31
	v_add_f32_e32 v37, v36, v32
	s_delay_alu instid0(VALU_DEP_1) | instskip(NEXT) | instid1(VALU_DEP_1)
	v_sub_f32_e32 v38, v34, v37
	v_sub_f32_e32 v34, v34, v38
	;; [unrolled: 1-line block ×3, first 2 shown]
	s_delay_alu instid0(VALU_DEP_2) | instskip(NEXT) | instid1(VALU_DEP_2)
	v_sub_f32_e32 v34, v34, v37
	v_sub_f32_e32 v30, v30, v32
	s_delay_alu instid0(VALU_DEP_2) | instskip(NEXT) | instid1(VALU_DEP_1)
	v_add_f32_e32 v20, v20, v34
	v_add_f32_e32 v20, v30, v20
	s_delay_alu instid0(VALU_DEP_1) | instskip(NEXT) | instid1(VALU_DEP_1)
	v_add_f32_e32 v30, v38, v20
	v_mul_f32_e32 v32, v29, v30
	s_delay_alu instid0(VALU_DEP_1) | instskip(NEXT) | instid1(VALU_DEP_1)
	v_dual_sub_f32 v37, v38, v30 :: v_dual_mul_f32 v34, v33, v32
	v_add_f32_e32 v20, v20, v37
	s_delay_alu instid0(VALU_DEP_2) | instskip(NEXT) | instid1(VALU_DEP_1)
	v_fma_f32 v33, v32, v33, -v34
	v_fmac_f32_e32 v33, v32, v31
	s_delay_alu instid0(VALU_DEP_1) | instskip(NEXT) | instid1(VALU_DEP_1)
	v_add_f32_e32 v31, v34, v33
	v_sub_f32_e32 v36, v30, v31
	s_delay_alu instid0(VALU_DEP_1) | instskip(NEXT) | instid1(VALU_DEP_1)
	v_sub_f32_e32 v30, v30, v36
	v_sub_f32_e32 v30, v30, v31
	s_delay_alu instid0(VALU_DEP_1) | instskip(SKIP_2) | instid1(VALU_DEP_1)
	v_add_f32_e32 v20, v20, v30
	v_add_f32_e32 v30, v35, v32
	v_sub_f32_e32 v34, v31, v34
	v_sub_f32_e32 v31, v34, v33
	s_delay_alu instid0(VALU_DEP_1) | instskip(NEXT) | instid1(VALU_DEP_1)
	v_dual_add_f32 v20, v31, v20 :: v_dual_sub_f32 v31, v30, v35
	v_add_f32_e32 v20, v36, v20
	s_delay_alu instid0(VALU_DEP_1) | instskip(NEXT) | instid1(VALU_DEP_1)
	v_dual_sub_f32 v31, v32, v31 :: v_dual_mul_f32 v20, v29, v20
	v_add_f32_e32 v20, v31, v20
	s_delay_alu instid0(VALU_DEP_1) | instskip(NEXT) | instid1(VALU_DEP_1)
	v_add_f32_e32 v29, v30, v20
	v_mul_f32_e32 v31, v29, v29
	s_delay_alu instid0(VALU_DEP_1) | instskip(SKIP_2) | instid1(VALU_DEP_3)
	v_fmaak_f32 v32, s0, v31, 0x3ecc95a3
	v_mul_f32_e32 v33, v29, v31
	v_cmp_eq_f32_e64 s0, 0x7f800000, v13
	v_fmaak_f32 v31, v31, v32, 0x3f2aaada
	v_ldexp_f32 v32, v29, 1
	v_sub_f32_e32 v29, v29, v30
	s_delay_alu instid0(VALU_DEP_4) | instskip(NEXT) | instid1(VALU_DEP_3)
	s_or_b32 s0, s0, s23
	v_mul_f32_e32 v31, v33, v31
	s_delay_alu instid0(VALU_DEP_2) | instskip(NEXT) | instid1(VALU_DEP_2)
	v_dual_mul_f32 v33, 0x3f317218, v27 :: v_dual_sub_f32 v20, v20, v29
	v_add_f32_e32 v30, v32, v31
	s_delay_alu instid0(VALU_DEP_2) | instskip(NEXT) | instid1(VALU_DEP_2)
	v_ldexp_f32 v20, v20, 1
	v_sub_f32_e32 v29, v30, v32
	s_delay_alu instid0(VALU_DEP_4) | instskip(NEXT) | instid1(VALU_DEP_2)
	v_fma_f32 v32, 0x3f317218, v27, -v33
	v_sub_f32_e32 v29, v31, v29
	s_delay_alu instid0(VALU_DEP_1) | instskip(NEXT) | instid1(VALU_DEP_1)
	v_dual_fmamk_f32 v27, v27, 0xb102e308, v32 :: v_dual_add_f32 v20, v20, v29
	v_add_f32_e32 v29, v33, v27
	s_delay_alu instid0(VALU_DEP_1) | instskip(NEXT) | instid1(VALU_DEP_1)
	v_sub_f32_e32 v33, v29, v33
	v_sub_f32_e32 v27, v27, v33
	s_delay_alu instid0(VALU_DEP_4) | instskip(NEXT) | instid1(VALU_DEP_1)
	v_add_f32_e32 v31, v30, v20
	v_sub_f32_e32 v30, v31, v30
	s_delay_alu instid0(VALU_DEP_1) | instskip(SKIP_1) | instid1(VALU_DEP_1)
	v_sub_f32_e32 v20, v20, v30
	v_add_f32_e32 v32, v29, v31
	v_sub_f32_e32 v34, v32, v29
	s_delay_alu instid0(VALU_DEP_1) | instskip(NEXT) | instid1(VALU_DEP_4)
	v_sub_f32_e32 v30, v31, v34
	v_add_f32_e32 v31, v27, v20
	v_sub_f32_e32 v35, v32, v34
	s_delay_alu instid0(VALU_DEP_1) | instskip(NEXT) | instid1(VALU_DEP_1)
	v_sub_f32_e32 v29, v29, v35
	v_dual_add_f32 v29, v30, v29 :: v_dual_sub_f32 v30, v31, v27
	s_delay_alu instid0(VALU_DEP_1) | instskip(SKIP_1) | instid1(VALU_DEP_2)
	v_dual_add_f32 v29, v31, v29 :: v_dual_sub_f32 v20, v20, v30
	v_sub_f32_e32 v31, v31, v30
	v_add_f32_e32 v33, v32, v29
	s_delay_alu instid0(VALU_DEP_1) | instskip(NEXT) | instid1(VALU_DEP_1)
	v_dual_sub_f32 v27, v27, v31 :: v_dual_sub_f32 v30, v33, v32
	v_dual_add_f32 v20, v20, v27 :: v_dual_sub_f32 v27, v29, v30
	s_delay_alu instid0(VALU_DEP_1) | instskip(NEXT) | instid1(VALU_DEP_1)
	v_add_f32_e32 v20, v20, v27
	v_add_f32_e32 v20, v33, v20
	s_delay_alu instid0(VALU_DEP_1) | instskip(NEXT) | instid1(VALU_DEP_1)
	v_cndmask_b32_e64 v13, v20, v13, s0
	v_add_f32_e32 v13, v26, v13
	s_delay_alu instid0(VALU_DEP_1) | instskip(NEXT) | instid1(VALU_DEP_1)
	v_cvt_f16_f32_e32 v30, v13
	v_cvt_f32_f16_e32 v13, v30
	v_mov_b32_e32 v20, v30
.LBB380_144:
	s_or_b32 exec_lo, exec_lo, s1
	v_max_f32_e32 v26, v9, v9
	s_delay_alu instid0(VALU_DEP_3) | instskip(SKIP_1) | instid1(VALU_DEP_2)
	v_max_f32_e32 v27, v13, v13
	v_cmp_u_f16_e64 s0, v30, v30
	v_min_f32_e32 v29, v27, v26
	v_max_f32_e32 v26, v27, v26
	s_delay_alu instid0(VALU_DEP_2) | instskip(NEXT) | instid1(VALU_DEP_2)
	v_cndmask_b32_e64 v27, v29, v13, s0
	v_cndmask_b32_e64 v26, v26, v13, s0
	s_delay_alu instid0(VALU_DEP_2) | instskip(NEXT) | instid1(VALU_DEP_2)
	v_cndmask_b32_e64 v27, v27, v9, s35
	v_cndmask_b32_e64 v26, v26, v9, s35
	v_mov_b32_e32 v9, v20
	s_delay_alu instid0(VALU_DEP_3) | instskip(NEXT) | instid1(VALU_DEP_3)
	v_cmp_class_f32_e64 s1, v27, 0x1f8
	v_cmp_neq_f32_e64 s0, v27, v26
	s_delay_alu instid0(VALU_DEP_1) | instskip(NEXT) | instid1(SALU_CYCLE_1)
	s_or_b32 s0, s0, s1
	s_and_saveexec_b32 s1, s0
	s_cbranch_execz .LBB380_146
; %bb.145:
	v_sub_f32_e32 v9, v27, v26
	s_delay_alu instid0(VALU_DEP_1) | instskip(SKIP_1) | instid1(VALU_DEP_2)
	v_mul_f32_e32 v13, 0x3fb8aa3b, v9
	v_cmp_ngt_f32_e64 s0, 0xc2ce8ed0, v9
	v_fma_f32 v27, 0x3fb8aa3b, v9, -v13
	v_rndne_f32_e32 v29, v13
	s_delay_alu instid0(VALU_DEP_2) | instskip(NEXT) | instid1(VALU_DEP_2)
	v_fmamk_f32 v27, v9, 0x32a5705f, v27
	v_sub_f32_e32 v13, v13, v29
	s_delay_alu instid0(VALU_DEP_1) | instskip(SKIP_1) | instid1(VALU_DEP_2)
	v_add_f32_e32 v13, v13, v27
	v_cvt_i32_f32_e32 v27, v29
	v_exp_f32_e32 v13, v13
	s_waitcnt_depctr 0xfff
	v_ldexp_f32 v13, v13, v27
	s_delay_alu instid0(VALU_DEP_1) | instskip(SKIP_1) | instid1(VALU_DEP_1)
	v_cndmask_b32_e64 v13, 0, v13, s0
	v_cmp_nlt_f32_e64 s0, 0x42b17218, v9
	v_cndmask_b32_e64 v9, 0x7f800000, v13, s0
	s_delay_alu instid0(VALU_DEP_1) | instskip(SKIP_1) | instid1(VALU_DEP_2)
	v_add_f32_e32 v13, 1.0, v9
	v_cmp_gt_f32_e64 s23, 0x33800000, |v9|
	v_cvt_f64_f32_e32 v[29:30], v13
	s_delay_alu instid0(VALU_DEP_1) | instskip(SKIP_1) | instid1(VALU_DEP_1)
	v_frexp_exp_i32_f64_e32 v27, v[29:30]
	v_frexp_mant_f32_e32 v29, v13
	v_cmp_gt_f32_e64 s0, 0x3f2aaaab, v29
	v_add_f32_e32 v29, -1.0, v13
	s_delay_alu instid0(VALU_DEP_1) | instskip(SKIP_1) | instid1(VALU_DEP_2)
	v_sub_f32_e32 v31, v29, v13
	v_sub_f32_e32 v29, v9, v29
	v_add_f32_e32 v31, 1.0, v31
	s_delay_alu instid0(VALU_DEP_1) | instskip(SKIP_2) | instid1(VALU_DEP_1)
	v_add_f32_e32 v29, v29, v31
	v_subrev_co_ci_u32_e64 v27, s0, 0, v27, s0
	s_mov_b32 s0, 0x3e9b6dac
	v_sub_nc_u32_e32 v30, 0, v27
	v_cvt_f32_i32_e32 v27, v27
	s_delay_alu instid0(VALU_DEP_2) | instskip(SKIP_1) | instid1(VALU_DEP_2)
	v_ldexp_f32 v13, v13, v30
	v_ldexp_f32 v29, v29, v30
	v_add_f32_e32 v32, 1.0, v13
	s_delay_alu instid0(VALU_DEP_1) | instskip(NEXT) | instid1(VALU_DEP_1)
	v_dual_add_f32 v30, -1.0, v13 :: v_dual_add_f32 v31, -1.0, v32
	v_add_f32_e32 v33, 1.0, v30
	s_delay_alu instid0(VALU_DEP_2) | instskip(NEXT) | instid1(VALU_DEP_2)
	v_sub_f32_e32 v31, v13, v31
	v_sub_f32_e32 v13, v13, v33
	s_delay_alu instid0(VALU_DEP_2) | instskip(NEXT) | instid1(VALU_DEP_2)
	v_add_f32_e32 v31, v29, v31
	v_add_f32_e32 v13, v29, v13
	s_delay_alu instid0(VALU_DEP_1) | instskip(NEXT) | instid1(VALU_DEP_1)
	v_dual_add_f32 v33, v32, v31 :: v_dual_add_f32 v34, v30, v13
	v_rcp_f32_e32 v29, v33
	v_sub_f32_e32 v32, v32, v33
	s_delay_alu instid0(VALU_DEP_1) | instskip(SKIP_3) | instid1(VALU_DEP_2)
	v_dual_sub_f32 v30, v30, v34 :: v_dual_add_f32 v31, v31, v32
	s_waitcnt_depctr 0xfff
	v_mul_f32_e32 v35, v34, v29
	v_add_f32_e32 v13, v13, v30
	v_mul_f32_e32 v36, v33, v35
	s_delay_alu instid0(VALU_DEP_1) | instskip(NEXT) | instid1(VALU_DEP_1)
	v_fma_f32 v32, v35, v33, -v36
	v_fmac_f32_e32 v32, v35, v31
	s_delay_alu instid0(VALU_DEP_1) | instskip(NEXT) | instid1(VALU_DEP_1)
	v_add_f32_e32 v37, v36, v32
	v_sub_f32_e32 v38, v34, v37
	v_sub_f32_e32 v30, v37, v36
	s_delay_alu instid0(VALU_DEP_2) | instskip(NEXT) | instid1(VALU_DEP_2)
	v_sub_f32_e32 v34, v34, v38
	v_sub_f32_e32 v30, v30, v32
	s_delay_alu instid0(VALU_DEP_2) | instskip(NEXT) | instid1(VALU_DEP_1)
	v_sub_f32_e32 v34, v34, v37
	v_add_f32_e32 v13, v13, v34
	s_delay_alu instid0(VALU_DEP_1) | instskip(NEXT) | instid1(VALU_DEP_1)
	v_add_f32_e32 v13, v30, v13
	v_add_f32_e32 v30, v38, v13
	s_delay_alu instid0(VALU_DEP_1) | instskip(NEXT) | instid1(VALU_DEP_1)
	v_mul_f32_e32 v32, v29, v30
	v_dual_sub_f32 v37, v38, v30 :: v_dual_mul_f32 v34, v33, v32
	s_delay_alu instid0(VALU_DEP_1) | instskip(NEXT) | instid1(VALU_DEP_2)
	v_add_f32_e32 v13, v13, v37
	v_fma_f32 v33, v32, v33, -v34
	s_delay_alu instid0(VALU_DEP_1) | instskip(NEXT) | instid1(VALU_DEP_1)
	v_fmac_f32_e32 v33, v32, v31
	v_add_f32_e32 v31, v34, v33
	s_delay_alu instid0(VALU_DEP_1) | instskip(SKIP_1) | instid1(VALU_DEP_2)
	v_sub_f32_e32 v36, v30, v31
	v_sub_f32_e32 v34, v31, v34
	;; [unrolled: 1-line block ×3, first 2 shown]
	s_delay_alu instid0(VALU_DEP_1) | instskip(NEXT) | instid1(VALU_DEP_3)
	v_sub_f32_e32 v30, v30, v31
	v_sub_f32_e32 v31, v34, v33
	s_delay_alu instid0(VALU_DEP_2) | instskip(NEXT) | instid1(VALU_DEP_1)
	v_dual_add_f32 v13, v13, v30 :: v_dual_add_f32 v30, v35, v32
	v_add_f32_e32 v13, v31, v13
	s_delay_alu instid0(VALU_DEP_2) | instskip(NEXT) | instid1(VALU_DEP_2)
	v_sub_f32_e32 v31, v30, v35
	v_add_f32_e32 v13, v36, v13
	s_delay_alu instid0(VALU_DEP_2) | instskip(NEXT) | instid1(VALU_DEP_2)
	v_sub_f32_e32 v31, v32, v31
	v_mul_f32_e32 v13, v29, v13
	s_delay_alu instid0(VALU_DEP_1) | instskip(NEXT) | instid1(VALU_DEP_1)
	v_add_f32_e32 v13, v31, v13
	v_add_f32_e32 v29, v30, v13
	s_delay_alu instid0(VALU_DEP_1) | instskip(NEXT) | instid1(VALU_DEP_1)
	v_mul_f32_e32 v31, v29, v29
	v_fmaak_f32 v32, s0, v31, 0x3ecc95a3
	v_mul_f32_e32 v33, v29, v31
	v_cmp_eq_f32_e64 s0, 0x7f800000, v9
	s_delay_alu instid0(VALU_DEP_3) | instskip(SKIP_2) | instid1(VALU_DEP_4)
	v_fmaak_f32 v31, v31, v32, 0x3f2aaada
	v_ldexp_f32 v32, v29, 1
	v_sub_f32_e32 v29, v29, v30
	s_or_b32 s0, s0, s23
	s_delay_alu instid0(VALU_DEP_3) | instskip(SKIP_1) | instid1(VALU_DEP_2)
	v_mul_f32_e32 v31, v33, v31
	v_mul_f32_e32 v33, 0x3f317218, v27
	v_dual_sub_f32 v13, v13, v29 :: v_dual_add_f32 v30, v32, v31
	s_delay_alu instid0(VALU_DEP_1) | instskip(NEXT) | instid1(VALU_DEP_2)
	v_ldexp_f32 v13, v13, 1
	v_sub_f32_e32 v29, v30, v32
	s_delay_alu instid0(VALU_DEP_4) | instskip(NEXT) | instid1(VALU_DEP_2)
	v_fma_f32 v32, 0x3f317218, v27, -v33
	v_sub_f32_e32 v29, v31, v29
	s_delay_alu instid0(VALU_DEP_2) | instskip(NEXT) | instid1(VALU_DEP_2)
	v_fmamk_f32 v27, v27, 0xb102e308, v32
	v_add_f32_e32 v13, v13, v29
	s_delay_alu instid0(VALU_DEP_2) | instskip(NEXT) | instid1(VALU_DEP_2)
	v_add_f32_e32 v29, v33, v27
	v_add_f32_e32 v31, v30, v13
	s_delay_alu instid0(VALU_DEP_2) | instskip(NEXT) | instid1(VALU_DEP_2)
	v_sub_f32_e32 v33, v29, v33
	v_add_f32_e32 v32, v29, v31
	v_sub_f32_e32 v30, v31, v30
	s_delay_alu instid0(VALU_DEP_3) | instskip(NEXT) | instid1(VALU_DEP_2)
	v_sub_f32_e32 v27, v27, v33
	v_dual_sub_f32 v34, v32, v29 :: v_dual_sub_f32 v13, v13, v30
	s_delay_alu instid0(VALU_DEP_1) | instskip(SKIP_1) | instid1(VALU_DEP_3)
	v_sub_f32_e32 v35, v32, v34
	v_sub_f32_e32 v30, v31, v34
	v_add_f32_e32 v31, v27, v13
	s_delay_alu instid0(VALU_DEP_3) | instskip(NEXT) | instid1(VALU_DEP_1)
	v_sub_f32_e32 v29, v29, v35
	v_dual_add_f32 v29, v30, v29 :: v_dual_sub_f32 v30, v31, v27
	s_delay_alu instid0(VALU_DEP_1) | instskip(NEXT) | instid1(VALU_DEP_2)
	v_add_f32_e32 v29, v31, v29
	v_sub_f32_e32 v31, v31, v30
	v_sub_f32_e32 v13, v13, v30
	s_delay_alu instid0(VALU_DEP_3) | instskip(NEXT) | instid1(VALU_DEP_1)
	v_add_f32_e32 v33, v32, v29
	v_dual_sub_f32 v27, v27, v31 :: v_dual_sub_f32 v30, v33, v32
	s_delay_alu instid0(VALU_DEP_1) | instskip(NEXT) | instid1(VALU_DEP_2)
	v_add_f32_e32 v13, v13, v27
	v_sub_f32_e32 v27, v29, v30
	s_delay_alu instid0(VALU_DEP_1) | instskip(NEXT) | instid1(VALU_DEP_1)
	v_add_f32_e32 v13, v13, v27
	v_add_f32_e32 v13, v33, v13
	s_delay_alu instid0(VALU_DEP_1) | instskip(NEXT) | instid1(VALU_DEP_1)
	v_cndmask_b32_e64 v9, v13, v9, s0
	v_add_f32_e32 v9, v26, v9
	s_delay_alu instid0(VALU_DEP_1) | instskip(NEXT) | instid1(VALU_DEP_1)
	v_cvt_f16_f32_e32 v30, v9
	v_cvt_f32_f16_e32 v13, v30
	v_mov_b32_e32 v9, v30
.LBB380_146:
	s_or_b32 exec_lo, exec_lo, s1
	v_max_f32_e32 v26, v21, v21
	s_delay_alu instid0(VALU_DEP_3) | instskip(SKIP_1) | instid1(VALU_DEP_2)
	v_max_f32_e32 v27, v13, v13
	v_cmp_u_f16_e64 s0, v30, v30
	v_min_f32_e32 v29, v27, v26
	v_max_f32_e32 v26, v27, v26
	s_delay_alu instid0(VALU_DEP_2) | instskip(NEXT) | instid1(VALU_DEP_2)
	v_cndmask_b32_e64 v27, v29, v13, s0
	v_cndmask_b32_e64 v26, v26, v13, s0
	s_delay_alu instid0(VALU_DEP_2) | instskip(NEXT) | instid1(VALU_DEP_2)
	v_cndmask_b32_e64 v27, v27, v21, s36
	v_cndmask_b32_e64 v26, v26, v21, s36
	v_mov_b32_e32 v21, v9
	s_delay_alu instid0(VALU_DEP_3) | instskip(NEXT) | instid1(VALU_DEP_3)
	v_cmp_class_f32_e64 s1, v27, 0x1f8
	v_cmp_neq_f32_e64 s0, v27, v26
	s_delay_alu instid0(VALU_DEP_1) | instskip(NEXT) | instid1(SALU_CYCLE_1)
	s_or_b32 s0, s0, s1
	s_and_saveexec_b32 s1, s0
	s_cbranch_execz .LBB380_148
; %bb.147:
	v_sub_f32_e32 v13, v27, v26
	s_delay_alu instid0(VALU_DEP_1) | instskip(SKIP_1) | instid1(VALU_DEP_2)
	v_mul_f32_e32 v21, 0x3fb8aa3b, v13
	v_cmp_ngt_f32_e64 s0, 0xc2ce8ed0, v13
	v_fma_f32 v27, 0x3fb8aa3b, v13, -v21
	v_rndne_f32_e32 v29, v21
	s_delay_alu instid0(VALU_DEP_2) | instskip(NEXT) | instid1(VALU_DEP_2)
	v_fmamk_f32 v27, v13, 0x32a5705f, v27
	v_sub_f32_e32 v21, v21, v29
	s_delay_alu instid0(VALU_DEP_1) | instskip(SKIP_1) | instid1(VALU_DEP_2)
	v_add_f32_e32 v21, v21, v27
	v_cvt_i32_f32_e32 v27, v29
	v_exp_f32_e32 v21, v21
	s_waitcnt_depctr 0xfff
	v_ldexp_f32 v21, v21, v27
	s_delay_alu instid0(VALU_DEP_1) | instskip(SKIP_1) | instid1(VALU_DEP_1)
	v_cndmask_b32_e64 v21, 0, v21, s0
	v_cmp_nlt_f32_e64 s0, 0x42b17218, v13
	v_cndmask_b32_e64 v13, 0x7f800000, v21, s0
	s_delay_alu instid0(VALU_DEP_1) | instskip(SKIP_1) | instid1(VALU_DEP_2)
	v_add_f32_e32 v21, 1.0, v13
	v_cmp_gt_f32_e64 s23, 0x33800000, |v13|
	v_cvt_f64_f32_e32 v[29:30], v21
	s_delay_alu instid0(VALU_DEP_1) | instskip(SKIP_1) | instid1(VALU_DEP_1)
	v_frexp_exp_i32_f64_e32 v27, v[29:30]
	v_frexp_mant_f32_e32 v29, v21
	v_cmp_gt_f32_e64 s0, 0x3f2aaaab, v29
	v_add_f32_e32 v29, -1.0, v21
	s_delay_alu instid0(VALU_DEP_1) | instskip(SKIP_1) | instid1(VALU_DEP_2)
	v_sub_f32_e32 v31, v29, v21
	v_sub_f32_e32 v29, v13, v29
	v_add_f32_e32 v31, 1.0, v31
	s_delay_alu instid0(VALU_DEP_1) | instskip(SKIP_2) | instid1(VALU_DEP_1)
	v_add_f32_e32 v29, v29, v31
	v_subrev_co_ci_u32_e64 v27, s0, 0, v27, s0
	s_mov_b32 s0, 0x3e9b6dac
	v_sub_nc_u32_e32 v30, 0, v27
	v_cvt_f32_i32_e32 v27, v27
	s_delay_alu instid0(VALU_DEP_2) | instskip(SKIP_1) | instid1(VALU_DEP_2)
	v_ldexp_f32 v21, v21, v30
	v_ldexp_f32 v29, v29, v30
	v_add_f32_e32 v32, 1.0, v21
	s_delay_alu instid0(VALU_DEP_1) | instskip(NEXT) | instid1(VALU_DEP_1)
	v_dual_add_f32 v30, -1.0, v21 :: v_dual_add_f32 v31, -1.0, v32
	v_add_f32_e32 v33, 1.0, v30
	s_delay_alu instid0(VALU_DEP_2) | instskip(NEXT) | instid1(VALU_DEP_2)
	v_sub_f32_e32 v31, v21, v31
	v_sub_f32_e32 v21, v21, v33
	s_delay_alu instid0(VALU_DEP_2) | instskip(NEXT) | instid1(VALU_DEP_2)
	v_add_f32_e32 v31, v29, v31
	v_add_f32_e32 v21, v29, v21
	s_delay_alu instid0(VALU_DEP_1) | instskip(NEXT) | instid1(VALU_DEP_1)
	v_dual_add_f32 v33, v32, v31 :: v_dual_add_f32 v34, v30, v21
	v_rcp_f32_e32 v29, v33
	v_sub_f32_e32 v32, v32, v33
	s_delay_alu instid0(VALU_DEP_1) | instskip(SKIP_3) | instid1(VALU_DEP_2)
	v_dual_sub_f32 v30, v30, v34 :: v_dual_add_f32 v31, v31, v32
	s_waitcnt_depctr 0xfff
	v_mul_f32_e32 v35, v34, v29
	v_add_f32_e32 v21, v21, v30
	v_mul_f32_e32 v36, v33, v35
	s_delay_alu instid0(VALU_DEP_1) | instskip(NEXT) | instid1(VALU_DEP_1)
	v_fma_f32 v32, v35, v33, -v36
	v_fmac_f32_e32 v32, v35, v31
	s_delay_alu instid0(VALU_DEP_1) | instskip(NEXT) | instid1(VALU_DEP_1)
	v_add_f32_e32 v37, v36, v32
	v_sub_f32_e32 v38, v34, v37
	v_sub_f32_e32 v30, v37, v36
	s_delay_alu instid0(VALU_DEP_2) | instskip(NEXT) | instid1(VALU_DEP_2)
	v_sub_f32_e32 v34, v34, v38
	v_sub_f32_e32 v30, v30, v32
	s_delay_alu instid0(VALU_DEP_2) | instskip(NEXT) | instid1(VALU_DEP_1)
	v_sub_f32_e32 v34, v34, v37
	v_add_f32_e32 v21, v21, v34
	s_delay_alu instid0(VALU_DEP_1) | instskip(NEXT) | instid1(VALU_DEP_1)
	v_add_f32_e32 v21, v30, v21
	v_add_f32_e32 v30, v38, v21
	s_delay_alu instid0(VALU_DEP_1) | instskip(NEXT) | instid1(VALU_DEP_1)
	v_mul_f32_e32 v32, v29, v30
	v_dual_sub_f32 v37, v38, v30 :: v_dual_mul_f32 v34, v33, v32
	s_delay_alu instid0(VALU_DEP_1) | instskip(NEXT) | instid1(VALU_DEP_2)
	v_add_f32_e32 v21, v21, v37
	v_fma_f32 v33, v32, v33, -v34
	s_delay_alu instid0(VALU_DEP_1) | instskip(NEXT) | instid1(VALU_DEP_1)
	v_fmac_f32_e32 v33, v32, v31
	v_add_f32_e32 v31, v34, v33
	s_delay_alu instid0(VALU_DEP_1) | instskip(SKIP_1) | instid1(VALU_DEP_2)
	v_sub_f32_e32 v36, v30, v31
	v_sub_f32_e32 v34, v31, v34
	;; [unrolled: 1-line block ×3, first 2 shown]
	s_delay_alu instid0(VALU_DEP_1) | instskip(NEXT) | instid1(VALU_DEP_3)
	v_sub_f32_e32 v30, v30, v31
	v_sub_f32_e32 v31, v34, v33
	s_delay_alu instid0(VALU_DEP_2) | instskip(NEXT) | instid1(VALU_DEP_1)
	v_dual_add_f32 v21, v21, v30 :: v_dual_add_f32 v30, v35, v32
	v_add_f32_e32 v21, v31, v21
	s_delay_alu instid0(VALU_DEP_2) | instskip(NEXT) | instid1(VALU_DEP_2)
	v_sub_f32_e32 v31, v30, v35
	v_add_f32_e32 v21, v36, v21
	s_delay_alu instid0(VALU_DEP_2) | instskip(NEXT) | instid1(VALU_DEP_2)
	v_sub_f32_e32 v31, v32, v31
	v_mul_f32_e32 v21, v29, v21
	s_delay_alu instid0(VALU_DEP_1) | instskip(NEXT) | instid1(VALU_DEP_1)
	v_add_f32_e32 v21, v31, v21
	v_add_f32_e32 v29, v30, v21
	s_delay_alu instid0(VALU_DEP_1) | instskip(NEXT) | instid1(VALU_DEP_1)
	v_mul_f32_e32 v31, v29, v29
	v_fmaak_f32 v32, s0, v31, 0x3ecc95a3
	v_mul_f32_e32 v33, v29, v31
	v_cmp_eq_f32_e64 s0, 0x7f800000, v13
	s_delay_alu instid0(VALU_DEP_3) | instskip(SKIP_2) | instid1(VALU_DEP_4)
	v_fmaak_f32 v31, v31, v32, 0x3f2aaada
	v_ldexp_f32 v32, v29, 1
	v_sub_f32_e32 v29, v29, v30
	s_or_b32 s0, s0, s23
	s_delay_alu instid0(VALU_DEP_3) | instskip(SKIP_1) | instid1(VALU_DEP_2)
	v_mul_f32_e32 v31, v33, v31
	v_mul_f32_e32 v33, 0x3f317218, v27
	v_dual_sub_f32 v21, v21, v29 :: v_dual_add_f32 v30, v32, v31
	s_delay_alu instid0(VALU_DEP_1) | instskip(NEXT) | instid1(VALU_DEP_2)
	v_ldexp_f32 v21, v21, 1
	v_sub_f32_e32 v29, v30, v32
	s_delay_alu instid0(VALU_DEP_4) | instskip(NEXT) | instid1(VALU_DEP_2)
	v_fma_f32 v32, 0x3f317218, v27, -v33
	v_sub_f32_e32 v29, v31, v29
	s_delay_alu instid0(VALU_DEP_2) | instskip(NEXT) | instid1(VALU_DEP_2)
	v_fmamk_f32 v27, v27, 0xb102e308, v32
	v_add_f32_e32 v21, v21, v29
	s_delay_alu instid0(VALU_DEP_2) | instskip(NEXT) | instid1(VALU_DEP_2)
	v_add_f32_e32 v29, v33, v27
	v_add_f32_e32 v31, v30, v21
	s_delay_alu instid0(VALU_DEP_2) | instskip(NEXT) | instid1(VALU_DEP_2)
	v_sub_f32_e32 v33, v29, v33
	v_add_f32_e32 v32, v29, v31
	v_sub_f32_e32 v30, v31, v30
	s_delay_alu instid0(VALU_DEP_3) | instskip(NEXT) | instid1(VALU_DEP_2)
	v_sub_f32_e32 v27, v27, v33
	v_dual_sub_f32 v34, v32, v29 :: v_dual_sub_f32 v21, v21, v30
	s_delay_alu instid0(VALU_DEP_1) | instskip(SKIP_1) | instid1(VALU_DEP_3)
	v_sub_f32_e32 v35, v32, v34
	v_sub_f32_e32 v30, v31, v34
	v_add_f32_e32 v31, v27, v21
	s_delay_alu instid0(VALU_DEP_3) | instskip(NEXT) | instid1(VALU_DEP_1)
	v_sub_f32_e32 v29, v29, v35
	v_dual_add_f32 v29, v30, v29 :: v_dual_sub_f32 v30, v31, v27
	s_delay_alu instid0(VALU_DEP_1) | instskip(NEXT) | instid1(VALU_DEP_2)
	v_add_f32_e32 v29, v31, v29
	v_sub_f32_e32 v31, v31, v30
	v_sub_f32_e32 v21, v21, v30
	s_delay_alu instid0(VALU_DEP_3) | instskip(NEXT) | instid1(VALU_DEP_1)
	v_add_f32_e32 v33, v32, v29
	v_dual_sub_f32 v27, v27, v31 :: v_dual_sub_f32 v30, v33, v32
	s_delay_alu instid0(VALU_DEP_1) | instskip(NEXT) | instid1(VALU_DEP_2)
	v_add_f32_e32 v21, v21, v27
	v_sub_f32_e32 v27, v29, v30
	s_delay_alu instid0(VALU_DEP_1) | instskip(NEXT) | instid1(VALU_DEP_1)
	v_add_f32_e32 v21, v21, v27
	v_add_f32_e32 v21, v33, v21
	s_delay_alu instid0(VALU_DEP_1) | instskip(NEXT) | instid1(VALU_DEP_1)
	v_cndmask_b32_e64 v13, v21, v13, s0
	v_add_f32_e32 v13, v26, v13
	s_delay_alu instid0(VALU_DEP_1) | instskip(NEXT) | instid1(VALU_DEP_1)
	v_cvt_f16_f32_e32 v30, v13
	v_cvt_f32_f16_e32 v13, v30
	v_mov_b32_e32 v21, v30
.LBB380_148:
	s_or_b32 exec_lo, exec_lo, s1
	s_delay_alu instid0(VALU_DEP_2) | instskip(SKIP_1) | instid1(VALU_DEP_2)
	v_dual_max_f32 v26, v6, v6 :: v_dual_max_f32 v27, v13, v13
	v_cmp_u_f16_e64 s0, v30, v30
	v_min_f32_e32 v29, v27, v26
	v_max_f32_e32 v26, v27, v26
	s_delay_alu instid0(VALU_DEP_2) | instskip(NEXT) | instid1(VALU_DEP_2)
	v_cndmask_b32_e64 v27, v29, v13, s0
	v_cndmask_b32_e64 v26, v26, v13, s0
	s_delay_alu instid0(VALU_DEP_2) | instskip(NEXT) | instid1(VALU_DEP_2)
	v_cndmask_b32_e64 v27, v27, v6, s37
	v_cndmask_b32_e64 v26, v26, v6, s37
	v_mov_b32_e32 v6, v21
	s_delay_alu instid0(VALU_DEP_3) | instskip(NEXT) | instid1(VALU_DEP_3)
	v_cmp_class_f32_e64 s1, v27, 0x1f8
	v_cmp_neq_f32_e64 s0, v27, v26
	s_delay_alu instid0(VALU_DEP_1) | instskip(NEXT) | instid1(SALU_CYCLE_1)
	s_or_b32 s0, s0, s1
	s_and_saveexec_b32 s1, s0
	s_cbranch_execz .LBB380_150
; %bb.149:
	v_sub_f32_e32 v6, v27, v26
	s_delay_alu instid0(VALU_DEP_1) | instskip(NEXT) | instid1(VALU_DEP_1)
	v_mul_f32_e32 v13, 0x3fb8aa3b, v6
	v_fma_f32 v27, 0x3fb8aa3b, v6, -v13
	v_rndne_f32_e32 v29, v13
	s_delay_alu instid0(VALU_DEP_1) | instskip(NEXT) | instid1(VALU_DEP_3)
	v_sub_f32_e32 v13, v13, v29
	v_fmamk_f32 v27, v6, 0x32a5705f, v27
	v_cmp_ngt_f32_e64 s0, 0xc2ce8ed0, v6
	s_delay_alu instid0(VALU_DEP_2) | instskip(SKIP_1) | instid1(VALU_DEP_2)
	v_add_f32_e32 v13, v13, v27
	v_cvt_i32_f32_e32 v27, v29
	v_exp_f32_e32 v13, v13
	s_waitcnt_depctr 0xfff
	v_ldexp_f32 v13, v13, v27
	s_delay_alu instid0(VALU_DEP_1) | instskip(SKIP_1) | instid1(VALU_DEP_1)
	v_cndmask_b32_e64 v13, 0, v13, s0
	v_cmp_nlt_f32_e64 s0, 0x42b17218, v6
	v_cndmask_b32_e64 v6, 0x7f800000, v13, s0
	s_delay_alu instid0(VALU_DEP_1) | instskip(SKIP_1) | instid1(VALU_DEP_2)
	v_add_f32_e32 v13, 1.0, v6
	v_cmp_gt_f32_e64 s23, 0x33800000, |v6|
	v_cvt_f64_f32_e32 v[29:30], v13
	s_delay_alu instid0(VALU_DEP_1) | instskip(SKIP_1) | instid1(VALU_DEP_1)
	v_frexp_exp_i32_f64_e32 v27, v[29:30]
	v_frexp_mant_f32_e32 v29, v13
	v_cmp_gt_f32_e64 s0, 0x3f2aaaab, v29
	v_add_f32_e32 v29, -1.0, v13
	s_delay_alu instid0(VALU_DEP_1) | instskip(SKIP_1) | instid1(VALU_DEP_4)
	v_sub_f32_e32 v31, v29, v13
	v_sub_f32_e32 v29, v6, v29
	v_subrev_co_ci_u32_e64 v27, s0, 0, v27, s0
	s_mov_b32 s0, 0x3e9b6dac
	s_delay_alu instid0(VALU_DEP_1) | instskip(SKIP_1) | instid1(VALU_DEP_2)
	v_sub_nc_u32_e32 v30, 0, v27
	v_cvt_f32_i32_e32 v27, v27
	v_ldexp_f32 v13, v13, v30
	s_delay_alu instid0(VALU_DEP_1) | instskip(NEXT) | instid1(VALU_DEP_1)
	v_dual_add_f32 v31, 1.0, v31 :: v_dual_add_f32 v32, 1.0, v13
	v_add_f32_e32 v29, v29, v31
	s_delay_alu instid0(VALU_DEP_2) | instskip(NEXT) | instid1(VALU_DEP_2)
	v_add_f32_e32 v31, -1.0, v32
	v_ldexp_f32 v29, v29, v30
	s_delay_alu instid0(VALU_DEP_2) | instskip(NEXT) | instid1(VALU_DEP_1)
	v_dual_add_f32 v30, -1.0, v13 :: v_dual_sub_f32 v31, v13, v31
	v_add_f32_e32 v33, 1.0, v30
	s_delay_alu instid0(VALU_DEP_2) | instskip(NEXT) | instid1(VALU_DEP_2)
	v_add_f32_e32 v31, v29, v31
	v_sub_f32_e32 v13, v13, v33
	s_delay_alu instid0(VALU_DEP_2) | instskip(NEXT) | instid1(VALU_DEP_2)
	v_add_f32_e32 v33, v32, v31
	v_add_f32_e32 v13, v29, v13
	s_delay_alu instid0(VALU_DEP_2) | instskip(SKIP_1) | instid1(VALU_DEP_1)
	v_rcp_f32_e32 v29, v33
	v_sub_f32_e32 v32, v32, v33
	v_dual_add_f32 v34, v30, v13 :: v_dual_add_f32 v31, v31, v32
	s_delay_alu instid0(VALU_DEP_1) | instskip(SKIP_3) | instid1(VALU_DEP_2)
	v_sub_f32_e32 v30, v30, v34
	s_waitcnt_depctr 0xfff
	v_mul_f32_e32 v35, v34, v29
	v_add_f32_e32 v13, v13, v30
	v_mul_f32_e32 v36, v33, v35
	s_delay_alu instid0(VALU_DEP_1) | instskip(NEXT) | instid1(VALU_DEP_1)
	v_fma_f32 v32, v35, v33, -v36
	v_fmac_f32_e32 v32, v35, v31
	s_delay_alu instid0(VALU_DEP_1) | instskip(NEXT) | instid1(VALU_DEP_1)
	v_add_f32_e32 v37, v36, v32
	v_sub_f32_e32 v38, v34, v37
	v_sub_f32_e32 v30, v37, v36
	s_delay_alu instid0(VALU_DEP_2) | instskip(NEXT) | instid1(VALU_DEP_2)
	v_sub_f32_e32 v34, v34, v38
	v_sub_f32_e32 v30, v30, v32
	s_delay_alu instid0(VALU_DEP_2) | instskip(NEXT) | instid1(VALU_DEP_1)
	v_sub_f32_e32 v34, v34, v37
	v_add_f32_e32 v13, v13, v34
	s_delay_alu instid0(VALU_DEP_1) | instskip(NEXT) | instid1(VALU_DEP_1)
	v_add_f32_e32 v13, v30, v13
	v_add_f32_e32 v30, v38, v13
	s_delay_alu instid0(VALU_DEP_1) | instskip(NEXT) | instid1(VALU_DEP_1)
	v_mul_f32_e32 v32, v29, v30
	v_dual_sub_f32 v37, v38, v30 :: v_dual_mul_f32 v34, v33, v32
	s_delay_alu instid0(VALU_DEP_1) | instskip(NEXT) | instid1(VALU_DEP_2)
	v_add_f32_e32 v13, v13, v37
	v_fma_f32 v33, v32, v33, -v34
	s_delay_alu instid0(VALU_DEP_1) | instskip(NEXT) | instid1(VALU_DEP_1)
	v_fmac_f32_e32 v33, v32, v31
	v_add_f32_e32 v31, v34, v33
	s_delay_alu instid0(VALU_DEP_1) | instskip(SKIP_1) | instid1(VALU_DEP_2)
	v_sub_f32_e32 v36, v30, v31
	v_sub_f32_e32 v34, v31, v34
	;; [unrolled: 1-line block ×3, first 2 shown]
	s_delay_alu instid0(VALU_DEP_1) | instskip(NEXT) | instid1(VALU_DEP_3)
	v_sub_f32_e32 v30, v30, v31
	v_sub_f32_e32 v31, v34, v33
	s_delay_alu instid0(VALU_DEP_2) | instskip(NEXT) | instid1(VALU_DEP_1)
	v_dual_add_f32 v13, v13, v30 :: v_dual_add_f32 v30, v35, v32
	v_add_f32_e32 v13, v31, v13
	s_delay_alu instid0(VALU_DEP_2) | instskip(NEXT) | instid1(VALU_DEP_2)
	v_sub_f32_e32 v31, v30, v35
	v_add_f32_e32 v13, v36, v13
	s_delay_alu instid0(VALU_DEP_2) | instskip(NEXT) | instid1(VALU_DEP_2)
	v_sub_f32_e32 v31, v32, v31
	v_mul_f32_e32 v13, v29, v13
	s_delay_alu instid0(VALU_DEP_1) | instskip(NEXT) | instid1(VALU_DEP_1)
	v_add_f32_e32 v13, v31, v13
	v_add_f32_e32 v29, v30, v13
	s_delay_alu instid0(VALU_DEP_1) | instskip(NEXT) | instid1(VALU_DEP_1)
	v_mul_f32_e32 v31, v29, v29
	v_fmaak_f32 v32, s0, v31, 0x3ecc95a3
	v_mul_f32_e32 v33, v29, v31
	v_cmp_eq_f32_e64 s0, 0x7f800000, v6
	s_delay_alu instid0(VALU_DEP_3) | instskip(SKIP_2) | instid1(VALU_DEP_4)
	v_fmaak_f32 v31, v31, v32, 0x3f2aaada
	v_ldexp_f32 v32, v29, 1
	v_sub_f32_e32 v29, v29, v30
	s_or_b32 s0, s0, s23
	s_delay_alu instid0(VALU_DEP_3) | instskip(SKIP_1) | instid1(VALU_DEP_2)
	v_mul_f32_e32 v31, v33, v31
	v_mul_f32_e32 v33, 0x3f317218, v27
	v_dual_sub_f32 v13, v13, v29 :: v_dual_add_f32 v30, v32, v31
	s_delay_alu instid0(VALU_DEP_1) | instskip(NEXT) | instid1(VALU_DEP_2)
	v_ldexp_f32 v13, v13, 1
	v_sub_f32_e32 v29, v30, v32
	s_delay_alu instid0(VALU_DEP_4) | instskip(NEXT) | instid1(VALU_DEP_2)
	v_fma_f32 v32, 0x3f317218, v27, -v33
	v_sub_f32_e32 v29, v31, v29
	s_delay_alu instid0(VALU_DEP_2) | instskip(NEXT) | instid1(VALU_DEP_2)
	v_fmamk_f32 v27, v27, 0xb102e308, v32
	v_add_f32_e32 v13, v13, v29
	s_delay_alu instid0(VALU_DEP_2) | instskip(NEXT) | instid1(VALU_DEP_2)
	v_add_f32_e32 v29, v33, v27
	v_add_f32_e32 v31, v30, v13
	s_delay_alu instid0(VALU_DEP_2) | instskip(NEXT) | instid1(VALU_DEP_2)
	v_sub_f32_e32 v33, v29, v33
	v_add_f32_e32 v32, v29, v31
	v_sub_f32_e32 v30, v31, v30
	s_delay_alu instid0(VALU_DEP_3) | instskip(NEXT) | instid1(VALU_DEP_2)
	v_sub_f32_e32 v27, v27, v33
	v_dual_sub_f32 v34, v32, v29 :: v_dual_sub_f32 v13, v13, v30
	s_delay_alu instid0(VALU_DEP_1) | instskip(SKIP_1) | instid1(VALU_DEP_3)
	v_sub_f32_e32 v35, v32, v34
	v_sub_f32_e32 v30, v31, v34
	v_add_f32_e32 v31, v27, v13
	s_delay_alu instid0(VALU_DEP_3) | instskip(NEXT) | instid1(VALU_DEP_1)
	v_sub_f32_e32 v29, v29, v35
	v_dual_add_f32 v29, v30, v29 :: v_dual_sub_f32 v30, v31, v27
	s_delay_alu instid0(VALU_DEP_1) | instskip(NEXT) | instid1(VALU_DEP_2)
	v_add_f32_e32 v29, v31, v29
	v_sub_f32_e32 v31, v31, v30
	v_sub_f32_e32 v13, v13, v30
	s_delay_alu instid0(VALU_DEP_3) | instskip(NEXT) | instid1(VALU_DEP_1)
	v_add_f32_e32 v33, v32, v29
	v_dual_sub_f32 v27, v27, v31 :: v_dual_sub_f32 v30, v33, v32
	s_delay_alu instid0(VALU_DEP_1) | instskip(NEXT) | instid1(VALU_DEP_2)
	v_add_f32_e32 v13, v13, v27
	v_sub_f32_e32 v27, v29, v30
	s_delay_alu instid0(VALU_DEP_1) | instskip(NEXT) | instid1(VALU_DEP_1)
	v_add_f32_e32 v13, v13, v27
	v_add_f32_e32 v13, v33, v13
	s_delay_alu instid0(VALU_DEP_1) | instskip(NEXT) | instid1(VALU_DEP_1)
	v_cndmask_b32_e64 v6, v13, v6, s0
	v_add_f32_e32 v6, v26, v6
	s_delay_alu instid0(VALU_DEP_1) | instskip(NEXT) | instid1(VALU_DEP_1)
	v_cvt_f16_f32_e32 v30, v6
	v_mov_b32_e32 v6, v30
	v_cvt_f32_f16_e32 v13, v30
.LBB380_150:
	s_or_b32 exec_lo, exec_lo, s1
	s_delay_alu instid0(VALU_DEP_1) | instskip(SKIP_1) | instid1(VALU_DEP_2)
	v_dual_max_f32 v26, v22, v22 :: v_dual_max_f32 v27, v13, v13
	v_cmp_u_f16_e64 s0, v30, v30
	v_min_f32_e32 v29, v27, v26
	v_max_f32_e32 v26, v27, v26
	s_delay_alu instid0(VALU_DEP_2) | instskip(NEXT) | instid1(VALU_DEP_2)
	v_cndmask_b32_e64 v27, v29, v13, s0
	v_cndmask_b32_e64 v26, v26, v13, s0
	s_delay_alu instid0(VALU_DEP_2) | instskip(NEXT) | instid1(VALU_DEP_2)
	v_cndmask_b32_e64 v27, v27, v22, s38
	v_cndmask_b32_e64 v26, v26, v22, s38
	v_mov_b32_e32 v22, v6
	s_delay_alu instid0(VALU_DEP_3) | instskip(NEXT) | instid1(VALU_DEP_3)
	v_cmp_class_f32_e64 s1, v27, 0x1f8
	v_cmp_neq_f32_e64 s0, v27, v26
	s_delay_alu instid0(VALU_DEP_1) | instskip(NEXT) | instid1(SALU_CYCLE_1)
	s_or_b32 s0, s0, s1
	s_and_saveexec_b32 s1, s0
	s_cbranch_execz .LBB380_152
; %bb.151:
	v_sub_f32_e32 v13, v27, v26
	s_delay_alu instid0(VALU_DEP_1) | instskip(NEXT) | instid1(VALU_DEP_1)
	v_mul_f32_e32 v22, 0x3fb8aa3b, v13
	v_fma_f32 v27, 0x3fb8aa3b, v13, -v22
	v_rndne_f32_e32 v29, v22
	s_delay_alu instid0(VALU_DEP_1) | instskip(SKIP_1) | instid1(VALU_DEP_2)
	v_dual_sub_f32 v22, v22, v29 :: v_dual_fmamk_f32 v27, v13, 0x32a5705f, v27
	v_cmp_ngt_f32_e64 s0, 0xc2ce8ed0, v13
	v_add_f32_e32 v22, v22, v27
	v_cvt_i32_f32_e32 v27, v29
	s_delay_alu instid0(VALU_DEP_2) | instskip(SKIP_2) | instid1(VALU_DEP_1)
	v_exp_f32_e32 v22, v22
	s_waitcnt_depctr 0xfff
	v_ldexp_f32 v22, v22, v27
	v_cndmask_b32_e64 v22, 0, v22, s0
	v_cmp_nlt_f32_e64 s0, 0x42b17218, v13
	s_delay_alu instid0(VALU_DEP_1) | instskip(NEXT) | instid1(VALU_DEP_1)
	v_cndmask_b32_e64 v13, 0x7f800000, v22, s0
	v_add_f32_e32 v22, 1.0, v13
	v_cmp_gt_f32_e64 s23, 0x33800000, |v13|
	s_delay_alu instid0(VALU_DEP_2) | instskip(NEXT) | instid1(VALU_DEP_1)
	v_cvt_f64_f32_e32 v[29:30], v22
	v_frexp_exp_i32_f64_e32 v27, v[29:30]
	v_frexp_mant_f32_e32 v29, v22
	s_delay_alu instid0(VALU_DEP_1) | instskip(SKIP_1) | instid1(VALU_DEP_1)
	v_cmp_gt_f32_e64 s0, 0x3f2aaaab, v29
	v_add_f32_e32 v29, -1.0, v22
	v_sub_f32_e32 v31, v29, v22
	v_sub_f32_e32 v29, v13, v29
	s_delay_alu instid0(VALU_DEP_2) | instskip(NEXT) | instid1(VALU_DEP_1)
	v_add_f32_e32 v31, 1.0, v31
	v_add_f32_e32 v29, v29, v31
	v_subrev_co_ci_u32_e64 v27, s0, 0, v27, s0
	s_mov_b32 s0, 0x3e9b6dac
	s_delay_alu instid0(VALU_DEP_1) | instskip(SKIP_1) | instid1(VALU_DEP_2)
	v_sub_nc_u32_e32 v30, 0, v27
	v_cvt_f32_i32_e32 v27, v27
	v_ldexp_f32 v22, v22, v30
	v_ldexp_f32 v29, v29, v30
	s_delay_alu instid0(VALU_DEP_2) | instskip(NEXT) | instid1(VALU_DEP_1)
	v_add_f32_e32 v32, 1.0, v22
	v_dual_add_f32 v30, -1.0, v22 :: v_dual_add_f32 v31, -1.0, v32
	s_delay_alu instid0(VALU_DEP_1) | instskip(NEXT) | instid1(VALU_DEP_2)
	v_add_f32_e32 v33, 1.0, v30
	v_sub_f32_e32 v31, v22, v31
	s_delay_alu instid0(VALU_DEP_2) | instskip(NEXT) | instid1(VALU_DEP_1)
	v_sub_f32_e32 v22, v22, v33
	v_add_f32_e32 v22, v29, v22
	s_delay_alu instid0(VALU_DEP_1) | instskip(NEXT) | instid1(VALU_DEP_1)
	v_dual_add_f32 v31, v29, v31 :: v_dual_add_f32 v34, v30, v22
	v_dual_add_f32 v33, v32, v31 :: v_dual_sub_f32 v30, v30, v34
	s_delay_alu instid0(VALU_DEP_1) | instskip(SKIP_1) | instid1(VALU_DEP_1)
	v_rcp_f32_e32 v29, v33
	v_sub_f32_e32 v32, v32, v33
	v_dual_add_f32 v22, v22, v30 :: v_dual_add_f32 v31, v31, v32
	s_waitcnt_depctr 0xfff
	v_mul_f32_e32 v35, v34, v29
	s_delay_alu instid0(VALU_DEP_1) | instskip(NEXT) | instid1(VALU_DEP_1)
	v_mul_f32_e32 v36, v33, v35
	v_fma_f32 v32, v35, v33, -v36
	s_delay_alu instid0(VALU_DEP_1) | instskip(NEXT) | instid1(VALU_DEP_1)
	v_fmac_f32_e32 v32, v35, v31
	v_add_f32_e32 v37, v36, v32
	s_delay_alu instid0(VALU_DEP_1) | instskip(SKIP_1) | instid1(VALU_DEP_2)
	v_sub_f32_e32 v38, v34, v37
	v_sub_f32_e32 v30, v37, v36
	;; [unrolled: 1-line block ×3, first 2 shown]
	s_delay_alu instid0(VALU_DEP_2) | instskip(NEXT) | instid1(VALU_DEP_2)
	v_sub_f32_e32 v30, v30, v32
	v_sub_f32_e32 v34, v34, v37
	s_delay_alu instid0(VALU_DEP_1) | instskip(NEXT) | instid1(VALU_DEP_1)
	v_add_f32_e32 v22, v22, v34
	v_add_f32_e32 v22, v30, v22
	s_delay_alu instid0(VALU_DEP_1) | instskip(NEXT) | instid1(VALU_DEP_1)
	v_add_f32_e32 v30, v38, v22
	v_mul_f32_e32 v32, v29, v30
	s_delay_alu instid0(VALU_DEP_1) | instskip(NEXT) | instid1(VALU_DEP_1)
	v_dual_sub_f32 v37, v38, v30 :: v_dual_mul_f32 v34, v33, v32
	v_add_f32_e32 v22, v22, v37
	s_delay_alu instid0(VALU_DEP_2) | instskip(NEXT) | instid1(VALU_DEP_1)
	v_fma_f32 v33, v32, v33, -v34
	v_fmac_f32_e32 v33, v32, v31
	s_delay_alu instid0(VALU_DEP_1) | instskip(NEXT) | instid1(VALU_DEP_1)
	v_add_f32_e32 v31, v34, v33
	v_sub_f32_e32 v36, v30, v31
	s_delay_alu instid0(VALU_DEP_1) | instskip(NEXT) | instid1(VALU_DEP_1)
	v_sub_f32_e32 v30, v30, v36
	v_sub_f32_e32 v30, v30, v31
	s_delay_alu instid0(VALU_DEP_1) | instskip(SKIP_2) | instid1(VALU_DEP_1)
	v_add_f32_e32 v22, v22, v30
	v_add_f32_e32 v30, v35, v32
	v_sub_f32_e32 v34, v31, v34
	v_sub_f32_e32 v31, v34, v33
	s_delay_alu instid0(VALU_DEP_1) | instskip(NEXT) | instid1(VALU_DEP_1)
	v_dual_add_f32 v22, v31, v22 :: v_dual_sub_f32 v31, v30, v35
	v_add_f32_e32 v22, v36, v22
	s_delay_alu instid0(VALU_DEP_1) | instskip(NEXT) | instid1(VALU_DEP_1)
	v_dual_sub_f32 v31, v32, v31 :: v_dual_mul_f32 v22, v29, v22
	v_add_f32_e32 v22, v31, v22
	s_delay_alu instid0(VALU_DEP_1) | instskip(NEXT) | instid1(VALU_DEP_1)
	v_add_f32_e32 v29, v30, v22
	v_mul_f32_e32 v31, v29, v29
	s_delay_alu instid0(VALU_DEP_1) | instskip(SKIP_2) | instid1(VALU_DEP_3)
	v_fmaak_f32 v32, s0, v31, 0x3ecc95a3
	v_mul_f32_e32 v33, v29, v31
	v_cmp_eq_f32_e64 s0, 0x7f800000, v13
	v_fmaak_f32 v31, v31, v32, 0x3f2aaada
	v_ldexp_f32 v32, v29, 1
	v_sub_f32_e32 v29, v29, v30
	s_delay_alu instid0(VALU_DEP_4) | instskip(NEXT) | instid1(VALU_DEP_3)
	s_or_b32 s0, s0, s23
	v_mul_f32_e32 v31, v33, v31
	s_delay_alu instid0(VALU_DEP_2) | instskip(NEXT) | instid1(VALU_DEP_2)
	v_dual_mul_f32 v33, 0x3f317218, v27 :: v_dual_sub_f32 v22, v22, v29
	v_add_f32_e32 v30, v32, v31
	s_delay_alu instid0(VALU_DEP_2) | instskip(NEXT) | instid1(VALU_DEP_2)
	v_ldexp_f32 v22, v22, 1
	v_sub_f32_e32 v29, v30, v32
	s_delay_alu instid0(VALU_DEP_4) | instskip(NEXT) | instid1(VALU_DEP_2)
	v_fma_f32 v32, 0x3f317218, v27, -v33
	v_sub_f32_e32 v29, v31, v29
	s_delay_alu instid0(VALU_DEP_1) | instskip(NEXT) | instid1(VALU_DEP_1)
	v_dual_fmamk_f32 v27, v27, 0xb102e308, v32 :: v_dual_add_f32 v22, v22, v29
	v_add_f32_e32 v29, v33, v27
	s_delay_alu instid0(VALU_DEP_2) | instskip(NEXT) | instid1(VALU_DEP_2)
	v_add_f32_e32 v31, v30, v22
	v_sub_f32_e32 v33, v29, v33
	s_delay_alu instid0(VALU_DEP_1) | instskip(NEXT) | instid1(VALU_DEP_1)
	v_dual_add_f32 v32, v29, v31 :: v_dual_sub_f32 v27, v27, v33
	v_sub_f32_e32 v34, v32, v29
	v_sub_f32_e32 v30, v31, v30
	s_delay_alu instid0(VALU_DEP_2) | instskip(NEXT) | instid1(VALU_DEP_2)
	v_sub_f32_e32 v35, v32, v34
	v_sub_f32_e32 v22, v22, v30
	s_delay_alu instid0(VALU_DEP_2) | instskip(NEXT) | instid1(VALU_DEP_2)
	v_dual_sub_f32 v30, v31, v34 :: v_dual_sub_f32 v29, v29, v35
	v_add_f32_e32 v31, v27, v22
	s_delay_alu instid0(VALU_DEP_1) | instskip(NEXT) | instid1(VALU_DEP_1)
	v_dual_add_f32 v29, v30, v29 :: v_dual_sub_f32 v30, v31, v27
	v_add_f32_e32 v29, v31, v29
	s_delay_alu instid0(VALU_DEP_2) | instskip(NEXT) | instid1(VALU_DEP_2)
	v_sub_f32_e32 v31, v31, v30
	v_dual_sub_f32 v22, v22, v30 :: v_dual_add_f32 v33, v32, v29
	s_delay_alu instid0(VALU_DEP_1) | instskip(NEXT) | instid1(VALU_DEP_1)
	v_dual_sub_f32 v27, v27, v31 :: v_dual_sub_f32 v30, v33, v32
	v_dual_add_f32 v22, v22, v27 :: v_dual_sub_f32 v27, v29, v30
	s_delay_alu instid0(VALU_DEP_1) | instskip(NEXT) | instid1(VALU_DEP_1)
	v_add_f32_e32 v22, v22, v27
	v_add_f32_e32 v22, v33, v22
	s_delay_alu instid0(VALU_DEP_1) | instskip(NEXT) | instid1(VALU_DEP_1)
	v_cndmask_b32_e64 v13, v22, v13, s0
	v_add_f32_e32 v13, v26, v13
	s_delay_alu instid0(VALU_DEP_1) | instskip(NEXT) | instid1(VALU_DEP_1)
	v_cvt_f16_f32_e32 v30, v13
	v_cvt_f32_f16_e32 v13, v30
	v_mov_b32_e32 v22, v30
.LBB380_152:
	s_or_b32 exec_lo, exec_lo, s1
	s_delay_alu instid0(VALU_DEP_2) | instskip(SKIP_1) | instid1(VALU_DEP_2)
	v_dual_max_f32 v26, v7, v7 :: v_dual_max_f32 v27, v13, v13
	v_cmp_u_f16_e64 s0, v30, v30
	v_min_f32_e32 v29, v27, v26
	v_max_f32_e32 v26, v27, v26
	s_delay_alu instid0(VALU_DEP_2) | instskip(NEXT) | instid1(VALU_DEP_2)
	v_cndmask_b32_e64 v27, v29, v13, s0
	v_cndmask_b32_e64 v26, v26, v13, s0
	s_delay_alu instid0(VALU_DEP_2) | instskip(NEXT) | instid1(VALU_DEP_2)
	v_cndmask_b32_e64 v27, v27, v7, s39
	v_cndmask_b32_e64 v26, v26, v7, s39
	v_mov_b32_e32 v7, v22
	s_delay_alu instid0(VALU_DEP_3) | instskip(NEXT) | instid1(VALU_DEP_3)
	v_cmp_class_f32_e64 s1, v27, 0x1f8
	v_cmp_neq_f32_e64 s0, v27, v26
	s_delay_alu instid0(VALU_DEP_1) | instskip(NEXT) | instid1(SALU_CYCLE_1)
	s_or_b32 s0, s0, s1
	s_and_saveexec_b32 s1, s0
	s_cbranch_execz .LBB380_154
; %bb.153:
	v_sub_f32_e32 v7, v27, v26
	s_delay_alu instid0(VALU_DEP_1) | instskip(SKIP_1) | instid1(VALU_DEP_2)
	v_mul_f32_e32 v13, 0x3fb8aa3b, v7
	v_cmp_ngt_f32_e64 s0, 0xc2ce8ed0, v7
	v_fma_f32 v27, 0x3fb8aa3b, v7, -v13
	v_rndne_f32_e32 v29, v13
	s_delay_alu instid0(VALU_DEP_2) | instskip(NEXT) | instid1(VALU_DEP_2)
	v_fmamk_f32 v27, v7, 0x32a5705f, v27
	v_sub_f32_e32 v13, v13, v29
	s_delay_alu instid0(VALU_DEP_1) | instskip(SKIP_1) | instid1(VALU_DEP_2)
	v_add_f32_e32 v13, v13, v27
	v_cvt_i32_f32_e32 v27, v29
	v_exp_f32_e32 v13, v13
	s_waitcnt_depctr 0xfff
	v_ldexp_f32 v13, v13, v27
	s_delay_alu instid0(VALU_DEP_1) | instskip(SKIP_1) | instid1(VALU_DEP_1)
	v_cndmask_b32_e64 v13, 0, v13, s0
	v_cmp_nlt_f32_e64 s0, 0x42b17218, v7
	v_cndmask_b32_e64 v7, 0x7f800000, v13, s0
	s_delay_alu instid0(VALU_DEP_1) | instskip(SKIP_1) | instid1(VALU_DEP_2)
	v_add_f32_e32 v13, 1.0, v7
	v_cmp_gt_f32_e64 s23, 0x33800000, |v7|
	v_cvt_f64_f32_e32 v[29:30], v13
	s_delay_alu instid0(VALU_DEP_1) | instskip(SKIP_1) | instid1(VALU_DEP_1)
	v_frexp_exp_i32_f64_e32 v27, v[29:30]
	v_frexp_mant_f32_e32 v29, v13
	v_cmp_gt_f32_e64 s0, 0x3f2aaaab, v29
	v_add_f32_e32 v29, -1.0, v13
	s_delay_alu instid0(VALU_DEP_1) | instskip(SKIP_1) | instid1(VALU_DEP_2)
	v_sub_f32_e32 v31, v29, v13
	v_sub_f32_e32 v29, v7, v29
	v_add_f32_e32 v31, 1.0, v31
	s_delay_alu instid0(VALU_DEP_1) | instskip(SKIP_2) | instid1(VALU_DEP_1)
	v_add_f32_e32 v29, v29, v31
	v_subrev_co_ci_u32_e64 v27, s0, 0, v27, s0
	s_mov_b32 s0, 0x3e9b6dac
	v_sub_nc_u32_e32 v30, 0, v27
	v_cvt_f32_i32_e32 v27, v27
	s_delay_alu instid0(VALU_DEP_2) | instskip(SKIP_1) | instid1(VALU_DEP_2)
	v_ldexp_f32 v13, v13, v30
	v_ldexp_f32 v29, v29, v30
	v_add_f32_e32 v32, 1.0, v13
	s_delay_alu instid0(VALU_DEP_1) | instskip(NEXT) | instid1(VALU_DEP_1)
	v_dual_add_f32 v30, -1.0, v13 :: v_dual_add_f32 v31, -1.0, v32
	v_add_f32_e32 v33, 1.0, v30
	s_delay_alu instid0(VALU_DEP_2) | instskip(NEXT) | instid1(VALU_DEP_2)
	v_sub_f32_e32 v31, v13, v31
	v_sub_f32_e32 v13, v13, v33
	s_delay_alu instid0(VALU_DEP_2) | instskip(NEXT) | instid1(VALU_DEP_2)
	v_add_f32_e32 v31, v29, v31
	v_add_f32_e32 v13, v29, v13
	s_delay_alu instid0(VALU_DEP_1) | instskip(NEXT) | instid1(VALU_DEP_1)
	v_dual_add_f32 v33, v32, v31 :: v_dual_add_f32 v34, v30, v13
	v_rcp_f32_e32 v29, v33
	v_sub_f32_e32 v32, v32, v33
	s_delay_alu instid0(VALU_DEP_1) | instskip(SKIP_3) | instid1(VALU_DEP_2)
	v_dual_sub_f32 v30, v30, v34 :: v_dual_add_f32 v31, v31, v32
	s_waitcnt_depctr 0xfff
	v_mul_f32_e32 v35, v34, v29
	v_add_f32_e32 v13, v13, v30
	v_mul_f32_e32 v36, v33, v35
	s_delay_alu instid0(VALU_DEP_1) | instskip(NEXT) | instid1(VALU_DEP_1)
	v_fma_f32 v32, v35, v33, -v36
	v_fmac_f32_e32 v32, v35, v31
	s_delay_alu instid0(VALU_DEP_1) | instskip(NEXT) | instid1(VALU_DEP_1)
	v_add_f32_e32 v37, v36, v32
	v_sub_f32_e32 v38, v34, v37
	v_sub_f32_e32 v30, v37, v36
	s_delay_alu instid0(VALU_DEP_2) | instskip(NEXT) | instid1(VALU_DEP_2)
	v_sub_f32_e32 v34, v34, v38
	v_sub_f32_e32 v30, v30, v32
	s_delay_alu instid0(VALU_DEP_2) | instskip(NEXT) | instid1(VALU_DEP_1)
	v_sub_f32_e32 v34, v34, v37
	v_add_f32_e32 v13, v13, v34
	s_delay_alu instid0(VALU_DEP_1) | instskip(NEXT) | instid1(VALU_DEP_1)
	v_add_f32_e32 v13, v30, v13
	v_add_f32_e32 v30, v38, v13
	s_delay_alu instid0(VALU_DEP_1) | instskip(NEXT) | instid1(VALU_DEP_1)
	v_mul_f32_e32 v32, v29, v30
	v_dual_sub_f32 v37, v38, v30 :: v_dual_mul_f32 v34, v33, v32
	s_delay_alu instid0(VALU_DEP_1) | instskip(NEXT) | instid1(VALU_DEP_2)
	v_add_f32_e32 v13, v13, v37
	v_fma_f32 v33, v32, v33, -v34
	s_delay_alu instid0(VALU_DEP_1) | instskip(NEXT) | instid1(VALU_DEP_1)
	v_fmac_f32_e32 v33, v32, v31
	v_add_f32_e32 v31, v34, v33
	s_delay_alu instid0(VALU_DEP_1) | instskip(SKIP_1) | instid1(VALU_DEP_2)
	v_sub_f32_e32 v36, v30, v31
	v_sub_f32_e32 v34, v31, v34
	;; [unrolled: 1-line block ×3, first 2 shown]
	s_delay_alu instid0(VALU_DEP_1) | instskip(NEXT) | instid1(VALU_DEP_3)
	v_sub_f32_e32 v30, v30, v31
	v_sub_f32_e32 v31, v34, v33
	s_delay_alu instid0(VALU_DEP_2) | instskip(NEXT) | instid1(VALU_DEP_1)
	v_dual_add_f32 v13, v13, v30 :: v_dual_add_f32 v30, v35, v32
	v_add_f32_e32 v13, v31, v13
	s_delay_alu instid0(VALU_DEP_2) | instskip(NEXT) | instid1(VALU_DEP_2)
	v_sub_f32_e32 v31, v30, v35
	v_add_f32_e32 v13, v36, v13
	s_delay_alu instid0(VALU_DEP_2) | instskip(NEXT) | instid1(VALU_DEP_2)
	v_sub_f32_e32 v31, v32, v31
	v_mul_f32_e32 v13, v29, v13
	s_delay_alu instid0(VALU_DEP_1) | instskip(NEXT) | instid1(VALU_DEP_1)
	v_add_f32_e32 v13, v31, v13
	v_add_f32_e32 v29, v30, v13
	s_delay_alu instid0(VALU_DEP_1) | instskip(NEXT) | instid1(VALU_DEP_1)
	v_mul_f32_e32 v31, v29, v29
	v_fmaak_f32 v32, s0, v31, 0x3ecc95a3
	v_mul_f32_e32 v33, v29, v31
	v_cmp_eq_f32_e64 s0, 0x7f800000, v7
	s_delay_alu instid0(VALU_DEP_3) | instskip(SKIP_2) | instid1(VALU_DEP_4)
	v_fmaak_f32 v31, v31, v32, 0x3f2aaada
	v_ldexp_f32 v32, v29, 1
	v_sub_f32_e32 v29, v29, v30
	s_or_b32 s0, s0, s23
	s_delay_alu instid0(VALU_DEP_3) | instskip(SKIP_1) | instid1(VALU_DEP_2)
	v_mul_f32_e32 v31, v33, v31
	v_mul_f32_e32 v33, 0x3f317218, v27
	v_dual_sub_f32 v13, v13, v29 :: v_dual_add_f32 v30, v32, v31
	s_delay_alu instid0(VALU_DEP_1) | instskip(NEXT) | instid1(VALU_DEP_2)
	v_ldexp_f32 v13, v13, 1
	v_sub_f32_e32 v29, v30, v32
	s_delay_alu instid0(VALU_DEP_4) | instskip(NEXT) | instid1(VALU_DEP_2)
	v_fma_f32 v32, 0x3f317218, v27, -v33
	v_sub_f32_e32 v29, v31, v29
	s_delay_alu instid0(VALU_DEP_2) | instskip(NEXT) | instid1(VALU_DEP_2)
	v_fmamk_f32 v27, v27, 0xb102e308, v32
	v_add_f32_e32 v13, v13, v29
	s_delay_alu instid0(VALU_DEP_2) | instskip(NEXT) | instid1(VALU_DEP_2)
	v_add_f32_e32 v29, v33, v27
	v_add_f32_e32 v31, v30, v13
	s_delay_alu instid0(VALU_DEP_2) | instskip(NEXT) | instid1(VALU_DEP_2)
	v_sub_f32_e32 v33, v29, v33
	v_add_f32_e32 v32, v29, v31
	v_sub_f32_e32 v30, v31, v30
	s_delay_alu instid0(VALU_DEP_3) | instskip(NEXT) | instid1(VALU_DEP_2)
	v_sub_f32_e32 v27, v27, v33
	v_dual_sub_f32 v34, v32, v29 :: v_dual_sub_f32 v13, v13, v30
	s_delay_alu instid0(VALU_DEP_1) | instskip(SKIP_1) | instid1(VALU_DEP_3)
	v_sub_f32_e32 v35, v32, v34
	v_sub_f32_e32 v30, v31, v34
	v_add_f32_e32 v31, v27, v13
	s_delay_alu instid0(VALU_DEP_3) | instskip(NEXT) | instid1(VALU_DEP_1)
	v_sub_f32_e32 v29, v29, v35
	v_dual_add_f32 v29, v30, v29 :: v_dual_sub_f32 v30, v31, v27
	s_delay_alu instid0(VALU_DEP_1) | instskip(NEXT) | instid1(VALU_DEP_2)
	v_add_f32_e32 v29, v31, v29
	v_sub_f32_e32 v31, v31, v30
	v_sub_f32_e32 v13, v13, v30
	s_delay_alu instid0(VALU_DEP_3) | instskip(NEXT) | instid1(VALU_DEP_1)
	v_add_f32_e32 v33, v32, v29
	v_dual_sub_f32 v27, v27, v31 :: v_dual_sub_f32 v30, v33, v32
	s_delay_alu instid0(VALU_DEP_1) | instskip(NEXT) | instid1(VALU_DEP_2)
	v_add_f32_e32 v13, v13, v27
	v_sub_f32_e32 v27, v29, v30
	s_delay_alu instid0(VALU_DEP_1) | instskip(NEXT) | instid1(VALU_DEP_1)
	v_add_f32_e32 v13, v13, v27
	v_add_f32_e32 v13, v33, v13
	s_delay_alu instid0(VALU_DEP_1) | instskip(NEXT) | instid1(VALU_DEP_1)
	v_cndmask_b32_e64 v7, v13, v7, s0
	v_add_f32_e32 v7, v26, v7
	s_delay_alu instid0(VALU_DEP_1) | instskip(NEXT) | instid1(VALU_DEP_1)
	v_cvt_f16_f32_e32 v30, v7
	v_cvt_f32_f16_e32 v13, v30
	v_mov_b32_e32 v7, v30
.LBB380_154:
	s_or_b32 exec_lo, exec_lo, s1
	s_delay_alu instid0(VALU_DEP_2) | instskip(SKIP_1) | instid1(VALU_DEP_2)
	v_dual_max_f32 v26, v23, v23 :: v_dual_max_f32 v27, v13, v13
	v_cmp_u_f16_e64 s0, v30, v30
	v_min_f32_e32 v29, v27, v26
	v_max_f32_e32 v26, v27, v26
	s_delay_alu instid0(VALU_DEP_2) | instskip(NEXT) | instid1(VALU_DEP_2)
	v_cndmask_b32_e64 v27, v29, v13, s0
	v_cndmask_b32_e64 v26, v26, v13, s0
	s_delay_alu instid0(VALU_DEP_2) | instskip(NEXT) | instid1(VALU_DEP_2)
	v_cndmask_b32_e64 v27, v27, v23, s40
	v_cndmask_b32_e64 v26, v26, v23, s40
	v_mov_b32_e32 v23, v7
	s_delay_alu instid0(VALU_DEP_3) | instskip(NEXT) | instid1(VALU_DEP_3)
	v_cmp_class_f32_e64 s1, v27, 0x1f8
	v_cmp_neq_f32_e64 s0, v27, v26
	s_delay_alu instid0(VALU_DEP_1) | instskip(NEXT) | instid1(SALU_CYCLE_1)
	s_or_b32 s0, s0, s1
	s_and_saveexec_b32 s1, s0
	s_cbranch_execz .LBB380_156
; %bb.155:
	v_sub_f32_e32 v13, v27, v26
	s_delay_alu instid0(VALU_DEP_1) | instskip(SKIP_1) | instid1(VALU_DEP_2)
	v_mul_f32_e32 v23, 0x3fb8aa3b, v13
	v_cmp_ngt_f32_e64 s0, 0xc2ce8ed0, v13
	v_fma_f32 v27, 0x3fb8aa3b, v13, -v23
	v_rndne_f32_e32 v29, v23
	s_delay_alu instid0(VALU_DEP_2) | instskip(NEXT) | instid1(VALU_DEP_2)
	v_fmamk_f32 v27, v13, 0x32a5705f, v27
	v_sub_f32_e32 v23, v23, v29
	s_delay_alu instid0(VALU_DEP_1) | instskip(SKIP_1) | instid1(VALU_DEP_2)
	v_add_f32_e32 v23, v23, v27
	v_cvt_i32_f32_e32 v27, v29
	v_exp_f32_e32 v23, v23
	s_waitcnt_depctr 0xfff
	v_ldexp_f32 v23, v23, v27
	s_delay_alu instid0(VALU_DEP_1) | instskip(SKIP_1) | instid1(VALU_DEP_1)
	v_cndmask_b32_e64 v23, 0, v23, s0
	v_cmp_nlt_f32_e64 s0, 0x42b17218, v13
	v_cndmask_b32_e64 v13, 0x7f800000, v23, s0
	s_delay_alu instid0(VALU_DEP_1) | instskip(SKIP_1) | instid1(VALU_DEP_2)
	v_add_f32_e32 v23, 1.0, v13
	v_cmp_gt_f32_e64 s23, 0x33800000, |v13|
	v_cvt_f64_f32_e32 v[29:30], v23
	s_delay_alu instid0(VALU_DEP_1) | instskip(SKIP_1) | instid1(VALU_DEP_1)
	v_frexp_exp_i32_f64_e32 v27, v[29:30]
	v_frexp_mant_f32_e32 v29, v23
	v_cmp_gt_f32_e64 s0, 0x3f2aaaab, v29
	v_add_f32_e32 v29, -1.0, v23
	s_delay_alu instid0(VALU_DEP_1) | instskip(SKIP_1) | instid1(VALU_DEP_2)
	v_sub_f32_e32 v31, v29, v23
	v_sub_f32_e32 v29, v13, v29
	v_add_f32_e32 v31, 1.0, v31
	s_delay_alu instid0(VALU_DEP_1) | instskip(SKIP_2) | instid1(VALU_DEP_1)
	v_add_f32_e32 v29, v29, v31
	v_subrev_co_ci_u32_e64 v27, s0, 0, v27, s0
	s_mov_b32 s0, 0x3e9b6dac
	v_sub_nc_u32_e32 v30, 0, v27
	v_cvt_f32_i32_e32 v27, v27
	s_delay_alu instid0(VALU_DEP_2) | instskip(SKIP_1) | instid1(VALU_DEP_2)
	v_ldexp_f32 v23, v23, v30
	v_ldexp_f32 v29, v29, v30
	v_add_f32_e32 v32, 1.0, v23
	s_delay_alu instid0(VALU_DEP_1) | instskip(NEXT) | instid1(VALU_DEP_1)
	v_dual_add_f32 v30, -1.0, v23 :: v_dual_add_f32 v31, -1.0, v32
	v_add_f32_e32 v33, 1.0, v30
	s_delay_alu instid0(VALU_DEP_2) | instskip(NEXT) | instid1(VALU_DEP_2)
	v_sub_f32_e32 v31, v23, v31
	v_sub_f32_e32 v23, v23, v33
	s_delay_alu instid0(VALU_DEP_2) | instskip(NEXT) | instid1(VALU_DEP_2)
	v_add_f32_e32 v31, v29, v31
	v_add_f32_e32 v23, v29, v23
	s_delay_alu instid0(VALU_DEP_2) | instskip(NEXT) | instid1(VALU_DEP_2)
	v_add_f32_e32 v33, v32, v31
	v_add_f32_e32 v34, v30, v23
	s_delay_alu instid0(VALU_DEP_2) | instskip(SKIP_1) | instid1(VALU_DEP_1)
	v_rcp_f32_e32 v29, v33
	v_sub_f32_e32 v32, v32, v33
	v_dual_sub_f32 v30, v30, v34 :: v_dual_add_f32 v31, v31, v32
	s_delay_alu instid0(VALU_DEP_1) | instskip(SKIP_2) | instid1(VALU_DEP_1)
	v_add_f32_e32 v23, v23, v30
	s_waitcnt_depctr 0xfff
	v_mul_f32_e32 v35, v34, v29
	v_mul_f32_e32 v36, v33, v35
	s_delay_alu instid0(VALU_DEP_1) | instskip(NEXT) | instid1(VALU_DEP_1)
	v_fma_f32 v32, v35, v33, -v36
	v_fmac_f32_e32 v32, v35, v31
	s_delay_alu instid0(VALU_DEP_1) | instskip(NEXT) | instid1(VALU_DEP_1)
	v_add_f32_e32 v37, v36, v32
	v_sub_f32_e32 v38, v34, v37
	v_sub_f32_e32 v30, v37, v36
	s_delay_alu instid0(VALU_DEP_2) | instskip(NEXT) | instid1(VALU_DEP_2)
	v_sub_f32_e32 v34, v34, v38
	v_sub_f32_e32 v30, v30, v32
	s_delay_alu instid0(VALU_DEP_2) | instskip(NEXT) | instid1(VALU_DEP_1)
	v_sub_f32_e32 v34, v34, v37
	v_add_f32_e32 v23, v23, v34
	s_delay_alu instid0(VALU_DEP_1) | instskip(NEXT) | instid1(VALU_DEP_1)
	v_add_f32_e32 v23, v30, v23
	v_add_f32_e32 v30, v38, v23
	s_delay_alu instid0(VALU_DEP_1) | instskip(NEXT) | instid1(VALU_DEP_1)
	v_mul_f32_e32 v32, v29, v30
	v_dual_sub_f32 v37, v38, v30 :: v_dual_mul_f32 v34, v33, v32
	s_delay_alu instid0(VALU_DEP_1) | instskip(NEXT) | instid1(VALU_DEP_2)
	v_add_f32_e32 v23, v23, v37
	v_fma_f32 v33, v32, v33, -v34
	s_delay_alu instid0(VALU_DEP_1) | instskip(NEXT) | instid1(VALU_DEP_1)
	v_fmac_f32_e32 v33, v32, v31
	v_add_f32_e32 v31, v34, v33
	s_delay_alu instid0(VALU_DEP_1) | instskip(SKIP_1) | instid1(VALU_DEP_2)
	v_sub_f32_e32 v36, v30, v31
	v_sub_f32_e32 v34, v31, v34
	;; [unrolled: 1-line block ×3, first 2 shown]
	s_delay_alu instid0(VALU_DEP_1) | instskip(NEXT) | instid1(VALU_DEP_3)
	v_sub_f32_e32 v30, v30, v31
	v_sub_f32_e32 v31, v34, v33
	s_delay_alu instid0(VALU_DEP_2) | instskip(SKIP_1) | instid1(VALU_DEP_2)
	v_add_f32_e32 v23, v23, v30
	v_add_f32_e32 v30, v35, v32
	;; [unrolled: 1-line block ×3, first 2 shown]
	s_delay_alu instid0(VALU_DEP_2) | instskip(NEXT) | instid1(VALU_DEP_2)
	v_sub_f32_e32 v31, v30, v35
	v_add_f32_e32 v23, v36, v23
	s_delay_alu instid0(VALU_DEP_2) | instskip(NEXT) | instid1(VALU_DEP_2)
	v_sub_f32_e32 v31, v32, v31
	v_mul_f32_e32 v23, v29, v23
	s_delay_alu instid0(VALU_DEP_1) | instskip(NEXT) | instid1(VALU_DEP_1)
	v_add_f32_e32 v23, v31, v23
	v_add_f32_e32 v29, v30, v23
	s_delay_alu instid0(VALU_DEP_1) | instskip(NEXT) | instid1(VALU_DEP_1)
	v_mul_f32_e32 v31, v29, v29
	v_fmaak_f32 v32, s0, v31, 0x3ecc95a3
	v_mul_f32_e32 v33, v29, v31
	v_cmp_eq_f32_e64 s0, 0x7f800000, v13
	s_delay_alu instid0(VALU_DEP_3) | instskip(SKIP_2) | instid1(VALU_DEP_4)
	v_fmaak_f32 v31, v31, v32, 0x3f2aaada
	v_ldexp_f32 v32, v29, 1
	v_sub_f32_e32 v29, v29, v30
	s_or_b32 s0, s0, s23
	s_delay_alu instid0(VALU_DEP_3) | instskip(SKIP_1) | instid1(VALU_DEP_2)
	v_mul_f32_e32 v31, v33, v31
	v_mul_f32_e32 v33, 0x3f317218, v27
	v_dual_sub_f32 v23, v23, v29 :: v_dual_add_f32 v30, v32, v31
	s_delay_alu instid0(VALU_DEP_1) | instskip(NEXT) | instid1(VALU_DEP_2)
	v_ldexp_f32 v23, v23, 1
	v_sub_f32_e32 v29, v30, v32
	s_delay_alu instid0(VALU_DEP_4) | instskip(NEXT) | instid1(VALU_DEP_2)
	v_fma_f32 v32, 0x3f317218, v27, -v33
	v_sub_f32_e32 v29, v31, v29
	s_delay_alu instid0(VALU_DEP_2) | instskip(NEXT) | instid1(VALU_DEP_2)
	v_fmamk_f32 v27, v27, 0xb102e308, v32
	v_add_f32_e32 v23, v23, v29
	s_delay_alu instid0(VALU_DEP_2) | instskip(NEXT) | instid1(VALU_DEP_2)
	v_add_f32_e32 v29, v33, v27
	v_add_f32_e32 v31, v30, v23
	s_delay_alu instid0(VALU_DEP_2) | instskip(NEXT) | instid1(VALU_DEP_2)
	v_sub_f32_e32 v33, v29, v33
	v_add_f32_e32 v32, v29, v31
	v_sub_f32_e32 v30, v31, v30
	s_delay_alu instid0(VALU_DEP_3) | instskip(NEXT) | instid1(VALU_DEP_2)
	v_sub_f32_e32 v27, v27, v33
	v_dual_sub_f32 v34, v32, v29 :: v_dual_sub_f32 v23, v23, v30
	s_delay_alu instid0(VALU_DEP_1) | instskip(SKIP_1) | instid1(VALU_DEP_3)
	v_sub_f32_e32 v35, v32, v34
	v_sub_f32_e32 v30, v31, v34
	v_add_f32_e32 v31, v27, v23
	s_delay_alu instid0(VALU_DEP_3) | instskip(NEXT) | instid1(VALU_DEP_1)
	v_sub_f32_e32 v29, v29, v35
	v_dual_add_f32 v29, v30, v29 :: v_dual_sub_f32 v30, v31, v27
	s_delay_alu instid0(VALU_DEP_1) | instskip(NEXT) | instid1(VALU_DEP_2)
	v_add_f32_e32 v29, v31, v29
	v_sub_f32_e32 v31, v31, v30
	v_sub_f32_e32 v23, v23, v30
	s_delay_alu instid0(VALU_DEP_3) | instskip(NEXT) | instid1(VALU_DEP_1)
	v_add_f32_e32 v33, v32, v29
	v_dual_sub_f32 v27, v27, v31 :: v_dual_sub_f32 v30, v33, v32
	s_delay_alu instid0(VALU_DEP_1) | instskip(NEXT) | instid1(VALU_DEP_2)
	v_add_f32_e32 v23, v23, v27
	v_sub_f32_e32 v27, v29, v30
	s_delay_alu instid0(VALU_DEP_1) | instskip(NEXT) | instid1(VALU_DEP_1)
	v_add_f32_e32 v23, v23, v27
	v_add_f32_e32 v23, v33, v23
	s_delay_alu instid0(VALU_DEP_1) | instskip(NEXT) | instid1(VALU_DEP_1)
	v_cndmask_b32_e64 v13, v23, v13, s0
	v_add_f32_e32 v13, v26, v13
	s_delay_alu instid0(VALU_DEP_1) | instskip(NEXT) | instid1(VALU_DEP_1)
	v_cvt_f16_f32_e32 v30, v13
	v_cvt_f32_f16_e32 v13, v30
	v_mov_b32_e32 v23, v30
.LBB380_156:
	s_or_b32 exec_lo, exec_lo, s1
	s_delay_alu instid0(VALU_DEP_2) | instskip(SKIP_1) | instid1(VALU_DEP_2)
	v_dual_max_f32 v26, v4, v4 :: v_dual_max_f32 v27, v13, v13
	v_cmp_u_f16_e64 s0, v30, v30
	v_min_f32_e32 v29, v27, v26
	v_max_f32_e32 v26, v27, v26
	s_delay_alu instid0(VALU_DEP_2) | instskip(NEXT) | instid1(VALU_DEP_2)
	v_cndmask_b32_e64 v27, v29, v13, s0
	v_cndmask_b32_e64 v26, v26, v13, s0
	s_delay_alu instid0(VALU_DEP_2) | instskip(NEXT) | instid1(VALU_DEP_2)
	v_cndmask_b32_e64 v27, v27, v4, s41
	v_cndmask_b32_e64 v26, v26, v4, s41
	v_mov_b32_e32 v4, v23
	s_delay_alu instid0(VALU_DEP_3) | instskip(NEXT) | instid1(VALU_DEP_3)
	v_cmp_class_f32_e64 s1, v27, 0x1f8
	v_cmp_neq_f32_e64 s0, v27, v26
	s_delay_alu instid0(VALU_DEP_1) | instskip(NEXT) | instid1(SALU_CYCLE_1)
	s_or_b32 s0, s0, s1
	s_and_saveexec_b32 s1, s0
	s_cbranch_execz .LBB380_158
; %bb.157:
	v_sub_f32_e32 v4, v27, v26
	s_delay_alu instid0(VALU_DEP_1) | instskip(NEXT) | instid1(VALU_DEP_1)
	v_mul_f32_e32 v13, 0x3fb8aa3b, v4
	v_fma_f32 v27, 0x3fb8aa3b, v4, -v13
	v_rndne_f32_e32 v29, v13
	s_delay_alu instid0(VALU_DEP_1) | instskip(NEXT) | instid1(VALU_DEP_3)
	v_sub_f32_e32 v13, v13, v29
	v_fmamk_f32 v27, v4, 0x32a5705f, v27
	v_cmp_ngt_f32_e64 s0, 0xc2ce8ed0, v4
	s_delay_alu instid0(VALU_DEP_2) | instskip(SKIP_1) | instid1(VALU_DEP_2)
	v_add_f32_e32 v13, v13, v27
	v_cvt_i32_f32_e32 v27, v29
	v_exp_f32_e32 v13, v13
	s_waitcnt_depctr 0xfff
	v_ldexp_f32 v13, v13, v27
	s_delay_alu instid0(VALU_DEP_1) | instskip(SKIP_1) | instid1(VALU_DEP_1)
	v_cndmask_b32_e64 v13, 0, v13, s0
	v_cmp_nlt_f32_e64 s0, 0x42b17218, v4
	v_cndmask_b32_e64 v4, 0x7f800000, v13, s0
	s_delay_alu instid0(VALU_DEP_1) | instskip(SKIP_1) | instid1(VALU_DEP_2)
	v_add_f32_e32 v13, 1.0, v4
	v_cmp_gt_f32_e64 s23, 0x33800000, |v4|
	v_cvt_f64_f32_e32 v[29:30], v13
	s_delay_alu instid0(VALU_DEP_1) | instskip(SKIP_1) | instid1(VALU_DEP_1)
	v_frexp_exp_i32_f64_e32 v27, v[29:30]
	v_frexp_mant_f32_e32 v29, v13
	v_cmp_gt_f32_e64 s0, 0x3f2aaaab, v29
	v_add_f32_e32 v29, -1.0, v13
	s_delay_alu instid0(VALU_DEP_1) | instskip(SKIP_1) | instid1(VALU_DEP_4)
	v_sub_f32_e32 v31, v29, v13
	v_sub_f32_e32 v29, v4, v29
	v_subrev_co_ci_u32_e64 v27, s0, 0, v27, s0
	s_mov_b32 s0, 0x3e9b6dac
	s_delay_alu instid0(VALU_DEP_1) | instskip(SKIP_1) | instid1(VALU_DEP_2)
	v_sub_nc_u32_e32 v30, 0, v27
	v_cvt_f32_i32_e32 v27, v27
	v_ldexp_f32 v13, v13, v30
	s_delay_alu instid0(VALU_DEP_1) | instskip(NEXT) | instid1(VALU_DEP_1)
	v_dual_add_f32 v31, 1.0, v31 :: v_dual_add_f32 v32, 1.0, v13
	v_add_f32_e32 v29, v29, v31
	s_delay_alu instid0(VALU_DEP_2) | instskip(NEXT) | instid1(VALU_DEP_2)
	v_add_f32_e32 v31, -1.0, v32
	v_ldexp_f32 v29, v29, v30
	s_delay_alu instid0(VALU_DEP_2) | instskip(NEXT) | instid1(VALU_DEP_1)
	v_dual_add_f32 v30, -1.0, v13 :: v_dual_sub_f32 v31, v13, v31
	v_add_f32_e32 v33, 1.0, v30
	s_delay_alu instid0(VALU_DEP_2) | instskip(NEXT) | instid1(VALU_DEP_2)
	v_add_f32_e32 v31, v29, v31
	v_sub_f32_e32 v13, v13, v33
	s_delay_alu instid0(VALU_DEP_2) | instskip(NEXT) | instid1(VALU_DEP_2)
	v_add_f32_e32 v33, v32, v31
	v_add_f32_e32 v13, v29, v13
	s_delay_alu instid0(VALU_DEP_2) | instskip(SKIP_1) | instid1(VALU_DEP_1)
	v_rcp_f32_e32 v29, v33
	v_sub_f32_e32 v32, v32, v33
	v_dual_add_f32 v34, v30, v13 :: v_dual_add_f32 v31, v31, v32
	s_delay_alu instid0(VALU_DEP_1) | instskip(SKIP_3) | instid1(VALU_DEP_2)
	v_sub_f32_e32 v30, v30, v34
	s_waitcnt_depctr 0xfff
	v_mul_f32_e32 v35, v34, v29
	v_add_f32_e32 v13, v13, v30
	v_mul_f32_e32 v36, v33, v35
	s_delay_alu instid0(VALU_DEP_1) | instskip(NEXT) | instid1(VALU_DEP_1)
	v_fma_f32 v32, v35, v33, -v36
	v_fmac_f32_e32 v32, v35, v31
	s_delay_alu instid0(VALU_DEP_1) | instskip(NEXT) | instid1(VALU_DEP_1)
	v_add_f32_e32 v37, v36, v32
	v_sub_f32_e32 v38, v34, v37
	v_sub_f32_e32 v30, v37, v36
	s_delay_alu instid0(VALU_DEP_2) | instskip(NEXT) | instid1(VALU_DEP_2)
	v_sub_f32_e32 v34, v34, v38
	v_sub_f32_e32 v30, v30, v32
	s_delay_alu instid0(VALU_DEP_2) | instskip(NEXT) | instid1(VALU_DEP_1)
	v_sub_f32_e32 v34, v34, v37
	v_add_f32_e32 v13, v13, v34
	s_delay_alu instid0(VALU_DEP_1) | instskip(NEXT) | instid1(VALU_DEP_1)
	v_add_f32_e32 v13, v30, v13
	v_add_f32_e32 v30, v38, v13
	s_delay_alu instid0(VALU_DEP_1) | instskip(NEXT) | instid1(VALU_DEP_1)
	v_mul_f32_e32 v32, v29, v30
	v_dual_sub_f32 v37, v38, v30 :: v_dual_mul_f32 v34, v33, v32
	s_delay_alu instid0(VALU_DEP_1) | instskip(NEXT) | instid1(VALU_DEP_2)
	v_add_f32_e32 v13, v13, v37
	v_fma_f32 v33, v32, v33, -v34
	s_delay_alu instid0(VALU_DEP_1) | instskip(NEXT) | instid1(VALU_DEP_1)
	v_fmac_f32_e32 v33, v32, v31
	v_add_f32_e32 v31, v34, v33
	s_delay_alu instid0(VALU_DEP_1) | instskip(SKIP_1) | instid1(VALU_DEP_2)
	v_sub_f32_e32 v36, v30, v31
	v_sub_f32_e32 v34, v31, v34
	;; [unrolled: 1-line block ×3, first 2 shown]
	s_delay_alu instid0(VALU_DEP_1) | instskip(NEXT) | instid1(VALU_DEP_3)
	v_sub_f32_e32 v30, v30, v31
	v_sub_f32_e32 v31, v34, v33
	s_delay_alu instid0(VALU_DEP_2) | instskip(NEXT) | instid1(VALU_DEP_1)
	v_dual_add_f32 v13, v13, v30 :: v_dual_add_f32 v30, v35, v32
	v_add_f32_e32 v13, v31, v13
	s_delay_alu instid0(VALU_DEP_2) | instskip(NEXT) | instid1(VALU_DEP_2)
	v_sub_f32_e32 v31, v30, v35
	v_add_f32_e32 v13, v36, v13
	s_delay_alu instid0(VALU_DEP_2) | instskip(NEXT) | instid1(VALU_DEP_2)
	v_sub_f32_e32 v31, v32, v31
	v_mul_f32_e32 v13, v29, v13
	s_delay_alu instid0(VALU_DEP_1) | instskip(NEXT) | instid1(VALU_DEP_1)
	v_add_f32_e32 v13, v31, v13
	v_add_f32_e32 v29, v30, v13
	s_delay_alu instid0(VALU_DEP_1) | instskip(NEXT) | instid1(VALU_DEP_1)
	v_mul_f32_e32 v31, v29, v29
	v_fmaak_f32 v32, s0, v31, 0x3ecc95a3
	v_mul_f32_e32 v33, v29, v31
	v_cmp_eq_f32_e64 s0, 0x7f800000, v4
	s_delay_alu instid0(VALU_DEP_3) | instskip(SKIP_2) | instid1(VALU_DEP_4)
	v_fmaak_f32 v31, v31, v32, 0x3f2aaada
	v_ldexp_f32 v32, v29, 1
	v_sub_f32_e32 v29, v29, v30
	s_or_b32 s0, s0, s23
	s_delay_alu instid0(VALU_DEP_3) | instskip(SKIP_1) | instid1(VALU_DEP_2)
	v_mul_f32_e32 v31, v33, v31
	v_mul_f32_e32 v33, 0x3f317218, v27
	v_dual_sub_f32 v13, v13, v29 :: v_dual_add_f32 v30, v32, v31
	s_delay_alu instid0(VALU_DEP_1) | instskip(NEXT) | instid1(VALU_DEP_2)
	v_ldexp_f32 v13, v13, 1
	v_sub_f32_e32 v29, v30, v32
	s_delay_alu instid0(VALU_DEP_4) | instskip(NEXT) | instid1(VALU_DEP_2)
	v_fma_f32 v32, 0x3f317218, v27, -v33
	v_sub_f32_e32 v29, v31, v29
	s_delay_alu instid0(VALU_DEP_2) | instskip(NEXT) | instid1(VALU_DEP_2)
	v_fmamk_f32 v27, v27, 0xb102e308, v32
	v_add_f32_e32 v13, v13, v29
	s_delay_alu instid0(VALU_DEP_2) | instskip(NEXT) | instid1(VALU_DEP_2)
	v_add_f32_e32 v29, v33, v27
	v_add_f32_e32 v31, v30, v13
	s_delay_alu instid0(VALU_DEP_2) | instskip(NEXT) | instid1(VALU_DEP_2)
	v_sub_f32_e32 v33, v29, v33
	v_add_f32_e32 v32, v29, v31
	v_sub_f32_e32 v30, v31, v30
	s_delay_alu instid0(VALU_DEP_3) | instskip(NEXT) | instid1(VALU_DEP_2)
	v_sub_f32_e32 v27, v27, v33
	v_dual_sub_f32 v34, v32, v29 :: v_dual_sub_f32 v13, v13, v30
	s_delay_alu instid0(VALU_DEP_1) | instskip(SKIP_1) | instid1(VALU_DEP_3)
	v_sub_f32_e32 v35, v32, v34
	v_sub_f32_e32 v30, v31, v34
	v_add_f32_e32 v31, v27, v13
	s_delay_alu instid0(VALU_DEP_3) | instskip(NEXT) | instid1(VALU_DEP_1)
	v_sub_f32_e32 v29, v29, v35
	v_dual_add_f32 v29, v30, v29 :: v_dual_sub_f32 v30, v31, v27
	s_delay_alu instid0(VALU_DEP_1) | instskip(NEXT) | instid1(VALU_DEP_2)
	v_add_f32_e32 v29, v31, v29
	v_sub_f32_e32 v31, v31, v30
	v_sub_f32_e32 v13, v13, v30
	s_delay_alu instid0(VALU_DEP_3) | instskip(NEXT) | instid1(VALU_DEP_1)
	v_add_f32_e32 v33, v32, v29
	v_dual_sub_f32 v27, v27, v31 :: v_dual_sub_f32 v30, v33, v32
	s_delay_alu instid0(VALU_DEP_1) | instskip(NEXT) | instid1(VALU_DEP_2)
	v_add_f32_e32 v13, v13, v27
	v_sub_f32_e32 v27, v29, v30
	s_delay_alu instid0(VALU_DEP_1) | instskip(NEXT) | instid1(VALU_DEP_1)
	v_add_f32_e32 v13, v13, v27
	v_add_f32_e32 v13, v33, v13
	s_delay_alu instid0(VALU_DEP_1) | instskip(NEXT) | instid1(VALU_DEP_1)
	v_cndmask_b32_e64 v4, v13, v4, s0
	v_add_f32_e32 v4, v26, v4
	s_delay_alu instid0(VALU_DEP_1) | instskip(NEXT) | instid1(VALU_DEP_1)
	v_cvt_f16_f32_e32 v30, v4
	v_mov_b32_e32 v4, v30
	v_cvt_f32_f16_e32 v13, v30
.LBB380_158:
	s_or_b32 exec_lo, exec_lo, s1
	s_delay_alu instid0(VALU_DEP_1) | instskip(SKIP_1) | instid1(VALU_DEP_2)
	v_dual_max_f32 v26, v24, v24 :: v_dual_max_f32 v27, v13, v13
	v_cmp_u_f16_e64 s0, v30, v30
	v_min_f32_e32 v29, v27, v26
	v_max_f32_e32 v26, v27, v26
	s_delay_alu instid0(VALU_DEP_2) | instskip(NEXT) | instid1(VALU_DEP_2)
	v_cndmask_b32_e64 v27, v29, v13, s0
	v_cndmask_b32_e64 v26, v26, v13, s0
	s_delay_alu instid0(VALU_DEP_2) | instskip(NEXT) | instid1(VALU_DEP_2)
	v_cndmask_b32_e64 v27, v27, v24, s42
	v_cndmask_b32_e64 v26, v26, v24, s42
	v_mov_b32_e32 v24, v4
	s_delay_alu instid0(VALU_DEP_3) | instskip(NEXT) | instid1(VALU_DEP_3)
	v_cmp_class_f32_e64 s1, v27, 0x1f8
	v_cmp_neq_f32_e64 s0, v27, v26
	s_delay_alu instid0(VALU_DEP_1) | instskip(NEXT) | instid1(SALU_CYCLE_1)
	s_or_b32 s0, s0, s1
	s_and_saveexec_b32 s1, s0
	s_cbranch_execz .LBB380_160
; %bb.159:
	v_sub_f32_e32 v13, v27, v26
	s_delay_alu instid0(VALU_DEP_1) | instskip(NEXT) | instid1(VALU_DEP_1)
	v_mul_f32_e32 v24, 0x3fb8aa3b, v13
	v_fma_f32 v27, 0x3fb8aa3b, v13, -v24
	v_rndne_f32_e32 v29, v24
	s_delay_alu instid0(VALU_DEP_1) | instskip(SKIP_1) | instid1(VALU_DEP_2)
	v_dual_sub_f32 v24, v24, v29 :: v_dual_fmamk_f32 v27, v13, 0x32a5705f, v27
	v_cmp_ngt_f32_e64 s0, 0xc2ce8ed0, v13
	v_add_f32_e32 v24, v24, v27
	v_cvt_i32_f32_e32 v27, v29
	s_delay_alu instid0(VALU_DEP_2) | instskip(SKIP_2) | instid1(VALU_DEP_1)
	v_exp_f32_e32 v24, v24
	s_waitcnt_depctr 0xfff
	v_ldexp_f32 v24, v24, v27
	v_cndmask_b32_e64 v24, 0, v24, s0
	v_cmp_nlt_f32_e64 s0, 0x42b17218, v13
	s_delay_alu instid0(VALU_DEP_1) | instskip(NEXT) | instid1(VALU_DEP_1)
	v_cndmask_b32_e64 v13, 0x7f800000, v24, s0
	v_add_f32_e32 v24, 1.0, v13
	v_cmp_gt_f32_e64 s23, 0x33800000, |v13|
	s_delay_alu instid0(VALU_DEP_2) | instskip(NEXT) | instid1(VALU_DEP_1)
	v_cvt_f64_f32_e32 v[29:30], v24
	v_frexp_exp_i32_f64_e32 v27, v[29:30]
	v_frexp_mant_f32_e32 v29, v24
	s_delay_alu instid0(VALU_DEP_1) | instskip(SKIP_1) | instid1(VALU_DEP_1)
	v_cmp_gt_f32_e64 s0, 0x3f2aaaab, v29
	v_add_f32_e32 v29, -1.0, v24
	v_sub_f32_e32 v31, v29, v24
	v_sub_f32_e32 v29, v13, v29
	s_delay_alu instid0(VALU_DEP_2) | instskip(NEXT) | instid1(VALU_DEP_1)
	v_add_f32_e32 v31, 1.0, v31
	v_add_f32_e32 v29, v29, v31
	v_subrev_co_ci_u32_e64 v27, s0, 0, v27, s0
	s_mov_b32 s0, 0x3e9b6dac
	s_delay_alu instid0(VALU_DEP_1) | instskip(SKIP_1) | instid1(VALU_DEP_2)
	v_sub_nc_u32_e32 v30, 0, v27
	v_cvt_f32_i32_e32 v27, v27
	v_ldexp_f32 v24, v24, v30
	v_ldexp_f32 v29, v29, v30
	s_delay_alu instid0(VALU_DEP_2) | instskip(NEXT) | instid1(VALU_DEP_1)
	v_add_f32_e32 v32, 1.0, v24
	v_add_f32_e32 v31, -1.0, v32
	s_delay_alu instid0(VALU_DEP_1) | instskip(NEXT) | instid1(VALU_DEP_1)
	v_dual_add_f32 v30, -1.0, v24 :: v_dual_sub_f32 v31, v24, v31
	v_add_f32_e32 v33, 1.0, v30
	s_delay_alu instid0(VALU_DEP_1) | instskip(NEXT) | instid1(VALU_DEP_1)
	v_sub_f32_e32 v24, v24, v33
	v_add_f32_e32 v24, v29, v24
	s_delay_alu instid0(VALU_DEP_1) | instskip(NEXT) | instid1(VALU_DEP_1)
	v_dual_add_f32 v31, v29, v31 :: v_dual_add_f32 v34, v30, v24
	v_dual_add_f32 v33, v32, v31 :: v_dual_sub_f32 v30, v30, v34
	s_delay_alu instid0(VALU_DEP_1) | instskip(SKIP_1) | instid1(VALU_DEP_1)
	v_rcp_f32_e32 v29, v33
	v_sub_f32_e32 v32, v32, v33
	v_dual_add_f32 v24, v24, v30 :: v_dual_add_f32 v31, v31, v32
	s_waitcnt_depctr 0xfff
	v_mul_f32_e32 v35, v34, v29
	s_delay_alu instid0(VALU_DEP_1) | instskip(NEXT) | instid1(VALU_DEP_1)
	v_mul_f32_e32 v36, v33, v35
	v_fma_f32 v32, v35, v33, -v36
	s_delay_alu instid0(VALU_DEP_1) | instskip(NEXT) | instid1(VALU_DEP_1)
	v_fmac_f32_e32 v32, v35, v31
	v_add_f32_e32 v37, v36, v32
	s_delay_alu instid0(VALU_DEP_1) | instskip(NEXT) | instid1(VALU_DEP_1)
	v_sub_f32_e32 v38, v34, v37
	v_sub_f32_e32 v34, v34, v38
	;; [unrolled: 1-line block ×3, first 2 shown]
	s_delay_alu instid0(VALU_DEP_2) | instskip(NEXT) | instid1(VALU_DEP_2)
	v_sub_f32_e32 v34, v34, v37
	v_sub_f32_e32 v30, v30, v32
	s_delay_alu instid0(VALU_DEP_2) | instskip(NEXT) | instid1(VALU_DEP_1)
	v_add_f32_e32 v24, v24, v34
	v_add_f32_e32 v24, v30, v24
	s_delay_alu instid0(VALU_DEP_1) | instskip(NEXT) | instid1(VALU_DEP_1)
	v_add_f32_e32 v30, v38, v24
	v_mul_f32_e32 v32, v29, v30
	s_delay_alu instid0(VALU_DEP_1) | instskip(NEXT) | instid1(VALU_DEP_1)
	v_dual_sub_f32 v37, v38, v30 :: v_dual_mul_f32 v34, v33, v32
	v_add_f32_e32 v24, v24, v37
	s_delay_alu instid0(VALU_DEP_2) | instskip(NEXT) | instid1(VALU_DEP_1)
	v_fma_f32 v33, v32, v33, -v34
	v_fmac_f32_e32 v33, v32, v31
	s_delay_alu instid0(VALU_DEP_1) | instskip(NEXT) | instid1(VALU_DEP_1)
	v_add_f32_e32 v31, v34, v33
	v_sub_f32_e32 v36, v30, v31
	s_delay_alu instid0(VALU_DEP_1) | instskip(NEXT) | instid1(VALU_DEP_1)
	v_sub_f32_e32 v30, v30, v36
	v_sub_f32_e32 v30, v30, v31
	s_delay_alu instid0(VALU_DEP_1) | instskip(SKIP_2) | instid1(VALU_DEP_1)
	v_add_f32_e32 v24, v24, v30
	v_add_f32_e32 v30, v35, v32
	v_sub_f32_e32 v34, v31, v34
	v_sub_f32_e32 v31, v34, v33
	s_delay_alu instid0(VALU_DEP_1) | instskip(NEXT) | instid1(VALU_DEP_1)
	v_dual_add_f32 v24, v31, v24 :: v_dual_sub_f32 v31, v30, v35
	v_add_f32_e32 v24, v36, v24
	s_delay_alu instid0(VALU_DEP_1) | instskip(NEXT) | instid1(VALU_DEP_1)
	v_dual_sub_f32 v31, v32, v31 :: v_dual_mul_f32 v24, v29, v24
	v_add_f32_e32 v24, v31, v24
	s_delay_alu instid0(VALU_DEP_1) | instskip(NEXT) | instid1(VALU_DEP_1)
	v_add_f32_e32 v29, v30, v24
	v_mul_f32_e32 v31, v29, v29
	s_delay_alu instid0(VALU_DEP_1) | instskip(SKIP_2) | instid1(VALU_DEP_3)
	v_fmaak_f32 v32, s0, v31, 0x3ecc95a3
	v_mul_f32_e32 v33, v29, v31
	v_cmp_eq_f32_e64 s0, 0x7f800000, v13
	v_fmaak_f32 v31, v31, v32, 0x3f2aaada
	v_ldexp_f32 v32, v29, 1
	v_sub_f32_e32 v29, v29, v30
	s_delay_alu instid0(VALU_DEP_4) | instskip(NEXT) | instid1(VALU_DEP_3)
	s_or_b32 s0, s0, s23
	v_mul_f32_e32 v31, v33, v31
	s_delay_alu instid0(VALU_DEP_2) | instskip(NEXT) | instid1(VALU_DEP_2)
	v_dual_mul_f32 v33, 0x3f317218, v27 :: v_dual_sub_f32 v24, v24, v29
	v_add_f32_e32 v30, v32, v31
	s_delay_alu instid0(VALU_DEP_2) | instskip(NEXT) | instid1(VALU_DEP_2)
	v_ldexp_f32 v24, v24, 1
	v_sub_f32_e32 v29, v30, v32
	s_delay_alu instid0(VALU_DEP_4) | instskip(NEXT) | instid1(VALU_DEP_2)
	v_fma_f32 v32, 0x3f317218, v27, -v33
	v_sub_f32_e32 v29, v31, v29
	s_delay_alu instid0(VALU_DEP_1) | instskip(NEXT) | instid1(VALU_DEP_1)
	v_dual_fmamk_f32 v27, v27, 0xb102e308, v32 :: v_dual_add_f32 v24, v24, v29
	v_add_f32_e32 v29, v33, v27
	s_delay_alu instid0(VALU_DEP_1) | instskip(NEXT) | instid1(VALU_DEP_1)
	v_sub_f32_e32 v33, v29, v33
	v_sub_f32_e32 v27, v27, v33
	s_delay_alu instid0(VALU_DEP_4) | instskip(NEXT) | instid1(VALU_DEP_1)
	v_add_f32_e32 v31, v30, v24
	v_sub_f32_e32 v30, v31, v30
	s_delay_alu instid0(VALU_DEP_1) | instskip(SKIP_1) | instid1(VALU_DEP_1)
	v_sub_f32_e32 v24, v24, v30
	v_add_f32_e32 v32, v29, v31
	v_sub_f32_e32 v34, v32, v29
	s_delay_alu instid0(VALU_DEP_1) | instskip(NEXT) | instid1(VALU_DEP_4)
	v_sub_f32_e32 v30, v31, v34
	v_add_f32_e32 v31, v27, v24
	v_sub_f32_e32 v35, v32, v34
	s_delay_alu instid0(VALU_DEP_1) | instskip(NEXT) | instid1(VALU_DEP_1)
	v_sub_f32_e32 v29, v29, v35
	v_dual_add_f32 v29, v30, v29 :: v_dual_sub_f32 v30, v31, v27
	s_delay_alu instid0(VALU_DEP_1) | instskip(SKIP_1) | instid1(VALU_DEP_2)
	v_dual_add_f32 v29, v31, v29 :: v_dual_sub_f32 v24, v24, v30
	v_sub_f32_e32 v31, v31, v30
	v_add_f32_e32 v33, v32, v29
	s_delay_alu instid0(VALU_DEP_1) | instskip(NEXT) | instid1(VALU_DEP_1)
	v_dual_sub_f32 v27, v27, v31 :: v_dual_sub_f32 v30, v33, v32
	v_dual_add_f32 v24, v24, v27 :: v_dual_sub_f32 v27, v29, v30
	s_delay_alu instid0(VALU_DEP_1) | instskip(NEXT) | instid1(VALU_DEP_1)
	v_add_f32_e32 v24, v24, v27
	v_add_f32_e32 v24, v33, v24
	s_delay_alu instid0(VALU_DEP_1) | instskip(NEXT) | instid1(VALU_DEP_1)
	v_cndmask_b32_e64 v13, v24, v13, s0
	v_add_f32_e32 v13, v26, v13
	s_delay_alu instid0(VALU_DEP_1) | instskip(NEXT) | instid1(VALU_DEP_1)
	v_cvt_f16_f32_e32 v30, v13
	v_cvt_f32_f16_e32 v13, v30
	v_mov_b32_e32 v24, v30
.LBB380_160:
	s_or_b32 exec_lo, exec_lo, s1
	v_max_f32_e32 v26, v5, v5
	s_delay_alu instid0(VALU_DEP_3) | instskip(SKIP_1) | instid1(VALU_DEP_2)
	v_max_f32_e32 v27, v13, v13
	v_cmp_u_f16_e64 s0, v30, v30
	v_min_f32_e32 v29, v27, v26
	v_max_f32_e32 v26, v27, v26
	s_delay_alu instid0(VALU_DEP_2) | instskip(NEXT) | instid1(VALU_DEP_2)
	v_cndmask_b32_e64 v27, v29, v13, s0
	v_cndmask_b32_e64 v26, v26, v13, s0
	s_delay_alu instid0(VALU_DEP_2) | instskip(NEXT) | instid1(VALU_DEP_2)
	v_cndmask_b32_e64 v27, v27, v5, s43
	v_cndmask_b32_e64 v26, v26, v5, s43
	v_mov_b32_e32 v5, v24
	s_delay_alu instid0(VALU_DEP_3) | instskip(NEXT) | instid1(VALU_DEP_3)
	v_cmp_class_f32_e64 s1, v27, 0x1f8
	v_cmp_neq_f32_e64 s0, v27, v26
	s_delay_alu instid0(VALU_DEP_1) | instskip(NEXT) | instid1(SALU_CYCLE_1)
	s_or_b32 s0, s0, s1
	s_and_saveexec_b32 s1, s0
	s_cbranch_execz .LBB380_162
; %bb.161:
	v_sub_f32_e32 v5, v27, v26
	s_delay_alu instid0(VALU_DEP_1) | instskip(SKIP_1) | instid1(VALU_DEP_2)
	v_mul_f32_e32 v13, 0x3fb8aa3b, v5
	v_cmp_ngt_f32_e64 s0, 0xc2ce8ed0, v5
	v_fma_f32 v27, 0x3fb8aa3b, v5, -v13
	v_rndne_f32_e32 v29, v13
	s_delay_alu instid0(VALU_DEP_2) | instskip(NEXT) | instid1(VALU_DEP_2)
	v_fmamk_f32 v27, v5, 0x32a5705f, v27
	v_sub_f32_e32 v13, v13, v29
	s_delay_alu instid0(VALU_DEP_1) | instskip(SKIP_1) | instid1(VALU_DEP_2)
	v_add_f32_e32 v13, v13, v27
	v_cvt_i32_f32_e32 v27, v29
	v_exp_f32_e32 v13, v13
	s_waitcnt_depctr 0xfff
	v_ldexp_f32 v13, v13, v27
	s_delay_alu instid0(VALU_DEP_1) | instskip(SKIP_1) | instid1(VALU_DEP_1)
	v_cndmask_b32_e64 v13, 0, v13, s0
	v_cmp_nlt_f32_e64 s0, 0x42b17218, v5
	v_cndmask_b32_e64 v5, 0x7f800000, v13, s0
	s_delay_alu instid0(VALU_DEP_1) | instskip(SKIP_1) | instid1(VALU_DEP_2)
	v_add_f32_e32 v13, 1.0, v5
	v_cmp_gt_f32_e64 s23, 0x33800000, |v5|
	v_cvt_f64_f32_e32 v[29:30], v13
	s_delay_alu instid0(VALU_DEP_1) | instskip(SKIP_1) | instid1(VALU_DEP_1)
	v_frexp_exp_i32_f64_e32 v27, v[29:30]
	v_frexp_mant_f32_e32 v29, v13
	v_cmp_gt_f32_e64 s0, 0x3f2aaaab, v29
	v_add_f32_e32 v29, -1.0, v13
	s_delay_alu instid0(VALU_DEP_1) | instskip(SKIP_1) | instid1(VALU_DEP_2)
	v_sub_f32_e32 v31, v29, v13
	v_sub_f32_e32 v29, v5, v29
	v_add_f32_e32 v31, 1.0, v31
	s_delay_alu instid0(VALU_DEP_1) | instskip(SKIP_2) | instid1(VALU_DEP_1)
	v_add_f32_e32 v29, v29, v31
	v_subrev_co_ci_u32_e64 v27, s0, 0, v27, s0
	s_mov_b32 s0, 0x3e9b6dac
	v_sub_nc_u32_e32 v30, 0, v27
	v_cvt_f32_i32_e32 v27, v27
	s_delay_alu instid0(VALU_DEP_2) | instskip(SKIP_1) | instid1(VALU_DEP_2)
	v_ldexp_f32 v13, v13, v30
	v_ldexp_f32 v29, v29, v30
	v_add_f32_e32 v32, 1.0, v13
	s_delay_alu instid0(VALU_DEP_1) | instskip(NEXT) | instid1(VALU_DEP_1)
	v_dual_add_f32 v30, -1.0, v13 :: v_dual_add_f32 v31, -1.0, v32
	v_add_f32_e32 v33, 1.0, v30
	s_delay_alu instid0(VALU_DEP_2) | instskip(NEXT) | instid1(VALU_DEP_2)
	v_sub_f32_e32 v31, v13, v31
	v_sub_f32_e32 v13, v13, v33
	s_delay_alu instid0(VALU_DEP_2) | instskip(NEXT) | instid1(VALU_DEP_2)
	v_add_f32_e32 v31, v29, v31
	v_add_f32_e32 v13, v29, v13
	s_delay_alu instid0(VALU_DEP_1) | instskip(NEXT) | instid1(VALU_DEP_1)
	v_dual_add_f32 v33, v32, v31 :: v_dual_add_f32 v34, v30, v13
	v_rcp_f32_e32 v29, v33
	v_sub_f32_e32 v32, v32, v33
	s_delay_alu instid0(VALU_DEP_1) | instskip(SKIP_3) | instid1(VALU_DEP_2)
	v_dual_sub_f32 v30, v30, v34 :: v_dual_add_f32 v31, v31, v32
	s_waitcnt_depctr 0xfff
	v_mul_f32_e32 v35, v34, v29
	v_add_f32_e32 v13, v13, v30
	v_mul_f32_e32 v36, v33, v35
	s_delay_alu instid0(VALU_DEP_1) | instskip(NEXT) | instid1(VALU_DEP_1)
	v_fma_f32 v32, v35, v33, -v36
	v_fmac_f32_e32 v32, v35, v31
	s_delay_alu instid0(VALU_DEP_1) | instskip(NEXT) | instid1(VALU_DEP_1)
	v_add_f32_e32 v37, v36, v32
	v_sub_f32_e32 v38, v34, v37
	v_sub_f32_e32 v30, v37, v36
	s_delay_alu instid0(VALU_DEP_2) | instskip(NEXT) | instid1(VALU_DEP_2)
	v_sub_f32_e32 v34, v34, v38
	v_sub_f32_e32 v30, v30, v32
	s_delay_alu instid0(VALU_DEP_2) | instskip(NEXT) | instid1(VALU_DEP_1)
	v_sub_f32_e32 v34, v34, v37
	v_add_f32_e32 v13, v13, v34
	s_delay_alu instid0(VALU_DEP_1) | instskip(NEXT) | instid1(VALU_DEP_1)
	v_add_f32_e32 v13, v30, v13
	v_add_f32_e32 v30, v38, v13
	s_delay_alu instid0(VALU_DEP_1) | instskip(NEXT) | instid1(VALU_DEP_1)
	v_mul_f32_e32 v32, v29, v30
	v_dual_sub_f32 v37, v38, v30 :: v_dual_mul_f32 v34, v33, v32
	s_delay_alu instid0(VALU_DEP_1) | instskip(NEXT) | instid1(VALU_DEP_2)
	v_add_f32_e32 v13, v13, v37
	v_fma_f32 v33, v32, v33, -v34
	s_delay_alu instid0(VALU_DEP_1) | instskip(NEXT) | instid1(VALU_DEP_1)
	v_fmac_f32_e32 v33, v32, v31
	v_add_f32_e32 v31, v34, v33
	s_delay_alu instid0(VALU_DEP_1) | instskip(SKIP_1) | instid1(VALU_DEP_2)
	v_sub_f32_e32 v36, v30, v31
	v_sub_f32_e32 v34, v31, v34
	;; [unrolled: 1-line block ×3, first 2 shown]
	s_delay_alu instid0(VALU_DEP_1) | instskip(NEXT) | instid1(VALU_DEP_3)
	v_sub_f32_e32 v30, v30, v31
	v_sub_f32_e32 v31, v34, v33
	s_delay_alu instid0(VALU_DEP_2) | instskip(NEXT) | instid1(VALU_DEP_1)
	v_dual_add_f32 v13, v13, v30 :: v_dual_add_f32 v30, v35, v32
	v_add_f32_e32 v13, v31, v13
	s_delay_alu instid0(VALU_DEP_2) | instskip(NEXT) | instid1(VALU_DEP_2)
	v_sub_f32_e32 v31, v30, v35
	v_add_f32_e32 v13, v36, v13
	s_delay_alu instid0(VALU_DEP_2) | instskip(NEXT) | instid1(VALU_DEP_2)
	v_sub_f32_e32 v31, v32, v31
	v_mul_f32_e32 v13, v29, v13
	s_delay_alu instid0(VALU_DEP_1) | instskip(NEXT) | instid1(VALU_DEP_1)
	v_add_f32_e32 v13, v31, v13
	v_add_f32_e32 v29, v30, v13
	s_delay_alu instid0(VALU_DEP_1) | instskip(NEXT) | instid1(VALU_DEP_1)
	v_mul_f32_e32 v31, v29, v29
	v_fmaak_f32 v32, s0, v31, 0x3ecc95a3
	v_mul_f32_e32 v33, v29, v31
	v_cmp_eq_f32_e64 s0, 0x7f800000, v5
	s_delay_alu instid0(VALU_DEP_3) | instskip(SKIP_2) | instid1(VALU_DEP_4)
	v_fmaak_f32 v31, v31, v32, 0x3f2aaada
	v_ldexp_f32 v32, v29, 1
	v_sub_f32_e32 v29, v29, v30
	s_or_b32 s0, s0, s23
	s_delay_alu instid0(VALU_DEP_3) | instskip(SKIP_1) | instid1(VALU_DEP_2)
	v_mul_f32_e32 v31, v33, v31
	v_mul_f32_e32 v33, 0x3f317218, v27
	v_dual_sub_f32 v13, v13, v29 :: v_dual_add_f32 v30, v32, v31
	s_delay_alu instid0(VALU_DEP_1) | instskip(NEXT) | instid1(VALU_DEP_2)
	v_ldexp_f32 v13, v13, 1
	v_sub_f32_e32 v29, v30, v32
	s_delay_alu instid0(VALU_DEP_4) | instskip(NEXT) | instid1(VALU_DEP_2)
	v_fma_f32 v32, 0x3f317218, v27, -v33
	v_sub_f32_e32 v29, v31, v29
	s_delay_alu instid0(VALU_DEP_2) | instskip(NEXT) | instid1(VALU_DEP_2)
	v_fmamk_f32 v27, v27, 0xb102e308, v32
	v_add_f32_e32 v13, v13, v29
	s_delay_alu instid0(VALU_DEP_2) | instskip(NEXT) | instid1(VALU_DEP_2)
	v_add_f32_e32 v29, v33, v27
	v_add_f32_e32 v31, v30, v13
	s_delay_alu instid0(VALU_DEP_2) | instskip(NEXT) | instid1(VALU_DEP_2)
	v_sub_f32_e32 v33, v29, v33
	v_add_f32_e32 v32, v29, v31
	v_sub_f32_e32 v30, v31, v30
	s_delay_alu instid0(VALU_DEP_3) | instskip(NEXT) | instid1(VALU_DEP_2)
	v_sub_f32_e32 v27, v27, v33
	v_dual_sub_f32 v34, v32, v29 :: v_dual_sub_f32 v13, v13, v30
	s_delay_alu instid0(VALU_DEP_1) | instskip(SKIP_1) | instid1(VALU_DEP_3)
	v_sub_f32_e32 v35, v32, v34
	v_sub_f32_e32 v30, v31, v34
	v_add_f32_e32 v31, v27, v13
	s_delay_alu instid0(VALU_DEP_3) | instskip(NEXT) | instid1(VALU_DEP_1)
	v_sub_f32_e32 v29, v29, v35
	v_dual_add_f32 v29, v30, v29 :: v_dual_sub_f32 v30, v31, v27
	s_delay_alu instid0(VALU_DEP_1) | instskip(NEXT) | instid1(VALU_DEP_2)
	v_add_f32_e32 v29, v31, v29
	v_sub_f32_e32 v31, v31, v30
	v_sub_f32_e32 v13, v13, v30
	s_delay_alu instid0(VALU_DEP_3) | instskip(NEXT) | instid1(VALU_DEP_1)
	v_add_f32_e32 v33, v32, v29
	v_dual_sub_f32 v27, v27, v31 :: v_dual_sub_f32 v30, v33, v32
	s_delay_alu instid0(VALU_DEP_1) | instskip(NEXT) | instid1(VALU_DEP_2)
	v_add_f32_e32 v13, v13, v27
	v_sub_f32_e32 v27, v29, v30
	s_delay_alu instid0(VALU_DEP_1) | instskip(NEXT) | instid1(VALU_DEP_1)
	v_add_f32_e32 v13, v13, v27
	v_add_f32_e32 v13, v33, v13
	s_delay_alu instid0(VALU_DEP_1) | instskip(NEXT) | instid1(VALU_DEP_1)
	v_cndmask_b32_e64 v5, v13, v5, s0
	v_add_f32_e32 v5, v26, v5
	s_delay_alu instid0(VALU_DEP_1) | instskip(NEXT) | instid1(VALU_DEP_1)
	v_cvt_f16_f32_e32 v30, v5
	v_cvt_f32_f16_e32 v13, v30
	v_mov_b32_e32 v5, v30
.LBB380_162:
	s_or_b32 exec_lo, exec_lo, s1
	v_max_f32_e32 v26, v25, v25
	s_delay_alu instid0(VALU_DEP_3) | instskip(SKIP_1) | instid1(VALU_DEP_2)
	v_max_f32_e32 v27, v13, v13
	v_cmp_u_f16_e64 s0, v30, v30
	v_min_f32_e32 v29, v27, v26
	v_max_f32_e32 v26, v27, v26
	s_delay_alu instid0(VALU_DEP_2) | instskip(NEXT) | instid1(VALU_DEP_2)
	v_cndmask_b32_e64 v27, v29, v13, s0
	v_cndmask_b32_e64 v13, v26, v13, s0
	s_delay_alu instid0(VALU_DEP_2) | instskip(NEXT) | instid1(VALU_DEP_2)
	v_cndmask_b32_e64 v26, v27, v25, s44
	v_cndmask_b32_e64 v13, v13, v25, s44
	v_mov_b32_e32 v25, v5
	s_delay_alu instid0(VALU_DEP_3) | instskip(NEXT) | instid1(VALU_DEP_3)
	v_cmp_class_f32_e64 s1, v26, 0x1f8
	v_cmp_neq_f32_e64 s0, v26, v13
	s_delay_alu instid0(VALU_DEP_1) | instskip(NEXT) | instid1(SALU_CYCLE_1)
	s_or_b32 s0, s0, s1
	s_and_saveexec_b32 s1, s0
	s_cbranch_execz .LBB380_164
; %bb.163:
	v_sub_f32_e32 v25, v26, v13
	s_delay_alu instid0(VALU_DEP_1) | instskip(SKIP_1) | instid1(VALU_DEP_2)
	v_mul_f32_e32 v26, 0x3fb8aa3b, v25
	v_cmp_ngt_f32_e64 s0, 0xc2ce8ed0, v25
	v_fma_f32 v27, 0x3fb8aa3b, v25, -v26
	v_rndne_f32_e32 v29, v26
	s_delay_alu instid0(VALU_DEP_1) | instskip(NEXT) | instid1(VALU_DEP_1)
	v_dual_fmamk_f32 v27, v25, 0x32a5705f, v27 :: v_dual_sub_f32 v26, v26, v29
	v_add_f32_e32 v26, v26, v27
	v_cvt_i32_f32_e32 v27, v29
	s_delay_alu instid0(VALU_DEP_2) | instskip(SKIP_2) | instid1(VALU_DEP_1)
	v_exp_f32_e32 v26, v26
	s_waitcnt_depctr 0xfff
	v_ldexp_f32 v26, v26, v27
	v_cndmask_b32_e64 v26, 0, v26, s0
	v_cmp_nlt_f32_e64 s0, 0x42b17218, v25
	s_delay_alu instid0(VALU_DEP_1) | instskip(NEXT) | instid1(VALU_DEP_1)
	v_cndmask_b32_e64 v27, 0x7f800000, v26, s0
	v_add_f32_e32 v29, 1.0, v27
	v_cmp_gt_f32_e64 s23, 0x33800000, |v27|
	s_delay_alu instid0(VALU_DEP_2) | instskip(NEXT) | instid1(VALU_DEP_1)
	v_cvt_f64_f32_e32 v[25:26], v29
	v_frexp_exp_i32_f64_e32 v25, v[25:26]
	v_frexp_mant_f32_e32 v26, v29
	s_delay_alu instid0(VALU_DEP_1) | instskip(SKIP_1) | instid1(VALU_DEP_1)
	v_cmp_gt_f32_e64 s0, 0x3f2aaaab, v26
	v_add_f32_e32 v26, -1.0, v29
	v_sub_f32_e32 v31, v26, v29
	s_delay_alu instid0(VALU_DEP_1) | instskip(NEXT) | instid1(VALU_DEP_1)
	v_dual_add_f32 v31, 1.0, v31 :: v_dual_sub_f32 v26, v27, v26
	v_add_f32_e32 v26, v26, v31
	v_subrev_co_ci_u32_e64 v25, s0, 0, v25, s0
	s_mov_b32 s0, 0x3e9b6dac
	s_delay_alu instid0(VALU_DEP_1) | instskip(SKIP_1) | instid1(VALU_DEP_2)
	v_sub_nc_u32_e32 v30, 0, v25
	v_cvt_f32_i32_e32 v25, v25
	v_ldexp_f32 v29, v29, v30
	v_ldexp_f32 v26, v26, v30
	s_delay_alu instid0(VALU_DEP_2) | instskip(NEXT) | instid1(VALU_DEP_1)
	v_add_f32_e32 v32, 1.0, v29
	v_add_f32_e32 v31, -1.0, v32
	s_delay_alu instid0(VALU_DEP_1) | instskip(NEXT) | instid1(VALU_DEP_1)
	v_dual_sub_f32 v31, v29, v31 :: v_dual_add_f32 v30, -1.0, v29
	v_add_f32_e32 v31, v26, v31
	s_delay_alu instid0(VALU_DEP_2) | instskip(NEXT) | instid1(VALU_DEP_1)
	v_add_f32_e32 v33, 1.0, v30
	v_sub_f32_e32 v29, v29, v33
	s_delay_alu instid0(VALU_DEP_1) | instskip(NEXT) | instid1(VALU_DEP_1)
	v_dual_add_f32 v33, v32, v31 :: v_dual_add_f32 v26, v26, v29
	v_rcp_f32_e32 v29, v33
	v_sub_f32_e32 v32, v32, v33
	s_delay_alu instid0(VALU_DEP_1) | instskip(NEXT) | instid1(VALU_DEP_1)
	v_dual_add_f32 v34, v30, v26 :: v_dual_add_f32 v31, v31, v32
	v_sub_f32_e32 v30, v30, v34
	s_waitcnt_depctr 0xfff
	v_mul_f32_e32 v35, v34, v29
	v_add_f32_e32 v26, v26, v30
	s_delay_alu instid0(VALU_DEP_2) | instskip(NEXT) | instid1(VALU_DEP_1)
	v_mul_f32_e32 v36, v33, v35
	v_fma_f32 v32, v35, v33, -v36
	s_delay_alu instid0(VALU_DEP_1) | instskip(NEXT) | instid1(VALU_DEP_1)
	v_fmac_f32_e32 v32, v35, v31
	v_add_f32_e32 v37, v36, v32
	s_delay_alu instid0(VALU_DEP_1) | instskip(SKIP_1) | instid1(VALU_DEP_2)
	v_sub_f32_e32 v38, v34, v37
	v_sub_f32_e32 v30, v37, v36
	;; [unrolled: 1-line block ×3, first 2 shown]
	s_delay_alu instid0(VALU_DEP_2) | instskip(NEXT) | instid1(VALU_DEP_2)
	v_sub_f32_e32 v30, v30, v32
	v_sub_f32_e32 v34, v34, v37
	s_delay_alu instid0(VALU_DEP_1) | instskip(NEXT) | instid1(VALU_DEP_1)
	v_add_f32_e32 v26, v26, v34
	v_add_f32_e32 v26, v30, v26
	s_delay_alu instid0(VALU_DEP_1) | instskip(NEXT) | instid1(VALU_DEP_1)
	v_add_f32_e32 v30, v38, v26
	v_mul_f32_e32 v32, v29, v30
	s_delay_alu instid0(VALU_DEP_1) | instskip(NEXT) | instid1(VALU_DEP_1)
	v_dual_sub_f32 v37, v38, v30 :: v_dual_mul_f32 v34, v33, v32
	v_add_f32_e32 v26, v26, v37
	s_delay_alu instid0(VALU_DEP_2) | instskip(NEXT) | instid1(VALU_DEP_1)
	v_fma_f32 v33, v32, v33, -v34
	v_fmac_f32_e32 v33, v32, v31
	s_delay_alu instid0(VALU_DEP_1) | instskip(NEXT) | instid1(VALU_DEP_1)
	v_add_f32_e32 v31, v34, v33
	v_sub_f32_e32 v36, v30, v31
	v_sub_f32_e32 v34, v31, v34
	s_delay_alu instid0(VALU_DEP_2) | instskip(NEXT) | instid1(VALU_DEP_1)
	v_sub_f32_e32 v30, v30, v36
	v_sub_f32_e32 v30, v30, v31
	s_delay_alu instid0(VALU_DEP_3) | instskip(NEXT) | instid1(VALU_DEP_2)
	v_sub_f32_e32 v31, v34, v33
	v_add_f32_e32 v26, v26, v30
	v_add_f32_e32 v30, v35, v32
	s_delay_alu instid0(VALU_DEP_1) | instskip(NEXT) | instid1(VALU_DEP_1)
	v_dual_add_f32 v26, v31, v26 :: v_dual_sub_f32 v31, v30, v35
	v_add_f32_e32 v26, v36, v26
	s_delay_alu instid0(VALU_DEP_1) | instskip(NEXT) | instid1(VALU_DEP_1)
	v_dual_sub_f32 v31, v32, v31 :: v_dual_mul_f32 v26, v29, v26
	v_add_f32_e32 v26, v31, v26
	s_delay_alu instid0(VALU_DEP_1) | instskip(NEXT) | instid1(VALU_DEP_1)
	v_add_f32_e32 v29, v30, v26
	v_mul_f32_e32 v31, v29, v29
	s_delay_alu instid0(VALU_DEP_1) | instskip(SKIP_2) | instid1(VALU_DEP_3)
	v_fmaak_f32 v32, s0, v31, 0x3ecc95a3
	v_mul_f32_e32 v33, v29, v31
	v_cmp_eq_f32_e64 s0, 0x7f800000, v27
	v_fmaak_f32 v31, v31, v32, 0x3f2aaada
	v_ldexp_f32 v32, v29, 1
	v_sub_f32_e32 v29, v29, v30
	s_delay_alu instid0(VALU_DEP_4) | instskip(NEXT) | instid1(VALU_DEP_3)
	s_or_b32 s0, s0, s23
	v_mul_f32_e32 v31, v33, v31
	v_mul_f32_e32 v33, 0x3f317218, v25
	s_delay_alu instid0(VALU_DEP_3) | instskip(NEXT) | instid1(VALU_DEP_3)
	v_sub_f32_e32 v26, v26, v29
	v_add_f32_e32 v30, v32, v31
	s_delay_alu instid0(VALU_DEP_2) | instskip(NEXT) | instid1(VALU_DEP_2)
	v_ldexp_f32 v26, v26, 1
	v_sub_f32_e32 v29, v30, v32
	v_fma_f32 v32, 0x3f317218, v25, -v33
	s_delay_alu instid0(VALU_DEP_2) | instskip(NEXT) | instid1(VALU_DEP_1)
	v_sub_f32_e32 v29, v31, v29
	v_dual_fmamk_f32 v25, v25, 0xb102e308, v32 :: v_dual_add_f32 v26, v26, v29
	s_delay_alu instid0(VALU_DEP_1) | instskip(NEXT) | instid1(VALU_DEP_2)
	v_add_f32_e32 v29, v33, v25
	v_add_f32_e32 v31, v30, v26
	s_delay_alu instid0(VALU_DEP_2) | instskip(NEXT) | instid1(VALU_DEP_2)
	v_sub_f32_e32 v33, v29, v33
	v_add_f32_e32 v32, v29, v31
	s_delay_alu instid0(VALU_DEP_2) | instskip(NEXT) | instid1(VALU_DEP_2)
	v_sub_f32_e32 v25, v25, v33
	v_sub_f32_e32 v34, v32, v29
	;; [unrolled: 1-line block ×3, first 2 shown]
	s_delay_alu instid0(VALU_DEP_2) | instskip(NEXT) | instid1(VALU_DEP_2)
	v_sub_f32_e32 v35, v32, v34
	v_sub_f32_e32 v26, v26, v30
	s_delay_alu instid0(VALU_DEP_2) | instskip(NEXT) | instid1(VALU_DEP_2)
	v_dual_sub_f32 v30, v31, v34 :: v_dual_sub_f32 v29, v29, v35
	v_add_f32_e32 v31, v25, v26
	s_delay_alu instid0(VALU_DEP_2) | instskip(NEXT) | instid1(VALU_DEP_2)
	v_add_f32_e32 v29, v30, v29
	v_sub_f32_e32 v30, v31, v25
	s_delay_alu instid0(VALU_DEP_2) | instskip(NEXT) | instid1(VALU_DEP_2)
	v_add_f32_e32 v29, v31, v29
	v_sub_f32_e32 v31, v31, v30
	s_delay_alu instid0(VALU_DEP_2) | instskip(NEXT) | instid1(VALU_DEP_2)
	v_dual_sub_f32 v26, v26, v30 :: v_dual_add_f32 v33, v32, v29
	v_sub_f32_e32 v25, v25, v31
	s_delay_alu instid0(VALU_DEP_1) | instskip(NEXT) | instid1(VALU_DEP_1)
	v_dual_sub_f32 v30, v33, v32 :: v_dual_add_f32 v25, v26, v25
	v_sub_f32_e32 v26, v29, v30
	s_delay_alu instid0(VALU_DEP_1) | instskip(NEXT) | instid1(VALU_DEP_1)
	v_add_f32_e32 v25, v25, v26
	v_add_f32_e32 v25, v33, v25
	s_delay_alu instid0(VALU_DEP_1) | instskip(NEXT) | instid1(VALU_DEP_1)
	v_cndmask_b32_e64 v25, v25, v27, s0
	v_add_f32_e32 v13, v13, v25
	s_delay_alu instid0(VALU_DEP_1)
	v_cvt_f16_f32_e32 v25, v13
.LBB380_164:
	s_or_b32 exec_lo, exec_lo, s1
	v_add_nc_u32_e32 v13, v12, v28
	v_perm_b32 v15, v16, v15, 0x5040100
	v_perm_b32 v2, v14, v2, 0x5040100
	;; [unrolled: 1-line block ×11, first 2 shown]
	s_barrier
	buffer_gl0_inv
	ds_store_2addr_b32 v13, v2, v15 offset1:1
	ds_store_2addr_b32 v13, v3, v10 offset0:2 offset1:3
	ds_store_2addr_b32 v13, v11, v8 offset0:4 offset1:5
	;; [unrolled: 1-line block ×4, first 2 shown]
	ds_store_b32 v13, v5 offset:40
	s_waitcnt lgkmcnt(0)
	s_barrier
	buffer_gl0_inv
	ds_load_u16 v23, v12 offset:128
	ds_load_u16 v22, v12 offset:256
	;; [unrolled: 1-line block ×21, first 2 shown]
	v_lshlrev_b64 v[0:1], 1, v[0:1]
	s_delay_alu instid0(VALU_DEP_1) | instskip(NEXT) | instid1(VALU_DEP_1)
	v_add_co_u32 v0, s0, s46, v0
	v_add_co_ci_u32_e64 v1, s0, s47, v1, s0
	s_and_saveexec_b32 s0, vcc_lo
	s_cbranch_execnz .LBB380_187
; %bb.165:
	s_or_b32 exec_lo, exec_lo, s0
	s_and_saveexec_b32 s0, s2
	s_cbranch_execnz .LBB380_188
.LBB380_166:
	s_or_b32 exec_lo, exec_lo, s0
	s_and_saveexec_b32 s0, s3
	s_cbranch_execnz .LBB380_189
.LBB380_167:
	s_or_b32 exec_lo, exec_lo, s0
	s_and_saveexec_b32 s0, s4
	s_cbranch_execnz .LBB380_190
.LBB380_168:
	s_or_b32 exec_lo, exec_lo, s0
	s_and_saveexec_b32 s0, s5
	s_cbranch_execnz .LBB380_191
.LBB380_169:
	s_or_b32 exec_lo, exec_lo, s0
	s_and_saveexec_b32 s0, s6
	s_cbranch_execnz .LBB380_192
.LBB380_170:
	s_or_b32 exec_lo, exec_lo, s0
	s_and_saveexec_b32 s0, s7
	s_cbranch_execnz .LBB380_193
.LBB380_171:
	s_or_b32 exec_lo, exec_lo, s0
	s_and_saveexec_b32 s0, s8
	s_cbranch_execnz .LBB380_194
.LBB380_172:
	s_or_b32 exec_lo, exec_lo, s0
	s_and_saveexec_b32 s0, s9
	s_cbranch_execnz .LBB380_195
.LBB380_173:
	s_or_b32 exec_lo, exec_lo, s0
	s_and_saveexec_b32 s0, s10
	s_cbranch_execnz .LBB380_196
.LBB380_174:
	s_or_b32 exec_lo, exec_lo, s0
	s_and_saveexec_b32 s0, s11
	s_cbranch_execnz .LBB380_197
.LBB380_175:
	s_or_b32 exec_lo, exec_lo, s0
	s_and_saveexec_b32 s0, s12
	s_cbranch_execnz .LBB380_198
.LBB380_176:
	s_or_b32 exec_lo, exec_lo, s0
	s_and_saveexec_b32 s0, s13
	s_cbranch_execnz .LBB380_199
.LBB380_177:
	s_or_b32 exec_lo, exec_lo, s0
	s_and_saveexec_b32 s0, s14
	s_cbranch_execnz .LBB380_200
.LBB380_178:
	s_or_b32 exec_lo, exec_lo, s0
	s_and_saveexec_b32 s0, s15
	s_cbranch_execnz .LBB380_201
.LBB380_179:
	s_or_b32 exec_lo, exec_lo, s0
	s_and_saveexec_b32 s0, s16
	s_cbranch_execnz .LBB380_202
.LBB380_180:
	s_or_b32 exec_lo, exec_lo, s0
	s_and_saveexec_b32 s0, s17
	s_cbranch_execnz .LBB380_203
.LBB380_181:
	s_or_b32 exec_lo, exec_lo, s0
	s_and_saveexec_b32 s0, s18
	s_cbranch_execnz .LBB380_204
.LBB380_182:
	s_or_b32 exec_lo, exec_lo, s0
	s_and_saveexec_b32 s0, s19
	s_cbranch_execnz .LBB380_205
.LBB380_183:
	s_or_b32 exec_lo, exec_lo, s0
	s_and_saveexec_b32 s0, s20
	s_cbranch_execnz .LBB380_206
.LBB380_184:
	s_or_b32 exec_lo, exec_lo, s0
	s_and_saveexec_b32 s0, s21
	s_cbranch_execnz .LBB380_207
.LBB380_185:
	s_or_b32 exec_lo, exec_lo, s0
	s_and_saveexec_b32 s0, s22
	s_cbranch_execnz .LBB380_208
.LBB380_186:
	s_nop 0
	s_sendmsg sendmsg(MSG_DEALLOC_VGPRS)
	s_endpgm
.LBB380_187:
	ds_load_u16 v12, v12
	s_waitcnt lgkmcnt(0)
	global_store_b16 v[0:1], v12, off
	s_or_b32 exec_lo, exec_lo, s0
	s_and_saveexec_b32 s0, s2
	s_cbranch_execz .LBB380_166
.LBB380_188:
	s_waitcnt lgkmcnt(20)
	global_store_b16 v[0:1], v23, off offset:128
	s_or_b32 exec_lo, exec_lo, s0
	s_and_saveexec_b32 s0, s3
	s_cbranch_execz .LBB380_167
.LBB380_189:
	s_waitcnt lgkmcnt(19)
	global_store_b16 v[0:1], v22, off offset:256
	s_or_b32 exec_lo, exec_lo, s0
	s_and_saveexec_b32 s0, s4
	s_cbranch_execz .LBB380_168
.LBB380_190:
	s_waitcnt lgkmcnt(18)
	global_store_b16 v[0:1], v21, off offset:384
	s_or_b32 exec_lo, exec_lo, s0
	s_and_saveexec_b32 s0, s5
	s_cbranch_execz .LBB380_169
.LBB380_191:
	s_waitcnt lgkmcnt(17)
	global_store_b16 v[0:1], v20, off offset:512
	s_or_b32 exec_lo, exec_lo, s0
	s_and_saveexec_b32 s0, s6
	s_cbranch_execz .LBB380_170
.LBB380_192:
	s_waitcnt lgkmcnt(16)
	global_store_b16 v[0:1], v19, off offset:640
	s_or_b32 exec_lo, exec_lo, s0
	s_and_saveexec_b32 s0, s7
	s_cbranch_execz .LBB380_171
.LBB380_193:
	s_waitcnt lgkmcnt(15)
	global_store_b16 v[0:1], v18, off offset:768
	s_or_b32 exec_lo, exec_lo, s0
	s_and_saveexec_b32 s0, s8
	s_cbranch_execz .LBB380_172
.LBB380_194:
	s_waitcnt lgkmcnt(14)
	global_store_b16 v[0:1], v17, off offset:896
	s_or_b32 exec_lo, exec_lo, s0
	s_and_saveexec_b32 s0, s9
	s_cbranch_execz .LBB380_173
.LBB380_195:
	s_waitcnt lgkmcnt(13)
	global_store_b16 v[0:1], v16, off offset:1024
	s_or_b32 exec_lo, exec_lo, s0
	s_and_saveexec_b32 s0, s10
	s_cbranch_execz .LBB380_174
.LBB380_196:
	s_waitcnt lgkmcnt(12)
	global_store_b16 v[0:1], v15, off offset:1152
	s_or_b32 exec_lo, exec_lo, s0
	s_and_saveexec_b32 s0, s11
	s_cbranch_execz .LBB380_175
.LBB380_197:
	s_waitcnt lgkmcnt(11)
	global_store_b16 v[0:1], v14, off offset:1280
	s_or_b32 exec_lo, exec_lo, s0
	s_and_saveexec_b32 s0, s12
	s_cbranch_execz .LBB380_176
.LBB380_198:
	s_waitcnt lgkmcnt(10)
	global_store_b16 v[0:1], v13, off offset:1408
	s_or_b32 exec_lo, exec_lo, s0
	s_and_saveexec_b32 s0, s13
	s_cbranch_execz .LBB380_177
.LBB380_199:
	s_waitcnt lgkmcnt(9)
	global_store_b16 v[0:1], v11, off offset:1536
	s_or_b32 exec_lo, exec_lo, s0
	s_and_saveexec_b32 s0, s14
	s_cbranch_execz .LBB380_178
.LBB380_200:
	s_waitcnt lgkmcnt(8)
	global_store_b16 v[0:1], v10, off offset:1664
	s_or_b32 exec_lo, exec_lo, s0
	s_and_saveexec_b32 s0, s15
	s_cbranch_execz .LBB380_179
.LBB380_201:
	s_waitcnt lgkmcnt(7)
	global_store_b16 v[0:1], v9, off offset:1792
	s_or_b32 exec_lo, exec_lo, s0
	s_and_saveexec_b32 s0, s16
	s_cbranch_execz .LBB380_180
.LBB380_202:
	s_waitcnt lgkmcnt(6)
	global_store_b16 v[0:1], v8, off offset:1920
	s_or_b32 exec_lo, exec_lo, s0
	s_and_saveexec_b32 s0, s17
	s_cbranch_execz .LBB380_181
.LBB380_203:
	s_waitcnt lgkmcnt(5)
	global_store_b16 v[0:1], v7, off offset:2048
	s_or_b32 exec_lo, exec_lo, s0
	s_and_saveexec_b32 s0, s18
	s_cbranch_execz .LBB380_182
.LBB380_204:
	s_waitcnt lgkmcnt(4)
	global_store_b16 v[0:1], v6, off offset:2176
	s_or_b32 exec_lo, exec_lo, s0
	s_and_saveexec_b32 s0, s19
	s_cbranch_execz .LBB380_183
.LBB380_205:
	s_waitcnt lgkmcnt(3)
	global_store_b16 v[0:1], v5, off offset:2304
	s_or_b32 exec_lo, exec_lo, s0
	s_and_saveexec_b32 s0, s20
	s_cbranch_execz .LBB380_184
.LBB380_206:
	s_waitcnt lgkmcnt(2)
	global_store_b16 v[0:1], v4, off offset:2432
	s_or_b32 exec_lo, exec_lo, s0
	s_and_saveexec_b32 s0, s21
	s_cbranch_execz .LBB380_185
.LBB380_207:
	s_waitcnt lgkmcnt(1)
	global_store_b16 v[0:1], v3, off offset:2560
	s_or_b32 exec_lo, exec_lo, s0
	s_and_saveexec_b32 s0, s22
	s_cbranch_execz .LBB380_186
.LBB380_208:
	s_waitcnt lgkmcnt(0)
	global_store_b16 v[0:1], v2, off offset:2688
	s_nop 0
	s_sendmsg sendmsg(MSG_DEALLOC_VGPRS)
	s_endpgm
	.section	.rodata,"a",@progbits
	.p2align	6, 0x0
	.amdhsa_kernel _ZN7rocprim17ROCPRIM_400000_NS6detail17trampoline_kernelINS0_14default_configENS1_20scan_config_selectorIN3c104HalfEEEZZNS1_9scan_implILNS1_25lookback_scan_determinismE0ELb0ELb0ES3_PKS6_PS6_S6_ZZZN2at6native31launch_logcumsumexp_cuda_kernelERKNSD_10TensorBaseESH_lENKUlvE_clEvENKUlvE3_clEvEUlS6_S6_E_S6_EEDaPvRmT3_T4_T5_mT6_P12ihipStream_tbENKUlT_T0_E_clISt17integral_constantIbLb0EESY_EEDaST_SU_EUlST_E0_NS1_11comp_targetILNS1_3genE9ELNS1_11target_archE1100ELNS1_3gpuE3ELNS1_3repE0EEENS1_30default_config_static_selectorELNS0_4arch9wavefront6targetE0EEEvT1_
		.amdhsa_group_segment_fixed_size 2816
		.amdhsa_private_segment_fixed_size 0
		.amdhsa_kernarg_size 32
		.amdhsa_user_sgpr_count 15
		.amdhsa_user_sgpr_dispatch_ptr 0
		.amdhsa_user_sgpr_queue_ptr 0
		.amdhsa_user_sgpr_kernarg_segment_ptr 1
		.amdhsa_user_sgpr_dispatch_id 0
		.amdhsa_user_sgpr_private_segment_size 0
		.amdhsa_wavefront_size32 1
		.amdhsa_uses_dynamic_stack 0
		.amdhsa_enable_private_segment 0
		.amdhsa_system_sgpr_workgroup_id_x 1
		.amdhsa_system_sgpr_workgroup_id_y 0
		.amdhsa_system_sgpr_workgroup_id_z 0
		.amdhsa_system_sgpr_workgroup_info 0
		.amdhsa_system_vgpr_workitem_id 0
		.amdhsa_next_free_vgpr 47
		.amdhsa_next_free_sgpr 52
		.amdhsa_reserve_vcc 1
		.amdhsa_float_round_mode_32 0
		.amdhsa_float_round_mode_16_64 0
		.amdhsa_float_denorm_mode_32 3
		.amdhsa_float_denorm_mode_16_64 3
		.amdhsa_dx10_clamp 1
		.amdhsa_ieee_mode 1
		.amdhsa_fp16_overflow 0
		.amdhsa_workgroup_processor_mode 1
		.amdhsa_memory_ordered 1
		.amdhsa_forward_progress 0
		.amdhsa_shared_vgpr_count 0
		.amdhsa_exception_fp_ieee_invalid_op 0
		.amdhsa_exception_fp_denorm_src 0
		.amdhsa_exception_fp_ieee_div_zero 0
		.amdhsa_exception_fp_ieee_overflow 0
		.amdhsa_exception_fp_ieee_underflow 0
		.amdhsa_exception_fp_ieee_inexact 0
		.amdhsa_exception_int_div_zero 0
	.end_amdhsa_kernel
	.section	.text._ZN7rocprim17ROCPRIM_400000_NS6detail17trampoline_kernelINS0_14default_configENS1_20scan_config_selectorIN3c104HalfEEEZZNS1_9scan_implILNS1_25lookback_scan_determinismE0ELb0ELb0ES3_PKS6_PS6_S6_ZZZN2at6native31launch_logcumsumexp_cuda_kernelERKNSD_10TensorBaseESH_lENKUlvE_clEvENKUlvE3_clEvEUlS6_S6_E_S6_EEDaPvRmT3_T4_T5_mT6_P12ihipStream_tbENKUlT_T0_E_clISt17integral_constantIbLb0EESY_EEDaST_SU_EUlST_E0_NS1_11comp_targetILNS1_3genE9ELNS1_11target_archE1100ELNS1_3gpuE3ELNS1_3repE0EEENS1_30default_config_static_selectorELNS0_4arch9wavefront6targetE0EEEvT1_,"axG",@progbits,_ZN7rocprim17ROCPRIM_400000_NS6detail17trampoline_kernelINS0_14default_configENS1_20scan_config_selectorIN3c104HalfEEEZZNS1_9scan_implILNS1_25lookback_scan_determinismE0ELb0ELb0ES3_PKS6_PS6_S6_ZZZN2at6native31launch_logcumsumexp_cuda_kernelERKNSD_10TensorBaseESH_lENKUlvE_clEvENKUlvE3_clEvEUlS6_S6_E_S6_EEDaPvRmT3_T4_T5_mT6_P12ihipStream_tbENKUlT_T0_E_clISt17integral_constantIbLb0EESY_EEDaST_SU_EUlST_E0_NS1_11comp_targetILNS1_3genE9ELNS1_11target_archE1100ELNS1_3gpuE3ELNS1_3repE0EEENS1_30default_config_static_selectorELNS0_4arch9wavefront6targetE0EEEvT1_,comdat
.Lfunc_end380:
	.size	_ZN7rocprim17ROCPRIM_400000_NS6detail17trampoline_kernelINS0_14default_configENS1_20scan_config_selectorIN3c104HalfEEEZZNS1_9scan_implILNS1_25lookback_scan_determinismE0ELb0ELb0ES3_PKS6_PS6_S6_ZZZN2at6native31launch_logcumsumexp_cuda_kernelERKNSD_10TensorBaseESH_lENKUlvE_clEvENKUlvE3_clEvEUlS6_S6_E_S6_EEDaPvRmT3_T4_T5_mT6_P12ihipStream_tbENKUlT_T0_E_clISt17integral_constantIbLb0EESY_EEDaST_SU_EUlST_E0_NS1_11comp_targetILNS1_3genE9ELNS1_11target_archE1100ELNS1_3gpuE3ELNS1_3repE0EEENS1_30default_config_static_selectorELNS0_4arch9wavefront6targetE0EEEvT1_, .Lfunc_end380-_ZN7rocprim17ROCPRIM_400000_NS6detail17trampoline_kernelINS0_14default_configENS1_20scan_config_selectorIN3c104HalfEEEZZNS1_9scan_implILNS1_25lookback_scan_determinismE0ELb0ELb0ES3_PKS6_PS6_S6_ZZZN2at6native31launch_logcumsumexp_cuda_kernelERKNSD_10TensorBaseESH_lENKUlvE_clEvENKUlvE3_clEvEUlS6_S6_E_S6_EEDaPvRmT3_T4_T5_mT6_P12ihipStream_tbENKUlT_T0_E_clISt17integral_constantIbLb0EESY_EEDaST_SU_EUlST_E0_NS1_11comp_targetILNS1_3genE9ELNS1_11target_archE1100ELNS1_3gpuE3ELNS1_3repE0EEENS1_30default_config_static_selectorELNS0_4arch9wavefront6targetE0EEEvT1_
                                        ; -- End function
	.section	.AMDGPU.csdata,"",@progbits
; Kernel info:
; codeLenInByte = 51208
; NumSgprs: 54
; NumVgprs: 47
; ScratchSize: 0
; MemoryBound: 0
; FloatMode: 240
; IeeeMode: 1
; LDSByteSize: 2816 bytes/workgroup (compile time only)
; SGPRBlocks: 6
; VGPRBlocks: 5
; NumSGPRsForWavesPerEU: 54
; NumVGPRsForWavesPerEU: 47
; Occupancy: 16
; WaveLimiterHint : 0
; COMPUTE_PGM_RSRC2:SCRATCH_EN: 0
; COMPUTE_PGM_RSRC2:USER_SGPR: 15
; COMPUTE_PGM_RSRC2:TRAP_HANDLER: 0
; COMPUTE_PGM_RSRC2:TGID_X_EN: 1
; COMPUTE_PGM_RSRC2:TGID_Y_EN: 0
; COMPUTE_PGM_RSRC2:TGID_Z_EN: 0
; COMPUTE_PGM_RSRC2:TIDIG_COMP_CNT: 0
	.section	.text._ZN7rocprim17ROCPRIM_400000_NS6detail17trampoline_kernelINS0_14default_configENS1_20scan_config_selectorIN3c104HalfEEEZZNS1_9scan_implILNS1_25lookback_scan_determinismE0ELb0ELb0ES3_PKS6_PS6_S6_ZZZN2at6native31launch_logcumsumexp_cuda_kernelERKNSD_10TensorBaseESH_lENKUlvE_clEvENKUlvE3_clEvEUlS6_S6_E_S6_EEDaPvRmT3_T4_T5_mT6_P12ihipStream_tbENKUlT_T0_E_clISt17integral_constantIbLb0EESY_EEDaST_SU_EUlST_E0_NS1_11comp_targetILNS1_3genE8ELNS1_11target_archE1030ELNS1_3gpuE2ELNS1_3repE0EEENS1_30default_config_static_selectorELNS0_4arch9wavefront6targetE0EEEvT1_,"axG",@progbits,_ZN7rocprim17ROCPRIM_400000_NS6detail17trampoline_kernelINS0_14default_configENS1_20scan_config_selectorIN3c104HalfEEEZZNS1_9scan_implILNS1_25lookback_scan_determinismE0ELb0ELb0ES3_PKS6_PS6_S6_ZZZN2at6native31launch_logcumsumexp_cuda_kernelERKNSD_10TensorBaseESH_lENKUlvE_clEvENKUlvE3_clEvEUlS6_S6_E_S6_EEDaPvRmT3_T4_T5_mT6_P12ihipStream_tbENKUlT_T0_E_clISt17integral_constantIbLb0EESY_EEDaST_SU_EUlST_E0_NS1_11comp_targetILNS1_3genE8ELNS1_11target_archE1030ELNS1_3gpuE2ELNS1_3repE0EEENS1_30default_config_static_selectorELNS0_4arch9wavefront6targetE0EEEvT1_,comdat
	.globl	_ZN7rocprim17ROCPRIM_400000_NS6detail17trampoline_kernelINS0_14default_configENS1_20scan_config_selectorIN3c104HalfEEEZZNS1_9scan_implILNS1_25lookback_scan_determinismE0ELb0ELb0ES3_PKS6_PS6_S6_ZZZN2at6native31launch_logcumsumexp_cuda_kernelERKNSD_10TensorBaseESH_lENKUlvE_clEvENKUlvE3_clEvEUlS6_S6_E_S6_EEDaPvRmT3_T4_T5_mT6_P12ihipStream_tbENKUlT_T0_E_clISt17integral_constantIbLb0EESY_EEDaST_SU_EUlST_E0_NS1_11comp_targetILNS1_3genE8ELNS1_11target_archE1030ELNS1_3gpuE2ELNS1_3repE0EEENS1_30default_config_static_selectorELNS0_4arch9wavefront6targetE0EEEvT1_ ; -- Begin function _ZN7rocprim17ROCPRIM_400000_NS6detail17trampoline_kernelINS0_14default_configENS1_20scan_config_selectorIN3c104HalfEEEZZNS1_9scan_implILNS1_25lookback_scan_determinismE0ELb0ELb0ES3_PKS6_PS6_S6_ZZZN2at6native31launch_logcumsumexp_cuda_kernelERKNSD_10TensorBaseESH_lENKUlvE_clEvENKUlvE3_clEvEUlS6_S6_E_S6_EEDaPvRmT3_T4_T5_mT6_P12ihipStream_tbENKUlT_T0_E_clISt17integral_constantIbLb0EESY_EEDaST_SU_EUlST_E0_NS1_11comp_targetILNS1_3genE8ELNS1_11target_archE1030ELNS1_3gpuE2ELNS1_3repE0EEENS1_30default_config_static_selectorELNS0_4arch9wavefront6targetE0EEEvT1_
	.p2align	8
	.type	_ZN7rocprim17ROCPRIM_400000_NS6detail17trampoline_kernelINS0_14default_configENS1_20scan_config_selectorIN3c104HalfEEEZZNS1_9scan_implILNS1_25lookback_scan_determinismE0ELb0ELb0ES3_PKS6_PS6_S6_ZZZN2at6native31launch_logcumsumexp_cuda_kernelERKNSD_10TensorBaseESH_lENKUlvE_clEvENKUlvE3_clEvEUlS6_S6_E_S6_EEDaPvRmT3_T4_T5_mT6_P12ihipStream_tbENKUlT_T0_E_clISt17integral_constantIbLb0EESY_EEDaST_SU_EUlST_E0_NS1_11comp_targetILNS1_3genE8ELNS1_11target_archE1030ELNS1_3gpuE2ELNS1_3repE0EEENS1_30default_config_static_selectorELNS0_4arch9wavefront6targetE0EEEvT1_,@function
_ZN7rocprim17ROCPRIM_400000_NS6detail17trampoline_kernelINS0_14default_configENS1_20scan_config_selectorIN3c104HalfEEEZZNS1_9scan_implILNS1_25lookback_scan_determinismE0ELb0ELb0ES3_PKS6_PS6_S6_ZZZN2at6native31launch_logcumsumexp_cuda_kernelERKNSD_10TensorBaseESH_lENKUlvE_clEvENKUlvE3_clEvEUlS6_S6_E_S6_EEDaPvRmT3_T4_T5_mT6_P12ihipStream_tbENKUlT_T0_E_clISt17integral_constantIbLb0EESY_EEDaST_SU_EUlST_E0_NS1_11comp_targetILNS1_3genE8ELNS1_11target_archE1030ELNS1_3gpuE2ELNS1_3repE0EEENS1_30default_config_static_selectorELNS0_4arch9wavefront6targetE0EEEvT1_: ; @_ZN7rocprim17ROCPRIM_400000_NS6detail17trampoline_kernelINS0_14default_configENS1_20scan_config_selectorIN3c104HalfEEEZZNS1_9scan_implILNS1_25lookback_scan_determinismE0ELb0ELb0ES3_PKS6_PS6_S6_ZZZN2at6native31launch_logcumsumexp_cuda_kernelERKNSD_10TensorBaseESH_lENKUlvE_clEvENKUlvE3_clEvEUlS6_S6_E_S6_EEDaPvRmT3_T4_T5_mT6_P12ihipStream_tbENKUlT_T0_E_clISt17integral_constantIbLb0EESY_EEDaST_SU_EUlST_E0_NS1_11comp_targetILNS1_3genE8ELNS1_11target_archE1030ELNS1_3gpuE2ELNS1_3repE0EEENS1_30default_config_static_selectorELNS0_4arch9wavefront6targetE0EEEvT1_
; %bb.0:
	.section	.rodata,"a",@progbits
	.p2align	6, 0x0
	.amdhsa_kernel _ZN7rocprim17ROCPRIM_400000_NS6detail17trampoline_kernelINS0_14default_configENS1_20scan_config_selectorIN3c104HalfEEEZZNS1_9scan_implILNS1_25lookback_scan_determinismE0ELb0ELb0ES3_PKS6_PS6_S6_ZZZN2at6native31launch_logcumsumexp_cuda_kernelERKNSD_10TensorBaseESH_lENKUlvE_clEvENKUlvE3_clEvEUlS6_S6_E_S6_EEDaPvRmT3_T4_T5_mT6_P12ihipStream_tbENKUlT_T0_E_clISt17integral_constantIbLb0EESY_EEDaST_SU_EUlST_E0_NS1_11comp_targetILNS1_3genE8ELNS1_11target_archE1030ELNS1_3gpuE2ELNS1_3repE0EEENS1_30default_config_static_selectorELNS0_4arch9wavefront6targetE0EEEvT1_
		.amdhsa_group_segment_fixed_size 0
		.amdhsa_private_segment_fixed_size 0
		.amdhsa_kernarg_size 32
		.amdhsa_user_sgpr_count 15
		.amdhsa_user_sgpr_dispatch_ptr 0
		.amdhsa_user_sgpr_queue_ptr 0
		.amdhsa_user_sgpr_kernarg_segment_ptr 1
		.amdhsa_user_sgpr_dispatch_id 0
		.amdhsa_user_sgpr_private_segment_size 0
		.amdhsa_wavefront_size32 1
		.amdhsa_uses_dynamic_stack 0
		.amdhsa_enable_private_segment 0
		.amdhsa_system_sgpr_workgroup_id_x 1
		.amdhsa_system_sgpr_workgroup_id_y 0
		.amdhsa_system_sgpr_workgroup_id_z 0
		.amdhsa_system_sgpr_workgroup_info 0
		.amdhsa_system_vgpr_workitem_id 0
		.amdhsa_next_free_vgpr 1
		.amdhsa_next_free_sgpr 1
		.amdhsa_reserve_vcc 0
		.amdhsa_float_round_mode_32 0
		.amdhsa_float_round_mode_16_64 0
		.amdhsa_float_denorm_mode_32 3
		.amdhsa_float_denorm_mode_16_64 3
		.amdhsa_dx10_clamp 1
		.amdhsa_ieee_mode 1
		.amdhsa_fp16_overflow 0
		.amdhsa_workgroup_processor_mode 1
		.amdhsa_memory_ordered 1
		.amdhsa_forward_progress 0
		.amdhsa_shared_vgpr_count 0
		.amdhsa_exception_fp_ieee_invalid_op 0
		.amdhsa_exception_fp_denorm_src 0
		.amdhsa_exception_fp_ieee_div_zero 0
		.amdhsa_exception_fp_ieee_overflow 0
		.amdhsa_exception_fp_ieee_underflow 0
		.amdhsa_exception_fp_ieee_inexact 0
		.amdhsa_exception_int_div_zero 0
	.end_amdhsa_kernel
	.section	.text._ZN7rocprim17ROCPRIM_400000_NS6detail17trampoline_kernelINS0_14default_configENS1_20scan_config_selectorIN3c104HalfEEEZZNS1_9scan_implILNS1_25lookback_scan_determinismE0ELb0ELb0ES3_PKS6_PS6_S6_ZZZN2at6native31launch_logcumsumexp_cuda_kernelERKNSD_10TensorBaseESH_lENKUlvE_clEvENKUlvE3_clEvEUlS6_S6_E_S6_EEDaPvRmT3_T4_T5_mT6_P12ihipStream_tbENKUlT_T0_E_clISt17integral_constantIbLb0EESY_EEDaST_SU_EUlST_E0_NS1_11comp_targetILNS1_3genE8ELNS1_11target_archE1030ELNS1_3gpuE2ELNS1_3repE0EEENS1_30default_config_static_selectorELNS0_4arch9wavefront6targetE0EEEvT1_,"axG",@progbits,_ZN7rocprim17ROCPRIM_400000_NS6detail17trampoline_kernelINS0_14default_configENS1_20scan_config_selectorIN3c104HalfEEEZZNS1_9scan_implILNS1_25lookback_scan_determinismE0ELb0ELb0ES3_PKS6_PS6_S6_ZZZN2at6native31launch_logcumsumexp_cuda_kernelERKNSD_10TensorBaseESH_lENKUlvE_clEvENKUlvE3_clEvEUlS6_S6_E_S6_EEDaPvRmT3_T4_T5_mT6_P12ihipStream_tbENKUlT_T0_E_clISt17integral_constantIbLb0EESY_EEDaST_SU_EUlST_E0_NS1_11comp_targetILNS1_3genE8ELNS1_11target_archE1030ELNS1_3gpuE2ELNS1_3repE0EEENS1_30default_config_static_selectorELNS0_4arch9wavefront6targetE0EEEvT1_,comdat
.Lfunc_end381:
	.size	_ZN7rocprim17ROCPRIM_400000_NS6detail17trampoline_kernelINS0_14default_configENS1_20scan_config_selectorIN3c104HalfEEEZZNS1_9scan_implILNS1_25lookback_scan_determinismE0ELb0ELb0ES3_PKS6_PS6_S6_ZZZN2at6native31launch_logcumsumexp_cuda_kernelERKNSD_10TensorBaseESH_lENKUlvE_clEvENKUlvE3_clEvEUlS6_S6_E_S6_EEDaPvRmT3_T4_T5_mT6_P12ihipStream_tbENKUlT_T0_E_clISt17integral_constantIbLb0EESY_EEDaST_SU_EUlST_E0_NS1_11comp_targetILNS1_3genE8ELNS1_11target_archE1030ELNS1_3gpuE2ELNS1_3repE0EEENS1_30default_config_static_selectorELNS0_4arch9wavefront6targetE0EEEvT1_, .Lfunc_end381-_ZN7rocprim17ROCPRIM_400000_NS6detail17trampoline_kernelINS0_14default_configENS1_20scan_config_selectorIN3c104HalfEEEZZNS1_9scan_implILNS1_25lookback_scan_determinismE0ELb0ELb0ES3_PKS6_PS6_S6_ZZZN2at6native31launch_logcumsumexp_cuda_kernelERKNSD_10TensorBaseESH_lENKUlvE_clEvENKUlvE3_clEvEUlS6_S6_E_S6_EEDaPvRmT3_T4_T5_mT6_P12ihipStream_tbENKUlT_T0_E_clISt17integral_constantIbLb0EESY_EEDaST_SU_EUlST_E0_NS1_11comp_targetILNS1_3genE8ELNS1_11target_archE1030ELNS1_3gpuE2ELNS1_3repE0EEENS1_30default_config_static_selectorELNS0_4arch9wavefront6targetE0EEEvT1_
                                        ; -- End function
	.section	.AMDGPU.csdata,"",@progbits
; Kernel info:
; codeLenInByte = 0
; NumSgprs: 0
; NumVgprs: 0
; ScratchSize: 0
; MemoryBound: 0
; FloatMode: 240
; IeeeMode: 1
; LDSByteSize: 0 bytes/workgroup (compile time only)
; SGPRBlocks: 0
; VGPRBlocks: 0
; NumSGPRsForWavesPerEU: 1
; NumVGPRsForWavesPerEU: 1
; Occupancy: 16
; WaveLimiterHint : 0
; COMPUTE_PGM_RSRC2:SCRATCH_EN: 0
; COMPUTE_PGM_RSRC2:USER_SGPR: 15
; COMPUTE_PGM_RSRC2:TRAP_HANDLER: 0
; COMPUTE_PGM_RSRC2:TGID_X_EN: 1
; COMPUTE_PGM_RSRC2:TGID_Y_EN: 0
; COMPUTE_PGM_RSRC2:TGID_Z_EN: 0
; COMPUTE_PGM_RSRC2:TIDIG_COMP_CNT: 0
	.section	.text._ZN7rocprim17ROCPRIM_400000_NS6detail31init_lookback_scan_state_kernelINS1_19lookback_scan_stateIN3c104HalfELb1ELb1EEENS1_16block_id_wrapperIjLb1EEEEEvT_jT0_jPNS9_10value_typeE,"axG",@progbits,_ZN7rocprim17ROCPRIM_400000_NS6detail31init_lookback_scan_state_kernelINS1_19lookback_scan_stateIN3c104HalfELb1ELb1EEENS1_16block_id_wrapperIjLb1EEEEEvT_jT0_jPNS9_10value_typeE,comdat
	.protected	_ZN7rocprim17ROCPRIM_400000_NS6detail31init_lookback_scan_state_kernelINS1_19lookback_scan_stateIN3c104HalfELb1ELb1EEENS1_16block_id_wrapperIjLb1EEEEEvT_jT0_jPNS9_10value_typeE ; -- Begin function _ZN7rocprim17ROCPRIM_400000_NS6detail31init_lookback_scan_state_kernelINS1_19lookback_scan_stateIN3c104HalfELb1ELb1EEENS1_16block_id_wrapperIjLb1EEEEEvT_jT0_jPNS9_10value_typeE
	.globl	_ZN7rocprim17ROCPRIM_400000_NS6detail31init_lookback_scan_state_kernelINS1_19lookback_scan_stateIN3c104HalfELb1ELb1EEENS1_16block_id_wrapperIjLb1EEEEEvT_jT0_jPNS9_10value_typeE
	.p2align	8
	.type	_ZN7rocprim17ROCPRIM_400000_NS6detail31init_lookback_scan_state_kernelINS1_19lookback_scan_stateIN3c104HalfELb1ELb1EEENS1_16block_id_wrapperIjLb1EEEEEvT_jT0_jPNS9_10value_typeE,@function
_ZN7rocprim17ROCPRIM_400000_NS6detail31init_lookback_scan_state_kernelINS1_19lookback_scan_stateIN3c104HalfELb1ELb1EEENS1_16block_id_wrapperIjLb1EEEEEvT_jT0_jPNS9_10value_typeE: ; @_ZN7rocprim17ROCPRIM_400000_NS6detail31init_lookback_scan_state_kernelINS1_19lookback_scan_stateIN3c104HalfELb1ELb1EEENS1_16block_id_wrapperIjLb1EEEEEvT_jT0_jPNS9_10value_typeE
; %bb.0:
	s_clause 0x3
	s_load_b32 s6, s[0:1], 0x34
	s_load_b64 s[4:5], s[0:1], 0x20
	s_load_b64 s[2:3], s[0:1], 0x0
	s_load_b32 s8, s[0:1], 0x8
	s_waitcnt lgkmcnt(0)
	s_and_b32 s6, s6, 0xffff
	s_cmp_eq_u64 s[4:5], 0
	v_mad_u64_u32 v[1:2], null, s15, s6, v[0:1]
	s_cbranch_scc1 .LBB382_9
; %bb.1:
	s_load_b32 s6, s[0:1], 0x18
	s_waitcnt lgkmcnt(0)
	s_cmp_lt_u32 s6, s8
	s_cselect_b32 s7, s6, 0
	s_delay_alu instid0(VALU_DEP_1) | instid1(SALU_CYCLE_1)
	v_cmp_eq_u32_e32 vcc_lo, s7, v1
	s_mov_b32 s7, 0
	s_and_saveexec_b32 s9, vcc_lo
	s_cbranch_execz .LBB382_8
; %bb.2:
	s_add_i32 s6, s6, 32
	v_mov_b32_e32 v0, 0
	s_lshl_b64 s[6:7], s[6:7], 2
	s_delay_alu instid0(SALU_CYCLE_1) | instskip(SKIP_4) | instid1(VALU_DEP_1)
	s_add_u32 s6, s2, s6
	s_addc_u32 s7, s3, s7
	global_load_b32 v2, v0, s[6:7] glc
	s_waitcnt vmcnt(0)
	v_and_b32_e32 v3, 0xff0000, v2
	v_cmp_ne_u32_e32 vcc_lo, 0, v3
	s_cbranch_vccnz .LBB382_7
; %bb.3:
	s_mov_b32 s10, 1
.LBB382_4:                              ; =>This Loop Header: Depth=1
                                        ;     Child Loop BB382_5 Depth 2
	s_delay_alu instid0(SALU_CYCLE_1)
	s_max_u32 s11, s10, 1
.LBB382_5:                              ;   Parent Loop BB382_4 Depth=1
                                        ; =>  This Inner Loop Header: Depth=2
	s_delay_alu instid0(SALU_CYCLE_1)
	s_add_i32 s11, s11, -1
	s_sleep 1
	s_cmp_eq_u32 s11, 0
	s_cbranch_scc0 .LBB382_5
; %bb.6:                                ;   in Loop: Header=BB382_4 Depth=1
	global_load_b32 v2, v0, s[6:7] glc
	s_cmp_lt_u32 s10, 32
	s_cselect_b32 s11, -1, 0
	s_delay_alu instid0(SALU_CYCLE_1) | instskip(SKIP_3) | instid1(VALU_DEP_1)
	s_cmp_lg_u32 s11, 0
	s_addc_u32 s10, s10, 0
	s_waitcnt vmcnt(0)
	v_and_b32_e32 v3, 0xff0000, v2
	v_cmp_ne_u32_e32 vcc_lo, 0, v3
	s_cbranch_vccz .LBB382_4
.LBB382_7:
	v_mov_b32_e32 v0, 0
	global_store_b16 v0, v2, s[4:5]
.LBB382_8:
	s_or_b32 exec_lo, exec_lo, s9
.LBB382_9:
	s_delay_alu instid0(SALU_CYCLE_1) | instskip(NEXT) | instid1(VALU_DEP_1)
	s_mov_b32 s4, exec_lo
	v_cmpx_eq_u32_e32 0, v1
	s_cbranch_execz .LBB382_11
; %bb.10:
	s_load_b64 s[0:1], s[0:1], 0x10
	v_mov_b32_e32 v0, 0
	s_waitcnt lgkmcnt(0)
	global_store_b32 v0, v0, s[0:1]
.LBB382_11:
	s_or_b32 exec_lo, exec_lo, s4
	s_delay_alu instid0(SALU_CYCLE_1)
	s_mov_b32 s0, exec_lo
	v_cmpx_gt_u32_e64 s8, v1
	s_cbranch_execz .LBB382_13
; %bb.12:
	v_dual_mov_b32 v3, 0 :: v_dual_add_nc_u32 v2, 32, v1
	s_delay_alu instid0(VALU_DEP_1) | instskip(NEXT) | instid1(VALU_DEP_1)
	v_lshlrev_b64 v[4:5], 2, v[2:3]
	v_add_co_u32 v4, vcc_lo, s2, v4
	s_delay_alu instid0(VALU_DEP_2)
	v_add_co_ci_u32_e32 v5, vcc_lo, s3, v5, vcc_lo
	global_store_b32 v[4:5], v3, off
.LBB382_13:
	s_or_b32 exec_lo, exec_lo, s0
	s_delay_alu instid0(SALU_CYCLE_1)
	s_mov_b32 s0, exec_lo
	v_cmpx_gt_u32_e32 32, v1
	s_cbranch_execz .LBB382_15
; %bb.14:
	v_mov_b32_e32 v2, 0
	s_delay_alu instid0(VALU_DEP_1) | instskip(SKIP_1) | instid1(VALU_DEP_2)
	v_lshlrev_b64 v[0:1], 2, v[1:2]
	v_mov_b32_e32 v2, 0xff0000
	v_add_co_u32 v0, vcc_lo, s2, v0
	s_delay_alu instid0(VALU_DEP_3)
	v_add_co_ci_u32_e32 v1, vcc_lo, s3, v1, vcc_lo
	global_store_b32 v[0:1], v2, off
.LBB382_15:
	s_nop 0
	s_sendmsg sendmsg(MSG_DEALLOC_VGPRS)
	s_endpgm
	.section	.rodata,"a",@progbits
	.p2align	6, 0x0
	.amdhsa_kernel _ZN7rocprim17ROCPRIM_400000_NS6detail31init_lookback_scan_state_kernelINS1_19lookback_scan_stateIN3c104HalfELb1ELb1EEENS1_16block_id_wrapperIjLb1EEEEEvT_jT0_jPNS9_10value_typeE
		.amdhsa_group_segment_fixed_size 0
		.amdhsa_private_segment_fixed_size 0
		.amdhsa_kernarg_size 296
		.amdhsa_user_sgpr_count 15
		.amdhsa_user_sgpr_dispatch_ptr 0
		.amdhsa_user_sgpr_queue_ptr 0
		.amdhsa_user_sgpr_kernarg_segment_ptr 1
		.amdhsa_user_sgpr_dispatch_id 0
		.amdhsa_user_sgpr_private_segment_size 0
		.amdhsa_wavefront_size32 1
		.amdhsa_uses_dynamic_stack 0
		.amdhsa_enable_private_segment 0
		.amdhsa_system_sgpr_workgroup_id_x 1
		.amdhsa_system_sgpr_workgroup_id_y 0
		.amdhsa_system_sgpr_workgroup_id_z 0
		.amdhsa_system_sgpr_workgroup_info 0
		.amdhsa_system_vgpr_workitem_id 0
		.amdhsa_next_free_vgpr 6
		.amdhsa_next_free_sgpr 16
		.amdhsa_reserve_vcc 1
		.amdhsa_float_round_mode_32 0
		.amdhsa_float_round_mode_16_64 0
		.amdhsa_float_denorm_mode_32 3
		.amdhsa_float_denorm_mode_16_64 3
		.amdhsa_dx10_clamp 1
		.amdhsa_ieee_mode 1
		.amdhsa_fp16_overflow 0
		.amdhsa_workgroup_processor_mode 1
		.amdhsa_memory_ordered 1
		.amdhsa_forward_progress 0
		.amdhsa_shared_vgpr_count 0
		.amdhsa_exception_fp_ieee_invalid_op 0
		.amdhsa_exception_fp_denorm_src 0
		.amdhsa_exception_fp_ieee_div_zero 0
		.amdhsa_exception_fp_ieee_overflow 0
		.amdhsa_exception_fp_ieee_underflow 0
		.amdhsa_exception_fp_ieee_inexact 0
		.amdhsa_exception_int_div_zero 0
	.end_amdhsa_kernel
	.section	.text._ZN7rocprim17ROCPRIM_400000_NS6detail31init_lookback_scan_state_kernelINS1_19lookback_scan_stateIN3c104HalfELb1ELb1EEENS1_16block_id_wrapperIjLb1EEEEEvT_jT0_jPNS9_10value_typeE,"axG",@progbits,_ZN7rocprim17ROCPRIM_400000_NS6detail31init_lookback_scan_state_kernelINS1_19lookback_scan_stateIN3c104HalfELb1ELb1EEENS1_16block_id_wrapperIjLb1EEEEEvT_jT0_jPNS9_10value_typeE,comdat
.Lfunc_end382:
	.size	_ZN7rocprim17ROCPRIM_400000_NS6detail31init_lookback_scan_state_kernelINS1_19lookback_scan_stateIN3c104HalfELb1ELb1EEENS1_16block_id_wrapperIjLb1EEEEEvT_jT0_jPNS9_10value_typeE, .Lfunc_end382-_ZN7rocprim17ROCPRIM_400000_NS6detail31init_lookback_scan_state_kernelINS1_19lookback_scan_stateIN3c104HalfELb1ELb1EEENS1_16block_id_wrapperIjLb1EEEEEvT_jT0_jPNS9_10value_typeE
                                        ; -- End function
	.section	.AMDGPU.csdata,"",@progbits
; Kernel info:
; codeLenInByte = 440
; NumSgprs: 18
; NumVgprs: 6
; ScratchSize: 0
; MemoryBound: 0
; FloatMode: 240
; IeeeMode: 1
; LDSByteSize: 0 bytes/workgroup (compile time only)
; SGPRBlocks: 2
; VGPRBlocks: 0
; NumSGPRsForWavesPerEU: 18
; NumVGPRsForWavesPerEU: 6
; Occupancy: 16
; WaveLimiterHint : 0
; COMPUTE_PGM_RSRC2:SCRATCH_EN: 0
; COMPUTE_PGM_RSRC2:USER_SGPR: 15
; COMPUTE_PGM_RSRC2:TRAP_HANDLER: 0
; COMPUTE_PGM_RSRC2:TGID_X_EN: 1
; COMPUTE_PGM_RSRC2:TGID_Y_EN: 0
; COMPUTE_PGM_RSRC2:TGID_Z_EN: 0
; COMPUTE_PGM_RSRC2:TIDIG_COMP_CNT: 0
	.section	.text._ZN7rocprim17ROCPRIM_400000_NS6detail17trampoline_kernelINS0_14default_configENS1_20scan_config_selectorIN3c104HalfEEEZZNS1_9scan_implILNS1_25lookback_scan_determinismE0ELb0ELb0ES3_PKS6_PS6_S6_ZZZN2at6native31launch_logcumsumexp_cuda_kernelERKNSD_10TensorBaseESH_lENKUlvE_clEvENKUlvE3_clEvEUlS6_S6_E_S6_EEDaPvRmT3_T4_T5_mT6_P12ihipStream_tbENKUlT_T0_E_clISt17integral_constantIbLb1EESY_EEDaST_SU_EUlST_E_NS1_11comp_targetILNS1_3genE0ELNS1_11target_archE4294967295ELNS1_3gpuE0ELNS1_3repE0EEENS1_30default_config_static_selectorELNS0_4arch9wavefront6targetE0EEEvT1_,"axG",@progbits,_ZN7rocprim17ROCPRIM_400000_NS6detail17trampoline_kernelINS0_14default_configENS1_20scan_config_selectorIN3c104HalfEEEZZNS1_9scan_implILNS1_25lookback_scan_determinismE0ELb0ELb0ES3_PKS6_PS6_S6_ZZZN2at6native31launch_logcumsumexp_cuda_kernelERKNSD_10TensorBaseESH_lENKUlvE_clEvENKUlvE3_clEvEUlS6_S6_E_S6_EEDaPvRmT3_T4_T5_mT6_P12ihipStream_tbENKUlT_T0_E_clISt17integral_constantIbLb1EESY_EEDaST_SU_EUlST_E_NS1_11comp_targetILNS1_3genE0ELNS1_11target_archE4294967295ELNS1_3gpuE0ELNS1_3repE0EEENS1_30default_config_static_selectorELNS0_4arch9wavefront6targetE0EEEvT1_,comdat
	.globl	_ZN7rocprim17ROCPRIM_400000_NS6detail17trampoline_kernelINS0_14default_configENS1_20scan_config_selectorIN3c104HalfEEEZZNS1_9scan_implILNS1_25lookback_scan_determinismE0ELb0ELb0ES3_PKS6_PS6_S6_ZZZN2at6native31launch_logcumsumexp_cuda_kernelERKNSD_10TensorBaseESH_lENKUlvE_clEvENKUlvE3_clEvEUlS6_S6_E_S6_EEDaPvRmT3_T4_T5_mT6_P12ihipStream_tbENKUlT_T0_E_clISt17integral_constantIbLb1EESY_EEDaST_SU_EUlST_E_NS1_11comp_targetILNS1_3genE0ELNS1_11target_archE4294967295ELNS1_3gpuE0ELNS1_3repE0EEENS1_30default_config_static_selectorELNS0_4arch9wavefront6targetE0EEEvT1_ ; -- Begin function _ZN7rocprim17ROCPRIM_400000_NS6detail17trampoline_kernelINS0_14default_configENS1_20scan_config_selectorIN3c104HalfEEEZZNS1_9scan_implILNS1_25lookback_scan_determinismE0ELb0ELb0ES3_PKS6_PS6_S6_ZZZN2at6native31launch_logcumsumexp_cuda_kernelERKNSD_10TensorBaseESH_lENKUlvE_clEvENKUlvE3_clEvEUlS6_S6_E_S6_EEDaPvRmT3_T4_T5_mT6_P12ihipStream_tbENKUlT_T0_E_clISt17integral_constantIbLb1EESY_EEDaST_SU_EUlST_E_NS1_11comp_targetILNS1_3genE0ELNS1_11target_archE4294967295ELNS1_3gpuE0ELNS1_3repE0EEENS1_30default_config_static_selectorELNS0_4arch9wavefront6targetE0EEEvT1_
	.p2align	8
	.type	_ZN7rocprim17ROCPRIM_400000_NS6detail17trampoline_kernelINS0_14default_configENS1_20scan_config_selectorIN3c104HalfEEEZZNS1_9scan_implILNS1_25lookback_scan_determinismE0ELb0ELb0ES3_PKS6_PS6_S6_ZZZN2at6native31launch_logcumsumexp_cuda_kernelERKNSD_10TensorBaseESH_lENKUlvE_clEvENKUlvE3_clEvEUlS6_S6_E_S6_EEDaPvRmT3_T4_T5_mT6_P12ihipStream_tbENKUlT_T0_E_clISt17integral_constantIbLb1EESY_EEDaST_SU_EUlST_E_NS1_11comp_targetILNS1_3genE0ELNS1_11target_archE4294967295ELNS1_3gpuE0ELNS1_3repE0EEENS1_30default_config_static_selectorELNS0_4arch9wavefront6targetE0EEEvT1_,@function
_ZN7rocprim17ROCPRIM_400000_NS6detail17trampoline_kernelINS0_14default_configENS1_20scan_config_selectorIN3c104HalfEEEZZNS1_9scan_implILNS1_25lookback_scan_determinismE0ELb0ELb0ES3_PKS6_PS6_S6_ZZZN2at6native31launch_logcumsumexp_cuda_kernelERKNSD_10TensorBaseESH_lENKUlvE_clEvENKUlvE3_clEvEUlS6_S6_E_S6_EEDaPvRmT3_T4_T5_mT6_P12ihipStream_tbENKUlT_T0_E_clISt17integral_constantIbLb1EESY_EEDaST_SU_EUlST_E_NS1_11comp_targetILNS1_3genE0ELNS1_11target_archE4294967295ELNS1_3gpuE0ELNS1_3repE0EEENS1_30default_config_static_selectorELNS0_4arch9wavefront6targetE0EEEvT1_: ; @_ZN7rocprim17ROCPRIM_400000_NS6detail17trampoline_kernelINS0_14default_configENS1_20scan_config_selectorIN3c104HalfEEEZZNS1_9scan_implILNS1_25lookback_scan_determinismE0ELb0ELb0ES3_PKS6_PS6_S6_ZZZN2at6native31launch_logcumsumexp_cuda_kernelERKNSD_10TensorBaseESH_lENKUlvE_clEvENKUlvE3_clEvEUlS6_S6_E_S6_EEDaPvRmT3_T4_T5_mT6_P12ihipStream_tbENKUlT_T0_E_clISt17integral_constantIbLb1EESY_EEDaST_SU_EUlST_E_NS1_11comp_targetILNS1_3genE0ELNS1_11target_archE4294967295ELNS1_3gpuE0ELNS1_3repE0EEENS1_30default_config_static_selectorELNS0_4arch9wavefront6targetE0EEEvT1_
; %bb.0:
	.section	.rodata,"a",@progbits
	.p2align	6, 0x0
	.amdhsa_kernel _ZN7rocprim17ROCPRIM_400000_NS6detail17trampoline_kernelINS0_14default_configENS1_20scan_config_selectorIN3c104HalfEEEZZNS1_9scan_implILNS1_25lookback_scan_determinismE0ELb0ELb0ES3_PKS6_PS6_S6_ZZZN2at6native31launch_logcumsumexp_cuda_kernelERKNSD_10TensorBaseESH_lENKUlvE_clEvENKUlvE3_clEvEUlS6_S6_E_S6_EEDaPvRmT3_T4_T5_mT6_P12ihipStream_tbENKUlT_T0_E_clISt17integral_constantIbLb1EESY_EEDaST_SU_EUlST_E_NS1_11comp_targetILNS1_3genE0ELNS1_11target_archE4294967295ELNS1_3gpuE0ELNS1_3repE0EEENS1_30default_config_static_selectorELNS0_4arch9wavefront6targetE0EEEvT1_
		.amdhsa_group_segment_fixed_size 0
		.amdhsa_private_segment_fixed_size 0
		.amdhsa_kernarg_size 96
		.amdhsa_user_sgpr_count 15
		.amdhsa_user_sgpr_dispatch_ptr 0
		.amdhsa_user_sgpr_queue_ptr 0
		.amdhsa_user_sgpr_kernarg_segment_ptr 1
		.amdhsa_user_sgpr_dispatch_id 0
		.amdhsa_user_sgpr_private_segment_size 0
		.amdhsa_wavefront_size32 1
		.amdhsa_uses_dynamic_stack 0
		.amdhsa_enable_private_segment 0
		.amdhsa_system_sgpr_workgroup_id_x 1
		.amdhsa_system_sgpr_workgroup_id_y 0
		.amdhsa_system_sgpr_workgroup_id_z 0
		.amdhsa_system_sgpr_workgroup_info 0
		.amdhsa_system_vgpr_workitem_id 0
		.amdhsa_next_free_vgpr 1
		.amdhsa_next_free_sgpr 1
		.amdhsa_reserve_vcc 0
		.amdhsa_float_round_mode_32 0
		.amdhsa_float_round_mode_16_64 0
		.amdhsa_float_denorm_mode_32 3
		.amdhsa_float_denorm_mode_16_64 3
		.amdhsa_dx10_clamp 1
		.amdhsa_ieee_mode 1
		.amdhsa_fp16_overflow 0
		.amdhsa_workgroup_processor_mode 1
		.amdhsa_memory_ordered 1
		.amdhsa_forward_progress 0
		.amdhsa_shared_vgpr_count 0
		.amdhsa_exception_fp_ieee_invalid_op 0
		.amdhsa_exception_fp_denorm_src 0
		.amdhsa_exception_fp_ieee_div_zero 0
		.amdhsa_exception_fp_ieee_overflow 0
		.amdhsa_exception_fp_ieee_underflow 0
		.amdhsa_exception_fp_ieee_inexact 0
		.amdhsa_exception_int_div_zero 0
	.end_amdhsa_kernel
	.section	.text._ZN7rocprim17ROCPRIM_400000_NS6detail17trampoline_kernelINS0_14default_configENS1_20scan_config_selectorIN3c104HalfEEEZZNS1_9scan_implILNS1_25lookback_scan_determinismE0ELb0ELb0ES3_PKS6_PS6_S6_ZZZN2at6native31launch_logcumsumexp_cuda_kernelERKNSD_10TensorBaseESH_lENKUlvE_clEvENKUlvE3_clEvEUlS6_S6_E_S6_EEDaPvRmT3_T4_T5_mT6_P12ihipStream_tbENKUlT_T0_E_clISt17integral_constantIbLb1EESY_EEDaST_SU_EUlST_E_NS1_11comp_targetILNS1_3genE0ELNS1_11target_archE4294967295ELNS1_3gpuE0ELNS1_3repE0EEENS1_30default_config_static_selectorELNS0_4arch9wavefront6targetE0EEEvT1_,"axG",@progbits,_ZN7rocprim17ROCPRIM_400000_NS6detail17trampoline_kernelINS0_14default_configENS1_20scan_config_selectorIN3c104HalfEEEZZNS1_9scan_implILNS1_25lookback_scan_determinismE0ELb0ELb0ES3_PKS6_PS6_S6_ZZZN2at6native31launch_logcumsumexp_cuda_kernelERKNSD_10TensorBaseESH_lENKUlvE_clEvENKUlvE3_clEvEUlS6_S6_E_S6_EEDaPvRmT3_T4_T5_mT6_P12ihipStream_tbENKUlT_T0_E_clISt17integral_constantIbLb1EESY_EEDaST_SU_EUlST_E_NS1_11comp_targetILNS1_3genE0ELNS1_11target_archE4294967295ELNS1_3gpuE0ELNS1_3repE0EEENS1_30default_config_static_selectorELNS0_4arch9wavefront6targetE0EEEvT1_,comdat
.Lfunc_end383:
	.size	_ZN7rocprim17ROCPRIM_400000_NS6detail17trampoline_kernelINS0_14default_configENS1_20scan_config_selectorIN3c104HalfEEEZZNS1_9scan_implILNS1_25lookback_scan_determinismE0ELb0ELb0ES3_PKS6_PS6_S6_ZZZN2at6native31launch_logcumsumexp_cuda_kernelERKNSD_10TensorBaseESH_lENKUlvE_clEvENKUlvE3_clEvEUlS6_S6_E_S6_EEDaPvRmT3_T4_T5_mT6_P12ihipStream_tbENKUlT_T0_E_clISt17integral_constantIbLb1EESY_EEDaST_SU_EUlST_E_NS1_11comp_targetILNS1_3genE0ELNS1_11target_archE4294967295ELNS1_3gpuE0ELNS1_3repE0EEENS1_30default_config_static_selectorELNS0_4arch9wavefront6targetE0EEEvT1_, .Lfunc_end383-_ZN7rocprim17ROCPRIM_400000_NS6detail17trampoline_kernelINS0_14default_configENS1_20scan_config_selectorIN3c104HalfEEEZZNS1_9scan_implILNS1_25lookback_scan_determinismE0ELb0ELb0ES3_PKS6_PS6_S6_ZZZN2at6native31launch_logcumsumexp_cuda_kernelERKNSD_10TensorBaseESH_lENKUlvE_clEvENKUlvE3_clEvEUlS6_S6_E_S6_EEDaPvRmT3_T4_T5_mT6_P12ihipStream_tbENKUlT_T0_E_clISt17integral_constantIbLb1EESY_EEDaST_SU_EUlST_E_NS1_11comp_targetILNS1_3genE0ELNS1_11target_archE4294967295ELNS1_3gpuE0ELNS1_3repE0EEENS1_30default_config_static_selectorELNS0_4arch9wavefront6targetE0EEEvT1_
                                        ; -- End function
	.section	.AMDGPU.csdata,"",@progbits
; Kernel info:
; codeLenInByte = 0
; NumSgprs: 0
; NumVgprs: 0
; ScratchSize: 0
; MemoryBound: 0
; FloatMode: 240
; IeeeMode: 1
; LDSByteSize: 0 bytes/workgroup (compile time only)
; SGPRBlocks: 0
; VGPRBlocks: 0
; NumSGPRsForWavesPerEU: 1
; NumVGPRsForWavesPerEU: 1
; Occupancy: 16
; WaveLimiterHint : 0
; COMPUTE_PGM_RSRC2:SCRATCH_EN: 0
; COMPUTE_PGM_RSRC2:USER_SGPR: 15
; COMPUTE_PGM_RSRC2:TRAP_HANDLER: 0
; COMPUTE_PGM_RSRC2:TGID_X_EN: 1
; COMPUTE_PGM_RSRC2:TGID_Y_EN: 0
; COMPUTE_PGM_RSRC2:TGID_Z_EN: 0
; COMPUTE_PGM_RSRC2:TIDIG_COMP_CNT: 0
	.section	.text._ZN7rocprim17ROCPRIM_400000_NS6detail17trampoline_kernelINS0_14default_configENS1_20scan_config_selectorIN3c104HalfEEEZZNS1_9scan_implILNS1_25lookback_scan_determinismE0ELb0ELb0ES3_PKS6_PS6_S6_ZZZN2at6native31launch_logcumsumexp_cuda_kernelERKNSD_10TensorBaseESH_lENKUlvE_clEvENKUlvE3_clEvEUlS6_S6_E_S6_EEDaPvRmT3_T4_T5_mT6_P12ihipStream_tbENKUlT_T0_E_clISt17integral_constantIbLb1EESY_EEDaST_SU_EUlST_E_NS1_11comp_targetILNS1_3genE5ELNS1_11target_archE942ELNS1_3gpuE9ELNS1_3repE0EEENS1_30default_config_static_selectorELNS0_4arch9wavefront6targetE0EEEvT1_,"axG",@progbits,_ZN7rocprim17ROCPRIM_400000_NS6detail17trampoline_kernelINS0_14default_configENS1_20scan_config_selectorIN3c104HalfEEEZZNS1_9scan_implILNS1_25lookback_scan_determinismE0ELb0ELb0ES3_PKS6_PS6_S6_ZZZN2at6native31launch_logcumsumexp_cuda_kernelERKNSD_10TensorBaseESH_lENKUlvE_clEvENKUlvE3_clEvEUlS6_S6_E_S6_EEDaPvRmT3_T4_T5_mT6_P12ihipStream_tbENKUlT_T0_E_clISt17integral_constantIbLb1EESY_EEDaST_SU_EUlST_E_NS1_11comp_targetILNS1_3genE5ELNS1_11target_archE942ELNS1_3gpuE9ELNS1_3repE0EEENS1_30default_config_static_selectorELNS0_4arch9wavefront6targetE0EEEvT1_,comdat
	.globl	_ZN7rocprim17ROCPRIM_400000_NS6detail17trampoline_kernelINS0_14default_configENS1_20scan_config_selectorIN3c104HalfEEEZZNS1_9scan_implILNS1_25lookback_scan_determinismE0ELb0ELb0ES3_PKS6_PS6_S6_ZZZN2at6native31launch_logcumsumexp_cuda_kernelERKNSD_10TensorBaseESH_lENKUlvE_clEvENKUlvE3_clEvEUlS6_S6_E_S6_EEDaPvRmT3_T4_T5_mT6_P12ihipStream_tbENKUlT_T0_E_clISt17integral_constantIbLb1EESY_EEDaST_SU_EUlST_E_NS1_11comp_targetILNS1_3genE5ELNS1_11target_archE942ELNS1_3gpuE9ELNS1_3repE0EEENS1_30default_config_static_selectorELNS0_4arch9wavefront6targetE0EEEvT1_ ; -- Begin function _ZN7rocprim17ROCPRIM_400000_NS6detail17trampoline_kernelINS0_14default_configENS1_20scan_config_selectorIN3c104HalfEEEZZNS1_9scan_implILNS1_25lookback_scan_determinismE0ELb0ELb0ES3_PKS6_PS6_S6_ZZZN2at6native31launch_logcumsumexp_cuda_kernelERKNSD_10TensorBaseESH_lENKUlvE_clEvENKUlvE3_clEvEUlS6_S6_E_S6_EEDaPvRmT3_T4_T5_mT6_P12ihipStream_tbENKUlT_T0_E_clISt17integral_constantIbLb1EESY_EEDaST_SU_EUlST_E_NS1_11comp_targetILNS1_3genE5ELNS1_11target_archE942ELNS1_3gpuE9ELNS1_3repE0EEENS1_30default_config_static_selectorELNS0_4arch9wavefront6targetE0EEEvT1_
	.p2align	8
	.type	_ZN7rocprim17ROCPRIM_400000_NS6detail17trampoline_kernelINS0_14default_configENS1_20scan_config_selectorIN3c104HalfEEEZZNS1_9scan_implILNS1_25lookback_scan_determinismE0ELb0ELb0ES3_PKS6_PS6_S6_ZZZN2at6native31launch_logcumsumexp_cuda_kernelERKNSD_10TensorBaseESH_lENKUlvE_clEvENKUlvE3_clEvEUlS6_S6_E_S6_EEDaPvRmT3_T4_T5_mT6_P12ihipStream_tbENKUlT_T0_E_clISt17integral_constantIbLb1EESY_EEDaST_SU_EUlST_E_NS1_11comp_targetILNS1_3genE5ELNS1_11target_archE942ELNS1_3gpuE9ELNS1_3repE0EEENS1_30default_config_static_selectorELNS0_4arch9wavefront6targetE0EEEvT1_,@function
_ZN7rocprim17ROCPRIM_400000_NS6detail17trampoline_kernelINS0_14default_configENS1_20scan_config_selectorIN3c104HalfEEEZZNS1_9scan_implILNS1_25lookback_scan_determinismE0ELb0ELb0ES3_PKS6_PS6_S6_ZZZN2at6native31launch_logcumsumexp_cuda_kernelERKNSD_10TensorBaseESH_lENKUlvE_clEvENKUlvE3_clEvEUlS6_S6_E_S6_EEDaPvRmT3_T4_T5_mT6_P12ihipStream_tbENKUlT_T0_E_clISt17integral_constantIbLb1EESY_EEDaST_SU_EUlST_E_NS1_11comp_targetILNS1_3genE5ELNS1_11target_archE942ELNS1_3gpuE9ELNS1_3repE0EEENS1_30default_config_static_selectorELNS0_4arch9wavefront6targetE0EEEvT1_: ; @_ZN7rocprim17ROCPRIM_400000_NS6detail17trampoline_kernelINS0_14default_configENS1_20scan_config_selectorIN3c104HalfEEEZZNS1_9scan_implILNS1_25lookback_scan_determinismE0ELb0ELb0ES3_PKS6_PS6_S6_ZZZN2at6native31launch_logcumsumexp_cuda_kernelERKNSD_10TensorBaseESH_lENKUlvE_clEvENKUlvE3_clEvEUlS6_S6_E_S6_EEDaPvRmT3_T4_T5_mT6_P12ihipStream_tbENKUlT_T0_E_clISt17integral_constantIbLb1EESY_EEDaST_SU_EUlST_E_NS1_11comp_targetILNS1_3genE5ELNS1_11target_archE942ELNS1_3gpuE9ELNS1_3repE0EEENS1_30default_config_static_selectorELNS0_4arch9wavefront6targetE0EEEvT1_
; %bb.0:
	.section	.rodata,"a",@progbits
	.p2align	6, 0x0
	.amdhsa_kernel _ZN7rocprim17ROCPRIM_400000_NS6detail17trampoline_kernelINS0_14default_configENS1_20scan_config_selectorIN3c104HalfEEEZZNS1_9scan_implILNS1_25lookback_scan_determinismE0ELb0ELb0ES3_PKS6_PS6_S6_ZZZN2at6native31launch_logcumsumexp_cuda_kernelERKNSD_10TensorBaseESH_lENKUlvE_clEvENKUlvE3_clEvEUlS6_S6_E_S6_EEDaPvRmT3_T4_T5_mT6_P12ihipStream_tbENKUlT_T0_E_clISt17integral_constantIbLb1EESY_EEDaST_SU_EUlST_E_NS1_11comp_targetILNS1_3genE5ELNS1_11target_archE942ELNS1_3gpuE9ELNS1_3repE0EEENS1_30default_config_static_selectorELNS0_4arch9wavefront6targetE0EEEvT1_
		.amdhsa_group_segment_fixed_size 0
		.amdhsa_private_segment_fixed_size 0
		.amdhsa_kernarg_size 96
		.amdhsa_user_sgpr_count 15
		.amdhsa_user_sgpr_dispatch_ptr 0
		.amdhsa_user_sgpr_queue_ptr 0
		.amdhsa_user_sgpr_kernarg_segment_ptr 1
		.amdhsa_user_sgpr_dispatch_id 0
		.amdhsa_user_sgpr_private_segment_size 0
		.amdhsa_wavefront_size32 1
		.amdhsa_uses_dynamic_stack 0
		.amdhsa_enable_private_segment 0
		.amdhsa_system_sgpr_workgroup_id_x 1
		.amdhsa_system_sgpr_workgroup_id_y 0
		.amdhsa_system_sgpr_workgroup_id_z 0
		.amdhsa_system_sgpr_workgroup_info 0
		.amdhsa_system_vgpr_workitem_id 0
		.amdhsa_next_free_vgpr 1
		.amdhsa_next_free_sgpr 1
		.amdhsa_reserve_vcc 0
		.amdhsa_float_round_mode_32 0
		.amdhsa_float_round_mode_16_64 0
		.amdhsa_float_denorm_mode_32 3
		.amdhsa_float_denorm_mode_16_64 3
		.amdhsa_dx10_clamp 1
		.amdhsa_ieee_mode 1
		.amdhsa_fp16_overflow 0
		.amdhsa_workgroup_processor_mode 1
		.amdhsa_memory_ordered 1
		.amdhsa_forward_progress 0
		.amdhsa_shared_vgpr_count 0
		.amdhsa_exception_fp_ieee_invalid_op 0
		.amdhsa_exception_fp_denorm_src 0
		.amdhsa_exception_fp_ieee_div_zero 0
		.amdhsa_exception_fp_ieee_overflow 0
		.amdhsa_exception_fp_ieee_underflow 0
		.amdhsa_exception_fp_ieee_inexact 0
		.amdhsa_exception_int_div_zero 0
	.end_amdhsa_kernel
	.section	.text._ZN7rocprim17ROCPRIM_400000_NS6detail17trampoline_kernelINS0_14default_configENS1_20scan_config_selectorIN3c104HalfEEEZZNS1_9scan_implILNS1_25lookback_scan_determinismE0ELb0ELb0ES3_PKS6_PS6_S6_ZZZN2at6native31launch_logcumsumexp_cuda_kernelERKNSD_10TensorBaseESH_lENKUlvE_clEvENKUlvE3_clEvEUlS6_S6_E_S6_EEDaPvRmT3_T4_T5_mT6_P12ihipStream_tbENKUlT_T0_E_clISt17integral_constantIbLb1EESY_EEDaST_SU_EUlST_E_NS1_11comp_targetILNS1_3genE5ELNS1_11target_archE942ELNS1_3gpuE9ELNS1_3repE0EEENS1_30default_config_static_selectorELNS0_4arch9wavefront6targetE0EEEvT1_,"axG",@progbits,_ZN7rocprim17ROCPRIM_400000_NS6detail17trampoline_kernelINS0_14default_configENS1_20scan_config_selectorIN3c104HalfEEEZZNS1_9scan_implILNS1_25lookback_scan_determinismE0ELb0ELb0ES3_PKS6_PS6_S6_ZZZN2at6native31launch_logcumsumexp_cuda_kernelERKNSD_10TensorBaseESH_lENKUlvE_clEvENKUlvE3_clEvEUlS6_S6_E_S6_EEDaPvRmT3_T4_T5_mT6_P12ihipStream_tbENKUlT_T0_E_clISt17integral_constantIbLb1EESY_EEDaST_SU_EUlST_E_NS1_11comp_targetILNS1_3genE5ELNS1_11target_archE942ELNS1_3gpuE9ELNS1_3repE0EEENS1_30default_config_static_selectorELNS0_4arch9wavefront6targetE0EEEvT1_,comdat
.Lfunc_end384:
	.size	_ZN7rocprim17ROCPRIM_400000_NS6detail17trampoline_kernelINS0_14default_configENS1_20scan_config_selectorIN3c104HalfEEEZZNS1_9scan_implILNS1_25lookback_scan_determinismE0ELb0ELb0ES3_PKS6_PS6_S6_ZZZN2at6native31launch_logcumsumexp_cuda_kernelERKNSD_10TensorBaseESH_lENKUlvE_clEvENKUlvE3_clEvEUlS6_S6_E_S6_EEDaPvRmT3_T4_T5_mT6_P12ihipStream_tbENKUlT_T0_E_clISt17integral_constantIbLb1EESY_EEDaST_SU_EUlST_E_NS1_11comp_targetILNS1_3genE5ELNS1_11target_archE942ELNS1_3gpuE9ELNS1_3repE0EEENS1_30default_config_static_selectorELNS0_4arch9wavefront6targetE0EEEvT1_, .Lfunc_end384-_ZN7rocprim17ROCPRIM_400000_NS6detail17trampoline_kernelINS0_14default_configENS1_20scan_config_selectorIN3c104HalfEEEZZNS1_9scan_implILNS1_25lookback_scan_determinismE0ELb0ELb0ES3_PKS6_PS6_S6_ZZZN2at6native31launch_logcumsumexp_cuda_kernelERKNSD_10TensorBaseESH_lENKUlvE_clEvENKUlvE3_clEvEUlS6_S6_E_S6_EEDaPvRmT3_T4_T5_mT6_P12ihipStream_tbENKUlT_T0_E_clISt17integral_constantIbLb1EESY_EEDaST_SU_EUlST_E_NS1_11comp_targetILNS1_3genE5ELNS1_11target_archE942ELNS1_3gpuE9ELNS1_3repE0EEENS1_30default_config_static_selectorELNS0_4arch9wavefront6targetE0EEEvT1_
                                        ; -- End function
	.section	.AMDGPU.csdata,"",@progbits
; Kernel info:
; codeLenInByte = 0
; NumSgprs: 0
; NumVgprs: 0
; ScratchSize: 0
; MemoryBound: 0
; FloatMode: 240
; IeeeMode: 1
; LDSByteSize: 0 bytes/workgroup (compile time only)
; SGPRBlocks: 0
; VGPRBlocks: 0
; NumSGPRsForWavesPerEU: 1
; NumVGPRsForWavesPerEU: 1
; Occupancy: 16
; WaveLimiterHint : 0
; COMPUTE_PGM_RSRC2:SCRATCH_EN: 0
; COMPUTE_PGM_RSRC2:USER_SGPR: 15
; COMPUTE_PGM_RSRC2:TRAP_HANDLER: 0
; COMPUTE_PGM_RSRC2:TGID_X_EN: 1
; COMPUTE_PGM_RSRC2:TGID_Y_EN: 0
; COMPUTE_PGM_RSRC2:TGID_Z_EN: 0
; COMPUTE_PGM_RSRC2:TIDIG_COMP_CNT: 0
	.section	.text._ZN7rocprim17ROCPRIM_400000_NS6detail17trampoline_kernelINS0_14default_configENS1_20scan_config_selectorIN3c104HalfEEEZZNS1_9scan_implILNS1_25lookback_scan_determinismE0ELb0ELb0ES3_PKS6_PS6_S6_ZZZN2at6native31launch_logcumsumexp_cuda_kernelERKNSD_10TensorBaseESH_lENKUlvE_clEvENKUlvE3_clEvEUlS6_S6_E_S6_EEDaPvRmT3_T4_T5_mT6_P12ihipStream_tbENKUlT_T0_E_clISt17integral_constantIbLb1EESY_EEDaST_SU_EUlST_E_NS1_11comp_targetILNS1_3genE4ELNS1_11target_archE910ELNS1_3gpuE8ELNS1_3repE0EEENS1_30default_config_static_selectorELNS0_4arch9wavefront6targetE0EEEvT1_,"axG",@progbits,_ZN7rocprim17ROCPRIM_400000_NS6detail17trampoline_kernelINS0_14default_configENS1_20scan_config_selectorIN3c104HalfEEEZZNS1_9scan_implILNS1_25lookback_scan_determinismE0ELb0ELb0ES3_PKS6_PS6_S6_ZZZN2at6native31launch_logcumsumexp_cuda_kernelERKNSD_10TensorBaseESH_lENKUlvE_clEvENKUlvE3_clEvEUlS6_S6_E_S6_EEDaPvRmT3_T4_T5_mT6_P12ihipStream_tbENKUlT_T0_E_clISt17integral_constantIbLb1EESY_EEDaST_SU_EUlST_E_NS1_11comp_targetILNS1_3genE4ELNS1_11target_archE910ELNS1_3gpuE8ELNS1_3repE0EEENS1_30default_config_static_selectorELNS0_4arch9wavefront6targetE0EEEvT1_,comdat
	.globl	_ZN7rocprim17ROCPRIM_400000_NS6detail17trampoline_kernelINS0_14default_configENS1_20scan_config_selectorIN3c104HalfEEEZZNS1_9scan_implILNS1_25lookback_scan_determinismE0ELb0ELb0ES3_PKS6_PS6_S6_ZZZN2at6native31launch_logcumsumexp_cuda_kernelERKNSD_10TensorBaseESH_lENKUlvE_clEvENKUlvE3_clEvEUlS6_S6_E_S6_EEDaPvRmT3_T4_T5_mT6_P12ihipStream_tbENKUlT_T0_E_clISt17integral_constantIbLb1EESY_EEDaST_SU_EUlST_E_NS1_11comp_targetILNS1_3genE4ELNS1_11target_archE910ELNS1_3gpuE8ELNS1_3repE0EEENS1_30default_config_static_selectorELNS0_4arch9wavefront6targetE0EEEvT1_ ; -- Begin function _ZN7rocprim17ROCPRIM_400000_NS6detail17trampoline_kernelINS0_14default_configENS1_20scan_config_selectorIN3c104HalfEEEZZNS1_9scan_implILNS1_25lookback_scan_determinismE0ELb0ELb0ES3_PKS6_PS6_S6_ZZZN2at6native31launch_logcumsumexp_cuda_kernelERKNSD_10TensorBaseESH_lENKUlvE_clEvENKUlvE3_clEvEUlS6_S6_E_S6_EEDaPvRmT3_T4_T5_mT6_P12ihipStream_tbENKUlT_T0_E_clISt17integral_constantIbLb1EESY_EEDaST_SU_EUlST_E_NS1_11comp_targetILNS1_3genE4ELNS1_11target_archE910ELNS1_3gpuE8ELNS1_3repE0EEENS1_30default_config_static_selectorELNS0_4arch9wavefront6targetE0EEEvT1_
	.p2align	8
	.type	_ZN7rocprim17ROCPRIM_400000_NS6detail17trampoline_kernelINS0_14default_configENS1_20scan_config_selectorIN3c104HalfEEEZZNS1_9scan_implILNS1_25lookback_scan_determinismE0ELb0ELb0ES3_PKS6_PS6_S6_ZZZN2at6native31launch_logcumsumexp_cuda_kernelERKNSD_10TensorBaseESH_lENKUlvE_clEvENKUlvE3_clEvEUlS6_S6_E_S6_EEDaPvRmT3_T4_T5_mT6_P12ihipStream_tbENKUlT_T0_E_clISt17integral_constantIbLb1EESY_EEDaST_SU_EUlST_E_NS1_11comp_targetILNS1_3genE4ELNS1_11target_archE910ELNS1_3gpuE8ELNS1_3repE0EEENS1_30default_config_static_selectorELNS0_4arch9wavefront6targetE0EEEvT1_,@function
_ZN7rocprim17ROCPRIM_400000_NS6detail17trampoline_kernelINS0_14default_configENS1_20scan_config_selectorIN3c104HalfEEEZZNS1_9scan_implILNS1_25lookback_scan_determinismE0ELb0ELb0ES3_PKS6_PS6_S6_ZZZN2at6native31launch_logcumsumexp_cuda_kernelERKNSD_10TensorBaseESH_lENKUlvE_clEvENKUlvE3_clEvEUlS6_S6_E_S6_EEDaPvRmT3_T4_T5_mT6_P12ihipStream_tbENKUlT_T0_E_clISt17integral_constantIbLb1EESY_EEDaST_SU_EUlST_E_NS1_11comp_targetILNS1_3genE4ELNS1_11target_archE910ELNS1_3gpuE8ELNS1_3repE0EEENS1_30default_config_static_selectorELNS0_4arch9wavefront6targetE0EEEvT1_: ; @_ZN7rocprim17ROCPRIM_400000_NS6detail17trampoline_kernelINS0_14default_configENS1_20scan_config_selectorIN3c104HalfEEEZZNS1_9scan_implILNS1_25lookback_scan_determinismE0ELb0ELb0ES3_PKS6_PS6_S6_ZZZN2at6native31launch_logcumsumexp_cuda_kernelERKNSD_10TensorBaseESH_lENKUlvE_clEvENKUlvE3_clEvEUlS6_S6_E_S6_EEDaPvRmT3_T4_T5_mT6_P12ihipStream_tbENKUlT_T0_E_clISt17integral_constantIbLb1EESY_EEDaST_SU_EUlST_E_NS1_11comp_targetILNS1_3genE4ELNS1_11target_archE910ELNS1_3gpuE8ELNS1_3repE0EEENS1_30default_config_static_selectorELNS0_4arch9wavefront6targetE0EEEvT1_
; %bb.0:
	.section	.rodata,"a",@progbits
	.p2align	6, 0x0
	.amdhsa_kernel _ZN7rocprim17ROCPRIM_400000_NS6detail17trampoline_kernelINS0_14default_configENS1_20scan_config_selectorIN3c104HalfEEEZZNS1_9scan_implILNS1_25lookback_scan_determinismE0ELb0ELb0ES3_PKS6_PS6_S6_ZZZN2at6native31launch_logcumsumexp_cuda_kernelERKNSD_10TensorBaseESH_lENKUlvE_clEvENKUlvE3_clEvEUlS6_S6_E_S6_EEDaPvRmT3_T4_T5_mT6_P12ihipStream_tbENKUlT_T0_E_clISt17integral_constantIbLb1EESY_EEDaST_SU_EUlST_E_NS1_11comp_targetILNS1_3genE4ELNS1_11target_archE910ELNS1_3gpuE8ELNS1_3repE0EEENS1_30default_config_static_selectorELNS0_4arch9wavefront6targetE0EEEvT1_
		.amdhsa_group_segment_fixed_size 0
		.amdhsa_private_segment_fixed_size 0
		.amdhsa_kernarg_size 96
		.amdhsa_user_sgpr_count 15
		.amdhsa_user_sgpr_dispatch_ptr 0
		.amdhsa_user_sgpr_queue_ptr 0
		.amdhsa_user_sgpr_kernarg_segment_ptr 1
		.amdhsa_user_sgpr_dispatch_id 0
		.amdhsa_user_sgpr_private_segment_size 0
		.amdhsa_wavefront_size32 1
		.amdhsa_uses_dynamic_stack 0
		.amdhsa_enable_private_segment 0
		.amdhsa_system_sgpr_workgroup_id_x 1
		.amdhsa_system_sgpr_workgroup_id_y 0
		.amdhsa_system_sgpr_workgroup_id_z 0
		.amdhsa_system_sgpr_workgroup_info 0
		.amdhsa_system_vgpr_workitem_id 0
		.amdhsa_next_free_vgpr 1
		.amdhsa_next_free_sgpr 1
		.amdhsa_reserve_vcc 0
		.amdhsa_float_round_mode_32 0
		.amdhsa_float_round_mode_16_64 0
		.amdhsa_float_denorm_mode_32 3
		.amdhsa_float_denorm_mode_16_64 3
		.amdhsa_dx10_clamp 1
		.amdhsa_ieee_mode 1
		.amdhsa_fp16_overflow 0
		.amdhsa_workgroup_processor_mode 1
		.amdhsa_memory_ordered 1
		.amdhsa_forward_progress 0
		.amdhsa_shared_vgpr_count 0
		.amdhsa_exception_fp_ieee_invalid_op 0
		.amdhsa_exception_fp_denorm_src 0
		.amdhsa_exception_fp_ieee_div_zero 0
		.amdhsa_exception_fp_ieee_overflow 0
		.amdhsa_exception_fp_ieee_underflow 0
		.amdhsa_exception_fp_ieee_inexact 0
		.amdhsa_exception_int_div_zero 0
	.end_amdhsa_kernel
	.section	.text._ZN7rocprim17ROCPRIM_400000_NS6detail17trampoline_kernelINS0_14default_configENS1_20scan_config_selectorIN3c104HalfEEEZZNS1_9scan_implILNS1_25lookback_scan_determinismE0ELb0ELb0ES3_PKS6_PS6_S6_ZZZN2at6native31launch_logcumsumexp_cuda_kernelERKNSD_10TensorBaseESH_lENKUlvE_clEvENKUlvE3_clEvEUlS6_S6_E_S6_EEDaPvRmT3_T4_T5_mT6_P12ihipStream_tbENKUlT_T0_E_clISt17integral_constantIbLb1EESY_EEDaST_SU_EUlST_E_NS1_11comp_targetILNS1_3genE4ELNS1_11target_archE910ELNS1_3gpuE8ELNS1_3repE0EEENS1_30default_config_static_selectorELNS0_4arch9wavefront6targetE0EEEvT1_,"axG",@progbits,_ZN7rocprim17ROCPRIM_400000_NS6detail17trampoline_kernelINS0_14default_configENS1_20scan_config_selectorIN3c104HalfEEEZZNS1_9scan_implILNS1_25lookback_scan_determinismE0ELb0ELb0ES3_PKS6_PS6_S6_ZZZN2at6native31launch_logcumsumexp_cuda_kernelERKNSD_10TensorBaseESH_lENKUlvE_clEvENKUlvE3_clEvEUlS6_S6_E_S6_EEDaPvRmT3_T4_T5_mT6_P12ihipStream_tbENKUlT_T0_E_clISt17integral_constantIbLb1EESY_EEDaST_SU_EUlST_E_NS1_11comp_targetILNS1_3genE4ELNS1_11target_archE910ELNS1_3gpuE8ELNS1_3repE0EEENS1_30default_config_static_selectorELNS0_4arch9wavefront6targetE0EEEvT1_,comdat
.Lfunc_end385:
	.size	_ZN7rocprim17ROCPRIM_400000_NS6detail17trampoline_kernelINS0_14default_configENS1_20scan_config_selectorIN3c104HalfEEEZZNS1_9scan_implILNS1_25lookback_scan_determinismE0ELb0ELb0ES3_PKS6_PS6_S6_ZZZN2at6native31launch_logcumsumexp_cuda_kernelERKNSD_10TensorBaseESH_lENKUlvE_clEvENKUlvE3_clEvEUlS6_S6_E_S6_EEDaPvRmT3_T4_T5_mT6_P12ihipStream_tbENKUlT_T0_E_clISt17integral_constantIbLb1EESY_EEDaST_SU_EUlST_E_NS1_11comp_targetILNS1_3genE4ELNS1_11target_archE910ELNS1_3gpuE8ELNS1_3repE0EEENS1_30default_config_static_selectorELNS0_4arch9wavefront6targetE0EEEvT1_, .Lfunc_end385-_ZN7rocprim17ROCPRIM_400000_NS6detail17trampoline_kernelINS0_14default_configENS1_20scan_config_selectorIN3c104HalfEEEZZNS1_9scan_implILNS1_25lookback_scan_determinismE0ELb0ELb0ES3_PKS6_PS6_S6_ZZZN2at6native31launch_logcumsumexp_cuda_kernelERKNSD_10TensorBaseESH_lENKUlvE_clEvENKUlvE3_clEvEUlS6_S6_E_S6_EEDaPvRmT3_T4_T5_mT6_P12ihipStream_tbENKUlT_T0_E_clISt17integral_constantIbLb1EESY_EEDaST_SU_EUlST_E_NS1_11comp_targetILNS1_3genE4ELNS1_11target_archE910ELNS1_3gpuE8ELNS1_3repE0EEENS1_30default_config_static_selectorELNS0_4arch9wavefront6targetE0EEEvT1_
                                        ; -- End function
	.section	.AMDGPU.csdata,"",@progbits
; Kernel info:
; codeLenInByte = 0
; NumSgprs: 0
; NumVgprs: 0
; ScratchSize: 0
; MemoryBound: 0
; FloatMode: 240
; IeeeMode: 1
; LDSByteSize: 0 bytes/workgroup (compile time only)
; SGPRBlocks: 0
; VGPRBlocks: 0
; NumSGPRsForWavesPerEU: 1
; NumVGPRsForWavesPerEU: 1
; Occupancy: 16
; WaveLimiterHint : 0
; COMPUTE_PGM_RSRC2:SCRATCH_EN: 0
; COMPUTE_PGM_RSRC2:USER_SGPR: 15
; COMPUTE_PGM_RSRC2:TRAP_HANDLER: 0
; COMPUTE_PGM_RSRC2:TGID_X_EN: 1
; COMPUTE_PGM_RSRC2:TGID_Y_EN: 0
; COMPUTE_PGM_RSRC2:TGID_Z_EN: 0
; COMPUTE_PGM_RSRC2:TIDIG_COMP_CNT: 0
	.section	.text._ZN7rocprim17ROCPRIM_400000_NS6detail17trampoline_kernelINS0_14default_configENS1_20scan_config_selectorIN3c104HalfEEEZZNS1_9scan_implILNS1_25lookback_scan_determinismE0ELb0ELb0ES3_PKS6_PS6_S6_ZZZN2at6native31launch_logcumsumexp_cuda_kernelERKNSD_10TensorBaseESH_lENKUlvE_clEvENKUlvE3_clEvEUlS6_S6_E_S6_EEDaPvRmT3_T4_T5_mT6_P12ihipStream_tbENKUlT_T0_E_clISt17integral_constantIbLb1EESY_EEDaST_SU_EUlST_E_NS1_11comp_targetILNS1_3genE3ELNS1_11target_archE908ELNS1_3gpuE7ELNS1_3repE0EEENS1_30default_config_static_selectorELNS0_4arch9wavefront6targetE0EEEvT1_,"axG",@progbits,_ZN7rocprim17ROCPRIM_400000_NS6detail17trampoline_kernelINS0_14default_configENS1_20scan_config_selectorIN3c104HalfEEEZZNS1_9scan_implILNS1_25lookback_scan_determinismE0ELb0ELb0ES3_PKS6_PS6_S6_ZZZN2at6native31launch_logcumsumexp_cuda_kernelERKNSD_10TensorBaseESH_lENKUlvE_clEvENKUlvE3_clEvEUlS6_S6_E_S6_EEDaPvRmT3_T4_T5_mT6_P12ihipStream_tbENKUlT_T0_E_clISt17integral_constantIbLb1EESY_EEDaST_SU_EUlST_E_NS1_11comp_targetILNS1_3genE3ELNS1_11target_archE908ELNS1_3gpuE7ELNS1_3repE0EEENS1_30default_config_static_selectorELNS0_4arch9wavefront6targetE0EEEvT1_,comdat
	.globl	_ZN7rocprim17ROCPRIM_400000_NS6detail17trampoline_kernelINS0_14default_configENS1_20scan_config_selectorIN3c104HalfEEEZZNS1_9scan_implILNS1_25lookback_scan_determinismE0ELb0ELb0ES3_PKS6_PS6_S6_ZZZN2at6native31launch_logcumsumexp_cuda_kernelERKNSD_10TensorBaseESH_lENKUlvE_clEvENKUlvE3_clEvEUlS6_S6_E_S6_EEDaPvRmT3_T4_T5_mT6_P12ihipStream_tbENKUlT_T0_E_clISt17integral_constantIbLb1EESY_EEDaST_SU_EUlST_E_NS1_11comp_targetILNS1_3genE3ELNS1_11target_archE908ELNS1_3gpuE7ELNS1_3repE0EEENS1_30default_config_static_selectorELNS0_4arch9wavefront6targetE0EEEvT1_ ; -- Begin function _ZN7rocprim17ROCPRIM_400000_NS6detail17trampoline_kernelINS0_14default_configENS1_20scan_config_selectorIN3c104HalfEEEZZNS1_9scan_implILNS1_25lookback_scan_determinismE0ELb0ELb0ES3_PKS6_PS6_S6_ZZZN2at6native31launch_logcumsumexp_cuda_kernelERKNSD_10TensorBaseESH_lENKUlvE_clEvENKUlvE3_clEvEUlS6_S6_E_S6_EEDaPvRmT3_T4_T5_mT6_P12ihipStream_tbENKUlT_T0_E_clISt17integral_constantIbLb1EESY_EEDaST_SU_EUlST_E_NS1_11comp_targetILNS1_3genE3ELNS1_11target_archE908ELNS1_3gpuE7ELNS1_3repE0EEENS1_30default_config_static_selectorELNS0_4arch9wavefront6targetE0EEEvT1_
	.p2align	8
	.type	_ZN7rocprim17ROCPRIM_400000_NS6detail17trampoline_kernelINS0_14default_configENS1_20scan_config_selectorIN3c104HalfEEEZZNS1_9scan_implILNS1_25lookback_scan_determinismE0ELb0ELb0ES3_PKS6_PS6_S6_ZZZN2at6native31launch_logcumsumexp_cuda_kernelERKNSD_10TensorBaseESH_lENKUlvE_clEvENKUlvE3_clEvEUlS6_S6_E_S6_EEDaPvRmT3_T4_T5_mT6_P12ihipStream_tbENKUlT_T0_E_clISt17integral_constantIbLb1EESY_EEDaST_SU_EUlST_E_NS1_11comp_targetILNS1_3genE3ELNS1_11target_archE908ELNS1_3gpuE7ELNS1_3repE0EEENS1_30default_config_static_selectorELNS0_4arch9wavefront6targetE0EEEvT1_,@function
_ZN7rocprim17ROCPRIM_400000_NS6detail17trampoline_kernelINS0_14default_configENS1_20scan_config_selectorIN3c104HalfEEEZZNS1_9scan_implILNS1_25lookback_scan_determinismE0ELb0ELb0ES3_PKS6_PS6_S6_ZZZN2at6native31launch_logcumsumexp_cuda_kernelERKNSD_10TensorBaseESH_lENKUlvE_clEvENKUlvE3_clEvEUlS6_S6_E_S6_EEDaPvRmT3_T4_T5_mT6_P12ihipStream_tbENKUlT_T0_E_clISt17integral_constantIbLb1EESY_EEDaST_SU_EUlST_E_NS1_11comp_targetILNS1_3genE3ELNS1_11target_archE908ELNS1_3gpuE7ELNS1_3repE0EEENS1_30default_config_static_selectorELNS0_4arch9wavefront6targetE0EEEvT1_: ; @_ZN7rocprim17ROCPRIM_400000_NS6detail17trampoline_kernelINS0_14default_configENS1_20scan_config_selectorIN3c104HalfEEEZZNS1_9scan_implILNS1_25lookback_scan_determinismE0ELb0ELb0ES3_PKS6_PS6_S6_ZZZN2at6native31launch_logcumsumexp_cuda_kernelERKNSD_10TensorBaseESH_lENKUlvE_clEvENKUlvE3_clEvEUlS6_S6_E_S6_EEDaPvRmT3_T4_T5_mT6_P12ihipStream_tbENKUlT_T0_E_clISt17integral_constantIbLb1EESY_EEDaST_SU_EUlST_E_NS1_11comp_targetILNS1_3genE3ELNS1_11target_archE908ELNS1_3gpuE7ELNS1_3repE0EEENS1_30default_config_static_selectorELNS0_4arch9wavefront6targetE0EEEvT1_
; %bb.0:
	.section	.rodata,"a",@progbits
	.p2align	6, 0x0
	.amdhsa_kernel _ZN7rocprim17ROCPRIM_400000_NS6detail17trampoline_kernelINS0_14default_configENS1_20scan_config_selectorIN3c104HalfEEEZZNS1_9scan_implILNS1_25lookback_scan_determinismE0ELb0ELb0ES3_PKS6_PS6_S6_ZZZN2at6native31launch_logcumsumexp_cuda_kernelERKNSD_10TensorBaseESH_lENKUlvE_clEvENKUlvE3_clEvEUlS6_S6_E_S6_EEDaPvRmT3_T4_T5_mT6_P12ihipStream_tbENKUlT_T0_E_clISt17integral_constantIbLb1EESY_EEDaST_SU_EUlST_E_NS1_11comp_targetILNS1_3genE3ELNS1_11target_archE908ELNS1_3gpuE7ELNS1_3repE0EEENS1_30default_config_static_selectorELNS0_4arch9wavefront6targetE0EEEvT1_
		.amdhsa_group_segment_fixed_size 0
		.amdhsa_private_segment_fixed_size 0
		.amdhsa_kernarg_size 96
		.amdhsa_user_sgpr_count 15
		.amdhsa_user_sgpr_dispatch_ptr 0
		.amdhsa_user_sgpr_queue_ptr 0
		.amdhsa_user_sgpr_kernarg_segment_ptr 1
		.amdhsa_user_sgpr_dispatch_id 0
		.amdhsa_user_sgpr_private_segment_size 0
		.amdhsa_wavefront_size32 1
		.amdhsa_uses_dynamic_stack 0
		.amdhsa_enable_private_segment 0
		.amdhsa_system_sgpr_workgroup_id_x 1
		.amdhsa_system_sgpr_workgroup_id_y 0
		.amdhsa_system_sgpr_workgroup_id_z 0
		.amdhsa_system_sgpr_workgroup_info 0
		.amdhsa_system_vgpr_workitem_id 0
		.amdhsa_next_free_vgpr 1
		.amdhsa_next_free_sgpr 1
		.amdhsa_reserve_vcc 0
		.amdhsa_float_round_mode_32 0
		.amdhsa_float_round_mode_16_64 0
		.amdhsa_float_denorm_mode_32 3
		.amdhsa_float_denorm_mode_16_64 3
		.amdhsa_dx10_clamp 1
		.amdhsa_ieee_mode 1
		.amdhsa_fp16_overflow 0
		.amdhsa_workgroup_processor_mode 1
		.amdhsa_memory_ordered 1
		.amdhsa_forward_progress 0
		.amdhsa_shared_vgpr_count 0
		.amdhsa_exception_fp_ieee_invalid_op 0
		.amdhsa_exception_fp_denorm_src 0
		.amdhsa_exception_fp_ieee_div_zero 0
		.amdhsa_exception_fp_ieee_overflow 0
		.amdhsa_exception_fp_ieee_underflow 0
		.amdhsa_exception_fp_ieee_inexact 0
		.amdhsa_exception_int_div_zero 0
	.end_amdhsa_kernel
	.section	.text._ZN7rocprim17ROCPRIM_400000_NS6detail17trampoline_kernelINS0_14default_configENS1_20scan_config_selectorIN3c104HalfEEEZZNS1_9scan_implILNS1_25lookback_scan_determinismE0ELb0ELb0ES3_PKS6_PS6_S6_ZZZN2at6native31launch_logcumsumexp_cuda_kernelERKNSD_10TensorBaseESH_lENKUlvE_clEvENKUlvE3_clEvEUlS6_S6_E_S6_EEDaPvRmT3_T4_T5_mT6_P12ihipStream_tbENKUlT_T0_E_clISt17integral_constantIbLb1EESY_EEDaST_SU_EUlST_E_NS1_11comp_targetILNS1_3genE3ELNS1_11target_archE908ELNS1_3gpuE7ELNS1_3repE0EEENS1_30default_config_static_selectorELNS0_4arch9wavefront6targetE0EEEvT1_,"axG",@progbits,_ZN7rocprim17ROCPRIM_400000_NS6detail17trampoline_kernelINS0_14default_configENS1_20scan_config_selectorIN3c104HalfEEEZZNS1_9scan_implILNS1_25lookback_scan_determinismE0ELb0ELb0ES3_PKS6_PS6_S6_ZZZN2at6native31launch_logcumsumexp_cuda_kernelERKNSD_10TensorBaseESH_lENKUlvE_clEvENKUlvE3_clEvEUlS6_S6_E_S6_EEDaPvRmT3_T4_T5_mT6_P12ihipStream_tbENKUlT_T0_E_clISt17integral_constantIbLb1EESY_EEDaST_SU_EUlST_E_NS1_11comp_targetILNS1_3genE3ELNS1_11target_archE908ELNS1_3gpuE7ELNS1_3repE0EEENS1_30default_config_static_selectorELNS0_4arch9wavefront6targetE0EEEvT1_,comdat
.Lfunc_end386:
	.size	_ZN7rocprim17ROCPRIM_400000_NS6detail17trampoline_kernelINS0_14default_configENS1_20scan_config_selectorIN3c104HalfEEEZZNS1_9scan_implILNS1_25lookback_scan_determinismE0ELb0ELb0ES3_PKS6_PS6_S6_ZZZN2at6native31launch_logcumsumexp_cuda_kernelERKNSD_10TensorBaseESH_lENKUlvE_clEvENKUlvE3_clEvEUlS6_S6_E_S6_EEDaPvRmT3_T4_T5_mT6_P12ihipStream_tbENKUlT_T0_E_clISt17integral_constantIbLb1EESY_EEDaST_SU_EUlST_E_NS1_11comp_targetILNS1_3genE3ELNS1_11target_archE908ELNS1_3gpuE7ELNS1_3repE0EEENS1_30default_config_static_selectorELNS0_4arch9wavefront6targetE0EEEvT1_, .Lfunc_end386-_ZN7rocprim17ROCPRIM_400000_NS6detail17trampoline_kernelINS0_14default_configENS1_20scan_config_selectorIN3c104HalfEEEZZNS1_9scan_implILNS1_25lookback_scan_determinismE0ELb0ELb0ES3_PKS6_PS6_S6_ZZZN2at6native31launch_logcumsumexp_cuda_kernelERKNSD_10TensorBaseESH_lENKUlvE_clEvENKUlvE3_clEvEUlS6_S6_E_S6_EEDaPvRmT3_T4_T5_mT6_P12ihipStream_tbENKUlT_T0_E_clISt17integral_constantIbLb1EESY_EEDaST_SU_EUlST_E_NS1_11comp_targetILNS1_3genE3ELNS1_11target_archE908ELNS1_3gpuE7ELNS1_3repE0EEENS1_30default_config_static_selectorELNS0_4arch9wavefront6targetE0EEEvT1_
                                        ; -- End function
	.section	.AMDGPU.csdata,"",@progbits
; Kernel info:
; codeLenInByte = 0
; NumSgprs: 0
; NumVgprs: 0
; ScratchSize: 0
; MemoryBound: 0
; FloatMode: 240
; IeeeMode: 1
; LDSByteSize: 0 bytes/workgroup (compile time only)
; SGPRBlocks: 0
; VGPRBlocks: 0
; NumSGPRsForWavesPerEU: 1
; NumVGPRsForWavesPerEU: 1
; Occupancy: 16
; WaveLimiterHint : 0
; COMPUTE_PGM_RSRC2:SCRATCH_EN: 0
; COMPUTE_PGM_RSRC2:USER_SGPR: 15
; COMPUTE_PGM_RSRC2:TRAP_HANDLER: 0
; COMPUTE_PGM_RSRC2:TGID_X_EN: 1
; COMPUTE_PGM_RSRC2:TGID_Y_EN: 0
; COMPUTE_PGM_RSRC2:TGID_Z_EN: 0
; COMPUTE_PGM_RSRC2:TIDIG_COMP_CNT: 0
	.section	.text._ZN7rocprim17ROCPRIM_400000_NS6detail17trampoline_kernelINS0_14default_configENS1_20scan_config_selectorIN3c104HalfEEEZZNS1_9scan_implILNS1_25lookback_scan_determinismE0ELb0ELb0ES3_PKS6_PS6_S6_ZZZN2at6native31launch_logcumsumexp_cuda_kernelERKNSD_10TensorBaseESH_lENKUlvE_clEvENKUlvE3_clEvEUlS6_S6_E_S6_EEDaPvRmT3_T4_T5_mT6_P12ihipStream_tbENKUlT_T0_E_clISt17integral_constantIbLb1EESY_EEDaST_SU_EUlST_E_NS1_11comp_targetILNS1_3genE2ELNS1_11target_archE906ELNS1_3gpuE6ELNS1_3repE0EEENS1_30default_config_static_selectorELNS0_4arch9wavefront6targetE0EEEvT1_,"axG",@progbits,_ZN7rocprim17ROCPRIM_400000_NS6detail17trampoline_kernelINS0_14default_configENS1_20scan_config_selectorIN3c104HalfEEEZZNS1_9scan_implILNS1_25lookback_scan_determinismE0ELb0ELb0ES3_PKS6_PS6_S6_ZZZN2at6native31launch_logcumsumexp_cuda_kernelERKNSD_10TensorBaseESH_lENKUlvE_clEvENKUlvE3_clEvEUlS6_S6_E_S6_EEDaPvRmT3_T4_T5_mT6_P12ihipStream_tbENKUlT_T0_E_clISt17integral_constantIbLb1EESY_EEDaST_SU_EUlST_E_NS1_11comp_targetILNS1_3genE2ELNS1_11target_archE906ELNS1_3gpuE6ELNS1_3repE0EEENS1_30default_config_static_selectorELNS0_4arch9wavefront6targetE0EEEvT1_,comdat
	.globl	_ZN7rocprim17ROCPRIM_400000_NS6detail17trampoline_kernelINS0_14default_configENS1_20scan_config_selectorIN3c104HalfEEEZZNS1_9scan_implILNS1_25lookback_scan_determinismE0ELb0ELb0ES3_PKS6_PS6_S6_ZZZN2at6native31launch_logcumsumexp_cuda_kernelERKNSD_10TensorBaseESH_lENKUlvE_clEvENKUlvE3_clEvEUlS6_S6_E_S6_EEDaPvRmT3_T4_T5_mT6_P12ihipStream_tbENKUlT_T0_E_clISt17integral_constantIbLb1EESY_EEDaST_SU_EUlST_E_NS1_11comp_targetILNS1_3genE2ELNS1_11target_archE906ELNS1_3gpuE6ELNS1_3repE0EEENS1_30default_config_static_selectorELNS0_4arch9wavefront6targetE0EEEvT1_ ; -- Begin function _ZN7rocprim17ROCPRIM_400000_NS6detail17trampoline_kernelINS0_14default_configENS1_20scan_config_selectorIN3c104HalfEEEZZNS1_9scan_implILNS1_25lookback_scan_determinismE0ELb0ELb0ES3_PKS6_PS6_S6_ZZZN2at6native31launch_logcumsumexp_cuda_kernelERKNSD_10TensorBaseESH_lENKUlvE_clEvENKUlvE3_clEvEUlS6_S6_E_S6_EEDaPvRmT3_T4_T5_mT6_P12ihipStream_tbENKUlT_T0_E_clISt17integral_constantIbLb1EESY_EEDaST_SU_EUlST_E_NS1_11comp_targetILNS1_3genE2ELNS1_11target_archE906ELNS1_3gpuE6ELNS1_3repE0EEENS1_30default_config_static_selectorELNS0_4arch9wavefront6targetE0EEEvT1_
	.p2align	8
	.type	_ZN7rocprim17ROCPRIM_400000_NS6detail17trampoline_kernelINS0_14default_configENS1_20scan_config_selectorIN3c104HalfEEEZZNS1_9scan_implILNS1_25lookback_scan_determinismE0ELb0ELb0ES3_PKS6_PS6_S6_ZZZN2at6native31launch_logcumsumexp_cuda_kernelERKNSD_10TensorBaseESH_lENKUlvE_clEvENKUlvE3_clEvEUlS6_S6_E_S6_EEDaPvRmT3_T4_T5_mT6_P12ihipStream_tbENKUlT_T0_E_clISt17integral_constantIbLb1EESY_EEDaST_SU_EUlST_E_NS1_11comp_targetILNS1_3genE2ELNS1_11target_archE906ELNS1_3gpuE6ELNS1_3repE0EEENS1_30default_config_static_selectorELNS0_4arch9wavefront6targetE0EEEvT1_,@function
_ZN7rocprim17ROCPRIM_400000_NS6detail17trampoline_kernelINS0_14default_configENS1_20scan_config_selectorIN3c104HalfEEEZZNS1_9scan_implILNS1_25lookback_scan_determinismE0ELb0ELb0ES3_PKS6_PS6_S6_ZZZN2at6native31launch_logcumsumexp_cuda_kernelERKNSD_10TensorBaseESH_lENKUlvE_clEvENKUlvE3_clEvEUlS6_S6_E_S6_EEDaPvRmT3_T4_T5_mT6_P12ihipStream_tbENKUlT_T0_E_clISt17integral_constantIbLb1EESY_EEDaST_SU_EUlST_E_NS1_11comp_targetILNS1_3genE2ELNS1_11target_archE906ELNS1_3gpuE6ELNS1_3repE0EEENS1_30default_config_static_selectorELNS0_4arch9wavefront6targetE0EEEvT1_: ; @_ZN7rocprim17ROCPRIM_400000_NS6detail17trampoline_kernelINS0_14default_configENS1_20scan_config_selectorIN3c104HalfEEEZZNS1_9scan_implILNS1_25lookback_scan_determinismE0ELb0ELb0ES3_PKS6_PS6_S6_ZZZN2at6native31launch_logcumsumexp_cuda_kernelERKNSD_10TensorBaseESH_lENKUlvE_clEvENKUlvE3_clEvEUlS6_S6_E_S6_EEDaPvRmT3_T4_T5_mT6_P12ihipStream_tbENKUlT_T0_E_clISt17integral_constantIbLb1EESY_EEDaST_SU_EUlST_E_NS1_11comp_targetILNS1_3genE2ELNS1_11target_archE906ELNS1_3gpuE6ELNS1_3repE0EEENS1_30default_config_static_selectorELNS0_4arch9wavefront6targetE0EEEvT1_
; %bb.0:
	.section	.rodata,"a",@progbits
	.p2align	6, 0x0
	.amdhsa_kernel _ZN7rocprim17ROCPRIM_400000_NS6detail17trampoline_kernelINS0_14default_configENS1_20scan_config_selectorIN3c104HalfEEEZZNS1_9scan_implILNS1_25lookback_scan_determinismE0ELb0ELb0ES3_PKS6_PS6_S6_ZZZN2at6native31launch_logcumsumexp_cuda_kernelERKNSD_10TensorBaseESH_lENKUlvE_clEvENKUlvE3_clEvEUlS6_S6_E_S6_EEDaPvRmT3_T4_T5_mT6_P12ihipStream_tbENKUlT_T0_E_clISt17integral_constantIbLb1EESY_EEDaST_SU_EUlST_E_NS1_11comp_targetILNS1_3genE2ELNS1_11target_archE906ELNS1_3gpuE6ELNS1_3repE0EEENS1_30default_config_static_selectorELNS0_4arch9wavefront6targetE0EEEvT1_
		.amdhsa_group_segment_fixed_size 0
		.amdhsa_private_segment_fixed_size 0
		.amdhsa_kernarg_size 96
		.amdhsa_user_sgpr_count 15
		.amdhsa_user_sgpr_dispatch_ptr 0
		.amdhsa_user_sgpr_queue_ptr 0
		.amdhsa_user_sgpr_kernarg_segment_ptr 1
		.amdhsa_user_sgpr_dispatch_id 0
		.amdhsa_user_sgpr_private_segment_size 0
		.amdhsa_wavefront_size32 1
		.amdhsa_uses_dynamic_stack 0
		.amdhsa_enable_private_segment 0
		.amdhsa_system_sgpr_workgroup_id_x 1
		.amdhsa_system_sgpr_workgroup_id_y 0
		.amdhsa_system_sgpr_workgroup_id_z 0
		.amdhsa_system_sgpr_workgroup_info 0
		.amdhsa_system_vgpr_workitem_id 0
		.amdhsa_next_free_vgpr 1
		.amdhsa_next_free_sgpr 1
		.amdhsa_reserve_vcc 0
		.amdhsa_float_round_mode_32 0
		.amdhsa_float_round_mode_16_64 0
		.amdhsa_float_denorm_mode_32 3
		.amdhsa_float_denorm_mode_16_64 3
		.amdhsa_dx10_clamp 1
		.amdhsa_ieee_mode 1
		.amdhsa_fp16_overflow 0
		.amdhsa_workgroup_processor_mode 1
		.amdhsa_memory_ordered 1
		.amdhsa_forward_progress 0
		.amdhsa_shared_vgpr_count 0
		.amdhsa_exception_fp_ieee_invalid_op 0
		.amdhsa_exception_fp_denorm_src 0
		.amdhsa_exception_fp_ieee_div_zero 0
		.amdhsa_exception_fp_ieee_overflow 0
		.amdhsa_exception_fp_ieee_underflow 0
		.amdhsa_exception_fp_ieee_inexact 0
		.amdhsa_exception_int_div_zero 0
	.end_amdhsa_kernel
	.section	.text._ZN7rocprim17ROCPRIM_400000_NS6detail17trampoline_kernelINS0_14default_configENS1_20scan_config_selectorIN3c104HalfEEEZZNS1_9scan_implILNS1_25lookback_scan_determinismE0ELb0ELb0ES3_PKS6_PS6_S6_ZZZN2at6native31launch_logcumsumexp_cuda_kernelERKNSD_10TensorBaseESH_lENKUlvE_clEvENKUlvE3_clEvEUlS6_S6_E_S6_EEDaPvRmT3_T4_T5_mT6_P12ihipStream_tbENKUlT_T0_E_clISt17integral_constantIbLb1EESY_EEDaST_SU_EUlST_E_NS1_11comp_targetILNS1_3genE2ELNS1_11target_archE906ELNS1_3gpuE6ELNS1_3repE0EEENS1_30default_config_static_selectorELNS0_4arch9wavefront6targetE0EEEvT1_,"axG",@progbits,_ZN7rocprim17ROCPRIM_400000_NS6detail17trampoline_kernelINS0_14default_configENS1_20scan_config_selectorIN3c104HalfEEEZZNS1_9scan_implILNS1_25lookback_scan_determinismE0ELb0ELb0ES3_PKS6_PS6_S6_ZZZN2at6native31launch_logcumsumexp_cuda_kernelERKNSD_10TensorBaseESH_lENKUlvE_clEvENKUlvE3_clEvEUlS6_S6_E_S6_EEDaPvRmT3_T4_T5_mT6_P12ihipStream_tbENKUlT_T0_E_clISt17integral_constantIbLb1EESY_EEDaST_SU_EUlST_E_NS1_11comp_targetILNS1_3genE2ELNS1_11target_archE906ELNS1_3gpuE6ELNS1_3repE0EEENS1_30default_config_static_selectorELNS0_4arch9wavefront6targetE0EEEvT1_,comdat
.Lfunc_end387:
	.size	_ZN7rocprim17ROCPRIM_400000_NS6detail17trampoline_kernelINS0_14default_configENS1_20scan_config_selectorIN3c104HalfEEEZZNS1_9scan_implILNS1_25lookback_scan_determinismE0ELb0ELb0ES3_PKS6_PS6_S6_ZZZN2at6native31launch_logcumsumexp_cuda_kernelERKNSD_10TensorBaseESH_lENKUlvE_clEvENKUlvE3_clEvEUlS6_S6_E_S6_EEDaPvRmT3_T4_T5_mT6_P12ihipStream_tbENKUlT_T0_E_clISt17integral_constantIbLb1EESY_EEDaST_SU_EUlST_E_NS1_11comp_targetILNS1_3genE2ELNS1_11target_archE906ELNS1_3gpuE6ELNS1_3repE0EEENS1_30default_config_static_selectorELNS0_4arch9wavefront6targetE0EEEvT1_, .Lfunc_end387-_ZN7rocprim17ROCPRIM_400000_NS6detail17trampoline_kernelINS0_14default_configENS1_20scan_config_selectorIN3c104HalfEEEZZNS1_9scan_implILNS1_25lookback_scan_determinismE0ELb0ELb0ES3_PKS6_PS6_S6_ZZZN2at6native31launch_logcumsumexp_cuda_kernelERKNSD_10TensorBaseESH_lENKUlvE_clEvENKUlvE3_clEvEUlS6_S6_E_S6_EEDaPvRmT3_T4_T5_mT6_P12ihipStream_tbENKUlT_T0_E_clISt17integral_constantIbLb1EESY_EEDaST_SU_EUlST_E_NS1_11comp_targetILNS1_3genE2ELNS1_11target_archE906ELNS1_3gpuE6ELNS1_3repE0EEENS1_30default_config_static_selectorELNS0_4arch9wavefront6targetE0EEEvT1_
                                        ; -- End function
	.section	.AMDGPU.csdata,"",@progbits
; Kernel info:
; codeLenInByte = 0
; NumSgprs: 0
; NumVgprs: 0
; ScratchSize: 0
; MemoryBound: 0
; FloatMode: 240
; IeeeMode: 1
; LDSByteSize: 0 bytes/workgroup (compile time only)
; SGPRBlocks: 0
; VGPRBlocks: 0
; NumSGPRsForWavesPerEU: 1
; NumVGPRsForWavesPerEU: 1
; Occupancy: 16
; WaveLimiterHint : 0
; COMPUTE_PGM_RSRC2:SCRATCH_EN: 0
; COMPUTE_PGM_RSRC2:USER_SGPR: 15
; COMPUTE_PGM_RSRC2:TRAP_HANDLER: 0
; COMPUTE_PGM_RSRC2:TGID_X_EN: 1
; COMPUTE_PGM_RSRC2:TGID_Y_EN: 0
; COMPUTE_PGM_RSRC2:TGID_Z_EN: 0
; COMPUTE_PGM_RSRC2:TIDIG_COMP_CNT: 0
	.section	.text._ZN7rocprim17ROCPRIM_400000_NS6detail17trampoline_kernelINS0_14default_configENS1_20scan_config_selectorIN3c104HalfEEEZZNS1_9scan_implILNS1_25lookback_scan_determinismE0ELb0ELb0ES3_PKS6_PS6_S6_ZZZN2at6native31launch_logcumsumexp_cuda_kernelERKNSD_10TensorBaseESH_lENKUlvE_clEvENKUlvE3_clEvEUlS6_S6_E_S6_EEDaPvRmT3_T4_T5_mT6_P12ihipStream_tbENKUlT_T0_E_clISt17integral_constantIbLb1EESY_EEDaST_SU_EUlST_E_NS1_11comp_targetILNS1_3genE10ELNS1_11target_archE1201ELNS1_3gpuE5ELNS1_3repE0EEENS1_30default_config_static_selectorELNS0_4arch9wavefront6targetE0EEEvT1_,"axG",@progbits,_ZN7rocprim17ROCPRIM_400000_NS6detail17trampoline_kernelINS0_14default_configENS1_20scan_config_selectorIN3c104HalfEEEZZNS1_9scan_implILNS1_25lookback_scan_determinismE0ELb0ELb0ES3_PKS6_PS6_S6_ZZZN2at6native31launch_logcumsumexp_cuda_kernelERKNSD_10TensorBaseESH_lENKUlvE_clEvENKUlvE3_clEvEUlS6_S6_E_S6_EEDaPvRmT3_T4_T5_mT6_P12ihipStream_tbENKUlT_T0_E_clISt17integral_constantIbLb1EESY_EEDaST_SU_EUlST_E_NS1_11comp_targetILNS1_3genE10ELNS1_11target_archE1201ELNS1_3gpuE5ELNS1_3repE0EEENS1_30default_config_static_selectorELNS0_4arch9wavefront6targetE0EEEvT1_,comdat
	.globl	_ZN7rocprim17ROCPRIM_400000_NS6detail17trampoline_kernelINS0_14default_configENS1_20scan_config_selectorIN3c104HalfEEEZZNS1_9scan_implILNS1_25lookback_scan_determinismE0ELb0ELb0ES3_PKS6_PS6_S6_ZZZN2at6native31launch_logcumsumexp_cuda_kernelERKNSD_10TensorBaseESH_lENKUlvE_clEvENKUlvE3_clEvEUlS6_S6_E_S6_EEDaPvRmT3_T4_T5_mT6_P12ihipStream_tbENKUlT_T0_E_clISt17integral_constantIbLb1EESY_EEDaST_SU_EUlST_E_NS1_11comp_targetILNS1_3genE10ELNS1_11target_archE1201ELNS1_3gpuE5ELNS1_3repE0EEENS1_30default_config_static_selectorELNS0_4arch9wavefront6targetE0EEEvT1_ ; -- Begin function _ZN7rocprim17ROCPRIM_400000_NS6detail17trampoline_kernelINS0_14default_configENS1_20scan_config_selectorIN3c104HalfEEEZZNS1_9scan_implILNS1_25lookback_scan_determinismE0ELb0ELb0ES3_PKS6_PS6_S6_ZZZN2at6native31launch_logcumsumexp_cuda_kernelERKNSD_10TensorBaseESH_lENKUlvE_clEvENKUlvE3_clEvEUlS6_S6_E_S6_EEDaPvRmT3_T4_T5_mT6_P12ihipStream_tbENKUlT_T0_E_clISt17integral_constantIbLb1EESY_EEDaST_SU_EUlST_E_NS1_11comp_targetILNS1_3genE10ELNS1_11target_archE1201ELNS1_3gpuE5ELNS1_3repE0EEENS1_30default_config_static_selectorELNS0_4arch9wavefront6targetE0EEEvT1_
	.p2align	8
	.type	_ZN7rocprim17ROCPRIM_400000_NS6detail17trampoline_kernelINS0_14default_configENS1_20scan_config_selectorIN3c104HalfEEEZZNS1_9scan_implILNS1_25lookback_scan_determinismE0ELb0ELb0ES3_PKS6_PS6_S6_ZZZN2at6native31launch_logcumsumexp_cuda_kernelERKNSD_10TensorBaseESH_lENKUlvE_clEvENKUlvE3_clEvEUlS6_S6_E_S6_EEDaPvRmT3_T4_T5_mT6_P12ihipStream_tbENKUlT_T0_E_clISt17integral_constantIbLb1EESY_EEDaST_SU_EUlST_E_NS1_11comp_targetILNS1_3genE10ELNS1_11target_archE1201ELNS1_3gpuE5ELNS1_3repE0EEENS1_30default_config_static_selectorELNS0_4arch9wavefront6targetE0EEEvT1_,@function
_ZN7rocprim17ROCPRIM_400000_NS6detail17trampoline_kernelINS0_14default_configENS1_20scan_config_selectorIN3c104HalfEEEZZNS1_9scan_implILNS1_25lookback_scan_determinismE0ELb0ELb0ES3_PKS6_PS6_S6_ZZZN2at6native31launch_logcumsumexp_cuda_kernelERKNSD_10TensorBaseESH_lENKUlvE_clEvENKUlvE3_clEvEUlS6_S6_E_S6_EEDaPvRmT3_T4_T5_mT6_P12ihipStream_tbENKUlT_T0_E_clISt17integral_constantIbLb1EESY_EEDaST_SU_EUlST_E_NS1_11comp_targetILNS1_3genE10ELNS1_11target_archE1201ELNS1_3gpuE5ELNS1_3repE0EEENS1_30default_config_static_selectorELNS0_4arch9wavefront6targetE0EEEvT1_: ; @_ZN7rocprim17ROCPRIM_400000_NS6detail17trampoline_kernelINS0_14default_configENS1_20scan_config_selectorIN3c104HalfEEEZZNS1_9scan_implILNS1_25lookback_scan_determinismE0ELb0ELb0ES3_PKS6_PS6_S6_ZZZN2at6native31launch_logcumsumexp_cuda_kernelERKNSD_10TensorBaseESH_lENKUlvE_clEvENKUlvE3_clEvEUlS6_S6_E_S6_EEDaPvRmT3_T4_T5_mT6_P12ihipStream_tbENKUlT_T0_E_clISt17integral_constantIbLb1EESY_EEDaST_SU_EUlST_E_NS1_11comp_targetILNS1_3genE10ELNS1_11target_archE1201ELNS1_3gpuE5ELNS1_3repE0EEENS1_30default_config_static_selectorELNS0_4arch9wavefront6targetE0EEEvT1_
; %bb.0:
	.section	.rodata,"a",@progbits
	.p2align	6, 0x0
	.amdhsa_kernel _ZN7rocprim17ROCPRIM_400000_NS6detail17trampoline_kernelINS0_14default_configENS1_20scan_config_selectorIN3c104HalfEEEZZNS1_9scan_implILNS1_25lookback_scan_determinismE0ELb0ELb0ES3_PKS6_PS6_S6_ZZZN2at6native31launch_logcumsumexp_cuda_kernelERKNSD_10TensorBaseESH_lENKUlvE_clEvENKUlvE3_clEvEUlS6_S6_E_S6_EEDaPvRmT3_T4_T5_mT6_P12ihipStream_tbENKUlT_T0_E_clISt17integral_constantIbLb1EESY_EEDaST_SU_EUlST_E_NS1_11comp_targetILNS1_3genE10ELNS1_11target_archE1201ELNS1_3gpuE5ELNS1_3repE0EEENS1_30default_config_static_selectorELNS0_4arch9wavefront6targetE0EEEvT1_
		.amdhsa_group_segment_fixed_size 0
		.amdhsa_private_segment_fixed_size 0
		.amdhsa_kernarg_size 96
		.amdhsa_user_sgpr_count 15
		.amdhsa_user_sgpr_dispatch_ptr 0
		.amdhsa_user_sgpr_queue_ptr 0
		.amdhsa_user_sgpr_kernarg_segment_ptr 1
		.amdhsa_user_sgpr_dispatch_id 0
		.amdhsa_user_sgpr_private_segment_size 0
		.amdhsa_wavefront_size32 1
		.amdhsa_uses_dynamic_stack 0
		.amdhsa_enable_private_segment 0
		.amdhsa_system_sgpr_workgroup_id_x 1
		.amdhsa_system_sgpr_workgroup_id_y 0
		.amdhsa_system_sgpr_workgroup_id_z 0
		.amdhsa_system_sgpr_workgroup_info 0
		.amdhsa_system_vgpr_workitem_id 0
		.amdhsa_next_free_vgpr 1
		.amdhsa_next_free_sgpr 1
		.amdhsa_reserve_vcc 0
		.amdhsa_float_round_mode_32 0
		.amdhsa_float_round_mode_16_64 0
		.amdhsa_float_denorm_mode_32 3
		.amdhsa_float_denorm_mode_16_64 3
		.amdhsa_dx10_clamp 1
		.amdhsa_ieee_mode 1
		.amdhsa_fp16_overflow 0
		.amdhsa_workgroup_processor_mode 1
		.amdhsa_memory_ordered 1
		.amdhsa_forward_progress 0
		.amdhsa_shared_vgpr_count 0
		.amdhsa_exception_fp_ieee_invalid_op 0
		.amdhsa_exception_fp_denorm_src 0
		.amdhsa_exception_fp_ieee_div_zero 0
		.amdhsa_exception_fp_ieee_overflow 0
		.amdhsa_exception_fp_ieee_underflow 0
		.amdhsa_exception_fp_ieee_inexact 0
		.amdhsa_exception_int_div_zero 0
	.end_amdhsa_kernel
	.section	.text._ZN7rocprim17ROCPRIM_400000_NS6detail17trampoline_kernelINS0_14default_configENS1_20scan_config_selectorIN3c104HalfEEEZZNS1_9scan_implILNS1_25lookback_scan_determinismE0ELb0ELb0ES3_PKS6_PS6_S6_ZZZN2at6native31launch_logcumsumexp_cuda_kernelERKNSD_10TensorBaseESH_lENKUlvE_clEvENKUlvE3_clEvEUlS6_S6_E_S6_EEDaPvRmT3_T4_T5_mT6_P12ihipStream_tbENKUlT_T0_E_clISt17integral_constantIbLb1EESY_EEDaST_SU_EUlST_E_NS1_11comp_targetILNS1_3genE10ELNS1_11target_archE1201ELNS1_3gpuE5ELNS1_3repE0EEENS1_30default_config_static_selectorELNS0_4arch9wavefront6targetE0EEEvT1_,"axG",@progbits,_ZN7rocprim17ROCPRIM_400000_NS6detail17trampoline_kernelINS0_14default_configENS1_20scan_config_selectorIN3c104HalfEEEZZNS1_9scan_implILNS1_25lookback_scan_determinismE0ELb0ELb0ES3_PKS6_PS6_S6_ZZZN2at6native31launch_logcumsumexp_cuda_kernelERKNSD_10TensorBaseESH_lENKUlvE_clEvENKUlvE3_clEvEUlS6_S6_E_S6_EEDaPvRmT3_T4_T5_mT6_P12ihipStream_tbENKUlT_T0_E_clISt17integral_constantIbLb1EESY_EEDaST_SU_EUlST_E_NS1_11comp_targetILNS1_3genE10ELNS1_11target_archE1201ELNS1_3gpuE5ELNS1_3repE0EEENS1_30default_config_static_selectorELNS0_4arch9wavefront6targetE0EEEvT1_,comdat
.Lfunc_end388:
	.size	_ZN7rocprim17ROCPRIM_400000_NS6detail17trampoline_kernelINS0_14default_configENS1_20scan_config_selectorIN3c104HalfEEEZZNS1_9scan_implILNS1_25lookback_scan_determinismE0ELb0ELb0ES3_PKS6_PS6_S6_ZZZN2at6native31launch_logcumsumexp_cuda_kernelERKNSD_10TensorBaseESH_lENKUlvE_clEvENKUlvE3_clEvEUlS6_S6_E_S6_EEDaPvRmT3_T4_T5_mT6_P12ihipStream_tbENKUlT_T0_E_clISt17integral_constantIbLb1EESY_EEDaST_SU_EUlST_E_NS1_11comp_targetILNS1_3genE10ELNS1_11target_archE1201ELNS1_3gpuE5ELNS1_3repE0EEENS1_30default_config_static_selectorELNS0_4arch9wavefront6targetE0EEEvT1_, .Lfunc_end388-_ZN7rocprim17ROCPRIM_400000_NS6detail17trampoline_kernelINS0_14default_configENS1_20scan_config_selectorIN3c104HalfEEEZZNS1_9scan_implILNS1_25lookback_scan_determinismE0ELb0ELb0ES3_PKS6_PS6_S6_ZZZN2at6native31launch_logcumsumexp_cuda_kernelERKNSD_10TensorBaseESH_lENKUlvE_clEvENKUlvE3_clEvEUlS6_S6_E_S6_EEDaPvRmT3_T4_T5_mT6_P12ihipStream_tbENKUlT_T0_E_clISt17integral_constantIbLb1EESY_EEDaST_SU_EUlST_E_NS1_11comp_targetILNS1_3genE10ELNS1_11target_archE1201ELNS1_3gpuE5ELNS1_3repE0EEENS1_30default_config_static_selectorELNS0_4arch9wavefront6targetE0EEEvT1_
                                        ; -- End function
	.section	.AMDGPU.csdata,"",@progbits
; Kernel info:
; codeLenInByte = 0
; NumSgprs: 0
; NumVgprs: 0
; ScratchSize: 0
; MemoryBound: 0
; FloatMode: 240
; IeeeMode: 1
; LDSByteSize: 0 bytes/workgroup (compile time only)
; SGPRBlocks: 0
; VGPRBlocks: 0
; NumSGPRsForWavesPerEU: 1
; NumVGPRsForWavesPerEU: 1
; Occupancy: 16
; WaveLimiterHint : 0
; COMPUTE_PGM_RSRC2:SCRATCH_EN: 0
; COMPUTE_PGM_RSRC2:USER_SGPR: 15
; COMPUTE_PGM_RSRC2:TRAP_HANDLER: 0
; COMPUTE_PGM_RSRC2:TGID_X_EN: 1
; COMPUTE_PGM_RSRC2:TGID_Y_EN: 0
; COMPUTE_PGM_RSRC2:TGID_Z_EN: 0
; COMPUTE_PGM_RSRC2:TIDIG_COMP_CNT: 0
	.section	.text._ZN7rocprim17ROCPRIM_400000_NS6detail17trampoline_kernelINS0_14default_configENS1_20scan_config_selectorIN3c104HalfEEEZZNS1_9scan_implILNS1_25lookback_scan_determinismE0ELb0ELb0ES3_PKS6_PS6_S6_ZZZN2at6native31launch_logcumsumexp_cuda_kernelERKNSD_10TensorBaseESH_lENKUlvE_clEvENKUlvE3_clEvEUlS6_S6_E_S6_EEDaPvRmT3_T4_T5_mT6_P12ihipStream_tbENKUlT_T0_E_clISt17integral_constantIbLb1EESY_EEDaST_SU_EUlST_E_NS1_11comp_targetILNS1_3genE10ELNS1_11target_archE1200ELNS1_3gpuE4ELNS1_3repE0EEENS1_30default_config_static_selectorELNS0_4arch9wavefront6targetE0EEEvT1_,"axG",@progbits,_ZN7rocprim17ROCPRIM_400000_NS6detail17trampoline_kernelINS0_14default_configENS1_20scan_config_selectorIN3c104HalfEEEZZNS1_9scan_implILNS1_25lookback_scan_determinismE0ELb0ELb0ES3_PKS6_PS6_S6_ZZZN2at6native31launch_logcumsumexp_cuda_kernelERKNSD_10TensorBaseESH_lENKUlvE_clEvENKUlvE3_clEvEUlS6_S6_E_S6_EEDaPvRmT3_T4_T5_mT6_P12ihipStream_tbENKUlT_T0_E_clISt17integral_constantIbLb1EESY_EEDaST_SU_EUlST_E_NS1_11comp_targetILNS1_3genE10ELNS1_11target_archE1200ELNS1_3gpuE4ELNS1_3repE0EEENS1_30default_config_static_selectorELNS0_4arch9wavefront6targetE0EEEvT1_,comdat
	.globl	_ZN7rocprim17ROCPRIM_400000_NS6detail17trampoline_kernelINS0_14default_configENS1_20scan_config_selectorIN3c104HalfEEEZZNS1_9scan_implILNS1_25lookback_scan_determinismE0ELb0ELb0ES3_PKS6_PS6_S6_ZZZN2at6native31launch_logcumsumexp_cuda_kernelERKNSD_10TensorBaseESH_lENKUlvE_clEvENKUlvE3_clEvEUlS6_S6_E_S6_EEDaPvRmT3_T4_T5_mT6_P12ihipStream_tbENKUlT_T0_E_clISt17integral_constantIbLb1EESY_EEDaST_SU_EUlST_E_NS1_11comp_targetILNS1_3genE10ELNS1_11target_archE1200ELNS1_3gpuE4ELNS1_3repE0EEENS1_30default_config_static_selectorELNS0_4arch9wavefront6targetE0EEEvT1_ ; -- Begin function _ZN7rocprim17ROCPRIM_400000_NS6detail17trampoline_kernelINS0_14default_configENS1_20scan_config_selectorIN3c104HalfEEEZZNS1_9scan_implILNS1_25lookback_scan_determinismE0ELb0ELb0ES3_PKS6_PS6_S6_ZZZN2at6native31launch_logcumsumexp_cuda_kernelERKNSD_10TensorBaseESH_lENKUlvE_clEvENKUlvE3_clEvEUlS6_S6_E_S6_EEDaPvRmT3_T4_T5_mT6_P12ihipStream_tbENKUlT_T0_E_clISt17integral_constantIbLb1EESY_EEDaST_SU_EUlST_E_NS1_11comp_targetILNS1_3genE10ELNS1_11target_archE1200ELNS1_3gpuE4ELNS1_3repE0EEENS1_30default_config_static_selectorELNS0_4arch9wavefront6targetE0EEEvT1_
	.p2align	8
	.type	_ZN7rocprim17ROCPRIM_400000_NS6detail17trampoline_kernelINS0_14default_configENS1_20scan_config_selectorIN3c104HalfEEEZZNS1_9scan_implILNS1_25lookback_scan_determinismE0ELb0ELb0ES3_PKS6_PS6_S6_ZZZN2at6native31launch_logcumsumexp_cuda_kernelERKNSD_10TensorBaseESH_lENKUlvE_clEvENKUlvE3_clEvEUlS6_S6_E_S6_EEDaPvRmT3_T4_T5_mT6_P12ihipStream_tbENKUlT_T0_E_clISt17integral_constantIbLb1EESY_EEDaST_SU_EUlST_E_NS1_11comp_targetILNS1_3genE10ELNS1_11target_archE1200ELNS1_3gpuE4ELNS1_3repE0EEENS1_30default_config_static_selectorELNS0_4arch9wavefront6targetE0EEEvT1_,@function
_ZN7rocprim17ROCPRIM_400000_NS6detail17trampoline_kernelINS0_14default_configENS1_20scan_config_selectorIN3c104HalfEEEZZNS1_9scan_implILNS1_25lookback_scan_determinismE0ELb0ELb0ES3_PKS6_PS6_S6_ZZZN2at6native31launch_logcumsumexp_cuda_kernelERKNSD_10TensorBaseESH_lENKUlvE_clEvENKUlvE3_clEvEUlS6_S6_E_S6_EEDaPvRmT3_T4_T5_mT6_P12ihipStream_tbENKUlT_T0_E_clISt17integral_constantIbLb1EESY_EEDaST_SU_EUlST_E_NS1_11comp_targetILNS1_3genE10ELNS1_11target_archE1200ELNS1_3gpuE4ELNS1_3repE0EEENS1_30default_config_static_selectorELNS0_4arch9wavefront6targetE0EEEvT1_: ; @_ZN7rocprim17ROCPRIM_400000_NS6detail17trampoline_kernelINS0_14default_configENS1_20scan_config_selectorIN3c104HalfEEEZZNS1_9scan_implILNS1_25lookback_scan_determinismE0ELb0ELb0ES3_PKS6_PS6_S6_ZZZN2at6native31launch_logcumsumexp_cuda_kernelERKNSD_10TensorBaseESH_lENKUlvE_clEvENKUlvE3_clEvEUlS6_S6_E_S6_EEDaPvRmT3_T4_T5_mT6_P12ihipStream_tbENKUlT_T0_E_clISt17integral_constantIbLb1EESY_EEDaST_SU_EUlST_E_NS1_11comp_targetILNS1_3genE10ELNS1_11target_archE1200ELNS1_3gpuE4ELNS1_3repE0EEENS1_30default_config_static_selectorELNS0_4arch9wavefront6targetE0EEEvT1_
; %bb.0:
	.section	.rodata,"a",@progbits
	.p2align	6, 0x0
	.amdhsa_kernel _ZN7rocprim17ROCPRIM_400000_NS6detail17trampoline_kernelINS0_14default_configENS1_20scan_config_selectorIN3c104HalfEEEZZNS1_9scan_implILNS1_25lookback_scan_determinismE0ELb0ELb0ES3_PKS6_PS6_S6_ZZZN2at6native31launch_logcumsumexp_cuda_kernelERKNSD_10TensorBaseESH_lENKUlvE_clEvENKUlvE3_clEvEUlS6_S6_E_S6_EEDaPvRmT3_T4_T5_mT6_P12ihipStream_tbENKUlT_T0_E_clISt17integral_constantIbLb1EESY_EEDaST_SU_EUlST_E_NS1_11comp_targetILNS1_3genE10ELNS1_11target_archE1200ELNS1_3gpuE4ELNS1_3repE0EEENS1_30default_config_static_selectorELNS0_4arch9wavefront6targetE0EEEvT1_
		.amdhsa_group_segment_fixed_size 0
		.amdhsa_private_segment_fixed_size 0
		.amdhsa_kernarg_size 96
		.amdhsa_user_sgpr_count 15
		.amdhsa_user_sgpr_dispatch_ptr 0
		.amdhsa_user_sgpr_queue_ptr 0
		.amdhsa_user_sgpr_kernarg_segment_ptr 1
		.amdhsa_user_sgpr_dispatch_id 0
		.amdhsa_user_sgpr_private_segment_size 0
		.amdhsa_wavefront_size32 1
		.amdhsa_uses_dynamic_stack 0
		.amdhsa_enable_private_segment 0
		.amdhsa_system_sgpr_workgroup_id_x 1
		.amdhsa_system_sgpr_workgroup_id_y 0
		.amdhsa_system_sgpr_workgroup_id_z 0
		.amdhsa_system_sgpr_workgroup_info 0
		.amdhsa_system_vgpr_workitem_id 0
		.amdhsa_next_free_vgpr 1
		.amdhsa_next_free_sgpr 1
		.amdhsa_reserve_vcc 0
		.amdhsa_float_round_mode_32 0
		.amdhsa_float_round_mode_16_64 0
		.amdhsa_float_denorm_mode_32 3
		.amdhsa_float_denorm_mode_16_64 3
		.amdhsa_dx10_clamp 1
		.amdhsa_ieee_mode 1
		.amdhsa_fp16_overflow 0
		.amdhsa_workgroup_processor_mode 1
		.amdhsa_memory_ordered 1
		.amdhsa_forward_progress 0
		.amdhsa_shared_vgpr_count 0
		.amdhsa_exception_fp_ieee_invalid_op 0
		.amdhsa_exception_fp_denorm_src 0
		.amdhsa_exception_fp_ieee_div_zero 0
		.amdhsa_exception_fp_ieee_overflow 0
		.amdhsa_exception_fp_ieee_underflow 0
		.amdhsa_exception_fp_ieee_inexact 0
		.amdhsa_exception_int_div_zero 0
	.end_amdhsa_kernel
	.section	.text._ZN7rocprim17ROCPRIM_400000_NS6detail17trampoline_kernelINS0_14default_configENS1_20scan_config_selectorIN3c104HalfEEEZZNS1_9scan_implILNS1_25lookback_scan_determinismE0ELb0ELb0ES3_PKS6_PS6_S6_ZZZN2at6native31launch_logcumsumexp_cuda_kernelERKNSD_10TensorBaseESH_lENKUlvE_clEvENKUlvE3_clEvEUlS6_S6_E_S6_EEDaPvRmT3_T4_T5_mT6_P12ihipStream_tbENKUlT_T0_E_clISt17integral_constantIbLb1EESY_EEDaST_SU_EUlST_E_NS1_11comp_targetILNS1_3genE10ELNS1_11target_archE1200ELNS1_3gpuE4ELNS1_3repE0EEENS1_30default_config_static_selectorELNS0_4arch9wavefront6targetE0EEEvT1_,"axG",@progbits,_ZN7rocprim17ROCPRIM_400000_NS6detail17trampoline_kernelINS0_14default_configENS1_20scan_config_selectorIN3c104HalfEEEZZNS1_9scan_implILNS1_25lookback_scan_determinismE0ELb0ELb0ES3_PKS6_PS6_S6_ZZZN2at6native31launch_logcumsumexp_cuda_kernelERKNSD_10TensorBaseESH_lENKUlvE_clEvENKUlvE3_clEvEUlS6_S6_E_S6_EEDaPvRmT3_T4_T5_mT6_P12ihipStream_tbENKUlT_T0_E_clISt17integral_constantIbLb1EESY_EEDaST_SU_EUlST_E_NS1_11comp_targetILNS1_3genE10ELNS1_11target_archE1200ELNS1_3gpuE4ELNS1_3repE0EEENS1_30default_config_static_selectorELNS0_4arch9wavefront6targetE0EEEvT1_,comdat
.Lfunc_end389:
	.size	_ZN7rocprim17ROCPRIM_400000_NS6detail17trampoline_kernelINS0_14default_configENS1_20scan_config_selectorIN3c104HalfEEEZZNS1_9scan_implILNS1_25lookback_scan_determinismE0ELb0ELb0ES3_PKS6_PS6_S6_ZZZN2at6native31launch_logcumsumexp_cuda_kernelERKNSD_10TensorBaseESH_lENKUlvE_clEvENKUlvE3_clEvEUlS6_S6_E_S6_EEDaPvRmT3_T4_T5_mT6_P12ihipStream_tbENKUlT_T0_E_clISt17integral_constantIbLb1EESY_EEDaST_SU_EUlST_E_NS1_11comp_targetILNS1_3genE10ELNS1_11target_archE1200ELNS1_3gpuE4ELNS1_3repE0EEENS1_30default_config_static_selectorELNS0_4arch9wavefront6targetE0EEEvT1_, .Lfunc_end389-_ZN7rocprim17ROCPRIM_400000_NS6detail17trampoline_kernelINS0_14default_configENS1_20scan_config_selectorIN3c104HalfEEEZZNS1_9scan_implILNS1_25lookback_scan_determinismE0ELb0ELb0ES3_PKS6_PS6_S6_ZZZN2at6native31launch_logcumsumexp_cuda_kernelERKNSD_10TensorBaseESH_lENKUlvE_clEvENKUlvE3_clEvEUlS6_S6_E_S6_EEDaPvRmT3_T4_T5_mT6_P12ihipStream_tbENKUlT_T0_E_clISt17integral_constantIbLb1EESY_EEDaST_SU_EUlST_E_NS1_11comp_targetILNS1_3genE10ELNS1_11target_archE1200ELNS1_3gpuE4ELNS1_3repE0EEENS1_30default_config_static_selectorELNS0_4arch9wavefront6targetE0EEEvT1_
                                        ; -- End function
	.section	.AMDGPU.csdata,"",@progbits
; Kernel info:
; codeLenInByte = 0
; NumSgprs: 0
; NumVgprs: 0
; ScratchSize: 0
; MemoryBound: 0
; FloatMode: 240
; IeeeMode: 1
; LDSByteSize: 0 bytes/workgroup (compile time only)
; SGPRBlocks: 0
; VGPRBlocks: 0
; NumSGPRsForWavesPerEU: 1
; NumVGPRsForWavesPerEU: 1
; Occupancy: 16
; WaveLimiterHint : 0
; COMPUTE_PGM_RSRC2:SCRATCH_EN: 0
; COMPUTE_PGM_RSRC2:USER_SGPR: 15
; COMPUTE_PGM_RSRC2:TRAP_HANDLER: 0
; COMPUTE_PGM_RSRC2:TGID_X_EN: 1
; COMPUTE_PGM_RSRC2:TGID_Y_EN: 0
; COMPUTE_PGM_RSRC2:TGID_Z_EN: 0
; COMPUTE_PGM_RSRC2:TIDIG_COMP_CNT: 0
	.text
	.p2align	2                               ; -- Begin function _ZZZN7rocprim17ROCPRIM_400000_NS6detail9scan_implILNS1_25lookback_scan_determinismE0ELb0ELb0ENS0_14default_configEPKN3c104HalfEPS6_S6_ZZZN2at6native31launch_logcumsumexp_cuda_kernelERKNSA_10TensorBaseESE_lENKUlvE_clEvENKUlvE3_clEvEUlS6_S6_E_S6_EEDaPvRmT3_T4_T5_mT6_P12ihipStream_tbENKUlT_T0_E_clISt17integral_constantIbLb1EESV_EEDaSQ_SR_ENKUlSQ_E_clINS1_13target_configIS4_NS1_20scan_config_selectorIS6_EENS1_11comp_targetILNS1_3genE9ELNS1_11target_archE1100ELNS1_3gpuE3ELNS1_3repE0EEELNS0_4arch9wavefront6targetE0EEEEEDaSQ_
	.type	_ZZZN7rocprim17ROCPRIM_400000_NS6detail9scan_implILNS1_25lookback_scan_determinismE0ELb0ELb0ENS0_14default_configEPKN3c104HalfEPS6_S6_ZZZN2at6native31launch_logcumsumexp_cuda_kernelERKNSA_10TensorBaseESE_lENKUlvE_clEvENKUlvE3_clEvEUlS6_S6_E_S6_EEDaPvRmT3_T4_T5_mT6_P12ihipStream_tbENKUlT_T0_E_clISt17integral_constantIbLb1EESV_EEDaSQ_SR_ENKUlSQ_E_clINS1_13target_configIS4_NS1_20scan_config_selectorIS6_EENS1_11comp_targetILNS1_3genE9ELNS1_11target_archE1100ELNS1_3gpuE3ELNS1_3repE0EEELNS0_4arch9wavefront6targetE0EEEEEDaSQ_,@function
_ZZZN7rocprim17ROCPRIM_400000_NS6detail9scan_implILNS1_25lookback_scan_determinismE0ELb0ELb0ENS0_14default_configEPKN3c104HalfEPS6_S6_ZZZN2at6native31launch_logcumsumexp_cuda_kernelERKNSA_10TensorBaseESE_lENKUlvE_clEvENKUlvE3_clEvEUlS6_S6_E_S6_EEDaPvRmT3_T4_T5_mT6_P12ihipStream_tbENKUlT_T0_E_clISt17integral_constantIbLb1EESV_EEDaSQ_SR_ENKUlSQ_E_clINS1_13target_configIS4_NS1_20scan_config_selectorIS6_EENS1_11comp_targetILNS1_3genE9ELNS1_11target_archE1100ELNS1_3gpuE3ELNS1_3repE0EEELNS0_4arch9wavefront6targetE0EEEEEDaSQ_: ; @_ZZZN7rocprim17ROCPRIM_400000_NS6detail9scan_implILNS1_25lookback_scan_determinismE0ELb0ELb0ENS0_14default_configEPKN3c104HalfEPS6_S6_ZZZN2at6native31launch_logcumsumexp_cuda_kernelERKNSA_10TensorBaseESE_lENKUlvE_clEvENKUlvE3_clEvEUlS6_S6_E_S6_EEDaPvRmT3_T4_T5_mT6_P12ihipStream_tbENKUlT_T0_E_clISt17integral_constantIbLb1EESV_EEDaSQ_SR_ENKUlSQ_E_clINS1_13target_configIS4_NS1_20scan_config_selectorIS6_EENS1_11comp_targetILNS1_3genE9ELNS1_11target_archE1100ELNS1_3gpuE3ELNS1_3repE0EEELNS0_4arch9wavefront6targetE0EEEEEDaSQ_
; %bb.0:
	s_waitcnt vmcnt(0) expcnt(0) lgkmcnt(0)
	s_or_saveexec_b32 s0, -1
	scratch_store_b32 off, v40, s32         ; 4-byte Folded Spill
	s_mov_b32 exec_lo, s0
	v_writelane_b32 v40, s30, 0
	v_writelane_b32 v40, s31, 1
	s_clause 0x4
	flat_load_b128 v[14:17], v[0:1]
	flat_load_b128 v[10:13], v[0:1] offset:16
	flat_load_b96 v[18:20], v[0:1] offset:40
	flat_load_b128 v[2:5], v[0:1] offset:56
	flat_load_b128 v[6:9], v[0:1] offset:72
	v_and_b32_e32 v21, 0x3ff, v31
	s_delay_alu instid0(VALU_DEP_1) | instskip(SKIP_1) | instid1(VALU_DEP_1)
	v_cmp_ne_u32_e64 s1, 0, v21
	v_cmp_eq_u32_e64 s2, 0, v21
	s_and_saveexec_b32 s0, s2
	s_cbranch_execz .LBB390_2
; %bb.1:
	flat_load_b64 v[0:1], v[0:1] offset:88
	v_mov_b32_e32 v22, 1
	s_waitcnt vmcnt(0) lgkmcnt(0)
	flat_atomic_add_u32 v0, v[0:1], v22 glc
	v_mov_b32_e32 v1, 0
	s_waitcnt vmcnt(0) lgkmcnt(0)
	ds_store_b32 v1, v0
.LBB390_2:
	s_or_b32 exec_lo, exec_lo, s0
	v_mov_b32_e32 v23, 0
	s_waitcnt vmcnt(0) lgkmcnt(0)
	s_waitcnt_vscnt null, 0x0
	s_barrier
	buffer_gl0_inv
	v_add_nc_u32_e32 v25, -1, v20
	ds_load_b32 v24, v23
	v_lshlrev_b64 v[0:1], 1, v[16:17]
	v_lshlrev_b32_e32 v33, 1, v21
	s_waitcnt lgkmcnt(0)
	v_mul_lo_u32 v16, 0x580, v25
	s_barrier
	buffer_gl0_inv
	v_add_co_u32 v17, vcc_lo, v14, v0
	v_add_co_ci_u32_e32 v26, vcc_lo, v15, v1, vcc_lo
	v_sub_co_u32 v20, vcc_lo, v12, v16
	v_subrev_co_ci_u32_e32 v32, vcc_lo, 0, v13, vcc_lo
	v_mul_lo_u32 v22, 0x580, v24
	v_readfirstlane_b32 s28, v24
	v_cmp_ne_u32_e64 s0, v24, v25
	s_delay_alu instid0(VALU_DEP_3) | instskip(NEXT) | instid1(VALU_DEP_1)
	v_lshlrev_b64 v[14:15], 1, v[22:23]
	v_add_co_u32 v12, vcc_lo, v17, v14
	s_delay_alu instid0(VALU_DEP_2) | instskip(NEXT) | instid1(VALU_DEP_4)
	v_add_co_ci_u32_e32 v13, vcc_lo, v26, v15, vcc_lo
	s_and_saveexec_b32 s3, s0
	s_delay_alu instid0(SALU_CYCLE_1)
	s_xor_b32 s3, exec_lo, s3
	s_cbranch_execz .LBB390_4
; %bb.3:
	v_add_co_u32 v12, vcc_lo, v12, v33
	v_add_co_ci_u32_e32 v13, vcc_lo, 0, v13, vcc_lo
	s_clause 0x15
	flat_load_u16 v16, v[12:13]
	flat_load_u16 v17, v[12:13] offset:128
	flat_load_u16 v22, v[12:13] offset:256
	;; [unrolled: 1-line block ×21, first 2 shown]
	s_waitcnt vmcnt(21) lgkmcnt(21)
	ds_store_b16 v33, v16
	s_waitcnt vmcnt(20) lgkmcnt(21)
	ds_store_b16 v33, v17 offset:128
	s_waitcnt vmcnt(19) lgkmcnt(21)
	ds_store_b16 v33, v22 offset:256
	s_waitcnt vmcnt(18) lgkmcnt(21)
	ds_store_b16 v33, v23 offset:384
	s_waitcnt vmcnt(17) lgkmcnt(21)
	ds_store_b16 v33, v24 offset:512
	s_waitcnt vmcnt(16) lgkmcnt(21)
	ds_store_b16 v33, v25 offset:640
	s_waitcnt vmcnt(15) lgkmcnt(21)
	ds_store_b16 v33, v26 offset:768
	s_waitcnt vmcnt(14) lgkmcnt(21)
	ds_store_b16 v33, v27 offset:896
	s_waitcnt vmcnt(13) lgkmcnt(21)
	ds_store_b16 v33, v28 offset:1024
	s_waitcnt vmcnt(12) lgkmcnt(21)
	ds_store_b16 v33, v29 offset:1152
	s_waitcnt vmcnt(11) lgkmcnt(21)
	ds_store_b16 v33, v30 offset:1280
	s_waitcnt vmcnt(10) lgkmcnt(21)
	ds_store_b16 v33, v31 offset:1408
	s_waitcnt vmcnt(9) lgkmcnt(21)
	ds_store_b16 v33, v34 offset:1536
	s_waitcnt vmcnt(8) lgkmcnt(21)
	ds_store_b16 v33, v35 offset:1664
	s_waitcnt vmcnt(7) lgkmcnt(21)
	ds_store_b16 v33, v36 offset:1792
	s_waitcnt vmcnt(6) lgkmcnt(21)
	ds_store_b16 v33, v37 offset:1920
	s_waitcnt vmcnt(5) lgkmcnt(21)
	ds_store_b16 v33, v38 offset:2048
	s_waitcnt vmcnt(4) lgkmcnt(21)
	ds_store_b16 v33, v39 offset:2176
	s_waitcnt vmcnt(3) lgkmcnt(21)
	ds_store_b16 v33, v48 offset:2304
	s_waitcnt vmcnt(2) lgkmcnt(21)
	ds_store_b16 v33, v49 offset:2432
	s_waitcnt vmcnt(1) lgkmcnt(21)
	ds_store_b16 v33, v50 offset:2560
	s_waitcnt vmcnt(0) lgkmcnt(21)
	ds_store_b16 v33, v12 offset:2688
	s_waitcnt lgkmcnt(0)
	s_barrier
                                        ; implicit-def: $vgpr12
.LBB390_4:
	s_and_not1_saveexec_b32 s3, s3
	s_cbranch_execz .LBB390_50
; %bb.5:
	flat_load_u16 v16, v[12:13]
	s_mov_b32 s4, exec_lo
	s_waitcnt vmcnt(0) lgkmcnt(0)
	v_mov_b32_e32 v17, v16
	v_cmpx_lt_u32_e64 v21, v20
	s_cbranch_execz .LBB390_7
; %bb.6:
	v_add_co_u32 v22, vcc_lo, v12, v33
	v_add_co_ci_u32_e32 v23, vcc_lo, 0, v13, vcc_lo
	flat_load_u16 v17, v[22:23]
.LBB390_7:
	s_or_b32 exec_lo, exec_lo, s4
	v_add_nc_u32_e32 v22, 64, v21
	s_delay_alu instid0(VALU_DEP_1)
	v_cmp_lt_u32_e32 vcc_lo, v22, v20
	v_mov_b32_e32 v22, v16
	s_and_saveexec_b32 s4, vcc_lo
	s_cbranch_execz .LBB390_9
; %bb.8:
	v_add_co_u32 v22, vcc_lo, v12, v33
	v_add_co_ci_u32_e32 v23, vcc_lo, 0, v13, vcc_lo
	flat_load_u16 v22, v[22:23] offset:128
.LBB390_9:
	s_or_b32 exec_lo, exec_lo, s4
	v_add_nc_u32_e32 v23, 0x80, v21
	s_delay_alu instid0(VALU_DEP_1)
	v_cmp_lt_u32_e32 vcc_lo, v23, v20
	v_mov_b32_e32 v23, v16
	s_and_saveexec_b32 s4, vcc_lo
	s_cbranch_execz .LBB390_11
; %bb.10:
	v_add_co_u32 v23, vcc_lo, v12, v33
	v_add_co_ci_u32_e32 v24, vcc_lo, 0, v13, vcc_lo
	flat_load_u16 v23, v[23:24] offset:256
.LBB390_11:
	;; [unrolled: 12-line block ×15, first 2 shown]
	s_or_b32 exec_lo, exec_lo, s4
	v_or_b32_e32 v39, 0x400, v21
	s_delay_alu instid0(VALU_DEP_1)
	v_cmp_lt_u32_e32 vcc_lo, v39, v20
	v_mov_b32_e32 v39, v16
	s_and_saveexec_b32 s4, vcc_lo
	s_cbranch_execz .LBB390_39
; %bb.38:
	v_add_co_u32 v48, vcc_lo, v12, v33
	v_add_co_ci_u32_e32 v49, vcc_lo, 0, v13, vcc_lo
	flat_load_u16 v39, v[48:49] offset:2048
.LBB390_39:
	s_or_b32 exec_lo, exec_lo, s4
	v_add_nc_u32_e32 v48, 0x440, v21
	s_delay_alu instid0(VALU_DEP_1)
	v_cmp_lt_u32_e32 vcc_lo, v48, v20
	v_mov_b32_e32 v48, v16
	s_and_saveexec_b32 s4, vcc_lo
	s_cbranch_execz .LBB390_41
; %bb.40:
	v_add_co_u32 v48, vcc_lo, v12, v33
	v_add_co_ci_u32_e32 v49, vcc_lo, 0, v13, vcc_lo
	flat_load_u16 v48, v[48:49] offset:2176
.LBB390_41:
	s_or_b32 exec_lo, exec_lo, s4
	v_add_nc_u32_e32 v49, 0x480, v21
	;; [unrolled: 12-line block ×5, first 2 shown]
	s_mov_b32 s4, exec_lo
	s_delay_alu instid0(VALU_DEP_1)
	v_cmpx_lt_u32_e64 v52, v20
	s_cbranch_execz .LBB390_49
; %bb.48:
	v_add_co_u32 v12, vcc_lo, v12, v33
	v_add_co_ci_u32_e32 v13, vcc_lo, 0, v13, vcc_lo
	flat_load_u16 v16, v[12:13] offset:2688
.LBB390_49:
	s_or_b32 exec_lo, exec_lo, s4
	s_waitcnt vmcnt(0) lgkmcnt(0)
	ds_store_b16 v33, v17
	ds_store_b16 v33, v22 offset:128
	ds_store_b16 v33, v23 offset:256
	;; [unrolled: 1-line block ×21, first 2 shown]
	s_waitcnt lgkmcnt(0)
	s_barrier
.LBB390_50:
	s_or_b32 exec_lo, exec_lo, s3
	v_mul_u32_u24_e32 v34, 22, v21
	buffer_gl0_inv
	s_cmp_lg_u32 s28, 0
	v_lshlrev_b32_e32 v35, 1, v34
	ds_load_2addr_b32 v[12:13], v35 offset1:1
	ds_load_2addr_b32 v[26:27], v35 offset0:2 offset1:3
	ds_load_2addr_b32 v[24:25], v35 offset0:4 offset1:5
	;; [unrolled: 1-line block ×4, first 2 shown]
	ds_load_b32 v38, v35 offset:40
	s_waitcnt lgkmcnt(0)
	s_barrier
	buffer_gl0_inv
	v_lshrrev_b32_e32 v64, 16, v12
	v_lshrrev_b32_e32 v55, 16, v13
	;; [unrolled: 1-line block ×11, first 2 shown]
	v_cvt_f32_f16_e32 v36, v64
	v_cmp_u_f16_e64 s3, v64, v64
	s_cbranch_scc0 .LBB390_239
; %bb.51:
	v_cvt_f32_f16_e32 v101, v12
	v_cmp_u_f16_e64 s24, v12, v12
	v_mov_b32_e32 v102, v12
	s_delay_alu instid0(VALU_DEP_3) | instskip(SKIP_1) | instid1(VALU_DEP_2)
	v_min_f32_e32 v28, v101, v36
	v_max_f32_e32 v29, v101, v36
	v_cndmask_b32_e64 v28, v28, v101, s24
	s_delay_alu instid0(VALU_DEP_1) | instskip(SKIP_1) | instid1(VALU_DEP_4)
	v_cndmask_b32_e64 v31, v28, v36, s3
	v_mov_b32_e32 v28, v12
	v_cndmask_b32_e64 v29, v29, v101, s24
	s_delay_alu instid0(VALU_DEP_3) | instskip(NEXT) | instid1(VALU_DEP_2)
	v_cmp_class_f32_e64 s4, v31, 0x1f8
	v_cndmask_b32_e64 v30, v29, v36, s3
	v_mov_b32_e32 v29, v101
	s_delay_alu instid0(VALU_DEP_2) | instskip(NEXT) | instid1(VALU_DEP_4)
	v_cmp_neq_f32_e32 vcc_lo, v31, v30
	s_or_b32 s5, vcc_lo, s4
	s_delay_alu instid0(SALU_CYCLE_1)
	s_and_saveexec_b32 s4, s5
	s_cbranch_execz .LBB390_53
; %bb.52:
	v_sub_f32_e32 v28, v31, v30
	s_mov_b32 s5, 0x3e9b6dac
	s_delay_alu instid0(VALU_DEP_1) | instskip(NEXT) | instid1(VALU_DEP_1)
	v_mul_f32_e32 v29, 0x3fb8aa3b, v28
	v_fma_f32 v31, 0x3fb8aa3b, v28, -v29
	v_rndne_f32_e32 v65, v29
	s_delay_alu instid0(VALU_DEP_1) | instskip(NEXT) | instid1(VALU_DEP_3)
	v_sub_f32_e32 v29, v29, v65
	v_fmamk_f32 v31, v28, 0x32a5705f, v31
	v_cmp_ngt_f32_e32 vcc_lo, 0xc2ce8ed0, v28
	s_delay_alu instid0(VALU_DEP_2) | instskip(SKIP_1) | instid1(VALU_DEP_2)
	v_add_f32_e32 v29, v29, v31
	v_cvt_i32_f32_e32 v31, v65
	v_exp_f32_e32 v29, v29
	s_waitcnt_depctr 0xfff
	v_ldexp_f32 v29, v29, v31
	s_delay_alu instid0(VALU_DEP_1) | instskip(SKIP_1) | instid1(VALU_DEP_2)
	v_cndmask_b32_e32 v29, 0, v29, vcc_lo
	v_cmp_nlt_f32_e32 vcc_lo, 0x42b17218, v28
	v_cndmask_b32_e32 v31, 0x7f800000, v29, vcc_lo
	s_delay_alu instid0(VALU_DEP_1) | instskip(NEXT) | instid1(VALU_DEP_1)
	v_add_f32_e32 v65, 1.0, v31
	v_cvt_f64_f32_e32 v[28:29], v65
	s_delay_alu instid0(VALU_DEP_1) | instskip(SKIP_1) | instid1(VALU_DEP_1)
	v_frexp_exp_i32_f64_e32 v28, v[28:29]
	v_frexp_mant_f32_e32 v29, v65
	v_cmp_gt_f32_e32 vcc_lo, 0x3f2aaaab, v29
	v_add_f32_e32 v29, -1.0, v65
	s_delay_alu instid0(VALU_DEP_1) | instskip(SKIP_1) | instid1(VALU_DEP_2)
	v_sub_f32_e32 v67, v29, v65
	v_sub_f32_e32 v29, v31, v29
	v_add_f32_e32 v67, 1.0, v67
	s_delay_alu instid0(VALU_DEP_1) | instskip(SKIP_1) | instid1(VALU_DEP_1)
	v_add_f32_e32 v29, v29, v67
	v_subrev_co_ci_u32_e32 v28, vcc_lo, 0, v28, vcc_lo
	v_sub_nc_u32_e32 v66, 0, v28
	v_cvt_f32_i32_e32 v28, v28
	s_delay_alu instid0(VALU_DEP_2) | instskip(SKIP_1) | instid1(VALU_DEP_2)
	v_ldexp_f32 v65, v65, v66
	v_ldexp_f32 v29, v29, v66
	v_add_f32_e32 v68, 1.0, v65
	s_delay_alu instid0(VALU_DEP_1) | instskip(NEXT) | instid1(VALU_DEP_1)
	v_dual_add_f32 v66, -1.0, v65 :: v_dual_add_f32 v67, -1.0, v68
	v_add_f32_e32 v69, 1.0, v66
	s_delay_alu instid0(VALU_DEP_2) | instskip(NEXT) | instid1(VALU_DEP_2)
	v_sub_f32_e32 v67, v65, v67
	v_sub_f32_e32 v65, v65, v69
	s_delay_alu instid0(VALU_DEP_2) | instskip(NEXT) | instid1(VALU_DEP_2)
	v_add_f32_e32 v67, v29, v67
	v_add_f32_e32 v29, v29, v65
	s_delay_alu instid0(VALU_DEP_1) | instskip(NEXT) | instid1(VALU_DEP_1)
	v_dual_add_f32 v69, v68, v67 :: v_dual_add_f32 v70, v66, v29
	v_rcp_f32_e32 v65, v69
	v_sub_f32_e32 v68, v68, v69
	s_delay_alu instid0(VALU_DEP_1) | instskip(SKIP_3) | instid1(VALU_DEP_2)
	v_dual_sub_f32 v66, v66, v70 :: v_dual_add_f32 v67, v67, v68
	s_waitcnt_depctr 0xfff
	v_mul_f32_e32 v71, v70, v65
	v_add_f32_e32 v29, v29, v66
	v_mul_f32_e32 v80, v69, v71
	s_delay_alu instid0(VALU_DEP_1) | instskip(NEXT) | instid1(VALU_DEP_1)
	v_fma_f32 v68, v71, v69, -v80
	v_fmac_f32_e32 v68, v71, v67
	v_cmp_eq_f32_e32 vcc_lo, 0x7f800000, v31
	s_delay_alu instid0(VALU_DEP_2) | instskip(NEXT) | instid1(VALU_DEP_1)
	v_add_f32_e32 v81, v80, v68
	v_sub_f32_e32 v82, v70, v81
	v_sub_f32_e32 v66, v81, v80
	s_delay_alu instid0(VALU_DEP_2) | instskip(NEXT) | instid1(VALU_DEP_2)
	v_sub_f32_e32 v70, v70, v82
	v_sub_f32_e32 v66, v66, v68
	s_delay_alu instid0(VALU_DEP_2) | instskip(NEXT) | instid1(VALU_DEP_1)
	v_sub_f32_e32 v70, v70, v81
	v_add_f32_e32 v29, v29, v70
	s_delay_alu instid0(VALU_DEP_1) | instskip(NEXT) | instid1(VALU_DEP_1)
	v_add_f32_e32 v29, v66, v29
	v_add_f32_e32 v66, v82, v29
	s_delay_alu instid0(VALU_DEP_1) | instskip(NEXT) | instid1(VALU_DEP_1)
	v_mul_f32_e32 v68, v65, v66
	v_dual_sub_f32 v81, v82, v66 :: v_dual_mul_f32 v70, v69, v68
	s_delay_alu instid0(VALU_DEP_1) | instskip(NEXT) | instid1(VALU_DEP_2)
	v_add_f32_e32 v29, v29, v81
	v_fma_f32 v69, v68, v69, -v70
	s_delay_alu instid0(VALU_DEP_1) | instskip(NEXT) | instid1(VALU_DEP_1)
	v_fmac_f32_e32 v69, v68, v67
	v_add_f32_e32 v67, v70, v69
	s_delay_alu instid0(VALU_DEP_1) | instskip(SKIP_1) | instid1(VALU_DEP_2)
	v_sub_f32_e32 v80, v66, v67
	v_sub_f32_e32 v70, v67, v70
	;; [unrolled: 1-line block ×3, first 2 shown]
	s_delay_alu instid0(VALU_DEP_1) | instskip(NEXT) | instid1(VALU_DEP_3)
	v_sub_f32_e32 v66, v66, v67
	v_sub_f32_e32 v67, v70, v69
	s_delay_alu instid0(VALU_DEP_2) | instskip(NEXT) | instid1(VALU_DEP_1)
	v_dual_add_f32 v29, v29, v66 :: v_dual_add_f32 v66, v71, v68
	v_add_f32_e32 v29, v67, v29
	s_delay_alu instid0(VALU_DEP_2) | instskip(NEXT) | instid1(VALU_DEP_2)
	v_sub_f32_e32 v67, v66, v71
	v_add_f32_e32 v29, v80, v29
	s_delay_alu instid0(VALU_DEP_2) | instskip(NEXT) | instid1(VALU_DEP_2)
	v_sub_f32_e32 v67, v68, v67
	v_mul_f32_e32 v29, v65, v29
	s_delay_alu instid0(VALU_DEP_1) | instskip(NEXT) | instid1(VALU_DEP_1)
	v_add_f32_e32 v29, v67, v29
	v_add_f32_e32 v65, v66, v29
	s_delay_alu instid0(VALU_DEP_1) | instskip(NEXT) | instid1(VALU_DEP_1)
	v_mul_f32_e32 v67, v65, v65
	v_fmaak_f32 v68, s5, v67, 0x3ecc95a3
	v_mul_f32_e32 v69, v65, v67
	v_cmp_gt_f32_e64 s5, 0x33800000, |v31|
	s_delay_alu instid0(VALU_DEP_3) | instskip(SKIP_2) | instid1(VALU_DEP_4)
	v_fmaak_f32 v67, v67, v68, 0x3f2aaada
	v_ldexp_f32 v68, v65, 1
	v_sub_f32_e32 v65, v65, v66
	s_or_b32 vcc_lo, vcc_lo, s5
	s_delay_alu instid0(VALU_DEP_3) | instskip(SKIP_1) | instid1(VALU_DEP_2)
	v_mul_f32_e32 v67, v69, v67
	v_mul_f32_e32 v69, 0x3f317218, v28
	v_dual_sub_f32 v29, v29, v65 :: v_dual_add_f32 v66, v68, v67
	s_delay_alu instid0(VALU_DEP_1) | instskip(NEXT) | instid1(VALU_DEP_2)
	v_ldexp_f32 v29, v29, 1
	v_sub_f32_e32 v65, v66, v68
	s_delay_alu instid0(VALU_DEP_4) | instskip(NEXT) | instid1(VALU_DEP_1)
	v_fma_f32 v68, 0x3f317218, v28, -v69
	v_dual_sub_f32 v65, v67, v65 :: v_dual_fmamk_f32 v28, v28, 0xb102e308, v68
	s_delay_alu instid0(VALU_DEP_1) | instskip(NEXT) | instid1(VALU_DEP_2)
	v_add_f32_e32 v29, v29, v65
	v_add_f32_e32 v65, v69, v28
	s_delay_alu instid0(VALU_DEP_2) | instskip(NEXT) | instid1(VALU_DEP_2)
	v_add_f32_e32 v67, v66, v29
	v_sub_f32_e32 v69, v65, v69
	s_delay_alu instid0(VALU_DEP_2) | instskip(SKIP_1) | instid1(VALU_DEP_3)
	v_add_f32_e32 v68, v65, v67
	v_sub_f32_e32 v66, v67, v66
	v_sub_f32_e32 v28, v28, v69
	s_delay_alu instid0(VALU_DEP_2) | instskip(NEXT) | instid1(VALU_DEP_1)
	v_dual_sub_f32 v70, v68, v65 :: v_dual_sub_f32 v29, v29, v66
	v_sub_f32_e32 v71, v68, v70
	s_delay_alu instid0(VALU_DEP_2) | instskip(NEXT) | instid1(VALU_DEP_2)
	v_dual_sub_f32 v66, v67, v70 :: v_dual_add_f32 v67, v28, v29
	v_sub_f32_e32 v65, v65, v71
	s_delay_alu instid0(VALU_DEP_1) | instskip(NEXT) | instid1(VALU_DEP_1)
	v_dual_add_f32 v65, v66, v65 :: v_dual_sub_f32 v66, v67, v28
	v_add_f32_e32 v65, v67, v65
	s_delay_alu instid0(VALU_DEP_2) | instskip(SKIP_1) | instid1(VALU_DEP_3)
	v_sub_f32_e32 v67, v67, v66
	v_sub_f32_e32 v29, v29, v66
	v_add_f32_e32 v69, v68, v65
	s_delay_alu instid0(VALU_DEP_3) | instskip(NEXT) | instid1(VALU_DEP_2)
	v_sub_f32_e32 v28, v28, v67
	v_sub_f32_e32 v66, v69, v68
	s_delay_alu instid0(VALU_DEP_2) | instskip(NEXT) | instid1(VALU_DEP_2)
	v_add_f32_e32 v28, v29, v28
	v_sub_f32_e32 v29, v65, v66
	s_delay_alu instid0(VALU_DEP_1) | instskip(NEXT) | instid1(VALU_DEP_1)
	v_add_f32_e32 v28, v28, v29
	v_add_f32_e32 v28, v69, v28
	s_delay_alu instid0(VALU_DEP_1) | instskip(NEXT) | instid1(VALU_DEP_1)
	v_cndmask_b32_e32 v28, v28, v31, vcc_lo
	v_add_f32_e32 v28, v30, v28
	s_delay_alu instid0(VALU_DEP_1) | instskip(NEXT) | instid1(VALU_DEP_1)
	v_cvt_f16_f32_e32 v28, v28
	v_mov_b32_e32 v102, v28
	v_cvt_f32_f16_e32 v29, v28
.LBB390_53:
	s_or_b32 exec_lo, exec_lo, s4
	v_cvt_f32_f16_e32 v65, v13
	s_delay_alu instid0(VALU_DEP_2) | instskip(SKIP_2) | instid1(VALU_DEP_3)
	v_max_f32_e32 v30, v29, v29
	v_cmp_u_f16_e32 vcc_lo, v28, v28
	v_cmp_u_f16_e64 s4, v13, v13
	v_min_f32_e32 v31, v30, v65
	v_max_f32_e32 v30, v30, v65
	s_delay_alu instid0(VALU_DEP_2) | instskip(NEXT) | instid1(VALU_DEP_2)
	v_cndmask_b32_e32 v31, v31, v29, vcc_lo
	v_cndmask_b32_e32 v30, v30, v29, vcc_lo
	s_delay_alu instid0(VALU_DEP_2) | instskip(NEXT) | instid1(VALU_DEP_2)
	v_cndmask_b32_e64 v31, v31, v65, s4
	v_cndmask_b32_e64 v30, v30, v65, s4
	s_delay_alu instid0(VALU_DEP_2) | instskip(NEXT) | instid1(VALU_DEP_2)
	v_cmp_class_f32_e64 s5, v31, 0x1f8
	v_cmp_neq_f32_e32 vcc_lo, v31, v30
	s_delay_alu instid0(VALU_DEP_2) | instskip(NEXT) | instid1(SALU_CYCLE_1)
	s_or_b32 s6, vcc_lo, s5
	s_and_saveexec_b32 s5, s6
	s_cbranch_execz .LBB390_55
; %bb.54:
	v_sub_f32_e32 v28, v31, v30
	s_mov_b32 s6, 0x3e9b6dac
	s_delay_alu instid0(VALU_DEP_1) | instskip(NEXT) | instid1(VALU_DEP_1)
	v_mul_f32_e32 v29, 0x3fb8aa3b, v28
	v_fma_f32 v31, 0x3fb8aa3b, v28, -v29
	v_rndne_f32_e32 v66, v29
	s_delay_alu instid0(VALU_DEP_2) | instskip(NEXT) | instid1(VALU_DEP_2)
	v_fmamk_f32 v31, v28, 0x32a5705f, v31
	v_sub_f32_e32 v29, v29, v66
	s_delay_alu instid0(VALU_DEP_1) | instskip(SKIP_2) | instid1(VALU_DEP_3)
	v_add_f32_e32 v29, v29, v31
	v_cvt_i32_f32_e32 v31, v66
	v_cmp_ngt_f32_e32 vcc_lo, 0xc2ce8ed0, v28
	v_exp_f32_e32 v29, v29
	s_waitcnt_depctr 0xfff
	v_ldexp_f32 v29, v29, v31
	s_delay_alu instid0(VALU_DEP_1) | instskip(SKIP_1) | instid1(VALU_DEP_2)
	v_cndmask_b32_e32 v29, 0, v29, vcc_lo
	v_cmp_nlt_f32_e32 vcc_lo, 0x42b17218, v28
	v_cndmask_b32_e32 v31, 0x7f800000, v29, vcc_lo
	s_delay_alu instid0(VALU_DEP_1) | instskip(NEXT) | instid1(VALU_DEP_1)
	v_add_f32_e32 v66, 1.0, v31
	v_cvt_f64_f32_e32 v[28:29], v66
	s_delay_alu instid0(VALU_DEP_1) | instskip(SKIP_1) | instid1(VALU_DEP_1)
	v_frexp_exp_i32_f64_e32 v28, v[28:29]
	v_frexp_mant_f32_e32 v29, v66
	v_cmp_gt_f32_e32 vcc_lo, 0x3f2aaaab, v29
	v_add_f32_e32 v29, -1.0, v66
	s_delay_alu instid0(VALU_DEP_1) | instskip(NEXT) | instid1(VALU_DEP_1)
	v_sub_f32_e32 v68, v29, v66
	v_add_f32_e32 v68, 1.0, v68
	v_subrev_co_ci_u32_e32 v28, vcc_lo, 0, v28, vcc_lo
	s_delay_alu instid0(VALU_DEP_1) | instskip(SKIP_1) | instid1(VALU_DEP_2)
	v_sub_nc_u32_e32 v67, 0, v28
	v_cvt_f32_i32_e32 v28, v28
	v_ldexp_f32 v66, v66, v67
	v_sub_f32_e32 v29, v31, v29
	s_delay_alu instid0(VALU_DEP_1) | instskip(NEXT) | instid1(VALU_DEP_1)
	v_add_f32_e32 v29, v29, v68
	v_ldexp_f32 v29, v29, v67
	s_delay_alu instid0(VALU_DEP_4) | instskip(NEXT) | instid1(VALU_DEP_1)
	v_add_f32_e32 v69, 1.0, v66
	v_add_f32_e32 v68, -1.0, v69
	s_delay_alu instid0(VALU_DEP_1) | instskip(NEXT) | instid1(VALU_DEP_1)
	v_sub_f32_e32 v68, v66, v68
	v_dual_add_f32 v68, v29, v68 :: v_dual_add_f32 v67, -1.0, v66
	s_delay_alu instid0(VALU_DEP_1) | instskip(SKIP_1) | instid1(VALU_DEP_2)
	v_add_f32_e32 v70, 1.0, v67
	v_cmp_eq_f32_e32 vcc_lo, 0x7f800000, v31
	v_sub_f32_e32 v66, v66, v70
	s_delay_alu instid0(VALU_DEP_4) | instskip(NEXT) | instid1(VALU_DEP_1)
	v_add_f32_e32 v70, v69, v68
	v_sub_f32_e32 v69, v69, v70
	s_delay_alu instid0(VALU_DEP_3) | instskip(SKIP_1) | instid1(VALU_DEP_2)
	v_add_f32_e32 v29, v29, v66
	v_rcp_f32_e32 v66, v70
	v_add_f32_e32 v68, v68, v69
	s_delay_alu instid0(VALU_DEP_2) | instskip(NEXT) | instid1(VALU_DEP_1)
	v_add_f32_e32 v71, v67, v29
	v_sub_f32_e32 v67, v67, v71
	s_waitcnt_depctr 0xfff
	v_dual_mul_f32 v80, v71, v66 :: v_dual_add_f32 v29, v29, v67
	s_delay_alu instid0(VALU_DEP_1) | instskip(NEXT) | instid1(VALU_DEP_1)
	v_mul_f32_e32 v81, v70, v80
	v_fma_f32 v69, v80, v70, -v81
	s_delay_alu instid0(VALU_DEP_1) | instskip(NEXT) | instid1(VALU_DEP_1)
	v_fmac_f32_e32 v69, v80, v68
	v_add_f32_e32 v82, v81, v69
	s_delay_alu instid0(VALU_DEP_1) | instskip(SKIP_1) | instid1(VALU_DEP_2)
	v_sub_f32_e32 v83, v71, v82
	v_sub_f32_e32 v67, v82, v81
	;; [unrolled: 1-line block ×3, first 2 shown]
	s_delay_alu instid0(VALU_DEP_2) | instskip(NEXT) | instid1(VALU_DEP_2)
	v_sub_f32_e32 v67, v67, v69
	v_sub_f32_e32 v71, v71, v82
	s_delay_alu instid0(VALU_DEP_1) | instskip(NEXT) | instid1(VALU_DEP_1)
	v_add_f32_e32 v29, v29, v71
	v_add_f32_e32 v29, v67, v29
	s_delay_alu instid0(VALU_DEP_1) | instskip(NEXT) | instid1(VALU_DEP_1)
	v_add_f32_e32 v67, v83, v29
	v_mul_f32_e32 v69, v66, v67
	s_delay_alu instid0(VALU_DEP_1) | instskip(NEXT) | instid1(VALU_DEP_1)
	v_dual_sub_f32 v82, v83, v67 :: v_dual_mul_f32 v71, v70, v69
	v_add_f32_e32 v29, v29, v82
	s_delay_alu instid0(VALU_DEP_2) | instskip(NEXT) | instid1(VALU_DEP_1)
	v_fma_f32 v70, v69, v70, -v71
	v_fmac_f32_e32 v70, v69, v68
	s_delay_alu instid0(VALU_DEP_1) | instskip(NEXT) | instid1(VALU_DEP_1)
	v_add_f32_e32 v68, v71, v70
	v_sub_f32_e32 v81, v67, v68
	v_sub_f32_e32 v71, v68, v71
	s_delay_alu instid0(VALU_DEP_2) | instskip(NEXT) | instid1(VALU_DEP_1)
	v_sub_f32_e32 v67, v67, v81
	v_sub_f32_e32 v67, v67, v68
	s_delay_alu instid0(VALU_DEP_1) | instskip(SKIP_1) | instid1(VALU_DEP_1)
	v_dual_sub_f32 v68, v71, v70 :: v_dual_add_f32 v29, v29, v67
	v_add_f32_e32 v67, v80, v69
	v_dual_add_f32 v29, v68, v29 :: v_dual_sub_f32 v68, v67, v80
	s_delay_alu instid0(VALU_DEP_1) | instskip(NEXT) | instid1(VALU_DEP_1)
	v_add_f32_e32 v29, v81, v29
	v_dual_sub_f32 v68, v69, v68 :: v_dual_mul_f32 v29, v66, v29
	s_delay_alu instid0(VALU_DEP_1) | instskip(NEXT) | instid1(VALU_DEP_1)
	v_add_f32_e32 v29, v68, v29
	v_add_f32_e32 v66, v67, v29
	s_delay_alu instid0(VALU_DEP_1) | instskip(NEXT) | instid1(VALU_DEP_1)
	v_mul_f32_e32 v68, v66, v66
	v_fmaak_f32 v69, s6, v68, 0x3ecc95a3
	v_mul_f32_e32 v70, v66, v68
	v_cmp_gt_f32_e64 s6, 0x33800000, |v31|
	s_delay_alu instid0(VALU_DEP_3) | instskip(SKIP_2) | instid1(VALU_DEP_4)
	v_fmaak_f32 v68, v68, v69, 0x3f2aaada
	v_ldexp_f32 v69, v66, 1
	v_sub_f32_e32 v66, v66, v67
	s_or_b32 vcc_lo, vcc_lo, s6
	s_delay_alu instid0(VALU_DEP_3) | instskip(NEXT) | instid1(VALU_DEP_2)
	v_mul_f32_e32 v68, v70, v68
	v_dual_mul_f32 v70, 0x3f317218, v28 :: v_dual_sub_f32 v29, v29, v66
	s_delay_alu instid0(VALU_DEP_2) | instskip(NEXT) | instid1(VALU_DEP_2)
	v_add_f32_e32 v67, v69, v68
	v_ldexp_f32 v29, v29, 1
	s_delay_alu instid0(VALU_DEP_2) | instskip(NEXT) | instid1(VALU_DEP_4)
	v_sub_f32_e32 v66, v67, v69
	v_fma_f32 v69, 0x3f317218, v28, -v70
	s_delay_alu instid0(VALU_DEP_2) | instskip(NEXT) | instid1(VALU_DEP_1)
	v_sub_f32_e32 v66, v68, v66
	v_dual_fmamk_f32 v28, v28, 0xb102e308, v69 :: v_dual_add_f32 v29, v29, v66
	s_delay_alu instid0(VALU_DEP_1) | instskip(NEXT) | instid1(VALU_DEP_2)
	v_add_f32_e32 v66, v70, v28
	v_add_f32_e32 v68, v67, v29
	s_delay_alu instid0(VALU_DEP_2) | instskip(NEXT) | instid1(VALU_DEP_2)
	v_sub_f32_e32 v70, v66, v70
	v_add_f32_e32 v69, v66, v68
	v_sub_f32_e32 v67, v68, v67
	s_delay_alu instid0(VALU_DEP_3) | instskip(NEXT) | instid1(VALU_DEP_3)
	v_sub_f32_e32 v28, v28, v70
	v_sub_f32_e32 v71, v69, v66
	s_delay_alu instid0(VALU_DEP_3) | instskip(NEXT) | instid1(VALU_DEP_2)
	v_sub_f32_e32 v29, v29, v67
	v_sub_f32_e32 v80, v69, v71
	;; [unrolled: 1-line block ×3, first 2 shown]
	s_delay_alu instid0(VALU_DEP_3) | instskip(NEXT) | instid1(VALU_DEP_3)
	v_add_f32_e32 v68, v28, v29
	v_sub_f32_e32 v66, v66, v80
	s_delay_alu instid0(VALU_DEP_1) | instskip(NEXT) | instid1(VALU_DEP_1)
	v_dual_add_f32 v66, v67, v66 :: v_dual_sub_f32 v67, v68, v28
	v_add_f32_e32 v66, v68, v66
	s_delay_alu instid0(VALU_DEP_2) | instskip(SKIP_1) | instid1(VALU_DEP_3)
	v_sub_f32_e32 v68, v68, v67
	v_sub_f32_e32 v29, v29, v67
	v_add_f32_e32 v70, v69, v66
	s_delay_alu instid0(VALU_DEP_1) | instskip(NEXT) | instid1(VALU_DEP_1)
	v_dual_sub_f32 v28, v28, v68 :: v_dual_sub_f32 v67, v70, v69
	v_dual_add_f32 v28, v29, v28 :: v_dual_sub_f32 v29, v66, v67
	s_delay_alu instid0(VALU_DEP_1) | instskip(NEXT) | instid1(VALU_DEP_1)
	v_add_f32_e32 v28, v28, v29
	v_add_f32_e32 v28, v70, v28
	s_delay_alu instid0(VALU_DEP_1) | instskip(NEXT) | instid1(VALU_DEP_1)
	v_cndmask_b32_e32 v28, v28, v31, vcc_lo
	v_add_f32_e32 v28, v30, v28
	s_delay_alu instid0(VALU_DEP_1) | instskip(NEXT) | instid1(VALU_DEP_1)
	v_cvt_f16_f32_e32 v28, v28
	v_mov_b32_e32 v102, v28
	v_cvt_f32_f16_e32 v29, v28
.LBB390_55:
	s_or_b32 exec_lo, exec_lo, s5
	v_cvt_f32_f16_e32 v66, v55
	s_delay_alu instid0(VALU_DEP_2) | instskip(SKIP_2) | instid1(VALU_DEP_3)
	v_max_f32_e32 v30, v29, v29
	v_cmp_u_f16_e32 vcc_lo, v28, v28
	v_cmp_u_f16_e64 s5, v55, v55
	v_min_f32_e32 v31, v30, v66
	s_delay_alu instid0(VALU_DEP_1) | instskip(NEXT) | instid1(VALU_DEP_1)
	v_dual_max_f32 v30, v30, v66 :: v_dual_cndmask_b32 v31, v31, v29
	v_cndmask_b32_e32 v30, v30, v29, vcc_lo
	s_delay_alu instid0(VALU_DEP_2) | instskip(NEXT) | instid1(VALU_DEP_2)
	v_cndmask_b32_e64 v31, v31, v66, s5
	v_cndmask_b32_e64 v30, v30, v66, s5
	s_delay_alu instid0(VALU_DEP_2) | instskip(NEXT) | instid1(VALU_DEP_2)
	v_cmp_class_f32_e64 s6, v31, 0x1f8
	v_cmp_neq_f32_e32 vcc_lo, v31, v30
	s_delay_alu instid0(VALU_DEP_2) | instskip(NEXT) | instid1(SALU_CYCLE_1)
	s_or_b32 s7, vcc_lo, s6
	s_and_saveexec_b32 s6, s7
	s_cbranch_execz .LBB390_57
; %bb.56:
	v_sub_f32_e32 v28, v31, v30
	s_mov_b32 s7, 0x3e9b6dac
	s_delay_alu instid0(VALU_DEP_1) | instskip(NEXT) | instid1(VALU_DEP_1)
	v_mul_f32_e32 v29, 0x3fb8aa3b, v28
	v_fma_f32 v31, 0x3fb8aa3b, v28, -v29
	v_rndne_f32_e32 v67, v29
	s_delay_alu instid0(VALU_DEP_1) | instskip(NEXT) | instid1(VALU_DEP_3)
	v_sub_f32_e32 v29, v29, v67
	v_fmamk_f32 v31, v28, 0x32a5705f, v31
	v_cmp_ngt_f32_e32 vcc_lo, 0xc2ce8ed0, v28
	s_delay_alu instid0(VALU_DEP_2) | instskip(SKIP_1) | instid1(VALU_DEP_2)
	v_add_f32_e32 v29, v29, v31
	v_cvt_i32_f32_e32 v31, v67
	v_exp_f32_e32 v29, v29
	s_waitcnt_depctr 0xfff
	v_ldexp_f32 v29, v29, v31
	s_delay_alu instid0(VALU_DEP_1) | instskip(SKIP_1) | instid1(VALU_DEP_2)
	v_cndmask_b32_e32 v29, 0, v29, vcc_lo
	v_cmp_nlt_f32_e32 vcc_lo, 0x42b17218, v28
	v_cndmask_b32_e32 v31, 0x7f800000, v29, vcc_lo
	s_delay_alu instid0(VALU_DEP_1) | instskip(NEXT) | instid1(VALU_DEP_1)
	v_add_f32_e32 v67, 1.0, v31
	v_cvt_f64_f32_e32 v[28:29], v67
	s_delay_alu instid0(VALU_DEP_1) | instskip(SKIP_1) | instid1(VALU_DEP_1)
	v_frexp_exp_i32_f64_e32 v28, v[28:29]
	v_frexp_mant_f32_e32 v29, v67
	v_cmp_gt_f32_e32 vcc_lo, 0x3f2aaaab, v29
	v_add_f32_e32 v29, -1.0, v67
	s_delay_alu instid0(VALU_DEP_1) | instskip(SKIP_1) | instid1(VALU_DEP_2)
	v_sub_f32_e32 v69, v29, v67
	v_sub_f32_e32 v29, v31, v29
	v_add_f32_e32 v69, 1.0, v69
	s_delay_alu instid0(VALU_DEP_1) | instskip(SKIP_1) | instid1(VALU_DEP_1)
	v_add_f32_e32 v29, v29, v69
	v_subrev_co_ci_u32_e32 v28, vcc_lo, 0, v28, vcc_lo
	v_sub_nc_u32_e32 v68, 0, v28
	v_cvt_f32_i32_e32 v28, v28
	s_delay_alu instid0(VALU_DEP_2) | instskip(SKIP_1) | instid1(VALU_DEP_2)
	v_ldexp_f32 v67, v67, v68
	v_ldexp_f32 v29, v29, v68
	v_add_f32_e32 v70, 1.0, v67
	s_delay_alu instid0(VALU_DEP_1) | instskip(NEXT) | instid1(VALU_DEP_1)
	v_dual_add_f32 v68, -1.0, v67 :: v_dual_add_f32 v69, -1.0, v70
	v_add_f32_e32 v71, 1.0, v68
	s_delay_alu instid0(VALU_DEP_2) | instskip(NEXT) | instid1(VALU_DEP_2)
	v_sub_f32_e32 v69, v67, v69
	v_sub_f32_e32 v67, v67, v71
	s_delay_alu instid0(VALU_DEP_2) | instskip(NEXT) | instid1(VALU_DEP_1)
	v_add_f32_e32 v69, v29, v69
	v_add_f32_e32 v71, v70, v69
	s_delay_alu instid0(VALU_DEP_3) | instskip(NEXT) | instid1(VALU_DEP_2)
	v_add_f32_e32 v29, v29, v67
	v_rcp_f32_e32 v67, v71
	s_delay_alu instid0(VALU_DEP_1) | instskip(SKIP_1) | instid1(VALU_DEP_1)
	v_add_f32_e32 v80, v68, v29
	v_sub_f32_e32 v70, v70, v71
	v_dual_sub_f32 v68, v68, v80 :: v_dual_add_f32 v69, v69, v70
	s_waitcnt_depctr 0xfff
	v_mul_f32_e32 v81, v80, v67
	s_delay_alu instid0(VALU_DEP_1) | instskip(NEXT) | instid1(VALU_DEP_1)
	v_dual_add_f32 v29, v29, v68 :: v_dual_mul_f32 v82, v71, v81
	v_fma_f32 v70, v81, v71, -v82
	s_delay_alu instid0(VALU_DEP_1) | instskip(NEXT) | instid1(VALU_DEP_1)
	v_fmac_f32_e32 v70, v81, v69
	v_add_f32_e32 v83, v82, v70
	s_delay_alu instid0(VALU_DEP_1) | instskip(SKIP_2) | instid1(VALU_DEP_3)
	v_sub_f32_e32 v84, v80, v83
	v_sub_f32_e32 v68, v83, v82
	v_cmp_eq_f32_e32 vcc_lo, 0x7f800000, v31
	v_sub_f32_e32 v80, v80, v84
	s_delay_alu instid0(VALU_DEP_3) | instskip(NEXT) | instid1(VALU_DEP_2)
	v_sub_f32_e32 v68, v68, v70
	v_sub_f32_e32 v80, v80, v83
	s_delay_alu instid0(VALU_DEP_1) | instskip(NEXT) | instid1(VALU_DEP_1)
	v_add_f32_e32 v29, v29, v80
	v_add_f32_e32 v29, v68, v29
	s_delay_alu instid0(VALU_DEP_1) | instskip(NEXT) | instid1(VALU_DEP_1)
	v_add_f32_e32 v68, v84, v29
	v_mul_f32_e32 v70, v67, v68
	s_delay_alu instid0(VALU_DEP_1) | instskip(NEXT) | instid1(VALU_DEP_1)
	v_dual_sub_f32 v83, v84, v68 :: v_dual_mul_f32 v80, v71, v70
	v_add_f32_e32 v29, v29, v83
	s_delay_alu instid0(VALU_DEP_2) | instskip(NEXT) | instid1(VALU_DEP_1)
	v_fma_f32 v71, v70, v71, -v80
	v_fmac_f32_e32 v71, v70, v69
	s_delay_alu instid0(VALU_DEP_1) | instskip(NEXT) | instid1(VALU_DEP_1)
	v_add_f32_e32 v69, v80, v71
	v_sub_f32_e32 v82, v68, v69
	v_sub_f32_e32 v80, v69, v80
	s_delay_alu instid0(VALU_DEP_2) | instskip(NEXT) | instid1(VALU_DEP_1)
	v_sub_f32_e32 v68, v68, v82
	v_sub_f32_e32 v68, v68, v69
	s_delay_alu instid0(VALU_DEP_3) | instskip(NEXT) | instid1(VALU_DEP_2)
	v_sub_f32_e32 v69, v80, v71
	v_add_f32_e32 v29, v29, v68
	v_add_f32_e32 v68, v81, v70
	s_delay_alu instid0(VALU_DEP_2) | instskip(NEXT) | instid1(VALU_DEP_2)
	v_add_f32_e32 v29, v69, v29
	v_sub_f32_e32 v69, v68, v81
	s_delay_alu instid0(VALU_DEP_2) | instskip(NEXT) | instid1(VALU_DEP_2)
	v_add_f32_e32 v29, v82, v29
	v_sub_f32_e32 v69, v70, v69
	s_delay_alu instid0(VALU_DEP_2) | instskip(NEXT) | instid1(VALU_DEP_1)
	v_mul_f32_e32 v29, v67, v29
	v_add_f32_e32 v29, v69, v29
	s_delay_alu instid0(VALU_DEP_1) | instskip(NEXT) | instid1(VALU_DEP_1)
	v_add_f32_e32 v67, v68, v29
	v_mul_f32_e32 v69, v67, v67
	s_delay_alu instid0(VALU_DEP_1) | instskip(SKIP_2) | instid1(VALU_DEP_3)
	v_fmaak_f32 v70, s7, v69, 0x3ecc95a3
	v_mul_f32_e32 v71, v67, v69
	v_cmp_gt_f32_e64 s7, 0x33800000, |v31|
	v_fmaak_f32 v69, v69, v70, 0x3f2aaada
	v_ldexp_f32 v70, v67, 1
	v_sub_f32_e32 v67, v67, v68
	s_delay_alu instid0(VALU_DEP_4) | instskip(NEXT) | instid1(VALU_DEP_3)
	s_or_b32 vcc_lo, vcc_lo, s7
	v_mul_f32_e32 v69, v71, v69
	v_mul_f32_e32 v71, 0x3f317218, v28
	s_delay_alu instid0(VALU_DEP_2) | instskip(NEXT) | instid1(VALU_DEP_1)
	v_dual_sub_f32 v29, v29, v67 :: v_dual_add_f32 v68, v70, v69
	v_ldexp_f32 v29, v29, 1
	s_delay_alu instid0(VALU_DEP_2) | instskip(NEXT) | instid1(VALU_DEP_4)
	v_sub_f32_e32 v67, v68, v70
	v_fma_f32 v70, 0x3f317218, v28, -v71
	s_delay_alu instid0(VALU_DEP_1) | instskip(NEXT) | instid1(VALU_DEP_1)
	v_dual_sub_f32 v67, v69, v67 :: v_dual_fmamk_f32 v28, v28, 0xb102e308, v70
	v_add_f32_e32 v29, v29, v67
	s_delay_alu instid0(VALU_DEP_2) | instskip(NEXT) | instid1(VALU_DEP_2)
	v_add_f32_e32 v67, v71, v28
	v_add_f32_e32 v69, v68, v29
	s_delay_alu instid0(VALU_DEP_2) | instskip(NEXT) | instid1(VALU_DEP_2)
	v_sub_f32_e32 v71, v67, v71
	v_add_f32_e32 v70, v67, v69
	v_sub_f32_e32 v68, v69, v68
	s_delay_alu instid0(VALU_DEP_3) | instskip(NEXT) | instid1(VALU_DEP_2)
	v_sub_f32_e32 v28, v28, v71
	v_dual_sub_f32 v80, v70, v67 :: v_dual_sub_f32 v29, v29, v68
	s_delay_alu instid0(VALU_DEP_1) | instskip(NEXT) | instid1(VALU_DEP_2)
	v_sub_f32_e32 v81, v70, v80
	v_dual_sub_f32 v68, v69, v80 :: v_dual_add_f32 v69, v28, v29
	s_delay_alu instid0(VALU_DEP_2) | instskip(NEXT) | instid1(VALU_DEP_1)
	v_sub_f32_e32 v67, v67, v81
	v_dual_add_f32 v67, v68, v67 :: v_dual_sub_f32 v68, v69, v28
	s_delay_alu instid0(VALU_DEP_1) | instskip(NEXT) | instid1(VALU_DEP_2)
	v_add_f32_e32 v67, v69, v67
	v_sub_f32_e32 v69, v69, v68
	v_sub_f32_e32 v29, v29, v68
	s_delay_alu instid0(VALU_DEP_2) | instskip(NEXT) | instid1(VALU_DEP_1)
	v_dual_add_f32 v71, v70, v67 :: v_dual_sub_f32 v28, v28, v69
	v_sub_f32_e32 v68, v71, v70
	s_delay_alu instid0(VALU_DEP_2) | instskip(NEXT) | instid1(VALU_DEP_2)
	v_add_f32_e32 v28, v29, v28
	v_sub_f32_e32 v29, v67, v68
	s_delay_alu instid0(VALU_DEP_1) | instskip(NEXT) | instid1(VALU_DEP_1)
	v_add_f32_e32 v28, v28, v29
	v_add_f32_e32 v28, v71, v28
	s_delay_alu instid0(VALU_DEP_1) | instskip(NEXT) | instid1(VALU_DEP_1)
	v_cndmask_b32_e32 v28, v28, v31, vcc_lo
	v_add_f32_e32 v28, v30, v28
	s_delay_alu instid0(VALU_DEP_1) | instskip(NEXT) | instid1(VALU_DEP_1)
	v_cvt_f16_f32_e32 v28, v28
	v_cvt_f32_f16_e32 v29, v28
	v_mov_b32_e32 v102, v28
.LBB390_57:
	s_or_b32 exec_lo, exec_lo, s6
	v_cvt_f32_f16_e32 v67, v26
	s_delay_alu instid0(VALU_DEP_3) | instskip(SKIP_2) | instid1(VALU_DEP_3)
	v_max_f32_e32 v30, v29, v29
	v_cmp_u_f16_e32 vcc_lo, v28, v28
	v_cmp_u_f16_e64 s6, v26, v26
	v_min_f32_e32 v31, v30, v67
	s_delay_alu instid0(VALU_DEP_1) | instskip(NEXT) | instid1(VALU_DEP_1)
	v_dual_max_f32 v30, v30, v67 :: v_dual_cndmask_b32 v31, v31, v29
	v_cndmask_b32_e32 v30, v30, v29, vcc_lo
	s_delay_alu instid0(VALU_DEP_2) | instskip(NEXT) | instid1(VALU_DEP_2)
	v_cndmask_b32_e64 v31, v31, v67, s6
	v_cndmask_b32_e64 v30, v30, v67, s6
	s_delay_alu instid0(VALU_DEP_2) | instskip(NEXT) | instid1(VALU_DEP_2)
	v_cmp_class_f32_e64 s7, v31, 0x1f8
	v_cmp_neq_f32_e32 vcc_lo, v31, v30
	s_delay_alu instid0(VALU_DEP_2) | instskip(NEXT) | instid1(SALU_CYCLE_1)
	s_or_b32 s8, vcc_lo, s7
	s_and_saveexec_b32 s7, s8
	s_cbranch_execz .LBB390_59
; %bb.58:
	v_sub_f32_e32 v28, v31, v30
	s_mov_b32 s8, 0x3e9b6dac
	s_delay_alu instid0(VALU_DEP_1) | instskip(NEXT) | instid1(VALU_DEP_1)
	v_mul_f32_e32 v29, 0x3fb8aa3b, v28
	v_fma_f32 v31, 0x3fb8aa3b, v28, -v29
	v_rndne_f32_e32 v68, v29
	s_delay_alu instid0(VALU_DEP_1) | instskip(NEXT) | instid1(VALU_DEP_3)
	v_sub_f32_e32 v29, v29, v68
	v_fmamk_f32 v31, v28, 0x32a5705f, v31
	v_cmp_ngt_f32_e32 vcc_lo, 0xc2ce8ed0, v28
	s_delay_alu instid0(VALU_DEP_2) | instskip(SKIP_1) | instid1(VALU_DEP_2)
	v_add_f32_e32 v29, v29, v31
	v_cvt_i32_f32_e32 v31, v68
	v_exp_f32_e32 v29, v29
	s_waitcnt_depctr 0xfff
	v_ldexp_f32 v29, v29, v31
	s_delay_alu instid0(VALU_DEP_1) | instskip(SKIP_1) | instid1(VALU_DEP_2)
	v_cndmask_b32_e32 v29, 0, v29, vcc_lo
	v_cmp_nlt_f32_e32 vcc_lo, 0x42b17218, v28
	v_cndmask_b32_e32 v31, 0x7f800000, v29, vcc_lo
	s_delay_alu instid0(VALU_DEP_1) | instskip(NEXT) | instid1(VALU_DEP_1)
	v_add_f32_e32 v68, 1.0, v31
	v_cvt_f64_f32_e32 v[28:29], v68
	s_delay_alu instid0(VALU_DEP_1) | instskip(SKIP_1) | instid1(VALU_DEP_1)
	v_frexp_exp_i32_f64_e32 v28, v[28:29]
	v_frexp_mant_f32_e32 v29, v68
	v_cmp_gt_f32_e32 vcc_lo, 0x3f2aaaab, v29
	v_add_f32_e32 v29, -1.0, v68
	s_delay_alu instid0(VALU_DEP_1) | instskip(NEXT) | instid1(VALU_DEP_1)
	v_sub_f32_e32 v70, v29, v68
	v_add_f32_e32 v70, 1.0, v70
	v_subrev_co_ci_u32_e32 v28, vcc_lo, 0, v28, vcc_lo
	s_delay_alu instid0(VALU_DEP_1) | instskip(SKIP_1) | instid1(VALU_DEP_2)
	v_sub_nc_u32_e32 v69, 0, v28
	v_cvt_f32_i32_e32 v28, v28
	v_ldexp_f32 v68, v68, v69
	v_sub_f32_e32 v29, v31, v29
	s_delay_alu instid0(VALU_DEP_1) | instskip(NEXT) | instid1(VALU_DEP_1)
	v_add_f32_e32 v29, v29, v70
	v_ldexp_f32 v29, v29, v69
	s_delay_alu instid0(VALU_DEP_4) | instskip(NEXT) | instid1(VALU_DEP_1)
	v_add_f32_e32 v71, 1.0, v68
	v_add_f32_e32 v70, -1.0, v71
	s_delay_alu instid0(VALU_DEP_1) | instskip(SKIP_1) | instid1(VALU_DEP_2)
	v_sub_f32_e32 v70, v68, v70
	v_cmp_eq_f32_e32 vcc_lo, 0x7f800000, v31
	v_dual_add_f32 v70, v29, v70 :: v_dual_add_f32 v69, -1.0, v68
	s_delay_alu instid0(VALU_DEP_1) | instskip(NEXT) | instid1(VALU_DEP_1)
	v_add_f32_e32 v80, 1.0, v69
	v_sub_f32_e32 v68, v68, v80
	s_delay_alu instid0(VALU_DEP_1) | instskip(NEXT) | instid1(VALU_DEP_1)
	v_dual_add_f32 v80, v71, v70 :: v_dual_add_f32 v29, v29, v68
	v_rcp_f32_e32 v68, v80
	v_sub_f32_e32 v71, v71, v80
	s_delay_alu instid0(VALU_DEP_1) | instskip(SKIP_3) | instid1(VALU_DEP_2)
	v_dual_add_f32 v70, v70, v71 :: v_dual_add_f32 v81, v69, v29
	s_waitcnt_depctr 0xfff
	v_mul_f32_e32 v82, v81, v68
	v_sub_f32_e32 v69, v69, v81
	v_mul_f32_e32 v83, v80, v82
	s_delay_alu instid0(VALU_DEP_1) | instskip(NEXT) | instid1(VALU_DEP_1)
	v_fma_f32 v71, v82, v80, -v83
	v_fmac_f32_e32 v71, v82, v70
	s_delay_alu instid0(VALU_DEP_1) | instskip(NEXT) | instid1(VALU_DEP_1)
	v_dual_add_f32 v84, v83, v71 :: v_dual_add_f32 v29, v29, v69
	v_sub_f32_e32 v85, v81, v84
	v_sub_f32_e32 v69, v84, v83
	s_delay_alu instid0(VALU_DEP_2) | instskip(NEXT) | instid1(VALU_DEP_2)
	v_sub_f32_e32 v81, v81, v85
	v_sub_f32_e32 v69, v69, v71
	s_delay_alu instid0(VALU_DEP_2) | instskip(NEXT) | instid1(VALU_DEP_1)
	v_sub_f32_e32 v81, v81, v84
	v_add_f32_e32 v29, v29, v81
	s_delay_alu instid0(VALU_DEP_1) | instskip(NEXT) | instid1(VALU_DEP_1)
	v_add_f32_e32 v29, v69, v29
	v_add_f32_e32 v69, v85, v29
	s_delay_alu instid0(VALU_DEP_1) | instskip(NEXT) | instid1(VALU_DEP_1)
	v_mul_f32_e32 v71, v68, v69
	v_dual_sub_f32 v84, v85, v69 :: v_dual_mul_f32 v81, v80, v71
	s_delay_alu instid0(VALU_DEP_1) | instskip(NEXT) | instid1(VALU_DEP_2)
	v_add_f32_e32 v29, v29, v84
	v_fma_f32 v80, v71, v80, -v81
	s_delay_alu instid0(VALU_DEP_1) | instskip(NEXT) | instid1(VALU_DEP_1)
	v_fmac_f32_e32 v80, v71, v70
	v_add_f32_e32 v70, v81, v80
	s_delay_alu instid0(VALU_DEP_1) | instskip(SKIP_1) | instid1(VALU_DEP_2)
	v_sub_f32_e32 v83, v69, v70
	v_sub_f32_e32 v81, v70, v81
	;; [unrolled: 1-line block ×3, first 2 shown]
	s_delay_alu instid0(VALU_DEP_1) | instskip(NEXT) | instid1(VALU_DEP_3)
	v_sub_f32_e32 v69, v69, v70
	v_sub_f32_e32 v70, v81, v80
	s_delay_alu instid0(VALU_DEP_2) | instskip(SKIP_1) | instid1(VALU_DEP_1)
	v_add_f32_e32 v29, v29, v69
	v_add_f32_e32 v69, v82, v71
	v_dual_add_f32 v29, v70, v29 :: v_dual_sub_f32 v70, v69, v82
	s_delay_alu instid0(VALU_DEP_1) | instskip(NEXT) | instid1(VALU_DEP_1)
	v_add_f32_e32 v29, v83, v29
	v_dual_sub_f32 v70, v71, v70 :: v_dual_mul_f32 v29, v68, v29
	s_delay_alu instid0(VALU_DEP_1) | instskip(NEXT) | instid1(VALU_DEP_1)
	v_add_f32_e32 v29, v70, v29
	v_add_f32_e32 v68, v69, v29
	s_delay_alu instid0(VALU_DEP_1) | instskip(NEXT) | instid1(VALU_DEP_1)
	v_mul_f32_e32 v70, v68, v68
	v_fmaak_f32 v71, s8, v70, 0x3ecc95a3
	v_mul_f32_e32 v80, v68, v70
	v_cmp_gt_f32_e64 s8, 0x33800000, |v31|
	s_delay_alu instid0(VALU_DEP_3) | instskip(SKIP_2) | instid1(VALU_DEP_4)
	v_fmaak_f32 v70, v70, v71, 0x3f2aaada
	v_ldexp_f32 v71, v68, 1
	v_sub_f32_e32 v68, v68, v69
	s_or_b32 vcc_lo, vcc_lo, s8
	s_delay_alu instid0(VALU_DEP_3) | instskip(SKIP_1) | instid1(VALU_DEP_3)
	v_mul_f32_e32 v70, v80, v70
	v_mul_f32_e32 v80, 0x3f317218, v28
	v_sub_f32_e32 v29, v29, v68
	s_delay_alu instid0(VALU_DEP_3) | instskip(NEXT) | instid1(VALU_DEP_2)
	v_add_f32_e32 v69, v71, v70
	v_ldexp_f32 v29, v29, 1
	s_delay_alu instid0(VALU_DEP_2) | instskip(SKIP_1) | instid1(VALU_DEP_2)
	v_sub_f32_e32 v68, v69, v71
	v_fma_f32 v71, 0x3f317218, v28, -v80
	v_sub_f32_e32 v68, v70, v68
	s_delay_alu instid0(VALU_DEP_1) | instskip(NEXT) | instid1(VALU_DEP_1)
	v_dual_fmamk_f32 v28, v28, 0xb102e308, v71 :: v_dual_add_f32 v29, v29, v68
	v_add_f32_e32 v68, v80, v28
	s_delay_alu instid0(VALU_DEP_2) | instskip(NEXT) | instid1(VALU_DEP_2)
	v_add_f32_e32 v70, v69, v29
	v_sub_f32_e32 v80, v68, v80
	s_delay_alu instid0(VALU_DEP_2) | instskip(NEXT) | instid1(VALU_DEP_2)
	v_add_f32_e32 v71, v68, v70
	v_dual_sub_f32 v69, v70, v69 :: v_dual_sub_f32 v28, v28, v80
	s_delay_alu instid0(VALU_DEP_2) | instskip(NEXT) | instid1(VALU_DEP_2)
	v_sub_f32_e32 v81, v71, v68
	v_sub_f32_e32 v29, v29, v69
	s_delay_alu instid0(VALU_DEP_2) | instskip(SKIP_1) | instid1(VALU_DEP_3)
	v_sub_f32_e32 v82, v71, v81
	v_sub_f32_e32 v69, v70, v81
	v_add_f32_e32 v70, v28, v29
	s_delay_alu instid0(VALU_DEP_3) | instskip(NEXT) | instid1(VALU_DEP_1)
	v_sub_f32_e32 v68, v68, v82
	v_add_f32_e32 v68, v69, v68
	s_delay_alu instid0(VALU_DEP_3) | instskip(NEXT) | instid1(VALU_DEP_2)
	v_sub_f32_e32 v69, v70, v28
	v_add_f32_e32 v68, v70, v68
	s_delay_alu instid0(VALU_DEP_2) | instskip(NEXT) | instid1(VALU_DEP_2)
	v_sub_f32_e32 v70, v70, v69
	v_dual_sub_f32 v29, v29, v69 :: v_dual_add_f32 v80, v71, v68
	s_delay_alu instid0(VALU_DEP_2) | instskip(NEXT) | instid1(VALU_DEP_1)
	v_sub_f32_e32 v28, v28, v70
	v_dual_sub_f32 v69, v80, v71 :: v_dual_add_f32 v28, v29, v28
	s_delay_alu instid0(VALU_DEP_1) | instskip(NEXT) | instid1(VALU_DEP_1)
	v_sub_f32_e32 v29, v68, v69
	v_add_f32_e32 v28, v28, v29
	s_delay_alu instid0(VALU_DEP_1) | instskip(NEXT) | instid1(VALU_DEP_1)
	v_add_f32_e32 v28, v80, v28
	v_cndmask_b32_e32 v28, v28, v31, vcc_lo
	s_delay_alu instid0(VALU_DEP_1) | instskip(NEXT) | instid1(VALU_DEP_1)
	v_add_f32_e32 v28, v30, v28
	v_cvt_f16_f32_e32 v28, v28
	s_delay_alu instid0(VALU_DEP_1)
	v_mov_b32_e32 v102, v28
	v_cvt_f32_f16_e32 v29, v28
.LBB390_59:
	s_or_b32 exec_lo, exec_lo, s7
	v_cvt_f32_f16_e32 v68, v54
	s_delay_alu instid0(VALU_DEP_2) | instskip(SKIP_2) | instid1(VALU_DEP_3)
	v_max_f32_e32 v30, v29, v29
	v_cmp_u_f16_e32 vcc_lo, v28, v28
	v_cmp_u_f16_e64 s7, v54, v54
	v_min_f32_e32 v31, v30, v68
	s_delay_alu instid0(VALU_DEP_1) | instskip(NEXT) | instid1(VALU_DEP_1)
	v_dual_max_f32 v30, v30, v68 :: v_dual_cndmask_b32 v31, v31, v29
	v_cndmask_b32_e32 v30, v30, v29, vcc_lo
	s_delay_alu instid0(VALU_DEP_2) | instskip(NEXT) | instid1(VALU_DEP_2)
	v_cndmask_b32_e64 v31, v31, v68, s7
	v_cndmask_b32_e64 v30, v30, v68, s7
	s_delay_alu instid0(VALU_DEP_2) | instskip(NEXT) | instid1(VALU_DEP_2)
	v_cmp_class_f32_e64 s8, v31, 0x1f8
	v_cmp_neq_f32_e32 vcc_lo, v31, v30
	s_delay_alu instid0(VALU_DEP_2) | instskip(NEXT) | instid1(SALU_CYCLE_1)
	s_or_b32 s9, vcc_lo, s8
	s_and_saveexec_b32 s8, s9
	s_cbranch_execz .LBB390_61
; %bb.60:
	v_sub_f32_e32 v28, v31, v30
	s_mov_b32 s9, 0x3e9b6dac
	s_delay_alu instid0(VALU_DEP_1) | instskip(NEXT) | instid1(VALU_DEP_1)
	v_mul_f32_e32 v29, 0x3fb8aa3b, v28
	v_fma_f32 v31, 0x3fb8aa3b, v28, -v29
	v_rndne_f32_e32 v69, v29
	s_delay_alu instid0(VALU_DEP_1) | instskip(NEXT) | instid1(VALU_DEP_3)
	v_sub_f32_e32 v29, v29, v69
	v_fmamk_f32 v31, v28, 0x32a5705f, v31
	v_cmp_ngt_f32_e32 vcc_lo, 0xc2ce8ed0, v28
	s_delay_alu instid0(VALU_DEP_2) | instskip(SKIP_1) | instid1(VALU_DEP_2)
	v_add_f32_e32 v29, v29, v31
	v_cvt_i32_f32_e32 v31, v69
	v_exp_f32_e32 v29, v29
	s_waitcnt_depctr 0xfff
	v_ldexp_f32 v29, v29, v31
	s_delay_alu instid0(VALU_DEP_1) | instskip(SKIP_1) | instid1(VALU_DEP_2)
	v_cndmask_b32_e32 v29, 0, v29, vcc_lo
	v_cmp_nlt_f32_e32 vcc_lo, 0x42b17218, v28
	v_cndmask_b32_e32 v31, 0x7f800000, v29, vcc_lo
	s_delay_alu instid0(VALU_DEP_1) | instskip(NEXT) | instid1(VALU_DEP_1)
	v_add_f32_e32 v69, 1.0, v31
	v_cvt_f64_f32_e32 v[28:29], v69
	s_delay_alu instid0(VALU_DEP_1) | instskip(SKIP_1) | instid1(VALU_DEP_1)
	v_frexp_exp_i32_f64_e32 v28, v[28:29]
	v_frexp_mant_f32_e32 v29, v69
	v_cmp_gt_f32_e32 vcc_lo, 0x3f2aaaab, v29
	v_add_f32_e32 v29, -1.0, v69
	s_delay_alu instid0(VALU_DEP_1) | instskip(SKIP_1) | instid1(VALU_DEP_2)
	v_sub_f32_e32 v71, v29, v69
	v_sub_f32_e32 v29, v31, v29
	v_add_f32_e32 v71, 1.0, v71
	s_delay_alu instid0(VALU_DEP_1) | instskip(SKIP_1) | instid1(VALU_DEP_1)
	v_add_f32_e32 v29, v29, v71
	v_subrev_co_ci_u32_e32 v28, vcc_lo, 0, v28, vcc_lo
	v_sub_nc_u32_e32 v70, 0, v28
	v_cvt_f32_i32_e32 v28, v28
	s_delay_alu instid0(VALU_DEP_2) | instskip(SKIP_1) | instid1(VALU_DEP_2)
	v_ldexp_f32 v69, v69, v70
	v_ldexp_f32 v29, v29, v70
	v_add_f32_e32 v80, 1.0, v69
	s_delay_alu instid0(VALU_DEP_1) | instskip(NEXT) | instid1(VALU_DEP_1)
	v_dual_add_f32 v70, -1.0, v69 :: v_dual_add_f32 v71, -1.0, v80
	v_add_f32_e32 v81, 1.0, v70
	s_delay_alu instid0(VALU_DEP_2) | instskip(NEXT) | instid1(VALU_DEP_2)
	v_sub_f32_e32 v71, v69, v71
	v_sub_f32_e32 v69, v69, v81
	s_delay_alu instid0(VALU_DEP_2) | instskip(NEXT) | instid1(VALU_DEP_2)
	v_add_f32_e32 v71, v29, v71
	v_add_f32_e32 v29, v29, v69
	s_delay_alu instid0(VALU_DEP_1) | instskip(NEXT) | instid1(VALU_DEP_1)
	v_dual_add_f32 v81, v80, v71 :: v_dual_add_f32 v82, v70, v29
	v_rcp_f32_e32 v69, v81
	v_sub_f32_e32 v80, v80, v81
	s_delay_alu instid0(VALU_DEP_1) | instskip(SKIP_3) | instid1(VALU_DEP_2)
	v_dual_sub_f32 v70, v70, v82 :: v_dual_add_f32 v71, v71, v80
	s_waitcnt_depctr 0xfff
	v_mul_f32_e32 v83, v82, v69
	v_add_f32_e32 v29, v29, v70
	v_mul_f32_e32 v84, v81, v83
	s_delay_alu instid0(VALU_DEP_1) | instskip(NEXT) | instid1(VALU_DEP_1)
	v_fma_f32 v80, v83, v81, -v84
	v_fmac_f32_e32 v80, v83, v71
	v_cmp_eq_f32_e32 vcc_lo, 0x7f800000, v31
	s_delay_alu instid0(VALU_DEP_2) | instskip(NEXT) | instid1(VALU_DEP_1)
	v_add_f32_e32 v85, v84, v80
	v_sub_f32_e32 v86, v82, v85
	v_sub_f32_e32 v70, v85, v84
	s_delay_alu instid0(VALU_DEP_2) | instskip(NEXT) | instid1(VALU_DEP_2)
	v_sub_f32_e32 v82, v82, v86
	v_sub_f32_e32 v70, v70, v80
	s_delay_alu instid0(VALU_DEP_2) | instskip(NEXT) | instid1(VALU_DEP_1)
	v_sub_f32_e32 v82, v82, v85
	v_add_f32_e32 v29, v29, v82
	s_delay_alu instid0(VALU_DEP_1) | instskip(NEXT) | instid1(VALU_DEP_1)
	v_add_f32_e32 v29, v70, v29
	v_add_f32_e32 v70, v86, v29
	s_delay_alu instid0(VALU_DEP_1) | instskip(NEXT) | instid1(VALU_DEP_1)
	v_mul_f32_e32 v80, v69, v70
	v_dual_sub_f32 v85, v86, v70 :: v_dual_mul_f32 v82, v81, v80
	s_delay_alu instid0(VALU_DEP_1) | instskip(NEXT) | instid1(VALU_DEP_2)
	v_add_f32_e32 v29, v29, v85
	v_fma_f32 v81, v80, v81, -v82
	s_delay_alu instid0(VALU_DEP_1) | instskip(NEXT) | instid1(VALU_DEP_1)
	v_fmac_f32_e32 v81, v80, v71
	v_add_f32_e32 v71, v82, v81
	s_delay_alu instid0(VALU_DEP_1) | instskip(SKIP_1) | instid1(VALU_DEP_2)
	v_sub_f32_e32 v84, v70, v71
	v_sub_f32_e32 v82, v71, v82
	;; [unrolled: 1-line block ×3, first 2 shown]
	s_delay_alu instid0(VALU_DEP_1) | instskip(NEXT) | instid1(VALU_DEP_3)
	v_sub_f32_e32 v70, v70, v71
	v_sub_f32_e32 v71, v82, v81
	s_delay_alu instid0(VALU_DEP_2) | instskip(NEXT) | instid1(VALU_DEP_1)
	v_dual_add_f32 v29, v29, v70 :: v_dual_add_f32 v70, v83, v80
	v_add_f32_e32 v29, v71, v29
	s_delay_alu instid0(VALU_DEP_2) | instskip(NEXT) | instid1(VALU_DEP_2)
	v_sub_f32_e32 v71, v70, v83
	v_add_f32_e32 v29, v84, v29
	s_delay_alu instid0(VALU_DEP_2) | instskip(NEXT) | instid1(VALU_DEP_2)
	v_sub_f32_e32 v71, v80, v71
	v_mul_f32_e32 v29, v69, v29
	s_delay_alu instid0(VALU_DEP_1) | instskip(NEXT) | instid1(VALU_DEP_1)
	v_add_f32_e32 v29, v71, v29
	v_add_f32_e32 v69, v70, v29
	s_delay_alu instid0(VALU_DEP_1) | instskip(NEXT) | instid1(VALU_DEP_1)
	v_mul_f32_e32 v71, v69, v69
	v_fmaak_f32 v80, s9, v71, 0x3ecc95a3
	v_mul_f32_e32 v81, v69, v71
	v_cmp_gt_f32_e64 s9, 0x33800000, |v31|
	s_delay_alu instid0(VALU_DEP_3) | instskip(SKIP_2) | instid1(VALU_DEP_4)
	v_fmaak_f32 v71, v71, v80, 0x3f2aaada
	v_ldexp_f32 v80, v69, 1
	v_sub_f32_e32 v69, v69, v70
	s_or_b32 vcc_lo, vcc_lo, s9
	s_delay_alu instid0(VALU_DEP_3) | instskip(SKIP_1) | instid1(VALU_DEP_2)
	v_mul_f32_e32 v71, v81, v71
	v_mul_f32_e32 v81, 0x3f317218, v28
	v_dual_sub_f32 v29, v29, v69 :: v_dual_add_f32 v70, v80, v71
	s_delay_alu instid0(VALU_DEP_1) | instskip(NEXT) | instid1(VALU_DEP_2)
	v_ldexp_f32 v29, v29, 1
	v_sub_f32_e32 v69, v70, v80
	s_delay_alu instid0(VALU_DEP_4) | instskip(NEXT) | instid1(VALU_DEP_1)
	v_fma_f32 v80, 0x3f317218, v28, -v81
	v_dual_sub_f32 v69, v71, v69 :: v_dual_fmamk_f32 v28, v28, 0xb102e308, v80
	s_delay_alu instid0(VALU_DEP_1) | instskip(NEXT) | instid1(VALU_DEP_2)
	v_add_f32_e32 v29, v29, v69
	v_add_f32_e32 v69, v81, v28
	s_delay_alu instid0(VALU_DEP_2) | instskip(NEXT) | instid1(VALU_DEP_2)
	v_add_f32_e32 v71, v70, v29
	v_sub_f32_e32 v81, v69, v81
	s_delay_alu instid0(VALU_DEP_2) | instskip(SKIP_1) | instid1(VALU_DEP_3)
	v_add_f32_e32 v80, v69, v71
	v_sub_f32_e32 v70, v71, v70
	v_sub_f32_e32 v28, v28, v81
	s_delay_alu instid0(VALU_DEP_2) | instskip(NEXT) | instid1(VALU_DEP_1)
	v_dual_sub_f32 v82, v80, v69 :: v_dual_sub_f32 v29, v29, v70
	v_sub_f32_e32 v83, v80, v82
	s_delay_alu instid0(VALU_DEP_2) | instskip(NEXT) | instid1(VALU_DEP_2)
	v_dual_sub_f32 v70, v71, v82 :: v_dual_add_f32 v71, v28, v29
	v_sub_f32_e32 v69, v69, v83
	s_delay_alu instid0(VALU_DEP_1) | instskip(NEXT) | instid1(VALU_DEP_1)
	v_dual_add_f32 v69, v70, v69 :: v_dual_sub_f32 v70, v71, v28
	v_add_f32_e32 v69, v71, v69
	s_delay_alu instid0(VALU_DEP_2) | instskip(SKIP_1) | instid1(VALU_DEP_3)
	v_sub_f32_e32 v71, v71, v70
	v_sub_f32_e32 v29, v29, v70
	v_add_f32_e32 v81, v80, v69
	s_delay_alu instid0(VALU_DEP_3) | instskip(NEXT) | instid1(VALU_DEP_2)
	v_sub_f32_e32 v28, v28, v71
	v_sub_f32_e32 v70, v81, v80
	s_delay_alu instid0(VALU_DEP_2) | instskip(NEXT) | instid1(VALU_DEP_2)
	v_add_f32_e32 v28, v29, v28
	v_sub_f32_e32 v29, v69, v70
	s_delay_alu instid0(VALU_DEP_1) | instskip(NEXT) | instid1(VALU_DEP_1)
	v_add_f32_e32 v28, v28, v29
	v_add_f32_e32 v28, v81, v28
	s_delay_alu instid0(VALU_DEP_1) | instskip(NEXT) | instid1(VALU_DEP_1)
	v_cndmask_b32_e32 v28, v28, v31, vcc_lo
	v_add_f32_e32 v28, v30, v28
	s_delay_alu instid0(VALU_DEP_1) | instskip(NEXT) | instid1(VALU_DEP_1)
	v_cvt_f16_f32_e32 v28, v28
	v_mov_b32_e32 v102, v28
	v_cvt_f32_f16_e32 v29, v28
.LBB390_61:
	s_or_b32 exec_lo, exec_lo, s8
	v_cvt_f32_f16_e32 v69, v27
	s_delay_alu instid0(VALU_DEP_2) | instskip(SKIP_2) | instid1(VALU_DEP_3)
	v_max_f32_e32 v30, v29, v29
	v_cmp_u_f16_e32 vcc_lo, v28, v28
	v_cmp_u_f16_e64 s8, v27, v27
	v_min_f32_e32 v31, v30, v69
	v_max_f32_e32 v30, v30, v69
	s_delay_alu instid0(VALU_DEP_2) | instskip(NEXT) | instid1(VALU_DEP_2)
	v_cndmask_b32_e32 v31, v31, v29, vcc_lo
	v_cndmask_b32_e32 v30, v30, v29, vcc_lo
	s_delay_alu instid0(VALU_DEP_2) | instskip(NEXT) | instid1(VALU_DEP_2)
	v_cndmask_b32_e64 v31, v31, v69, s8
	v_cndmask_b32_e64 v30, v30, v69, s8
	s_delay_alu instid0(VALU_DEP_2) | instskip(NEXT) | instid1(VALU_DEP_2)
	v_cmp_class_f32_e64 s9, v31, 0x1f8
	v_cmp_neq_f32_e32 vcc_lo, v31, v30
	s_delay_alu instid0(VALU_DEP_2) | instskip(NEXT) | instid1(SALU_CYCLE_1)
	s_or_b32 s10, vcc_lo, s9
	s_and_saveexec_b32 s9, s10
	s_cbranch_execz .LBB390_63
; %bb.62:
	v_sub_f32_e32 v28, v31, v30
	s_mov_b32 s10, 0x3e9b6dac
	s_delay_alu instid0(VALU_DEP_1) | instskip(NEXT) | instid1(VALU_DEP_1)
	v_mul_f32_e32 v29, 0x3fb8aa3b, v28
	v_fma_f32 v31, 0x3fb8aa3b, v28, -v29
	v_rndne_f32_e32 v70, v29
	s_delay_alu instid0(VALU_DEP_2) | instskip(NEXT) | instid1(VALU_DEP_2)
	v_fmamk_f32 v31, v28, 0x32a5705f, v31
	v_sub_f32_e32 v29, v29, v70
	s_delay_alu instid0(VALU_DEP_1) | instskip(SKIP_2) | instid1(VALU_DEP_3)
	v_add_f32_e32 v29, v29, v31
	v_cvt_i32_f32_e32 v31, v70
	v_cmp_ngt_f32_e32 vcc_lo, 0xc2ce8ed0, v28
	v_exp_f32_e32 v29, v29
	s_waitcnt_depctr 0xfff
	v_ldexp_f32 v29, v29, v31
	s_delay_alu instid0(VALU_DEP_1) | instskip(SKIP_1) | instid1(VALU_DEP_2)
	v_cndmask_b32_e32 v29, 0, v29, vcc_lo
	v_cmp_nlt_f32_e32 vcc_lo, 0x42b17218, v28
	v_cndmask_b32_e32 v31, 0x7f800000, v29, vcc_lo
	s_delay_alu instid0(VALU_DEP_1) | instskip(NEXT) | instid1(VALU_DEP_1)
	v_add_f32_e32 v70, 1.0, v31
	v_cvt_f64_f32_e32 v[28:29], v70
	s_delay_alu instid0(VALU_DEP_1) | instskip(SKIP_1) | instid1(VALU_DEP_1)
	v_frexp_exp_i32_f64_e32 v28, v[28:29]
	v_frexp_mant_f32_e32 v29, v70
	v_cmp_gt_f32_e32 vcc_lo, 0x3f2aaaab, v29
	v_add_f32_e32 v29, -1.0, v70
	s_delay_alu instid0(VALU_DEP_1) | instskip(NEXT) | instid1(VALU_DEP_1)
	v_sub_f32_e32 v80, v29, v70
	v_add_f32_e32 v80, 1.0, v80
	v_subrev_co_ci_u32_e32 v28, vcc_lo, 0, v28, vcc_lo
	s_delay_alu instid0(VALU_DEP_1) | instskip(SKIP_1) | instid1(VALU_DEP_2)
	v_sub_nc_u32_e32 v71, 0, v28
	v_cvt_f32_i32_e32 v28, v28
	v_ldexp_f32 v70, v70, v71
	v_sub_f32_e32 v29, v31, v29
	s_delay_alu instid0(VALU_DEP_1) | instskip(NEXT) | instid1(VALU_DEP_1)
	v_add_f32_e32 v29, v29, v80
	v_ldexp_f32 v29, v29, v71
	s_delay_alu instid0(VALU_DEP_4) | instskip(NEXT) | instid1(VALU_DEP_1)
	v_add_f32_e32 v81, 1.0, v70
	v_add_f32_e32 v80, -1.0, v81
	s_delay_alu instid0(VALU_DEP_1) | instskip(NEXT) | instid1(VALU_DEP_1)
	v_sub_f32_e32 v80, v70, v80
	v_dual_add_f32 v80, v29, v80 :: v_dual_add_f32 v71, -1.0, v70
	s_delay_alu instid0(VALU_DEP_1) | instskip(SKIP_1) | instid1(VALU_DEP_2)
	v_add_f32_e32 v82, 1.0, v71
	v_cmp_eq_f32_e32 vcc_lo, 0x7f800000, v31
	v_sub_f32_e32 v70, v70, v82
	s_delay_alu instid0(VALU_DEP_4) | instskip(NEXT) | instid1(VALU_DEP_1)
	v_add_f32_e32 v82, v81, v80
	v_sub_f32_e32 v81, v81, v82
	s_delay_alu instid0(VALU_DEP_3) | instskip(SKIP_1) | instid1(VALU_DEP_2)
	v_add_f32_e32 v29, v29, v70
	v_rcp_f32_e32 v70, v82
	v_add_f32_e32 v80, v80, v81
	s_delay_alu instid0(VALU_DEP_2) | instskip(NEXT) | instid1(VALU_DEP_1)
	v_add_f32_e32 v83, v71, v29
	v_sub_f32_e32 v71, v71, v83
	s_waitcnt_depctr 0xfff
	v_dual_mul_f32 v84, v83, v70 :: v_dual_add_f32 v29, v29, v71
	s_delay_alu instid0(VALU_DEP_1) | instskip(NEXT) | instid1(VALU_DEP_1)
	v_mul_f32_e32 v85, v82, v84
	v_fma_f32 v81, v84, v82, -v85
	s_delay_alu instid0(VALU_DEP_1) | instskip(NEXT) | instid1(VALU_DEP_1)
	v_fmac_f32_e32 v81, v84, v80
	v_add_f32_e32 v86, v85, v81
	s_delay_alu instid0(VALU_DEP_1) | instskip(SKIP_1) | instid1(VALU_DEP_2)
	v_sub_f32_e32 v87, v83, v86
	v_sub_f32_e32 v71, v86, v85
	;; [unrolled: 1-line block ×3, first 2 shown]
	s_delay_alu instid0(VALU_DEP_2) | instskip(NEXT) | instid1(VALU_DEP_2)
	v_sub_f32_e32 v71, v71, v81
	v_sub_f32_e32 v83, v83, v86
	s_delay_alu instid0(VALU_DEP_1) | instskip(NEXT) | instid1(VALU_DEP_1)
	v_add_f32_e32 v29, v29, v83
	v_add_f32_e32 v29, v71, v29
	s_delay_alu instid0(VALU_DEP_1) | instskip(NEXT) | instid1(VALU_DEP_1)
	v_add_f32_e32 v71, v87, v29
	v_mul_f32_e32 v81, v70, v71
	s_delay_alu instid0(VALU_DEP_1) | instskip(NEXT) | instid1(VALU_DEP_1)
	v_dual_sub_f32 v86, v87, v71 :: v_dual_mul_f32 v83, v82, v81
	v_add_f32_e32 v29, v29, v86
	s_delay_alu instid0(VALU_DEP_2) | instskip(NEXT) | instid1(VALU_DEP_1)
	v_fma_f32 v82, v81, v82, -v83
	v_fmac_f32_e32 v82, v81, v80
	s_delay_alu instid0(VALU_DEP_1) | instskip(NEXT) | instid1(VALU_DEP_1)
	v_add_f32_e32 v80, v83, v82
	v_sub_f32_e32 v85, v71, v80
	v_sub_f32_e32 v83, v80, v83
	s_delay_alu instid0(VALU_DEP_2) | instskip(NEXT) | instid1(VALU_DEP_1)
	v_sub_f32_e32 v71, v71, v85
	v_sub_f32_e32 v71, v71, v80
	s_delay_alu instid0(VALU_DEP_1) | instskip(SKIP_1) | instid1(VALU_DEP_1)
	v_dual_sub_f32 v80, v83, v82 :: v_dual_add_f32 v29, v29, v71
	v_add_f32_e32 v71, v84, v81
	v_dual_add_f32 v29, v80, v29 :: v_dual_sub_f32 v80, v71, v84
	s_delay_alu instid0(VALU_DEP_1) | instskip(NEXT) | instid1(VALU_DEP_1)
	v_add_f32_e32 v29, v85, v29
	v_dual_sub_f32 v80, v81, v80 :: v_dual_mul_f32 v29, v70, v29
	s_delay_alu instid0(VALU_DEP_1) | instskip(NEXT) | instid1(VALU_DEP_1)
	v_add_f32_e32 v29, v80, v29
	v_add_f32_e32 v70, v71, v29
	s_delay_alu instid0(VALU_DEP_1) | instskip(NEXT) | instid1(VALU_DEP_1)
	v_mul_f32_e32 v80, v70, v70
	v_fmaak_f32 v81, s10, v80, 0x3ecc95a3
	v_mul_f32_e32 v82, v70, v80
	v_cmp_gt_f32_e64 s10, 0x33800000, |v31|
	s_delay_alu instid0(VALU_DEP_3) | instskip(SKIP_2) | instid1(VALU_DEP_4)
	v_fmaak_f32 v80, v80, v81, 0x3f2aaada
	v_ldexp_f32 v81, v70, 1
	v_sub_f32_e32 v70, v70, v71
	s_or_b32 vcc_lo, vcc_lo, s10
	s_delay_alu instid0(VALU_DEP_3) | instskip(NEXT) | instid1(VALU_DEP_2)
	v_mul_f32_e32 v80, v82, v80
	v_dual_mul_f32 v82, 0x3f317218, v28 :: v_dual_sub_f32 v29, v29, v70
	s_delay_alu instid0(VALU_DEP_2) | instskip(NEXT) | instid1(VALU_DEP_2)
	v_add_f32_e32 v71, v81, v80
	v_ldexp_f32 v29, v29, 1
	s_delay_alu instid0(VALU_DEP_2) | instskip(NEXT) | instid1(VALU_DEP_4)
	v_sub_f32_e32 v70, v71, v81
	v_fma_f32 v81, 0x3f317218, v28, -v82
	s_delay_alu instid0(VALU_DEP_2) | instskip(NEXT) | instid1(VALU_DEP_1)
	v_sub_f32_e32 v70, v80, v70
	v_dual_fmamk_f32 v28, v28, 0xb102e308, v81 :: v_dual_add_f32 v29, v29, v70
	s_delay_alu instid0(VALU_DEP_1) | instskip(NEXT) | instid1(VALU_DEP_2)
	v_add_f32_e32 v70, v82, v28
	v_add_f32_e32 v80, v71, v29
	s_delay_alu instid0(VALU_DEP_2) | instskip(NEXT) | instid1(VALU_DEP_2)
	v_sub_f32_e32 v82, v70, v82
	v_add_f32_e32 v81, v70, v80
	v_sub_f32_e32 v71, v80, v71
	s_delay_alu instid0(VALU_DEP_3) | instskip(NEXT) | instid1(VALU_DEP_3)
	v_sub_f32_e32 v28, v28, v82
	v_sub_f32_e32 v83, v81, v70
	s_delay_alu instid0(VALU_DEP_3) | instskip(NEXT) | instid1(VALU_DEP_2)
	v_sub_f32_e32 v29, v29, v71
	v_sub_f32_e32 v84, v81, v83
	v_sub_f32_e32 v71, v80, v83
	s_delay_alu instid0(VALU_DEP_3) | instskip(NEXT) | instid1(VALU_DEP_3)
	v_add_f32_e32 v80, v28, v29
	v_sub_f32_e32 v70, v70, v84
	s_delay_alu instid0(VALU_DEP_1) | instskip(NEXT) | instid1(VALU_DEP_1)
	v_dual_add_f32 v70, v71, v70 :: v_dual_sub_f32 v71, v80, v28
	v_add_f32_e32 v70, v80, v70
	s_delay_alu instid0(VALU_DEP_2) | instskip(SKIP_1) | instid1(VALU_DEP_3)
	v_sub_f32_e32 v80, v80, v71
	v_sub_f32_e32 v29, v29, v71
	v_add_f32_e32 v82, v81, v70
	s_delay_alu instid0(VALU_DEP_1) | instskip(NEXT) | instid1(VALU_DEP_1)
	v_dual_sub_f32 v28, v28, v80 :: v_dual_sub_f32 v71, v82, v81
	v_dual_add_f32 v28, v29, v28 :: v_dual_sub_f32 v29, v70, v71
	s_delay_alu instid0(VALU_DEP_1) | instskip(NEXT) | instid1(VALU_DEP_1)
	v_add_f32_e32 v28, v28, v29
	v_add_f32_e32 v28, v82, v28
	s_delay_alu instid0(VALU_DEP_1) | instskip(NEXT) | instid1(VALU_DEP_1)
	v_cndmask_b32_e32 v28, v28, v31, vcc_lo
	v_add_f32_e32 v28, v30, v28
	s_delay_alu instid0(VALU_DEP_1) | instskip(NEXT) | instid1(VALU_DEP_1)
	v_cvt_f16_f32_e32 v28, v28
	v_mov_b32_e32 v102, v28
	v_cvt_f32_f16_e32 v29, v28
.LBB390_63:
	s_or_b32 exec_lo, exec_lo, s9
	v_cvt_f32_f16_e32 v70, v53
	s_delay_alu instid0(VALU_DEP_2) | instskip(SKIP_2) | instid1(VALU_DEP_3)
	v_max_f32_e32 v30, v29, v29
	v_cmp_u_f16_e32 vcc_lo, v28, v28
	v_cmp_u_f16_e64 s9, v53, v53
	v_min_f32_e32 v31, v30, v70
	s_delay_alu instid0(VALU_DEP_1) | instskip(NEXT) | instid1(VALU_DEP_1)
	v_dual_max_f32 v30, v30, v70 :: v_dual_cndmask_b32 v31, v31, v29
	v_cndmask_b32_e32 v30, v30, v29, vcc_lo
	s_delay_alu instid0(VALU_DEP_2) | instskip(NEXT) | instid1(VALU_DEP_2)
	v_cndmask_b32_e64 v31, v31, v70, s9
	v_cndmask_b32_e64 v30, v30, v70, s9
	s_delay_alu instid0(VALU_DEP_2) | instskip(NEXT) | instid1(VALU_DEP_2)
	v_cmp_class_f32_e64 s10, v31, 0x1f8
	v_cmp_neq_f32_e32 vcc_lo, v31, v30
	s_delay_alu instid0(VALU_DEP_2) | instskip(NEXT) | instid1(SALU_CYCLE_1)
	s_or_b32 s11, vcc_lo, s10
	s_and_saveexec_b32 s10, s11
	s_cbranch_execz .LBB390_65
; %bb.64:
	v_sub_f32_e32 v28, v31, v30
	s_mov_b32 s11, 0x3e9b6dac
	s_delay_alu instid0(VALU_DEP_1) | instskip(NEXT) | instid1(VALU_DEP_1)
	v_mul_f32_e32 v29, 0x3fb8aa3b, v28
	v_fma_f32 v31, 0x3fb8aa3b, v28, -v29
	v_rndne_f32_e32 v71, v29
	s_delay_alu instid0(VALU_DEP_1) | instskip(NEXT) | instid1(VALU_DEP_3)
	v_sub_f32_e32 v29, v29, v71
	v_fmamk_f32 v31, v28, 0x32a5705f, v31
	v_cmp_ngt_f32_e32 vcc_lo, 0xc2ce8ed0, v28
	s_delay_alu instid0(VALU_DEP_2) | instskip(SKIP_1) | instid1(VALU_DEP_2)
	v_add_f32_e32 v29, v29, v31
	v_cvt_i32_f32_e32 v31, v71
	v_exp_f32_e32 v29, v29
	s_waitcnt_depctr 0xfff
	v_ldexp_f32 v29, v29, v31
	s_delay_alu instid0(VALU_DEP_1) | instskip(SKIP_1) | instid1(VALU_DEP_2)
	v_cndmask_b32_e32 v29, 0, v29, vcc_lo
	v_cmp_nlt_f32_e32 vcc_lo, 0x42b17218, v28
	v_cndmask_b32_e32 v31, 0x7f800000, v29, vcc_lo
	s_delay_alu instid0(VALU_DEP_1) | instskip(NEXT) | instid1(VALU_DEP_1)
	v_add_f32_e32 v71, 1.0, v31
	v_cvt_f64_f32_e32 v[28:29], v71
	s_delay_alu instid0(VALU_DEP_1) | instskip(SKIP_1) | instid1(VALU_DEP_1)
	v_frexp_exp_i32_f64_e32 v28, v[28:29]
	v_frexp_mant_f32_e32 v29, v71
	v_cmp_gt_f32_e32 vcc_lo, 0x3f2aaaab, v29
	v_add_f32_e32 v29, -1.0, v71
	s_delay_alu instid0(VALU_DEP_1) | instskip(SKIP_1) | instid1(VALU_DEP_2)
	v_sub_f32_e32 v81, v29, v71
	v_sub_f32_e32 v29, v31, v29
	v_add_f32_e32 v81, 1.0, v81
	s_delay_alu instid0(VALU_DEP_1) | instskip(SKIP_1) | instid1(VALU_DEP_1)
	v_add_f32_e32 v29, v29, v81
	v_subrev_co_ci_u32_e32 v28, vcc_lo, 0, v28, vcc_lo
	v_sub_nc_u32_e32 v80, 0, v28
	v_cvt_f32_i32_e32 v28, v28
	s_delay_alu instid0(VALU_DEP_2) | instskip(SKIP_1) | instid1(VALU_DEP_2)
	v_ldexp_f32 v71, v71, v80
	v_ldexp_f32 v29, v29, v80
	v_add_f32_e32 v82, 1.0, v71
	s_delay_alu instid0(VALU_DEP_1) | instskip(NEXT) | instid1(VALU_DEP_1)
	v_dual_add_f32 v80, -1.0, v71 :: v_dual_add_f32 v81, -1.0, v82
	v_add_f32_e32 v83, 1.0, v80
	s_delay_alu instid0(VALU_DEP_2) | instskip(NEXT) | instid1(VALU_DEP_2)
	v_sub_f32_e32 v81, v71, v81
	v_sub_f32_e32 v71, v71, v83
	s_delay_alu instid0(VALU_DEP_2) | instskip(NEXT) | instid1(VALU_DEP_1)
	v_add_f32_e32 v81, v29, v81
	v_add_f32_e32 v83, v82, v81
	s_delay_alu instid0(VALU_DEP_3) | instskip(NEXT) | instid1(VALU_DEP_2)
	v_add_f32_e32 v29, v29, v71
	v_rcp_f32_e32 v71, v83
	s_delay_alu instid0(VALU_DEP_1) | instskip(SKIP_1) | instid1(VALU_DEP_1)
	v_add_f32_e32 v84, v80, v29
	v_sub_f32_e32 v82, v82, v83
	v_dual_sub_f32 v80, v80, v84 :: v_dual_add_f32 v81, v81, v82
	s_waitcnt_depctr 0xfff
	v_mul_f32_e32 v85, v84, v71
	s_delay_alu instid0(VALU_DEP_1) | instskip(NEXT) | instid1(VALU_DEP_1)
	v_dual_add_f32 v29, v29, v80 :: v_dual_mul_f32 v86, v83, v85
	v_fma_f32 v82, v85, v83, -v86
	s_delay_alu instid0(VALU_DEP_1) | instskip(NEXT) | instid1(VALU_DEP_1)
	v_fmac_f32_e32 v82, v85, v81
	v_add_f32_e32 v87, v86, v82
	s_delay_alu instid0(VALU_DEP_1) | instskip(SKIP_2) | instid1(VALU_DEP_3)
	v_sub_f32_e32 v96, v84, v87
	v_sub_f32_e32 v80, v87, v86
	v_cmp_eq_f32_e32 vcc_lo, 0x7f800000, v31
	v_sub_f32_e32 v84, v84, v96
	s_delay_alu instid0(VALU_DEP_3) | instskip(NEXT) | instid1(VALU_DEP_2)
	v_sub_f32_e32 v80, v80, v82
	v_sub_f32_e32 v84, v84, v87
	s_delay_alu instid0(VALU_DEP_1) | instskip(NEXT) | instid1(VALU_DEP_1)
	v_add_f32_e32 v29, v29, v84
	v_add_f32_e32 v29, v80, v29
	s_delay_alu instid0(VALU_DEP_1) | instskip(NEXT) | instid1(VALU_DEP_1)
	v_add_f32_e32 v80, v96, v29
	v_mul_f32_e32 v82, v71, v80
	s_delay_alu instid0(VALU_DEP_1) | instskip(NEXT) | instid1(VALU_DEP_1)
	v_dual_sub_f32 v87, v96, v80 :: v_dual_mul_f32 v84, v83, v82
	v_add_f32_e32 v29, v29, v87
	s_delay_alu instid0(VALU_DEP_2) | instskip(NEXT) | instid1(VALU_DEP_1)
	v_fma_f32 v83, v82, v83, -v84
	v_fmac_f32_e32 v83, v82, v81
	s_delay_alu instid0(VALU_DEP_1) | instskip(NEXT) | instid1(VALU_DEP_1)
	v_add_f32_e32 v81, v84, v83
	v_sub_f32_e32 v86, v80, v81
	v_sub_f32_e32 v84, v81, v84
	s_delay_alu instid0(VALU_DEP_2) | instskip(NEXT) | instid1(VALU_DEP_1)
	v_sub_f32_e32 v80, v80, v86
	v_sub_f32_e32 v80, v80, v81
	s_delay_alu instid0(VALU_DEP_3) | instskip(NEXT) | instid1(VALU_DEP_2)
	v_sub_f32_e32 v81, v84, v83
	v_add_f32_e32 v29, v29, v80
	v_add_f32_e32 v80, v85, v82
	s_delay_alu instid0(VALU_DEP_2) | instskip(NEXT) | instid1(VALU_DEP_2)
	v_add_f32_e32 v29, v81, v29
	v_sub_f32_e32 v81, v80, v85
	s_delay_alu instid0(VALU_DEP_2) | instskip(NEXT) | instid1(VALU_DEP_2)
	v_add_f32_e32 v29, v86, v29
	v_sub_f32_e32 v81, v82, v81
	s_delay_alu instid0(VALU_DEP_2) | instskip(NEXT) | instid1(VALU_DEP_1)
	v_mul_f32_e32 v29, v71, v29
	v_add_f32_e32 v29, v81, v29
	s_delay_alu instid0(VALU_DEP_1) | instskip(NEXT) | instid1(VALU_DEP_1)
	v_add_f32_e32 v71, v80, v29
	v_mul_f32_e32 v81, v71, v71
	s_delay_alu instid0(VALU_DEP_1) | instskip(SKIP_2) | instid1(VALU_DEP_3)
	v_fmaak_f32 v82, s11, v81, 0x3ecc95a3
	v_mul_f32_e32 v83, v71, v81
	v_cmp_gt_f32_e64 s11, 0x33800000, |v31|
	v_fmaak_f32 v81, v81, v82, 0x3f2aaada
	v_ldexp_f32 v82, v71, 1
	v_sub_f32_e32 v71, v71, v80
	s_delay_alu instid0(VALU_DEP_4) | instskip(NEXT) | instid1(VALU_DEP_3)
	s_or_b32 vcc_lo, vcc_lo, s11
	v_mul_f32_e32 v81, v83, v81
	v_mul_f32_e32 v83, 0x3f317218, v28
	s_delay_alu instid0(VALU_DEP_2) | instskip(NEXT) | instid1(VALU_DEP_1)
	v_dual_sub_f32 v29, v29, v71 :: v_dual_add_f32 v80, v82, v81
	v_ldexp_f32 v29, v29, 1
	s_delay_alu instid0(VALU_DEP_2) | instskip(NEXT) | instid1(VALU_DEP_4)
	v_sub_f32_e32 v71, v80, v82
	v_fma_f32 v82, 0x3f317218, v28, -v83
	s_delay_alu instid0(VALU_DEP_1) | instskip(NEXT) | instid1(VALU_DEP_1)
	v_dual_sub_f32 v71, v81, v71 :: v_dual_fmamk_f32 v28, v28, 0xb102e308, v82
	v_add_f32_e32 v29, v29, v71
	s_delay_alu instid0(VALU_DEP_2) | instskip(NEXT) | instid1(VALU_DEP_2)
	v_add_f32_e32 v71, v83, v28
	v_add_f32_e32 v81, v80, v29
	s_delay_alu instid0(VALU_DEP_2) | instskip(NEXT) | instid1(VALU_DEP_2)
	v_sub_f32_e32 v83, v71, v83
	v_add_f32_e32 v82, v71, v81
	v_sub_f32_e32 v80, v81, v80
	s_delay_alu instid0(VALU_DEP_3) | instskip(NEXT) | instid1(VALU_DEP_2)
	v_sub_f32_e32 v28, v28, v83
	v_dual_sub_f32 v84, v82, v71 :: v_dual_sub_f32 v29, v29, v80
	s_delay_alu instid0(VALU_DEP_1) | instskip(NEXT) | instid1(VALU_DEP_2)
	v_sub_f32_e32 v85, v82, v84
	v_dual_sub_f32 v80, v81, v84 :: v_dual_add_f32 v81, v28, v29
	s_delay_alu instid0(VALU_DEP_2) | instskip(NEXT) | instid1(VALU_DEP_1)
	v_sub_f32_e32 v71, v71, v85
	v_dual_add_f32 v71, v80, v71 :: v_dual_sub_f32 v80, v81, v28
	s_delay_alu instid0(VALU_DEP_1) | instskip(NEXT) | instid1(VALU_DEP_2)
	v_add_f32_e32 v71, v81, v71
	v_sub_f32_e32 v81, v81, v80
	v_sub_f32_e32 v29, v29, v80
	s_delay_alu instid0(VALU_DEP_2) | instskip(NEXT) | instid1(VALU_DEP_1)
	v_dual_add_f32 v83, v82, v71 :: v_dual_sub_f32 v28, v28, v81
	v_sub_f32_e32 v80, v83, v82
	s_delay_alu instid0(VALU_DEP_2) | instskip(NEXT) | instid1(VALU_DEP_2)
	v_add_f32_e32 v28, v29, v28
	v_sub_f32_e32 v29, v71, v80
	s_delay_alu instid0(VALU_DEP_1) | instskip(NEXT) | instid1(VALU_DEP_1)
	v_add_f32_e32 v28, v28, v29
	v_add_f32_e32 v28, v83, v28
	s_delay_alu instid0(VALU_DEP_1) | instskip(NEXT) | instid1(VALU_DEP_1)
	v_cndmask_b32_e32 v28, v28, v31, vcc_lo
	v_add_f32_e32 v28, v30, v28
	s_delay_alu instid0(VALU_DEP_1) | instskip(NEXT) | instid1(VALU_DEP_1)
	v_cvt_f16_f32_e32 v28, v28
	v_cvt_f32_f16_e32 v29, v28
	v_mov_b32_e32 v102, v28
.LBB390_65:
	s_or_b32 exec_lo, exec_lo, s10
	v_cvt_f32_f16_e32 v71, v24
	s_delay_alu instid0(VALU_DEP_3) | instskip(SKIP_2) | instid1(VALU_DEP_3)
	v_max_f32_e32 v30, v29, v29
	v_cmp_u_f16_e32 vcc_lo, v28, v28
	v_cmp_u_f16_e64 s10, v24, v24
	v_min_f32_e32 v31, v30, v71
	s_delay_alu instid0(VALU_DEP_1) | instskip(NEXT) | instid1(VALU_DEP_1)
	v_dual_max_f32 v30, v30, v71 :: v_dual_cndmask_b32 v31, v31, v29
	v_cndmask_b32_e32 v30, v30, v29, vcc_lo
	s_delay_alu instid0(VALU_DEP_2) | instskip(NEXT) | instid1(VALU_DEP_2)
	v_cndmask_b32_e64 v31, v31, v71, s10
	v_cndmask_b32_e64 v30, v30, v71, s10
	s_delay_alu instid0(VALU_DEP_2) | instskip(NEXT) | instid1(VALU_DEP_2)
	v_cmp_class_f32_e64 s11, v31, 0x1f8
	v_cmp_neq_f32_e32 vcc_lo, v31, v30
	s_delay_alu instid0(VALU_DEP_2) | instskip(NEXT) | instid1(SALU_CYCLE_1)
	s_or_b32 s12, vcc_lo, s11
	s_and_saveexec_b32 s11, s12
	s_cbranch_execz .LBB390_67
; %bb.66:
	v_sub_f32_e32 v28, v31, v30
	s_mov_b32 s12, 0x3e9b6dac
	s_delay_alu instid0(VALU_DEP_1) | instskip(NEXT) | instid1(VALU_DEP_1)
	v_mul_f32_e32 v29, 0x3fb8aa3b, v28
	v_fma_f32 v31, 0x3fb8aa3b, v28, -v29
	v_rndne_f32_e32 v80, v29
	s_delay_alu instid0(VALU_DEP_1) | instskip(NEXT) | instid1(VALU_DEP_3)
	v_sub_f32_e32 v29, v29, v80
	v_fmamk_f32 v31, v28, 0x32a5705f, v31
	v_cmp_ngt_f32_e32 vcc_lo, 0xc2ce8ed0, v28
	s_delay_alu instid0(VALU_DEP_2) | instskip(SKIP_1) | instid1(VALU_DEP_2)
	v_add_f32_e32 v29, v29, v31
	v_cvt_i32_f32_e32 v31, v80
	v_exp_f32_e32 v29, v29
	s_waitcnt_depctr 0xfff
	v_ldexp_f32 v29, v29, v31
	s_delay_alu instid0(VALU_DEP_1) | instskip(SKIP_1) | instid1(VALU_DEP_2)
	v_cndmask_b32_e32 v29, 0, v29, vcc_lo
	v_cmp_nlt_f32_e32 vcc_lo, 0x42b17218, v28
	v_cndmask_b32_e32 v31, 0x7f800000, v29, vcc_lo
	s_delay_alu instid0(VALU_DEP_1) | instskip(NEXT) | instid1(VALU_DEP_1)
	v_add_f32_e32 v80, 1.0, v31
	v_cvt_f64_f32_e32 v[28:29], v80
	s_delay_alu instid0(VALU_DEP_1) | instskip(SKIP_1) | instid1(VALU_DEP_1)
	v_frexp_exp_i32_f64_e32 v28, v[28:29]
	v_frexp_mant_f32_e32 v29, v80
	v_cmp_gt_f32_e32 vcc_lo, 0x3f2aaaab, v29
	v_add_f32_e32 v29, -1.0, v80
	s_delay_alu instid0(VALU_DEP_1) | instskip(NEXT) | instid1(VALU_DEP_1)
	v_sub_f32_e32 v82, v29, v80
	v_add_f32_e32 v82, 1.0, v82
	v_subrev_co_ci_u32_e32 v28, vcc_lo, 0, v28, vcc_lo
	s_delay_alu instid0(VALU_DEP_1) | instskip(SKIP_1) | instid1(VALU_DEP_2)
	v_sub_nc_u32_e32 v81, 0, v28
	v_cvt_f32_i32_e32 v28, v28
	v_ldexp_f32 v80, v80, v81
	v_sub_f32_e32 v29, v31, v29
	s_delay_alu instid0(VALU_DEP_1) | instskip(NEXT) | instid1(VALU_DEP_1)
	v_add_f32_e32 v29, v29, v82
	v_ldexp_f32 v29, v29, v81
	s_delay_alu instid0(VALU_DEP_4) | instskip(NEXT) | instid1(VALU_DEP_1)
	v_add_f32_e32 v83, 1.0, v80
	v_add_f32_e32 v82, -1.0, v83
	s_delay_alu instid0(VALU_DEP_1) | instskip(SKIP_1) | instid1(VALU_DEP_2)
	v_sub_f32_e32 v82, v80, v82
	v_cmp_eq_f32_e32 vcc_lo, 0x7f800000, v31
	v_dual_add_f32 v82, v29, v82 :: v_dual_add_f32 v81, -1.0, v80
	s_delay_alu instid0(VALU_DEP_1) | instskip(NEXT) | instid1(VALU_DEP_1)
	v_add_f32_e32 v84, 1.0, v81
	v_sub_f32_e32 v80, v80, v84
	s_delay_alu instid0(VALU_DEP_1) | instskip(NEXT) | instid1(VALU_DEP_1)
	v_dual_add_f32 v84, v83, v82 :: v_dual_add_f32 v29, v29, v80
	v_rcp_f32_e32 v80, v84
	v_sub_f32_e32 v83, v83, v84
	s_delay_alu instid0(VALU_DEP_1) | instskip(SKIP_3) | instid1(VALU_DEP_2)
	v_dual_add_f32 v82, v82, v83 :: v_dual_add_f32 v85, v81, v29
	s_waitcnt_depctr 0xfff
	v_mul_f32_e32 v86, v85, v80
	v_sub_f32_e32 v81, v81, v85
	v_mul_f32_e32 v87, v84, v86
	s_delay_alu instid0(VALU_DEP_1) | instskip(NEXT) | instid1(VALU_DEP_1)
	v_fma_f32 v83, v86, v84, -v87
	v_fmac_f32_e32 v83, v86, v82
	s_delay_alu instid0(VALU_DEP_1) | instskip(NEXT) | instid1(VALU_DEP_1)
	v_dual_add_f32 v96, v87, v83 :: v_dual_add_f32 v29, v29, v81
	v_sub_f32_e32 v97, v85, v96
	v_sub_f32_e32 v81, v96, v87
	s_delay_alu instid0(VALU_DEP_2) | instskip(NEXT) | instid1(VALU_DEP_2)
	v_sub_f32_e32 v85, v85, v97
	v_sub_f32_e32 v81, v81, v83
	s_delay_alu instid0(VALU_DEP_2) | instskip(NEXT) | instid1(VALU_DEP_1)
	v_sub_f32_e32 v85, v85, v96
	v_add_f32_e32 v29, v29, v85
	s_delay_alu instid0(VALU_DEP_1) | instskip(NEXT) | instid1(VALU_DEP_1)
	v_add_f32_e32 v29, v81, v29
	v_add_f32_e32 v81, v97, v29
	s_delay_alu instid0(VALU_DEP_1) | instskip(NEXT) | instid1(VALU_DEP_1)
	v_mul_f32_e32 v83, v80, v81
	v_dual_sub_f32 v96, v97, v81 :: v_dual_mul_f32 v85, v84, v83
	s_delay_alu instid0(VALU_DEP_1) | instskip(NEXT) | instid1(VALU_DEP_2)
	v_add_f32_e32 v29, v29, v96
	v_fma_f32 v84, v83, v84, -v85
	s_delay_alu instid0(VALU_DEP_1) | instskip(NEXT) | instid1(VALU_DEP_1)
	v_fmac_f32_e32 v84, v83, v82
	v_add_f32_e32 v82, v85, v84
	s_delay_alu instid0(VALU_DEP_1) | instskip(SKIP_1) | instid1(VALU_DEP_2)
	v_sub_f32_e32 v87, v81, v82
	v_sub_f32_e32 v85, v82, v85
	;; [unrolled: 1-line block ×3, first 2 shown]
	s_delay_alu instid0(VALU_DEP_1) | instskip(NEXT) | instid1(VALU_DEP_3)
	v_sub_f32_e32 v81, v81, v82
	v_sub_f32_e32 v82, v85, v84
	s_delay_alu instid0(VALU_DEP_2) | instskip(SKIP_1) | instid1(VALU_DEP_1)
	v_add_f32_e32 v29, v29, v81
	v_add_f32_e32 v81, v86, v83
	v_dual_add_f32 v29, v82, v29 :: v_dual_sub_f32 v82, v81, v86
	s_delay_alu instid0(VALU_DEP_1) | instskip(NEXT) | instid1(VALU_DEP_1)
	v_add_f32_e32 v29, v87, v29
	v_dual_sub_f32 v82, v83, v82 :: v_dual_mul_f32 v29, v80, v29
	s_delay_alu instid0(VALU_DEP_1) | instskip(NEXT) | instid1(VALU_DEP_1)
	v_add_f32_e32 v29, v82, v29
	v_add_f32_e32 v80, v81, v29
	s_delay_alu instid0(VALU_DEP_1) | instskip(NEXT) | instid1(VALU_DEP_1)
	v_mul_f32_e32 v82, v80, v80
	v_fmaak_f32 v83, s12, v82, 0x3ecc95a3
	v_mul_f32_e32 v84, v80, v82
	v_cmp_gt_f32_e64 s12, 0x33800000, |v31|
	s_delay_alu instid0(VALU_DEP_3) | instskip(SKIP_2) | instid1(VALU_DEP_4)
	v_fmaak_f32 v82, v82, v83, 0x3f2aaada
	v_ldexp_f32 v83, v80, 1
	v_sub_f32_e32 v80, v80, v81
	s_or_b32 vcc_lo, vcc_lo, s12
	s_delay_alu instid0(VALU_DEP_3) | instskip(SKIP_1) | instid1(VALU_DEP_3)
	v_mul_f32_e32 v82, v84, v82
	v_mul_f32_e32 v84, 0x3f317218, v28
	v_sub_f32_e32 v29, v29, v80
	s_delay_alu instid0(VALU_DEP_3) | instskip(NEXT) | instid1(VALU_DEP_2)
	v_add_f32_e32 v81, v83, v82
	v_ldexp_f32 v29, v29, 1
	s_delay_alu instid0(VALU_DEP_2) | instskip(SKIP_1) | instid1(VALU_DEP_2)
	v_sub_f32_e32 v80, v81, v83
	v_fma_f32 v83, 0x3f317218, v28, -v84
	v_sub_f32_e32 v80, v82, v80
	s_delay_alu instid0(VALU_DEP_1) | instskip(NEXT) | instid1(VALU_DEP_1)
	v_dual_fmamk_f32 v28, v28, 0xb102e308, v83 :: v_dual_add_f32 v29, v29, v80
	v_add_f32_e32 v80, v84, v28
	s_delay_alu instid0(VALU_DEP_2) | instskip(NEXT) | instid1(VALU_DEP_2)
	v_add_f32_e32 v82, v81, v29
	v_sub_f32_e32 v84, v80, v84
	s_delay_alu instid0(VALU_DEP_2) | instskip(NEXT) | instid1(VALU_DEP_2)
	v_add_f32_e32 v83, v80, v82
	v_dual_sub_f32 v81, v82, v81 :: v_dual_sub_f32 v28, v28, v84
	s_delay_alu instid0(VALU_DEP_2) | instskip(NEXT) | instid1(VALU_DEP_2)
	v_sub_f32_e32 v85, v83, v80
	v_sub_f32_e32 v29, v29, v81
	s_delay_alu instid0(VALU_DEP_2) | instskip(SKIP_1) | instid1(VALU_DEP_3)
	v_sub_f32_e32 v86, v83, v85
	v_sub_f32_e32 v81, v82, v85
	v_add_f32_e32 v82, v28, v29
	s_delay_alu instid0(VALU_DEP_3) | instskip(NEXT) | instid1(VALU_DEP_1)
	v_sub_f32_e32 v80, v80, v86
	v_add_f32_e32 v80, v81, v80
	s_delay_alu instid0(VALU_DEP_3) | instskip(NEXT) | instid1(VALU_DEP_2)
	v_sub_f32_e32 v81, v82, v28
	v_add_f32_e32 v80, v82, v80
	s_delay_alu instid0(VALU_DEP_2) | instskip(NEXT) | instid1(VALU_DEP_2)
	v_sub_f32_e32 v82, v82, v81
	v_dual_sub_f32 v29, v29, v81 :: v_dual_add_f32 v84, v83, v80
	s_delay_alu instid0(VALU_DEP_2) | instskip(NEXT) | instid1(VALU_DEP_1)
	v_sub_f32_e32 v28, v28, v82
	v_dual_sub_f32 v81, v84, v83 :: v_dual_add_f32 v28, v29, v28
	s_delay_alu instid0(VALU_DEP_1) | instskip(NEXT) | instid1(VALU_DEP_1)
	v_sub_f32_e32 v29, v80, v81
	v_add_f32_e32 v28, v28, v29
	s_delay_alu instid0(VALU_DEP_1) | instskip(NEXT) | instid1(VALU_DEP_1)
	v_add_f32_e32 v28, v84, v28
	v_cndmask_b32_e32 v28, v28, v31, vcc_lo
	s_delay_alu instid0(VALU_DEP_1) | instskip(NEXT) | instid1(VALU_DEP_1)
	v_add_f32_e32 v28, v30, v28
	v_cvt_f16_f32_e32 v28, v28
	s_delay_alu instid0(VALU_DEP_1)
	v_mov_b32_e32 v102, v28
	v_cvt_f32_f16_e32 v29, v28
.LBB390_67:
	s_or_b32 exec_lo, exec_lo, s11
	v_cvt_f32_f16_e32 v80, v52
	s_delay_alu instid0(VALU_DEP_2) | instskip(SKIP_2) | instid1(VALU_DEP_3)
	v_max_f32_e32 v30, v29, v29
	v_cmp_u_f16_e32 vcc_lo, v28, v28
	v_cmp_u_f16_e64 s11, v52, v52
	v_min_f32_e32 v31, v30, v80
	s_delay_alu instid0(VALU_DEP_1) | instskip(NEXT) | instid1(VALU_DEP_1)
	v_dual_max_f32 v30, v30, v80 :: v_dual_cndmask_b32 v31, v31, v29
	v_cndmask_b32_e32 v30, v30, v29, vcc_lo
	s_delay_alu instid0(VALU_DEP_2) | instskip(NEXT) | instid1(VALU_DEP_2)
	v_cndmask_b32_e64 v31, v31, v80, s11
	v_cndmask_b32_e64 v30, v30, v80, s11
	s_delay_alu instid0(VALU_DEP_2) | instskip(NEXT) | instid1(VALU_DEP_2)
	v_cmp_class_f32_e64 s12, v31, 0x1f8
	v_cmp_neq_f32_e32 vcc_lo, v31, v30
	s_delay_alu instid0(VALU_DEP_2) | instskip(NEXT) | instid1(SALU_CYCLE_1)
	s_or_b32 s13, vcc_lo, s12
	s_and_saveexec_b32 s12, s13
	s_cbranch_execz .LBB390_69
; %bb.68:
	v_sub_f32_e32 v28, v31, v30
	s_mov_b32 s13, 0x3e9b6dac
	s_delay_alu instid0(VALU_DEP_1) | instskip(NEXT) | instid1(VALU_DEP_1)
	v_mul_f32_e32 v29, 0x3fb8aa3b, v28
	v_fma_f32 v31, 0x3fb8aa3b, v28, -v29
	v_rndne_f32_e32 v81, v29
	s_delay_alu instid0(VALU_DEP_1) | instskip(NEXT) | instid1(VALU_DEP_3)
	v_sub_f32_e32 v29, v29, v81
	v_fmamk_f32 v31, v28, 0x32a5705f, v31
	v_cmp_ngt_f32_e32 vcc_lo, 0xc2ce8ed0, v28
	s_delay_alu instid0(VALU_DEP_2) | instskip(SKIP_1) | instid1(VALU_DEP_2)
	v_add_f32_e32 v29, v29, v31
	v_cvt_i32_f32_e32 v31, v81
	v_exp_f32_e32 v29, v29
	s_waitcnt_depctr 0xfff
	v_ldexp_f32 v29, v29, v31
	s_delay_alu instid0(VALU_DEP_1) | instskip(SKIP_1) | instid1(VALU_DEP_2)
	v_cndmask_b32_e32 v29, 0, v29, vcc_lo
	v_cmp_nlt_f32_e32 vcc_lo, 0x42b17218, v28
	v_cndmask_b32_e32 v31, 0x7f800000, v29, vcc_lo
	s_delay_alu instid0(VALU_DEP_1) | instskip(NEXT) | instid1(VALU_DEP_1)
	v_add_f32_e32 v81, 1.0, v31
	v_cvt_f64_f32_e32 v[28:29], v81
	s_delay_alu instid0(VALU_DEP_1) | instskip(SKIP_1) | instid1(VALU_DEP_1)
	v_frexp_exp_i32_f64_e32 v28, v[28:29]
	v_frexp_mant_f32_e32 v29, v81
	v_cmp_gt_f32_e32 vcc_lo, 0x3f2aaaab, v29
	v_add_f32_e32 v29, -1.0, v81
	s_delay_alu instid0(VALU_DEP_1) | instskip(SKIP_1) | instid1(VALU_DEP_2)
	v_sub_f32_e32 v83, v29, v81
	v_sub_f32_e32 v29, v31, v29
	v_add_f32_e32 v83, 1.0, v83
	s_delay_alu instid0(VALU_DEP_1) | instskip(SKIP_1) | instid1(VALU_DEP_1)
	v_add_f32_e32 v29, v29, v83
	v_subrev_co_ci_u32_e32 v28, vcc_lo, 0, v28, vcc_lo
	v_sub_nc_u32_e32 v82, 0, v28
	v_cvt_f32_i32_e32 v28, v28
	s_delay_alu instid0(VALU_DEP_2) | instskip(SKIP_1) | instid1(VALU_DEP_2)
	v_ldexp_f32 v81, v81, v82
	v_ldexp_f32 v29, v29, v82
	v_add_f32_e32 v84, 1.0, v81
	s_delay_alu instid0(VALU_DEP_1) | instskip(NEXT) | instid1(VALU_DEP_1)
	v_dual_add_f32 v82, -1.0, v81 :: v_dual_add_f32 v83, -1.0, v84
	v_add_f32_e32 v85, 1.0, v82
	s_delay_alu instid0(VALU_DEP_2) | instskip(NEXT) | instid1(VALU_DEP_2)
	v_sub_f32_e32 v83, v81, v83
	v_sub_f32_e32 v81, v81, v85
	s_delay_alu instid0(VALU_DEP_2) | instskip(NEXT) | instid1(VALU_DEP_2)
	v_add_f32_e32 v83, v29, v83
	v_add_f32_e32 v29, v29, v81
	s_delay_alu instid0(VALU_DEP_1) | instskip(NEXT) | instid1(VALU_DEP_1)
	v_dual_add_f32 v85, v84, v83 :: v_dual_add_f32 v86, v82, v29
	v_rcp_f32_e32 v81, v85
	v_sub_f32_e32 v84, v84, v85
	s_delay_alu instid0(VALU_DEP_1) | instskip(SKIP_3) | instid1(VALU_DEP_2)
	v_dual_sub_f32 v82, v82, v86 :: v_dual_add_f32 v83, v83, v84
	s_waitcnt_depctr 0xfff
	v_mul_f32_e32 v87, v86, v81
	v_add_f32_e32 v29, v29, v82
	v_mul_f32_e32 v96, v85, v87
	s_delay_alu instid0(VALU_DEP_1) | instskip(NEXT) | instid1(VALU_DEP_1)
	v_fma_f32 v84, v87, v85, -v96
	v_fmac_f32_e32 v84, v87, v83
	v_cmp_eq_f32_e32 vcc_lo, 0x7f800000, v31
	s_delay_alu instid0(VALU_DEP_2) | instskip(NEXT) | instid1(VALU_DEP_1)
	v_add_f32_e32 v97, v96, v84
	v_sub_f32_e32 v98, v86, v97
	v_sub_f32_e32 v82, v97, v96
	s_delay_alu instid0(VALU_DEP_2) | instskip(NEXT) | instid1(VALU_DEP_2)
	v_sub_f32_e32 v86, v86, v98
	v_sub_f32_e32 v82, v82, v84
	s_delay_alu instid0(VALU_DEP_2) | instskip(NEXT) | instid1(VALU_DEP_1)
	v_sub_f32_e32 v86, v86, v97
	v_add_f32_e32 v29, v29, v86
	s_delay_alu instid0(VALU_DEP_1) | instskip(NEXT) | instid1(VALU_DEP_1)
	v_add_f32_e32 v29, v82, v29
	v_add_f32_e32 v82, v98, v29
	s_delay_alu instid0(VALU_DEP_1) | instskip(NEXT) | instid1(VALU_DEP_1)
	v_mul_f32_e32 v84, v81, v82
	v_dual_sub_f32 v97, v98, v82 :: v_dual_mul_f32 v86, v85, v84
	s_delay_alu instid0(VALU_DEP_1) | instskip(NEXT) | instid1(VALU_DEP_2)
	v_add_f32_e32 v29, v29, v97
	v_fma_f32 v85, v84, v85, -v86
	s_delay_alu instid0(VALU_DEP_1) | instskip(NEXT) | instid1(VALU_DEP_1)
	v_fmac_f32_e32 v85, v84, v83
	v_add_f32_e32 v83, v86, v85
	s_delay_alu instid0(VALU_DEP_1) | instskip(SKIP_1) | instid1(VALU_DEP_2)
	v_sub_f32_e32 v96, v82, v83
	v_sub_f32_e32 v86, v83, v86
	;; [unrolled: 1-line block ×3, first 2 shown]
	s_delay_alu instid0(VALU_DEP_1) | instskip(NEXT) | instid1(VALU_DEP_3)
	v_sub_f32_e32 v82, v82, v83
	v_sub_f32_e32 v83, v86, v85
	s_delay_alu instid0(VALU_DEP_2) | instskip(NEXT) | instid1(VALU_DEP_1)
	v_dual_add_f32 v29, v29, v82 :: v_dual_add_f32 v82, v87, v84
	v_add_f32_e32 v29, v83, v29
	s_delay_alu instid0(VALU_DEP_2) | instskip(NEXT) | instid1(VALU_DEP_2)
	v_sub_f32_e32 v83, v82, v87
	v_add_f32_e32 v29, v96, v29
	s_delay_alu instid0(VALU_DEP_2) | instskip(NEXT) | instid1(VALU_DEP_2)
	v_sub_f32_e32 v83, v84, v83
	v_mul_f32_e32 v29, v81, v29
	s_delay_alu instid0(VALU_DEP_1) | instskip(NEXT) | instid1(VALU_DEP_1)
	v_add_f32_e32 v29, v83, v29
	v_add_f32_e32 v81, v82, v29
	s_delay_alu instid0(VALU_DEP_1) | instskip(NEXT) | instid1(VALU_DEP_1)
	v_mul_f32_e32 v83, v81, v81
	v_fmaak_f32 v84, s13, v83, 0x3ecc95a3
	v_mul_f32_e32 v85, v81, v83
	v_cmp_gt_f32_e64 s13, 0x33800000, |v31|
	s_delay_alu instid0(VALU_DEP_3) | instskip(SKIP_2) | instid1(VALU_DEP_4)
	v_fmaak_f32 v83, v83, v84, 0x3f2aaada
	v_ldexp_f32 v84, v81, 1
	v_sub_f32_e32 v81, v81, v82
	s_or_b32 vcc_lo, vcc_lo, s13
	s_delay_alu instid0(VALU_DEP_3) | instskip(SKIP_1) | instid1(VALU_DEP_2)
	v_mul_f32_e32 v83, v85, v83
	v_mul_f32_e32 v85, 0x3f317218, v28
	v_dual_sub_f32 v29, v29, v81 :: v_dual_add_f32 v82, v84, v83
	s_delay_alu instid0(VALU_DEP_1) | instskip(NEXT) | instid1(VALU_DEP_2)
	v_ldexp_f32 v29, v29, 1
	v_sub_f32_e32 v81, v82, v84
	s_delay_alu instid0(VALU_DEP_4) | instskip(NEXT) | instid1(VALU_DEP_1)
	v_fma_f32 v84, 0x3f317218, v28, -v85
	v_dual_sub_f32 v81, v83, v81 :: v_dual_fmamk_f32 v28, v28, 0xb102e308, v84
	s_delay_alu instid0(VALU_DEP_1) | instskip(NEXT) | instid1(VALU_DEP_2)
	v_add_f32_e32 v29, v29, v81
	v_add_f32_e32 v81, v85, v28
	s_delay_alu instid0(VALU_DEP_2) | instskip(NEXT) | instid1(VALU_DEP_2)
	v_add_f32_e32 v83, v82, v29
	v_sub_f32_e32 v85, v81, v85
	s_delay_alu instid0(VALU_DEP_2) | instskip(SKIP_1) | instid1(VALU_DEP_3)
	v_add_f32_e32 v84, v81, v83
	v_sub_f32_e32 v82, v83, v82
	v_sub_f32_e32 v28, v28, v85
	s_delay_alu instid0(VALU_DEP_2) | instskip(NEXT) | instid1(VALU_DEP_1)
	v_dual_sub_f32 v86, v84, v81 :: v_dual_sub_f32 v29, v29, v82
	v_sub_f32_e32 v87, v84, v86
	s_delay_alu instid0(VALU_DEP_2) | instskip(NEXT) | instid1(VALU_DEP_2)
	v_dual_sub_f32 v82, v83, v86 :: v_dual_add_f32 v83, v28, v29
	v_sub_f32_e32 v81, v81, v87
	s_delay_alu instid0(VALU_DEP_1) | instskip(NEXT) | instid1(VALU_DEP_1)
	v_dual_add_f32 v81, v82, v81 :: v_dual_sub_f32 v82, v83, v28
	v_add_f32_e32 v81, v83, v81
	s_delay_alu instid0(VALU_DEP_2) | instskip(SKIP_1) | instid1(VALU_DEP_3)
	v_sub_f32_e32 v83, v83, v82
	v_sub_f32_e32 v29, v29, v82
	v_add_f32_e32 v85, v84, v81
	s_delay_alu instid0(VALU_DEP_3) | instskip(NEXT) | instid1(VALU_DEP_2)
	v_sub_f32_e32 v28, v28, v83
	v_sub_f32_e32 v82, v85, v84
	s_delay_alu instid0(VALU_DEP_2) | instskip(NEXT) | instid1(VALU_DEP_2)
	v_add_f32_e32 v28, v29, v28
	v_sub_f32_e32 v29, v81, v82
	s_delay_alu instid0(VALU_DEP_1) | instskip(NEXT) | instid1(VALU_DEP_1)
	v_add_f32_e32 v28, v28, v29
	v_add_f32_e32 v28, v85, v28
	s_delay_alu instid0(VALU_DEP_1) | instskip(NEXT) | instid1(VALU_DEP_1)
	v_cndmask_b32_e32 v28, v28, v31, vcc_lo
	v_add_f32_e32 v28, v30, v28
	s_delay_alu instid0(VALU_DEP_1) | instskip(NEXT) | instid1(VALU_DEP_1)
	v_cvt_f16_f32_e32 v28, v28
	v_mov_b32_e32 v102, v28
	v_cvt_f32_f16_e32 v29, v28
.LBB390_69:
	s_or_b32 exec_lo, exec_lo, s12
	v_cvt_f32_f16_e32 v81, v25
	s_delay_alu instid0(VALU_DEP_2) | instskip(SKIP_2) | instid1(VALU_DEP_3)
	v_max_f32_e32 v30, v29, v29
	v_cmp_u_f16_e32 vcc_lo, v28, v28
	v_cmp_u_f16_e64 s12, v25, v25
	v_min_f32_e32 v31, v30, v81
	v_max_f32_e32 v30, v30, v81
	s_delay_alu instid0(VALU_DEP_2) | instskip(NEXT) | instid1(VALU_DEP_2)
	v_cndmask_b32_e32 v31, v31, v29, vcc_lo
	v_cndmask_b32_e32 v30, v30, v29, vcc_lo
	s_delay_alu instid0(VALU_DEP_2) | instskip(NEXT) | instid1(VALU_DEP_2)
	v_cndmask_b32_e64 v31, v31, v81, s12
	v_cndmask_b32_e64 v30, v30, v81, s12
	s_delay_alu instid0(VALU_DEP_2) | instskip(NEXT) | instid1(VALU_DEP_2)
	v_cmp_class_f32_e64 s13, v31, 0x1f8
	v_cmp_neq_f32_e32 vcc_lo, v31, v30
	s_delay_alu instid0(VALU_DEP_2) | instskip(NEXT) | instid1(SALU_CYCLE_1)
	s_or_b32 s14, vcc_lo, s13
	s_and_saveexec_b32 s13, s14
	s_cbranch_execz .LBB390_71
; %bb.70:
	v_sub_f32_e32 v28, v31, v30
	s_mov_b32 s14, 0x3e9b6dac
	s_delay_alu instid0(VALU_DEP_1) | instskip(NEXT) | instid1(VALU_DEP_1)
	v_mul_f32_e32 v29, 0x3fb8aa3b, v28
	v_fma_f32 v31, 0x3fb8aa3b, v28, -v29
	v_rndne_f32_e32 v82, v29
	s_delay_alu instid0(VALU_DEP_2) | instskip(NEXT) | instid1(VALU_DEP_2)
	v_fmamk_f32 v31, v28, 0x32a5705f, v31
	v_sub_f32_e32 v29, v29, v82
	s_delay_alu instid0(VALU_DEP_1) | instskip(SKIP_2) | instid1(VALU_DEP_3)
	v_add_f32_e32 v29, v29, v31
	v_cvt_i32_f32_e32 v31, v82
	v_cmp_ngt_f32_e32 vcc_lo, 0xc2ce8ed0, v28
	v_exp_f32_e32 v29, v29
	s_waitcnt_depctr 0xfff
	v_ldexp_f32 v29, v29, v31
	s_delay_alu instid0(VALU_DEP_1) | instskip(SKIP_1) | instid1(VALU_DEP_2)
	v_cndmask_b32_e32 v29, 0, v29, vcc_lo
	v_cmp_nlt_f32_e32 vcc_lo, 0x42b17218, v28
	v_cndmask_b32_e32 v31, 0x7f800000, v29, vcc_lo
	s_delay_alu instid0(VALU_DEP_1) | instskip(NEXT) | instid1(VALU_DEP_1)
	v_add_f32_e32 v82, 1.0, v31
	v_cvt_f64_f32_e32 v[28:29], v82
	s_delay_alu instid0(VALU_DEP_1) | instskip(SKIP_1) | instid1(VALU_DEP_1)
	v_frexp_exp_i32_f64_e32 v28, v[28:29]
	v_frexp_mant_f32_e32 v29, v82
	v_cmp_gt_f32_e32 vcc_lo, 0x3f2aaaab, v29
	v_add_f32_e32 v29, -1.0, v82
	s_delay_alu instid0(VALU_DEP_1) | instskip(NEXT) | instid1(VALU_DEP_1)
	v_sub_f32_e32 v84, v29, v82
	v_add_f32_e32 v84, 1.0, v84
	v_subrev_co_ci_u32_e32 v28, vcc_lo, 0, v28, vcc_lo
	s_delay_alu instid0(VALU_DEP_1) | instskip(SKIP_1) | instid1(VALU_DEP_2)
	v_sub_nc_u32_e32 v83, 0, v28
	v_cvt_f32_i32_e32 v28, v28
	v_ldexp_f32 v82, v82, v83
	v_sub_f32_e32 v29, v31, v29
	s_delay_alu instid0(VALU_DEP_1) | instskip(NEXT) | instid1(VALU_DEP_1)
	v_add_f32_e32 v29, v29, v84
	v_ldexp_f32 v29, v29, v83
	s_delay_alu instid0(VALU_DEP_4) | instskip(NEXT) | instid1(VALU_DEP_1)
	v_add_f32_e32 v85, 1.0, v82
	v_add_f32_e32 v84, -1.0, v85
	s_delay_alu instid0(VALU_DEP_1) | instskip(NEXT) | instid1(VALU_DEP_1)
	v_sub_f32_e32 v84, v82, v84
	v_dual_add_f32 v84, v29, v84 :: v_dual_add_f32 v83, -1.0, v82
	s_delay_alu instid0(VALU_DEP_1) | instskip(SKIP_1) | instid1(VALU_DEP_2)
	v_add_f32_e32 v86, 1.0, v83
	v_cmp_eq_f32_e32 vcc_lo, 0x7f800000, v31
	v_sub_f32_e32 v82, v82, v86
	s_delay_alu instid0(VALU_DEP_4) | instskip(NEXT) | instid1(VALU_DEP_1)
	v_add_f32_e32 v86, v85, v84
	v_sub_f32_e32 v85, v85, v86
	s_delay_alu instid0(VALU_DEP_3) | instskip(SKIP_1) | instid1(VALU_DEP_2)
	v_add_f32_e32 v29, v29, v82
	v_rcp_f32_e32 v82, v86
	v_add_f32_e32 v84, v84, v85
	s_delay_alu instid0(VALU_DEP_2) | instskip(NEXT) | instid1(VALU_DEP_1)
	v_add_f32_e32 v87, v83, v29
	v_sub_f32_e32 v83, v83, v87
	s_waitcnt_depctr 0xfff
	v_dual_mul_f32 v96, v87, v82 :: v_dual_add_f32 v29, v29, v83
	s_delay_alu instid0(VALU_DEP_1) | instskip(NEXT) | instid1(VALU_DEP_1)
	v_mul_f32_e32 v97, v86, v96
	v_fma_f32 v85, v96, v86, -v97
	s_delay_alu instid0(VALU_DEP_1) | instskip(NEXT) | instid1(VALU_DEP_1)
	v_fmac_f32_e32 v85, v96, v84
	v_add_f32_e32 v98, v97, v85
	s_delay_alu instid0(VALU_DEP_1) | instskip(SKIP_1) | instid1(VALU_DEP_2)
	v_sub_f32_e32 v99, v87, v98
	v_sub_f32_e32 v83, v98, v97
	;; [unrolled: 1-line block ×3, first 2 shown]
	s_delay_alu instid0(VALU_DEP_2) | instskip(NEXT) | instid1(VALU_DEP_2)
	v_sub_f32_e32 v83, v83, v85
	v_sub_f32_e32 v87, v87, v98
	s_delay_alu instid0(VALU_DEP_1) | instskip(NEXT) | instid1(VALU_DEP_1)
	v_add_f32_e32 v29, v29, v87
	v_add_f32_e32 v29, v83, v29
	s_delay_alu instid0(VALU_DEP_1) | instskip(NEXT) | instid1(VALU_DEP_1)
	v_add_f32_e32 v83, v99, v29
	v_mul_f32_e32 v85, v82, v83
	s_delay_alu instid0(VALU_DEP_1) | instskip(NEXT) | instid1(VALU_DEP_1)
	v_dual_sub_f32 v98, v99, v83 :: v_dual_mul_f32 v87, v86, v85
	v_add_f32_e32 v29, v29, v98
	s_delay_alu instid0(VALU_DEP_2) | instskip(NEXT) | instid1(VALU_DEP_1)
	v_fma_f32 v86, v85, v86, -v87
	v_fmac_f32_e32 v86, v85, v84
	s_delay_alu instid0(VALU_DEP_1) | instskip(NEXT) | instid1(VALU_DEP_1)
	v_add_f32_e32 v84, v87, v86
	v_sub_f32_e32 v97, v83, v84
	v_sub_f32_e32 v87, v84, v87
	s_delay_alu instid0(VALU_DEP_2) | instskip(NEXT) | instid1(VALU_DEP_1)
	v_sub_f32_e32 v83, v83, v97
	v_sub_f32_e32 v83, v83, v84
	s_delay_alu instid0(VALU_DEP_1) | instskip(SKIP_1) | instid1(VALU_DEP_1)
	v_dual_sub_f32 v84, v87, v86 :: v_dual_add_f32 v29, v29, v83
	v_add_f32_e32 v83, v96, v85
	v_dual_add_f32 v29, v84, v29 :: v_dual_sub_f32 v84, v83, v96
	s_delay_alu instid0(VALU_DEP_1) | instskip(NEXT) | instid1(VALU_DEP_1)
	v_add_f32_e32 v29, v97, v29
	v_dual_sub_f32 v84, v85, v84 :: v_dual_mul_f32 v29, v82, v29
	s_delay_alu instid0(VALU_DEP_1) | instskip(NEXT) | instid1(VALU_DEP_1)
	v_add_f32_e32 v29, v84, v29
	v_add_f32_e32 v82, v83, v29
	s_delay_alu instid0(VALU_DEP_1) | instskip(NEXT) | instid1(VALU_DEP_1)
	v_mul_f32_e32 v84, v82, v82
	v_fmaak_f32 v85, s14, v84, 0x3ecc95a3
	v_mul_f32_e32 v86, v82, v84
	v_cmp_gt_f32_e64 s14, 0x33800000, |v31|
	s_delay_alu instid0(VALU_DEP_3) | instskip(SKIP_2) | instid1(VALU_DEP_4)
	v_fmaak_f32 v84, v84, v85, 0x3f2aaada
	v_ldexp_f32 v85, v82, 1
	v_sub_f32_e32 v82, v82, v83
	s_or_b32 vcc_lo, vcc_lo, s14
	s_delay_alu instid0(VALU_DEP_3) | instskip(NEXT) | instid1(VALU_DEP_2)
	v_mul_f32_e32 v84, v86, v84
	v_dual_mul_f32 v86, 0x3f317218, v28 :: v_dual_sub_f32 v29, v29, v82
	s_delay_alu instid0(VALU_DEP_2) | instskip(NEXT) | instid1(VALU_DEP_2)
	v_add_f32_e32 v83, v85, v84
	v_ldexp_f32 v29, v29, 1
	s_delay_alu instid0(VALU_DEP_2) | instskip(NEXT) | instid1(VALU_DEP_4)
	v_sub_f32_e32 v82, v83, v85
	v_fma_f32 v85, 0x3f317218, v28, -v86
	s_delay_alu instid0(VALU_DEP_2) | instskip(NEXT) | instid1(VALU_DEP_1)
	v_sub_f32_e32 v82, v84, v82
	v_dual_fmamk_f32 v28, v28, 0xb102e308, v85 :: v_dual_add_f32 v29, v29, v82
	s_delay_alu instid0(VALU_DEP_1) | instskip(NEXT) | instid1(VALU_DEP_2)
	v_add_f32_e32 v82, v86, v28
	v_add_f32_e32 v84, v83, v29
	s_delay_alu instid0(VALU_DEP_2) | instskip(NEXT) | instid1(VALU_DEP_2)
	v_sub_f32_e32 v86, v82, v86
	v_add_f32_e32 v85, v82, v84
	v_sub_f32_e32 v83, v84, v83
	s_delay_alu instid0(VALU_DEP_3) | instskip(NEXT) | instid1(VALU_DEP_3)
	v_sub_f32_e32 v28, v28, v86
	v_sub_f32_e32 v87, v85, v82
	s_delay_alu instid0(VALU_DEP_3) | instskip(NEXT) | instid1(VALU_DEP_2)
	v_sub_f32_e32 v29, v29, v83
	v_sub_f32_e32 v96, v85, v87
	v_sub_f32_e32 v83, v84, v87
	s_delay_alu instid0(VALU_DEP_3) | instskip(NEXT) | instid1(VALU_DEP_3)
	v_add_f32_e32 v84, v28, v29
	v_sub_f32_e32 v82, v82, v96
	s_delay_alu instid0(VALU_DEP_1) | instskip(NEXT) | instid1(VALU_DEP_1)
	v_dual_add_f32 v82, v83, v82 :: v_dual_sub_f32 v83, v84, v28
	v_add_f32_e32 v82, v84, v82
	s_delay_alu instid0(VALU_DEP_2) | instskip(SKIP_1) | instid1(VALU_DEP_3)
	v_sub_f32_e32 v84, v84, v83
	v_sub_f32_e32 v29, v29, v83
	v_add_f32_e32 v86, v85, v82
	s_delay_alu instid0(VALU_DEP_1) | instskip(NEXT) | instid1(VALU_DEP_1)
	v_dual_sub_f32 v28, v28, v84 :: v_dual_sub_f32 v83, v86, v85
	v_dual_add_f32 v28, v29, v28 :: v_dual_sub_f32 v29, v82, v83
	s_delay_alu instid0(VALU_DEP_1) | instskip(NEXT) | instid1(VALU_DEP_1)
	v_add_f32_e32 v28, v28, v29
	v_add_f32_e32 v28, v86, v28
	s_delay_alu instid0(VALU_DEP_1) | instskip(NEXT) | instid1(VALU_DEP_1)
	v_cndmask_b32_e32 v28, v28, v31, vcc_lo
	v_add_f32_e32 v28, v30, v28
	s_delay_alu instid0(VALU_DEP_1) | instskip(NEXT) | instid1(VALU_DEP_1)
	v_cvt_f16_f32_e32 v28, v28
	v_mov_b32_e32 v102, v28
	v_cvt_f32_f16_e32 v29, v28
.LBB390_71:
	s_or_b32 exec_lo, exec_lo, s13
	v_cvt_f32_f16_e32 v82, v51
	s_delay_alu instid0(VALU_DEP_2) | instskip(SKIP_2) | instid1(VALU_DEP_3)
	v_max_f32_e32 v30, v29, v29
	v_cmp_u_f16_e32 vcc_lo, v28, v28
	v_cmp_u_f16_e64 s13, v51, v51
	v_min_f32_e32 v31, v30, v82
	s_delay_alu instid0(VALU_DEP_1) | instskip(NEXT) | instid1(VALU_DEP_1)
	v_dual_max_f32 v30, v30, v82 :: v_dual_cndmask_b32 v31, v31, v29
	v_cndmask_b32_e32 v30, v30, v29, vcc_lo
	s_delay_alu instid0(VALU_DEP_2) | instskip(NEXT) | instid1(VALU_DEP_2)
	v_cndmask_b32_e64 v31, v31, v82, s13
	v_cndmask_b32_e64 v30, v30, v82, s13
	s_delay_alu instid0(VALU_DEP_2) | instskip(NEXT) | instid1(VALU_DEP_2)
	v_cmp_class_f32_e64 s14, v31, 0x1f8
	v_cmp_neq_f32_e32 vcc_lo, v31, v30
	s_delay_alu instid0(VALU_DEP_2) | instskip(NEXT) | instid1(SALU_CYCLE_1)
	s_or_b32 s15, vcc_lo, s14
	s_and_saveexec_b32 s14, s15
	s_cbranch_execz .LBB390_73
; %bb.72:
	v_sub_f32_e32 v28, v31, v30
	s_mov_b32 s15, 0x3e9b6dac
	s_delay_alu instid0(VALU_DEP_1) | instskip(NEXT) | instid1(VALU_DEP_1)
	v_mul_f32_e32 v29, 0x3fb8aa3b, v28
	v_fma_f32 v31, 0x3fb8aa3b, v28, -v29
	v_rndne_f32_e32 v83, v29
	s_delay_alu instid0(VALU_DEP_1) | instskip(NEXT) | instid1(VALU_DEP_3)
	v_sub_f32_e32 v29, v29, v83
	v_fmamk_f32 v31, v28, 0x32a5705f, v31
	v_cmp_ngt_f32_e32 vcc_lo, 0xc2ce8ed0, v28
	s_delay_alu instid0(VALU_DEP_2) | instskip(SKIP_1) | instid1(VALU_DEP_2)
	v_add_f32_e32 v29, v29, v31
	v_cvt_i32_f32_e32 v31, v83
	v_exp_f32_e32 v29, v29
	s_waitcnt_depctr 0xfff
	v_ldexp_f32 v29, v29, v31
	s_delay_alu instid0(VALU_DEP_1) | instskip(SKIP_1) | instid1(VALU_DEP_2)
	v_cndmask_b32_e32 v29, 0, v29, vcc_lo
	v_cmp_nlt_f32_e32 vcc_lo, 0x42b17218, v28
	v_cndmask_b32_e32 v31, 0x7f800000, v29, vcc_lo
	s_delay_alu instid0(VALU_DEP_1) | instskip(NEXT) | instid1(VALU_DEP_1)
	v_add_f32_e32 v83, 1.0, v31
	v_cvt_f64_f32_e32 v[28:29], v83
	s_delay_alu instid0(VALU_DEP_1) | instskip(SKIP_1) | instid1(VALU_DEP_1)
	v_frexp_exp_i32_f64_e32 v28, v[28:29]
	v_frexp_mant_f32_e32 v29, v83
	v_cmp_gt_f32_e32 vcc_lo, 0x3f2aaaab, v29
	v_add_f32_e32 v29, -1.0, v83
	s_delay_alu instid0(VALU_DEP_1) | instskip(SKIP_1) | instid1(VALU_DEP_2)
	v_sub_f32_e32 v85, v29, v83
	v_sub_f32_e32 v29, v31, v29
	v_add_f32_e32 v85, 1.0, v85
	s_delay_alu instid0(VALU_DEP_1) | instskip(SKIP_1) | instid1(VALU_DEP_1)
	v_add_f32_e32 v29, v29, v85
	v_subrev_co_ci_u32_e32 v28, vcc_lo, 0, v28, vcc_lo
	v_sub_nc_u32_e32 v84, 0, v28
	v_cvt_f32_i32_e32 v28, v28
	s_delay_alu instid0(VALU_DEP_2) | instskip(SKIP_1) | instid1(VALU_DEP_2)
	v_ldexp_f32 v83, v83, v84
	v_ldexp_f32 v29, v29, v84
	v_add_f32_e32 v86, 1.0, v83
	s_delay_alu instid0(VALU_DEP_1) | instskip(NEXT) | instid1(VALU_DEP_1)
	v_dual_add_f32 v84, -1.0, v83 :: v_dual_add_f32 v85, -1.0, v86
	v_add_f32_e32 v87, 1.0, v84
	s_delay_alu instid0(VALU_DEP_2) | instskip(NEXT) | instid1(VALU_DEP_2)
	v_sub_f32_e32 v85, v83, v85
	v_sub_f32_e32 v83, v83, v87
	s_delay_alu instid0(VALU_DEP_2) | instskip(NEXT) | instid1(VALU_DEP_1)
	v_add_f32_e32 v85, v29, v85
	v_add_f32_e32 v87, v86, v85
	s_delay_alu instid0(VALU_DEP_3) | instskip(NEXT) | instid1(VALU_DEP_2)
	v_add_f32_e32 v29, v29, v83
	v_rcp_f32_e32 v83, v87
	s_delay_alu instid0(VALU_DEP_1) | instskip(SKIP_1) | instid1(VALU_DEP_1)
	v_add_f32_e32 v96, v84, v29
	v_sub_f32_e32 v86, v86, v87
	v_dual_sub_f32 v84, v84, v96 :: v_dual_add_f32 v85, v85, v86
	s_waitcnt_depctr 0xfff
	v_mul_f32_e32 v97, v96, v83
	s_delay_alu instid0(VALU_DEP_1) | instskip(NEXT) | instid1(VALU_DEP_1)
	v_dual_add_f32 v29, v29, v84 :: v_dual_mul_f32 v98, v87, v97
	v_fma_f32 v86, v97, v87, -v98
	s_delay_alu instid0(VALU_DEP_1) | instskip(NEXT) | instid1(VALU_DEP_1)
	v_fmac_f32_e32 v86, v97, v85
	v_add_f32_e32 v99, v98, v86
	s_delay_alu instid0(VALU_DEP_1) | instskip(SKIP_2) | instid1(VALU_DEP_3)
	v_sub_f32_e32 v100, v96, v99
	v_sub_f32_e32 v84, v99, v98
	v_cmp_eq_f32_e32 vcc_lo, 0x7f800000, v31
	v_sub_f32_e32 v96, v96, v100
	s_delay_alu instid0(VALU_DEP_3) | instskip(NEXT) | instid1(VALU_DEP_2)
	v_sub_f32_e32 v84, v84, v86
	v_sub_f32_e32 v96, v96, v99
	s_delay_alu instid0(VALU_DEP_1) | instskip(NEXT) | instid1(VALU_DEP_1)
	v_add_f32_e32 v29, v29, v96
	v_add_f32_e32 v29, v84, v29
	s_delay_alu instid0(VALU_DEP_1) | instskip(NEXT) | instid1(VALU_DEP_1)
	v_add_f32_e32 v84, v100, v29
	v_mul_f32_e32 v86, v83, v84
	s_delay_alu instid0(VALU_DEP_1) | instskip(NEXT) | instid1(VALU_DEP_1)
	v_dual_sub_f32 v99, v100, v84 :: v_dual_mul_f32 v96, v87, v86
	v_add_f32_e32 v29, v29, v99
	s_delay_alu instid0(VALU_DEP_2) | instskip(NEXT) | instid1(VALU_DEP_1)
	v_fma_f32 v87, v86, v87, -v96
	v_fmac_f32_e32 v87, v86, v85
	s_delay_alu instid0(VALU_DEP_1) | instskip(NEXT) | instid1(VALU_DEP_1)
	v_add_f32_e32 v85, v96, v87
	v_sub_f32_e32 v98, v84, v85
	v_sub_f32_e32 v96, v85, v96
	s_delay_alu instid0(VALU_DEP_2) | instskip(NEXT) | instid1(VALU_DEP_1)
	v_sub_f32_e32 v84, v84, v98
	v_sub_f32_e32 v84, v84, v85
	s_delay_alu instid0(VALU_DEP_3) | instskip(NEXT) | instid1(VALU_DEP_2)
	v_sub_f32_e32 v85, v96, v87
	v_add_f32_e32 v29, v29, v84
	v_add_f32_e32 v84, v97, v86
	s_delay_alu instid0(VALU_DEP_2) | instskip(NEXT) | instid1(VALU_DEP_2)
	v_add_f32_e32 v29, v85, v29
	v_sub_f32_e32 v85, v84, v97
	s_delay_alu instid0(VALU_DEP_2) | instskip(NEXT) | instid1(VALU_DEP_2)
	v_add_f32_e32 v29, v98, v29
	v_sub_f32_e32 v85, v86, v85
	s_delay_alu instid0(VALU_DEP_2) | instskip(NEXT) | instid1(VALU_DEP_1)
	v_mul_f32_e32 v29, v83, v29
	v_add_f32_e32 v29, v85, v29
	s_delay_alu instid0(VALU_DEP_1) | instskip(NEXT) | instid1(VALU_DEP_1)
	v_add_f32_e32 v83, v84, v29
	v_mul_f32_e32 v85, v83, v83
	s_delay_alu instid0(VALU_DEP_1) | instskip(SKIP_2) | instid1(VALU_DEP_3)
	v_fmaak_f32 v86, s15, v85, 0x3ecc95a3
	v_mul_f32_e32 v87, v83, v85
	v_cmp_gt_f32_e64 s15, 0x33800000, |v31|
	v_fmaak_f32 v85, v85, v86, 0x3f2aaada
	v_ldexp_f32 v86, v83, 1
	v_sub_f32_e32 v83, v83, v84
	s_delay_alu instid0(VALU_DEP_4) | instskip(NEXT) | instid1(VALU_DEP_3)
	s_or_b32 vcc_lo, vcc_lo, s15
	v_mul_f32_e32 v85, v87, v85
	v_mul_f32_e32 v87, 0x3f317218, v28
	s_delay_alu instid0(VALU_DEP_2) | instskip(NEXT) | instid1(VALU_DEP_1)
	v_dual_sub_f32 v29, v29, v83 :: v_dual_add_f32 v84, v86, v85
	v_ldexp_f32 v29, v29, 1
	s_delay_alu instid0(VALU_DEP_2) | instskip(NEXT) | instid1(VALU_DEP_4)
	v_sub_f32_e32 v83, v84, v86
	v_fma_f32 v86, 0x3f317218, v28, -v87
	s_delay_alu instid0(VALU_DEP_1) | instskip(NEXT) | instid1(VALU_DEP_1)
	v_dual_sub_f32 v83, v85, v83 :: v_dual_fmamk_f32 v28, v28, 0xb102e308, v86
	v_add_f32_e32 v29, v29, v83
	s_delay_alu instid0(VALU_DEP_2) | instskip(NEXT) | instid1(VALU_DEP_2)
	v_add_f32_e32 v83, v87, v28
	v_add_f32_e32 v85, v84, v29
	s_delay_alu instid0(VALU_DEP_2) | instskip(NEXT) | instid1(VALU_DEP_2)
	v_sub_f32_e32 v87, v83, v87
	v_add_f32_e32 v86, v83, v85
	v_sub_f32_e32 v84, v85, v84
	s_delay_alu instid0(VALU_DEP_3) | instskip(NEXT) | instid1(VALU_DEP_2)
	v_sub_f32_e32 v28, v28, v87
	v_dual_sub_f32 v96, v86, v83 :: v_dual_sub_f32 v29, v29, v84
	s_delay_alu instid0(VALU_DEP_1) | instskip(NEXT) | instid1(VALU_DEP_2)
	v_sub_f32_e32 v97, v86, v96
	v_dual_sub_f32 v84, v85, v96 :: v_dual_add_f32 v85, v28, v29
	s_delay_alu instid0(VALU_DEP_2) | instskip(NEXT) | instid1(VALU_DEP_1)
	v_sub_f32_e32 v83, v83, v97
	v_dual_add_f32 v83, v84, v83 :: v_dual_sub_f32 v84, v85, v28
	s_delay_alu instid0(VALU_DEP_1) | instskip(NEXT) | instid1(VALU_DEP_2)
	v_add_f32_e32 v83, v85, v83
	v_sub_f32_e32 v85, v85, v84
	v_sub_f32_e32 v29, v29, v84
	s_delay_alu instid0(VALU_DEP_2) | instskip(NEXT) | instid1(VALU_DEP_1)
	v_dual_add_f32 v87, v86, v83 :: v_dual_sub_f32 v28, v28, v85
	v_sub_f32_e32 v84, v87, v86
	s_delay_alu instid0(VALU_DEP_2) | instskip(NEXT) | instid1(VALU_DEP_2)
	v_add_f32_e32 v28, v29, v28
	v_sub_f32_e32 v29, v83, v84
	s_delay_alu instid0(VALU_DEP_1) | instskip(NEXT) | instid1(VALU_DEP_1)
	v_add_f32_e32 v28, v28, v29
	v_add_f32_e32 v28, v87, v28
	s_delay_alu instid0(VALU_DEP_1) | instskip(NEXT) | instid1(VALU_DEP_1)
	v_cndmask_b32_e32 v28, v28, v31, vcc_lo
	v_add_f32_e32 v28, v30, v28
	s_delay_alu instid0(VALU_DEP_1) | instskip(NEXT) | instid1(VALU_DEP_1)
	v_cvt_f16_f32_e32 v28, v28
	v_cvt_f32_f16_e32 v29, v28
	v_mov_b32_e32 v102, v28
.LBB390_73:
	s_or_b32 exec_lo, exec_lo, s14
	v_cvt_f32_f16_e32 v83, v22
	s_delay_alu instid0(VALU_DEP_3) | instskip(SKIP_2) | instid1(VALU_DEP_3)
	v_max_f32_e32 v30, v29, v29
	v_cmp_u_f16_e32 vcc_lo, v28, v28
	v_cmp_u_f16_e64 s14, v22, v22
	v_min_f32_e32 v31, v30, v83
	s_delay_alu instid0(VALU_DEP_1) | instskip(NEXT) | instid1(VALU_DEP_1)
	v_dual_max_f32 v30, v30, v83 :: v_dual_cndmask_b32 v31, v31, v29
	v_cndmask_b32_e32 v30, v30, v29, vcc_lo
	s_delay_alu instid0(VALU_DEP_2) | instskip(NEXT) | instid1(VALU_DEP_2)
	v_cndmask_b32_e64 v31, v31, v83, s14
	v_cndmask_b32_e64 v30, v30, v83, s14
	s_delay_alu instid0(VALU_DEP_2) | instskip(NEXT) | instid1(VALU_DEP_2)
	v_cmp_class_f32_e64 s15, v31, 0x1f8
	v_cmp_neq_f32_e32 vcc_lo, v31, v30
	s_delay_alu instid0(VALU_DEP_2) | instskip(NEXT) | instid1(SALU_CYCLE_1)
	s_or_b32 s16, vcc_lo, s15
	s_and_saveexec_b32 s15, s16
	s_cbranch_execz .LBB390_75
; %bb.74:
	v_sub_f32_e32 v28, v31, v30
	s_mov_b32 s16, 0x3e9b6dac
	s_delay_alu instid0(VALU_DEP_1) | instskip(NEXT) | instid1(VALU_DEP_1)
	v_mul_f32_e32 v29, 0x3fb8aa3b, v28
	v_fma_f32 v31, 0x3fb8aa3b, v28, -v29
	v_rndne_f32_e32 v84, v29
	s_delay_alu instid0(VALU_DEP_1) | instskip(NEXT) | instid1(VALU_DEP_3)
	v_sub_f32_e32 v29, v29, v84
	v_fmamk_f32 v31, v28, 0x32a5705f, v31
	v_cmp_ngt_f32_e32 vcc_lo, 0xc2ce8ed0, v28
	s_delay_alu instid0(VALU_DEP_2) | instskip(SKIP_1) | instid1(VALU_DEP_2)
	v_add_f32_e32 v29, v29, v31
	v_cvt_i32_f32_e32 v31, v84
	v_exp_f32_e32 v29, v29
	s_waitcnt_depctr 0xfff
	v_ldexp_f32 v29, v29, v31
	s_delay_alu instid0(VALU_DEP_1) | instskip(SKIP_1) | instid1(VALU_DEP_2)
	v_cndmask_b32_e32 v29, 0, v29, vcc_lo
	v_cmp_nlt_f32_e32 vcc_lo, 0x42b17218, v28
	v_cndmask_b32_e32 v31, 0x7f800000, v29, vcc_lo
	s_delay_alu instid0(VALU_DEP_1) | instskip(NEXT) | instid1(VALU_DEP_1)
	v_add_f32_e32 v84, 1.0, v31
	v_cvt_f64_f32_e32 v[28:29], v84
	s_delay_alu instid0(VALU_DEP_1) | instskip(SKIP_1) | instid1(VALU_DEP_1)
	v_frexp_exp_i32_f64_e32 v28, v[28:29]
	v_frexp_mant_f32_e32 v29, v84
	v_cmp_gt_f32_e32 vcc_lo, 0x3f2aaaab, v29
	v_add_f32_e32 v29, -1.0, v84
	s_delay_alu instid0(VALU_DEP_1) | instskip(NEXT) | instid1(VALU_DEP_1)
	v_sub_f32_e32 v86, v29, v84
	v_add_f32_e32 v86, 1.0, v86
	v_subrev_co_ci_u32_e32 v28, vcc_lo, 0, v28, vcc_lo
	s_delay_alu instid0(VALU_DEP_1) | instskip(SKIP_1) | instid1(VALU_DEP_2)
	v_sub_nc_u32_e32 v85, 0, v28
	v_cvt_f32_i32_e32 v28, v28
	v_ldexp_f32 v84, v84, v85
	v_sub_f32_e32 v29, v31, v29
	s_delay_alu instid0(VALU_DEP_1) | instskip(NEXT) | instid1(VALU_DEP_1)
	v_add_f32_e32 v29, v29, v86
	v_ldexp_f32 v29, v29, v85
	s_delay_alu instid0(VALU_DEP_4) | instskip(NEXT) | instid1(VALU_DEP_1)
	v_add_f32_e32 v87, 1.0, v84
	v_add_f32_e32 v86, -1.0, v87
	s_delay_alu instid0(VALU_DEP_1) | instskip(SKIP_1) | instid1(VALU_DEP_2)
	v_sub_f32_e32 v86, v84, v86
	v_cmp_eq_f32_e32 vcc_lo, 0x7f800000, v31
	v_dual_add_f32 v86, v29, v86 :: v_dual_add_f32 v85, -1.0, v84
	s_delay_alu instid0(VALU_DEP_1) | instskip(NEXT) | instid1(VALU_DEP_1)
	v_add_f32_e32 v96, 1.0, v85
	v_sub_f32_e32 v84, v84, v96
	s_delay_alu instid0(VALU_DEP_1) | instskip(NEXT) | instid1(VALU_DEP_1)
	v_dual_add_f32 v96, v87, v86 :: v_dual_add_f32 v29, v29, v84
	v_rcp_f32_e32 v84, v96
	v_sub_f32_e32 v87, v87, v96
	s_delay_alu instid0(VALU_DEP_1) | instskip(SKIP_3) | instid1(VALU_DEP_2)
	v_dual_add_f32 v86, v86, v87 :: v_dual_add_f32 v97, v85, v29
	s_waitcnt_depctr 0xfff
	v_mul_f32_e32 v98, v97, v84
	v_sub_f32_e32 v85, v85, v97
	v_mul_f32_e32 v99, v96, v98
	s_delay_alu instid0(VALU_DEP_1) | instskip(NEXT) | instid1(VALU_DEP_1)
	v_fma_f32 v87, v98, v96, -v99
	v_fmac_f32_e32 v87, v98, v86
	s_delay_alu instid0(VALU_DEP_1) | instskip(NEXT) | instid1(VALU_DEP_1)
	v_dual_add_f32 v100, v99, v87 :: v_dual_add_f32 v29, v29, v85
	v_dual_sub_f32 v102, v97, v100 :: v_dual_sub_f32 v85, v100, v99
	s_delay_alu instid0(VALU_DEP_1) | instskip(NEXT) | instid1(VALU_DEP_2)
	v_sub_f32_e32 v97, v97, v102
	v_sub_f32_e32 v85, v85, v87
	s_delay_alu instid0(VALU_DEP_2) | instskip(NEXT) | instid1(VALU_DEP_1)
	v_sub_f32_e32 v97, v97, v100
	v_add_f32_e32 v29, v29, v97
	s_delay_alu instid0(VALU_DEP_1) | instskip(NEXT) | instid1(VALU_DEP_1)
	v_add_f32_e32 v29, v85, v29
	v_add_f32_e32 v85, v102, v29
	s_delay_alu instid0(VALU_DEP_1) | instskip(NEXT) | instid1(VALU_DEP_1)
	v_mul_f32_e32 v87, v84, v85
	v_dual_sub_f32 v100, v102, v85 :: v_dual_mul_f32 v97, v96, v87
	s_delay_alu instid0(VALU_DEP_1) | instskip(NEXT) | instid1(VALU_DEP_2)
	v_add_f32_e32 v29, v29, v100
	v_fma_f32 v96, v87, v96, -v97
	s_delay_alu instid0(VALU_DEP_1) | instskip(NEXT) | instid1(VALU_DEP_1)
	v_fmac_f32_e32 v96, v87, v86
	v_add_f32_e32 v86, v97, v96
	s_delay_alu instid0(VALU_DEP_1) | instskip(SKIP_1) | instid1(VALU_DEP_2)
	v_sub_f32_e32 v99, v85, v86
	v_sub_f32_e32 v97, v86, v97
	;; [unrolled: 1-line block ×3, first 2 shown]
	s_delay_alu instid0(VALU_DEP_1) | instskip(NEXT) | instid1(VALU_DEP_3)
	v_sub_f32_e32 v85, v85, v86
	v_sub_f32_e32 v86, v97, v96
	s_delay_alu instid0(VALU_DEP_2) | instskip(SKIP_1) | instid1(VALU_DEP_1)
	v_add_f32_e32 v29, v29, v85
	v_add_f32_e32 v85, v98, v87
	v_dual_add_f32 v29, v86, v29 :: v_dual_sub_f32 v86, v85, v98
	s_delay_alu instid0(VALU_DEP_1) | instskip(NEXT) | instid1(VALU_DEP_1)
	v_add_f32_e32 v29, v99, v29
	v_dual_sub_f32 v86, v87, v86 :: v_dual_mul_f32 v29, v84, v29
	s_delay_alu instid0(VALU_DEP_1) | instskip(NEXT) | instid1(VALU_DEP_1)
	v_add_f32_e32 v29, v86, v29
	v_add_f32_e32 v84, v85, v29
	s_delay_alu instid0(VALU_DEP_1) | instskip(NEXT) | instid1(VALU_DEP_1)
	v_mul_f32_e32 v86, v84, v84
	v_fmaak_f32 v87, s16, v86, 0x3ecc95a3
	v_mul_f32_e32 v96, v84, v86
	v_cmp_gt_f32_e64 s16, 0x33800000, |v31|
	s_delay_alu instid0(VALU_DEP_3) | instskip(SKIP_2) | instid1(VALU_DEP_4)
	v_fmaak_f32 v86, v86, v87, 0x3f2aaada
	v_ldexp_f32 v87, v84, 1
	v_sub_f32_e32 v84, v84, v85
	s_or_b32 vcc_lo, vcc_lo, s16
	s_delay_alu instid0(VALU_DEP_3) | instskip(SKIP_1) | instid1(VALU_DEP_3)
	v_mul_f32_e32 v86, v96, v86
	v_mul_f32_e32 v96, 0x3f317218, v28
	v_sub_f32_e32 v29, v29, v84
	s_delay_alu instid0(VALU_DEP_3) | instskip(NEXT) | instid1(VALU_DEP_2)
	v_add_f32_e32 v85, v87, v86
	v_ldexp_f32 v29, v29, 1
	s_delay_alu instid0(VALU_DEP_2) | instskip(SKIP_1) | instid1(VALU_DEP_2)
	v_sub_f32_e32 v84, v85, v87
	v_fma_f32 v87, 0x3f317218, v28, -v96
	v_sub_f32_e32 v84, v86, v84
	s_delay_alu instid0(VALU_DEP_1) | instskip(NEXT) | instid1(VALU_DEP_1)
	v_dual_fmamk_f32 v28, v28, 0xb102e308, v87 :: v_dual_add_f32 v29, v29, v84
	v_add_f32_e32 v84, v96, v28
	s_delay_alu instid0(VALU_DEP_2) | instskip(NEXT) | instid1(VALU_DEP_2)
	v_add_f32_e32 v86, v85, v29
	v_sub_f32_e32 v96, v84, v96
	s_delay_alu instid0(VALU_DEP_2) | instskip(NEXT) | instid1(VALU_DEP_2)
	v_add_f32_e32 v87, v84, v86
	v_dual_sub_f32 v85, v86, v85 :: v_dual_sub_f32 v28, v28, v96
	s_delay_alu instid0(VALU_DEP_2) | instskip(NEXT) | instid1(VALU_DEP_2)
	v_sub_f32_e32 v97, v87, v84
	v_sub_f32_e32 v29, v29, v85
	s_delay_alu instid0(VALU_DEP_2) | instskip(SKIP_1) | instid1(VALU_DEP_3)
	v_sub_f32_e32 v98, v87, v97
	v_sub_f32_e32 v85, v86, v97
	v_add_f32_e32 v86, v28, v29
	s_delay_alu instid0(VALU_DEP_3) | instskip(NEXT) | instid1(VALU_DEP_1)
	v_sub_f32_e32 v84, v84, v98
	v_add_f32_e32 v84, v85, v84
	s_delay_alu instid0(VALU_DEP_3) | instskip(NEXT) | instid1(VALU_DEP_2)
	v_sub_f32_e32 v85, v86, v28
	v_add_f32_e32 v84, v86, v84
	s_delay_alu instid0(VALU_DEP_2) | instskip(NEXT) | instid1(VALU_DEP_1)
	v_sub_f32_e32 v86, v86, v85
	v_dual_sub_f32 v29, v29, v85 :: v_dual_sub_f32 v28, v28, v86
	s_delay_alu instid0(VALU_DEP_1) | instskip(NEXT) | instid1(VALU_DEP_4)
	v_add_f32_e32 v28, v29, v28
	v_add_f32_e32 v96, v87, v84
	s_delay_alu instid0(VALU_DEP_1) | instskip(NEXT) | instid1(VALU_DEP_1)
	v_sub_f32_e32 v85, v96, v87
	v_sub_f32_e32 v29, v84, v85
	s_delay_alu instid0(VALU_DEP_1) | instskip(NEXT) | instid1(VALU_DEP_1)
	v_add_f32_e32 v28, v28, v29
	v_add_f32_e32 v28, v96, v28
	s_delay_alu instid0(VALU_DEP_1) | instskip(NEXT) | instid1(VALU_DEP_1)
	v_cndmask_b32_e32 v28, v28, v31, vcc_lo
	v_add_f32_e32 v28, v30, v28
	s_delay_alu instid0(VALU_DEP_1) | instskip(NEXT) | instid1(VALU_DEP_1)
	v_cvt_f16_f32_e32 v28, v28
	v_cvt_f32_f16_e32 v29, v28
	v_mov_b32_e32 v102, v28
.LBB390_75:
	s_or_b32 exec_lo, exec_lo, s15
	v_cvt_f32_f16_e32 v84, v50
	s_delay_alu instid0(VALU_DEP_3) | instskip(SKIP_2) | instid1(VALU_DEP_3)
	v_max_f32_e32 v30, v29, v29
	v_cmp_u_f16_e32 vcc_lo, v28, v28
	v_cmp_u_f16_e64 s15, v50, v50
	v_min_f32_e32 v31, v30, v84
	s_delay_alu instid0(VALU_DEP_1) | instskip(NEXT) | instid1(VALU_DEP_1)
	v_dual_max_f32 v30, v30, v84 :: v_dual_cndmask_b32 v31, v31, v29
	v_cndmask_b32_e32 v30, v30, v29, vcc_lo
	s_delay_alu instid0(VALU_DEP_2) | instskip(NEXT) | instid1(VALU_DEP_2)
	v_cndmask_b32_e64 v31, v31, v84, s15
	v_cndmask_b32_e64 v30, v30, v84, s15
	s_delay_alu instid0(VALU_DEP_2) | instskip(NEXT) | instid1(VALU_DEP_2)
	v_cmp_class_f32_e64 s16, v31, 0x1f8
	v_cmp_neq_f32_e32 vcc_lo, v31, v30
	s_delay_alu instid0(VALU_DEP_2) | instskip(NEXT) | instid1(SALU_CYCLE_1)
	s_or_b32 s17, vcc_lo, s16
	s_and_saveexec_b32 s16, s17
	s_cbranch_execz .LBB390_77
; %bb.76:
	v_sub_f32_e32 v28, v31, v30
	s_mov_b32 s17, 0x3e9b6dac
	s_delay_alu instid0(VALU_DEP_1) | instskip(NEXT) | instid1(VALU_DEP_1)
	v_mul_f32_e32 v29, 0x3fb8aa3b, v28
	v_fma_f32 v31, 0x3fb8aa3b, v28, -v29
	v_rndne_f32_e32 v85, v29
	s_delay_alu instid0(VALU_DEP_1) | instskip(NEXT) | instid1(VALU_DEP_3)
	v_sub_f32_e32 v29, v29, v85
	v_fmamk_f32 v31, v28, 0x32a5705f, v31
	v_cmp_ngt_f32_e32 vcc_lo, 0xc2ce8ed0, v28
	s_delay_alu instid0(VALU_DEP_2) | instskip(SKIP_1) | instid1(VALU_DEP_2)
	v_add_f32_e32 v29, v29, v31
	v_cvt_i32_f32_e32 v31, v85
	v_exp_f32_e32 v29, v29
	s_waitcnt_depctr 0xfff
	v_ldexp_f32 v29, v29, v31
	s_delay_alu instid0(VALU_DEP_1) | instskip(SKIP_1) | instid1(VALU_DEP_2)
	v_cndmask_b32_e32 v29, 0, v29, vcc_lo
	v_cmp_nlt_f32_e32 vcc_lo, 0x42b17218, v28
	v_cndmask_b32_e32 v31, 0x7f800000, v29, vcc_lo
	s_delay_alu instid0(VALU_DEP_1) | instskip(NEXT) | instid1(VALU_DEP_1)
	v_add_f32_e32 v85, 1.0, v31
	v_cvt_f64_f32_e32 v[28:29], v85
	s_delay_alu instid0(VALU_DEP_1) | instskip(SKIP_1) | instid1(VALU_DEP_1)
	v_frexp_exp_i32_f64_e32 v28, v[28:29]
	v_frexp_mant_f32_e32 v29, v85
	v_cmp_gt_f32_e32 vcc_lo, 0x3f2aaaab, v29
	v_add_f32_e32 v29, -1.0, v85
	s_delay_alu instid0(VALU_DEP_1) | instskip(SKIP_1) | instid1(VALU_DEP_2)
	v_sub_f32_e32 v87, v29, v85
	v_sub_f32_e32 v29, v31, v29
	v_add_f32_e32 v87, 1.0, v87
	s_delay_alu instid0(VALU_DEP_1) | instskip(SKIP_1) | instid1(VALU_DEP_1)
	v_add_f32_e32 v29, v29, v87
	v_subrev_co_ci_u32_e32 v28, vcc_lo, 0, v28, vcc_lo
	v_sub_nc_u32_e32 v86, 0, v28
	v_cvt_f32_i32_e32 v28, v28
	s_delay_alu instid0(VALU_DEP_2) | instskip(SKIP_1) | instid1(VALU_DEP_2)
	v_ldexp_f32 v85, v85, v86
	v_ldexp_f32 v29, v29, v86
	v_add_f32_e32 v96, 1.0, v85
	s_delay_alu instid0(VALU_DEP_1) | instskip(NEXT) | instid1(VALU_DEP_1)
	v_dual_add_f32 v86, -1.0, v85 :: v_dual_add_f32 v87, -1.0, v96
	v_add_f32_e32 v97, 1.0, v86
	s_delay_alu instid0(VALU_DEP_2) | instskip(NEXT) | instid1(VALU_DEP_2)
	v_sub_f32_e32 v87, v85, v87
	v_sub_f32_e32 v85, v85, v97
	s_delay_alu instid0(VALU_DEP_2) | instskip(NEXT) | instid1(VALU_DEP_2)
	v_add_f32_e32 v87, v29, v87
	v_add_f32_e32 v29, v29, v85
	s_delay_alu instid0(VALU_DEP_1) | instskip(NEXT) | instid1(VALU_DEP_1)
	v_dual_add_f32 v97, v96, v87 :: v_dual_add_f32 v98, v86, v29
	v_rcp_f32_e32 v85, v97
	v_sub_f32_e32 v96, v96, v97
	s_delay_alu instid0(VALU_DEP_1) | instskip(NEXT) | instid1(VALU_DEP_1)
	v_dual_sub_f32 v86, v86, v98 :: v_dual_add_f32 v87, v87, v96
	v_add_f32_e32 v29, v29, v86
	s_waitcnt_depctr 0xfff
	v_mul_f32_e32 v99, v98, v85
	s_delay_alu instid0(VALU_DEP_1) | instskip(NEXT) | instid1(VALU_DEP_1)
	v_mul_f32_e32 v100, v97, v99
	v_fma_f32 v96, v99, v97, -v100
	s_delay_alu instid0(VALU_DEP_1) | instskip(SKIP_1) | instid1(VALU_DEP_2)
	v_fmac_f32_e32 v96, v99, v87
	v_cmp_eq_f32_e32 vcc_lo, 0x7f800000, v31
	v_add_f32_e32 v102, v100, v96
	s_delay_alu instid0(VALU_DEP_1) | instskip(SKIP_1) | instid1(VALU_DEP_2)
	v_sub_f32_e32 v103, v98, v102
	v_sub_f32_e32 v86, v102, v100
	;; [unrolled: 1-line block ×3, first 2 shown]
	s_delay_alu instid0(VALU_DEP_2) | instskip(NEXT) | instid1(VALU_DEP_2)
	v_sub_f32_e32 v86, v86, v96
	v_sub_f32_e32 v98, v98, v102
	s_delay_alu instid0(VALU_DEP_1) | instskip(NEXT) | instid1(VALU_DEP_1)
	v_add_f32_e32 v29, v29, v98
	v_add_f32_e32 v29, v86, v29
	s_delay_alu instid0(VALU_DEP_1) | instskip(NEXT) | instid1(VALU_DEP_1)
	v_add_f32_e32 v86, v103, v29
	v_mul_f32_e32 v96, v85, v86
	v_sub_f32_e32 v102, v103, v86
	s_delay_alu instid0(VALU_DEP_2) | instskip(NEXT) | instid1(VALU_DEP_2)
	v_mul_f32_e32 v98, v97, v96
	v_add_f32_e32 v29, v29, v102
	s_delay_alu instid0(VALU_DEP_2) | instskip(NEXT) | instid1(VALU_DEP_1)
	v_fma_f32 v97, v96, v97, -v98
	v_fmac_f32_e32 v97, v96, v87
	s_delay_alu instid0(VALU_DEP_1) | instskip(NEXT) | instid1(VALU_DEP_1)
	v_add_f32_e32 v87, v98, v97
	v_sub_f32_e32 v100, v86, v87
	v_sub_f32_e32 v98, v87, v98
	s_delay_alu instid0(VALU_DEP_2) | instskip(NEXT) | instid1(VALU_DEP_1)
	v_sub_f32_e32 v86, v86, v100
	v_sub_f32_e32 v86, v86, v87
	s_delay_alu instid0(VALU_DEP_3) | instskip(NEXT) | instid1(VALU_DEP_2)
	v_sub_f32_e32 v87, v98, v97
	v_dual_add_f32 v29, v29, v86 :: v_dual_add_f32 v86, v99, v96
	s_delay_alu instid0(VALU_DEP_1) | instskip(NEXT) | instid1(VALU_DEP_2)
	v_add_f32_e32 v29, v87, v29
	v_sub_f32_e32 v87, v86, v99
	s_delay_alu instid0(VALU_DEP_2) | instskip(NEXT) | instid1(VALU_DEP_2)
	v_add_f32_e32 v29, v100, v29
	v_sub_f32_e32 v87, v96, v87
	s_delay_alu instid0(VALU_DEP_2) | instskip(NEXT) | instid1(VALU_DEP_1)
	v_mul_f32_e32 v29, v85, v29
	v_add_f32_e32 v29, v87, v29
	s_delay_alu instid0(VALU_DEP_1) | instskip(NEXT) | instid1(VALU_DEP_1)
	v_add_f32_e32 v85, v86, v29
	v_mul_f32_e32 v87, v85, v85
	s_delay_alu instid0(VALU_DEP_1) | instskip(SKIP_2) | instid1(VALU_DEP_3)
	v_fmaak_f32 v96, s17, v87, 0x3ecc95a3
	v_mul_f32_e32 v97, v85, v87
	v_cmp_gt_f32_e64 s17, 0x33800000, |v31|
	v_fmaak_f32 v87, v87, v96, 0x3f2aaada
	v_ldexp_f32 v96, v85, 1
	v_sub_f32_e32 v85, v85, v86
	s_delay_alu instid0(VALU_DEP_4) | instskip(NEXT) | instid1(VALU_DEP_3)
	s_or_b32 vcc_lo, vcc_lo, s17
	v_mul_f32_e32 v87, v97, v87
	v_mul_f32_e32 v97, 0x3f317218, v28
	s_delay_alu instid0(VALU_DEP_2) | instskip(NEXT) | instid1(VALU_DEP_1)
	v_dual_sub_f32 v29, v29, v85 :: v_dual_add_f32 v86, v96, v87
	v_ldexp_f32 v29, v29, 1
	s_delay_alu instid0(VALU_DEP_2) | instskip(NEXT) | instid1(VALU_DEP_4)
	v_sub_f32_e32 v85, v86, v96
	v_fma_f32 v96, 0x3f317218, v28, -v97
	s_delay_alu instid0(VALU_DEP_1) | instskip(NEXT) | instid1(VALU_DEP_1)
	v_dual_sub_f32 v85, v87, v85 :: v_dual_fmamk_f32 v28, v28, 0xb102e308, v96
	v_add_f32_e32 v29, v29, v85
	s_delay_alu instid0(VALU_DEP_2) | instskip(NEXT) | instid1(VALU_DEP_2)
	v_add_f32_e32 v85, v97, v28
	v_add_f32_e32 v87, v86, v29
	s_delay_alu instid0(VALU_DEP_2) | instskip(NEXT) | instid1(VALU_DEP_2)
	v_sub_f32_e32 v97, v85, v97
	v_add_f32_e32 v96, v85, v87
	v_sub_f32_e32 v86, v87, v86
	s_delay_alu instid0(VALU_DEP_3) | instskip(NEXT) | instid1(VALU_DEP_2)
	v_sub_f32_e32 v28, v28, v97
	v_dual_sub_f32 v98, v96, v85 :: v_dual_sub_f32 v29, v29, v86
	s_delay_alu instid0(VALU_DEP_1) | instskip(NEXT) | instid1(VALU_DEP_2)
	v_sub_f32_e32 v99, v96, v98
	v_dual_sub_f32 v86, v87, v98 :: v_dual_add_f32 v87, v28, v29
	s_delay_alu instid0(VALU_DEP_2) | instskip(NEXT) | instid1(VALU_DEP_1)
	v_sub_f32_e32 v85, v85, v99
	v_dual_add_f32 v85, v86, v85 :: v_dual_sub_f32 v86, v87, v28
	s_delay_alu instid0(VALU_DEP_1) | instskip(NEXT) | instid1(VALU_DEP_2)
	v_add_f32_e32 v85, v87, v85
	v_sub_f32_e32 v87, v87, v86
	v_sub_f32_e32 v29, v29, v86
	s_delay_alu instid0(VALU_DEP_3) | instskip(NEXT) | instid1(VALU_DEP_3)
	v_add_f32_e32 v97, v96, v85
	v_sub_f32_e32 v28, v28, v87
	s_delay_alu instid0(VALU_DEP_2) | instskip(NEXT) | instid1(VALU_DEP_2)
	v_sub_f32_e32 v86, v97, v96
	v_add_f32_e32 v28, v29, v28
	s_delay_alu instid0(VALU_DEP_2) | instskip(NEXT) | instid1(VALU_DEP_1)
	v_sub_f32_e32 v29, v85, v86
	v_add_f32_e32 v28, v28, v29
	s_delay_alu instid0(VALU_DEP_1) | instskip(NEXT) | instid1(VALU_DEP_1)
	v_add_f32_e32 v28, v97, v28
	v_cndmask_b32_e32 v28, v28, v31, vcc_lo
	s_delay_alu instid0(VALU_DEP_1) | instskip(NEXT) | instid1(VALU_DEP_1)
	v_add_f32_e32 v28, v30, v28
	v_cvt_f16_f32_e32 v28, v28
	s_delay_alu instid0(VALU_DEP_1)
	v_mov_b32_e32 v102, v28
	v_cvt_f32_f16_e32 v29, v28
.LBB390_77:
	s_or_b32 exec_lo, exec_lo, s16
	v_cvt_f32_f16_e32 v85, v23
	s_delay_alu instid0(VALU_DEP_2) | instskip(SKIP_2) | instid1(VALU_DEP_3)
	v_max_f32_e32 v30, v29, v29
	v_cmp_u_f16_e32 vcc_lo, v28, v28
	v_cmp_u_f16_e64 s16, v23, v23
	v_min_f32_e32 v31, v30, v85
	v_max_f32_e32 v30, v30, v85
	s_delay_alu instid0(VALU_DEP_2) | instskip(NEXT) | instid1(VALU_DEP_2)
	v_cndmask_b32_e32 v31, v31, v29, vcc_lo
	v_cndmask_b32_e32 v30, v30, v29, vcc_lo
	s_delay_alu instid0(VALU_DEP_2) | instskip(NEXT) | instid1(VALU_DEP_2)
	v_cndmask_b32_e64 v31, v31, v85, s16
	v_cndmask_b32_e64 v30, v30, v85, s16
	s_delay_alu instid0(VALU_DEP_2) | instskip(NEXT) | instid1(VALU_DEP_2)
	v_cmp_class_f32_e64 s17, v31, 0x1f8
	v_cmp_neq_f32_e32 vcc_lo, v31, v30
	s_delay_alu instid0(VALU_DEP_2) | instskip(NEXT) | instid1(SALU_CYCLE_1)
	s_or_b32 s18, vcc_lo, s17
	s_and_saveexec_b32 s17, s18
	s_cbranch_execz .LBB390_79
; %bb.78:
	v_sub_f32_e32 v28, v31, v30
	s_mov_b32 s18, 0x3e9b6dac
	s_delay_alu instid0(VALU_DEP_1) | instskip(NEXT) | instid1(VALU_DEP_1)
	v_mul_f32_e32 v29, 0x3fb8aa3b, v28
	v_fma_f32 v31, 0x3fb8aa3b, v28, -v29
	v_rndne_f32_e32 v86, v29
	s_delay_alu instid0(VALU_DEP_2) | instskip(NEXT) | instid1(VALU_DEP_2)
	v_fmamk_f32 v31, v28, 0x32a5705f, v31
	v_sub_f32_e32 v29, v29, v86
	s_delay_alu instid0(VALU_DEP_1) | instskip(SKIP_2) | instid1(VALU_DEP_3)
	v_add_f32_e32 v29, v29, v31
	v_cvt_i32_f32_e32 v31, v86
	v_cmp_ngt_f32_e32 vcc_lo, 0xc2ce8ed0, v28
	v_exp_f32_e32 v29, v29
	s_waitcnt_depctr 0xfff
	v_ldexp_f32 v29, v29, v31
	s_delay_alu instid0(VALU_DEP_1) | instskip(SKIP_1) | instid1(VALU_DEP_2)
	v_cndmask_b32_e32 v29, 0, v29, vcc_lo
	v_cmp_nlt_f32_e32 vcc_lo, 0x42b17218, v28
	v_cndmask_b32_e32 v31, 0x7f800000, v29, vcc_lo
	s_delay_alu instid0(VALU_DEP_1) | instskip(NEXT) | instid1(VALU_DEP_1)
	v_add_f32_e32 v86, 1.0, v31
	v_cvt_f64_f32_e32 v[28:29], v86
	s_delay_alu instid0(VALU_DEP_1) | instskip(SKIP_1) | instid1(VALU_DEP_1)
	v_frexp_exp_i32_f64_e32 v28, v[28:29]
	v_frexp_mant_f32_e32 v29, v86
	v_cmp_gt_f32_e32 vcc_lo, 0x3f2aaaab, v29
	v_add_f32_e32 v29, -1.0, v86
	s_delay_alu instid0(VALU_DEP_1) | instskip(NEXT) | instid1(VALU_DEP_1)
	v_sub_f32_e32 v96, v29, v86
	v_add_f32_e32 v96, 1.0, v96
	v_subrev_co_ci_u32_e32 v28, vcc_lo, 0, v28, vcc_lo
	s_delay_alu instid0(VALU_DEP_1) | instskip(SKIP_1) | instid1(VALU_DEP_2)
	v_sub_nc_u32_e32 v87, 0, v28
	v_cvt_f32_i32_e32 v28, v28
	v_ldexp_f32 v86, v86, v87
	v_sub_f32_e32 v29, v31, v29
	s_delay_alu instid0(VALU_DEP_1) | instskip(NEXT) | instid1(VALU_DEP_1)
	v_add_f32_e32 v29, v29, v96
	v_ldexp_f32 v29, v29, v87
	s_delay_alu instid0(VALU_DEP_4) | instskip(NEXT) | instid1(VALU_DEP_1)
	v_add_f32_e32 v97, 1.0, v86
	v_add_f32_e32 v96, -1.0, v97
	s_delay_alu instid0(VALU_DEP_1) | instskip(NEXT) | instid1(VALU_DEP_1)
	v_sub_f32_e32 v96, v86, v96
	v_dual_add_f32 v96, v29, v96 :: v_dual_add_f32 v87, -1.0, v86
	s_delay_alu instid0(VALU_DEP_1) | instskip(SKIP_1) | instid1(VALU_DEP_2)
	v_add_f32_e32 v98, 1.0, v87
	v_cmp_eq_f32_e32 vcc_lo, 0x7f800000, v31
	v_sub_f32_e32 v86, v86, v98
	s_delay_alu instid0(VALU_DEP_4) | instskip(NEXT) | instid1(VALU_DEP_2)
	v_add_f32_e32 v98, v97, v96
	v_add_f32_e32 v29, v29, v86
	s_delay_alu instid0(VALU_DEP_2) | instskip(SKIP_1) | instid1(VALU_DEP_1)
	v_rcp_f32_e32 v86, v98
	v_sub_f32_e32 v97, v97, v98
	v_add_f32_e32 v96, v96, v97
	s_delay_alu instid0(VALU_DEP_3) | instskip(SKIP_2) | instid1(VALU_DEP_1)
	v_add_f32_e32 v99, v87, v29
	s_waitcnt_depctr 0xfff
	v_mul_f32_e32 v100, v99, v86
	v_dual_sub_f32 v87, v87, v99 :: v_dual_mul_f32 v102, v98, v100
	s_delay_alu instid0(VALU_DEP_1) | instskip(NEXT) | instid1(VALU_DEP_2)
	v_add_f32_e32 v29, v29, v87
	v_fma_f32 v97, v100, v98, -v102
	s_delay_alu instid0(VALU_DEP_1) | instskip(NEXT) | instid1(VALU_DEP_1)
	v_fmac_f32_e32 v97, v100, v96
	v_add_f32_e32 v103, v102, v97
	s_delay_alu instid0(VALU_DEP_1) | instskip(SKIP_1) | instid1(VALU_DEP_2)
	v_sub_f32_e32 v112, v99, v103
	v_sub_f32_e32 v87, v103, v102
	v_sub_f32_e32 v99, v99, v112
	s_delay_alu instid0(VALU_DEP_2) | instskip(NEXT) | instid1(VALU_DEP_2)
	v_sub_f32_e32 v87, v87, v97
	v_sub_f32_e32 v99, v99, v103
	s_delay_alu instid0(VALU_DEP_1) | instskip(NEXT) | instid1(VALU_DEP_1)
	v_add_f32_e32 v29, v29, v99
	v_add_f32_e32 v29, v87, v29
	s_delay_alu instid0(VALU_DEP_1) | instskip(NEXT) | instid1(VALU_DEP_1)
	v_add_f32_e32 v87, v112, v29
	v_mul_f32_e32 v97, v86, v87
	v_sub_f32_e32 v103, v112, v87
	s_delay_alu instid0(VALU_DEP_2) | instskip(NEXT) | instid1(VALU_DEP_2)
	v_mul_f32_e32 v99, v98, v97
	v_add_f32_e32 v29, v29, v103
	s_delay_alu instid0(VALU_DEP_2) | instskip(NEXT) | instid1(VALU_DEP_1)
	v_fma_f32 v98, v97, v98, -v99
	v_fmac_f32_e32 v98, v97, v96
	s_delay_alu instid0(VALU_DEP_1) | instskip(NEXT) | instid1(VALU_DEP_1)
	v_add_f32_e32 v96, v99, v98
	v_dual_sub_f32 v102, v87, v96 :: v_dual_sub_f32 v99, v96, v99
	s_delay_alu instid0(VALU_DEP_1) | instskip(NEXT) | instid1(VALU_DEP_1)
	v_sub_f32_e32 v87, v87, v102
	v_sub_f32_e32 v87, v87, v96
	s_delay_alu instid0(VALU_DEP_1) | instskip(SKIP_1) | instid1(VALU_DEP_1)
	v_dual_sub_f32 v96, v99, v98 :: v_dual_add_f32 v29, v29, v87
	v_add_f32_e32 v87, v100, v97
	v_dual_add_f32 v29, v96, v29 :: v_dual_sub_f32 v96, v87, v100
	s_delay_alu instid0(VALU_DEP_1) | instskip(NEXT) | instid1(VALU_DEP_1)
	v_dual_add_f32 v29, v102, v29 :: v_dual_sub_f32 v96, v97, v96
	v_mul_f32_e32 v29, v86, v29
	s_delay_alu instid0(VALU_DEP_1) | instskip(NEXT) | instid1(VALU_DEP_1)
	v_add_f32_e32 v29, v96, v29
	v_add_f32_e32 v86, v87, v29
	s_delay_alu instid0(VALU_DEP_1) | instskip(NEXT) | instid1(VALU_DEP_1)
	v_mul_f32_e32 v96, v86, v86
	v_fmaak_f32 v97, s18, v96, 0x3ecc95a3
	v_mul_f32_e32 v98, v86, v96
	v_cmp_gt_f32_e64 s18, 0x33800000, |v31|
	s_delay_alu instid0(VALU_DEP_3) | instskip(SKIP_2) | instid1(VALU_DEP_4)
	v_fmaak_f32 v96, v96, v97, 0x3f2aaada
	v_ldexp_f32 v97, v86, 1
	v_sub_f32_e32 v86, v86, v87
	s_or_b32 vcc_lo, vcc_lo, s18
	s_delay_alu instid0(VALU_DEP_3) | instskip(NEXT) | instid1(VALU_DEP_2)
	v_mul_f32_e32 v96, v98, v96
	v_dual_mul_f32 v98, 0x3f317218, v28 :: v_dual_sub_f32 v29, v29, v86
	s_delay_alu instid0(VALU_DEP_2) | instskip(NEXT) | instid1(VALU_DEP_2)
	v_add_f32_e32 v87, v97, v96
	v_ldexp_f32 v29, v29, 1
	s_delay_alu instid0(VALU_DEP_2) | instskip(NEXT) | instid1(VALU_DEP_4)
	v_sub_f32_e32 v86, v87, v97
	v_fma_f32 v97, 0x3f317218, v28, -v98
	s_delay_alu instid0(VALU_DEP_2) | instskip(NEXT) | instid1(VALU_DEP_1)
	v_sub_f32_e32 v86, v96, v86
	v_dual_fmamk_f32 v28, v28, 0xb102e308, v97 :: v_dual_add_f32 v29, v29, v86
	s_delay_alu instid0(VALU_DEP_1) | instskip(NEXT) | instid1(VALU_DEP_2)
	v_add_f32_e32 v86, v98, v28
	v_add_f32_e32 v96, v87, v29
	s_delay_alu instid0(VALU_DEP_2) | instskip(NEXT) | instid1(VALU_DEP_2)
	v_sub_f32_e32 v98, v86, v98
	v_add_f32_e32 v97, v86, v96
	v_sub_f32_e32 v87, v96, v87
	s_delay_alu instid0(VALU_DEP_3) | instskip(NEXT) | instid1(VALU_DEP_3)
	v_sub_f32_e32 v28, v28, v98
	v_sub_f32_e32 v99, v97, v86
	s_delay_alu instid0(VALU_DEP_3) | instskip(NEXT) | instid1(VALU_DEP_2)
	v_sub_f32_e32 v29, v29, v87
	v_sub_f32_e32 v100, v97, v99
	;; [unrolled: 1-line block ×3, first 2 shown]
	s_delay_alu instid0(VALU_DEP_3) | instskip(NEXT) | instid1(VALU_DEP_3)
	v_add_f32_e32 v96, v28, v29
	v_sub_f32_e32 v86, v86, v100
	s_delay_alu instid0(VALU_DEP_1) | instskip(NEXT) | instid1(VALU_DEP_1)
	v_dual_add_f32 v86, v87, v86 :: v_dual_sub_f32 v87, v96, v28
	v_add_f32_e32 v86, v96, v86
	s_delay_alu instid0(VALU_DEP_2) | instskip(SKIP_1) | instid1(VALU_DEP_3)
	v_sub_f32_e32 v96, v96, v87
	v_sub_f32_e32 v29, v29, v87
	v_add_f32_e32 v98, v97, v86
	s_delay_alu instid0(VALU_DEP_1) | instskip(NEXT) | instid1(VALU_DEP_1)
	v_dual_sub_f32 v28, v28, v96 :: v_dual_sub_f32 v87, v98, v97
	v_dual_add_f32 v28, v29, v28 :: v_dual_sub_f32 v29, v86, v87
	s_delay_alu instid0(VALU_DEP_1) | instskip(NEXT) | instid1(VALU_DEP_1)
	v_add_f32_e32 v28, v28, v29
	v_add_f32_e32 v28, v98, v28
	s_delay_alu instid0(VALU_DEP_1) | instskip(NEXT) | instid1(VALU_DEP_1)
	v_cndmask_b32_e32 v28, v28, v31, vcc_lo
	v_add_f32_e32 v28, v30, v28
	s_delay_alu instid0(VALU_DEP_1) | instskip(NEXT) | instid1(VALU_DEP_1)
	v_cvt_f16_f32_e32 v28, v28
	v_cvt_f32_f16_e32 v29, v28
	v_mov_b32_e32 v102, v28
.LBB390_79:
	s_or_b32 exec_lo, exec_lo, s17
	v_cvt_f32_f16_e32 v86, v49
	s_delay_alu instid0(VALU_DEP_3) | instskip(SKIP_2) | instid1(VALU_DEP_3)
	v_max_f32_e32 v30, v29, v29
	v_cmp_u_f16_e32 vcc_lo, v28, v28
	v_cmp_u_f16_e64 s17, v49, v49
	v_min_f32_e32 v31, v30, v86
	s_delay_alu instid0(VALU_DEP_1) | instskip(NEXT) | instid1(VALU_DEP_1)
	v_dual_max_f32 v30, v30, v86 :: v_dual_cndmask_b32 v31, v31, v29
	v_cndmask_b32_e32 v30, v30, v29, vcc_lo
	s_delay_alu instid0(VALU_DEP_2) | instskip(NEXT) | instid1(VALU_DEP_2)
	v_cndmask_b32_e64 v31, v31, v86, s17
	v_cndmask_b32_e64 v30, v30, v86, s17
	s_delay_alu instid0(VALU_DEP_2) | instskip(NEXT) | instid1(VALU_DEP_2)
	v_cmp_class_f32_e64 s18, v31, 0x1f8
	v_cmp_neq_f32_e32 vcc_lo, v31, v30
	s_delay_alu instid0(VALU_DEP_2) | instskip(NEXT) | instid1(SALU_CYCLE_1)
	s_or_b32 s19, vcc_lo, s18
	s_and_saveexec_b32 s18, s19
	s_cbranch_execz .LBB390_81
; %bb.80:
	v_sub_f32_e32 v28, v31, v30
	s_mov_b32 s19, 0x3e9b6dac
	s_delay_alu instid0(VALU_DEP_1) | instskip(NEXT) | instid1(VALU_DEP_1)
	v_mul_f32_e32 v29, 0x3fb8aa3b, v28
	v_fma_f32 v31, 0x3fb8aa3b, v28, -v29
	v_rndne_f32_e32 v87, v29
	s_delay_alu instid0(VALU_DEP_1) | instskip(NEXT) | instid1(VALU_DEP_3)
	v_sub_f32_e32 v29, v29, v87
	v_fmamk_f32 v31, v28, 0x32a5705f, v31
	v_cmp_ngt_f32_e32 vcc_lo, 0xc2ce8ed0, v28
	s_delay_alu instid0(VALU_DEP_2) | instskip(SKIP_1) | instid1(VALU_DEP_2)
	v_add_f32_e32 v29, v29, v31
	v_cvt_i32_f32_e32 v31, v87
	v_exp_f32_e32 v29, v29
	s_waitcnt_depctr 0xfff
	v_ldexp_f32 v29, v29, v31
	s_delay_alu instid0(VALU_DEP_1) | instskip(SKIP_1) | instid1(VALU_DEP_2)
	v_cndmask_b32_e32 v29, 0, v29, vcc_lo
	v_cmp_nlt_f32_e32 vcc_lo, 0x42b17218, v28
	v_cndmask_b32_e32 v31, 0x7f800000, v29, vcc_lo
	s_delay_alu instid0(VALU_DEP_1) | instskip(NEXT) | instid1(VALU_DEP_1)
	v_add_f32_e32 v87, 1.0, v31
	v_cvt_f64_f32_e32 v[28:29], v87
	s_delay_alu instid0(VALU_DEP_1) | instskip(SKIP_1) | instid1(VALU_DEP_1)
	v_frexp_exp_i32_f64_e32 v28, v[28:29]
	v_frexp_mant_f32_e32 v29, v87
	v_cmp_gt_f32_e32 vcc_lo, 0x3f2aaaab, v29
	v_add_f32_e32 v29, -1.0, v87
	s_delay_alu instid0(VALU_DEP_1) | instskip(SKIP_1) | instid1(VALU_DEP_2)
	v_sub_f32_e32 v97, v29, v87
	v_sub_f32_e32 v29, v31, v29
	v_add_f32_e32 v97, 1.0, v97
	s_delay_alu instid0(VALU_DEP_1) | instskip(SKIP_1) | instid1(VALU_DEP_1)
	v_add_f32_e32 v29, v29, v97
	v_subrev_co_ci_u32_e32 v28, vcc_lo, 0, v28, vcc_lo
	v_sub_nc_u32_e32 v96, 0, v28
	v_cvt_f32_i32_e32 v28, v28
	s_delay_alu instid0(VALU_DEP_2) | instskip(SKIP_1) | instid1(VALU_DEP_2)
	v_ldexp_f32 v87, v87, v96
	v_ldexp_f32 v29, v29, v96
	v_add_f32_e32 v98, 1.0, v87
	s_delay_alu instid0(VALU_DEP_1) | instskip(NEXT) | instid1(VALU_DEP_1)
	v_dual_add_f32 v96, -1.0, v87 :: v_dual_add_f32 v97, -1.0, v98
	v_add_f32_e32 v99, 1.0, v96
	s_delay_alu instid0(VALU_DEP_2) | instskip(NEXT) | instid1(VALU_DEP_2)
	v_sub_f32_e32 v97, v87, v97
	v_sub_f32_e32 v87, v87, v99
	s_delay_alu instid0(VALU_DEP_2) | instskip(NEXT) | instid1(VALU_DEP_1)
	v_add_f32_e32 v97, v29, v97
	v_add_f32_e32 v99, v98, v97
	s_delay_alu instid0(VALU_DEP_3) | instskip(NEXT) | instid1(VALU_DEP_2)
	v_add_f32_e32 v29, v29, v87
	v_rcp_f32_e32 v87, v99
	s_delay_alu instid0(VALU_DEP_1) | instskip(SKIP_2) | instid1(VALU_DEP_2)
	v_add_f32_e32 v100, v96, v29
	v_sub_f32_e32 v98, v98, v99
	v_cmp_eq_f32_e32 vcc_lo, 0x7f800000, v31
	v_dual_sub_f32 v96, v96, v100 :: v_dual_add_f32 v97, v97, v98
	s_waitcnt_depctr 0xfff
	v_dual_mul_f32 v102, v100, v87 :: v_dual_add_f32 v29, v29, v96
	s_delay_alu instid0(VALU_DEP_1) | instskip(NEXT) | instid1(VALU_DEP_1)
	v_mul_f32_e32 v103, v99, v102
	v_fma_f32 v98, v102, v99, -v103
	s_delay_alu instid0(VALU_DEP_1) | instskip(NEXT) | instid1(VALU_DEP_1)
	v_fmac_f32_e32 v98, v102, v97
	v_add_f32_e32 v112, v103, v98
	s_delay_alu instid0(VALU_DEP_1) | instskip(SKIP_1) | instid1(VALU_DEP_2)
	v_sub_f32_e32 v113, v100, v112
	v_sub_f32_e32 v96, v112, v103
	;; [unrolled: 1-line block ×3, first 2 shown]
	s_delay_alu instid0(VALU_DEP_2) | instskip(NEXT) | instid1(VALU_DEP_2)
	v_sub_f32_e32 v96, v96, v98
	v_sub_f32_e32 v100, v100, v112
	s_delay_alu instid0(VALU_DEP_1) | instskip(NEXT) | instid1(VALU_DEP_1)
	v_add_f32_e32 v29, v29, v100
	v_add_f32_e32 v29, v96, v29
	s_delay_alu instid0(VALU_DEP_1) | instskip(NEXT) | instid1(VALU_DEP_1)
	v_add_f32_e32 v96, v113, v29
	v_mul_f32_e32 v98, v87, v96
	v_sub_f32_e32 v112, v113, v96
	s_delay_alu instid0(VALU_DEP_1) | instskip(NEXT) | instid1(VALU_DEP_1)
	v_dual_mul_f32 v100, v99, v98 :: v_dual_add_f32 v29, v29, v112
	v_fma_f32 v99, v98, v99, -v100
	s_delay_alu instid0(VALU_DEP_1) | instskip(NEXT) | instid1(VALU_DEP_1)
	v_fmac_f32_e32 v99, v98, v97
	v_add_f32_e32 v97, v100, v99
	s_delay_alu instid0(VALU_DEP_1) | instskip(NEXT) | instid1(VALU_DEP_1)
	v_dual_sub_f32 v103, v96, v97 :: v_dual_sub_f32 v100, v97, v100
	v_sub_f32_e32 v96, v96, v103
	s_delay_alu instid0(VALU_DEP_1) | instskip(NEXT) | instid1(VALU_DEP_3)
	v_sub_f32_e32 v96, v96, v97
	v_sub_f32_e32 v97, v100, v99
	s_delay_alu instid0(VALU_DEP_2) | instskip(NEXT) | instid1(VALU_DEP_1)
	v_dual_add_f32 v29, v29, v96 :: v_dual_add_f32 v96, v102, v98
	v_add_f32_e32 v29, v97, v29
	s_delay_alu instid0(VALU_DEP_2) | instskip(NEXT) | instid1(VALU_DEP_2)
	v_sub_f32_e32 v97, v96, v102
	v_add_f32_e32 v29, v103, v29
	s_delay_alu instid0(VALU_DEP_2) | instskip(NEXT) | instid1(VALU_DEP_2)
	v_sub_f32_e32 v97, v98, v97
	v_mul_f32_e32 v29, v87, v29
	s_delay_alu instid0(VALU_DEP_1) | instskip(NEXT) | instid1(VALU_DEP_1)
	v_add_f32_e32 v29, v97, v29
	v_add_f32_e32 v87, v96, v29
	s_delay_alu instid0(VALU_DEP_1) | instskip(NEXT) | instid1(VALU_DEP_1)
	v_mul_f32_e32 v97, v87, v87
	v_fmaak_f32 v98, s19, v97, 0x3ecc95a3
	v_mul_f32_e32 v99, v87, v97
	v_cmp_gt_f32_e64 s19, 0x33800000, |v31|
	s_delay_alu instid0(VALU_DEP_3) | instskip(SKIP_2) | instid1(VALU_DEP_4)
	v_fmaak_f32 v97, v97, v98, 0x3f2aaada
	v_ldexp_f32 v98, v87, 1
	v_sub_f32_e32 v87, v87, v96
	s_or_b32 vcc_lo, vcc_lo, s19
	s_delay_alu instid0(VALU_DEP_3) | instskip(SKIP_1) | instid1(VALU_DEP_2)
	v_mul_f32_e32 v97, v99, v97
	v_mul_f32_e32 v99, 0x3f317218, v28
	v_dual_sub_f32 v29, v29, v87 :: v_dual_add_f32 v96, v98, v97
	s_delay_alu instid0(VALU_DEP_1) | instskip(NEXT) | instid1(VALU_DEP_2)
	v_ldexp_f32 v29, v29, 1
	v_sub_f32_e32 v87, v96, v98
	s_delay_alu instid0(VALU_DEP_4) | instskip(NEXT) | instid1(VALU_DEP_1)
	v_fma_f32 v98, 0x3f317218, v28, -v99
	v_dual_sub_f32 v87, v97, v87 :: v_dual_fmamk_f32 v28, v28, 0xb102e308, v98
	s_delay_alu instid0(VALU_DEP_1) | instskip(NEXT) | instid1(VALU_DEP_2)
	v_add_f32_e32 v29, v29, v87
	v_add_f32_e32 v87, v99, v28
	s_delay_alu instid0(VALU_DEP_2) | instskip(NEXT) | instid1(VALU_DEP_2)
	v_add_f32_e32 v97, v96, v29
	v_sub_f32_e32 v99, v87, v99
	s_delay_alu instid0(VALU_DEP_2) | instskip(SKIP_1) | instid1(VALU_DEP_3)
	v_add_f32_e32 v98, v87, v97
	v_sub_f32_e32 v96, v97, v96
	v_sub_f32_e32 v28, v28, v99
	s_delay_alu instid0(VALU_DEP_2) | instskip(NEXT) | instid1(VALU_DEP_1)
	v_dual_sub_f32 v100, v98, v87 :: v_dual_sub_f32 v29, v29, v96
	v_sub_f32_e32 v102, v98, v100
	s_delay_alu instid0(VALU_DEP_2) | instskip(NEXT) | instid1(VALU_DEP_2)
	v_dual_sub_f32 v96, v97, v100 :: v_dual_add_f32 v97, v28, v29
	v_sub_f32_e32 v87, v87, v102
	s_delay_alu instid0(VALU_DEP_1) | instskip(NEXT) | instid1(VALU_DEP_1)
	v_dual_add_f32 v87, v96, v87 :: v_dual_sub_f32 v96, v97, v28
	v_add_f32_e32 v87, v97, v87
	s_delay_alu instid0(VALU_DEP_2) | instskip(SKIP_1) | instid1(VALU_DEP_2)
	v_sub_f32_e32 v97, v97, v96
	v_sub_f32_e32 v29, v29, v96
	v_dual_add_f32 v99, v98, v87 :: v_dual_sub_f32 v28, v28, v97
	s_delay_alu instid0(VALU_DEP_1) | instskip(NEXT) | instid1(VALU_DEP_2)
	v_sub_f32_e32 v96, v99, v98
	v_add_f32_e32 v28, v29, v28
	s_delay_alu instid0(VALU_DEP_2) | instskip(NEXT) | instid1(VALU_DEP_1)
	v_sub_f32_e32 v29, v87, v96
	v_add_f32_e32 v28, v28, v29
	s_delay_alu instid0(VALU_DEP_1) | instskip(NEXT) | instid1(VALU_DEP_1)
	v_add_f32_e32 v28, v99, v28
	v_cndmask_b32_e32 v28, v28, v31, vcc_lo
	s_delay_alu instid0(VALU_DEP_1) | instskip(NEXT) | instid1(VALU_DEP_1)
	v_add_f32_e32 v28, v30, v28
	v_cvt_f16_f32_e32 v28, v28
	s_delay_alu instid0(VALU_DEP_1)
	v_cvt_f32_f16_e32 v29, v28
	v_mov_b32_e32 v102, v28
.LBB390_81:
	s_or_b32 exec_lo, exec_lo, s18
	v_cvt_f32_f16_e32 v87, v16
	s_delay_alu instid0(VALU_DEP_3) | instskip(SKIP_2) | instid1(VALU_DEP_3)
	v_max_f32_e32 v30, v29, v29
	v_cmp_u_f16_e32 vcc_lo, v28, v28
	v_cmp_u_f16_e64 s18, v16, v16
	v_min_f32_e32 v31, v30, v87
	s_delay_alu instid0(VALU_DEP_1) | instskip(NEXT) | instid1(VALU_DEP_1)
	v_dual_max_f32 v30, v30, v87 :: v_dual_cndmask_b32 v31, v31, v29
	v_cndmask_b32_e32 v30, v30, v29, vcc_lo
	s_delay_alu instid0(VALU_DEP_2) | instskip(NEXT) | instid1(VALU_DEP_2)
	v_cndmask_b32_e64 v31, v31, v87, s18
	v_cndmask_b32_e64 v30, v30, v87, s18
	s_delay_alu instid0(VALU_DEP_2) | instskip(NEXT) | instid1(VALU_DEP_2)
	v_cmp_class_f32_e64 s19, v31, 0x1f8
	v_cmp_neq_f32_e32 vcc_lo, v31, v30
	s_delay_alu instid0(VALU_DEP_2) | instskip(NEXT) | instid1(SALU_CYCLE_1)
	s_or_b32 s20, vcc_lo, s19
	s_and_saveexec_b32 s19, s20
	s_cbranch_execz .LBB390_83
; %bb.82:
	v_sub_f32_e32 v28, v31, v30
	s_mov_b32 s20, 0x3e9b6dac
	s_delay_alu instid0(VALU_DEP_1) | instskip(NEXT) | instid1(VALU_DEP_1)
	v_mul_f32_e32 v29, 0x3fb8aa3b, v28
	v_fma_f32 v31, 0x3fb8aa3b, v28, -v29
	v_rndne_f32_e32 v96, v29
	s_delay_alu instid0(VALU_DEP_1) | instskip(NEXT) | instid1(VALU_DEP_3)
	v_sub_f32_e32 v29, v29, v96
	v_fmamk_f32 v31, v28, 0x32a5705f, v31
	v_cmp_ngt_f32_e32 vcc_lo, 0xc2ce8ed0, v28
	s_delay_alu instid0(VALU_DEP_2) | instskip(SKIP_1) | instid1(VALU_DEP_2)
	v_add_f32_e32 v29, v29, v31
	v_cvt_i32_f32_e32 v31, v96
	v_exp_f32_e32 v29, v29
	s_waitcnt_depctr 0xfff
	v_ldexp_f32 v29, v29, v31
	s_delay_alu instid0(VALU_DEP_1) | instskip(SKIP_1) | instid1(VALU_DEP_2)
	v_cndmask_b32_e32 v29, 0, v29, vcc_lo
	v_cmp_nlt_f32_e32 vcc_lo, 0x42b17218, v28
	v_cndmask_b32_e32 v31, 0x7f800000, v29, vcc_lo
	s_delay_alu instid0(VALU_DEP_1) | instskip(NEXT) | instid1(VALU_DEP_1)
	v_add_f32_e32 v96, 1.0, v31
	v_cvt_f64_f32_e32 v[28:29], v96
	s_delay_alu instid0(VALU_DEP_1) | instskip(SKIP_1) | instid1(VALU_DEP_1)
	v_frexp_exp_i32_f64_e32 v28, v[28:29]
	v_frexp_mant_f32_e32 v29, v96
	v_cmp_gt_f32_e32 vcc_lo, 0x3f2aaaab, v29
	v_add_f32_e32 v29, -1.0, v96
	s_delay_alu instid0(VALU_DEP_1) | instskip(NEXT) | instid1(VALU_DEP_1)
	v_sub_f32_e32 v98, v29, v96
	v_add_f32_e32 v98, 1.0, v98
	v_subrev_co_ci_u32_e32 v28, vcc_lo, 0, v28, vcc_lo
	s_delay_alu instid0(VALU_DEP_1) | instskip(SKIP_1) | instid1(VALU_DEP_2)
	v_sub_nc_u32_e32 v97, 0, v28
	v_cvt_f32_i32_e32 v28, v28
	v_ldexp_f32 v96, v96, v97
	v_sub_f32_e32 v29, v31, v29
	s_delay_alu instid0(VALU_DEP_1) | instskip(NEXT) | instid1(VALU_DEP_1)
	v_add_f32_e32 v29, v29, v98
	v_ldexp_f32 v29, v29, v97
	s_delay_alu instid0(VALU_DEP_4) | instskip(NEXT) | instid1(VALU_DEP_1)
	v_add_f32_e32 v99, 1.0, v96
	v_add_f32_e32 v98, -1.0, v99
	s_delay_alu instid0(VALU_DEP_1) | instskip(SKIP_1) | instid1(VALU_DEP_2)
	v_sub_f32_e32 v98, v96, v98
	v_cmp_eq_f32_e32 vcc_lo, 0x7f800000, v31
	v_dual_add_f32 v98, v29, v98 :: v_dual_add_f32 v97, -1.0, v96
	s_delay_alu instid0(VALU_DEP_1) | instskip(NEXT) | instid1(VALU_DEP_1)
	v_add_f32_e32 v100, 1.0, v97
	v_sub_f32_e32 v96, v96, v100
	s_delay_alu instid0(VALU_DEP_3) | instskip(NEXT) | instid1(VALU_DEP_1)
	v_add_f32_e32 v100, v99, v98
	v_sub_f32_e32 v99, v99, v100
	s_delay_alu instid0(VALU_DEP_3) | instskip(SKIP_1) | instid1(VALU_DEP_2)
	v_add_f32_e32 v29, v29, v96
	v_rcp_f32_e32 v96, v100
	v_add_f32_e32 v98, v98, v99
	s_delay_alu instid0(VALU_DEP_2) | instskip(SKIP_2) | instid1(VALU_DEP_1)
	v_add_f32_e32 v102, v97, v29
	s_waitcnt_depctr 0xfff
	v_mul_f32_e32 v103, v102, v96
	v_mul_f32_e32 v112, v100, v103
	s_delay_alu instid0(VALU_DEP_1) | instskip(NEXT) | instid1(VALU_DEP_1)
	v_fma_f32 v99, v103, v100, -v112
	v_fmac_f32_e32 v99, v103, v98
	s_delay_alu instid0(VALU_DEP_1) | instskip(NEXT) | instid1(VALU_DEP_1)
	v_add_f32_e32 v113, v112, v99
	v_dual_sub_f32 v97, v97, v102 :: v_dual_sub_f32 v114, v102, v113
	s_delay_alu instid0(VALU_DEP_1) | instskip(NEXT) | instid1(VALU_DEP_1)
	v_sub_f32_e32 v102, v102, v114
	v_sub_f32_e32 v102, v102, v113
	s_delay_alu instid0(VALU_DEP_3) | instskip(SKIP_1) | instid1(VALU_DEP_2)
	v_add_f32_e32 v29, v29, v97
	v_sub_f32_e32 v97, v113, v112
	v_add_f32_e32 v29, v29, v102
	s_delay_alu instid0(VALU_DEP_2) | instskip(NEXT) | instid1(VALU_DEP_1)
	v_sub_f32_e32 v97, v97, v99
	v_add_f32_e32 v29, v97, v29
	s_delay_alu instid0(VALU_DEP_1) | instskip(NEXT) | instid1(VALU_DEP_1)
	v_add_f32_e32 v97, v114, v29
	v_mul_f32_e32 v99, v96, v97
	s_delay_alu instid0(VALU_DEP_1) | instskip(NEXT) | instid1(VALU_DEP_1)
	v_dual_mul_f32 v102, v100, v99 :: v_dual_sub_f32 v113, v114, v97
	v_fma_f32 v100, v99, v100, -v102
	s_delay_alu instid0(VALU_DEP_1) | instskip(NEXT) | instid1(VALU_DEP_1)
	v_dual_add_f32 v29, v29, v113 :: v_dual_fmac_f32 v100, v99, v98
	v_add_f32_e32 v98, v102, v100
	s_delay_alu instid0(VALU_DEP_1) | instskip(NEXT) | instid1(VALU_DEP_1)
	v_sub_f32_e32 v112, v97, v98
	v_dual_sub_f32 v102, v98, v102 :: v_dual_sub_f32 v97, v97, v112
	s_delay_alu instid0(VALU_DEP_1) | instskip(NEXT) | instid1(VALU_DEP_1)
	v_dual_sub_f32 v97, v97, v98 :: v_dual_sub_f32 v98, v102, v100
	v_add_f32_e32 v29, v29, v97
	v_add_f32_e32 v97, v103, v99
	s_delay_alu instid0(VALU_DEP_1) | instskip(NEXT) | instid1(VALU_DEP_1)
	v_dual_add_f32 v29, v98, v29 :: v_dual_sub_f32 v98, v97, v103
	v_dual_add_f32 v29, v112, v29 :: v_dual_sub_f32 v98, v99, v98
	s_delay_alu instid0(VALU_DEP_1) | instskip(NEXT) | instid1(VALU_DEP_1)
	v_mul_f32_e32 v29, v96, v29
	v_add_f32_e32 v29, v98, v29
	s_delay_alu instid0(VALU_DEP_1) | instskip(NEXT) | instid1(VALU_DEP_1)
	v_add_f32_e32 v96, v97, v29
	v_mul_f32_e32 v98, v96, v96
	s_delay_alu instid0(VALU_DEP_1) | instskip(SKIP_2) | instid1(VALU_DEP_3)
	v_fmaak_f32 v99, s20, v98, 0x3ecc95a3
	v_mul_f32_e32 v100, v96, v98
	v_cmp_gt_f32_e64 s20, 0x33800000, |v31|
	v_fmaak_f32 v98, v98, v99, 0x3f2aaada
	v_ldexp_f32 v99, v96, 1
	s_delay_alu instid0(VALU_DEP_3) | instskip(NEXT) | instid1(VALU_DEP_2)
	s_or_b32 vcc_lo, vcc_lo, s20
	v_mul_f32_e32 v98, v100, v98
	v_sub_f32_e32 v96, v96, v97
	s_delay_alu instid0(VALU_DEP_2) | instskip(NEXT) | instid1(VALU_DEP_2)
	v_dual_mul_f32 v100, 0x3f317218, v28 :: v_dual_add_f32 v97, v99, v98
	v_sub_f32_e32 v29, v29, v96
	s_delay_alu instid0(VALU_DEP_2) | instskip(NEXT) | instid1(VALU_DEP_3)
	v_sub_f32_e32 v96, v97, v99
	v_fma_f32 v99, 0x3f317218, v28, -v100
	s_delay_alu instid0(VALU_DEP_3) | instskip(NEXT) | instid1(VALU_DEP_3)
	v_ldexp_f32 v29, v29, 1
	v_sub_f32_e32 v96, v98, v96
	s_delay_alu instid0(VALU_DEP_1) | instskip(NEXT) | instid1(VALU_DEP_1)
	v_dual_fmamk_f32 v28, v28, 0xb102e308, v99 :: v_dual_add_f32 v29, v29, v96
	v_add_f32_e32 v98, v97, v29
	s_delay_alu instid0(VALU_DEP_1) | instskip(NEXT) | instid1(VALU_DEP_1)
	v_dual_add_f32 v96, v100, v28 :: v_dual_sub_f32 v97, v98, v97
	v_add_f32_e32 v99, v96, v98
	s_delay_alu instid0(VALU_DEP_2) | instskip(NEXT) | instid1(VALU_DEP_2)
	v_dual_sub_f32 v100, v96, v100 :: v_dual_sub_f32 v29, v29, v97
	v_sub_f32_e32 v102, v99, v96
	s_delay_alu instid0(VALU_DEP_1) | instskip(NEXT) | instid1(VALU_DEP_1)
	v_dual_sub_f32 v103, v99, v102 :: v_dual_sub_f32 v28, v28, v100
	v_dual_sub_f32 v97, v98, v102 :: v_dual_sub_f32 v96, v96, v103
	s_delay_alu instid0(VALU_DEP_2) | instskip(NEXT) | instid1(VALU_DEP_2)
	v_add_f32_e32 v98, v28, v29
	v_add_f32_e32 v96, v97, v96
	s_delay_alu instid0(VALU_DEP_2) | instskip(NEXT) | instid1(VALU_DEP_2)
	v_sub_f32_e32 v97, v98, v28
	v_add_f32_e32 v96, v98, v96
	s_delay_alu instid0(VALU_DEP_2) | instskip(NEXT) | instid1(VALU_DEP_1)
	v_sub_f32_e32 v98, v98, v97
	v_sub_f32_e32 v28, v28, v98
	s_delay_alu instid0(VALU_DEP_3) | instskip(NEXT) | instid1(VALU_DEP_1)
	v_dual_add_f32 v100, v99, v96 :: v_dual_sub_f32 v29, v29, v97
	v_dual_sub_f32 v97, v100, v99 :: v_dual_add_f32 v28, v29, v28
	s_delay_alu instid0(VALU_DEP_1) | instskip(NEXT) | instid1(VALU_DEP_1)
	v_sub_f32_e32 v29, v96, v97
	v_add_f32_e32 v28, v28, v29
	s_delay_alu instid0(VALU_DEP_1) | instskip(NEXT) | instid1(VALU_DEP_1)
	v_add_f32_e32 v28, v100, v28
	v_cndmask_b32_e32 v28, v28, v31, vcc_lo
	s_delay_alu instid0(VALU_DEP_1) | instskip(NEXT) | instid1(VALU_DEP_1)
	v_add_f32_e32 v28, v30, v28
	v_cvt_f16_f32_e32 v28, v28
	s_delay_alu instid0(VALU_DEP_1)
	v_cvt_f32_f16_e32 v29, v28
	v_mov_b32_e32 v102, v28
.LBB390_83:
	s_or_b32 exec_lo, exec_lo, s19
	v_cvt_f32_f16_e32 v96, v48
	s_delay_alu instid0(VALU_DEP_3) | instskip(SKIP_2) | instid1(VALU_DEP_3)
	v_max_f32_e32 v30, v29, v29
	v_cmp_u_f16_e32 vcc_lo, v28, v28
	v_cmp_u_f16_e64 s19, v48, v48
	v_min_f32_e32 v31, v30, v96
	s_delay_alu instid0(VALU_DEP_1) | instskip(NEXT) | instid1(VALU_DEP_1)
	v_dual_max_f32 v30, v30, v96 :: v_dual_cndmask_b32 v31, v31, v29
	v_cndmask_b32_e32 v30, v30, v29, vcc_lo
	s_delay_alu instid0(VALU_DEP_2) | instskip(NEXT) | instid1(VALU_DEP_2)
	v_cndmask_b32_e64 v31, v31, v96, s19
	v_cndmask_b32_e64 v30, v30, v96, s19
	s_delay_alu instid0(VALU_DEP_2) | instskip(NEXT) | instid1(VALU_DEP_2)
	v_cmp_class_f32_e64 s20, v31, 0x1f8
	v_cmp_neq_f32_e32 vcc_lo, v31, v30
	s_delay_alu instid0(VALU_DEP_2) | instskip(NEXT) | instid1(SALU_CYCLE_1)
	s_or_b32 s21, vcc_lo, s20
	s_and_saveexec_b32 s20, s21
	s_cbranch_execz .LBB390_85
; %bb.84:
	v_sub_f32_e32 v28, v31, v30
	s_mov_b32 s21, 0x3e9b6dac
	s_delay_alu instid0(VALU_DEP_1) | instskip(NEXT) | instid1(VALU_DEP_1)
	v_mul_f32_e32 v29, 0x3fb8aa3b, v28
	v_fma_f32 v31, 0x3fb8aa3b, v28, -v29
	v_rndne_f32_e32 v97, v29
	s_delay_alu instid0(VALU_DEP_1) | instskip(NEXT) | instid1(VALU_DEP_3)
	v_sub_f32_e32 v29, v29, v97
	v_fmamk_f32 v31, v28, 0x32a5705f, v31
	v_cmp_ngt_f32_e32 vcc_lo, 0xc2ce8ed0, v28
	s_delay_alu instid0(VALU_DEP_2) | instskip(SKIP_1) | instid1(VALU_DEP_2)
	v_add_f32_e32 v29, v29, v31
	v_cvt_i32_f32_e32 v31, v97
	v_exp_f32_e32 v29, v29
	s_waitcnt_depctr 0xfff
	v_ldexp_f32 v29, v29, v31
	s_delay_alu instid0(VALU_DEP_1) | instskip(SKIP_1) | instid1(VALU_DEP_2)
	v_cndmask_b32_e32 v29, 0, v29, vcc_lo
	v_cmp_nlt_f32_e32 vcc_lo, 0x42b17218, v28
	v_cndmask_b32_e32 v31, 0x7f800000, v29, vcc_lo
	s_delay_alu instid0(VALU_DEP_1) | instskip(NEXT) | instid1(VALU_DEP_1)
	v_add_f32_e32 v97, 1.0, v31
	v_cvt_f64_f32_e32 v[28:29], v97
	s_delay_alu instid0(VALU_DEP_1) | instskip(SKIP_1) | instid1(VALU_DEP_1)
	v_frexp_exp_i32_f64_e32 v28, v[28:29]
	v_frexp_mant_f32_e32 v29, v97
	v_cmp_gt_f32_e32 vcc_lo, 0x3f2aaaab, v29
	v_add_f32_e32 v29, -1.0, v97
	s_delay_alu instid0(VALU_DEP_1) | instskip(SKIP_1) | instid1(VALU_DEP_2)
	v_sub_f32_e32 v99, v29, v97
	v_sub_f32_e32 v29, v31, v29
	v_add_f32_e32 v99, 1.0, v99
	s_delay_alu instid0(VALU_DEP_1) | instskip(SKIP_1) | instid1(VALU_DEP_1)
	v_add_f32_e32 v29, v29, v99
	v_subrev_co_ci_u32_e32 v28, vcc_lo, 0, v28, vcc_lo
	v_sub_nc_u32_e32 v98, 0, v28
	v_cvt_f32_i32_e32 v28, v28
	s_delay_alu instid0(VALU_DEP_2) | instskip(SKIP_1) | instid1(VALU_DEP_2)
	v_ldexp_f32 v97, v97, v98
	v_ldexp_f32 v29, v29, v98
	v_add_f32_e32 v100, 1.0, v97
	s_delay_alu instid0(VALU_DEP_1) | instskip(NEXT) | instid1(VALU_DEP_1)
	v_dual_add_f32 v98, -1.0, v97 :: v_dual_add_f32 v99, -1.0, v100
	v_dual_add_f32 v102, 1.0, v98 :: v_dual_sub_f32 v99, v97, v99
	s_delay_alu instid0(VALU_DEP_1) | instskip(NEXT) | instid1(VALU_DEP_2)
	v_sub_f32_e32 v97, v97, v102
	v_add_f32_e32 v99, v29, v99
	s_delay_alu instid0(VALU_DEP_1) | instskip(NEXT) | instid1(VALU_DEP_1)
	v_dual_add_f32 v29, v29, v97 :: v_dual_add_f32 v102, v100, v99
	v_rcp_f32_e32 v97, v102
	s_delay_alu instid0(VALU_DEP_1) | instskip(SKIP_1) | instid1(VALU_DEP_2)
	v_dual_add_f32 v103, v98, v29 :: v_dual_sub_f32 v100, v100, v102
	v_cmp_eq_f32_e32 vcc_lo, 0x7f800000, v31
	v_dual_sub_f32 v98, v98, v103 :: v_dual_add_f32 v99, v99, v100
	s_waitcnt_depctr 0xfff
	v_dual_mul_f32 v112, v103, v97 :: v_dual_add_f32 v29, v29, v98
	s_delay_alu instid0(VALU_DEP_1) | instskip(NEXT) | instid1(VALU_DEP_1)
	v_mul_f32_e32 v113, v102, v112
	v_fma_f32 v100, v112, v102, -v113
	s_delay_alu instid0(VALU_DEP_1) | instskip(NEXT) | instid1(VALU_DEP_1)
	v_fmac_f32_e32 v100, v112, v99
	v_add_f32_e32 v114, v113, v100
	s_delay_alu instid0(VALU_DEP_1) | instskip(NEXT) | instid1(VALU_DEP_1)
	v_dual_sub_f32 v115, v103, v114 :: v_dual_sub_f32 v98, v114, v113
	v_dual_sub_f32 v103, v103, v115 :: v_dual_sub_f32 v98, v98, v100
	s_delay_alu instid0(VALU_DEP_1) | instskip(NEXT) | instid1(VALU_DEP_1)
	v_sub_f32_e32 v103, v103, v114
	v_add_f32_e32 v29, v29, v103
	s_delay_alu instid0(VALU_DEP_1) | instskip(NEXT) | instid1(VALU_DEP_1)
	v_add_f32_e32 v29, v98, v29
	v_add_f32_e32 v98, v115, v29
	s_delay_alu instid0(VALU_DEP_1) | instskip(NEXT) | instid1(VALU_DEP_1)
	v_mul_f32_e32 v100, v97, v98
	v_dual_sub_f32 v114, v115, v98 :: v_dual_mul_f32 v103, v102, v100
	s_delay_alu instid0(VALU_DEP_1) | instskip(NEXT) | instid1(VALU_DEP_2)
	v_add_f32_e32 v29, v29, v114
	v_fma_f32 v102, v100, v102, -v103
	s_delay_alu instid0(VALU_DEP_1) | instskip(NEXT) | instid1(VALU_DEP_1)
	v_fmac_f32_e32 v102, v100, v99
	v_add_f32_e32 v99, v103, v102
	s_delay_alu instid0(VALU_DEP_1) | instskip(NEXT) | instid1(VALU_DEP_1)
	v_sub_f32_e32 v113, v98, v99
	v_dual_sub_f32 v103, v99, v103 :: v_dual_sub_f32 v98, v98, v113
	s_delay_alu instid0(VALU_DEP_1) | instskip(NEXT) | instid1(VALU_DEP_1)
	v_dual_sub_f32 v98, v98, v99 :: v_dual_sub_f32 v99, v103, v102
	v_dual_add_f32 v29, v29, v98 :: v_dual_add_f32 v98, v112, v100
	s_delay_alu instid0(VALU_DEP_1) | instskip(NEXT) | instid1(VALU_DEP_2)
	v_add_f32_e32 v29, v99, v29
	v_sub_f32_e32 v99, v98, v112
	s_delay_alu instid0(VALU_DEP_2) | instskip(NEXT) | instid1(VALU_DEP_2)
	v_add_f32_e32 v29, v113, v29
	v_sub_f32_e32 v99, v100, v99
	s_delay_alu instid0(VALU_DEP_2) | instskip(NEXT) | instid1(VALU_DEP_1)
	v_mul_f32_e32 v29, v97, v29
	v_add_f32_e32 v29, v99, v29
	s_delay_alu instid0(VALU_DEP_1) | instskip(NEXT) | instid1(VALU_DEP_1)
	v_add_f32_e32 v97, v98, v29
	v_mul_f32_e32 v99, v97, v97
	s_delay_alu instid0(VALU_DEP_1) | instskip(SKIP_2) | instid1(VALU_DEP_3)
	v_fmaak_f32 v100, s21, v99, 0x3ecc95a3
	v_mul_f32_e32 v102, v97, v99
	v_cmp_gt_f32_e64 s21, 0x33800000, |v31|
	v_fmaak_f32 v99, v99, v100, 0x3f2aaada
	v_ldexp_f32 v100, v97, 1
	v_sub_f32_e32 v97, v97, v98
	s_delay_alu instid0(VALU_DEP_4) | instskip(NEXT) | instid1(VALU_DEP_3)
	s_or_b32 vcc_lo, vcc_lo, s21
	v_dual_mul_f32 v99, v102, v99 :: v_dual_mul_f32 v102, 0x3f317218, v28
	s_delay_alu instid0(VALU_DEP_1) | instskip(NEXT) | instid1(VALU_DEP_1)
	v_dual_sub_f32 v29, v29, v97 :: v_dual_add_f32 v98, v100, v99
	v_ldexp_f32 v29, v29, 1
	s_delay_alu instid0(VALU_DEP_2) | instskip(NEXT) | instid1(VALU_DEP_4)
	v_sub_f32_e32 v97, v98, v100
	v_fma_f32 v100, 0x3f317218, v28, -v102
	s_delay_alu instid0(VALU_DEP_1) | instskip(NEXT) | instid1(VALU_DEP_1)
	v_dual_sub_f32 v97, v99, v97 :: v_dual_fmamk_f32 v28, v28, 0xb102e308, v100
	v_add_f32_e32 v29, v29, v97
	s_delay_alu instid0(VALU_DEP_2) | instskip(NEXT) | instid1(VALU_DEP_1)
	v_add_f32_e32 v97, v102, v28
	v_dual_add_f32 v99, v98, v29 :: v_dual_sub_f32 v102, v97, v102
	s_delay_alu instid0(VALU_DEP_1) | instskip(SKIP_1) | instid1(VALU_DEP_3)
	v_add_f32_e32 v100, v97, v99
	v_sub_f32_e32 v98, v99, v98
	v_sub_f32_e32 v28, v28, v102
	s_delay_alu instid0(VALU_DEP_3) | instskip(NEXT) | instid1(VALU_DEP_1)
	v_sub_f32_e32 v103, v100, v97
	v_dual_sub_f32 v29, v29, v98 :: v_dual_sub_f32 v112, v100, v103
	s_delay_alu instid0(VALU_DEP_1) | instskip(NEXT) | instid1(VALU_DEP_2)
	v_dual_sub_f32 v98, v99, v103 :: v_dual_add_f32 v99, v28, v29
	v_sub_f32_e32 v97, v97, v112
	s_delay_alu instid0(VALU_DEP_1) | instskip(NEXT) | instid1(VALU_DEP_1)
	v_dual_add_f32 v97, v98, v97 :: v_dual_sub_f32 v98, v99, v28
	v_add_f32_e32 v97, v99, v97
	s_delay_alu instid0(VALU_DEP_2) | instskip(NEXT) | instid1(VALU_DEP_2)
	v_sub_f32_e32 v99, v99, v98
	v_dual_sub_f32 v29, v29, v98 :: v_dual_add_f32 v102, v100, v97
	s_delay_alu instid0(VALU_DEP_2) | instskip(NEXT) | instid1(VALU_DEP_2)
	v_sub_f32_e32 v28, v28, v99
	v_sub_f32_e32 v98, v102, v100
	s_delay_alu instid0(VALU_DEP_2) | instskip(NEXT) | instid1(VALU_DEP_2)
	v_add_f32_e32 v28, v29, v28
	v_sub_f32_e32 v29, v97, v98
	s_delay_alu instid0(VALU_DEP_1) | instskip(NEXT) | instid1(VALU_DEP_1)
	v_add_f32_e32 v28, v28, v29
	v_add_f32_e32 v28, v102, v28
	s_delay_alu instid0(VALU_DEP_1) | instskip(NEXT) | instid1(VALU_DEP_1)
	v_cndmask_b32_e32 v28, v28, v31, vcc_lo
	v_add_f32_e32 v28, v30, v28
	s_delay_alu instid0(VALU_DEP_1) | instskip(NEXT) | instid1(VALU_DEP_1)
	v_cvt_f16_f32_e32 v28, v28
	v_mov_b32_e32 v102, v28
	v_cvt_f32_f16_e32 v29, v28
.LBB390_85:
	s_or_b32 exec_lo, exec_lo, s20
	v_cvt_f32_f16_e32 v97, v17
	s_delay_alu instid0(VALU_DEP_2) | instskip(SKIP_2) | instid1(VALU_DEP_3)
	v_max_f32_e32 v30, v29, v29
	v_cmp_u_f16_e32 vcc_lo, v28, v28
	v_cmp_u_f16_e64 s20, v17, v17
	v_min_f32_e32 v31, v30, v97
	v_max_f32_e32 v30, v30, v97
	s_delay_alu instid0(VALU_DEP_2) | instskip(NEXT) | instid1(VALU_DEP_2)
	v_cndmask_b32_e32 v31, v31, v29, vcc_lo
	v_cndmask_b32_e32 v30, v30, v29, vcc_lo
	s_delay_alu instid0(VALU_DEP_2) | instskip(NEXT) | instid1(VALU_DEP_2)
	v_cndmask_b32_e64 v31, v31, v97, s20
	v_cndmask_b32_e64 v30, v30, v97, s20
	s_delay_alu instid0(VALU_DEP_2) | instskip(NEXT) | instid1(VALU_DEP_2)
	v_cmp_class_f32_e64 s21, v31, 0x1f8
	v_cmp_neq_f32_e32 vcc_lo, v31, v30
	s_delay_alu instid0(VALU_DEP_2) | instskip(NEXT) | instid1(SALU_CYCLE_1)
	s_or_b32 s22, vcc_lo, s21
	s_and_saveexec_b32 s21, s22
	s_cbranch_execz .LBB390_87
; %bb.86:
	v_sub_f32_e32 v28, v31, v30
	s_mov_b32 s22, 0x3e9b6dac
	s_delay_alu instid0(VALU_DEP_1) | instskip(NEXT) | instid1(VALU_DEP_1)
	v_mul_f32_e32 v29, 0x3fb8aa3b, v28
	v_fma_f32 v31, 0x3fb8aa3b, v28, -v29
	v_rndne_f32_e32 v98, v29
	s_delay_alu instid0(VALU_DEP_2) | instskip(NEXT) | instid1(VALU_DEP_2)
	v_fmamk_f32 v31, v28, 0x32a5705f, v31
	v_sub_f32_e32 v29, v29, v98
	s_delay_alu instid0(VALU_DEP_1) | instskip(SKIP_2) | instid1(VALU_DEP_3)
	v_add_f32_e32 v29, v29, v31
	v_cvt_i32_f32_e32 v31, v98
	v_cmp_ngt_f32_e32 vcc_lo, 0xc2ce8ed0, v28
	v_exp_f32_e32 v29, v29
	s_waitcnt_depctr 0xfff
	v_ldexp_f32 v29, v29, v31
	s_delay_alu instid0(VALU_DEP_1) | instskip(SKIP_1) | instid1(VALU_DEP_2)
	v_cndmask_b32_e32 v29, 0, v29, vcc_lo
	v_cmp_nlt_f32_e32 vcc_lo, 0x42b17218, v28
	v_cndmask_b32_e32 v31, 0x7f800000, v29, vcc_lo
	s_delay_alu instid0(VALU_DEP_1) | instskip(NEXT) | instid1(VALU_DEP_1)
	v_add_f32_e32 v98, 1.0, v31
	v_cvt_f64_f32_e32 v[28:29], v98
	s_delay_alu instid0(VALU_DEP_1) | instskip(SKIP_1) | instid1(VALU_DEP_1)
	v_frexp_exp_i32_f64_e32 v28, v[28:29]
	v_frexp_mant_f32_e32 v29, v98
	v_cmp_gt_f32_e32 vcc_lo, 0x3f2aaaab, v29
	v_add_f32_e32 v29, -1.0, v98
	s_delay_alu instid0(VALU_DEP_1) | instskip(NEXT) | instid1(VALU_DEP_1)
	v_sub_f32_e32 v100, v29, v98
	v_add_f32_e32 v100, 1.0, v100
	v_subrev_co_ci_u32_e32 v28, vcc_lo, 0, v28, vcc_lo
	s_delay_alu instid0(VALU_DEP_1) | instskip(SKIP_1) | instid1(VALU_DEP_2)
	v_sub_nc_u32_e32 v99, 0, v28
	v_cvt_f32_i32_e32 v28, v28
	v_ldexp_f32 v98, v98, v99
	s_delay_alu instid0(VALU_DEP_1) | instskip(NEXT) | instid1(VALU_DEP_1)
	v_dual_sub_f32 v29, v31, v29 :: v_dual_add_f32 v102, 1.0, v98
	v_dual_add_f32 v29, v29, v100 :: v_dual_add_f32 v100, -1.0, v102
	s_delay_alu instid0(VALU_DEP_1) | instskip(SKIP_1) | instid1(VALU_DEP_3)
	v_ldexp_f32 v29, v29, v99
	v_cmp_eq_f32_e32 vcc_lo, 0x7f800000, v31
	v_dual_sub_f32 v100, v98, v100 :: v_dual_add_f32 v99, -1.0, v98
	s_delay_alu instid0(VALU_DEP_1) | instskip(NEXT) | instid1(VALU_DEP_1)
	v_dual_add_f32 v100, v29, v100 :: v_dual_add_f32 v103, 1.0, v99
	v_sub_f32_e32 v98, v98, v103
	s_delay_alu instid0(VALU_DEP_2) | instskip(NEXT) | instid1(VALU_DEP_1)
	v_add_f32_e32 v103, v102, v100
	v_sub_f32_e32 v102, v102, v103
	s_delay_alu instid0(VALU_DEP_1) | instskip(NEXT) | instid1(VALU_DEP_4)
	v_add_f32_e32 v100, v100, v102
	v_add_f32_e32 v29, v29, v98
	v_rcp_f32_e32 v98, v103
	s_delay_alu instid0(VALU_DEP_1) | instskip(NEXT) | instid1(VALU_DEP_1)
	v_add_f32_e32 v112, v99, v29
	v_sub_f32_e32 v99, v99, v112
	s_waitcnt_depctr 0xfff
	v_mul_f32_e32 v113, v112, v98
	s_delay_alu instid0(VALU_DEP_1) | instskip(NEXT) | instid1(VALU_DEP_1)
	v_dual_mul_f32 v114, v103, v113 :: v_dual_add_f32 v29, v29, v99
	v_fma_f32 v102, v113, v103, -v114
	s_delay_alu instid0(VALU_DEP_1) | instskip(NEXT) | instid1(VALU_DEP_1)
	v_fmac_f32_e32 v102, v113, v100
	v_add_f32_e32 v115, v114, v102
	s_delay_alu instid0(VALU_DEP_1) | instskip(NEXT) | instid1(VALU_DEP_1)
	v_sub_f32_e32 v116, v112, v115
	v_dual_sub_f32 v112, v112, v116 :: v_dual_sub_f32 v99, v115, v114
	s_delay_alu instid0(VALU_DEP_1) | instskip(NEXT) | instid1(VALU_DEP_1)
	v_dual_sub_f32 v112, v112, v115 :: v_dual_sub_f32 v99, v99, v102
	v_add_f32_e32 v29, v29, v112
	s_delay_alu instid0(VALU_DEP_1) | instskip(NEXT) | instid1(VALU_DEP_1)
	v_add_f32_e32 v29, v99, v29
	v_add_f32_e32 v99, v116, v29
	s_delay_alu instid0(VALU_DEP_1) | instskip(NEXT) | instid1(VALU_DEP_1)
	v_mul_f32_e32 v102, v98, v99
	v_dual_sub_f32 v115, v116, v99 :: v_dual_mul_f32 v112, v103, v102
	s_delay_alu instid0(VALU_DEP_1) | instskip(NEXT) | instid1(VALU_DEP_1)
	v_fma_f32 v103, v102, v103, -v112
	v_fmac_f32_e32 v103, v102, v100
	s_delay_alu instid0(VALU_DEP_1) | instskip(NEXT) | instid1(VALU_DEP_1)
	v_add_f32_e32 v100, v112, v103
	v_sub_f32_e32 v114, v99, v100
	v_dual_sub_f32 v112, v100, v112 :: v_dual_add_f32 v29, v29, v115
	s_delay_alu instid0(VALU_DEP_2) | instskip(NEXT) | instid1(VALU_DEP_1)
	v_sub_f32_e32 v99, v99, v114
	v_dual_sub_f32 v99, v99, v100 :: v_dual_sub_f32 v100, v112, v103
	s_delay_alu instid0(VALU_DEP_1) | instskip(SKIP_1) | instid1(VALU_DEP_2)
	v_add_f32_e32 v29, v29, v99
	v_add_f32_e32 v99, v113, v102
	;; [unrolled: 1-line block ×3, first 2 shown]
	s_delay_alu instid0(VALU_DEP_2) | instskip(NEXT) | instid1(VALU_DEP_2)
	v_sub_f32_e32 v100, v99, v113
	v_add_f32_e32 v29, v114, v29
	s_delay_alu instid0(VALU_DEP_2) | instskip(NEXT) | instid1(VALU_DEP_2)
	v_sub_f32_e32 v100, v102, v100
	v_mul_f32_e32 v29, v98, v29
	s_delay_alu instid0(VALU_DEP_1) | instskip(NEXT) | instid1(VALU_DEP_1)
	v_add_f32_e32 v29, v100, v29
	v_add_f32_e32 v98, v99, v29
	s_delay_alu instid0(VALU_DEP_1) | instskip(NEXT) | instid1(VALU_DEP_1)
	v_mul_f32_e32 v100, v98, v98
	v_fmaak_f32 v102, s22, v100, 0x3ecc95a3
	v_mul_f32_e32 v103, v98, v100
	v_cmp_gt_f32_e64 s22, 0x33800000, |v31|
	s_delay_alu instid0(VALU_DEP_3) | instskip(SKIP_1) | instid1(VALU_DEP_3)
	v_fmaak_f32 v100, v100, v102, 0x3f2aaada
	v_ldexp_f32 v102, v98, 1
	s_or_b32 vcc_lo, vcc_lo, s22
	s_delay_alu instid0(VALU_DEP_2) | instskip(SKIP_1) | instid1(VALU_DEP_2)
	v_mul_f32_e32 v100, v103, v100
	v_sub_f32_e32 v98, v98, v99
	v_add_f32_e32 v99, v102, v100
	s_delay_alu instid0(VALU_DEP_2) | instskip(NEXT) | instid1(VALU_DEP_2)
	v_sub_f32_e32 v29, v29, v98
	v_sub_f32_e32 v98, v99, v102
	s_delay_alu instid0(VALU_DEP_2) | instskip(NEXT) | instid1(VALU_DEP_2)
	v_ldexp_f32 v29, v29, 1
	v_sub_f32_e32 v98, v100, v98
	s_delay_alu instid0(VALU_DEP_1) | instskip(NEXT) | instid1(VALU_DEP_1)
	v_add_f32_e32 v29, v29, v98
	v_dual_mul_f32 v103, 0x3f317218, v28 :: v_dual_add_f32 v100, v99, v29
	s_delay_alu instid0(VALU_DEP_1) | instskip(NEXT) | instid1(VALU_DEP_2)
	v_fma_f32 v102, 0x3f317218, v28, -v103
	v_sub_f32_e32 v99, v100, v99
	s_delay_alu instid0(VALU_DEP_2) | instskip(NEXT) | instid1(VALU_DEP_1)
	v_fmamk_f32 v28, v28, 0xb102e308, v102
	v_add_f32_e32 v98, v103, v28
	s_delay_alu instid0(VALU_DEP_1) | instskip(SKIP_1) | instid1(VALU_DEP_2)
	v_add_f32_e32 v102, v98, v100
	v_sub_f32_e32 v103, v98, v103
	v_sub_f32_e32 v112, v102, v98
	s_delay_alu instid0(VALU_DEP_2) | instskip(SKIP_1) | instid1(VALU_DEP_3)
	v_sub_f32_e32 v28, v28, v103
	v_sub_f32_e32 v29, v29, v99
	;; [unrolled: 1-line block ×4, first 2 shown]
	s_delay_alu instid0(VALU_DEP_1) | instskip(NEXT) | instid1(VALU_DEP_4)
	v_sub_f32_e32 v98, v98, v113
	v_add_f32_e32 v100, v28, v29
	s_delay_alu instid0(VALU_DEP_1) | instskip(NEXT) | instid1(VALU_DEP_1)
	v_dual_add_f32 v98, v99, v98 :: v_dual_sub_f32 v99, v100, v28
	v_dual_add_f32 v98, v100, v98 :: v_dual_sub_f32 v29, v29, v99
	s_delay_alu instid0(VALU_DEP_1) | instskip(NEXT) | instid1(VALU_DEP_1)
	v_dual_sub_f32 v100, v100, v99 :: v_dual_add_f32 v103, v102, v98
	v_dual_sub_f32 v28, v28, v100 :: v_dual_sub_f32 v99, v103, v102
	s_delay_alu instid0(VALU_DEP_1) | instskip(NEXT) | instid1(VALU_DEP_1)
	v_dual_add_f32 v28, v29, v28 :: v_dual_sub_f32 v29, v98, v99
	v_add_f32_e32 v28, v28, v29
	s_delay_alu instid0(VALU_DEP_1) | instskip(NEXT) | instid1(VALU_DEP_1)
	v_add_f32_e32 v28, v103, v28
	v_cndmask_b32_e32 v28, v28, v31, vcc_lo
	s_delay_alu instid0(VALU_DEP_1) | instskip(NEXT) | instid1(VALU_DEP_1)
	v_add_f32_e32 v28, v30, v28
	v_cvt_f16_f32_e32 v28, v28
	s_delay_alu instid0(VALU_DEP_1)
	v_cvt_f32_f16_e32 v29, v28
	v_mov_b32_e32 v102, v28
.LBB390_87:
	s_or_b32 exec_lo, exec_lo, s21
	v_cvt_f32_f16_e32 v98, v39
	s_delay_alu instid0(VALU_DEP_3) | instskip(SKIP_2) | instid1(VALU_DEP_3)
	v_max_f32_e32 v30, v29, v29
	v_cmp_u_f16_e32 vcc_lo, v28, v28
	v_cmp_u_f16_e64 s21, v39, v39
	v_min_f32_e32 v31, v30, v98
	s_delay_alu instid0(VALU_DEP_1) | instskip(NEXT) | instid1(VALU_DEP_1)
	v_dual_max_f32 v30, v30, v98 :: v_dual_cndmask_b32 v31, v31, v29
	v_cndmask_b32_e32 v30, v30, v29, vcc_lo
	s_delay_alu instid0(VALU_DEP_2) | instskip(NEXT) | instid1(VALU_DEP_2)
	v_cndmask_b32_e64 v31, v31, v98, s21
	v_cndmask_b32_e64 v30, v30, v98, s21
	s_delay_alu instid0(VALU_DEP_2) | instskip(NEXT) | instid1(VALU_DEP_2)
	v_cmp_class_f32_e64 s22, v31, 0x1f8
	v_cmp_neq_f32_e32 vcc_lo, v31, v30
	s_delay_alu instid0(VALU_DEP_2) | instskip(NEXT) | instid1(SALU_CYCLE_1)
	s_or_b32 s23, vcc_lo, s22
	s_and_saveexec_b32 s22, s23
	s_cbranch_execz .LBB390_89
; %bb.88:
	v_sub_f32_e32 v28, v31, v30
	s_mov_b32 s23, 0x3e9b6dac
	s_delay_alu instid0(VALU_DEP_1) | instskip(NEXT) | instid1(VALU_DEP_1)
	v_mul_f32_e32 v29, 0x3fb8aa3b, v28
	v_fma_f32 v31, 0x3fb8aa3b, v28, -v29
	v_rndne_f32_e32 v99, v29
	s_delay_alu instid0(VALU_DEP_1) | instskip(NEXT) | instid1(VALU_DEP_3)
	v_sub_f32_e32 v29, v29, v99
	v_fmamk_f32 v31, v28, 0x32a5705f, v31
	v_cmp_ngt_f32_e32 vcc_lo, 0xc2ce8ed0, v28
	s_delay_alu instid0(VALU_DEP_2) | instskip(SKIP_1) | instid1(VALU_DEP_2)
	v_add_f32_e32 v29, v29, v31
	v_cvt_i32_f32_e32 v31, v99
	v_exp_f32_e32 v29, v29
	s_waitcnt_depctr 0xfff
	v_ldexp_f32 v29, v29, v31
	s_delay_alu instid0(VALU_DEP_1) | instskip(SKIP_1) | instid1(VALU_DEP_2)
	v_cndmask_b32_e32 v29, 0, v29, vcc_lo
	v_cmp_nlt_f32_e32 vcc_lo, 0x42b17218, v28
	v_cndmask_b32_e32 v31, 0x7f800000, v29, vcc_lo
	s_delay_alu instid0(VALU_DEP_1) | instskip(NEXT) | instid1(VALU_DEP_1)
	v_add_f32_e32 v99, 1.0, v31
	v_cvt_f64_f32_e32 v[28:29], v99
	s_delay_alu instid0(VALU_DEP_1) | instskip(SKIP_1) | instid1(VALU_DEP_1)
	v_frexp_exp_i32_f64_e32 v28, v[28:29]
	v_frexp_mant_f32_e32 v29, v99
	v_cmp_gt_f32_e32 vcc_lo, 0x3f2aaaab, v29
	v_add_f32_e32 v29, -1.0, v99
	s_delay_alu instid0(VALU_DEP_1) | instskip(NEXT) | instid1(VALU_DEP_1)
	v_dual_sub_f32 v102, v29, v99 :: v_dual_sub_f32 v29, v31, v29
	v_add_f32_e32 v102, 1.0, v102
	s_delay_alu instid0(VALU_DEP_1) | instskip(SKIP_1) | instid1(VALU_DEP_1)
	v_add_f32_e32 v29, v29, v102
	v_subrev_co_ci_u32_e32 v28, vcc_lo, 0, v28, vcc_lo
	v_sub_nc_u32_e32 v100, 0, v28
	v_cvt_f32_i32_e32 v28, v28
	s_delay_alu instid0(VALU_DEP_2) | instskip(SKIP_1) | instid1(VALU_DEP_2)
	v_ldexp_f32 v99, v99, v100
	v_ldexp_f32 v29, v29, v100
	v_add_f32_e32 v103, 1.0, v99
	v_add_f32_e32 v100, -1.0, v99
	v_cmp_eq_f32_e32 vcc_lo, 0x7f800000, v31
	s_delay_alu instid0(VALU_DEP_3) | instskip(NEXT) | instid1(VALU_DEP_3)
	v_add_f32_e32 v102, -1.0, v103
	v_add_f32_e32 v112, 1.0, v100
	s_delay_alu instid0(VALU_DEP_2) | instskip(NEXT) | instid1(VALU_DEP_1)
	v_sub_f32_e32 v102, v99, v102
	v_dual_sub_f32 v99, v99, v112 :: v_dual_add_f32 v102, v29, v102
	s_delay_alu instid0(VALU_DEP_1) | instskip(NEXT) | instid1(VALU_DEP_1)
	v_add_f32_e32 v112, v103, v102
	v_sub_f32_e32 v103, v103, v112
	s_delay_alu instid0(VALU_DEP_1) | instskip(NEXT) | instid1(VALU_DEP_4)
	v_add_f32_e32 v102, v102, v103
	v_add_f32_e32 v29, v29, v99
	v_rcp_f32_e32 v99, v112
	s_delay_alu instid0(VALU_DEP_1) | instskip(SKIP_2) | instid1(VALU_DEP_1)
	v_add_f32_e32 v113, v100, v29
	s_waitcnt_depctr 0xfff
	v_mul_f32_e32 v114, v113, v99
	v_mul_f32_e32 v115, v112, v114
	s_delay_alu instid0(VALU_DEP_1) | instskip(NEXT) | instid1(VALU_DEP_1)
	v_fma_f32 v103, v114, v112, -v115
	v_fmac_f32_e32 v103, v114, v102
	s_delay_alu instid0(VALU_DEP_1) | instskip(SKIP_1) | instid1(VALU_DEP_1)
	v_add_f32_e32 v116, v115, v103
	v_sub_f32_e32 v100, v100, v113
	v_dual_add_f32 v29, v29, v100 :: v_dual_sub_f32 v100, v116, v115
	s_delay_alu instid0(VALU_DEP_1) | instskip(NEXT) | instid1(VALU_DEP_1)
	v_dual_sub_f32 v117, v113, v116 :: v_dual_sub_f32 v100, v100, v103
	v_sub_f32_e32 v113, v113, v117
	s_delay_alu instid0(VALU_DEP_1) | instskip(NEXT) | instid1(VALU_DEP_1)
	v_sub_f32_e32 v113, v113, v116
	v_add_f32_e32 v29, v29, v113
	s_delay_alu instid0(VALU_DEP_1) | instskip(NEXT) | instid1(VALU_DEP_1)
	v_add_f32_e32 v29, v100, v29
	v_add_f32_e32 v100, v117, v29
	s_delay_alu instid0(VALU_DEP_1) | instskip(SKIP_1) | instid1(VALU_DEP_2)
	v_sub_f32_e32 v116, v117, v100
	v_mul_f32_e32 v103, v99, v100
	v_add_f32_e32 v29, v29, v116
	s_delay_alu instid0(VALU_DEP_2) | instskip(NEXT) | instid1(VALU_DEP_1)
	v_mul_f32_e32 v113, v112, v103
	v_fma_f32 v112, v103, v112, -v113
	s_delay_alu instid0(VALU_DEP_1) | instskip(NEXT) | instid1(VALU_DEP_1)
	v_fmac_f32_e32 v112, v103, v102
	v_add_f32_e32 v102, v113, v112
	s_delay_alu instid0(VALU_DEP_1) | instskip(SKIP_1) | instid1(VALU_DEP_1)
	v_sub_f32_e32 v113, v102, v113
	v_sub_f32_e32 v115, v100, v102
	;; [unrolled: 1-line block ×3, first 2 shown]
	s_delay_alu instid0(VALU_DEP_1) | instskip(NEXT) | instid1(VALU_DEP_4)
	v_sub_f32_e32 v100, v100, v102
	v_sub_f32_e32 v102, v113, v112
	s_delay_alu instid0(VALU_DEP_2) | instskip(NEXT) | instid1(VALU_DEP_1)
	v_dual_add_f32 v29, v29, v100 :: v_dual_add_f32 v100, v114, v103
	v_dual_add_f32 v29, v102, v29 :: v_dual_sub_f32 v102, v100, v114
	s_delay_alu instid0(VALU_DEP_1) | instskip(NEXT) | instid1(VALU_DEP_2)
	v_add_f32_e32 v29, v115, v29
	v_sub_f32_e32 v102, v103, v102
	s_delay_alu instid0(VALU_DEP_2) | instskip(NEXT) | instid1(VALU_DEP_1)
	v_mul_f32_e32 v29, v99, v29
	v_add_f32_e32 v29, v102, v29
	s_delay_alu instid0(VALU_DEP_1) | instskip(NEXT) | instid1(VALU_DEP_1)
	v_add_f32_e32 v99, v100, v29
	v_mul_f32_e32 v102, v99, v99
	s_delay_alu instid0(VALU_DEP_1) | instskip(SKIP_2) | instid1(VALU_DEP_3)
	v_fmaak_f32 v103, s23, v102, 0x3ecc95a3
	v_mul_f32_e32 v112, v99, v102
	v_cmp_gt_f32_e64 s23, 0x33800000, |v31|
	v_fmaak_f32 v102, v102, v103, 0x3f2aaada
	v_ldexp_f32 v103, v99, 1
	v_sub_f32_e32 v99, v99, v100
	s_delay_alu instid0(VALU_DEP_4) | instskip(NEXT) | instid1(VALU_DEP_3)
	s_or_b32 vcc_lo, vcc_lo, s23
	v_mul_f32_e32 v102, v112, v102
	s_delay_alu instid0(VALU_DEP_2) | instskip(NEXT) | instid1(VALU_DEP_2)
	v_dual_mul_f32 v112, 0x3f317218, v28 :: v_dual_sub_f32 v29, v29, v99
	v_add_f32_e32 v100, v103, v102
	s_delay_alu instid0(VALU_DEP_2) | instskip(NEXT) | instid1(VALU_DEP_2)
	v_ldexp_f32 v29, v29, 1
	v_sub_f32_e32 v99, v100, v103
	s_delay_alu instid0(VALU_DEP_4) | instskip(NEXT) | instid1(VALU_DEP_1)
	v_fma_f32 v103, 0x3f317218, v28, -v112
	v_dual_fmamk_f32 v28, v28, 0xb102e308, v103 :: v_dual_sub_f32 v99, v102, v99
	s_delay_alu instid0(VALU_DEP_1) | instskip(NEXT) | instid1(VALU_DEP_2)
	v_add_f32_e32 v29, v29, v99
	v_add_f32_e32 v99, v112, v28
	s_delay_alu instid0(VALU_DEP_2) | instskip(NEXT) | instid1(VALU_DEP_2)
	v_add_f32_e32 v102, v100, v29
	v_sub_f32_e32 v112, v99, v112
	s_delay_alu instid0(VALU_DEP_2) | instskip(NEXT) | instid1(VALU_DEP_2)
	v_sub_f32_e32 v100, v102, v100
	v_sub_f32_e32 v28, v28, v112
	s_delay_alu instid0(VALU_DEP_2) | instskip(SKIP_1) | instid1(VALU_DEP_1)
	v_sub_f32_e32 v29, v29, v100
	v_add_f32_e32 v103, v99, v102
	v_sub_f32_e32 v113, v103, v99
	s_delay_alu instid0(VALU_DEP_1) | instskip(NEXT) | instid1(VALU_DEP_4)
	v_sub_f32_e32 v100, v102, v113
	v_add_f32_e32 v102, v28, v29
	v_sub_f32_e32 v114, v103, v113
	s_delay_alu instid0(VALU_DEP_1) | instskip(NEXT) | instid1(VALU_DEP_1)
	v_sub_f32_e32 v99, v99, v114
	v_dual_add_f32 v99, v100, v99 :: v_dual_sub_f32 v100, v102, v28
	s_delay_alu instid0(VALU_DEP_1) | instskip(NEXT) | instid1(VALU_DEP_2)
	v_add_f32_e32 v99, v102, v99
	v_sub_f32_e32 v102, v102, v100
	s_delay_alu instid0(VALU_DEP_2) | instskip(NEXT) | instid1(VALU_DEP_2)
	v_dual_add_f32 v112, v103, v99 :: v_dual_sub_f32 v29, v29, v100
	v_sub_f32_e32 v28, v28, v102
	s_delay_alu instid0(VALU_DEP_2) | instskip(NEXT) | instid1(VALU_DEP_2)
	v_sub_f32_e32 v100, v112, v103
	v_add_f32_e32 v28, v29, v28
	s_delay_alu instid0(VALU_DEP_2) | instskip(NEXT) | instid1(VALU_DEP_1)
	v_sub_f32_e32 v29, v99, v100
	v_add_f32_e32 v28, v28, v29
	s_delay_alu instid0(VALU_DEP_1) | instskip(NEXT) | instid1(VALU_DEP_1)
	v_add_f32_e32 v28, v112, v28
	v_cndmask_b32_e32 v28, v28, v31, vcc_lo
	s_delay_alu instid0(VALU_DEP_1) | instskip(NEXT) | instid1(VALU_DEP_1)
	v_add_f32_e32 v28, v30, v28
	v_cvt_f16_f32_e32 v28, v28
	s_delay_alu instid0(VALU_DEP_1)
	v_mov_b32_e32 v102, v28
	v_cvt_f32_f16_e32 v29, v28
.LBB390_89:
	s_or_b32 exec_lo, exec_lo, s22
	v_cvt_f32_f16_e32 v99, v38
	s_delay_alu instid0(VALU_DEP_2) | instskip(SKIP_2) | instid1(VALU_DEP_3)
	v_max_f32_e32 v30, v29, v29
	v_cmp_u_f16_e32 vcc_lo, v28, v28
	v_cmp_u_f16_e64 s22, v38, v38
	v_min_f32_e32 v31, v30, v99
	s_delay_alu instid0(VALU_DEP_1) | instskip(NEXT) | instid1(VALU_DEP_1)
	v_dual_max_f32 v30, v30, v99 :: v_dual_cndmask_b32 v31, v31, v29
	v_cndmask_b32_e32 v30, v30, v29, vcc_lo
	s_delay_alu instid0(VALU_DEP_2) | instskip(NEXT) | instid1(VALU_DEP_2)
	v_cndmask_b32_e64 v31, v31, v99, s22
	v_cndmask_b32_e64 v30, v30, v99, s22
	s_delay_alu instid0(VALU_DEP_2) | instskip(NEXT) | instid1(VALU_DEP_2)
	v_cmp_class_f32_e64 s23, v31, 0x1f8
	v_cmp_neq_f32_e32 vcc_lo, v31, v30
	s_delay_alu instid0(VALU_DEP_2) | instskip(NEXT) | instid1(SALU_CYCLE_1)
	s_or_b32 s25, vcc_lo, s23
	s_and_saveexec_b32 s23, s25
	s_cbranch_execz .LBB390_91
; %bb.90:
	v_sub_f32_e32 v28, v31, v30
	s_mov_b32 s25, 0x3e9b6dac
	s_delay_alu instid0(VALU_DEP_1) | instskip(NEXT) | instid1(VALU_DEP_1)
	v_mul_f32_e32 v29, 0x3fb8aa3b, v28
	v_fma_f32 v31, 0x3fb8aa3b, v28, -v29
	v_rndne_f32_e32 v100, v29
	s_delay_alu instid0(VALU_DEP_1) | instskip(NEXT) | instid1(VALU_DEP_3)
	v_sub_f32_e32 v29, v29, v100
	v_fmamk_f32 v31, v28, 0x32a5705f, v31
	v_cmp_ngt_f32_e32 vcc_lo, 0xc2ce8ed0, v28
	s_delay_alu instid0(VALU_DEP_2) | instskip(SKIP_1) | instid1(VALU_DEP_2)
	v_add_f32_e32 v29, v29, v31
	v_cvt_i32_f32_e32 v31, v100
	v_exp_f32_e32 v29, v29
	s_waitcnt_depctr 0xfff
	v_ldexp_f32 v29, v29, v31
	s_delay_alu instid0(VALU_DEP_1) | instskip(SKIP_1) | instid1(VALU_DEP_2)
	v_cndmask_b32_e32 v29, 0, v29, vcc_lo
	v_cmp_nlt_f32_e32 vcc_lo, 0x42b17218, v28
	v_cndmask_b32_e32 v31, 0x7f800000, v29, vcc_lo
	s_delay_alu instid0(VALU_DEP_1) | instskip(NEXT) | instid1(VALU_DEP_1)
	v_add_f32_e32 v100, 1.0, v31
	v_cvt_f64_f32_e32 v[28:29], v100
	s_delay_alu instid0(VALU_DEP_1) | instskip(SKIP_1) | instid1(VALU_DEP_1)
	v_frexp_exp_i32_f64_e32 v28, v[28:29]
	v_frexp_mant_f32_e32 v29, v100
	v_cmp_gt_f32_e32 vcc_lo, 0x3f2aaaab, v29
	v_add_f32_e32 v29, -1.0, v100
	s_delay_alu instid0(VALU_DEP_1) | instskip(SKIP_2) | instid1(VALU_DEP_1)
	v_sub_f32_e32 v103, v29, v100
	v_sub_f32_e32 v29, v31, v29
	v_subrev_co_ci_u32_e32 v28, vcc_lo, 0, v28, vcc_lo
	v_sub_nc_u32_e32 v102, 0, v28
	v_cvt_f32_i32_e32 v28, v28
	s_delay_alu instid0(VALU_DEP_2) | instskip(NEXT) | instid1(VALU_DEP_1)
	v_ldexp_f32 v100, v100, v102
	v_dual_add_f32 v112, 1.0, v100 :: v_dual_add_f32 v103, 1.0, v103
	s_delay_alu instid0(VALU_DEP_1) | instskip(NEXT) | instid1(VALU_DEP_2)
	v_add_f32_e32 v29, v29, v103
	v_add_f32_e32 v103, -1.0, v112
	s_delay_alu instid0(VALU_DEP_2) | instskip(NEXT) | instid1(VALU_DEP_2)
	v_ldexp_f32 v29, v29, v102
	v_dual_add_f32 v102, -1.0, v100 :: v_dual_sub_f32 v103, v100, v103
	s_delay_alu instid0(VALU_DEP_1) | instskip(NEXT) | instid1(VALU_DEP_1)
	v_add_f32_e32 v113, 1.0, v102
	v_dual_add_f32 v103, v29, v103 :: v_dual_sub_f32 v100, v100, v113
	s_delay_alu instid0(VALU_DEP_1) | instskip(NEXT) | instid1(VALU_DEP_2)
	v_add_f32_e32 v113, v112, v103
	v_add_f32_e32 v29, v29, v100
	s_delay_alu instid0(VALU_DEP_2) | instskip(SKIP_1) | instid1(VALU_DEP_1)
	v_rcp_f32_e32 v100, v113
	v_sub_f32_e32 v112, v112, v113
	v_dual_add_f32 v114, v102, v29 :: v_dual_add_f32 v103, v103, v112
	s_delay_alu instid0(VALU_DEP_1) | instskip(SKIP_3) | instid1(VALU_DEP_2)
	v_sub_f32_e32 v102, v102, v114
	s_waitcnt_depctr 0xfff
	v_mul_f32_e32 v115, v114, v100
	v_add_f32_e32 v29, v29, v102
	v_mul_f32_e32 v116, v113, v115
	s_delay_alu instid0(VALU_DEP_1) | instskip(NEXT) | instid1(VALU_DEP_1)
	v_fma_f32 v112, v115, v113, -v116
	v_fmac_f32_e32 v112, v115, v103
	v_cmp_eq_f32_e32 vcc_lo, 0x7f800000, v31
	s_delay_alu instid0(VALU_DEP_2) | instskip(NEXT) | instid1(VALU_DEP_1)
	v_add_f32_e32 v117, v116, v112
	v_sub_f32_e32 v118, v114, v117
	v_sub_f32_e32 v102, v117, v116
	s_delay_alu instid0(VALU_DEP_2) | instskip(NEXT) | instid1(VALU_DEP_2)
	v_sub_f32_e32 v114, v114, v118
	v_sub_f32_e32 v102, v102, v112
	s_delay_alu instid0(VALU_DEP_2) | instskip(NEXT) | instid1(VALU_DEP_1)
	v_sub_f32_e32 v114, v114, v117
	v_add_f32_e32 v29, v29, v114
	s_delay_alu instid0(VALU_DEP_1) | instskip(NEXT) | instid1(VALU_DEP_1)
	v_add_f32_e32 v29, v102, v29
	v_add_f32_e32 v102, v118, v29
	s_delay_alu instid0(VALU_DEP_1) | instskip(NEXT) | instid1(VALU_DEP_1)
	v_mul_f32_e32 v112, v100, v102
	v_dual_sub_f32 v117, v118, v102 :: v_dual_mul_f32 v114, v113, v112
	s_delay_alu instid0(VALU_DEP_1) | instskip(NEXT) | instid1(VALU_DEP_2)
	v_add_f32_e32 v29, v29, v117
	v_fma_f32 v113, v112, v113, -v114
	s_delay_alu instid0(VALU_DEP_1) | instskip(NEXT) | instid1(VALU_DEP_1)
	v_fmac_f32_e32 v113, v112, v103
	v_add_f32_e32 v103, v114, v113
	s_delay_alu instid0(VALU_DEP_1) | instskip(SKIP_1) | instid1(VALU_DEP_2)
	v_sub_f32_e32 v116, v102, v103
	v_sub_f32_e32 v114, v103, v114
	;; [unrolled: 1-line block ×3, first 2 shown]
	s_delay_alu instid0(VALU_DEP_1) | instskip(NEXT) | instid1(VALU_DEP_1)
	v_sub_f32_e32 v102, v102, v103
	v_dual_add_f32 v29, v29, v102 :: v_dual_add_f32 v102, v115, v112
	s_delay_alu instid0(VALU_DEP_4) | instskip(NEXT) | instid1(VALU_DEP_1)
	v_sub_f32_e32 v103, v114, v113
	v_add_f32_e32 v29, v103, v29
	s_delay_alu instid0(VALU_DEP_3) | instskip(NEXT) | instid1(VALU_DEP_2)
	v_sub_f32_e32 v103, v102, v115
	v_add_f32_e32 v29, v116, v29
	s_delay_alu instid0(VALU_DEP_2) | instskip(NEXT) | instid1(VALU_DEP_2)
	v_sub_f32_e32 v103, v112, v103
	v_mul_f32_e32 v29, v100, v29
	s_delay_alu instid0(VALU_DEP_1) | instskip(NEXT) | instid1(VALU_DEP_1)
	v_add_f32_e32 v29, v103, v29
	v_add_f32_e32 v100, v102, v29
	s_delay_alu instid0(VALU_DEP_1) | instskip(NEXT) | instid1(VALU_DEP_1)
	v_mul_f32_e32 v103, v100, v100
	v_fmaak_f32 v112, s25, v103, 0x3ecc95a3
	v_mul_f32_e32 v113, v100, v103
	v_cmp_gt_f32_e64 s25, 0x33800000, |v31|
	s_delay_alu instid0(VALU_DEP_3) | instskip(SKIP_2) | instid1(VALU_DEP_4)
	v_fmaak_f32 v103, v103, v112, 0x3f2aaada
	v_ldexp_f32 v112, v100, 1
	v_sub_f32_e32 v100, v100, v102
	s_or_b32 vcc_lo, vcc_lo, s25
	s_delay_alu instid0(VALU_DEP_3) | instskip(SKIP_1) | instid1(VALU_DEP_2)
	v_mul_f32_e32 v103, v113, v103
	v_mul_f32_e32 v113, 0x3f317218, v28
	v_dual_sub_f32 v29, v29, v100 :: v_dual_add_f32 v102, v112, v103
	s_delay_alu instid0(VALU_DEP_1) | instskip(NEXT) | instid1(VALU_DEP_2)
	v_ldexp_f32 v29, v29, 1
	v_sub_f32_e32 v100, v102, v112
	s_delay_alu instid0(VALU_DEP_4) | instskip(NEXT) | instid1(VALU_DEP_2)
	v_fma_f32 v112, 0x3f317218, v28, -v113
	v_sub_f32_e32 v100, v103, v100
	s_delay_alu instid0(VALU_DEP_1) | instskip(NEXT) | instid1(VALU_DEP_1)
	v_dual_fmamk_f32 v28, v28, 0xb102e308, v112 :: v_dual_add_f32 v29, v29, v100
	v_dual_add_f32 v100, v113, v28 :: v_dual_add_f32 v103, v102, v29
	s_delay_alu instid0(VALU_DEP_1) | instskip(NEXT) | instid1(VALU_DEP_2)
	v_sub_f32_e32 v113, v100, v113
	v_add_f32_e32 v112, v100, v103
	v_sub_f32_e32 v102, v103, v102
	s_delay_alu instid0(VALU_DEP_3) | instskip(NEXT) | instid1(VALU_DEP_2)
	v_sub_f32_e32 v28, v28, v113
	v_dual_sub_f32 v114, v112, v100 :: v_dual_sub_f32 v29, v29, v102
	s_delay_alu instid0(VALU_DEP_1) | instskip(SKIP_1) | instid1(VALU_DEP_1)
	v_dual_sub_f32 v102, v103, v114 :: v_dual_add_f32 v103, v28, v29
	v_sub_f32_e32 v115, v112, v114
	v_sub_f32_e32 v100, v100, v115
	s_delay_alu instid0(VALU_DEP_1) | instskip(NEXT) | instid1(VALU_DEP_4)
	v_add_f32_e32 v100, v102, v100
	v_sub_f32_e32 v102, v103, v28
	s_delay_alu instid0(VALU_DEP_1) | instskip(NEXT) | instid1(VALU_DEP_1)
	v_dual_add_f32 v100, v103, v100 :: v_dual_sub_f32 v29, v29, v102
	v_add_f32_e32 v113, v112, v100
	s_delay_alu instid0(VALU_DEP_1) | instskip(NEXT) | instid1(VALU_DEP_1)
	v_dual_sub_f32 v103, v103, v102 :: v_dual_sub_f32 v102, v113, v112
	v_sub_f32_e32 v28, v28, v103
	s_delay_alu instid0(VALU_DEP_1) | instskip(NEXT) | instid1(VALU_DEP_1)
	v_dual_add_f32 v28, v29, v28 :: v_dual_sub_f32 v29, v100, v102
	v_add_f32_e32 v28, v28, v29
	s_delay_alu instid0(VALU_DEP_1) | instskip(NEXT) | instid1(VALU_DEP_1)
	v_add_f32_e32 v28, v113, v28
	v_cndmask_b32_e32 v28, v28, v31, vcc_lo
	s_delay_alu instid0(VALU_DEP_1) | instskip(NEXT) | instid1(VALU_DEP_1)
	v_add_f32_e32 v28, v30, v28
	v_cvt_f16_f32_e32 v28, v28
	s_delay_alu instid0(VALU_DEP_1)
	v_cvt_f32_f16_e32 v29, v28
	v_mov_b32_e32 v102, v28
.LBB390_91:
	s_or_b32 exec_lo, exec_lo, s23
	v_cvt_f32_f16_e32 v100, v37
	s_delay_alu instid0(VALU_DEP_3) | instskip(SKIP_2) | instid1(VALU_DEP_3)
	v_max_f32_e32 v30, v29, v29
	v_cmp_u_f16_e32 vcc_lo, v28, v28
	v_cmp_u_f16_e64 s23, v37, v37
	v_min_f32_e32 v31, v30, v100
	v_max_f32_e32 v30, v30, v100
	s_delay_alu instid0(VALU_DEP_2) | instskip(NEXT) | instid1(VALU_DEP_2)
	v_cndmask_b32_e32 v28, v31, v29, vcc_lo
	v_cndmask_b32_e32 v30, v30, v29, vcc_lo
	s_delay_alu instid0(VALU_DEP_2) | instskip(NEXT) | instid1(VALU_DEP_2)
	v_cndmask_b32_e64 v29, v28, v100, s23
	v_cndmask_b32_e64 v28, v30, v100, s23
	s_delay_alu instid0(VALU_DEP_2) | instskip(NEXT) | instid1(VALU_DEP_2)
	v_cmp_class_f32_e64 s25, v29, 0x1f8
	v_cmp_neq_f32_e32 vcc_lo, v29, v28
	s_delay_alu instid0(VALU_DEP_2) | instskip(NEXT) | instid1(SALU_CYCLE_1)
	s_or_b32 s26, vcc_lo, s25
	s_and_saveexec_b32 s25, s26
	s_cbranch_execz .LBB390_93
; %bb.92:
	v_sub_f32_e32 v29, v29, v28
	s_mov_b32 s26, 0x3e9b6dac
	s_delay_alu instid0(VALU_DEP_1) | instskip(NEXT) | instid1(VALU_DEP_1)
	v_mul_f32_e32 v30, 0x3fb8aa3b, v29
	v_fma_f32 v31, 0x3fb8aa3b, v29, -v30
	v_rndne_f32_e32 v102, v30
	s_delay_alu instid0(VALU_DEP_1) | instskip(SKIP_1) | instid1(VALU_DEP_4)
	v_sub_f32_e32 v30, v30, v102
	v_cmp_ngt_f32_e32 vcc_lo, 0xc2ce8ed0, v29
	v_fmamk_f32 v31, v29, 0x32a5705f, v31
	s_delay_alu instid0(VALU_DEP_1) | instskip(SKIP_1) | instid1(VALU_DEP_2)
	v_add_f32_e32 v30, v30, v31
	v_cvt_i32_f32_e32 v31, v102
	v_exp_f32_e32 v30, v30
	s_waitcnt_depctr 0xfff
	v_ldexp_f32 v30, v30, v31
	s_delay_alu instid0(VALU_DEP_1) | instskip(SKIP_1) | instid1(VALU_DEP_2)
	v_cndmask_b32_e32 v30, 0, v30, vcc_lo
	v_cmp_nlt_f32_e32 vcc_lo, 0x42b17218, v29
	v_cndmask_b32_e32 v31, 0x7f800000, v30, vcc_lo
	s_delay_alu instid0(VALU_DEP_1) | instskip(NEXT) | instid1(VALU_DEP_1)
	v_add_f32_e32 v102, 1.0, v31
	v_cvt_f64_f32_e32 v[29:30], v102
	s_delay_alu instid0(VALU_DEP_1) | instskip(SKIP_1) | instid1(VALU_DEP_1)
	v_frexp_exp_i32_f64_e32 v29, v[29:30]
	v_frexp_mant_f32_e32 v30, v102
	v_cmp_gt_f32_e32 vcc_lo, 0x3f2aaaab, v30
	v_add_f32_e32 v30, -1.0, v102
	s_delay_alu instid0(VALU_DEP_1) | instskip(NEXT) | instid1(VALU_DEP_1)
	v_sub_f32_e32 v112, v30, v102
	v_add_f32_e32 v112, 1.0, v112
	v_sub_f32_e32 v30, v31, v30
	v_subrev_co_ci_u32_e32 v29, vcc_lo, 0, v29, vcc_lo
	v_cmp_eq_f32_e32 vcc_lo, 0x7f800000, v31
	s_delay_alu instid0(VALU_DEP_2) | instskip(SKIP_1) | instid1(VALU_DEP_2)
	v_sub_nc_u32_e32 v103, 0, v29
	v_cvt_f32_i32_e32 v29, v29
	v_ldexp_f32 v102, v102, v103
	s_delay_alu instid0(VALU_DEP_1) | instskip(NEXT) | instid1(VALU_DEP_1)
	v_dual_add_f32 v113, 1.0, v102 :: v_dual_add_f32 v30, v30, v112
	v_add_f32_e32 v112, -1.0, v113
	s_delay_alu instid0(VALU_DEP_2) | instskip(NEXT) | instid1(VALU_DEP_2)
	v_ldexp_f32 v30, v30, v103
	v_dual_add_f32 v103, -1.0, v102 :: v_dual_sub_f32 v112, v102, v112
	s_delay_alu instid0(VALU_DEP_1) | instskip(NEXT) | instid1(VALU_DEP_2)
	v_add_f32_e32 v114, 1.0, v103
	v_add_f32_e32 v112, v30, v112
	s_delay_alu instid0(VALU_DEP_2) | instskip(NEXT) | instid1(VALU_DEP_2)
	v_sub_f32_e32 v102, v102, v114
	v_add_f32_e32 v114, v113, v112
	s_delay_alu instid0(VALU_DEP_2) | instskip(NEXT) | instid1(VALU_DEP_2)
	v_add_f32_e32 v30, v30, v102
	v_rcp_f32_e32 v102, v114
	v_sub_f32_e32 v113, v113, v114
	s_delay_alu instid0(VALU_DEP_1) | instskip(NEXT) | instid1(VALU_DEP_1)
	v_dual_add_f32 v115, v103, v30 :: v_dual_add_f32 v112, v112, v113
	v_sub_f32_e32 v103, v103, v115
	s_waitcnt_depctr 0xfff
	v_mul_f32_e32 v116, v115, v102
	v_add_f32_e32 v30, v30, v103
	s_delay_alu instid0(VALU_DEP_2) | instskip(NEXT) | instid1(VALU_DEP_1)
	v_mul_f32_e32 v117, v114, v116
	v_fma_f32 v113, v116, v114, -v117
	s_delay_alu instid0(VALU_DEP_1) | instskip(NEXT) | instid1(VALU_DEP_1)
	v_fmac_f32_e32 v113, v116, v112
	v_add_f32_e32 v118, v117, v113
	s_delay_alu instid0(VALU_DEP_1) | instskip(SKIP_1) | instid1(VALU_DEP_2)
	v_sub_f32_e32 v119, v115, v118
	v_sub_f32_e32 v103, v118, v117
	;; [unrolled: 1-line block ×3, first 2 shown]
	s_delay_alu instid0(VALU_DEP_2) | instskip(NEXT) | instid1(VALU_DEP_2)
	v_sub_f32_e32 v103, v103, v113
	v_sub_f32_e32 v115, v115, v118
	s_delay_alu instid0(VALU_DEP_1) | instskip(NEXT) | instid1(VALU_DEP_1)
	v_add_f32_e32 v30, v30, v115
	v_add_f32_e32 v30, v103, v30
	s_delay_alu instid0(VALU_DEP_1) | instskip(NEXT) | instid1(VALU_DEP_1)
	v_add_f32_e32 v103, v119, v30
	v_mul_f32_e32 v113, v102, v103
	s_delay_alu instid0(VALU_DEP_1) | instskip(NEXT) | instid1(VALU_DEP_1)
	v_dual_sub_f32 v118, v119, v103 :: v_dual_mul_f32 v115, v114, v113
	v_add_f32_e32 v30, v30, v118
	s_delay_alu instid0(VALU_DEP_2) | instskip(NEXT) | instid1(VALU_DEP_1)
	v_fma_f32 v114, v113, v114, -v115
	v_fmac_f32_e32 v114, v113, v112
	s_delay_alu instid0(VALU_DEP_1) | instskip(NEXT) | instid1(VALU_DEP_1)
	v_add_f32_e32 v112, v115, v114
	v_sub_f32_e32 v117, v103, v112
	v_sub_f32_e32 v115, v112, v115
	s_delay_alu instid0(VALU_DEP_2) | instskip(NEXT) | instid1(VALU_DEP_1)
	v_sub_f32_e32 v103, v103, v117
	v_sub_f32_e32 v103, v103, v112
	s_delay_alu instid0(VALU_DEP_1) | instskip(NEXT) | instid1(VALU_DEP_4)
	v_dual_add_f32 v30, v30, v103 :: v_dual_add_f32 v103, v116, v113
	v_sub_f32_e32 v112, v115, v114
	s_delay_alu instid0(VALU_DEP_1) | instskip(NEXT) | instid1(VALU_DEP_3)
	v_add_f32_e32 v30, v112, v30
	v_sub_f32_e32 v112, v103, v116
	s_delay_alu instid0(VALU_DEP_2) | instskip(NEXT) | instid1(VALU_DEP_2)
	v_add_f32_e32 v30, v117, v30
	v_sub_f32_e32 v112, v113, v112
	s_delay_alu instid0(VALU_DEP_2) | instskip(NEXT) | instid1(VALU_DEP_1)
	v_mul_f32_e32 v30, v102, v30
	v_add_f32_e32 v30, v112, v30
	s_delay_alu instid0(VALU_DEP_1) | instskip(NEXT) | instid1(VALU_DEP_1)
	v_add_f32_e32 v102, v103, v30
	v_mul_f32_e32 v112, v102, v102
	s_delay_alu instid0(VALU_DEP_1) | instskip(SKIP_2) | instid1(VALU_DEP_3)
	v_fmaak_f32 v113, s26, v112, 0x3ecc95a3
	v_mul_f32_e32 v114, v102, v112
	v_cmp_gt_f32_e64 s26, 0x33800000, |v31|
	v_fmaak_f32 v112, v112, v113, 0x3f2aaada
	v_ldexp_f32 v113, v102, 1
	v_sub_f32_e32 v102, v102, v103
	s_delay_alu instid0(VALU_DEP_4) | instskip(NEXT) | instid1(VALU_DEP_3)
	s_or_b32 vcc_lo, vcc_lo, s26
	v_mul_f32_e32 v112, v114, v112
	v_mul_f32_e32 v114, 0x3f317218, v29
	s_delay_alu instid0(VALU_DEP_2) | instskip(NEXT) | instid1(VALU_DEP_1)
	v_dual_sub_f32 v30, v30, v102 :: v_dual_add_f32 v103, v113, v112
	v_ldexp_f32 v30, v30, 1
	s_delay_alu instid0(VALU_DEP_2) | instskip(NEXT) | instid1(VALU_DEP_4)
	v_sub_f32_e32 v102, v103, v113
	v_fma_f32 v113, 0x3f317218, v29, -v114
	s_delay_alu instid0(VALU_DEP_1) | instskip(NEXT) | instid1(VALU_DEP_1)
	v_dual_sub_f32 v102, v112, v102 :: v_dual_fmamk_f32 v29, v29, 0xb102e308, v113
	v_add_f32_e32 v30, v30, v102
	s_delay_alu instid0(VALU_DEP_2) | instskip(NEXT) | instid1(VALU_DEP_2)
	v_add_f32_e32 v102, v114, v29
	v_add_f32_e32 v112, v103, v30
	s_delay_alu instid0(VALU_DEP_2) | instskip(NEXT) | instid1(VALU_DEP_2)
	v_sub_f32_e32 v114, v102, v114
	v_add_f32_e32 v113, v102, v112
	v_sub_f32_e32 v103, v112, v103
	s_delay_alu instid0(VALU_DEP_3) | instskip(NEXT) | instid1(VALU_DEP_2)
	v_sub_f32_e32 v29, v29, v114
	v_dual_sub_f32 v115, v113, v102 :: v_dual_sub_f32 v30, v30, v103
	s_delay_alu instid0(VALU_DEP_1) | instskip(NEXT) | instid1(VALU_DEP_2)
	v_sub_f32_e32 v116, v113, v115
	v_dual_sub_f32 v103, v112, v115 :: v_dual_add_f32 v112, v29, v30
	s_delay_alu instid0(VALU_DEP_2) | instskip(NEXT) | instid1(VALU_DEP_1)
	v_sub_f32_e32 v102, v102, v116
	v_dual_add_f32 v102, v103, v102 :: v_dual_sub_f32 v103, v112, v29
	s_delay_alu instid0(VALU_DEP_1) | instskip(NEXT) | instid1(VALU_DEP_2)
	v_add_f32_e32 v102, v112, v102
	v_sub_f32_e32 v112, v112, v103
	v_sub_f32_e32 v30, v30, v103
	s_delay_alu instid0(VALU_DEP_3) | instskip(NEXT) | instid1(VALU_DEP_3)
	v_add_f32_e32 v114, v113, v102
	v_sub_f32_e32 v29, v29, v112
	s_delay_alu instid0(VALU_DEP_2) | instskip(NEXT) | instid1(VALU_DEP_2)
	v_sub_f32_e32 v103, v114, v113
	v_add_f32_e32 v29, v30, v29
	s_delay_alu instid0(VALU_DEP_2) | instskip(NEXT) | instid1(VALU_DEP_1)
	v_sub_f32_e32 v30, v102, v103
	v_add_f32_e32 v29, v29, v30
	s_delay_alu instid0(VALU_DEP_1) | instskip(NEXT) | instid1(VALU_DEP_1)
	v_add_f32_e32 v29, v114, v29
	v_cndmask_b32_e32 v29, v29, v31, vcc_lo
	s_delay_alu instid0(VALU_DEP_1) | instskip(NEXT) | instid1(VALU_DEP_1)
	v_add_f32_e32 v28, v28, v29
	v_cvt_f16_f32_e32 v102, v28
.LBB390_93:
	s_or_b32 exec_lo, exec_lo, s25
	v_lshrrev_b32_e32 v28, 5, v21
	v_cmp_gt_u32_e32 vcc_lo, 32, v21
	s_delay_alu instid0(VALU_DEP_2)
	v_add_lshl_u32 v28, v28, v21, 1
	ds_store_b16 v28, v102
	s_waitcnt lgkmcnt(0)
	s_barrier
	buffer_gl0_inv
	s_and_saveexec_b32 s27, vcc_lo
	s_cbranch_execz .LBB390_121
; %bb.94:
	v_lshrrev_b32_e32 v28, 3, v21
	s_delay_alu instid0(VALU_DEP_1) | instskip(NEXT) | instid1(VALU_DEP_1)
	v_and_b32_e32 v28, 0x7e, v28
	v_lshl_or_b32 v28, v21, 2, v28
	ds_load_u16 v103, v28
	ds_load_u16 v30, v28 offset:2
	s_waitcnt lgkmcnt(1)
	v_cvt_f32_f16_e32 v29, v103
	s_waitcnt lgkmcnt(0)
	v_cvt_f32_f16_e32 v112, v30
	v_cmp_u_f16_e64 s25, v103, v103
	v_cmp_u_f16_e64 s26, v30, v30
	s_delay_alu instid0(VALU_DEP_3) | instskip(SKIP_1) | instid1(VALU_DEP_2)
	v_min_f32_e32 v31, v29, v112
	v_max_f32_e32 v113, v29, v112
	v_cndmask_b32_e64 v31, v31, v29, s25
	s_delay_alu instid0(VALU_DEP_2) | instskip(NEXT) | instid1(VALU_DEP_2)
	v_cndmask_b32_e64 v113, v113, v29, s25
	v_cndmask_b32_e64 v31, v31, v112, s26
	s_delay_alu instid0(VALU_DEP_2) | instskip(NEXT) | instid1(VALU_DEP_2)
	v_cndmask_b32_e64 v30, v113, v112, s26
	v_cmp_class_f32_e64 s29, v31, 0x1f8
	s_delay_alu instid0(VALU_DEP_2) | instskip(NEXT) | instid1(VALU_DEP_1)
	v_cmp_neq_f32_e64 s26, v31, v30
	s_or_b32 s26, s26, s29
	s_delay_alu instid0(SALU_CYCLE_1)
	s_and_saveexec_b32 s29, s26
	s_cbranch_execz .LBB390_96
; %bb.95:
	v_sub_f32_e32 v31, v31, v30
	s_delay_alu instid0(VALU_DEP_1) | instskip(SKIP_1) | instid1(VALU_DEP_2)
	v_mul_f32_e32 v103, 0x3fb8aa3b, v31
	v_cmp_ngt_f32_e64 s26, 0xc2ce8ed0, v31
	v_fma_f32 v112, 0x3fb8aa3b, v31, -v103
	v_rndne_f32_e32 v113, v103
	s_delay_alu instid0(VALU_DEP_2) | instskip(NEXT) | instid1(VALU_DEP_2)
	v_fmamk_f32 v112, v31, 0x32a5705f, v112
	v_sub_f32_e32 v103, v103, v113
	s_delay_alu instid0(VALU_DEP_1) | instskip(SKIP_1) | instid1(VALU_DEP_2)
	v_add_f32_e32 v103, v103, v112
	v_cvt_i32_f32_e32 v112, v113
	v_exp_f32_e32 v103, v103
	s_waitcnt_depctr 0xfff
	v_ldexp_f32 v103, v103, v112
	s_delay_alu instid0(VALU_DEP_1) | instskip(SKIP_1) | instid1(VALU_DEP_1)
	v_cndmask_b32_e64 v103, 0, v103, s26
	v_cmp_nlt_f32_e64 s26, 0x42b17218, v31
	v_cndmask_b32_e64 v31, 0x7f800000, v103, s26
	s_delay_alu instid0(VALU_DEP_1) | instskip(SKIP_1) | instid1(VALU_DEP_2)
	v_add_f32_e32 v103, 1.0, v31
	v_cmp_gt_f32_e64 vcc_hi, 0x33800000, |v31|
	v_cvt_f64_f32_e32 v[112:113], v103
	s_delay_alu instid0(VALU_DEP_1) | instskip(SKIP_1) | instid1(VALU_DEP_1)
	v_frexp_exp_i32_f64_e32 v112, v[112:113]
	v_frexp_mant_f32_e32 v113, v103
	v_cmp_gt_f32_e64 s26, 0x3f2aaaab, v113
	v_add_f32_e32 v113, -1.0, v103
	s_delay_alu instid0(VALU_DEP_1) | instskip(NEXT) | instid1(VALU_DEP_1)
	v_sub_f32_e32 v115, v113, v103
	v_add_f32_e32 v115, 1.0, v115
	s_delay_alu instid0(VALU_DEP_4) | instskip(SKIP_1) | instid1(VALU_DEP_1)
	v_subrev_co_ci_u32_e64 v112, s26, 0, v112, s26
	s_mov_b32 s26, 0x3e9b6dac
	v_sub_nc_u32_e32 v114, 0, v112
	v_cvt_f32_i32_e32 v112, v112
	s_delay_alu instid0(VALU_DEP_2) | instskip(NEXT) | instid1(VALU_DEP_1)
	v_ldexp_f32 v103, v103, v114
	v_dual_sub_f32 v113, v31, v113 :: v_dual_add_f32 v116, 1.0, v103
	s_delay_alu instid0(VALU_DEP_1) | instskip(NEXT) | instid1(VALU_DEP_1)
	v_add_f32_e32 v113, v113, v115
	v_ldexp_f32 v113, v113, v114
	s_delay_alu instid0(VALU_DEP_3) | instskip(NEXT) | instid1(VALU_DEP_1)
	v_dual_add_f32 v114, -1.0, v103 :: v_dual_add_f32 v115, -1.0, v116
	v_add_f32_e32 v117, 1.0, v114
	s_delay_alu instid0(VALU_DEP_2) | instskip(NEXT) | instid1(VALU_DEP_2)
	v_sub_f32_e32 v115, v103, v115
	v_sub_f32_e32 v103, v103, v117
	s_delay_alu instid0(VALU_DEP_2) | instskip(NEXT) | instid1(VALU_DEP_2)
	v_add_f32_e32 v115, v113, v115
	v_add_f32_e32 v103, v113, v103
	s_delay_alu instid0(VALU_DEP_2) | instskip(NEXT) | instid1(VALU_DEP_2)
	v_add_f32_e32 v117, v116, v115
	v_add_f32_e32 v118, v114, v103
	s_delay_alu instid0(VALU_DEP_2) | instskip(SKIP_1) | instid1(VALU_DEP_1)
	v_rcp_f32_e32 v113, v117
	v_sub_f32_e32 v116, v116, v117
	v_dual_sub_f32 v114, v114, v118 :: v_dual_add_f32 v115, v115, v116
	s_delay_alu instid0(VALU_DEP_1) | instskip(SKIP_2) | instid1(VALU_DEP_1)
	v_add_f32_e32 v103, v103, v114
	s_waitcnt_depctr 0xfff
	v_mul_f32_e32 v119, v118, v113
	v_mul_f32_e32 v128, v117, v119
	s_delay_alu instid0(VALU_DEP_1) | instskip(NEXT) | instid1(VALU_DEP_1)
	v_fma_f32 v116, v119, v117, -v128
	v_fmac_f32_e32 v116, v119, v115
	s_delay_alu instid0(VALU_DEP_1) | instskip(NEXT) | instid1(VALU_DEP_1)
	v_add_f32_e32 v129, v128, v116
	v_sub_f32_e32 v130, v118, v129
	v_sub_f32_e32 v114, v129, v128
	s_delay_alu instid0(VALU_DEP_2) | instskip(NEXT) | instid1(VALU_DEP_2)
	v_sub_f32_e32 v118, v118, v130
	v_sub_f32_e32 v114, v114, v116
	s_delay_alu instid0(VALU_DEP_2) | instskip(NEXT) | instid1(VALU_DEP_1)
	v_sub_f32_e32 v118, v118, v129
	v_add_f32_e32 v103, v103, v118
	s_delay_alu instid0(VALU_DEP_1) | instskip(NEXT) | instid1(VALU_DEP_1)
	v_add_f32_e32 v103, v114, v103
	v_add_f32_e32 v114, v130, v103
	s_delay_alu instid0(VALU_DEP_1) | instskip(NEXT) | instid1(VALU_DEP_1)
	v_mul_f32_e32 v116, v113, v114
	v_dual_sub_f32 v129, v130, v114 :: v_dual_mul_f32 v118, v117, v116
	s_delay_alu instid0(VALU_DEP_1) | instskip(NEXT) | instid1(VALU_DEP_2)
	v_add_f32_e32 v103, v103, v129
	v_fma_f32 v117, v116, v117, -v118
	s_delay_alu instid0(VALU_DEP_1) | instskip(NEXT) | instid1(VALU_DEP_1)
	v_fmac_f32_e32 v117, v116, v115
	v_add_f32_e32 v115, v118, v117
	s_delay_alu instid0(VALU_DEP_1) | instskip(SKIP_1) | instid1(VALU_DEP_2)
	v_sub_f32_e32 v128, v114, v115
	v_sub_f32_e32 v118, v115, v118
	;; [unrolled: 1-line block ×3, first 2 shown]
	s_delay_alu instid0(VALU_DEP_1) | instskip(NEXT) | instid1(VALU_DEP_3)
	v_sub_f32_e32 v114, v114, v115
	v_sub_f32_e32 v115, v118, v117
	s_delay_alu instid0(VALU_DEP_2) | instskip(SKIP_1) | instid1(VALU_DEP_2)
	v_add_f32_e32 v103, v103, v114
	v_add_f32_e32 v114, v119, v116
	v_add_f32_e32 v103, v115, v103
	s_delay_alu instid0(VALU_DEP_2) | instskip(NEXT) | instid1(VALU_DEP_2)
	v_sub_f32_e32 v115, v114, v119
	v_add_f32_e32 v103, v128, v103
	s_delay_alu instid0(VALU_DEP_2) | instskip(NEXT) | instid1(VALU_DEP_2)
	v_sub_f32_e32 v115, v116, v115
	v_mul_f32_e32 v103, v113, v103
	s_delay_alu instid0(VALU_DEP_1) | instskip(NEXT) | instid1(VALU_DEP_1)
	v_add_f32_e32 v103, v115, v103
	v_add_f32_e32 v113, v114, v103
	s_delay_alu instid0(VALU_DEP_1) | instskip(NEXT) | instid1(VALU_DEP_1)
	v_mul_f32_e32 v115, v113, v113
	v_fmaak_f32 v116, s26, v115, 0x3ecc95a3
	v_mul_f32_e32 v117, v113, v115
	v_cmp_eq_f32_e64 s26, 0x7f800000, v31
	s_delay_alu instid0(VALU_DEP_3) | instskip(SKIP_2) | instid1(VALU_DEP_4)
	v_fmaak_f32 v115, v115, v116, 0x3f2aaada
	v_ldexp_f32 v116, v113, 1
	v_sub_f32_e32 v113, v113, v114
	s_or_b32 s26, s26, vcc_hi
	s_delay_alu instid0(VALU_DEP_3) | instskip(SKIP_1) | instid1(VALU_DEP_2)
	v_mul_f32_e32 v115, v117, v115
	v_mul_f32_e32 v117, 0x3f317218, v112
	v_dual_sub_f32 v103, v103, v113 :: v_dual_add_f32 v114, v116, v115
	s_delay_alu instid0(VALU_DEP_1) | instskip(NEXT) | instid1(VALU_DEP_2)
	v_ldexp_f32 v103, v103, 1
	v_sub_f32_e32 v113, v114, v116
	s_delay_alu instid0(VALU_DEP_4) | instskip(NEXT) | instid1(VALU_DEP_1)
	v_fma_f32 v116, 0x3f317218, v112, -v117
	v_dual_sub_f32 v113, v115, v113 :: v_dual_fmamk_f32 v112, v112, 0xb102e308, v116
	s_delay_alu instid0(VALU_DEP_1) | instskip(NEXT) | instid1(VALU_DEP_2)
	v_add_f32_e32 v103, v103, v113
	v_add_f32_e32 v113, v117, v112
	s_delay_alu instid0(VALU_DEP_2) | instskip(NEXT) | instid1(VALU_DEP_2)
	v_add_f32_e32 v115, v114, v103
	v_sub_f32_e32 v117, v113, v117
	s_delay_alu instid0(VALU_DEP_2) | instskip(SKIP_1) | instid1(VALU_DEP_3)
	v_add_f32_e32 v116, v113, v115
	v_sub_f32_e32 v114, v115, v114
	v_sub_f32_e32 v112, v112, v117
	s_delay_alu instid0(VALU_DEP_2) | instskip(NEXT) | instid1(VALU_DEP_1)
	v_dual_sub_f32 v118, v116, v113 :: v_dual_sub_f32 v103, v103, v114
	v_sub_f32_e32 v119, v116, v118
	s_delay_alu instid0(VALU_DEP_2) | instskip(NEXT) | instid1(VALU_DEP_2)
	v_dual_sub_f32 v114, v115, v118 :: v_dual_add_f32 v115, v112, v103
	v_sub_f32_e32 v113, v113, v119
	s_delay_alu instid0(VALU_DEP_1) | instskip(NEXT) | instid1(VALU_DEP_1)
	v_dual_add_f32 v113, v114, v113 :: v_dual_sub_f32 v114, v115, v112
	v_add_f32_e32 v113, v115, v113
	s_delay_alu instid0(VALU_DEP_2) | instskip(SKIP_1) | instid1(VALU_DEP_3)
	v_sub_f32_e32 v115, v115, v114
	v_sub_f32_e32 v103, v103, v114
	v_add_f32_e32 v117, v116, v113
	s_delay_alu instid0(VALU_DEP_3) | instskip(NEXT) | instid1(VALU_DEP_2)
	v_sub_f32_e32 v112, v112, v115
	v_sub_f32_e32 v114, v117, v116
	s_delay_alu instid0(VALU_DEP_1) | instskip(NEXT) | instid1(VALU_DEP_1)
	v_dual_add_f32 v103, v103, v112 :: v_dual_sub_f32 v112, v113, v114
	v_add_f32_e32 v103, v103, v112
	s_delay_alu instid0(VALU_DEP_1) | instskip(NEXT) | instid1(VALU_DEP_1)
	v_add_f32_e32 v103, v117, v103
	v_cndmask_b32_e64 v31, v103, v31, s26
	s_delay_alu instid0(VALU_DEP_1) | instskip(NEXT) | instid1(VALU_DEP_1)
	v_add_f32_e32 v30, v30, v31
	v_cvt_f16_f32_e32 v103, v30
.LBB390_96:
	s_or_b32 exec_lo, exec_lo, s29
	v_mbcnt_lo_u32_b32 v30, -1, 0
	s_delay_alu instid0(VALU_DEP_2) | instskip(SKIP_1) | instid1(VALU_DEP_2)
	v_and_b32_e32 v112, 0xffff, v103
	s_mov_b32 s29, exec_lo
	v_and_b32_e32 v31, 15, v30
	s_delay_alu instid0(VALU_DEP_2) | instskip(NEXT) | instid1(VALU_DEP_2)
	v_mov_b32_dpp v113, v112 row_shr:1 row_mask:0xf bank_mask:0xf
	v_cmpx_ne_u32_e32 0, v31
	s_cbranch_execz .LBB390_100
; %bb.97:
	s_delay_alu instid0(VALU_DEP_2) | instskip(SKIP_2) | instid1(VALU_DEP_2)
	v_cvt_f32_f16_e32 v112, v113
	v_cvt_f32_f16_e32 v114, v103
	v_cmp_u_f16_e64 s26, v113, v113
	v_min_f32_e32 v115, v112, v114
	v_max_f32_e32 v116, v112, v114
	s_delay_alu instid0(VALU_DEP_2) | instskip(NEXT) | instid1(VALU_DEP_2)
	v_cndmask_b32_e64 v115, v115, v112, s26
	v_cndmask_b32_e64 v116, v116, v112, s26
	v_cmp_u_f16_e64 s26, v103, v103
	s_delay_alu instid0(VALU_DEP_1) | instskip(NEXT) | instid1(VALU_DEP_3)
	v_cndmask_b32_e64 v112, v115, v114, s26
	v_cndmask_b32_e64 v103, v116, v114, s26
	s_delay_alu instid0(VALU_DEP_2) | instskip(NEXT) | instid1(VALU_DEP_2)
	v_cmp_class_f32_e64 vcc_hi, v112, 0x1f8
	v_cmp_neq_f32_e64 s26, v112, v103
	s_delay_alu instid0(VALU_DEP_1) | instskip(NEXT) | instid1(SALU_CYCLE_1)
	s_or_b32 s26, s26, vcc_hi
	s_and_saveexec_b32 vcc_hi, s26
	s_cbranch_execz .LBB390_99
; %bb.98:
	v_sub_f32_e32 v112, v112, v103
	s_delay_alu instid0(VALU_DEP_1) | instskip(NEXT) | instid1(VALU_DEP_1)
	v_mul_f32_e32 v113, 0x3fb8aa3b, v112
	v_fma_f32 v114, 0x3fb8aa3b, v112, -v113
	v_rndne_f32_e32 v115, v113
	s_delay_alu instid0(VALU_DEP_1) | instskip(NEXT) | instid1(VALU_DEP_1)
	v_dual_fmamk_f32 v114, v112, 0x32a5705f, v114 :: v_dual_sub_f32 v113, v113, v115
	v_add_f32_e32 v113, v113, v114
	v_cvt_i32_f32_e32 v114, v115
	v_cmp_ngt_f32_e64 s26, 0xc2ce8ed0, v112
	s_delay_alu instid0(VALU_DEP_3) | instskip(SKIP_2) | instid1(VALU_DEP_1)
	v_exp_f32_e32 v113, v113
	s_waitcnt_depctr 0xfff
	v_ldexp_f32 v113, v113, v114
	v_cndmask_b32_e64 v113, 0, v113, s26
	v_cmp_nlt_f32_e64 s26, 0x42b17218, v112
	s_delay_alu instid0(VALU_DEP_1) | instskip(NEXT) | instid1(VALU_DEP_1)
	v_cndmask_b32_e64 v114, 0x7f800000, v113, s26
	v_add_f32_e32 v115, 1.0, v114
	v_cmp_gt_f32_e64 s30, 0x33800000, |v114|
	s_delay_alu instid0(VALU_DEP_2) | instskip(NEXT) | instid1(VALU_DEP_1)
	v_cvt_f64_f32_e32 v[112:113], v115
	v_frexp_exp_i32_f64_e32 v112, v[112:113]
	v_frexp_mant_f32_e32 v113, v115
	s_delay_alu instid0(VALU_DEP_1) | instskip(SKIP_1) | instid1(VALU_DEP_1)
	v_cmp_gt_f32_e64 s26, 0x3f2aaaab, v113
	v_add_f32_e32 v113, -1.0, v115
	v_sub_f32_e32 v117, v113, v115
	s_delay_alu instid0(VALU_DEP_3) | instskip(SKIP_1) | instid1(VALU_DEP_1)
	v_subrev_co_ci_u32_e64 v112, s26, 0, v112, s26
	s_mov_b32 s26, 0x3e9b6dac
	v_sub_nc_u32_e32 v116, 0, v112
	v_cvt_f32_i32_e32 v112, v112
	s_delay_alu instid0(VALU_DEP_2) | instskip(NEXT) | instid1(VALU_DEP_1)
	v_ldexp_f32 v115, v115, v116
	v_dual_sub_f32 v113, v114, v113 :: v_dual_add_f32 v118, 1.0, v115
	v_add_f32_e32 v117, 1.0, v117
	s_delay_alu instid0(VALU_DEP_1) | instskip(NEXT) | instid1(VALU_DEP_3)
	v_add_f32_e32 v113, v113, v117
	v_add_f32_e32 v117, -1.0, v118
	s_delay_alu instid0(VALU_DEP_2) | instskip(NEXT) | instid1(VALU_DEP_2)
	v_ldexp_f32 v113, v113, v116
	v_dual_add_f32 v116, -1.0, v115 :: v_dual_sub_f32 v117, v115, v117
	s_delay_alu instid0(VALU_DEP_1) | instskip(NEXT) | instid1(VALU_DEP_2)
	v_add_f32_e32 v119, 1.0, v116
	v_add_f32_e32 v117, v113, v117
	s_delay_alu instid0(VALU_DEP_2) | instskip(NEXT) | instid1(VALU_DEP_2)
	v_sub_f32_e32 v115, v115, v119
	v_add_f32_e32 v119, v118, v117
	s_delay_alu instid0(VALU_DEP_2) | instskip(NEXT) | instid1(VALU_DEP_2)
	v_add_f32_e32 v113, v113, v115
	v_rcp_f32_e32 v115, v119
	v_sub_f32_e32 v118, v118, v119
	s_delay_alu instid0(VALU_DEP_1) | instskip(NEXT) | instid1(VALU_DEP_1)
	v_dual_add_f32 v128, v116, v113 :: v_dual_add_f32 v117, v117, v118
	v_sub_f32_e32 v116, v116, v128
	s_waitcnt_depctr 0xfff
	v_mul_f32_e32 v129, v128, v115
	s_delay_alu instid0(VALU_DEP_1) | instskip(NEXT) | instid1(VALU_DEP_1)
	v_dual_add_f32 v113, v113, v116 :: v_dual_mul_f32 v130, v119, v129
	v_fma_f32 v118, v129, v119, -v130
	s_delay_alu instid0(VALU_DEP_1) | instskip(NEXT) | instid1(VALU_DEP_1)
	v_fmac_f32_e32 v118, v129, v117
	v_add_f32_e32 v131, v130, v118
	s_delay_alu instid0(VALU_DEP_1) | instskip(SKIP_1) | instid1(VALU_DEP_2)
	v_sub_f32_e32 v132, v128, v131
	v_sub_f32_e32 v116, v131, v130
	;; [unrolled: 1-line block ×3, first 2 shown]
	s_delay_alu instid0(VALU_DEP_2) | instskip(NEXT) | instid1(VALU_DEP_2)
	v_sub_f32_e32 v116, v116, v118
	v_sub_f32_e32 v128, v128, v131
	s_delay_alu instid0(VALU_DEP_1) | instskip(NEXT) | instid1(VALU_DEP_1)
	v_add_f32_e32 v113, v113, v128
	v_add_f32_e32 v113, v116, v113
	s_delay_alu instid0(VALU_DEP_1) | instskip(NEXT) | instid1(VALU_DEP_1)
	v_add_f32_e32 v116, v132, v113
	v_mul_f32_e32 v118, v115, v116
	s_delay_alu instid0(VALU_DEP_1) | instskip(NEXT) | instid1(VALU_DEP_1)
	v_dual_sub_f32 v131, v132, v116 :: v_dual_mul_f32 v128, v119, v118
	v_add_f32_e32 v113, v113, v131
	s_delay_alu instid0(VALU_DEP_2) | instskip(NEXT) | instid1(VALU_DEP_1)
	v_fma_f32 v119, v118, v119, -v128
	v_fmac_f32_e32 v119, v118, v117
	s_delay_alu instid0(VALU_DEP_1) | instskip(NEXT) | instid1(VALU_DEP_1)
	v_add_f32_e32 v117, v128, v119
	v_sub_f32_e32 v130, v116, v117
	v_sub_f32_e32 v128, v117, v128
	s_delay_alu instid0(VALU_DEP_2) | instskip(NEXT) | instid1(VALU_DEP_1)
	v_sub_f32_e32 v116, v116, v130
	v_sub_f32_e32 v116, v116, v117
	s_delay_alu instid0(VALU_DEP_3) | instskip(NEXT) | instid1(VALU_DEP_2)
	v_sub_f32_e32 v117, v128, v119
	v_add_f32_e32 v113, v113, v116
	v_add_f32_e32 v116, v129, v118
	s_delay_alu instid0(VALU_DEP_2) | instskip(NEXT) | instid1(VALU_DEP_2)
	v_add_f32_e32 v113, v117, v113
	v_sub_f32_e32 v117, v116, v129
	s_delay_alu instid0(VALU_DEP_2) | instskip(NEXT) | instid1(VALU_DEP_2)
	v_add_f32_e32 v113, v130, v113
	v_sub_f32_e32 v117, v118, v117
	s_delay_alu instid0(VALU_DEP_2) | instskip(NEXT) | instid1(VALU_DEP_1)
	v_mul_f32_e32 v113, v115, v113
	v_add_f32_e32 v113, v117, v113
	s_delay_alu instid0(VALU_DEP_1) | instskip(NEXT) | instid1(VALU_DEP_1)
	v_add_f32_e32 v115, v116, v113
	v_mul_f32_e32 v117, v115, v115
	s_delay_alu instid0(VALU_DEP_1) | instskip(SKIP_2) | instid1(VALU_DEP_3)
	v_fmaak_f32 v118, s26, v117, 0x3ecc95a3
	v_mul_f32_e32 v119, v115, v117
	v_cmp_eq_f32_e64 s26, 0x7f800000, v114
	v_fmaak_f32 v117, v117, v118, 0x3f2aaada
	v_ldexp_f32 v118, v115, 1
	v_sub_f32_e32 v115, v115, v116
	s_delay_alu instid0(VALU_DEP_4) | instskip(NEXT) | instid1(VALU_DEP_3)
	s_or_b32 s26, s26, s30
	v_mul_f32_e32 v117, v119, v117
	v_mul_f32_e32 v119, 0x3f317218, v112
	s_delay_alu instid0(VALU_DEP_2) | instskip(NEXT) | instid1(VALU_DEP_1)
	v_dual_sub_f32 v113, v113, v115 :: v_dual_add_f32 v116, v118, v117
	v_ldexp_f32 v113, v113, 1
	s_delay_alu instid0(VALU_DEP_2) | instskip(NEXT) | instid1(VALU_DEP_4)
	v_sub_f32_e32 v115, v116, v118
	v_fma_f32 v118, 0x3f317218, v112, -v119
	s_delay_alu instid0(VALU_DEP_1) | instskip(NEXT) | instid1(VALU_DEP_1)
	v_dual_sub_f32 v115, v117, v115 :: v_dual_fmamk_f32 v112, v112, 0xb102e308, v118
	v_add_f32_e32 v113, v113, v115
	s_delay_alu instid0(VALU_DEP_2) | instskip(NEXT) | instid1(VALU_DEP_2)
	v_add_f32_e32 v115, v119, v112
	v_add_f32_e32 v117, v116, v113
	s_delay_alu instid0(VALU_DEP_2) | instskip(NEXT) | instid1(VALU_DEP_2)
	v_sub_f32_e32 v119, v115, v119
	v_add_f32_e32 v118, v115, v117
	v_sub_f32_e32 v116, v117, v116
	s_delay_alu instid0(VALU_DEP_3) | instskip(NEXT) | instid1(VALU_DEP_2)
	v_sub_f32_e32 v112, v112, v119
	v_dual_sub_f32 v128, v118, v115 :: v_dual_sub_f32 v113, v113, v116
	s_delay_alu instid0(VALU_DEP_1) | instskip(NEXT) | instid1(VALU_DEP_2)
	v_sub_f32_e32 v129, v118, v128
	v_dual_sub_f32 v116, v117, v128 :: v_dual_add_f32 v117, v112, v113
	s_delay_alu instid0(VALU_DEP_2) | instskip(NEXT) | instid1(VALU_DEP_1)
	v_sub_f32_e32 v115, v115, v129
	v_dual_add_f32 v115, v116, v115 :: v_dual_sub_f32 v116, v117, v112
	s_delay_alu instid0(VALU_DEP_1) | instskip(NEXT) | instid1(VALU_DEP_2)
	v_add_f32_e32 v115, v117, v115
	v_sub_f32_e32 v117, v117, v116
	v_sub_f32_e32 v113, v113, v116
	s_delay_alu instid0(VALU_DEP_2) | instskip(NEXT) | instid1(VALU_DEP_1)
	v_dual_add_f32 v119, v118, v115 :: v_dual_sub_f32 v112, v112, v117
	v_sub_f32_e32 v116, v119, v118
	s_delay_alu instid0(VALU_DEP_2) | instskip(NEXT) | instid1(VALU_DEP_2)
	v_add_f32_e32 v112, v113, v112
	v_sub_f32_e32 v113, v115, v116
	s_delay_alu instid0(VALU_DEP_1) | instskip(NEXT) | instid1(VALU_DEP_1)
	v_add_f32_e32 v112, v112, v113
	v_add_f32_e32 v112, v119, v112
	s_delay_alu instid0(VALU_DEP_1) | instskip(NEXT) | instid1(VALU_DEP_1)
	v_cndmask_b32_e64 v112, v112, v114, s26
	v_add_f32_e32 v103, v103, v112
	s_delay_alu instid0(VALU_DEP_1)
	v_cvt_f16_f32_e32 v113, v103
.LBB390_99:
	s_or_b32 exec_lo, exec_lo, vcc_hi
	s_delay_alu instid0(VALU_DEP_1)
	v_dual_mov_b32 v103, v113 :: v_dual_and_b32 v112, 0xffff, v113
.LBB390_100:
	s_or_b32 exec_lo, exec_lo, s29
	s_delay_alu instid0(VALU_DEP_1)
	v_mov_b32_dpp v113, v112 row_shr:2 row_mask:0xf bank_mask:0xf
	s_mov_b32 s29, exec_lo
	v_cmpx_lt_u32_e32 1, v31
	s_cbranch_execz .LBB390_104
; %bb.101:
	s_delay_alu instid0(VALU_DEP_2) | instskip(SKIP_2) | instid1(VALU_DEP_2)
	v_cvt_f32_f16_e32 v112, v113
	v_cvt_f32_f16_e32 v114, v103
	v_cmp_u_f16_e64 s26, v113, v113
	v_min_f32_e32 v115, v112, v114
	v_max_f32_e32 v116, v112, v114
	s_delay_alu instid0(VALU_DEP_2) | instskip(NEXT) | instid1(VALU_DEP_2)
	v_cndmask_b32_e64 v115, v115, v112, s26
	v_cndmask_b32_e64 v116, v116, v112, s26
	v_cmp_u_f16_e64 s26, v103, v103
	s_delay_alu instid0(VALU_DEP_1) | instskip(NEXT) | instid1(VALU_DEP_3)
	v_cndmask_b32_e64 v112, v115, v114, s26
	v_cndmask_b32_e64 v103, v116, v114, s26
	s_delay_alu instid0(VALU_DEP_2) | instskip(NEXT) | instid1(VALU_DEP_2)
	v_cmp_class_f32_e64 vcc_hi, v112, 0x1f8
	v_cmp_neq_f32_e64 s26, v112, v103
	s_delay_alu instid0(VALU_DEP_1) | instskip(NEXT) | instid1(SALU_CYCLE_1)
	s_or_b32 s26, s26, vcc_hi
	s_and_saveexec_b32 vcc_hi, s26
	s_cbranch_execz .LBB390_103
; %bb.102:
	v_sub_f32_e32 v112, v112, v103
	s_delay_alu instid0(VALU_DEP_1) | instskip(NEXT) | instid1(VALU_DEP_1)
	v_mul_f32_e32 v113, 0x3fb8aa3b, v112
	v_fma_f32 v114, 0x3fb8aa3b, v112, -v113
	v_rndne_f32_e32 v115, v113
	s_delay_alu instid0(VALU_DEP_1) | instskip(NEXT) | instid1(VALU_DEP_1)
	v_dual_fmamk_f32 v114, v112, 0x32a5705f, v114 :: v_dual_sub_f32 v113, v113, v115
	v_add_f32_e32 v113, v113, v114
	v_cvt_i32_f32_e32 v114, v115
	v_cmp_ngt_f32_e64 s26, 0xc2ce8ed0, v112
	s_delay_alu instid0(VALU_DEP_3) | instskip(SKIP_2) | instid1(VALU_DEP_1)
	v_exp_f32_e32 v113, v113
	s_waitcnt_depctr 0xfff
	v_ldexp_f32 v113, v113, v114
	v_cndmask_b32_e64 v113, 0, v113, s26
	v_cmp_nlt_f32_e64 s26, 0x42b17218, v112
	s_delay_alu instid0(VALU_DEP_1) | instskip(NEXT) | instid1(VALU_DEP_1)
	v_cndmask_b32_e64 v114, 0x7f800000, v113, s26
	v_add_f32_e32 v115, 1.0, v114
	v_cmp_gt_f32_e64 s30, 0x33800000, |v114|
	s_delay_alu instid0(VALU_DEP_2) | instskip(NEXT) | instid1(VALU_DEP_1)
	v_cvt_f64_f32_e32 v[112:113], v115
	v_frexp_exp_i32_f64_e32 v112, v[112:113]
	v_frexp_mant_f32_e32 v113, v115
	s_delay_alu instid0(VALU_DEP_1) | instskip(SKIP_1) | instid1(VALU_DEP_1)
	v_cmp_gt_f32_e64 s26, 0x3f2aaaab, v113
	v_add_f32_e32 v113, -1.0, v115
	v_sub_f32_e32 v117, v113, v115
	s_delay_alu instid0(VALU_DEP_3) | instskip(SKIP_1) | instid1(VALU_DEP_1)
	v_subrev_co_ci_u32_e64 v112, s26, 0, v112, s26
	s_mov_b32 s26, 0x3e9b6dac
	v_sub_nc_u32_e32 v116, 0, v112
	v_cvt_f32_i32_e32 v112, v112
	s_delay_alu instid0(VALU_DEP_2) | instskip(NEXT) | instid1(VALU_DEP_1)
	v_ldexp_f32 v115, v115, v116
	v_dual_sub_f32 v113, v114, v113 :: v_dual_add_f32 v118, 1.0, v115
	v_add_f32_e32 v117, 1.0, v117
	s_delay_alu instid0(VALU_DEP_1) | instskip(NEXT) | instid1(VALU_DEP_3)
	v_add_f32_e32 v113, v113, v117
	v_add_f32_e32 v117, -1.0, v118
	s_delay_alu instid0(VALU_DEP_2) | instskip(NEXT) | instid1(VALU_DEP_2)
	v_ldexp_f32 v113, v113, v116
	v_dual_add_f32 v116, -1.0, v115 :: v_dual_sub_f32 v117, v115, v117
	s_delay_alu instid0(VALU_DEP_1) | instskip(NEXT) | instid1(VALU_DEP_2)
	v_add_f32_e32 v119, 1.0, v116
	v_add_f32_e32 v117, v113, v117
	s_delay_alu instid0(VALU_DEP_2) | instskip(NEXT) | instid1(VALU_DEP_2)
	v_sub_f32_e32 v115, v115, v119
	v_add_f32_e32 v119, v118, v117
	s_delay_alu instid0(VALU_DEP_2) | instskip(NEXT) | instid1(VALU_DEP_2)
	v_add_f32_e32 v113, v113, v115
	v_rcp_f32_e32 v115, v119
	v_sub_f32_e32 v118, v118, v119
	s_delay_alu instid0(VALU_DEP_1) | instskip(NEXT) | instid1(VALU_DEP_1)
	v_dual_add_f32 v128, v116, v113 :: v_dual_add_f32 v117, v117, v118
	v_sub_f32_e32 v116, v116, v128
	s_waitcnt_depctr 0xfff
	v_mul_f32_e32 v129, v128, v115
	s_delay_alu instid0(VALU_DEP_1) | instskip(NEXT) | instid1(VALU_DEP_1)
	v_dual_add_f32 v113, v113, v116 :: v_dual_mul_f32 v130, v119, v129
	v_fma_f32 v118, v129, v119, -v130
	s_delay_alu instid0(VALU_DEP_1) | instskip(NEXT) | instid1(VALU_DEP_1)
	v_fmac_f32_e32 v118, v129, v117
	v_add_f32_e32 v131, v130, v118
	s_delay_alu instid0(VALU_DEP_1) | instskip(SKIP_1) | instid1(VALU_DEP_2)
	v_sub_f32_e32 v132, v128, v131
	v_sub_f32_e32 v116, v131, v130
	;; [unrolled: 1-line block ×3, first 2 shown]
	s_delay_alu instid0(VALU_DEP_2) | instskip(NEXT) | instid1(VALU_DEP_2)
	v_sub_f32_e32 v116, v116, v118
	v_sub_f32_e32 v128, v128, v131
	s_delay_alu instid0(VALU_DEP_1) | instskip(NEXT) | instid1(VALU_DEP_1)
	v_add_f32_e32 v113, v113, v128
	v_add_f32_e32 v113, v116, v113
	s_delay_alu instid0(VALU_DEP_1) | instskip(NEXT) | instid1(VALU_DEP_1)
	v_add_f32_e32 v116, v132, v113
	v_mul_f32_e32 v118, v115, v116
	s_delay_alu instid0(VALU_DEP_1) | instskip(NEXT) | instid1(VALU_DEP_1)
	v_dual_sub_f32 v131, v132, v116 :: v_dual_mul_f32 v128, v119, v118
	v_add_f32_e32 v113, v113, v131
	s_delay_alu instid0(VALU_DEP_2) | instskip(NEXT) | instid1(VALU_DEP_1)
	v_fma_f32 v119, v118, v119, -v128
	v_fmac_f32_e32 v119, v118, v117
	s_delay_alu instid0(VALU_DEP_1) | instskip(NEXT) | instid1(VALU_DEP_1)
	v_add_f32_e32 v117, v128, v119
	v_sub_f32_e32 v130, v116, v117
	v_sub_f32_e32 v128, v117, v128
	s_delay_alu instid0(VALU_DEP_2) | instskip(NEXT) | instid1(VALU_DEP_1)
	v_sub_f32_e32 v116, v116, v130
	v_sub_f32_e32 v116, v116, v117
	s_delay_alu instid0(VALU_DEP_3) | instskip(NEXT) | instid1(VALU_DEP_2)
	v_sub_f32_e32 v117, v128, v119
	v_add_f32_e32 v113, v113, v116
	v_add_f32_e32 v116, v129, v118
	s_delay_alu instid0(VALU_DEP_2) | instskip(NEXT) | instid1(VALU_DEP_2)
	v_add_f32_e32 v113, v117, v113
	v_sub_f32_e32 v117, v116, v129
	s_delay_alu instid0(VALU_DEP_2) | instskip(NEXT) | instid1(VALU_DEP_2)
	v_add_f32_e32 v113, v130, v113
	v_sub_f32_e32 v117, v118, v117
	s_delay_alu instid0(VALU_DEP_2) | instskip(NEXT) | instid1(VALU_DEP_1)
	v_mul_f32_e32 v113, v115, v113
	v_add_f32_e32 v113, v117, v113
	s_delay_alu instid0(VALU_DEP_1) | instskip(NEXT) | instid1(VALU_DEP_1)
	v_add_f32_e32 v115, v116, v113
	v_mul_f32_e32 v117, v115, v115
	s_delay_alu instid0(VALU_DEP_1) | instskip(SKIP_2) | instid1(VALU_DEP_3)
	v_fmaak_f32 v118, s26, v117, 0x3ecc95a3
	v_mul_f32_e32 v119, v115, v117
	v_cmp_eq_f32_e64 s26, 0x7f800000, v114
	v_fmaak_f32 v117, v117, v118, 0x3f2aaada
	v_ldexp_f32 v118, v115, 1
	v_sub_f32_e32 v115, v115, v116
	s_delay_alu instid0(VALU_DEP_4) | instskip(NEXT) | instid1(VALU_DEP_3)
	s_or_b32 s26, s26, s30
	v_mul_f32_e32 v117, v119, v117
	v_mul_f32_e32 v119, 0x3f317218, v112
	s_delay_alu instid0(VALU_DEP_2) | instskip(NEXT) | instid1(VALU_DEP_1)
	v_dual_sub_f32 v113, v113, v115 :: v_dual_add_f32 v116, v118, v117
	v_ldexp_f32 v113, v113, 1
	s_delay_alu instid0(VALU_DEP_2) | instskip(NEXT) | instid1(VALU_DEP_4)
	v_sub_f32_e32 v115, v116, v118
	v_fma_f32 v118, 0x3f317218, v112, -v119
	s_delay_alu instid0(VALU_DEP_1) | instskip(NEXT) | instid1(VALU_DEP_1)
	v_dual_sub_f32 v115, v117, v115 :: v_dual_fmamk_f32 v112, v112, 0xb102e308, v118
	v_add_f32_e32 v113, v113, v115
	s_delay_alu instid0(VALU_DEP_2) | instskip(NEXT) | instid1(VALU_DEP_2)
	v_add_f32_e32 v115, v119, v112
	v_add_f32_e32 v117, v116, v113
	s_delay_alu instid0(VALU_DEP_2) | instskip(NEXT) | instid1(VALU_DEP_2)
	v_sub_f32_e32 v119, v115, v119
	v_add_f32_e32 v118, v115, v117
	v_sub_f32_e32 v116, v117, v116
	s_delay_alu instid0(VALU_DEP_3) | instskip(NEXT) | instid1(VALU_DEP_2)
	v_sub_f32_e32 v112, v112, v119
	v_dual_sub_f32 v128, v118, v115 :: v_dual_sub_f32 v113, v113, v116
	s_delay_alu instid0(VALU_DEP_1) | instskip(NEXT) | instid1(VALU_DEP_2)
	v_sub_f32_e32 v129, v118, v128
	v_dual_sub_f32 v116, v117, v128 :: v_dual_add_f32 v117, v112, v113
	s_delay_alu instid0(VALU_DEP_2) | instskip(NEXT) | instid1(VALU_DEP_1)
	v_sub_f32_e32 v115, v115, v129
	v_dual_add_f32 v115, v116, v115 :: v_dual_sub_f32 v116, v117, v112
	s_delay_alu instid0(VALU_DEP_1) | instskip(NEXT) | instid1(VALU_DEP_2)
	v_add_f32_e32 v115, v117, v115
	v_sub_f32_e32 v117, v117, v116
	v_sub_f32_e32 v113, v113, v116
	s_delay_alu instid0(VALU_DEP_2) | instskip(NEXT) | instid1(VALU_DEP_1)
	v_dual_add_f32 v119, v118, v115 :: v_dual_sub_f32 v112, v112, v117
	v_sub_f32_e32 v116, v119, v118
	s_delay_alu instid0(VALU_DEP_2) | instskip(NEXT) | instid1(VALU_DEP_2)
	v_add_f32_e32 v112, v113, v112
	v_sub_f32_e32 v113, v115, v116
	s_delay_alu instid0(VALU_DEP_1) | instskip(NEXT) | instid1(VALU_DEP_1)
	v_add_f32_e32 v112, v112, v113
	v_add_f32_e32 v112, v119, v112
	s_delay_alu instid0(VALU_DEP_1) | instskip(NEXT) | instid1(VALU_DEP_1)
	v_cndmask_b32_e64 v112, v112, v114, s26
	v_add_f32_e32 v103, v103, v112
	s_delay_alu instid0(VALU_DEP_1)
	v_cvt_f16_f32_e32 v113, v103
.LBB390_103:
	s_or_b32 exec_lo, exec_lo, vcc_hi
	s_delay_alu instid0(VALU_DEP_1)
	v_dual_mov_b32 v103, v113 :: v_dual_and_b32 v112, 0xffff, v113
.LBB390_104:
	s_or_b32 exec_lo, exec_lo, s29
	s_delay_alu instid0(VALU_DEP_1)
	v_mov_b32_dpp v113, v112 row_shr:4 row_mask:0xf bank_mask:0xf
	s_mov_b32 s29, exec_lo
	v_cmpx_lt_u32_e32 3, v31
	s_cbranch_execz .LBB390_108
; %bb.105:
	s_delay_alu instid0(VALU_DEP_2) | instskip(SKIP_2) | instid1(VALU_DEP_2)
	v_cvt_f32_f16_e32 v112, v113
	v_cvt_f32_f16_e32 v114, v103
	v_cmp_u_f16_e64 s26, v113, v113
	v_min_f32_e32 v115, v112, v114
	v_max_f32_e32 v116, v112, v114
	s_delay_alu instid0(VALU_DEP_2) | instskip(NEXT) | instid1(VALU_DEP_2)
	v_cndmask_b32_e64 v115, v115, v112, s26
	v_cndmask_b32_e64 v116, v116, v112, s26
	v_cmp_u_f16_e64 s26, v103, v103
	s_delay_alu instid0(VALU_DEP_1) | instskip(NEXT) | instid1(VALU_DEP_3)
	v_cndmask_b32_e64 v112, v115, v114, s26
	v_cndmask_b32_e64 v103, v116, v114, s26
	s_delay_alu instid0(VALU_DEP_2) | instskip(NEXT) | instid1(VALU_DEP_2)
	v_cmp_class_f32_e64 vcc_hi, v112, 0x1f8
	v_cmp_neq_f32_e64 s26, v112, v103
	s_delay_alu instid0(VALU_DEP_1) | instskip(NEXT) | instid1(SALU_CYCLE_1)
	s_or_b32 s26, s26, vcc_hi
	s_and_saveexec_b32 vcc_hi, s26
	s_cbranch_execz .LBB390_107
; %bb.106:
	v_sub_f32_e32 v112, v112, v103
	s_delay_alu instid0(VALU_DEP_1) | instskip(NEXT) | instid1(VALU_DEP_1)
	v_mul_f32_e32 v113, 0x3fb8aa3b, v112
	v_fma_f32 v114, 0x3fb8aa3b, v112, -v113
	v_rndne_f32_e32 v115, v113
	s_delay_alu instid0(VALU_DEP_1) | instskip(NEXT) | instid1(VALU_DEP_1)
	v_dual_fmamk_f32 v114, v112, 0x32a5705f, v114 :: v_dual_sub_f32 v113, v113, v115
	v_add_f32_e32 v113, v113, v114
	v_cvt_i32_f32_e32 v114, v115
	v_cmp_ngt_f32_e64 s26, 0xc2ce8ed0, v112
	s_delay_alu instid0(VALU_DEP_3) | instskip(SKIP_2) | instid1(VALU_DEP_1)
	v_exp_f32_e32 v113, v113
	s_waitcnt_depctr 0xfff
	v_ldexp_f32 v113, v113, v114
	v_cndmask_b32_e64 v113, 0, v113, s26
	v_cmp_nlt_f32_e64 s26, 0x42b17218, v112
	s_delay_alu instid0(VALU_DEP_1) | instskip(NEXT) | instid1(VALU_DEP_1)
	v_cndmask_b32_e64 v114, 0x7f800000, v113, s26
	v_add_f32_e32 v115, 1.0, v114
	v_cmp_gt_f32_e64 s30, 0x33800000, |v114|
	s_delay_alu instid0(VALU_DEP_2) | instskip(NEXT) | instid1(VALU_DEP_1)
	v_cvt_f64_f32_e32 v[112:113], v115
	v_frexp_exp_i32_f64_e32 v112, v[112:113]
	v_frexp_mant_f32_e32 v113, v115
	s_delay_alu instid0(VALU_DEP_1) | instskip(SKIP_1) | instid1(VALU_DEP_1)
	v_cmp_gt_f32_e64 s26, 0x3f2aaaab, v113
	v_add_f32_e32 v113, -1.0, v115
	v_sub_f32_e32 v117, v113, v115
	s_delay_alu instid0(VALU_DEP_3) | instskip(SKIP_1) | instid1(VALU_DEP_1)
	v_subrev_co_ci_u32_e64 v112, s26, 0, v112, s26
	s_mov_b32 s26, 0x3e9b6dac
	v_sub_nc_u32_e32 v116, 0, v112
	v_cvt_f32_i32_e32 v112, v112
	s_delay_alu instid0(VALU_DEP_2) | instskip(NEXT) | instid1(VALU_DEP_1)
	v_ldexp_f32 v115, v115, v116
	v_dual_sub_f32 v113, v114, v113 :: v_dual_add_f32 v118, 1.0, v115
	v_add_f32_e32 v117, 1.0, v117
	s_delay_alu instid0(VALU_DEP_1) | instskip(NEXT) | instid1(VALU_DEP_3)
	v_add_f32_e32 v113, v113, v117
	v_add_f32_e32 v117, -1.0, v118
	s_delay_alu instid0(VALU_DEP_2) | instskip(NEXT) | instid1(VALU_DEP_2)
	v_ldexp_f32 v113, v113, v116
	v_dual_add_f32 v116, -1.0, v115 :: v_dual_sub_f32 v117, v115, v117
	s_delay_alu instid0(VALU_DEP_1) | instskip(NEXT) | instid1(VALU_DEP_2)
	v_add_f32_e32 v119, 1.0, v116
	v_add_f32_e32 v117, v113, v117
	s_delay_alu instid0(VALU_DEP_2) | instskip(NEXT) | instid1(VALU_DEP_2)
	v_sub_f32_e32 v115, v115, v119
	v_add_f32_e32 v119, v118, v117
	s_delay_alu instid0(VALU_DEP_2) | instskip(NEXT) | instid1(VALU_DEP_2)
	v_add_f32_e32 v113, v113, v115
	v_rcp_f32_e32 v115, v119
	v_sub_f32_e32 v118, v118, v119
	s_delay_alu instid0(VALU_DEP_1) | instskip(NEXT) | instid1(VALU_DEP_1)
	v_dual_add_f32 v128, v116, v113 :: v_dual_add_f32 v117, v117, v118
	v_sub_f32_e32 v116, v116, v128
	s_waitcnt_depctr 0xfff
	v_mul_f32_e32 v129, v128, v115
	s_delay_alu instid0(VALU_DEP_1) | instskip(NEXT) | instid1(VALU_DEP_1)
	v_dual_add_f32 v113, v113, v116 :: v_dual_mul_f32 v130, v119, v129
	v_fma_f32 v118, v129, v119, -v130
	s_delay_alu instid0(VALU_DEP_1) | instskip(NEXT) | instid1(VALU_DEP_1)
	v_fmac_f32_e32 v118, v129, v117
	v_add_f32_e32 v131, v130, v118
	s_delay_alu instid0(VALU_DEP_1) | instskip(SKIP_1) | instid1(VALU_DEP_2)
	v_sub_f32_e32 v132, v128, v131
	v_sub_f32_e32 v116, v131, v130
	;; [unrolled: 1-line block ×3, first 2 shown]
	s_delay_alu instid0(VALU_DEP_2) | instskip(NEXT) | instid1(VALU_DEP_2)
	v_sub_f32_e32 v116, v116, v118
	v_sub_f32_e32 v128, v128, v131
	s_delay_alu instid0(VALU_DEP_1) | instskip(NEXT) | instid1(VALU_DEP_1)
	v_add_f32_e32 v113, v113, v128
	v_add_f32_e32 v113, v116, v113
	s_delay_alu instid0(VALU_DEP_1) | instskip(NEXT) | instid1(VALU_DEP_1)
	v_add_f32_e32 v116, v132, v113
	v_mul_f32_e32 v118, v115, v116
	s_delay_alu instid0(VALU_DEP_1) | instskip(NEXT) | instid1(VALU_DEP_1)
	v_dual_sub_f32 v131, v132, v116 :: v_dual_mul_f32 v128, v119, v118
	v_add_f32_e32 v113, v113, v131
	s_delay_alu instid0(VALU_DEP_2) | instskip(NEXT) | instid1(VALU_DEP_1)
	v_fma_f32 v119, v118, v119, -v128
	v_fmac_f32_e32 v119, v118, v117
	s_delay_alu instid0(VALU_DEP_1) | instskip(NEXT) | instid1(VALU_DEP_1)
	v_add_f32_e32 v117, v128, v119
	v_sub_f32_e32 v130, v116, v117
	v_sub_f32_e32 v128, v117, v128
	s_delay_alu instid0(VALU_DEP_2) | instskip(NEXT) | instid1(VALU_DEP_1)
	v_sub_f32_e32 v116, v116, v130
	v_sub_f32_e32 v116, v116, v117
	s_delay_alu instid0(VALU_DEP_3) | instskip(NEXT) | instid1(VALU_DEP_2)
	v_sub_f32_e32 v117, v128, v119
	v_add_f32_e32 v113, v113, v116
	v_add_f32_e32 v116, v129, v118
	s_delay_alu instid0(VALU_DEP_2) | instskip(NEXT) | instid1(VALU_DEP_2)
	v_add_f32_e32 v113, v117, v113
	v_sub_f32_e32 v117, v116, v129
	s_delay_alu instid0(VALU_DEP_2) | instskip(NEXT) | instid1(VALU_DEP_2)
	v_add_f32_e32 v113, v130, v113
	v_sub_f32_e32 v117, v118, v117
	s_delay_alu instid0(VALU_DEP_2) | instskip(NEXT) | instid1(VALU_DEP_1)
	v_mul_f32_e32 v113, v115, v113
	v_add_f32_e32 v113, v117, v113
	s_delay_alu instid0(VALU_DEP_1) | instskip(NEXT) | instid1(VALU_DEP_1)
	v_add_f32_e32 v115, v116, v113
	v_mul_f32_e32 v117, v115, v115
	s_delay_alu instid0(VALU_DEP_1) | instskip(SKIP_2) | instid1(VALU_DEP_3)
	v_fmaak_f32 v118, s26, v117, 0x3ecc95a3
	v_mul_f32_e32 v119, v115, v117
	v_cmp_eq_f32_e64 s26, 0x7f800000, v114
	v_fmaak_f32 v117, v117, v118, 0x3f2aaada
	v_ldexp_f32 v118, v115, 1
	v_sub_f32_e32 v115, v115, v116
	s_delay_alu instid0(VALU_DEP_4) | instskip(NEXT) | instid1(VALU_DEP_3)
	s_or_b32 s26, s26, s30
	v_mul_f32_e32 v117, v119, v117
	v_mul_f32_e32 v119, 0x3f317218, v112
	s_delay_alu instid0(VALU_DEP_2) | instskip(NEXT) | instid1(VALU_DEP_1)
	v_dual_sub_f32 v113, v113, v115 :: v_dual_add_f32 v116, v118, v117
	v_ldexp_f32 v113, v113, 1
	s_delay_alu instid0(VALU_DEP_2) | instskip(NEXT) | instid1(VALU_DEP_4)
	v_sub_f32_e32 v115, v116, v118
	v_fma_f32 v118, 0x3f317218, v112, -v119
	s_delay_alu instid0(VALU_DEP_1) | instskip(NEXT) | instid1(VALU_DEP_1)
	v_dual_sub_f32 v115, v117, v115 :: v_dual_fmamk_f32 v112, v112, 0xb102e308, v118
	v_add_f32_e32 v113, v113, v115
	s_delay_alu instid0(VALU_DEP_2) | instskip(NEXT) | instid1(VALU_DEP_2)
	v_add_f32_e32 v115, v119, v112
	v_add_f32_e32 v117, v116, v113
	s_delay_alu instid0(VALU_DEP_2) | instskip(NEXT) | instid1(VALU_DEP_2)
	v_sub_f32_e32 v119, v115, v119
	v_add_f32_e32 v118, v115, v117
	v_sub_f32_e32 v116, v117, v116
	s_delay_alu instid0(VALU_DEP_3) | instskip(NEXT) | instid1(VALU_DEP_2)
	v_sub_f32_e32 v112, v112, v119
	v_dual_sub_f32 v128, v118, v115 :: v_dual_sub_f32 v113, v113, v116
	s_delay_alu instid0(VALU_DEP_1) | instskip(NEXT) | instid1(VALU_DEP_2)
	v_sub_f32_e32 v129, v118, v128
	v_dual_sub_f32 v116, v117, v128 :: v_dual_add_f32 v117, v112, v113
	s_delay_alu instid0(VALU_DEP_2) | instskip(NEXT) | instid1(VALU_DEP_1)
	v_sub_f32_e32 v115, v115, v129
	v_dual_add_f32 v115, v116, v115 :: v_dual_sub_f32 v116, v117, v112
	s_delay_alu instid0(VALU_DEP_1) | instskip(NEXT) | instid1(VALU_DEP_2)
	v_add_f32_e32 v115, v117, v115
	v_sub_f32_e32 v117, v117, v116
	v_sub_f32_e32 v113, v113, v116
	s_delay_alu instid0(VALU_DEP_2) | instskip(NEXT) | instid1(VALU_DEP_1)
	v_dual_add_f32 v119, v118, v115 :: v_dual_sub_f32 v112, v112, v117
	v_sub_f32_e32 v116, v119, v118
	s_delay_alu instid0(VALU_DEP_2) | instskip(NEXT) | instid1(VALU_DEP_2)
	v_add_f32_e32 v112, v113, v112
	v_sub_f32_e32 v113, v115, v116
	s_delay_alu instid0(VALU_DEP_1) | instskip(NEXT) | instid1(VALU_DEP_1)
	v_add_f32_e32 v112, v112, v113
	v_add_f32_e32 v112, v119, v112
	s_delay_alu instid0(VALU_DEP_1) | instskip(NEXT) | instid1(VALU_DEP_1)
	v_cndmask_b32_e64 v112, v112, v114, s26
	v_add_f32_e32 v103, v103, v112
	s_delay_alu instid0(VALU_DEP_1)
	v_cvt_f16_f32_e32 v113, v103
.LBB390_107:
	s_or_b32 exec_lo, exec_lo, vcc_hi
	s_delay_alu instid0(VALU_DEP_1)
	v_dual_mov_b32 v103, v113 :: v_dual_and_b32 v112, 0xffff, v113
.LBB390_108:
	s_or_b32 exec_lo, exec_lo, s29
	s_delay_alu instid0(VALU_DEP_1)
	v_mov_b32_dpp v113, v112 row_shr:8 row_mask:0xf bank_mask:0xf
	s_mov_b32 s29, exec_lo
	v_cmpx_lt_u32_e32 7, v31
	s_cbranch_execz .LBB390_112
; %bb.109:
	s_delay_alu instid0(VALU_DEP_2) | instskip(SKIP_2) | instid1(VALU_DEP_2)
	v_cvt_f32_f16_e32 v31, v113
	v_cvt_f32_f16_e32 v112, v103
	v_cmp_u_f16_e64 s26, v113, v113
	v_min_f32_e32 v114, v31, v112
	v_max_f32_e32 v115, v31, v112
	s_delay_alu instid0(VALU_DEP_2) | instskip(NEXT) | instid1(VALU_DEP_2)
	v_cndmask_b32_e64 v114, v114, v31, s26
	v_cndmask_b32_e64 v31, v115, v31, s26
	v_cmp_u_f16_e64 s26, v103, v103
	s_delay_alu instid0(VALU_DEP_1) | instskip(NEXT) | instid1(VALU_DEP_3)
	v_cndmask_b32_e64 v103, v114, v112, s26
	v_cndmask_b32_e64 v31, v31, v112, s26
	s_delay_alu instid0(VALU_DEP_2) | instskip(NEXT) | instid1(VALU_DEP_2)
	v_cmp_class_f32_e64 vcc_hi, v103, 0x1f8
	v_cmp_neq_f32_e64 s26, v103, v31
	s_delay_alu instid0(VALU_DEP_1) | instskip(NEXT) | instid1(SALU_CYCLE_1)
	s_or_b32 s26, s26, vcc_hi
	s_and_saveexec_b32 vcc_hi, s26
	s_cbranch_execz .LBB390_111
; %bb.110:
	v_sub_f32_e32 v103, v103, v31
	s_delay_alu instid0(VALU_DEP_1) | instskip(NEXT) | instid1(VALU_DEP_1)
	v_mul_f32_e32 v112, 0x3fb8aa3b, v103
	v_fma_f32 v113, 0x3fb8aa3b, v103, -v112
	v_rndne_f32_e32 v114, v112
	s_delay_alu instid0(VALU_DEP_1) | instskip(SKIP_1) | instid1(VALU_DEP_2)
	v_dual_sub_f32 v112, v112, v114 :: v_dual_fmamk_f32 v113, v103, 0x32a5705f, v113
	v_cmp_ngt_f32_e64 s26, 0xc2ce8ed0, v103
	v_add_f32_e32 v112, v112, v113
	v_cvt_i32_f32_e32 v113, v114
	s_delay_alu instid0(VALU_DEP_2) | instskip(SKIP_2) | instid1(VALU_DEP_1)
	v_exp_f32_e32 v112, v112
	s_waitcnt_depctr 0xfff
	v_ldexp_f32 v112, v112, v113
	v_cndmask_b32_e64 v112, 0, v112, s26
	v_cmp_nlt_f32_e64 s26, 0x42b17218, v103
	s_delay_alu instid0(VALU_DEP_1) | instskip(NEXT) | instid1(VALU_DEP_1)
	v_cndmask_b32_e64 v103, 0x7f800000, v112, s26
	v_add_f32_e32 v114, 1.0, v103
	v_cmp_gt_f32_e64 s30, 0x33800000, |v103|
	s_delay_alu instid0(VALU_DEP_2) | instskip(NEXT) | instid1(VALU_DEP_1)
	v_cvt_f64_f32_e32 v[112:113], v114
	v_frexp_exp_i32_f64_e32 v112, v[112:113]
	v_frexp_mant_f32_e32 v113, v114
	s_delay_alu instid0(VALU_DEP_1) | instskip(SKIP_1) | instid1(VALU_DEP_1)
	v_cmp_gt_f32_e64 s26, 0x3f2aaaab, v113
	v_add_f32_e32 v113, -1.0, v114
	v_dual_sub_f32 v116, v113, v114 :: v_dual_sub_f32 v113, v103, v113
	s_delay_alu instid0(VALU_DEP_3) | instskip(SKIP_1) | instid1(VALU_DEP_1)
	v_subrev_co_ci_u32_e64 v112, s26, 0, v112, s26
	s_mov_b32 s26, 0x3e9b6dac
	v_sub_nc_u32_e32 v115, 0, v112
	v_cvt_f32_i32_e32 v112, v112
	s_delay_alu instid0(VALU_DEP_2) | instskip(NEXT) | instid1(VALU_DEP_1)
	v_ldexp_f32 v114, v114, v115
	v_dual_add_f32 v116, 1.0, v116 :: v_dual_add_f32 v117, 1.0, v114
	s_delay_alu instid0(VALU_DEP_1) | instskip(NEXT) | instid1(VALU_DEP_1)
	v_dual_add_f32 v113, v113, v116 :: v_dual_add_f32 v116, -1.0, v117
	v_ldexp_f32 v113, v113, v115
	s_delay_alu instid0(VALU_DEP_2) | instskip(NEXT) | instid1(VALU_DEP_1)
	v_dual_add_f32 v115, -1.0, v114 :: v_dual_sub_f32 v116, v114, v116
	v_add_f32_e32 v118, 1.0, v115
	s_delay_alu instid0(VALU_DEP_2) | instskip(NEXT) | instid1(VALU_DEP_2)
	v_add_f32_e32 v116, v113, v116
	v_sub_f32_e32 v114, v114, v118
	s_delay_alu instid0(VALU_DEP_1) | instskip(NEXT) | instid1(VALU_DEP_1)
	v_add_f32_e32 v113, v113, v114
	v_dual_add_f32 v119, v115, v113 :: v_dual_add_f32 v118, v117, v116
	s_delay_alu instid0(VALU_DEP_1) | instskip(NEXT) | instid1(VALU_DEP_2)
	v_sub_f32_e32 v115, v115, v119
	v_rcp_f32_e32 v114, v118
	v_sub_f32_e32 v117, v117, v118
	s_delay_alu instid0(VALU_DEP_1) | instskip(SKIP_2) | instid1(VALU_DEP_1)
	v_dual_add_f32 v113, v113, v115 :: v_dual_add_f32 v116, v116, v117
	s_waitcnt_depctr 0xfff
	v_mul_f32_e32 v128, v119, v114
	v_mul_f32_e32 v129, v118, v128
	s_delay_alu instid0(VALU_DEP_1) | instskip(NEXT) | instid1(VALU_DEP_1)
	v_fma_f32 v117, v128, v118, -v129
	v_fmac_f32_e32 v117, v128, v116
	s_delay_alu instid0(VALU_DEP_1) | instskip(NEXT) | instid1(VALU_DEP_1)
	v_add_f32_e32 v130, v129, v117
	v_sub_f32_e32 v131, v119, v130
	s_delay_alu instid0(VALU_DEP_1) | instskip(SKIP_1) | instid1(VALU_DEP_2)
	v_sub_f32_e32 v119, v119, v131
	v_sub_f32_e32 v115, v130, v129
	;; [unrolled: 1-line block ×3, first 2 shown]
	s_delay_alu instid0(VALU_DEP_2) | instskip(NEXT) | instid1(VALU_DEP_2)
	v_sub_f32_e32 v115, v115, v117
	v_add_f32_e32 v113, v113, v119
	s_delay_alu instid0(VALU_DEP_1) | instskip(NEXT) | instid1(VALU_DEP_1)
	v_add_f32_e32 v113, v115, v113
	v_add_f32_e32 v115, v131, v113
	s_delay_alu instid0(VALU_DEP_1) | instskip(NEXT) | instid1(VALU_DEP_1)
	v_mul_f32_e32 v117, v114, v115
	v_dual_sub_f32 v130, v131, v115 :: v_dual_mul_f32 v119, v118, v117
	s_delay_alu instid0(VALU_DEP_1) | instskip(NEXT) | instid1(VALU_DEP_2)
	v_add_f32_e32 v113, v113, v130
	v_fma_f32 v118, v117, v118, -v119
	s_delay_alu instid0(VALU_DEP_1) | instskip(NEXT) | instid1(VALU_DEP_1)
	v_fmac_f32_e32 v118, v117, v116
	v_add_f32_e32 v116, v119, v118
	s_delay_alu instid0(VALU_DEP_1) | instskip(SKIP_1) | instid1(VALU_DEP_2)
	v_sub_f32_e32 v129, v115, v116
	v_sub_f32_e32 v119, v116, v119
	;; [unrolled: 1-line block ×3, first 2 shown]
	s_delay_alu instid0(VALU_DEP_1) | instskip(NEXT) | instid1(VALU_DEP_1)
	v_sub_f32_e32 v115, v115, v116
	v_dual_sub_f32 v116, v119, v118 :: v_dual_add_f32 v113, v113, v115
	v_add_f32_e32 v115, v128, v117
	s_delay_alu instid0(VALU_DEP_1) | instskip(NEXT) | instid1(VALU_DEP_1)
	v_dual_add_f32 v113, v116, v113 :: v_dual_sub_f32 v116, v115, v128
	v_add_f32_e32 v113, v129, v113
	s_delay_alu instid0(VALU_DEP_1) | instskip(NEXT) | instid1(VALU_DEP_1)
	v_dual_sub_f32 v116, v117, v116 :: v_dual_mul_f32 v113, v114, v113
	v_add_f32_e32 v113, v116, v113
	s_delay_alu instid0(VALU_DEP_1) | instskip(NEXT) | instid1(VALU_DEP_1)
	v_add_f32_e32 v114, v115, v113
	v_mul_f32_e32 v116, v114, v114
	s_delay_alu instid0(VALU_DEP_1) | instskip(SKIP_2) | instid1(VALU_DEP_3)
	v_fmaak_f32 v117, s26, v116, 0x3ecc95a3
	v_mul_f32_e32 v118, v114, v116
	v_cmp_eq_f32_e64 s26, 0x7f800000, v103
	v_fmaak_f32 v116, v116, v117, 0x3f2aaada
	v_ldexp_f32 v117, v114, 1
	v_sub_f32_e32 v114, v114, v115
	s_delay_alu instid0(VALU_DEP_4) | instskip(NEXT) | instid1(VALU_DEP_3)
	s_or_b32 s26, s26, s30
	v_mul_f32_e32 v116, v118, v116
	s_delay_alu instid0(VALU_DEP_2) | instskip(NEXT) | instid1(VALU_DEP_2)
	v_dual_mul_f32 v118, 0x3f317218, v112 :: v_dual_sub_f32 v113, v113, v114
	v_add_f32_e32 v115, v117, v116
	s_delay_alu instid0(VALU_DEP_2) | instskip(NEXT) | instid1(VALU_DEP_2)
	v_ldexp_f32 v113, v113, 1
	v_sub_f32_e32 v114, v115, v117
	s_delay_alu instid0(VALU_DEP_4) | instskip(NEXT) | instid1(VALU_DEP_2)
	v_fma_f32 v117, 0x3f317218, v112, -v118
	v_sub_f32_e32 v114, v116, v114
	s_delay_alu instid0(VALU_DEP_1) | instskip(NEXT) | instid1(VALU_DEP_1)
	v_dual_fmamk_f32 v112, v112, 0xb102e308, v117 :: v_dual_add_f32 v113, v113, v114
	v_add_f32_e32 v114, v118, v112
	s_delay_alu instid0(VALU_DEP_1) | instskip(NEXT) | instid1(VALU_DEP_1)
	v_sub_f32_e32 v118, v114, v118
	v_sub_f32_e32 v112, v112, v118
	s_delay_alu instid0(VALU_DEP_4) | instskip(NEXT) | instid1(VALU_DEP_1)
	v_add_f32_e32 v116, v115, v113
	v_sub_f32_e32 v115, v116, v115
	s_delay_alu instid0(VALU_DEP_1) | instskip(SKIP_1) | instid1(VALU_DEP_1)
	v_sub_f32_e32 v113, v113, v115
	v_add_f32_e32 v117, v114, v116
	v_sub_f32_e32 v119, v117, v114
	s_delay_alu instid0(VALU_DEP_1) | instskip(NEXT) | instid1(VALU_DEP_4)
	v_sub_f32_e32 v115, v116, v119
	v_add_f32_e32 v116, v112, v113
	v_sub_f32_e32 v128, v117, v119
	s_delay_alu instid0(VALU_DEP_1) | instskip(NEXT) | instid1(VALU_DEP_1)
	v_sub_f32_e32 v114, v114, v128
	v_dual_add_f32 v114, v115, v114 :: v_dual_sub_f32 v115, v116, v112
	s_delay_alu instid0(VALU_DEP_1) | instskip(SKIP_1) | instid1(VALU_DEP_2)
	v_dual_add_f32 v114, v116, v114 :: v_dual_sub_f32 v113, v113, v115
	v_sub_f32_e32 v116, v116, v115
	v_add_f32_e32 v118, v117, v114
	s_delay_alu instid0(VALU_DEP_1) | instskip(NEXT) | instid1(VALU_DEP_1)
	v_dual_sub_f32 v112, v112, v116 :: v_dual_sub_f32 v115, v118, v117
	v_dual_add_f32 v112, v113, v112 :: v_dual_sub_f32 v113, v114, v115
	s_delay_alu instid0(VALU_DEP_1) | instskip(NEXT) | instid1(VALU_DEP_1)
	v_add_f32_e32 v112, v112, v113
	v_add_f32_e32 v112, v118, v112
	s_delay_alu instid0(VALU_DEP_1) | instskip(NEXT) | instid1(VALU_DEP_1)
	v_cndmask_b32_e64 v103, v112, v103, s26
	v_add_f32_e32 v31, v31, v103
	s_delay_alu instid0(VALU_DEP_1)
	v_cvt_f16_f32_e32 v113, v31
.LBB390_111:
	s_or_b32 exec_lo, exec_lo, vcc_hi
	s_delay_alu instid0(VALU_DEP_1)
	v_dual_mov_b32 v103, v113 :: v_dual_and_b32 v112, 0xffff, v113
.LBB390_112:
	s_or_b32 exec_lo, exec_lo, s29
	ds_swizzle_b32 v112, v112 offset:swizzle(BROADCAST,32,15)
	v_and_b32_e32 v31, 16, v30
	s_mov_b32 s29, exec_lo
	s_delay_alu instid0(VALU_DEP_1)
	v_cmpx_ne_u32_e32 0, v31
	s_cbranch_execz .LBB390_116
; %bb.113:
	s_waitcnt lgkmcnt(0)
	v_cvt_f32_f16_e32 v31, v112
	v_cvt_f32_f16_e32 v113, v103
	v_cmp_u_f16_e64 s26, v112, v112
	s_delay_alu instid0(VALU_DEP_2) | instskip(SKIP_1) | instid1(VALU_DEP_2)
	v_min_f32_e32 v114, v31, v113
	v_max_f32_e32 v115, v31, v113
	v_cndmask_b32_e64 v114, v114, v31, s26
	s_delay_alu instid0(VALU_DEP_2) | instskip(SKIP_1) | instid1(VALU_DEP_1)
	v_cndmask_b32_e64 v31, v115, v31, s26
	v_cmp_u_f16_e64 s26, v103, v103
	v_cndmask_b32_e64 v103, v114, v113, s26
	s_delay_alu instid0(VALU_DEP_3) | instskip(NEXT) | instid1(VALU_DEP_2)
	v_cndmask_b32_e64 v31, v31, v113, s26
	v_cmp_class_f32_e64 vcc_hi, v103, 0x1f8
	s_delay_alu instid0(VALU_DEP_2) | instskip(NEXT) | instid1(VALU_DEP_1)
	v_cmp_neq_f32_e64 s26, v103, v31
	s_or_b32 s26, s26, vcc_hi
	s_delay_alu instid0(SALU_CYCLE_1)
	s_and_saveexec_b32 vcc_hi, s26
	s_cbranch_execz .LBB390_115
; %bb.114:
	v_sub_f32_e32 v103, v103, v31
	s_delay_alu instid0(VALU_DEP_1) | instskip(NEXT) | instid1(VALU_DEP_1)
	v_mul_f32_e32 v112, 0x3fb8aa3b, v103
	v_fma_f32 v113, 0x3fb8aa3b, v103, -v112
	v_rndne_f32_e32 v114, v112
	s_delay_alu instid0(VALU_DEP_1) | instskip(SKIP_1) | instid1(VALU_DEP_2)
	v_dual_sub_f32 v112, v112, v114 :: v_dual_fmamk_f32 v113, v103, 0x32a5705f, v113
	v_cmp_ngt_f32_e64 s26, 0xc2ce8ed0, v103
	v_add_f32_e32 v112, v112, v113
	v_cvt_i32_f32_e32 v113, v114
	s_delay_alu instid0(VALU_DEP_2) | instskip(SKIP_2) | instid1(VALU_DEP_1)
	v_exp_f32_e32 v112, v112
	s_waitcnt_depctr 0xfff
	v_ldexp_f32 v112, v112, v113
	v_cndmask_b32_e64 v112, 0, v112, s26
	v_cmp_nlt_f32_e64 s26, 0x42b17218, v103
	s_delay_alu instid0(VALU_DEP_1) | instskip(NEXT) | instid1(VALU_DEP_1)
	v_cndmask_b32_e64 v103, 0x7f800000, v112, s26
	v_add_f32_e32 v114, 1.0, v103
	v_cmp_gt_f32_e64 s30, 0x33800000, |v103|
	s_delay_alu instid0(VALU_DEP_2) | instskip(NEXT) | instid1(VALU_DEP_1)
	v_cvt_f64_f32_e32 v[112:113], v114
	v_frexp_exp_i32_f64_e32 v112, v[112:113]
	v_frexp_mant_f32_e32 v113, v114
	s_delay_alu instid0(VALU_DEP_1) | instskip(SKIP_1) | instid1(VALU_DEP_1)
	v_cmp_gt_f32_e64 s26, 0x3f2aaaab, v113
	v_add_f32_e32 v113, -1.0, v114
	v_dual_sub_f32 v116, v113, v114 :: v_dual_sub_f32 v113, v103, v113
	s_delay_alu instid0(VALU_DEP_3) | instskip(SKIP_1) | instid1(VALU_DEP_1)
	v_subrev_co_ci_u32_e64 v112, s26, 0, v112, s26
	s_mov_b32 s26, 0x3e9b6dac
	v_sub_nc_u32_e32 v115, 0, v112
	v_cvt_f32_i32_e32 v112, v112
	s_delay_alu instid0(VALU_DEP_2) | instskip(NEXT) | instid1(VALU_DEP_1)
	v_ldexp_f32 v114, v114, v115
	v_dual_add_f32 v116, 1.0, v116 :: v_dual_add_f32 v117, 1.0, v114
	s_delay_alu instid0(VALU_DEP_1) | instskip(NEXT) | instid1(VALU_DEP_1)
	v_dual_add_f32 v113, v113, v116 :: v_dual_add_f32 v116, -1.0, v117
	v_ldexp_f32 v113, v113, v115
	s_delay_alu instid0(VALU_DEP_2) | instskip(NEXT) | instid1(VALU_DEP_1)
	v_dual_add_f32 v115, -1.0, v114 :: v_dual_sub_f32 v116, v114, v116
	v_add_f32_e32 v118, 1.0, v115
	s_delay_alu instid0(VALU_DEP_2) | instskip(NEXT) | instid1(VALU_DEP_2)
	v_add_f32_e32 v116, v113, v116
	v_sub_f32_e32 v114, v114, v118
	s_delay_alu instid0(VALU_DEP_1) | instskip(NEXT) | instid1(VALU_DEP_1)
	v_add_f32_e32 v113, v113, v114
	v_dual_add_f32 v119, v115, v113 :: v_dual_add_f32 v118, v117, v116
	s_delay_alu instid0(VALU_DEP_1) | instskip(NEXT) | instid1(VALU_DEP_2)
	v_sub_f32_e32 v115, v115, v119
	v_rcp_f32_e32 v114, v118
	v_sub_f32_e32 v117, v117, v118
	s_delay_alu instid0(VALU_DEP_1) | instskip(SKIP_2) | instid1(VALU_DEP_1)
	v_dual_add_f32 v113, v113, v115 :: v_dual_add_f32 v116, v116, v117
	s_waitcnt_depctr 0xfff
	v_mul_f32_e32 v128, v119, v114
	v_mul_f32_e32 v129, v118, v128
	s_delay_alu instid0(VALU_DEP_1) | instskip(NEXT) | instid1(VALU_DEP_1)
	v_fma_f32 v117, v128, v118, -v129
	v_fmac_f32_e32 v117, v128, v116
	s_delay_alu instid0(VALU_DEP_1) | instskip(NEXT) | instid1(VALU_DEP_1)
	v_add_f32_e32 v130, v129, v117
	v_sub_f32_e32 v131, v119, v130
	s_delay_alu instid0(VALU_DEP_1) | instskip(SKIP_1) | instid1(VALU_DEP_2)
	v_sub_f32_e32 v119, v119, v131
	v_sub_f32_e32 v115, v130, v129
	;; [unrolled: 1-line block ×3, first 2 shown]
	s_delay_alu instid0(VALU_DEP_2) | instskip(NEXT) | instid1(VALU_DEP_2)
	v_sub_f32_e32 v115, v115, v117
	v_add_f32_e32 v113, v113, v119
	s_delay_alu instid0(VALU_DEP_1) | instskip(NEXT) | instid1(VALU_DEP_1)
	v_add_f32_e32 v113, v115, v113
	v_add_f32_e32 v115, v131, v113
	s_delay_alu instid0(VALU_DEP_1) | instskip(NEXT) | instid1(VALU_DEP_1)
	v_mul_f32_e32 v117, v114, v115
	v_dual_sub_f32 v130, v131, v115 :: v_dual_mul_f32 v119, v118, v117
	s_delay_alu instid0(VALU_DEP_1) | instskip(NEXT) | instid1(VALU_DEP_2)
	v_add_f32_e32 v113, v113, v130
	v_fma_f32 v118, v117, v118, -v119
	s_delay_alu instid0(VALU_DEP_1) | instskip(NEXT) | instid1(VALU_DEP_1)
	v_fmac_f32_e32 v118, v117, v116
	v_add_f32_e32 v116, v119, v118
	s_delay_alu instid0(VALU_DEP_1) | instskip(SKIP_1) | instid1(VALU_DEP_2)
	v_sub_f32_e32 v129, v115, v116
	v_sub_f32_e32 v119, v116, v119
	;; [unrolled: 1-line block ×3, first 2 shown]
	s_delay_alu instid0(VALU_DEP_1) | instskip(NEXT) | instid1(VALU_DEP_1)
	v_sub_f32_e32 v115, v115, v116
	v_dual_sub_f32 v116, v119, v118 :: v_dual_add_f32 v113, v113, v115
	v_add_f32_e32 v115, v128, v117
	s_delay_alu instid0(VALU_DEP_1) | instskip(NEXT) | instid1(VALU_DEP_1)
	v_dual_add_f32 v113, v116, v113 :: v_dual_sub_f32 v116, v115, v128
	v_add_f32_e32 v113, v129, v113
	s_delay_alu instid0(VALU_DEP_1) | instskip(NEXT) | instid1(VALU_DEP_1)
	v_dual_sub_f32 v116, v117, v116 :: v_dual_mul_f32 v113, v114, v113
	v_add_f32_e32 v113, v116, v113
	s_delay_alu instid0(VALU_DEP_1) | instskip(NEXT) | instid1(VALU_DEP_1)
	v_add_f32_e32 v114, v115, v113
	v_mul_f32_e32 v116, v114, v114
	s_delay_alu instid0(VALU_DEP_1) | instskip(SKIP_2) | instid1(VALU_DEP_3)
	v_fmaak_f32 v117, s26, v116, 0x3ecc95a3
	v_mul_f32_e32 v118, v114, v116
	v_cmp_eq_f32_e64 s26, 0x7f800000, v103
	v_fmaak_f32 v116, v116, v117, 0x3f2aaada
	v_ldexp_f32 v117, v114, 1
	v_sub_f32_e32 v114, v114, v115
	s_delay_alu instid0(VALU_DEP_4) | instskip(NEXT) | instid1(VALU_DEP_3)
	s_or_b32 s26, s26, s30
	v_mul_f32_e32 v116, v118, v116
	s_delay_alu instid0(VALU_DEP_2) | instskip(NEXT) | instid1(VALU_DEP_2)
	v_dual_mul_f32 v118, 0x3f317218, v112 :: v_dual_sub_f32 v113, v113, v114
	v_add_f32_e32 v115, v117, v116
	s_delay_alu instid0(VALU_DEP_2) | instskip(NEXT) | instid1(VALU_DEP_2)
	v_ldexp_f32 v113, v113, 1
	v_sub_f32_e32 v114, v115, v117
	s_delay_alu instid0(VALU_DEP_4) | instskip(NEXT) | instid1(VALU_DEP_2)
	v_fma_f32 v117, 0x3f317218, v112, -v118
	v_sub_f32_e32 v114, v116, v114
	s_delay_alu instid0(VALU_DEP_1) | instskip(NEXT) | instid1(VALU_DEP_1)
	v_dual_fmamk_f32 v112, v112, 0xb102e308, v117 :: v_dual_add_f32 v113, v113, v114
	v_add_f32_e32 v114, v118, v112
	s_delay_alu instid0(VALU_DEP_1) | instskip(NEXT) | instid1(VALU_DEP_1)
	v_sub_f32_e32 v118, v114, v118
	v_sub_f32_e32 v112, v112, v118
	s_delay_alu instid0(VALU_DEP_4) | instskip(NEXT) | instid1(VALU_DEP_1)
	v_add_f32_e32 v116, v115, v113
	v_sub_f32_e32 v115, v116, v115
	s_delay_alu instid0(VALU_DEP_1) | instskip(SKIP_1) | instid1(VALU_DEP_1)
	v_sub_f32_e32 v113, v113, v115
	v_add_f32_e32 v117, v114, v116
	v_sub_f32_e32 v119, v117, v114
	s_delay_alu instid0(VALU_DEP_1) | instskip(NEXT) | instid1(VALU_DEP_4)
	v_sub_f32_e32 v115, v116, v119
	v_add_f32_e32 v116, v112, v113
	v_sub_f32_e32 v128, v117, v119
	s_delay_alu instid0(VALU_DEP_1) | instskip(NEXT) | instid1(VALU_DEP_1)
	v_sub_f32_e32 v114, v114, v128
	v_dual_add_f32 v114, v115, v114 :: v_dual_sub_f32 v115, v116, v112
	s_delay_alu instid0(VALU_DEP_1) | instskip(SKIP_1) | instid1(VALU_DEP_2)
	v_dual_add_f32 v114, v116, v114 :: v_dual_sub_f32 v113, v113, v115
	v_sub_f32_e32 v116, v116, v115
	v_add_f32_e32 v118, v117, v114
	s_delay_alu instid0(VALU_DEP_1) | instskip(NEXT) | instid1(VALU_DEP_1)
	v_dual_sub_f32 v112, v112, v116 :: v_dual_sub_f32 v115, v118, v117
	v_dual_add_f32 v112, v113, v112 :: v_dual_sub_f32 v113, v114, v115
	s_delay_alu instid0(VALU_DEP_1) | instskip(NEXT) | instid1(VALU_DEP_1)
	v_add_f32_e32 v112, v112, v113
	v_add_f32_e32 v112, v118, v112
	s_delay_alu instid0(VALU_DEP_1) | instskip(NEXT) | instid1(VALU_DEP_1)
	v_cndmask_b32_e64 v103, v112, v103, s26
	v_add_f32_e32 v31, v31, v103
	s_delay_alu instid0(VALU_DEP_1)
	v_cvt_f16_f32_e32 v112, v31
.LBB390_115:
	s_or_b32 exec_lo, exec_lo, vcc_hi
	s_delay_alu instid0(VALU_DEP_1)
	v_mov_b32_e32 v103, v112
.LBB390_116:
	s_or_b32 exec_lo, exec_lo, s29
	v_add_nc_u32_e32 v31, -1, v30
	s_delay_alu instid0(VALU_DEP_1) | instskip(NEXT) | instid1(VALU_DEP_1)
	v_cmp_gt_i32_e64 s26, 0, v31
	v_cndmask_b32_e64 v30, v31, v30, s26
	v_and_b32_e32 v31, 0xffff, v103
	s_delay_alu instid0(VALU_DEP_2)
	v_lshlrev_b32_e32 v30, 2, v30
	ds_bpermute_b32 v30, v30, v31
	v_max_f32_e32 v31, v29, v29
	s_waitcnt lgkmcnt(0)
	v_cvt_f32_f16_e32 v103, v30
	v_cmp_u_f16_e64 s26, v30, v30
	s_delay_alu instid0(VALU_DEP_2) | instskip(SKIP_1) | instid1(VALU_DEP_2)
	v_min_f32_e32 v112, v103, v31
	v_max_f32_e32 v31, v103, v31
	v_cndmask_b32_e64 v112, v112, v103, s26
	s_delay_alu instid0(VALU_DEP_2) | instskip(NEXT) | instid1(VALU_DEP_2)
	v_cndmask_b32_e64 v103, v31, v103, s26
	v_cndmask_b32_e64 v31, v112, v29, s25
	s_delay_alu instid0(VALU_DEP_2) | instskip(NEXT) | instid1(VALU_DEP_2)
	v_cndmask_b32_e64 v29, v103, v29, s25
	v_cmp_class_f32_e64 s26, v31, 0x1f8
	s_delay_alu instid0(VALU_DEP_2) | instskip(NEXT) | instid1(VALU_DEP_1)
	v_cmp_neq_f32_e64 s25, v31, v29
	s_or_b32 s25, s25, s26
	s_delay_alu instid0(SALU_CYCLE_1)
	s_and_saveexec_b32 s26, s25
	s_cbranch_execz .LBB390_118
; %bb.117:
	v_sub_f32_e32 v30, v31, v29
	s_delay_alu instid0(VALU_DEP_1) | instskip(SKIP_1) | instid1(VALU_DEP_2)
	v_mul_f32_e32 v31, 0x3fb8aa3b, v30
	v_cmp_ngt_f32_e64 s25, 0xc2ce8ed0, v30
	v_fma_f32 v103, 0x3fb8aa3b, v30, -v31
	v_rndne_f32_e32 v112, v31
	s_delay_alu instid0(VALU_DEP_2) | instskip(NEXT) | instid1(VALU_DEP_2)
	v_fmamk_f32 v103, v30, 0x32a5705f, v103
	v_sub_f32_e32 v31, v31, v112
	s_delay_alu instid0(VALU_DEP_1) | instskip(SKIP_1) | instid1(VALU_DEP_2)
	v_add_f32_e32 v31, v31, v103
	v_cvt_i32_f32_e32 v103, v112
	v_exp_f32_e32 v31, v31
	s_waitcnt_depctr 0xfff
	v_ldexp_f32 v31, v31, v103
	s_delay_alu instid0(VALU_DEP_1) | instskip(SKIP_1) | instid1(VALU_DEP_1)
	v_cndmask_b32_e64 v31, 0, v31, s25
	v_cmp_nlt_f32_e64 s25, 0x42b17218, v30
	v_cndmask_b32_e64 v103, 0x7f800000, v31, s25
	s_delay_alu instid0(VALU_DEP_1) | instskip(SKIP_1) | instid1(VALU_DEP_2)
	v_add_f32_e32 v112, 1.0, v103
	v_cmp_gt_f32_e64 s29, 0x33800000, |v103|
	v_cvt_f64_f32_e32 v[30:31], v112
	s_delay_alu instid0(VALU_DEP_1) | instskip(SKIP_1) | instid1(VALU_DEP_1)
	v_frexp_exp_i32_f64_e32 v30, v[30:31]
	v_frexp_mant_f32_e32 v31, v112
	v_cmp_gt_f32_e64 s25, 0x3f2aaaab, v31
	v_add_f32_e32 v31, -1.0, v112
	s_delay_alu instid0(VALU_DEP_1) | instskip(NEXT) | instid1(VALU_DEP_1)
	v_sub_f32_e32 v114, v31, v112
	v_dual_sub_f32 v31, v103, v31 :: v_dual_add_f32 v114, 1.0, v114
	s_delay_alu instid0(VALU_DEP_1) | instskip(SKIP_2) | instid1(VALU_DEP_1)
	v_add_f32_e32 v31, v31, v114
	v_subrev_co_ci_u32_e64 v30, s25, 0, v30, s25
	s_mov_b32 s25, 0x3e9b6dac
	v_sub_nc_u32_e32 v113, 0, v30
	v_cvt_f32_i32_e32 v30, v30
	s_delay_alu instid0(VALU_DEP_2) | instskip(SKIP_1) | instid1(VALU_DEP_2)
	v_ldexp_f32 v112, v112, v113
	v_ldexp_f32 v31, v31, v113
	v_add_f32_e32 v115, 1.0, v112
	s_delay_alu instid0(VALU_DEP_1) | instskip(NEXT) | instid1(VALU_DEP_1)
	v_add_f32_e32 v114, -1.0, v115
	v_sub_f32_e32 v114, v112, v114
	s_delay_alu instid0(VALU_DEP_1) | instskip(NEXT) | instid1(VALU_DEP_1)
	v_dual_add_f32 v114, v31, v114 :: v_dual_add_f32 v113, -1.0, v112
	v_add_f32_e32 v116, 1.0, v113
	s_delay_alu instid0(VALU_DEP_1) | instskip(NEXT) | instid1(VALU_DEP_3)
	v_sub_f32_e32 v112, v112, v116
	v_add_f32_e32 v116, v115, v114
	s_delay_alu instid0(VALU_DEP_1) | instskip(NEXT) | instid1(VALU_DEP_3)
	v_sub_f32_e32 v115, v115, v116
	v_add_f32_e32 v31, v31, v112
	v_rcp_f32_e32 v112, v116
	s_delay_alu instid0(VALU_DEP_2) | instskip(NEXT) | instid1(VALU_DEP_2)
	v_add_f32_e32 v114, v114, v115
	v_add_f32_e32 v117, v113, v31
	s_delay_alu instid0(VALU_DEP_1) | instskip(SKIP_2) | instid1(VALU_DEP_1)
	v_sub_f32_e32 v113, v113, v117
	s_waitcnt_depctr 0xfff
	v_dual_mul_f32 v118, v117, v112 :: v_dual_add_f32 v31, v31, v113
	v_mul_f32_e32 v119, v116, v118
	s_delay_alu instid0(VALU_DEP_1) | instskip(NEXT) | instid1(VALU_DEP_1)
	v_fma_f32 v115, v118, v116, -v119
	v_fmac_f32_e32 v115, v118, v114
	s_delay_alu instid0(VALU_DEP_1) | instskip(NEXT) | instid1(VALU_DEP_1)
	v_add_f32_e32 v128, v119, v115
	v_sub_f32_e32 v129, v117, v128
	s_delay_alu instid0(VALU_DEP_1) | instskip(SKIP_1) | instid1(VALU_DEP_2)
	v_sub_f32_e32 v117, v117, v129
	v_sub_f32_e32 v113, v128, v119
	v_sub_f32_e32 v117, v117, v128
	s_delay_alu instid0(VALU_DEP_2) | instskip(NEXT) | instid1(VALU_DEP_2)
	v_sub_f32_e32 v113, v113, v115
	v_add_f32_e32 v31, v31, v117
	s_delay_alu instid0(VALU_DEP_1) | instskip(NEXT) | instid1(VALU_DEP_1)
	v_add_f32_e32 v31, v113, v31
	v_add_f32_e32 v113, v129, v31
	s_delay_alu instid0(VALU_DEP_1) | instskip(NEXT) | instid1(VALU_DEP_1)
	v_mul_f32_e32 v115, v112, v113
	v_mul_f32_e32 v117, v116, v115
	s_delay_alu instid0(VALU_DEP_1) | instskip(NEXT) | instid1(VALU_DEP_1)
	v_fma_f32 v116, v115, v116, -v117
	v_fmac_f32_e32 v116, v115, v114
	v_sub_f32_e32 v128, v129, v113
	s_delay_alu instid0(VALU_DEP_2) | instskip(NEXT) | instid1(VALU_DEP_2)
	v_add_f32_e32 v114, v117, v116
	v_add_f32_e32 v31, v31, v128
	s_delay_alu instid0(VALU_DEP_2) | instskip(SKIP_1) | instid1(VALU_DEP_2)
	v_sub_f32_e32 v119, v113, v114
	v_sub_f32_e32 v117, v114, v117
	;; [unrolled: 1-line block ×3, first 2 shown]
	s_delay_alu instid0(VALU_DEP_1) | instskip(NEXT) | instid1(VALU_DEP_1)
	v_sub_f32_e32 v113, v113, v114
	v_dual_sub_f32 v114, v117, v116 :: v_dual_add_f32 v31, v31, v113
	v_add_f32_e32 v113, v118, v115
	s_delay_alu instid0(VALU_DEP_1) | instskip(NEXT) | instid1(VALU_DEP_1)
	v_dual_add_f32 v31, v114, v31 :: v_dual_sub_f32 v114, v113, v118
	v_add_f32_e32 v31, v119, v31
	s_delay_alu instid0(VALU_DEP_1) | instskip(NEXT) | instid1(VALU_DEP_1)
	v_dual_sub_f32 v114, v115, v114 :: v_dual_mul_f32 v31, v112, v31
	v_add_f32_e32 v31, v114, v31
	s_delay_alu instid0(VALU_DEP_1) | instskip(NEXT) | instid1(VALU_DEP_1)
	v_add_f32_e32 v112, v113, v31
	v_mul_f32_e32 v114, v112, v112
	s_delay_alu instid0(VALU_DEP_1) | instskip(SKIP_2) | instid1(VALU_DEP_3)
	v_fmaak_f32 v115, s25, v114, 0x3ecc95a3
	v_mul_f32_e32 v116, v112, v114
	v_cmp_eq_f32_e64 s25, 0x7f800000, v103
	v_fmaak_f32 v114, v114, v115, 0x3f2aaada
	v_ldexp_f32 v115, v112, 1
	v_sub_f32_e32 v112, v112, v113
	s_delay_alu instid0(VALU_DEP_4) | instskip(NEXT) | instid1(VALU_DEP_3)
	s_or_b32 s25, s25, s29
	v_mul_f32_e32 v114, v116, v114
	s_delay_alu instid0(VALU_DEP_2) | instskip(NEXT) | instid1(VALU_DEP_2)
	v_dual_mul_f32 v116, 0x3f317218, v30 :: v_dual_sub_f32 v31, v31, v112
	v_add_f32_e32 v113, v115, v114
	s_delay_alu instid0(VALU_DEP_2) | instskip(NEXT) | instid1(VALU_DEP_2)
	v_ldexp_f32 v31, v31, 1
	v_sub_f32_e32 v112, v113, v115
	s_delay_alu instid0(VALU_DEP_4) | instskip(NEXT) | instid1(VALU_DEP_2)
	v_fma_f32 v115, 0x3f317218, v30, -v116
	v_sub_f32_e32 v112, v114, v112
	s_delay_alu instid0(VALU_DEP_1) | instskip(NEXT) | instid1(VALU_DEP_1)
	v_dual_fmamk_f32 v30, v30, 0xb102e308, v115 :: v_dual_add_f32 v31, v31, v112
	v_add_f32_e32 v112, v116, v30
	s_delay_alu instid0(VALU_DEP_2) | instskip(NEXT) | instid1(VALU_DEP_2)
	v_add_f32_e32 v114, v113, v31
	v_sub_f32_e32 v116, v112, v116
	s_delay_alu instid0(VALU_DEP_2) | instskip(SKIP_1) | instid1(VALU_DEP_3)
	v_add_f32_e32 v115, v112, v114
	v_sub_f32_e32 v113, v114, v113
	v_sub_f32_e32 v30, v30, v116
	s_delay_alu instid0(VALU_DEP_3) | instskip(NEXT) | instid1(VALU_DEP_3)
	v_sub_f32_e32 v117, v115, v112
	v_sub_f32_e32 v31, v31, v113
	s_delay_alu instid0(VALU_DEP_2) | instskip(SKIP_1) | instid1(VALU_DEP_3)
	v_sub_f32_e32 v118, v115, v117
	v_sub_f32_e32 v113, v114, v117
	v_add_f32_e32 v114, v30, v31
	s_delay_alu instid0(VALU_DEP_3) | instskip(NEXT) | instid1(VALU_DEP_1)
	v_sub_f32_e32 v112, v112, v118
	v_dual_add_f32 v112, v113, v112 :: v_dual_sub_f32 v113, v114, v30
	s_delay_alu instid0(VALU_DEP_1) | instskip(NEXT) | instid1(VALU_DEP_2)
	v_add_f32_e32 v112, v114, v112
	v_sub_f32_e32 v114, v114, v113
	v_sub_f32_e32 v31, v31, v113
	s_delay_alu instid0(VALU_DEP_3) | instskip(NEXT) | instid1(VALU_DEP_1)
	v_add_f32_e32 v116, v115, v112
	v_dual_sub_f32 v30, v30, v114 :: v_dual_sub_f32 v113, v116, v115
	s_delay_alu instid0(VALU_DEP_1) | instskip(NEXT) | instid1(VALU_DEP_1)
	v_dual_add_f32 v30, v31, v30 :: v_dual_sub_f32 v31, v112, v113
	v_add_f32_e32 v30, v30, v31
	s_delay_alu instid0(VALU_DEP_1) | instskip(NEXT) | instid1(VALU_DEP_1)
	v_add_f32_e32 v30, v116, v30
	v_cndmask_b32_e64 v30, v30, v103, s25
	s_delay_alu instid0(VALU_DEP_1) | instskip(NEXT) | instid1(VALU_DEP_1)
	v_add_f32_e32 v29, v29, v30
	v_cvt_f16_f32_e32 v30, v29
.LBB390_118:
	s_or_b32 exec_lo, exec_lo, s26
	s_delay_alu instid0(VALU_DEP_1)
	v_cndmask_b32_e64 v30, v30, v102, s2
	; wave barrier
	ds_store_b16 v28, v30
	; wave barrier
	ds_load_u16 v29, v28 offset:2
	v_cvt_f32_f16_e32 v31, v30
	v_cmp_u_f16_e64 s25, v30, v30
	s_waitcnt lgkmcnt(0)
	v_cvt_f32_f16_e32 v103, v29
	s_delay_alu instid0(VALU_DEP_1) | instskip(SKIP_1) | instid1(VALU_DEP_2)
	v_min_f32_e32 v112, v31, v103
	v_max_f32_e32 v113, v31, v103
	v_cndmask_b32_e64 v112, v112, v31, s25
	s_delay_alu instid0(VALU_DEP_2) | instskip(SKIP_1) | instid1(VALU_DEP_1)
	v_cndmask_b32_e64 v113, v113, v31, s25
	v_cmp_u_f16_e64 s25, v29, v29
	v_cndmask_b32_e64 v31, v112, v103, s25
	s_delay_alu instid0(VALU_DEP_3) | instskip(NEXT) | instid1(VALU_DEP_2)
	v_cndmask_b32_e64 v29, v113, v103, s25
	v_cmp_class_f32_e64 s26, v31, 0x1f8
	s_delay_alu instid0(VALU_DEP_2) | instskip(NEXT) | instid1(VALU_DEP_1)
	v_cmp_neq_f32_e64 s25, v31, v29
	s_or_b32 s25, s25, s26
	s_delay_alu instid0(SALU_CYCLE_1)
	s_and_saveexec_b32 s26, s25
	s_cbranch_execz .LBB390_120
; %bb.119:
	v_sub_f32_e32 v30, v31, v29
	s_delay_alu instid0(VALU_DEP_1) | instskip(SKIP_1) | instid1(VALU_DEP_2)
	v_mul_f32_e32 v31, 0x3fb8aa3b, v30
	v_cmp_ngt_f32_e64 s25, 0xc2ce8ed0, v30
	v_fma_f32 v103, 0x3fb8aa3b, v30, -v31
	v_rndne_f32_e32 v112, v31
	s_delay_alu instid0(VALU_DEP_2) | instskip(NEXT) | instid1(VALU_DEP_2)
	v_fmamk_f32 v103, v30, 0x32a5705f, v103
	v_sub_f32_e32 v31, v31, v112
	s_delay_alu instid0(VALU_DEP_1) | instskip(SKIP_1) | instid1(VALU_DEP_2)
	v_add_f32_e32 v31, v31, v103
	v_cvt_i32_f32_e32 v103, v112
	v_exp_f32_e32 v31, v31
	s_waitcnt_depctr 0xfff
	v_ldexp_f32 v31, v31, v103
	s_delay_alu instid0(VALU_DEP_1) | instskip(SKIP_1) | instid1(VALU_DEP_1)
	v_cndmask_b32_e64 v31, 0, v31, s25
	v_cmp_nlt_f32_e64 s25, 0x42b17218, v30
	v_cndmask_b32_e64 v103, 0x7f800000, v31, s25
	s_delay_alu instid0(VALU_DEP_1) | instskip(SKIP_1) | instid1(VALU_DEP_2)
	v_add_f32_e32 v112, 1.0, v103
	v_cmp_gt_f32_e64 s29, 0x33800000, |v103|
	v_cvt_f64_f32_e32 v[30:31], v112
	s_delay_alu instid0(VALU_DEP_1) | instskip(SKIP_1) | instid1(VALU_DEP_1)
	v_frexp_exp_i32_f64_e32 v30, v[30:31]
	v_frexp_mant_f32_e32 v31, v112
	v_cmp_gt_f32_e64 s25, 0x3f2aaaab, v31
	v_add_f32_e32 v31, -1.0, v112
	s_delay_alu instid0(VALU_DEP_1) | instskip(NEXT) | instid1(VALU_DEP_1)
	v_sub_f32_e32 v114, v31, v112
	v_dual_sub_f32 v31, v103, v31 :: v_dual_add_f32 v114, 1.0, v114
	s_delay_alu instid0(VALU_DEP_1) | instskip(SKIP_2) | instid1(VALU_DEP_1)
	v_add_f32_e32 v31, v31, v114
	v_subrev_co_ci_u32_e64 v30, s25, 0, v30, s25
	s_mov_b32 s25, 0x3e9b6dac
	v_sub_nc_u32_e32 v113, 0, v30
	v_cvt_f32_i32_e32 v30, v30
	s_delay_alu instid0(VALU_DEP_2) | instskip(SKIP_1) | instid1(VALU_DEP_2)
	v_ldexp_f32 v112, v112, v113
	v_ldexp_f32 v31, v31, v113
	v_add_f32_e32 v115, 1.0, v112
	s_delay_alu instid0(VALU_DEP_1) | instskip(NEXT) | instid1(VALU_DEP_1)
	v_add_f32_e32 v114, -1.0, v115
	v_sub_f32_e32 v114, v112, v114
	s_delay_alu instid0(VALU_DEP_1) | instskip(NEXT) | instid1(VALU_DEP_1)
	v_dual_add_f32 v114, v31, v114 :: v_dual_add_f32 v113, -1.0, v112
	v_add_f32_e32 v116, 1.0, v113
	s_delay_alu instid0(VALU_DEP_1) | instskip(NEXT) | instid1(VALU_DEP_3)
	v_sub_f32_e32 v112, v112, v116
	v_add_f32_e32 v116, v115, v114
	s_delay_alu instid0(VALU_DEP_1) | instskip(NEXT) | instid1(VALU_DEP_3)
	v_sub_f32_e32 v115, v115, v116
	v_add_f32_e32 v31, v31, v112
	v_rcp_f32_e32 v112, v116
	s_delay_alu instid0(VALU_DEP_2) | instskip(NEXT) | instid1(VALU_DEP_2)
	v_add_f32_e32 v114, v114, v115
	v_add_f32_e32 v117, v113, v31
	s_delay_alu instid0(VALU_DEP_1) | instskip(SKIP_2) | instid1(VALU_DEP_1)
	v_sub_f32_e32 v113, v113, v117
	s_waitcnt_depctr 0xfff
	v_dual_mul_f32 v118, v117, v112 :: v_dual_add_f32 v31, v31, v113
	v_mul_f32_e32 v119, v116, v118
	s_delay_alu instid0(VALU_DEP_1) | instskip(NEXT) | instid1(VALU_DEP_1)
	v_fma_f32 v115, v118, v116, -v119
	v_fmac_f32_e32 v115, v118, v114
	s_delay_alu instid0(VALU_DEP_1) | instskip(NEXT) | instid1(VALU_DEP_1)
	v_add_f32_e32 v128, v119, v115
	v_sub_f32_e32 v129, v117, v128
	s_delay_alu instid0(VALU_DEP_1) | instskip(SKIP_1) | instid1(VALU_DEP_2)
	v_sub_f32_e32 v117, v117, v129
	v_sub_f32_e32 v113, v128, v119
	;; [unrolled: 1-line block ×3, first 2 shown]
	s_delay_alu instid0(VALU_DEP_2) | instskip(NEXT) | instid1(VALU_DEP_2)
	v_sub_f32_e32 v113, v113, v115
	v_add_f32_e32 v31, v31, v117
	s_delay_alu instid0(VALU_DEP_1) | instskip(NEXT) | instid1(VALU_DEP_1)
	v_add_f32_e32 v31, v113, v31
	v_add_f32_e32 v113, v129, v31
	s_delay_alu instid0(VALU_DEP_1) | instskip(NEXT) | instid1(VALU_DEP_1)
	v_mul_f32_e32 v115, v112, v113
	v_mul_f32_e32 v117, v116, v115
	s_delay_alu instid0(VALU_DEP_1) | instskip(NEXT) | instid1(VALU_DEP_1)
	v_fma_f32 v116, v115, v116, -v117
	v_fmac_f32_e32 v116, v115, v114
	v_sub_f32_e32 v128, v129, v113
	s_delay_alu instid0(VALU_DEP_2) | instskip(NEXT) | instid1(VALU_DEP_2)
	v_add_f32_e32 v114, v117, v116
	v_add_f32_e32 v31, v31, v128
	s_delay_alu instid0(VALU_DEP_2) | instskip(SKIP_1) | instid1(VALU_DEP_2)
	v_sub_f32_e32 v119, v113, v114
	v_sub_f32_e32 v117, v114, v117
	;; [unrolled: 1-line block ×3, first 2 shown]
	s_delay_alu instid0(VALU_DEP_1) | instskip(NEXT) | instid1(VALU_DEP_1)
	v_sub_f32_e32 v113, v113, v114
	v_dual_sub_f32 v114, v117, v116 :: v_dual_add_f32 v31, v31, v113
	v_add_f32_e32 v113, v118, v115
	s_delay_alu instid0(VALU_DEP_1) | instskip(NEXT) | instid1(VALU_DEP_1)
	v_dual_add_f32 v31, v114, v31 :: v_dual_sub_f32 v114, v113, v118
	v_add_f32_e32 v31, v119, v31
	s_delay_alu instid0(VALU_DEP_1) | instskip(NEXT) | instid1(VALU_DEP_1)
	v_dual_sub_f32 v114, v115, v114 :: v_dual_mul_f32 v31, v112, v31
	v_add_f32_e32 v31, v114, v31
	s_delay_alu instid0(VALU_DEP_1) | instskip(NEXT) | instid1(VALU_DEP_1)
	v_add_f32_e32 v112, v113, v31
	v_mul_f32_e32 v114, v112, v112
	s_delay_alu instid0(VALU_DEP_1) | instskip(SKIP_2) | instid1(VALU_DEP_3)
	v_fmaak_f32 v115, s25, v114, 0x3ecc95a3
	v_mul_f32_e32 v116, v112, v114
	v_cmp_eq_f32_e64 s25, 0x7f800000, v103
	v_fmaak_f32 v114, v114, v115, 0x3f2aaada
	v_ldexp_f32 v115, v112, 1
	v_sub_f32_e32 v112, v112, v113
	s_delay_alu instid0(VALU_DEP_4) | instskip(NEXT) | instid1(VALU_DEP_3)
	s_or_b32 s25, s25, s29
	v_mul_f32_e32 v114, v116, v114
	s_delay_alu instid0(VALU_DEP_2) | instskip(NEXT) | instid1(VALU_DEP_2)
	v_dual_mul_f32 v116, 0x3f317218, v30 :: v_dual_sub_f32 v31, v31, v112
	v_add_f32_e32 v113, v115, v114
	s_delay_alu instid0(VALU_DEP_2) | instskip(NEXT) | instid1(VALU_DEP_2)
	v_ldexp_f32 v31, v31, 1
	v_sub_f32_e32 v112, v113, v115
	s_delay_alu instid0(VALU_DEP_4) | instskip(NEXT) | instid1(VALU_DEP_2)
	v_fma_f32 v115, 0x3f317218, v30, -v116
	v_sub_f32_e32 v112, v114, v112
	s_delay_alu instid0(VALU_DEP_1) | instskip(NEXT) | instid1(VALU_DEP_1)
	v_dual_fmamk_f32 v30, v30, 0xb102e308, v115 :: v_dual_add_f32 v31, v31, v112
	v_add_f32_e32 v112, v116, v30
	s_delay_alu instid0(VALU_DEP_2) | instskip(NEXT) | instid1(VALU_DEP_2)
	v_add_f32_e32 v114, v113, v31
	v_sub_f32_e32 v116, v112, v116
	s_delay_alu instid0(VALU_DEP_2) | instskip(SKIP_1) | instid1(VALU_DEP_3)
	v_add_f32_e32 v115, v112, v114
	v_sub_f32_e32 v113, v114, v113
	v_sub_f32_e32 v30, v30, v116
	s_delay_alu instid0(VALU_DEP_3) | instskip(NEXT) | instid1(VALU_DEP_3)
	v_sub_f32_e32 v117, v115, v112
	v_sub_f32_e32 v31, v31, v113
	s_delay_alu instid0(VALU_DEP_2) | instskip(SKIP_1) | instid1(VALU_DEP_3)
	v_sub_f32_e32 v118, v115, v117
	v_sub_f32_e32 v113, v114, v117
	v_add_f32_e32 v114, v30, v31
	s_delay_alu instid0(VALU_DEP_3) | instskip(NEXT) | instid1(VALU_DEP_1)
	v_sub_f32_e32 v112, v112, v118
	v_dual_add_f32 v112, v113, v112 :: v_dual_sub_f32 v113, v114, v30
	s_delay_alu instid0(VALU_DEP_1) | instskip(NEXT) | instid1(VALU_DEP_2)
	v_add_f32_e32 v112, v114, v112
	v_sub_f32_e32 v114, v114, v113
	v_sub_f32_e32 v31, v31, v113
	s_delay_alu instid0(VALU_DEP_3) | instskip(NEXT) | instid1(VALU_DEP_1)
	v_add_f32_e32 v116, v115, v112
	v_dual_sub_f32 v30, v30, v114 :: v_dual_sub_f32 v113, v116, v115
	s_delay_alu instid0(VALU_DEP_1) | instskip(NEXT) | instid1(VALU_DEP_1)
	v_dual_add_f32 v30, v31, v30 :: v_dual_sub_f32 v31, v112, v113
	v_add_f32_e32 v30, v30, v31
	s_delay_alu instid0(VALU_DEP_1) | instskip(NEXT) | instid1(VALU_DEP_1)
	v_add_f32_e32 v30, v116, v30
	v_cndmask_b32_e64 v30, v30, v103, s25
	s_delay_alu instid0(VALU_DEP_1) | instskip(NEXT) | instid1(VALU_DEP_1)
	v_add_f32_e32 v29, v29, v30
	v_cvt_f16_f32_e32 v30, v29
.LBB390_120:
	s_or_b32 exec_lo, exec_lo, s26
	ds_store_b16 v28, v30 offset:2
.LBB390_121:
	s_or_b32 exec_lo, exec_lo, s27
	s_waitcnt lgkmcnt(0)
	s_barrier
	buffer_gl0_inv
	s_and_saveexec_b32 s25, s1
	s_cbranch_execz .LBB390_123
; %bb.122:
	v_add_nc_u32_e32 v28, -1, v21
	s_delay_alu instid0(VALU_DEP_1) | instskip(NEXT) | instid1(VALU_DEP_1)
	v_lshrrev_b32_e32 v29, 5, v28
	v_add_lshl_u32 v28, v29, v28, 1
	ds_load_u16 v102, v28
.LBB390_123:
	s_or_b32 exec_lo, exec_lo, s25
	s_and_saveexec_b32 s29, vcc_lo
	s_cbranch_execz .LBB390_190
; %bb.124:
	v_mov_b32_e32 v30, 0
	v_mbcnt_lo_u32_b32 v112, -1, 0
	s_mov_b32 s27, 0
	ds_load_u16 v103, v30 offset:128
	v_cmp_eq_u32_e64 s25, 0, v112
	s_delay_alu instid0(VALU_DEP_1)
	s_and_saveexec_b32 vcc_hi, s25
	s_cbranch_execz .LBB390_126
; %bb.125:
	s_add_i32 s26, s28, 32
	s_waitcnt lgkmcnt(0)
	v_or_b32_e32 v31, 0x10000, v103
	s_lshl_b64 s[26:27], s[26:27], 2
	s_delay_alu instid0(SALU_CYCLE_1)
	v_add_co_u32 v28, vcc_lo, v18, s26
	v_add_co_ci_u32_e32 v29, vcc_lo, s27, v19, vcc_lo
	flat_store_b32 v[28:29], v31
.LBB390_126:
	s_or_b32 exec_lo, exec_lo, vcc_hi
	v_xad_u32 v28, v112, -1, s28
	s_mov_b32 s26, exec_lo
	s_delay_alu instid0(VALU_DEP_1) | instskip(NEXT) | instid1(VALU_DEP_1)
	v_add_nc_u32_e32 v29, 32, v28
	v_lshlrev_b64 v[29:30], 2, v[29:30]
	s_delay_alu instid0(VALU_DEP_1) | instskip(NEXT) | instid1(VALU_DEP_2)
	v_add_co_u32 v29, vcc_lo, v18, v29
	v_add_co_ci_u32_e32 v30, vcc_lo, v19, v30, vcc_lo
	flat_load_b32 v133, v[29:30] glc
	s_waitcnt vmcnt(0) lgkmcnt(0)
	v_lshrrev_b32_e32 v115, 16, v133
	s_delay_alu instid0(VALU_DEP_1) | instskip(NEXT) | instid1(VALU_DEP_1)
	v_and_b32_e32 v31, 0xff, v115
	v_cmpx_eq_u16_e32 0, v31
	s_cbranch_execz .LBB390_132
; %bb.127:
	s_mov_b32 vcc_hi, 1
	s_mov_b32 s27, 0
	.p2align	6
.LBB390_128:                            ; =>This Loop Header: Depth=1
                                        ;     Child Loop BB390_129 Depth 2
	s_max_u32 vcc_lo, vcc_hi, 1
.LBB390_129:                            ;   Parent Loop BB390_128 Depth=1
                                        ; =>  This Inner Loop Header: Depth=2
	s_delay_alu instid0(SALU_CYCLE_1)
	s_add_i32 vcc_lo, vcc_lo, -1
	s_sleep 1
	s_cmp_eq_u32 vcc_lo, 0
	s_cbranch_scc0 .LBB390_129
; %bb.130:                              ;   in Loop: Header=BB390_128 Depth=1
	flat_load_b32 v133, v[29:30] glc
	s_cmp_lt_u32 vcc_hi, 32
	s_cselect_b32 s30, -1, 0
	s_delay_alu instid0(SALU_CYCLE_1) | instskip(SKIP_2) | instid1(VALU_DEP_1)
	s_cmp_lg_u32 s30, 0
	s_waitcnt vmcnt(0) lgkmcnt(0)
	v_lshrrev_b32_e32 v115, 16, v133
	v_and_b32_e32 v31, 0xff, v115
	s_delay_alu instid0(VALU_DEP_1) | instskip(SKIP_2) | instid1(SALU_CYCLE_1)
	v_cmp_ne_u16_e32 vcc_lo, 0, v31
	s_addc_u32 vcc_hi, vcc_hi, 0
	s_or_b32 s27, vcc_lo, s27
	s_and_not1_b32 exec_lo, exec_lo, s27
	s_cbranch_execnz .LBB390_128
; %bb.131:
	s_or_b32 exec_lo, exec_lo, s27
.LBB390_132:
	s_delay_alu instid0(SALU_CYCLE_1)
	s_or_b32 exec_lo, exec_lo, s26
	v_cmp_ne_u32_e32 vcc_lo, 31, v112
	v_and_b32_e32 v31, 0xff, v115
	v_and_b32_e32 v30, 0xffff, v133
	v_lshlrev_b32_e64 v114, v112, -1
	s_mov_b32 s26, exec_lo
	v_add_co_ci_u32_e32 v29, vcc_lo, 0, v112, vcc_lo
	v_cmp_eq_u16_e32 vcc_lo, 2, v31
	s_delay_alu instid0(VALU_DEP_2) | instskip(SKIP_3) | instid1(VALU_DEP_1)
	v_lshlrev_b32_e32 v113, 2, v29
	v_and_or_b32 v29, vcc_lo, v114, 0x80000000
	ds_bpermute_b32 v31, v113, v30
	v_ctz_i32_b32_e32 v29, v29
	v_cmpx_lt_u32_e64 v112, v29
	s_cbranch_execz .LBB390_136
; %bb.133:
	s_waitcnt lgkmcnt(0)
	v_cvt_f32_f16_e32 v30, v31
	v_cvt_f32_f16_e64 v117, v133
	v_cmp_u_f16_e32 vcc_lo, v31, v31
	s_delay_alu instid0(VALU_DEP_2) | instskip(SKIP_1) | instid1(VALU_DEP_2)
	v_min_f32_e32 v116, v30, v117
	v_max_f32_e32 v118, v30, v117
	v_cndmask_b32_e32 v116, v116, v30, vcc_lo
	s_delay_alu instid0(VALU_DEP_2) | instskip(SKIP_1) | instid1(VALU_DEP_3)
	v_cndmask_b32_e32 v30, v118, v30, vcc_lo
	v_cmp_u_f16_e64 vcc_lo, v133, v133
	v_cndmask_b32_e32 v116, v116, v117, vcc_lo
	s_delay_alu instid0(VALU_DEP_3) | instskip(NEXT) | instid1(VALU_DEP_2)
	v_cndmask_b32_e32 v30, v30, v117, vcc_lo
	v_cmp_class_f32_e64 s27, v116, 0x1f8
	s_delay_alu instid0(VALU_DEP_2) | instskip(NEXT) | instid1(VALU_DEP_2)
	v_cmp_neq_f32_e32 vcc_lo, v116, v30
	s_or_b32 vcc_lo, vcc_lo, s27
	s_delay_alu instid0(SALU_CYCLE_1)
	s_and_saveexec_b32 s27, vcc_lo
	s_cbranch_execz .LBB390_135
; %bb.134:
	v_sub_f32_e32 v31, v116, v30
	s_mov_b32 s30, 0x3e9b6dac
	s_delay_alu instid0(VALU_DEP_1) | instskip(SKIP_1) | instid1(VALU_DEP_2)
	v_mul_f32_e32 v116, 0x3fb8aa3b, v31
	v_cmp_ngt_f32_e32 vcc_lo, 0xc2ce8ed0, v31
	v_fma_f32 v117, 0x3fb8aa3b, v31, -v116
	v_rndne_f32_e32 v118, v116
	s_delay_alu instid0(VALU_DEP_1) | instskip(NEXT) | instid1(VALU_DEP_1)
	v_dual_fmamk_f32 v117, v31, 0x32a5705f, v117 :: v_dual_sub_f32 v116, v116, v118
	v_add_f32_e32 v116, v116, v117
	v_cvt_i32_f32_e32 v117, v118
	s_delay_alu instid0(VALU_DEP_2) | instskip(SKIP_2) | instid1(VALU_DEP_1)
	v_exp_f32_e32 v116, v116
	s_waitcnt_depctr 0xfff
	v_ldexp_f32 v116, v116, v117
	v_cndmask_b32_e32 v116, 0, v116, vcc_lo
	v_cmp_nlt_f32_e32 vcc_lo, 0x42b17218, v31
	s_delay_alu instid0(VALU_DEP_2) | instskip(NEXT) | instid1(VALU_DEP_1)
	v_cndmask_b32_e32 v31, 0x7f800000, v116, vcc_lo
	v_add_f32_e32 v118, 1.0, v31
	s_delay_alu instid0(VALU_DEP_1) | instskip(NEXT) | instid1(VALU_DEP_1)
	v_cvt_f64_f32_e32 v[116:117], v118
	v_frexp_exp_i32_f64_e32 v116, v[116:117]
	v_frexp_mant_f32_e32 v117, v118
	s_delay_alu instid0(VALU_DEP_1) | instskip(SKIP_1) | instid1(VALU_DEP_1)
	v_cmp_gt_f32_e32 vcc_lo, 0x3f2aaaab, v117
	v_add_f32_e32 v117, -1.0, v118
	v_dual_sub_f32 v128, v117, v118 :: v_dual_sub_f32 v117, v31, v117
	v_subrev_co_ci_u32_e32 v116, vcc_lo, 0, v116, vcc_lo
	v_cmp_eq_f32_e32 vcc_lo, 0x7f800000, v31
	v_cmp_gt_f32_e64 vcc_hi, 0x33800000, |v31|
	s_delay_alu instid0(VALU_DEP_3) | instskip(SKIP_1) | instid1(VALU_DEP_3)
	v_sub_nc_u32_e32 v119, 0, v116
	v_cvt_f32_i32_e32 v116, v116
	s_or_b32 vcc_lo, vcc_lo, vcc_hi
	s_delay_alu instid0(VALU_DEP_2) | instskip(NEXT) | instid1(VALU_DEP_1)
	v_ldexp_f32 v118, v118, v119
	v_dual_add_f32 v128, 1.0, v128 :: v_dual_add_f32 v129, 1.0, v118
	s_delay_alu instid0(VALU_DEP_1) | instskip(NEXT) | instid1(VALU_DEP_1)
	v_dual_add_f32 v117, v117, v128 :: v_dual_add_f32 v128, -1.0, v129
	v_ldexp_f32 v117, v117, v119
	s_delay_alu instid0(VALU_DEP_2) | instskip(NEXT) | instid1(VALU_DEP_1)
	v_dual_add_f32 v119, -1.0, v118 :: v_dual_sub_f32 v128, v118, v128
	v_add_f32_e32 v130, 1.0, v119
	s_delay_alu instid0(VALU_DEP_2) | instskip(NEXT) | instid1(VALU_DEP_2)
	v_add_f32_e32 v128, v117, v128
	v_sub_f32_e32 v118, v118, v130
	s_delay_alu instid0(VALU_DEP_1) | instskip(NEXT) | instid1(VALU_DEP_1)
	v_add_f32_e32 v117, v117, v118
	v_dual_add_f32 v131, v119, v117 :: v_dual_add_f32 v130, v129, v128
	s_delay_alu instid0(VALU_DEP_1) | instskip(NEXT) | instid1(VALU_DEP_2)
	v_sub_f32_e32 v119, v119, v131
	v_rcp_f32_e32 v118, v130
	v_sub_f32_e32 v129, v129, v130
	s_delay_alu instid0(VALU_DEP_1) | instskip(SKIP_2) | instid1(VALU_DEP_1)
	v_dual_add_f32 v117, v117, v119 :: v_dual_add_f32 v128, v128, v129
	s_waitcnt_depctr 0xfff
	v_mul_f32_e32 v132, v131, v118
	v_mul_f32_e32 v133, v130, v132
	s_delay_alu instid0(VALU_DEP_1) | instskip(NEXT) | instid1(VALU_DEP_1)
	v_fma_f32 v129, v132, v130, -v133
	v_fmac_f32_e32 v129, v132, v128
	s_delay_alu instid0(VALU_DEP_1) | instskip(NEXT) | instid1(VALU_DEP_1)
	v_add_f32_e32 v134, v133, v129
	v_sub_f32_e32 v135, v131, v134
	s_delay_alu instid0(VALU_DEP_1) | instskip(SKIP_1) | instid1(VALU_DEP_2)
	v_sub_f32_e32 v131, v131, v135
	v_sub_f32_e32 v119, v134, v133
	;; [unrolled: 1-line block ×3, first 2 shown]
	s_delay_alu instid0(VALU_DEP_2) | instskip(NEXT) | instid1(VALU_DEP_2)
	v_sub_f32_e32 v119, v119, v129
	v_add_f32_e32 v117, v117, v131
	s_delay_alu instid0(VALU_DEP_1) | instskip(NEXT) | instid1(VALU_DEP_1)
	v_add_f32_e32 v117, v119, v117
	v_add_f32_e32 v119, v135, v117
	s_delay_alu instid0(VALU_DEP_1) | instskip(NEXT) | instid1(VALU_DEP_1)
	v_mul_f32_e32 v129, v118, v119
	v_dual_sub_f32 v134, v135, v119 :: v_dual_mul_f32 v131, v130, v129
	s_delay_alu instid0(VALU_DEP_1) | instskip(NEXT) | instid1(VALU_DEP_2)
	v_add_f32_e32 v117, v117, v134
	v_fma_f32 v130, v129, v130, -v131
	s_delay_alu instid0(VALU_DEP_1) | instskip(NEXT) | instid1(VALU_DEP_1)
	v_fmac_f32_e32 v130, v129, v128
	v_add_f32_e32 v128, v131, v130
	s_delay_alu instid0(VALU_DEP_1) | instskip(SKIP_1) | instid1(VALU_DEP_2)
	v_sub_f32_e32 v133, v119, v128
	v_sub_f32_e32 v131, v128, v131
	;; [unrolled: 1-line block ×3, first 2 shown]
	s_delay_alu instid0(VALU_DEP_1) | instskip(NEXT) | instid1(VALU_DEP_1)
	v_sub_f32_e32 v119, v119, v128
	v_dual_sub_f32 v128, v131, v130 :: v_dual_add_f32 v117, v117, v119
	v_add_f32_e32 v119, v132, v129
	s_delay_alu instid0(VALU_DEP_1) | instskip(NEXT) | instid1(VALU_DEP_1)
	v_dual_add_f32 v117, v128, v117 :: v_dual_sub_f32 v128, v119, v132
	v_add_f32_e32 v117, v133, v117
	s_delay_alu instid0(VALU_DEP_1) | instskip(NEXT) | instid1(VALU_DEP_1)
	v_dual_sub_f32 v128, v129, v128 :: v_dual_mul_f32 v117, v118, v117
	v_add_f32_e32 v117, v128, v117
	s_delay_alu instid0(VALU_DEP_1) | instskip(NEXT) | instid1(VALU_DEP_1)
	v_add_f32_e32 v118, v119, v117
	v_mul_f32_e32 v128, v118, v118
	s_delay_alu instid0(VALU_DEP_1) | instskip(SKIP_1) | instid1(VALU_DEP_2)
	v_fmaak_f32 v129, s30, v128, 0x3ecc95a3
	v_mul_f32_e32 v130, v118, v128
	v_fmaak_f32 v128, v128, v129, 0x3f2aaada
	v_ldexp_f32 v129, v118, 1
	v_sub_f32_e32 v118, v118, v119
	s_delay_alu instid0(VALU_DEP_3) | instskip(NEXT) | instid1(VALU_DEP_2)
	v_mul_f32_e32 v128, v130, v128
	v_dual_mul_f32 v130, 0x3f317218, v116 :: v_dual_sub_f32 v117, v117, v118
	s_delay_alu instid0(VALU_DEP_2) | instskip(NEXT) | instid1(VALU_DEP_2)
	v_add_f32_e32 v119, v129, v128
	v_ldexp_f32 v117, v117, 1
	s_delay_alu instid0(VALU_DEP_2) | instskip(NEXT) | instid1(VALU_DEP_4)
	v_sub_f32_e32 v118, v119, v129
	v_fma_f32 v129, 0x3f317218, v116, -v130
	s_delay_alu instid0(VALU_DEP_2) | instskip(NEXT) | instid1(VALU_DEP_1)
	v_sub_f32_e32 v118, v128, v118
	v_dual_fmamk_f32 v116, v116, 0xb102e308, v129 :: v_dual_add_f32 v117, v117, v118
	s_delay_alu instid0(VALU_DEP_1) | instskip(NEXT) | instid1(VALU_DEP_1)
	v_add_f32_e32 v118, v130, v116
	v_sub_f32_e32 v130, v118, v130
	s_delay_alu instid0(VALU_DEP_1) | instskip(NEXT) | instid1(VALU_DEP_4)
	v_sub_f32_e32 v116, v116, v130
	v_add_f32_e32 v128, v119, v117
	s_delay_alu instid0(VALU_DEP_1) | instskip(NEXT) | instid1(VALU_DEP_1)
	v_sub_f32_e32 v119, v128, v119
	v_sub_f32_e32 v117, v117, v119
	v_add_f32_e32 v129, v118, v128
	s_delay_alu instid0(VALU_DEP_1) | instskip(NEXT) | instid1(VALU_DEP_1)
	v_sub_f32_e32 v131, v129, v118
	v_sub_f32_e32 v119, v128, v131
	s_delay_alu instid0(VALU_DEP_4) | instskip(SKIP_1) | instid1(VALU_DEP_1)
	v_add_f32_e32 v128, v116, v117
	v_sub_f32_e32 v132, v129, v131
	v_sub_f32_e32 v118, v118, v132
	s_delay_alu instid0(VALU_DEP_1) | instskip(NEXT) | instid1(VALU_DEP_1)
	v_dual_add_f32 v118, v119, v118 :: v_dual_sub_f32 v119, v128, v116
	v_dual_add_f32 v118, v128, v118 :: v_dual_sub_f32 v117, v117, v119
	v_sub_f32_e32 v128, v128, v119
	s_delay_alu instid0(VALU_DEP_2) | instskip(NEXT) | instid1(VALU_DEP_1)
	v_add_f32_e32 v130, v129, v118
	v_dual_sub_f32 v116, v116, v128 :: v_dual_sub_f32 v119, v130, v129
	s_delay_alu instid0(VALU_DEP_1) | instskip(NEXT) | instid1(VALU_DEP_1)
	v_dual_add_f32 v116, v117, v116 :: v_dual_sub_f32 v117, v118, v119
	v_add_f32_e32 v116, v116, v117
	s_delay_alu instid0(VALU_DEP_1) | instskip(NEXT) | instid1(VALU_DEP_1)
	v_add_f32_e32 v116, v130, v116
	v_cndmask_b32_e32 v31, v116, v31, vcc_lo
	s_delay_alu instid0(VALU_DEP_1) | instskip(NEXT) | instid1(VALU_DEP_1)
	v_add_f32_e32 v30, v30, v31
	v_cvt_f16_f32_e32 v31, v30
.LBB390_135:
	s_or_b32 exec_lo, exec_lo, s27
	s_delay_alu instid0(VALU_DEP_1)
	v_dual_mov_b32 v133, v31 :: v_dual_and_b32 v30, 0xffff, v31
.LBB390_136:
	s_or_b32 exec_lo, exec_lo, s26
	v_cmp_gt_u32_e32 vcc_lo, 30, v112
	v_add_nc_u32_e32 v117, 2, v112
	s_mov_b32 s26, exec_lo
	s_waitcnt lgkmcnt(0)
	v_cndmask_b32_e64 v31, 0, 1, vcc_lo
	s_delay_alu instid0(VALU_DEP_1) | instskip(NEXT) | instid1(VALU_DEP_1)
	v_lshlrev_b32_e32 v31, 1, v31
	v_add_lshl_u32 v116, v31, v112, 2
	ds_bpermute_b32 v31, v116, v30
	v_cmpx_le_u32_e64 v117, v29
	s_cbranch_execz .LBB390_140
; %bb.137:
	s_waitcnt lgkmcnt(0)
	v_cvt_f32_f16_e32 v30, v31
	v_cvt_f32_f16_e64 v119, v133
	v_cmp_u_f16_e32 vcc_lo, v31, v31
	s_delay_alu instid0(VALU_DEP_2) | instskip(SKIP_1) | instid1(VALU_DEP_2)
	v_min_f32_e32 v118, v30, v119
	v_max_f32_e32 v128, v30, v119
	v_cndmask_b32_e32 v118, v118, v30, vcc_lo
	s_delay_alu instid0(VALU_DEP_2) | instskip(SKIP_1) | instid1(VALU_DEP_3)
	v_cndmask_b32_e32 v30, v128, v30, vcc_lo
	v_cmp_u_f16_e64 vcc_lo, v133, v133
	v_cndmask_b32_e32 v118, v118, v119, vcc_lo
	s_delay_alu instid0(VALU_DEP_3) | instskip(NEXT) | instid1(VALU_DEP_2)
	v_cndmask_b32_e32 v30, v30, v119, vcc_lo
	v_cmp_class_f32_e64 s27, v118, 0x1f8
	s_delay_alu instid0(VALU_DEP_2) | instskip(NEXT) | instid1(VALU_DEP_2)
	v_cmp_neq_f32_e32 vcc_lo, v118, v30
	s_or_b32 vcc_lo, vcc_lo, s27
	s_delay_alu instid0(SALU_CYCLE_1)
	s_and_saveexec_b32 s27, vcc_lo
	s_cbranch_execz .LBB390_139
; %bb.138:
	v_sub_f32_e32 v31, v118, v30
	s_mov_b32 s30, 0x3e9b6dac
	s_delay_alu instid0(VALU_DEP_1) | instskip(SKIP_1) | instid1(VALU_DEP_2)
	v_mul_f32_e32 v118, 0x3fb8aa3b, v31
	v_cmp_ngt_f32_e32 vcc_lo, 0xc2ce8ed0, v31
	v_fma_f32 v119, 0x3fb8aa3b, v31, -v118
	v_rndne_f32_e32 v128, v118
	s_delay_alu instid0(VALU_DEP_1) | instskip(NEXT) | instid1(VALU_DEP_1)
	v_dual_fmamk_f32 v119, v31, 0x32a5705f, v119 :: v_dual_sub_f32 v118, v118, v128
	v_add_f32_e32 v118, v118, v119
	v_cvt_i32_f32_e32 v119, v128
	s_delay_alu instid0(VALU_DEP_2) | instskip(SKIP_2) | instid1(VALU_DEP_1)
	v_exp_f32_e32 v118, v118
	s_waitcnt_depctr 0xfff
	v_ldexp_f32 v118, v118, v119
	v_cndmask_b32_e32 v118, 0, v118, vcc_lo
	v_cmp_nlt_f32_e32 vcc_lo, 0x42b17218, v31
	s_delay_alu instid0(VALU_DEP_2) | instskip(NEXT) | instid1(VALU_DEP_1)
	v_cndmask_b32_e32 v31, 0x7f800000, v118, vcc_lo
	v_add_f32_e32 v128, 1.0, v31
	s_delay_alu instid0(VALU_DEP_1) | instskip(NEXT) | instid1(VALU_DEP_1)
	v_cvt_f64_f32_e32 v[118:119], v128
	v_frexp_exp_i32_f64_e32 v118, v[118:119]
	v_frexp_mant_f32_e32 v119, v128
	s_delay_alu instid0(VALU_DEP_1) | instskip(SKIP_1) | instid1(VALU_DEP_1)
	v_cmp_gt_f32_e32 vcc_lo, 0x3f2aaaab, v119
	v_add_f32_e32 v119, -1.0, v128
	v_sub_f32_e32 v130, v119, v128
	s_delay_alu instid0(VALU_DEP_1) | instskip(NEXT) | instid1(VALU_DEP_1)
	v_dual_sub_f32 v119, v31, v119 :: v_dual_add_f32 v130, 1.0, v130
	v_add_f32_e32 v119, v119, v130
	v_subrev_co_ci_u32_e32 v118, vcc_lo, 0, v118, vcc_lo
	s_delay_alu instid0(VALU_DEP_1) | instskip(SKIP_1) | instid1(VALU_DEP_2)
	v_sub_nc_u32_e32 v129, 0, v118
	v_cvt_f32_i32_e32 v118, v118
	v_ldexp_f32 v128, v128, v129
	v_ldexp_f32 v119, v119, v129
	s_delay_alu instid0(VALU_DEP_2) | instskip(NEXT) | instid1(VALU_DEP_1)
	v_add_f32_e32 v129, -1.0, v128
	v_dual_add_f32 v131, 1.0, v128 :: v_dual_add_f32 v132, 1.0, v129
	s_delay_alu instid0(VALU_DEP_1) | instskip(SKIP_2) | instid1(VALU_DEP_3)
	v_add_f32_e32 v130, -1.0, v131
	v_cmp_eq_f32_e32 vcc_lo, 0x7f800000, v31
	v_cmp_gt_f32_e64 vcc_hi, 0x33800000, |v31|
	v_sub_f32_e32 v130, v128, v130
	v_sub_f32_e32 v128, v128, v132
	s_delay_alu instid0(VALU_DEP_3) | instskip(NEXT) | instid1(VALU_DEP_2)
	s_or_b32 vcc_lo, vcc_lo, vcc_hi
	v_add_f32_e32 v130, v119, v130
	s_delay_alu instid0(VALU_DEP_2) | instskip(NEXT) | instid1(VALU_DEP_1)
	v_add_f32_e32 v119, v119, v128
	v_dual_add_f32 v133, v129, v119 :: v_dual_add_f32 v132, v131, v130
	s_delay_alu instid0(VALU_DEP_1) | instskip(NEXT) | instid1(VALU_DEP_2)
	v_sub_f32_e32 v129, v129, v133
	v_rcp_f32_e32 v128, v132
	v_sub_f32_e32 v131, v131, v132
	s_delay_alu instid0(VALU_DEP_1) | instskip(SKIP_2) | instid1(VALU_DEP_1)
	v_dual_add_f32 v119, v119, v129 :: v_dual_add_f32 v130, v130, v131
	s_waitcnt_depctr 0xfff
	v_mul_f32_e32 v134, v133, v128
	v_mul_f32_e32 v135, v132, v134
	s_delay_alu instid0(VALU_DEP_1) | instskip(NEXT) | instid1(VALU_DEP_1)
	v_fma_f32 v131, v134, v132, -v135
	v_fmac_f32_e32 v131, v134, v130
	s_delay_alu instid0(VALU_DEP_1) | instskip(NEXT) | instid1(VALU_DEP_1)
	v_add_f32_e32 v144, v135, v131
	v_sub_f32_e32 v145, v133, v144
	s_delay_alu instid0(VALU_DEP_1) | instskip(SKIP_1) | instid1(VALU_DEP_2)
	v_sub_f32_e32 v133, v133, v145
	v_sub_f32_e32 v129, v144, v135
	;; [unrolled: 1-line block ×3, first 2 shown]
	s_delay_alu instid0(VALU_DEP_2) | instskip(NEXT) | instid1(VALU_DEP_2)
	v_sub_f32_e32 v129, v129, v131
	v_add_f32_e32 v119, v119, v133
	s_delay_alu instid0(VALU_DEP_1) | instskip(NEXT) | instid1(VALU_DEP_1)
	v_add_f32_e32 v119, v129, v119
	v_add_f32_e32 v129, v145, v119
	s_delay_alu instid0(VALU_DEP_1) | instskip(NEXT) | instid1(VALU_DEP_1)
	v_mul_f32_e32 v131, v128, v129
	v_dual_sub_f32 v144, v145, v129 :: v_dual_mul_f32 v133, v132, v131
	s_delay_alu instid0(VALU_DEP_1) | instskip(NEXT) | instid1(VALU_DEP_2)
	v_add_f32_e32 v119, v119, v144
	v_fma_f32 v132, v131, v132, -v133
	s_delay_alu instid0(VALU_DEP_1) | instskip(NEXT) | instid1(VALU_DEP_1)
	v_fmac_f32_e32 v132, v131, v130
	v_add_f32_e32 v130, v133, v132
	s_delay_alu instid0(VALU_DEP_1) | instskip(SKIP_1) | instid1(VALU_DEP_2)
	v_sub_f32_e32 v135, v129, v130
	v_sub_f32_e32 v133, v130, v133
	;; [unrolled: 1-line block ×3, first 2 shown]
	s_delay_alu instid0(VALU_DEP_1) | instskip(NEXT) | instid1(VALU_DEP_1)
	v_sub_f32_e32 v129, v129, v130
	v_dual_sub_f32 v130, v133, v132 :: v_dual_add_f32 v119, v119, v129
	v_add_f32_e32 v129, v134, v131
	s_delay_alu instid0(VALU_DEP_1) | instskip(NEXT) | instid1(VALU_DEP_1)
	v_dual_add_f32 v119, v130, v119 :: v_dual_sub_f32 v130, v129, v134
	v_add_f32_e32 v119, v135, v119
	s_delay_alu instid0(VALU_DEP_1) | instskip(NEXT) | instid1(VALU_DEP_1)
	v_dual_sub_f32 v130, v131, v130 :: v_dual_mul_f32 v119, v128, v119
	v_add_f32_e32 v119, v130, v119
	s_delay_alu instid0(VALU_DEP_1) | instskip(NEXT) | instid1(VALU_DEP_1)
	v_add_f32_e32 v128, v129, v119
	v_mul_f32_e32 v130, v128, v128
	s_delay_alu instid0(VALU_DEP_1) | instskip(SKIP_1) | instid1(VALU_DEP_2)
	v_fmaak_f32 v131, s30, v130, 0x3ecc95a3
	v_mul_f32_e32 v132, v128, v130
	v_fmaak_f32 v130, v130, v131, 0x3f2aaada
	v_ldexp_f32 v131, v128, 1
	v_sub_f32_e32 v128, v128, v129
	s_delay_alu instid0(VALU_DEP_3) | instskip(NEXT) | instid1(VALU_DEP_2)
	v_mul_f32_e32 v130, v132, v130
	v_dual_mul_f32 v132, 0x3f317218, v118 :: v_dual_sub_f32 v119, v119, v128
	s_delay_alu instid0(VALU_DEP_2) | instskip(NEXT) | instid1(VALU_DEP_2)
	v_add_f32_e32 v129, v131, v130
	v_ldexp_f32 v119, v119, 1
	s_delay_alu instid0(VALU_DEP_2) | instskip(NEXT) | instid1(VALU_DEP_4)
	v_sub_f32_e32 v128, v129, v131
	v_fma_f32 v131, 0x3f317218, v118, -v132
	s_delay_alu instid0(VALU_DEP_2) | instskip(NEXT) | instid1(VALU_DEP_1)
	v_sub_f32_e32 v128, v130, v128
	v_dual_fmamk_f32 v118, v118, 0xb102e308, v131 :: v_dual_add_f32 v119, v119, v128
	s_delay_alu instid0(VALU_DEP_1) | instskip(NEXT) | instid1(VALU_DEP_1)
	v_add_f32_e32 v128, v132, v118
	v_sub_f32_e32 v132, v128, v132
	s_delay_alu instid0(VALU_DEP_1) | instskip(NEXT) | instid1(VALU_DEP_4)
	v_sub_f32_e32 v118, v118, v132
	v_add_f32_e32 v130, v129, v119
	s_delay_alu instid0(VALU_DEP_1) | instskip(NEXT) | instid1(VALU_DEP_1)
	v_sub_f32_e32 v129, v130, v129
	v_sub_f32_e32 v119, v119, v129
	v_add_f32_e32 v131, v128, v130
	s_delay_alu instid0(VALU_DEP_1) | instskip(NEXT) | instid1(VALU_DEP_1)
	v_sub_f32_e32 v133, v131, v128
	v_sub_f32_e32 v129, v130, v133
	s_delay_alu instid0(VALU_DEP_4) | instskip(SKIP_1) | instid1(VALU_DEP_1)
	v_add_f32_e32 v130, v118, v119
	v_sub_f32_e32 v134, v131, v133
	v_sub_f32_e32 v128, v128, v134
	s_delay_alu instid0(VALU_DEP_1) | instskip(NEXT) | instid1(VALU_DEP_1)
	v_dual_add_f32 v128, v129, v128 :: v_dual_sub_f32 v129, v130, v118
	v_dual_add_f32 v128, v130, v128 :: v_dual_sub_f32 v119, v119, v129
	v_sub_f32_e32 v130, v130, v129
	s_delay_alu instid0(VALU_DEP_2) | instskip(NEXT) | instid1(VALU_DEP_1)
	v_add_f32_e32 v132, v131, v128
	v_dual_sub_f32 v118, v118, v130 :: v_dual_sub_f32 v129, v132, v131
	s_delay_alu instid0(VALU_DEP_1) | instskip(NEXT) | instid1(VALU_DEP_1)
	v_dual_add_f32 v118, v119, v118 :: v_dual_sub_f32 v119, v128, v129
	v_add_f32_e32 v118, v118, v119
	s_delay_alu instid0(VALU_DEP_1) | instskip(NEXT) | instid1(VALU_DEP_1)
	v_add_f32_e32 v118, v132, v118
	v_cndmask_b32_e32 v31, v118, v31, vcc_lo
	s_delay_alu instid0(VALU_DEP_1) | instskip(NEXT) | instid1(VALU_DEP_1)
	v_add_f32_e32 v30, v30, v31
	v_cvt_f16_f32_e32 v31, v30
.LBB390_139:
	s_or_b32 exec_lo, exec_lo, s27
	s_delay_alu instid0(VALU_DEP_1)
	v_dual_mov_b32 v133, v31 :: v_dual_and_b32 v30, 0xffff, v31
.LBB390_140:
	s_or_b32 exec_lo, exec_lo, s26
	v_cmp_gt_u32_e32 vcc_lo, 28, v112
	v_add_nc_u32_e32 v119, 4, v112
	s_mov_b32 s26, exec_lo
	s_waitcnt lgkmcnt(0)
	v_cndmask_b32_e64 v31, 0, 1, vcc_lo
	s_delay_alu instid0(VALU_DEP_1) | instskip(NEXT) | instid1(VALU_DEP_1)
	v_lshlrev_b32_e32 v31, 2, v31
	v_add_lshl_u32 v118, v31, v112, 2
	ds_bpermute_b32 v31, v118, v30
	v_cmpx_le_u32_e64 v119, v29
	s_cbranch_execz .LBB390_144
; %bb.141:
	s_waitcnt lgkmcnt(0)
	v_cvt_f32_f16_e32 v30, v31
	v_cvt_f32_f16_e64 v129, v133
	v_cmp_u_f16_e32 vcc_lo, v31, v31
	s_delay_alu instid0(VALU_DEP_2) | instskip(SKIP_1) | instid1(VALU_DEP_2)
	v_min_f32_e32 v128, v30, v129
	v_max_f32_e32 v130, v30, v129
	v_cndmask_b32_e32 v128, v128, v30, vcc_lo
	s_delay_alu instid0(VALU_DEP_2) | instskip(SKIP_1) | instid1(VALU_DEP_3)
	v_cndmask_b32_e32 v30, v130, v30, vcc_lo
	v_cmp_u_f16_e64 vcc_lo, v133, v133
	v_cndmask_b32_e32 v128, v128, v129, vcc_lo
	s_delay_alu instid0(VALU_DEP_3) | instskip(NEXT) | instid1(VALU_DEP_2)
	v_cndmask_b32_e32 v30, v30, v129, vcc_lo
	v_cmp_class_f32_e64 s27, v128, 0x1f8
	s_delay_alu instid0(VALU_DEP_2) | instskip(NEXT) | instid1(VALU_DEP_2)
	v_cmp_neq_f32_e32 vcc_lo, v128, v30
	s_or_b32 vcc_lo, vcc_lo, s27
	s_delay_alu instid0(SALU_CYCLE_1)
	s_and_saveexec_b32 s27, vcc_lo
	s_cbranch_execz .LBB390_143
; %bb.142:
	v_sub_f32_e32 v31, v128, v30
	s_mov_b32 s30, 0x3e9b6dac
	s_delay_alu instid0(VALU_DEP_1) | instskip(SKIP_1) | instid1(VALU_DEP_2)
	v_mul_f32_e32 v128, 0x3fb8aa3b, v31
	v_cmp_ngt_f32_e32 vcc_lo, 0xc2ce8ed0, v31
	v_fma_f32 v129, 0x3fb8aa3b, v31, -v128
	v_rndne_f32_e32 v130, v128
	s_delay_alu instid0(VALU_DEP_1) | instskip(NEXT) | instid1(VALU_DEP_1)
	v_dual_fmamk_f32 v129, v31, 0x32a5705f, v129 :: v_dual_sub_f32 v128, v128, v130
	v_add_f32_e32 v128, v128, v129
	v_cvt_i32_f32_e32 v129, v130
	s_delay_alu instid0(VALU_DEP_2) | instskip(SKIP_2) | instid1(VALU_DEP_1)
	v_exp_f32_e32 v128, v128
	s_waitcnt_depctr 0xfff
	v_ldexp_f32 v128, v128, v129
	v_cndmask_b32_e32 v128, 0, v128, vcc_lo
	v_cmp_nlt_f32_e32 vcc_lo, 0x42b17218, v31
	s_delay_alu instid0(VALU_DEP_2) | instskip(NEXT) | instid1(VALU_DEP_1)
	v_cndmask_b32_e32 v31, 0x7f800000, v128, vcc_lo
	v_add_f32_e32 v130, 1.0, v31
	s_delay_alu instid0(VALU_DEP_1) | instskip(NEXT) | instid1(VALU_DEP_1)
	v_cvt_f64_f32_e32 v[128:129], v130
	v_frexp_exp_i32_f64_e32 v128, v[128:129]
	v_frexp_mant_f32_e32 v129, v130
	s_delay_alu instid0(VALU_DEP_1) | instskip(SKIP_1) | instid1(VALU_DEP_1)
	v_cmp_gt_f32_e32 vcc_lo, 0x3f2aaaab, v129
	v_add_f32_e32 v129, -1.0, v130
	v_dual_sub_f32 v132, v129, v130 :: v_dual_sub_f32 v129, v31, v129
	v_subrev_co_ci_u32_e32 v128, vcc_lo, 0, v128, vcc_lo
	v_cmp_eq_f32_e32 vcc_lo, 0x7f800000, v31
	v_cmp_gt_f32_e64 vcc_hi, 0x33800000, |v31|
	s_delay_alu instid0(VALU_DEP_3) | instskip(SKIP_1) | instid1(VALU_DEP_3)
	v_sub_nc_u32_e32 v131, 0, v128
	v_cvt_f32_i32_e32 v128, v128
	s_or_b32 vcc_lo, vcc_lo, vcc_hi
	s_delay_alu instid0(VALU_DEP_2) | instskip(NEXT) | instid1(VALU_DEP_1)
	v_ldexp_f32 v130, v130, v131
	v_dual_add_f32 v132, 1.0, v132 :: v_dual_add_f32 v133, 1.0, v130
	s_delay_alu instid0(VALU_DEP_1) | instskip(NEXT) | instid1(VALU_DEP_1)
	v_dual_add_f32 v129, v129, v132 :: v_dual_add_f32 v132, -1.0, v133
	v_ldexp_f32 v129, v129, v131
	s_delay_alu instid0(VALU_DEP_2) | instskip(NEXT) | instid1(VALU_DEP_1)
	v_dual_add_f32 v131, -1.0, v130 :: v_dual_sub_f32 v132, v130, v132
	v_add_f32_e32 v134, 1.0, v131
	s_delay_alu instid0(VALU_DEP_2) | instskip(NEXT) | instid1(VALU_DEP_2)
	v_add_f32_e32 v132, v129, v132
	v_sub_f32_e32 v130, v130, v134
	s_delay_alu instid0(VALU_DEP_1) | instskip(NEXT) | instid1(VALU_DEP_1)
	v_add_f32_e32 v129, v129, v130
	v_dual_add_f32 v135, v131, v129 :: v_dual_add_f32 v134, v133, v132
	s_delay_alu instid0(VALU_DEP_1) | instskip(NEXT) | instid1(VALU_DEP_2)
	v_sub_f32_e32 v131, v131, v135
	v_rcp_f32_e32 v130, v134
	v_sub_f32_e32 v133, v133, v134
	s_delay_alu instid0(VALU_DEP_1) | instskip(SKIP_2) | instid1(VALU_DEP_1)
	v_dual_add_f32 v129, v129, v131 :: v_dual_add_f32 v132, v132, v133
	s_waitcnt_depctr 0xfff
	v_mul_f32_e32 v144, v135, v130
	v_mul_f32_e32 v145, v134, v144
	s_delay_alu instid0(VALU_DEP_1) | instskip(NEXT) | instid1(VALU_DEP_1)
	v_fma_f32 v133, v144, v134, -v145
	v_fmac_f32_e32 v133, v144, v132
	s_delay_alu instid0(VALU_DEP_1) | instskip(NEXT) | instid1(VALU_DEP_1)
	v_add_f32_e32 v146, v145, v133
	v_sub_f32_e32 v147, v135, v146
	s_delay_alu instid0(VALU_DEP_1) | instskip(SKIP_1) | instid1(VALU_DEP_2)
	v_sub_f32_e32 v135, v135, v147
	v_sub_f32_e32 v131, v146, v145
	;; [unrolled: 1-line block ×3, first 2 shown]
	s_delay_alu instid0(VALU_DEP_2) | instskip(NEXT) | instid1(VALU_DEP_2)
	v_sub_f32_e32 v131, v131, v133
	v_add_f32_e32 v129, v129, v135
	s_delay_alu instid0(VALU_DEP_1) | instskip(NEXT) | instid1(VALU_DEP_1)
	v_add_f32_e32 v129, v131, v129
	v_add_f32_e32 v131, v147, v129
	s_delay_alu instid0(VALU_DEP_1) | instskip(NEXT) | instid1(VALU_DEP_1)
	v_mul_f32_e32 v133, v130, v131
	v_dual_sub_f32 v146, v147, v131 :: v_dual_mul_f32 v135, v134, v133
	s_delay_alu instid0(VALU_DEP_1) | instskip(NEXT) | instid1(VALU_DEP_2)
	v_add_f32_e32 v129, v129, v146
	v_fma_f32 v134, v133, v134, -v135
	s_delay_alu instid0(VALU_DEP_1) | instskip(NEXT) | instid1(VALU_DEP_1)
	v_fmac_f32_e32 v134, v133, v132
	v_add_f32_e32 v132, v135, v134
	s_delay_alu instid0(VALU_DEP_1) | instskip(SKIP_1) | instid1(VALU_DEP_2)
	v_sub_f32_e32 v145, v131, v132
	v_sub_f32_e32 v135, v132, v135
	v_sub_f32_e32 v131, v131, v145
	s_delay_alu instid0(VALU_DEP_1) | instskip(NEXT) | instid1(VALU_DEP_1)
	v_sub_f32_e32 v131, v131, v132
	v_dual_sub_f32 v132, v135, v134 :: v_dual_add_f32 v129, v129, v131
	v_add_f32_e32 v131, v144, v133
	s_delay_alu instid0(VALU_DEP_1) | instskip(NEXT) | instid1(VALU_DEP_1)
	v_dual_add_f32 v129, v132, v129 :: v_dual_sub_f32 v132, v131, v144
	v_add_f32_e32 v129, v145, v129
	s_delay_alu instid0(VALU_DEP_1) | instskip(NEXT) | instid1(VALU_DEP_1)
	v_dual_sub_f32 v132, v133, v132 :: v_dual_mul_f32 v129, v130, v129
	v_add_f32_e32 v129, v132, v129
	s_delay_alu instid0(VALU_DEP_1) | instskip(NEXT) | instid1(VALU_DEP_1)
	v_add_f32_e32 v130, v131, v129
	v_mul_f32_e32 v132, v130, v130
	s_delay_alu instid0(VALU_DEP_1) | instskip(SKIP_1) | instid1(VALU_DEP_2)
	v_fmaak_f32 v133, s30, v132, 0x3ecc95a3
	v_mul_f32_e32 v134, v130, v132
	v_fmaak_f32 v132, v132, v133, 0x3f2aaada
	v_ldexp_f32 v133, v130, 1
	v_sub_f32_e32 v130, v130, v131
	s_delay_alu instid0(VALU_DEP_3) | instskip(NEXT) | instid1(VALU_DEP_2)
	v_mul_f32_e32 v132, v134, v132
	v_dual_mul_f32 v134, 0x3f317218, v128 :: v_dual_sub_f32 v129, v129, v130
	s_delay_alu instid0(VALU_DEP_2) | instskip(NEXT) | instid1(VALU_DEP_2)
	v_add_f32_e32 v131, v133, v132
	v_ldexp_f32 v129, v129, 1
	s_delay_alu instid0(VALU_DEP_2) | instskip(NEXT) | instid1(VALU_DEP_4)
	v_sub_f32_e32 v130, v131, v133
	v_fma_f32 v133, 0x3f317218, v128, -v134
	s_delay_alu instid0(VALU_DEP_2) | instskip(NEXT) | instid1(VALU_DEP_1)
	v_sub_f32_e32 v130, v132, v130
	v_dual_fmamk_f32 v128, v128, 0xb102e308, v133 :: v_dual_add_f32 v129, v129, v130
	s_delay_alu instid0(VALU_DEP_1) | instskip(NEXT) | instid1(VALU_DEP_1)
	v_add_f32_e32 v130, v134, v128
	v_sub_f32_e32 v134, v130, v134
	s_delay_alu instid0(VALU_DEP_1) | instskip(NEXT) | instid1(VALU_DEP_4)
	v_sub_f32_e32 v128, v128, v134
	v_add_f32_e32 v132, v131, v129
	s_delay_alu instid0(VALU_DEP_1) | instskip(NEXT) | instid1(VALU_DEP_1)
	v_sub_f32_e32 v131, v132, v131
	v_sub_f32_e32 v129, v129, v131
	v_add_f32_e32 v133, v130, v132
	s_delay_alu instid0(VALU_DEP_1) | instskip(NEXT) | instid1(VALU_DEP_1)
	v_sub_f32_e32 v135, v133, v130
	v_sub_f32_e32 v131, v132, v135
	s_delay_alu instid0(VALU_DEP_4) | instskip(SKIP_1) | instid1(VALU_DEP_1)
	v_add_f32_e32 v132, v128, v129
	v_sub_f32_e32 v144, v133, v135
	v_sub_f32_e32 v130, v130, v144
	s_delay_alu instid0(VALU_DEP_1) | instskip(NEXT) | instid1(VALU_DEP_1)
	v_dual_add_f32 v130, v131, v130 :: v_dual_sub_f32 v131, v132, v128
	v_dual_add_f32 v130, v132, v130 :: v_dual_sub_f32 v129, v129, v131
	v_sub_f32_e32 v132, v132, v131
	s_delay_alu instid0(VALU_DEP_2) | instskip(NEXT) | instid1(VALU_DEP_1)
	v_add_f32_e32 v134, v133, v130
	v_dual_sub_f32 v128, v128, v132 :: v_dual_sub_f32 v131, v134, v133
	s_delay_alu instid0(VALU_DEP_1) | instskip(NEXT) | instid1(VALU_DEP_1)
	v_dual_add_f32 v128, v129, v128 :: v_dual_sub_f32 v129, v130, v131
	v_add_f32_e32 v128, v128, v129
	s_delay_alu instid0(VALU_DEP_1) | instskip(NEXT) | instid1(VALU_DEP_1)
	v_add_f32_e32 v128, v134, v128
	v_cndmask_b32_e32 v31, v128, v31, vcc_lo
	s_delay_alu instid0(VALU_DEP_1) | instskip(NEXT) | instid1(VALU_DEP_1)
	v_add_f32_e32 v30, v30, v31
	v_cvt_f16_f32_e32 v31, v30
.LBB390_143:
	s_or_b32 exec_lo, exec_lo, s27
	s_delay_alu instid0(VALU_DEP_1)
	v_dual_mov_b32 v133, v31 :: v_dual_and_b32 v30, 0xffff, v31
.LBB390_144:
	s_or_b32 exec_lo, exec_lo, s26
	v_cmp_gt_u32_e32 vcc_lo, 24, v112
	v_add_nc_u32_e32 v129, 8, v112
	s_mov_b32 s26, exec_lo
	s_waitcnt lgkmcnt(0)
	v_cndmask_b32_e64 v31, 0, 1, vcc_lo
	s_delay_alu instid0(VALU_DEP_1) | instskip(NEXT) | instid1(VALU_DEP_1)
	v_lshlrev_b32_e32 v31, 3, v31
	v_add_lshl_u32 v128, v31, v112, 2
	ds_bpermute_b32 v31, v128, v30
	v_cmpx_le_u32_e64 v129, v29
	s_cbranch_execz .LBB390_148
; %bb.145:
	s_waitcnt lgkmcnt(0)
	v_cvt_f32_f16_e32 v30, v31
	v_cvt_f32_f16_e64 v131, v133
	v_cmp_u_f16_e32 vcc_lo, v31, v31
	s_delay_alu instid0(VALU_DEP_2) | instskip(SKIP_1) | instid1(VALU_DEP_2)
	v_min_f32_e32 v130, v30, v131
	v_max_f32_e32 v132, v30, v131
	v_cndmask_b32_e32 v130, v130, v30, vcc_lo
	s_delay_alu instid0(VALU_DEP_2) | instskip(SKIP_1) | instid1(VALU_DEP_3)
	v_cndmask_b32_e32 v30, v132, v30, vcc_lo
	v_cmp_u_f16_e64 vcc_lo, v133, v133
	v_cndmask_b32_e32 v130, v130, v131, vcc_lo
	s_delay_alu instid0(VALU_DEP_3) | instskip(NEXT) | instid1(VALU_DEP_2)
	v_cndmask_b32_e32 v30, v30, v131, vcc_lo
	v_cmp_class_f32_e64 s27, v130, 0x1f8
	s_delay_alu instid0(VALU_DEP_2) | instskip(NEXT) | instid1(VALU_DEP_2)
	v_cmp_neq_f32_e32 vcc_lo, v130, v30
	s_or_b32 vcc_lo, vcc_lo, s27
	s_delay_alu instid0(SALU_CYCLE_1)
	s_and_saveexec_b32 s27, vcc_lo
	s_cbranch_execz .LBB390_147
; %bb.146:
	v_sub_f32_e32 v31, v130, v30
	s_mov_b32 s30, 0x3e9b6dac
	s_delay_alu instid0(VALU_DEP_1) | instskip(SKIP_1) | instid1(VALU_DEP_2)
	v_mul_f32_e32 v130, 0x3fb8aa3b, v31
	v_cmp_ngt_f32_e32 vcc_lo, 0xc2ce8ed0, v31
	v_fma_f32 v131, 0x3fb8aa3b, v31, -v130
	v_rndne_f32_e32 v132, v130
	s_delay_alu instid0(VALU_DEP_1) | instskip(NEXT) | instid1(VALU_DEP_1)
	v_dual_fmamk_f32 v131, v31, 0x32a5705f, v131 :: v_dual_sub_f32 v130, v130, v132
	v_add_f32_e32 v130, v130, v131
	v_cvt_i32_f32_e32 v131, v132
	s_delay_alu instid0(VALU_DEP_2) | instskip(SKIP_2) | instid1(VALU_DEP_1)
	v_exp_f32_e32 v130, v130
	s_waitcnt_depctr 0xfff
	v_ldexp_f32 v130, v130, v131
	v_cndmask_b32_e32 v130, 0, v130, vcc_lo
	v_cmp_nlt_f32_e32 vcc_lo, 0x42b17218, v31
	s_delay_alu instid0(VALU_DEP_2) | instskip(NEXT) | instid1(VALU_DEP_1)
	v_cndmask_b32_e32 v31, 0x7f800000, v130, vcc_lo
	v_add_f32_e32 v132, 1.0, v31
	s_delay_alu instid0(VALU_DEP_1) | instskip(NEXT) | instid1(VALU_DEP_1)
	v_cvt_f64_f32_e32 v[130:131], v132
	v_frexp_exp_i32_f64_e32 v130, v[130:131]
	v_frexp_mant_f32_e32 v131, v132
	s_delay_alu instid0(VALU_DEP_1) | instskip(SKIP_1) | instid1(VALU_DEP_1)
	v_cmp_gt_f32_e32 vcc_lo, 0x3f2aaaab, v131
	v_add_f32_e32 v131, -1.0, v132
	v_sub_f32_e32 v134, v131, v132
	s_delay_alu instid0(VALU_DEP_1) | instskip(NEXT) | instid1(VALU_DEP_1)
	v_dual_sub_f32 v131, v31, v131 :: v_dual_add_f32 v134, 1.0, v134
	v_add_f32_e32 v131, v131, v134
	v_subrev_co_ci_u32_e32 v130, vcc_lo, 0, v130, vcc_lo
	s_delay_alu instid0(VALU_DEP_1) | instskip(SKIP_1) | instid1(VALU_DEP_2)
	v_sub_nc_u32_e32 v133, 0, v130
	v_cvt_f32_i32_e32 v130, v130
	v_ldexp_f32 v132, v132, v133
	v_ldexp_f32 v131, v131, v133
	s_delay_alu instid0(VALU_DEP_2) | instskip(NEXT) | instid1(VALU_DEP_1)
	v_add_f32_e32 v133, -1.0, v132
	v_dual_add_f32 v135, 1.0, v132 :: v_dual_add_f32 v144, 1.0, v133
	s_delay_alu instid0(VALU_DEP_1) | instskip(SKIP_2) | instid1(VALU_DEP_3)
	v_add_f32_e32 v134, -1.0, v135
	v_cmp_eq_f32_e32 vcc_lo, 0x7f800000, v31
	v_cmp_gt_f32_e64 vcc_hi, 0x33800000, |v31|
	v_sub_f32_e32 v134, v132, v134
	v_sub_f32_e32 v132, v132, v144
	s_delay_alu instid0(VALU_DEP_3) | instskip(NEXT) | instid1(VALU_DEP_2)
	s_or_b32 vcc_lo, vcc_lo, vcc_hi
	v_add_f32_e32 v134, v131, v134
	s_delay_alu instid0(VALU_DEP_2) | instskip(NEXT) | instid1(VALU_DEP_1)
	v_add_f32_e32 v131, v131, v132
	v_dual_add_f32 v145, v133, v131 :: v_dual_add_f32 v144, v135, v134
	s_delay_alu instid0(VALU_DEP_1) | instskip(NEXT) | instid1(VALU_DEP_2)
	v_sub_f32_e32 v133, v133, v145
	v_rcp_f32_e32 v132, v144
	v_sub_f32_e32 v135, v135, v144
	s_delay_alu instid0(VALU_DEP_1) | instskip(SKIP_2) | instid1(VALU_DEP_1)
	v_dual_add_f32 v131, v131, v133 :: v_dual_add_f32 v134, v134, v135
	s_waitcnt_depctr 0xfff
	v_mul_f32_e32 v146, v145, v132
	v_mul_f32_e32 v147, v144, v146
	s_delay_alu instid0(VALU_DEP_1) | instskip(NEXT) | instid1(VALU_DEP_1)
	v_fma_f32 v135, v146, v144, -v147
	v_fmac_f32_e32 v135, v146, v134
	s_delay_alu instid0(VALU_DEP_1) | instskip(NEXT) | instid1(VALU_DEP_1)
	v_add_f32_e32 v148, v147, v135
	v_sub_f32_e32 v149, v145, v148
	s_delay_alu instid0(VALU_DEP_1) | instskip(SKIP_1) | instid1(VALU_DEP_2)
	v_sub_f32_e32 v145, v145, v149
	v_sub_f32_e32 v133, v148, v147
	;; [unrolled: 1-line block ×3, first 2 shown]
	s_delay_alu instid0(VALU_DEP_2) | instskip(NEXT) | instid1(VALU_DEP_2)
	v_sub_f32_e32 v133, v133, v135
	v_add_f32_e32 v131, v131, v145
	s_delay_alu instid0(VALU_DEP_1) | instskip(NEXT) | instid1(VALU_DEP_1)
	v_add_f32_e32 v131, v133, v131
	v_add_f32_e32 v133, v149, v131
	s_delay_alu instid0(VALU_DEP_1) | instskip(NEXT) | instid1(VALU_DEP_1)
	v_mul_f32_e32 v135, v132, v133
	v_dual_sub_f32 v148, v149, v133 :: v_dual_mul_f32 v145, v144, v135
	s_delay_alu instid0(VALU_DEP_1) | instskip(NEXT) | instid1(VALU_DEP_2)
	v_add_f32_e32 v131, v131, v148
	v_fma_f32 v144, v135, v144, -v145
	s_delay_alu instid0(VALU_DEP_1) | instskip(NEXT) | instid1(VALU_DEP_1)
	v_fmac_f32_e32 v144, v135, v134
	v_add_f32_e32 v134, v145, v144
	s_delay_alu instid0(VALU_DEP_1) | instskip(SKIP_1) | instid1(VALU_DEP_2)
	v_sub_f32_e32 v147, v133, v134
	v_sub_f32_e32 v145, v134, v145
	;; [unrolled: 1-line block ×3, first 2 shown]
	s_delay_alu instid0(VALU_DEP_1) | instskip(NEXT) | instid1(VALU_DEP_1)
	v_sub_f32_e32 v133, v133, v134
	v_dual_sub_f32 v134, v145, v144 :: v_dual_add_f32 v131, v131, v133
	v_add_f32_e32 v133, v146, v135
	s_delay_alu instid0(VALU_DEP_1) | instskip(NEXT) | instid1(VALU_DEP_1)
	v_dual_add_f32 v131, v134, v131 :: v_dual_sub_f32 v134, v133, v146
	v_add_f32_e32 v131, v147, v131
	s_delay_alu instid0(VALU_DEP_1) | instskip(NEXT) | instid1(VALU_DEP_1)
	v_dual_sub_f32 v134, v135, v134 :: v_dual_mul_f32 v131, v132, v131
	v_add_f32_e32 v131, v134, v131
	s_delay_alu instid0(VALU_DEP_1) | instskip(NEXT) | instid1(VALU_DEP_1)
	v_add_f32_e32 v132, v133, v131
	v_mul_f32_e32 v134, v132, v132
	s_delay_alu instid0(VALU_DEP_1) | instskip(SKIP_1) | instid1(VALU_DEP_2)
	v_fmaak_f32 v135, s30, v134, 0x3ecc95a3
	v_mul_f32_e32 v144, v132, v134
	v_fmaak_f32 v134, v134, v135, 0x3f2aaada
	v_ldexp_f32 v135, v132, 1
	v_sub_f32_e32 v132, v132, v133
	s_delay_alu instid0(VALU_DEP_3) | instskip(NEXT) | instid1(VALU_DEP_2)
	v_mul_f32_e32 v134, v144, v134
	v_dual_mul_f32 v144, 0x3f317218, v130 :: v_dual_sub_f32 v131, v131, v132
	s_delay_alu instid0(VALU_DEP_2) | instskip(NEXT) | instid1(VALU_DEP_2)
	v_add_f32_e32 v133, v135, v134
	v_ldexp_f32 v131, v131, 1
	s_delay_alu instid0(VALU_DEP_2) | instskip(NEXT) | instid1(VALU_DEP_4)
	v_sub_f32_e32 v132, v133, v135
	v_fma_f32 v135, 0x3f317218, v130, -v144
	s_delay_alu instid0(VALU_DEP_2) | instskip(NEXT) | instid1(VALU_DEP_1)
	v_sub_f32_e32 v132, v134, v132
	v_dual_fmamk_f32 v130, v130, 0xb102e308, v135 :: v_dual_add_f32 v131, v131, v132
	s_delay_alu instid0(VALU_DEP_1) | instskip(NEXT) | instid1(VALU_DEP_1)
	v_add_f32_e32 v132, v144, v130
	v_sub_f32_e32 v144, v132, v144
	s_delay_alu instid0(VALU_DEP_1) | instskip(NEXT) | instid1(VALU_DEP_4)
	v_sub_f32_e32 v130, v130, v144
	v_add_f32_e32 v134, v133, v131
	s_delay_alu instid0(VALU_DEP_1) | instskip(NEXT) | instid1(VALU_DEP_1)
	v_sub_f32_e32 v133, v134, v133
	v_sub_f32_e32 v131, v131, v133
	v_add_f32_e32 v135, v132, v134
	s_delay_alu instid0(VALU_DEP_1) | instskip(NEXT) | instid1(VALU_DEP_1)
	v_sub_f32_e32 v145, v135, v132
	v_sub_f32_e32 v133, v134, v145
	s_delay_alu instid0(VALU_DEP_4) | instskip(SKIP_1) | instid1(VALU_DEP_1)
	v_add_f32_e32 v134, v130, v131
	v_sub_f32_e32 v146, v135, v145
	v_sub_f32_e32 v132, v132, v146
	s_delay_alu instid0(VALU_DEP_1) | instskip(NEXT) | instid1(VALU_DEP_1)
	v_dual_add_f32 v132, v133, v132 :: v_dual_sub_f32 v133, v134, v130
	v_dual_add_f32 v132, v134, v132 :: v_dual_sub_f32 v131, v131, v133
	v_sub_f32_e32 v134, v134, v133
	s_delay_alu instid0(VALU_DEP_2) | instskip(NEXT) | instid1(VALU_DEP_1)
	v_add_f32_e32 v144, v135, v132
	v_dual_sub_f32 v130, v130, v134 :: v_dual_sub_f32 v133, v144, v135
	s_delay_alu instid0(VALU_DEP_1) | instskip(NEXT) | instid1(VALU_DEP_1)
	v_dual_add_f32 v130, v131, v130 :: v_dual_sub_f32 v131, v132, v133
	v_add_f32_e32 v130, v130, v131
	s_delay_alu instid0(VALU_DEP_1) | instskip(NEXT) | instid1(VALU_DEP_1)
	v_add_f32_e32 v130, v144, v130
	v_cndmask_b32_e32 v31, v130, v31, vcc_lo
	s_delay_alu instid0(VALU_DEP_1) | instskip(NEXT) | instid1(VALU_DEP_1)
	v_add_f32_e32 v30, v30, v31
	v_cvt_f16_f32_e32 v31, v30
.LBB390_147:
	s_or_b32 exec_lo, exec_lo, s27
	s_delay_alu instid0(VALU_DEP_1)
	v_dual_mov_b32 v133, v31 :: v_dual_and_b32 v30, 0xffff, v31
.LBB390_148:
	s_or_b32 exec_lo, exec_lo, s26
	v_cmp_gt_u32_e32 vcc_lo, 16, v112
	v_add_nc_u32_e32 v132, 16, v112
	s_mov_b32 s26, exec_lo
	s_waitcnt lgkmcnt(0)
	v_cndmask_b32_e64 v31, 0, 1, vcc_lo
	s_delay_alu instid0(VALU_DEP_1) | instskip(NEXT) | instid1(VALU_DEP_1)
	v_lshlrev_b32_e32 v31, 4, v31
	v_add_lshl_u32 v131, v31, v112, 2
	ds_bpermute_b32 v30, v131, v30
	v_cmpx_le_u32_e64 v132, v29
	s_cbranch_execz .LBB390_152
; %bb.149:
	s_waitcnt lgkmcnt(0)
	v_cvt_f32_f16_e32 v29, v30
	v_cvt_f32_f16_e64 v130, v133
	v_cmp_u_f16_e32 vcc_lo, v30, v30
	s_delay_alu instid0(VALU_DEP_2) | instskip(NEXT) | instid1(VALU_DEP_1)
	v_min_f32_e32 v31, v29, v130
	v_dual_max_f32 v134, v29, v130 :: v_dual_cndmask_b32 v31, v31, v29
	s_delay_alu instid0(VALU_DEP_1) | instskip(SKIP_1) | instid1(VALU_DEP_3)
	v_cndmask_b32_e32 v29, v134, v29, vcc_lo
	v_cmp_u_f16_e64 vcc_lo, v133, v133
	v_cndmask_b32_e32 v31, v31, v130, vcc_lo
	s_delay_alu instid0(VALU_DEP_3) | instskip(NEXT) | instid1(VALU_DEP_2)
	v_cndmask_b32_e32 v29, v29, v130, vcc_lo
	v_cmp_class_f32_e64 s27, v31, 0x1f8
	s_delay_alu instid0(VALU_DEP_2) | instskip(NEXT) | instid1(VALU_DEP_2)
	v_cmp_neq_f32_e32 vcc_lo, v31, v29
	s_or_b32 vcc_lo, vcc_lo, s27
	s_delay_alu instid0(SALU_CYCLE_1)
	s_and_saveexec_b32 s27, vcc_lo
	s_cbranch_execz .LBB390_151
; %bb.150:
	v_sub_f32_e32 v30, v31, v29
	s_mov_b32 s30, 0x3e9b6dac
	s_delay_alu instid0(VALU_DEP_1) | instskip(SKIP_1) | instid1(VALU_DEP_2)
	v_mul_f32_e32 v31, 0x3fb8aa3b, v30
	v_cmp_ngt_f32_e32 vcc_lo, 0xc2ce8ed0, v30
	v_fma_f32 v130, 0x3fb8aa3b, v30, -v31
	v_rndne_f32_e32 v133, v31
	s_delay_alu instid0(VALU_DEP_1) | instskip(NEXT) | instid1(VALU_DEP_1)
	v_dual_fmamk_f32 v130, v30, 0x32a5705f, v130 :: v_dual_sub_f32 v31, v31, v133
	v_add_f32_e32 v31, v31, v130
	v_cvt_i32_f32_e32 v130, v133
	s_delay_alu instid0(VALU_DEP_2) | instskip(SKIP_2) | instid1(VALU_DEP_1)
	v_exp_f32_e32 v31, v31
	s_waitcnt_depctr 0xfff
	v_ldexp_f32 v31, v31, v130
	v_cndmask_b32_e32 v31, 0, v31, vcc_lo
	v_cmp_nlt_f32_e32 vcc_lo, 0x42b17218, v30
	s_delay_alu instid0(VALU_DEP_2) | instskip(NEXT) | instid1(VALU_DEP_1)
	v_cndmask_b32_e32 v130, 0x7f800000, v31, vcc_lo
	v_add_f32_e32 v133, 1.0, v130
	s_delay_alu instid0(VALU_DEP_1) | instskip(NEXT) | instid1(VALU_DEP_1)
	v_cvt_f64_f32_e32 v[30:31], v133
	v_frexp_exp_i32_f64_e32 v30, v[30:31]
	v_frexp_mant_f32_e32 v31, v133
	s_delay_alu instid0(VALU_DEP_1) | instskip(SKIP_1) | instid1(VALU_DEP_1)
	v_cmp_gt_f32_e32 vcc_lo, 0x3f2aaaab, v31
	v_add_f32_e32 v31, -1.0, v133
	v_sub_f32_e32 v135, v31, v133
	s_delay_alu instid0(VALU_DEP_1) | instskip(SKIP_3) | instid1(VALU_DEP_3)
	v_add_f32_e32 v135, 1.0, v135
	v_subrev_co_ci_u32_e32 v30, vcc_lo, 0, v30, vcc_lo
	v_cmp_eq_f32_e32 vcc_lo, 0x7f800000, v130
	v_cmp_gt_f32_e64 vcc_hi, 0x33800000, |v130|
	v_sub_nc_u32_e32 v134, 0, v30
	v_cvt_f32_i32_e32 v30, v30
	s_delay_alu instid0(VALU_DEP_3) | instskip(NEXT) | instid1(VALU_DEP_2)
	s_or_b32 vcc_lo, vcc_lo, vcc_hi
	v_ldexp_f32 v133, v133, v134
	s_delay_alu instid0(VALU_DEP_1) | instskip(NEXT) | instid1(VALU_DEP_1)
	v_dual_add_f32 v144, 1.0, v133 :: v_dual_sub_f32 v31, v130, v31
	v_add_f32_e32 v31, v31, v135
	s_delay_alu instid0(VALU_DEP_2) | instskip(NEXT) | instid1(VALU_DEP_2)
	v_add_f32_e32 v135, -1.0, v144
	v_ldexp_f32 v31, v31, v134
	s_delay_alu instid0(VALU_DEP_2) | instskip(NEXT) | instid1(VALU_DEP_1)
	v_dual_add_f32 v134, -1.0, v133 :: v_dual_sub_f32 v135, v133, v135
	v_add_f32_e32 v145, 1.0, v134
	s_delay_alu instid0(VALU_DEP_2) | instskip(NEXT) | instid1(VALU_DEP_2)
	v_add_f32_e32 v135, v31, v135
	v_sub_f32_e32 v133, v133, v145
	s_delay_alu instid0(VALU_DEP_2) | instskip(NEXT) | instid1(VALU_DEP_2)
	v_add_f32_e32 v145, v144, v135
	v_add_f32_e32 v31, v31, v133
	s_delay_alu instid0(VALU_DEP_2) | instskip(SKIP_1) | instid1(VALU_DEP_1)
	v_rcp_f32_e32 v133, v145
	v_sub_f32_e32 v144, v144, v145
	v_dual_add_f32 v146, v134, v31 :: v_dual_add_f32 v135, v135, v144
	s_delay_alu instid0(VALU_DEP_1) | instskip(SKIP_2) | instid1(VALU_DEP_1)
	v_sub_f32_e32 v134, v134, v146
	s_waitcnt_depctr 0xfff
	v_mul_f32_e32 v147, v146, v133
	v_dual_add_f32 v31, v31, v134 :: v_dual_mul_f32 v148, v145, v147
	s_delay_alu instid0(VALU_DEP_1) | instskip(NEXT) | instid1(VALU_DEP_1)
	v_fma_f32 v144, v147, v145, -v148
	v_fmac_f32_e32 v144, v147, v135
	s_delay_alu instid0(VALU_DEP_1) | instskip(NEXT) | instid1(VALU_DEP_1)
	v_add_f32_e32 v149, v148, v144
	v_sub_f32_e32 v150, v146, v149
	v_sub_f32_e32 v134, v149, v148
	s_delay_alu instid0(VALU_DEP_2) | instskip(NEXT) | instid1(VALU_DEP_2)
	v_sub_f32_e32 v146, v146, v150
	v_sub_f32_e32 v134, v134, v144
	s_delay_alu instid0(VALU_DEP_2) | instskip(NEXT) | instid1(VALU_DEP_1)
	v_sub_f32_e32 v146, v146, v149
	v_add_f32_e32 v31, v31, v146
	s_delay_alu instid0(VALU_DEP_1) | instskip(NEXT) | instid1(VALU_DEP_1)
	v_add_f32_e32 v31, v134, v31
	v_add_f32_e32 v134, v150, v31
	s_delay_alu instid0(VALU_DEP_1) | instskip(NEXT) | instid1(VALU_DEP_1)
	v_mul_f32_e32 v144, v133, v134
	v_dual_sub_f32 v149, v150, v134 :: v_dual_mul_f32 v146, v145, v144
	s_delay_alu instid0(VALU_DEP_1) | instskip(NEXT) | instid1(VALU_DEP_2)
	v_add_f32_e32 v31, v31, v149
	v_fma_f32 v145, v144, v145, -v146
	s_delay_alu instid0(VALU_DEP_1) | instskip(NEXT) | instid1(VALU_DEP_1)
	v_fmac_f32_e32 v145, v144, v135
	v_add_f32_e32 v135, v146, v145
	s_delay_alu instid0(VALU_DEP_1) | instskip(SKIP_1) | instid1(VALU_DEP_2)
	v_sub_f32_e32 v148, v134, v135
	v_sub_f32_e32 v146, v135, v146
	;; [unrolled: 1-line block ×3, first 2 shown]
	s_delay_alu instid0(VALU_DEP_1) | instskip(NEXT) | instid1(VALU_DEP_3)
	v_sub_f32_e32 v134, v134, v135
	v_sub_f32_e32 v135, v146, v145
	s_delay_alu instid0(VALU_DEP_2) | instskip(SKIP_1) | instid1(VALU_DEP_2)
	v_add_f32_e32 v31, v31, v134
	v_add_f32_e32 v134, v147, v144
	;; [unrolled: 1-line block ×3, first 2 shown]
	s_delay_alu instid0(VALU_DEP_2) | instskip(NEXT) | instid1(VALU_DEP_2)
	v_sub_f32_e32 v135, v134, v147
	v_add_f32_e32 v31, v148, v31
	s_delay_alu instid0(VALU_DEP_2) | instskip(NEXT) | instid1(VALU_DEP_2)
	v_sub_f32_e32 v135, v144, v135
	v_mul_f32_e32 v31, v133, v31
	s_delay_alu instid0(VALU_DEP_1) | instskip(NEXT) | instid1(VALU_DEP_1)
	v_add_f32_e32 v31, v135, v31
	v_add_f32_e32 v133, v134, v31
	s_delay_alu instid0(VALU_DEP_1) | instskip(NEXT) | instid1(VALU_DEP_1)
	v_mul_f32_e32 v135, v133, v133
	v_fmaak_f32 v144, s30, v135, 0x3ecc95a3
	v_mul_f32_e32 v145, v133, v135
	s_delay_alu instid0(VALU_DEP_2) | instskip(SKIP_2) | instid1(VALU_DEP_3)
	v_fmaak_f32 v135, v135, v144, 0x3f2aaada
	v_ldexp_f32 v144, v133, 1
	v_sub_f32_e32 v133, v133, v134
	v_mul_f32_e32 v135, v145, v135
	v_mul_f32_e32 v145, 0x3f317218, v30
	s_delay_alu instid0(VALU_DEP_2) | instskip(NEXT) | instid1(VALU_DEP_1)
	v_dual_sub_f32 v31, v31, v133 :: v_dual_add_f32 v134, v144, v135
	v_ldexp_f32 v31, v31, 1
	s_delay_alu instid0(VALU_DEP_2) | instskip(NEXT) | instid1(VALU_DEP_4)
	v_sub_f32_e32 v133, v134, v144
	v_fma_f32 v144, 0x3f317218, v30, -v145
	s_delay_alu instid0(VALU_DEP_1) | instskip(NEXT) | instid1(VALU_DEP_1)
	v_dual_sub_f32 v133, v135, v133 :: v_dual_fmamk_f32 v30, v30, 0xb102e308, v144
	v_add_f32_e32 v31, v31, v133
	s_delay_alu instid0(VALU_DEP_2) | instskip(NEXT) | instid1(VALU_DEP_2)
	v_add_f32_e32 v133, v145, v30
	v_add_f32_e32 v135, v134, v31
	s_delay_alu instid0(VALU_DEP_2) | instskip(NEXT) | instid1(VALU_DEP_2)
	v_sub_f32_e32 v145, v133, v145
	v_add_f32_e32 v144, v133, v135
	v_sub_f32_e32 v134, v135, v134
	s_delay_alu instid0(VALU_DEP_3) | instskip(NEXT) | instid1(VALU_DEP_2)
	v_sub_f32_e32 v30, v30, v145
	v_dual_sub_f32 v146, v144, v133 :: v_dual_sub_f32 v31, v31, v134
	s_delay_alu instid0(VALU_DEP_1) | instskip(NEXT) | instid1(VALU_DEP_2)
	v_sub_f32_e32 v147, v144, v146
	v_dual_sub_f32 v134, v135, v146 :: v_dual_add_f32 v135, v30, v31
	s_delay_alu instid0(VALU_DEP_2) | instskip(NEXT) | instid1(VALU_DEP_1)
	v_sub_f32_e32 v133, v133, v147
	v_dual_add_f32 v133, v134, v133 :: v_dual_sub_f32 v134, v135, v30
	s_delay_alu instid0(VALU_DEP_1) | instskip(NEXT) | instid1(VALU_DEP_2)
	v_add_f32_e32 v133, v135, v133
	v_sub_f32_e32 v135, v135, v134
	v_sub_f32_e32 v31, v31, v134
	s_delay_alu instid0(VALU_DEP_2) | instskip(NEXT) | instid1(VALU_DEP_1)
	v_dual_add_f32 v145, v144, v133 :: v_dual_sub_f32 v30, v30, v135
	v_sub_f32_e32 v134, v145, v144
	s_delay_alu instid0(VALU_DEP_2) | instskip(NEXT) | instid1(VALU_DEP_2)
	v_add_f32_e32 v30, v31, v30
	v_sub_f32_e32 v31, v133, v134
	s_delay_alu instid0(VALU_DEP_1) | instskip(NEXT) | instid1(VALU_DEP_1)
	v_add_f32_e32 v30, v30, v31
	v_add_f32_e32 v30, v145, v30
	s_delay_alu instid0(VALU_DEP_1) | instskip(NEXT) | instid1(VALU_DEP_1)
	v_cndmask_b32_e32 v30, v30, v130, vcc_lo
	v_add_f32_e32 v29, v29, v30
	s_delay_alu instid0(VALU_DEP_1)
	v_cvt_f16_f32_e32 v30, v29
.LBB390_151:
	s_or_b32 exec_lo, exec_lo, s27
	s_delay_alu instid0(VALU_DEP_1)
	v_mov_b32_e32 v133, v30
.LBB390_152:
	s_or_b32 exec_lo, exec_lo, s26
	v_mov_b32_e32 v29, 0
	s_mov_b32 s26, 0x3e9b6dac
	s_branch .LBB390_154
.LBB390_153:                            ;   in Loop: Header=BB390_154 Depth=1
	s_or_b32 exec_lo, exec_lo, s27
	v_subrev_nc_u32_e32 v28, 32, v28
.LBB390_154:                            ; =>This Loop Header: Depth=1
                                        ;     Child Loop BB390_157 Depth 2
                                        ;       Child Loop BB390_158 Depth 3
	s_waitcnt lgkmcnt(0)
	v_and_b32_e32 v30, 0xff, v115
	v_mov_b32_e32 v130, v133
	s_delay_alu instid0(VALU_DEP_2) | instskip(SKIP_2) | instid1(VALU_DEP_1)
	v_cmp_ne_u16_e32 vcc_lo, 2, v30
	v_cndmask_b32_e64 v30, 0, 1, vcc_lo
	;;#ASMSTART
	;;#ASMEND
	v_cmp_ne_u32_e32 vcc_lo, 0, v30
	s_cmp_lg_u32 vcc_lo, exec_lo
	s_cbranch_scc1 .LBB390_183
; %bb.155:                              ;   in Loop: Header=BB390_154 Depth=1
	v_lshlrev_b64 v[30:31], 2, v[28:29]
	s_mov_b32 s27, exec_lo
	s_delay_alu instid0(VALU_DEP_1) | instskip(NEXT) | instid1(VALU_DEP_2)
	v_add_co_u32 v30, vcc_lo, v18, v30
	v_add_co_ci_u32_e32 v31, vcc_lo, v19, v31, vcc_lo
	flat_load_b32 v133, v[30:31] glc
	s_waitcnt vmcnt(0) lgkmcnt(0)
	v_lshrrev_b32_e32 v115, 16, v133
	s_delay_alu instid0(VALU_DEP_1) | instskip(NEXT) | instid1(VALU_DEP_1)
	v_and_b32_e32 v134, 0xff, v115
	v_cmpx_eq_u16_e64 0, v134
	s_cbranch_execz .LBB390_161
; %bb.156:                              ;   in Loop: Header=BB390_154 Depth=1
	s_mov_b32 s30, 1
	s_mov_b32 vcc_hi, 0
	.p2align	6
.LBB390_157:                            ;   Parent Loop BB390_154 Depth=1
                                        ; =>  This Loop Header: Depth=2
                                        ;       Child Loop BB390_158 Depth 3
	s_max_u32 vcc_lo, s30, 1
.LBB390_158:                            ;   Parent Loop BB390_154 Depth=1
                                        ;     Parent Loop BB390_157 Depth=2
                                        ; =>    This Inner Loop Header: Depth=3
	s_delay_alu instid0(SALU_CYCLE_1)
	s_add_i32 vcc_lo, vcc_lo, -1
	s_sleep 1
	s_cmp_eq_u32 vcc_lo, 0
	s_cbranch_scc0 .LBB390_158
; %bb.159:                              ;   in Loop: Header=BB390_157 Depth=2
	flat_load_b32 v133, v[30:31] glc
	s_cmp_lt_u32 s30, 32
	s_cselect_b32 s31, -1, 0
	s_delay_alu instid0(SALU_CYCLE_1) | instskip(SKIP_3) | instid1(VALU_DEP_1)
	s_cmp_lg_u32 s31, 0
	s_addc_u32 s30, s30, 0
	s_waitcnt vmcnt(0) lgkmcnt(0)
	v_lshrrev_b32_e32 v115, 16, v133
	v_and_b32_e32 v134, 0xff, v115
	s_delay_alu instid0(VALU_DEP_1) | instskip(NEXT) | instid1(VALU_DEP_1)
	v_cmp_ne_u16_e64 vcc_lo, 0, v134
	s_or_b32 vcc_hi, vcc_lo, vcc_hi
	s_delay_alu instid0(SALU_CYCLE_1)
	s_and_not1_b32 exec_lo, exec_lo, vcc_hi
	s_cbranch_execnz .LBB390_157
; %bb.160:                              ;   in Loop: Header=BB390_154 Depth=1
	s_or_b32 exec_lo, exec_lo, vcc_hi
.LBB390_161:                            ;   in Loop: Header=BB390_154 Depth=1
	s_delay_alu instid0(SALU_CYCLE_1)
	s_or_b32 exec_lo, exec_lo, s27
	v_and_b32_e32 v31, 0xffff, v133
	v_and_b32_e32 v30, 0xff, v115
	s_mov_b32 s27, exec_lo
	ds_bpermute_b32 v134, v113, v31
	v_cmp_eq_u16_e32 vcc_lo, 2, v30
	v_and_or_b32 v30, vcc_lo, v114, 0x80000000
	s_delay_alu instid0(VALU_DEP_1) | instskip(NEXT) | instid1(VALU_DEP_1)
	v_ctz_i32_b32_e32 v30, v30
	v_cmpx_lt_u32_e64 v112, v30
	s_cbranch_execz .LBB390_165
; %bb.162:                              ;   in Loop: Header=BB390_154 Depth=1
	s_waitcnt lgkmcnt(0)
	v_cvt_f32_f16_e64 v31, v134
	v_cvt_f32_f16_e64 v135, v133
	v_cmp_u_f16_e64 vcc_lo, v134, v134
	s_delay_alu instid0(VALU_DEP_2) | instskip(SKIP_1) | instid1(VALU_DEP_2)
	v_min_f32_e32 v144, v31, v135
	v_max_f32_e32 v145, v31, v135
	v_cndmask_b32_e32 v144, v144, v31, vcc_lo
	s_delay_alu instid0(VALU_DEP_2) | instskip(SKIP_1) | instid1(VALU_DEP_3)
	v_cndmask_b32_e32 v31, v145, v31, vcc_lo
	v_cmp_u_f16_e64 vcc_lo, v133, v133
	v_cndmask_b32_e32 v133, v144, v135, vcc_lo
	s_delay_alu instid0(VALU_DEP_3) | instskip(NEXT) | instid1(VALU_DEP_1)
	v_cndmask_b32_e32 v31, v31, v135, vcc_lo
	v_cmp_neq_f32_e32 vcc_lo, v133, v31
	v_cmp_class_f32_e64 vcc_hi, v133, 0x1f8
	s_delay_alu instid0(VALU_DEP_1) | instskip(NEXT) | instid1(SALU_CYCLE_1)
	s_or_b32 vcc_lo, vcc_lo, vcc_hi
	s_and_saveexec_b32 vcc_hi, vcc_lo
	s_cbranch_execz .LBB390_164
; %bb.163:                              ;   in Loop: Header=BB390_154 Depth=1
	v_sub_f32_e32 v133, v133, v31
	s_delay_alu instid0(VALU_DEP_1) | instskip(NEXT) | instid1(VALU_DEP_1)
	v_mul_f32_e32 v134, 0x3fb8aa3b, v133
	v_fma_f32 v135, 0x3fb8aa3b, v133, -v134
	v_rndne_f32_e32 v144, v134
	s_delay_alu instid0(VALU_DEP_1) | instskip(SKIP_1) | instid1(VALU_DEP_4)
	v_sub_f32_e32 v134, v134, v144
	v_cmp_ngt_f32_e32 vcc_lo, 0xc2ce8ed0, v133
	v_fmac_f32_e32 v135, 0x32a5705f, v133
	s_delay_alu instid0(VALU_DEP_1) | instskip(SKIP_1) | instid1(VALU_DEP_2)
	v_add_f32_e32 v134, v134, v135
	v_cvt_i32_f32_e32 v135, v144
	v_exp_f32_e32 v134, v134
	s_waitcnt_depctr 0xfff
	v_ldexp_f32 v134, v134, v135
	s_delay_alu instid0(VALU_DEP_1) | instskip(SKIP_1) | instid1(VALU_DEP_2)
	v_cndmask_b32_e32 v134, 0, v134, vcc_lo
	v_cmp_nlt_f32_e32 vcc_lo, 0x42b17218, v133
	v_cndmask_b32_e32 v135, 0x7f800000, v134, vcc_lo
	s_delay_alu instid0(VALU_DEP_1) | instskip(NEXT) | instid1(VALU_DEP_1)
	v_add_f32_e32 v144, 1.0, v135
	v_cvt_f64_f32_e32 v[133:134], v144
	s_delay_alu instid0(VALU_DEP_1) | instskip(SKIP_1) | instid1(VALU_DEP_1)
	v_frexp_exp_i32_f64_e32 v133, v[133:134]
	v_frexp_mant_f32_e32 v134, v144
	v_cmp_gt_f32_e32 vcc_lo, 0x3f2aaaab, v134
	v_add_f32_e32 v134, -1.0, v144
	v_cmp_gt_f32_e64 s30, 0x33800000, |v135|
	s_delay_alu instid0(VALU_DEP_2) | instskip(SKIP_3) | instid1(VALU_DEP_2)
	v_sub_f32_e32 v146, v134, v144
	v_sub_f32_e32 v134, v135, v134
	v_subrev_co_ci_u32_e32 v133, vcc_lo, 0, v133, vcc_lo
	v_cmp_eq_f32_e32 vcc_lo, 0x7f800000, v135
	v_sub_nc_u32_e32 v145, 0, v133
	v_cvt_f32_i32_e32 v133, v133
	s_or_b32 vcc_lo, vcc_lo, s30
	s_delay_alu instid0(VALU_DEP_2) | instskip(NEXT) | instid1(VALU_DEP_1)
	v_ldexp_f32 v144, v144, v145
	v_dual_add_f32 v147, 1.0, v144 :: v_dual_add_f32 v146, 1.0, v146
	s_delay_alu instid0(VALU_DEP_1) | instskip(NEXT) | instid1(VALU_DEP_2)
	v_add_f32_e32 v134, v134, v146
	v_add_f32_e32 v146, -1.0, v147
	s_delay_alu instid0(VALU_DEP_2) | instskip(NEXT) | instid1(VALU_DEP_2)
	v_ldexp_f32 v134, v134, v145
	v_dual_add_f32 v145, -1.0, v144 :: v_dual_sub_f32 v146, v144, v146
	s_delay_alu instid0(VALU_DEP_1) | instskip(NEXT) | instid1(VALU_DEP_2)
	v_add_f32_e32 v148, 1.0, v145
	v_add_f32_e32 v146, v134, v146
	s_delay_alu instid0(VALU_DEP_2) | instskip(NEXT) | instid1(VALU_DEP_2)
	v_sub_f32_e32 v144, v144, v148
	v_add_f32_e32 v148, v147, v146
	s_delay_alu instid0(VALU_DEP_2) | instskip(NEXT) | instid1(VALU_DEP_2)
	v_add_f32_e32 v134, v134, v144
	v_rcp_f32_e32 v144, v148
	v_sub_f32_e32 v147, v147, v148
	s_delay_alu instid0(VALU_DEP_1) | instskip(NEXT) | instid1(VALU_DEP_1)
	v_dual_add_f32 v149, v145, v134 :: v_dual_add_f32 v146, v146, v147
	v_sub_f32_e32 v145, v145, v149
	s_waitcnt_depctr 0xfff
	v_mul_f32_e32 v150, v149, v144
	s_delay_alu instid0(VALU_DEP_1) | instskip(NEXT) | instid1(VALU_DEP_1)
	v_dual_add_f32 v134, v134, v145 :: v_dual_mul_f32 v151, v148, v150
	v_fma_f32 v147, v150, v148, -v151
	s_delay_alu instid0(VALU_DEP_1) | instskip(NEXT) | instid1(VALU_DEP_1)
	v_fmac_f32_e32 v147, v150, v146
	v_add_f32_e32 v160, v151, v147
	s_delay_alu instid0(VALU_DEP_1) | instskip(SKIP_1) | instid1(VALU_DEP_2)
	v_sub_f32_e32 v161, v149, v160
	v_sub_f32_e32 v145, v160, v151
	;; [unrolled: 1-line block ×3, first 2 shown]
	s_delay_alu instid0(VALU_DEP_2) | instskip(NEXT) | instid1(VALU_DEP_2)
	v_sub_f32_e32 v145, v145, v147
	v_sub_f32_e32 v149, v149, v160
	s_delay_alu instid0(VALU_DEP_1) | instskip(NEXT) | instid1(VALU_DEP_1)
	v_add_f32_e32 v134, v134, v149
	v_add_f32_e32 v134, v145, v134
	s_delay_alu instid0(VALU_DEP_1) | instskip(NEXT) | instid1(VALU_DEP_1)
	v_add_f32_e32 v145, v161, v134
	v_mul_f32_e32 v147, v144, v145
	s_delay_alu instid0(VALU_DEP_1) | instskip(NEXT) | instid1(VALU_DEP_1)
	v_dual_sub_f32 v160, v161, v145 :: v_dual_mul_f32 v149, v148, v147
	v_add_f32_e32 v134, v134, v160
	s_delay_alu instid0(VALU_DEP_2) | instskip(NEXT) | instid1(VALU_DEP_1)
	v_fma_f32 v148, v147, v148, -v149
	v_fmac_f32_e32 v148, v147, v146
	s_delay_alu instid0(VALU_DEP_1) | instskip(NEXT) | instid1(VALU_DEP_1)
	v_add_f32_e32 v146, v149, v148
	v_sub_f32_e32 v151, v145, v146
	v_sub_f32_e32 v149, v146, v149
	s_delay_alu instid0(VALU_DEP_2) | instskip(NEXT) | instid1(VALU_DEP_1)
	v_sub_f32_e32 v145, v145, v151
	v_sub_f32_e32 v145, v145, v146
	s_delay_alu instid0(VALU_DEP_3) | instskip(NEXT) | instid1(VALU_DEP_2)
	v_sub_f32_e32 v146, v149, v148
	v_add_f32_e32 v134, v134, v145
	v_add_f32_e32 v145, v150, v147
	s_delay_alu instid0(VALU_DEP_2) | instskip(NEXT) | instid1(VALU_DEP_2)
	v_add_f32_e32 v134, v146, v134
	v_sub_f32_e32 v146, v145, v150
	s_delay_alu instid0(VALU_DEP_2) | instskip(NEXT) | instid1(VALU_DEP_2)
	v_add_f32_e32 v134, v151, v134
	v_sub_f32_e32 v146, v147, v146
	s_delay_alu instid0(VALU_DEP_2) | instskip(NEXT) | instid1(VALU_DEP_1)
	v_mul_f32_e32 v134, v144, v134
	v_add_f32_e32 v134, v146, v134
	s_delay_alu instid0(VALU_DEP_1) | instskip(NEXT) | instid1(VALU_DEP_1)
	v_add_f32_e32 v144, v145, v134
	v_mul_f32_e32 v146, v144, v144
	s_delay_alu instid0(VALU_DEP_1) | instskip(SKIP_1) | instid1(VALU_DEP_2)
	v_fmaak_f32 v147, s26, v146, 0x3ecc95a3
	v_mul_f32_e32 v148, v144, v146
	v_fmaak_f32 v146, v146, v147, 0x3f2aaada
	v_ldexp_f32 v147, v144, 1
	v_sub_f32_e32 v144, v144, v145
	s_delay_alu instid0(VALU_DEP_3) | instskip(SKIP_1) | instid1(VALU_DEP_2)
	v_mul_f32_e32 v146, v148, v146
	v_mul_f32_e32 v148, 0x3f317218, v133
	v_dual_sub_f32 v134, v134, v144 :: v_dual_add_f32 v145, v147, v146
	s_delay_alu instid0(VALU_DEP_1) | instskip(NEXT) | instid1(VALU_DEP_2)
	v_ldexp_f32 v134, v134, 1
	v_sub_f32_e32 v144, v145, v147
	s_delay_alu instid0(VALU_DEP_4) | instskip(NEXT) | instid1(VALU_DEP_1)
	v_fma_f32 v147, 0x3f317218, v133, -v148
	v_dual_sub_f32 v144, v146, v144 :: v_dual_fmac_f32 v147, 0xb102e308, v133
	s_delay_alu instid0(VALU_DEP_1) | instskip(NEXT) | instid1(VALU_DEP_1)
	v_dual_add_f32 v133, v134, v144 :: v_dual_add_f32 v134, v148, v147
	v_add_f32_e32 v144, v145, v133
	s_delay_alu instid0(VALU_DEP_2) | instskip(NEXT) | instid1(VALU_DEP_2)
	v_sub_f32_e32 v148, v134, v148
	v_dual_add_f32 v146, v134, v144 :: v_dual_sub_f32 v145, v144, v145
	s_delay_alu instid0(VALU_DEP_2) | instskip(NEXT) | instid1(VALU_DEP_2)
	v_sub_f32_e32 v147, v147, v148
	v_sub_f32_e32 v149, v146, v134
	s_delay_alu instid0(VALU_DEP_3) | instskip(NEXT) | instid1(VALU_DEP_2)
	v_sub_f32_e32 v133, v133, v145
	v_sub_f32_e32 v150, v146, v149
	;; [unrolled: 1-line block ×3, first 2 shown]
	s_delay_alu instid0(VALU_DEP_2) | instskip(NEXT) | instid1(VALU_DEP_1)
	v_dual_add_f32 v145, v147, v133 :: v_dual_sub_f32 v134, v134, v150
	v_add_f32_e32 v134, v144, v134
	s_delay_alu instid0(VALU_DEP_2) | instskip(NEXT) | instid1(VALU_DEP_2)
	v_sub_f32_e32 v144, v145, v147
	v_add_f32_e32 v134, v145, v134
	s_delay_alu instid0(VALU_DEP_2) | instskip(NEXT) | instid1(VALU_DEP_2)
	v_sub_f32_e32 v145, v145, v144
	v_dual_sub_f32 v133, v133, v144 :: v_dual_add_f32 v148, v146, v134
	s_delay_alu instid0(VALU_DEP_1) | instskip(NEXT) | instid1(VALU_DEP_1)
	v_dual_sub_f32 v145, v147, v145 :: v_dual_sub_f32 v144, v148, v146
	v_dual_add_f32 v133, v133, v145 :: v_dual_sub_f32 v134, v134, v144
	s_delay_alu instid0(VALU_DEP_1) | instskip(NEXT) | instid1(VALU_DEP_1)
	v_add_f32_e32 v133, v133, v134
	v_add_f32_e32 v133, v148, v133
	s_delay_alu instid0(VALU_DEP_1) | instskip(NEXT) | instid1(VALU_DEP_1)
	v_cndmask_b32_e32 v133, v133, v135, vcc_lo
	v_add_f32_e32 v31, v31, v133
	s_delay_alu instid0(VALU_DEP_1)
	v_cvt_f16_f32_e64 v134, v31
.LBB390_164:                            ;   in Loop: Header=BB390_154 Depth=1
	s_or_b32 exec_lo, exec_lo, vcc_hi
	s_delay_alu instid0(VALU_DEP_1)
	v_and_b32_e32 v31, 0xffff, v134
	v_mov_b32_e32 v133, v134
.LBB390_165:                            ;   in Loop: Header=BB390_154 Depth=1
	s_or_b32 exec_lo, exec_lo, s27
	s_waitcnt lgkmcnt(0)
	ds_bpermute_b32 v134, v116, v31
	s_mov_b32 s27, exec_lo
	v_cmpx_le_u32_e64 v117, v30
	s_cbranch_execz .LBB390_169
; %bb.166:                              ;   in Loop: Header=BB390_154 Depth=1
	s_waitcnt lgkmcnt(0)
	v_cvt_f32_f16_e64 v31, v134
	v_cvt_f32_f16_e64 v135, v133
	v_cmp_u_f16_e64 vcc_lo, v134, v134
	s_delay_alu instid0(VALU_DEP_2) | instskip(SKIP_1) | instid1(VALU_DEP_2)
	v_min_f32_e32 v144, v31, v135
	v_max_f32_e32 v145, v31, v135
	v_cndmask_b32_e32 v144, v144, v31, vcc_lo
	s_delay_alu instid0(VALU_DEP_2) | instskip(SKIP_1) | instid1(VALU_DEP_3)
	v_cndmask_b32_e32 v31, v145, v31, vcc_lo
	v_cmp_u_f16_e64 vcc_lo, v133, v133
	v_cndmask_b32_e32 v133, v144, v135, vcc_lo
	s_delay_alu instid0(VALU_DEP_3) | instskip(NEXT) | instid1(VALU_DEP_1)
	v_cndmask_b32_e32 v31, v31, v135, vcc_lo
	v_cmp_neq_f32_e32 vcc_lo, v133, v31
	v_cmp_class_f32_e64 vcc_hi, v133, 0x1f8
	s_delay_alu instid0(VALU_DEP_1) | instskip(NEXT) | instid1(SALU_CYCLE_1)
	s_or_b32 vcc_lo, vcc_lo, vcc_hi
	s_and_saveexec_b32 vcc_hi, vcc_lo
	s_cbranch_execz .LBB390_168
; %bb.167:                              ;   in Loop: Header=BB390_154 Depth=1
	v_sub_f32_e32 v133, v133, v31
	s_delay_alu instid0(VALU_DEP_1) | instskip(NEXT) | instid1(VALU_DEP_1)
	v_mul_f32_e32 v134, 0x3fb8aa3b, v133
	v_fma_f32 v135, 0x3fb8aa3b, v133, -v134
	v_rndne_f32_e32 v144, v134
	s_delay_alu instid0(VALU_DEP_1) | instskip(SKIP_1) | instid1(VALU_DEP_4)
	v_sub_f32_e32 v134, v134, v144
	v_cmp_ngt_f32_e32 vcc_lo, 0xc2ce8ed0, v133
	v_fmac_f32_e32 v135, 0x32a5705f, v133
	s_delay_alu instid0(VALU_DEP_1) | instskip(SKIP_1) | instid1(VALU_DEP_2)
	v_add_f32_e32 v134, v134, v135
	v_cvt_i32_f32_e32 v135, v144
	v_exp_f32_e32 v134, v134
	s_waitcnt_depctr 0xfff
	v_ldexp_f32 v134, v134, v135
	s_delay_alu instid0(VALU_DEP_1) | instskip(SKIP_1) | instid1(VALU_DEP_2)
	v_cndmask_b32_e32 v134, 0, v134, vcc_lo
	v_cmp_nlt_f32_e32 vcc_lo, 0x42b17218, v133
	v_cndmask_b32_e32 v135, 0x7f800000, v134, vcc_lo
	s_delay_alu instid0(VALU_DEP_1) | instskip(NEXT) | instid1(VALU_DEP_1)
	v_add_f32_e32 v144, 1.0, v135
	v_cvt_f64_f32_e32 v[133:134], v144
	s_delay_alu instid0(VALU_DEP_1) | instskip(SKIP_1) | instid1(VALU_DEP_1)
	v_frexp_exp_i32_f64_e32 v133, v[133:134]
	v_frexp_mant_f32_e32 v134, v144
	v_cmp_gt_f32_e32 vcc_lo, 0x3f2aaaab, v134
	v_add_f32_e32 v134, -1.0, v144
	v_cmp_gt_f32_e64 s30, 0x33800000, |v135|
	s_delay_alu instid0(VALU_DEP_2) | instskip(SKIP_3) | instid1(VALU_DEP_2)
	v_sub_f32_e32 v146, v134, v144
	v_sub_f32_e32 v134, v135, v134
	v_subrev_co_ci_u32_e32 v133, vcc_lo, 0, v133, vcc_lo
	v_cmp_eq_f32_e32 vcc_lo, 0x7f800000, v135
	v_sub_nc_u32_e32 v145, 0, v133
	v_cvt_f32_i32_e32 v133, v133
	s_or_b32 vcc_lo, vcc_lo, s30
	s_delay_alu instid0(VALU_DEP_2) | instskip(NEXT) | instid1(VALU_DEP_1)
	v_ldexp_f32 v144, v144, v145
	v_dual_add_f32 v147, 1.0, v144 :: v_dual_add_f32 v146, 1.0, v146
	s_delay_alu instid0(VALU_DEP_1) | instskip(NEXT) | instid1(VALU_DEP_2)
	v_add_f32_e32 v134, v134, v146
	v_add_f32_e32 v146, -1.0, v147
	s_delay_alu instid0(VALU_DEP_2) | instskip(NEXT) | instid1(VALU_DEP_2)
	v_ldexp_f32 v134, v134, v145
	v_dual_add_f32 v145, -1.0, v144 :: v_dual_sub_f32 v146, v144, v146
	s_delay_alu instid0(VALU_DEP_1) | instskip(NEXT) | instid1(VALU_DEP_2)
	v_add_f32_e32 v148, 1.0, v145
	v_add_f32_e32 v146, v134, v146
	s_delay_alu instid0(VALU_DEP_2) | instskip(NEXT) | instid1(VALU_DEP_2)
	v_sub_f32_e32 v144, v144, v148
	v_add_f32_e32 v148, v147, v146
	s_delay_alu instid0(VALU_DEP_2) | instskip(NEXT) | instid1(VALU_DEP_2)
	v_add_f32_e32 v134, v134, v144
	v_rcp_f32_e32 v144, v148
	v_sub_f32_e32 v147, v147, v148
	s_delay_alu instid0(VALU_DEP_1) | instskip(NEXT) | instid1(VALU_DEP_1)
	v_dual_add_f32 v149, v145, v134 :: v_dual_add_f32 v146, v146, v147
	v_sub_f32_e32 v145, v145, v149
	s_waitcnt_depctr 0xfff
	v_mul_f32_e32 v150, v149, v144
	s_delay_alu instid0(VALU_DEP_1) | instskip(NEXT) | instid1(VALU_DEP_1)
	v_dual_add_f32 v134, v134, v145 :: v_dual_mul_f32 v151, v148, v150
	v_fma_f32 v147, v150, v148, -v151
	s_delay_alu instid0(VALU_DEP_1) | instskip(NEXT) | instid1(VALU_DEP_1)
	v_fmac_f32_e32 v147, v150, v146
	v_add_f32_e32 v160, v151, v147
	s_delay_alu instid0(VALU_DEP_1) | instskip(SKIP_1) | instid1(VALU_DEP_2)
	v_sub_f32_e32 v161, v149, v160
	v_sub_f32_e32 v145, v160, v151
	;; [unrolled: 1-line block ×3, first 2 shown]
	s_delay_alu instid0(VALU_DEP_2) | instskip(NEXT) | instid1(VALU_DEP_2)
	v_sub_f32_e32 v145, v145, v147
	v_sub_f32_e32 v149, v149, v160
	s_delay_alu instid0(VALU_DEP_1) | instskip(NEXT) | instid1(VALU_DEP_1)
	v_add_f32_e32 v134, v134, v149
	v_add_f32_e32 v134, v145, v134
	s_delay_alu instid0(VALU_DEP_1) | instskip(NEXT) | instid1(VALU_DEP_1)
	v_add_f32_e32 v145, v161, v134
	v_mul_f32_e32 v147, v144, v145
	s_delay_alu instid0(VALU_DEP_1) | instskip(NEXT) | instid1(VALU_DEP_1)
	v_dual_sub_f32 v160, v161, v145 :: v_dual_mul_f32 v149, v148, v147
	v_add_f32_e32 v134, v134, v160
	s_delay_alu instid0(VALU_DEP_2) | instskip(NEXT) | instid1(VALU_DEP_1)
	v_fma_f32 v148, v147, v148, -v149
	v_fmac_f32_e32 v148, v147, v146
	s_delay_alu instid0(VALU_DEP_1) | instskip(NEXT) | instid1(VALU_DEP_1)
	v_add_f32_e32 v146, v149, v148
	v_sub_f32_e32 v151, v145, v146
	v_sub_f32_e32 v149, v146, v149
	s_delay_alu instid0(VALU_DEP_2) | instskip(NEXT) | instid1(VALU_DEP_1)
	v_sub_f32_e32 v145, v145, v151
	v_sub_f32_e32 v145, v145, v146
	s_delay_alu instid0(VALU_DEP_3) | instskip(NEXT) | instid1(VALU_DEP_2)
	v_sub_f32_e32 v146, v149, v148
	v_add_f32_e32 v134, v134, v145
	v_add_f32_e32 v145, v150, v147
	s_delay_alu instid0(VALU_DEP_2) | instskip(NEXT) | instid1(VALU_DEP_2)
	v_add_f32_e32 v134, v146, v134
	v_sub_f32_e32 v146, v145, v150
	s_delay_alu instid0(VALU_DEP_2) | instskip(NEXT) | instid1(VALU_DEP_2)
	v_add_f32_e32 v134, v151, v134
	v_sub_f32_e32 v146, v147, v146
	s_delay_alu instid0(VALU_DEP_2) | instskip(NEXT) | instid1(VALU_DEP_1)
	v_mul_f32_e32 v134, v144, v134
	v_add_f32_e32 v134, v146, v134
	s_delay_alu instid0(VALU_DEP_1) | instskip(NEXT) | instid1(VALU_DEP_1)
	v_add_f32_e32 v144, v145, v134
	v_mul_f32_e32 v146, v144, v144
	s_delay_alu instid0(VALU_DEP_1) | instskip(SKIP_1) | instid1(VALU_DEP_2)
	v_fmaak_f32 v147, s26, v146, 0x3ecc95a3
	v_mul_f32_e32 v148, v144, v146
	v_fmaak_f32 v146, v146, v147, 0x3f2aaada
	v_ldexp_f32 v147, v144, 1
	v_sub_f32_e32 v144, v144, v145
	s_delay_alu instid0(VALU_DEP_3) | instskip(SKIP_1) | instid1(VALU_DEP_2)
	v_mul_f32_e32 v146, v148, v146
	v_mul_f32_e32 v148, 0x3f317218, v133
	v_dual_sub_f32 v134, v134, v144 :: v_dual_add_f32 v145, v147, v146
	s_delay_alu instid0(VALU_DEP_1) | instskip(NEXT) | instid1(VALU_DEP_2)
	v_ldexp_f32 v134, v134, 1
	v_sub_f32_e32 v144, v145, v147
	s_delay_alu instid0(VALU_DEP_4) | instskip(NEXT) | instid1(VALU_DEP_1)
	v_fma_f32 v147, 0x3f317218, v133, -v148
	v_dual_sub_f32 v144, v146, v144 :: v_dual_fmac_f32 v147, 0xb102e308, v133
	s_delay_alu instid0(VALU_DEP_1) | instskip(NEXT) | instid1(VALU_DEP_1)
	v_dual_add_f32 v133, v134, v144 :: v_dual_add_f32 v134, v148, v147
	v_add_f32_e32 v144, v145, v133
	s_delay_alu instid0(VALU_DEP_2) | instskip(NEXT) | instid1(VALU_DEP_2)
	v_sub_f32_e32 v148, v134, v148
	v_dual_add_f32 v146, v134, v144 :: v_dual_sub_f32 v145, v144, v145
	s_delay_alu instid0(VALU_DEP_2) | instskip(NEXT) | instid1(VALU_DEP_2)
	v_sub_f32_e32 v147, v147, v148
	v_sub_f32_e32 v149, v146, v134
	s_delay_alu instid0(VALU_DEP_3) | instskip(NEXT) | instid1(VALU_DEP_2)
	v_sub_f32_e32 v133, v133, v145
	v_sub_f32_e32 v150, v146, v149
	;; [unrolled: 1-line block ×3, first 2 shown]
	s_delay_alu instid0(VALU_DEP_2) | instskip(NEXT) | instid1(VALU_DEP_1)
	v_dual_add_f32 v145, v147, v133 :: v_dual_sub_f32 v134, v134, v150
	v_add_f32_e32 v134, v144, v134
	s_delay_alu instid0(VALU_DEP_2) | instskip(NEXT) | instid1(VALU_DEP_2)
	v_sub_f32_e32 v144, v145, v147
	v_add_f32_e32 v134, v145, v134
	s_delay_alu instid0(VALU_DEP_2) | instskip(NEXT) | instid1(VALU_DEP_2)
	v_sub_f32_e32 v145, v145, v144
	v_dual_sub_f32 v133, v133, v144 :: v_dual_add_f32 v148, v146, v134
	s_delay_alu instid0(VALU_DEP_1) | instskip(NEXT) | instid1(VALU_DEP_1)
	v_dual_sub_f32 v145, v147, v145 :: v_dual_sub_f32 v144, v148, v146
	v_dual_add_f32 v133, v133, v145 :: v_dual_sub_f32 v134, v134, v144
	s_delay_alu instid0(VALU_DEP_1) | instskip(NEXT) | instid1(VALU_DEP_1)
	v_add_f32_e32 v133, v133, v134
	v_add_f32_e32 v133, v148, v133
	s_delay_alu instid0(VALU_DEP_1) | instskip(NEXT) | instid1(VALU_DEP_1)
	v_cndmask_b32_e32 v133, v133, v135, vcc_lo
	v_add_f32_e32 v31, v31, v133
	s_delay_alu instid0(VALU_DEP_1)
	v_cvt_f16_f32_e64 v134, v31
.LBB390_168:                            ;   in Loop: Header=BB390_154 Depth=1
	s_or_b32 exec_lo, exec_lo, vcc_hi
	s_delay_alu instid0(VALU_DEP_1)
	v_and_b32_e32 v31, 0xffff, v134
	v_mov_b32_e32 v133, v134
.LBB390_169:                            ;   in Loop: Header=BB390_154 Depth=1
	s_or_b32 exec_lo, exec_lo, s27
	s_waitcnt lgkmcnt(0)
	ds_bpermute_b32 v134, v118, v31
	s_mov_b32 s27, exec_lo
	v_cmpx_le_u32_e64 v119, v30
	s_cbranch_execz .LBB390_173
; %bb.170:                              ;   in Loop: Header=BB390_154 Depth=1
	s_waitcnt lgkmcnt(0)
	v_cvt_f32_f16_e64 v31, v134
	v_cvt_f32_f16_e64 v135, v133
	v_cmp_u_f16_e64 vcc_lo, v134, v134
	s_delay_alu instid0(VALU_DEP_2) | instskip(SKIP_1) | instid1(VALU_DEP_2)
	v_min_f32_e32 v144, v31, v135
	v_max_f32_e32 v145, v31, v135
	v_cndmask_b32_e32 v144, v144, v31, vcc_lo
	s_delay_alu instid0(VALU_DEP_2) | instskip(SKIP_1) | instid1(VALU_DEP_3)
	v_cndmask_b32_e32 v31, v145, v31, vcc_lo
	v_cmp_u_f16_e64 vcc_lo, v133, v133
	v_cndmask_b32_e32 v133, v144, v135, vcc_lo
	s_delay_alu instid0(VALU_DEP_3) | instskip(NEXT) | instid1(VALU_DEP_1)
	v_cndmask_b32_e32 v31, v31, v135, vcc_lo
	v_cmp_neq_f32_e32 vcc_lo, v133, v31
	v_cmp_class_f32_e64 vcc_hi, v133, 0x1f8
	s_delay_alu instid0(VALU_DEP_1) | instskip(NEXT) | instid1(SALU_CYCLE_1)
	s_or_b32 vcc_lo, vcc_lo, vcc_hi
	s_and_saveexec_b32 vcc_hi, vcc_lo
	s_cbranch_execz .LBB390_172
; %bb.171:                              ;   in Loop: Header=BB390_154 Depth=1
	v_sub_f32_e32 v133, v133, v31
	s_delay_alu instid0(VALU_DEP_1) | instskip(NEXT) | instid1(VALU_DEP_1)
	v_mul_f32_e32 v134, 0x3fb8aa3b, v133
	v_fma_f32 v135, 0x3fb8aa3b, v133, -v134
	v_rndne_f32_e32 v144, v134
	s_delay_alu instid0(VALU_DEP_1) | instskip(SKIP_1) | instid1(VALU_DEP_4)
	v_sub_f32_e32 v134, v134, v144
	v_cmp_ngt_f32_e32 vcc_lo, 0xc2ce8ed0, v133
	v_fmac_f32_e32 v135, 0x32a5705f, v133
	s_delay_alu instid0(VALU_DEP_1) | instskip(SKIP_1) | instid1(VALU_DEP_2)
	v_add_f32_e32 v134, v134, v135
	v_cvt_i32_f32_e32 v135, v144
	v_exp_f32_e32 v134, v134
	s_waitcnt_depctr 0xfff
	v_ldexp_f32 v134, v134, v135
	s_delay_alu instid0(VALU_DEP_1) | instskip(SKIP_1) | instid1(VALU_DEP_2)
	v_cndmask_b32_e32 v134, 0, v134, vcc_lo
	v_cmp_nlt_f32_e32 vcc_lo, 0x42b17218, v133
	v_cndmask_b32_e32 v135, 0x7f800000, v134, vcc_lo
	s_delay_alu instid0(VALU_DEP_1) | instskip(NEXT) | instid1(VALU_DEP_1)
	v_add_f32_e32 v144, 1.0, v135
	v_cvt_f64_f32_e32 v[133:134], v144
	s_delay_alu instid0(VALU_DEP_1) | instskip(SKIP_1) | instid1(VALU_DEP_1)
	v_frexp_exp_i32_f64_e32 v133, v[133:134]
	v_frexp_mant_f32_e32 v134, v144
	v_cmp_gt_f32_e32 vcc_lo, 0x3f2aaaab, v134
	v_add_f32_e32 v134, -1.0, v144
	v_cmp_gt_f32_e64 s30, 0x33800000, |v135|
	s_delay_alu instid0(VALU_DEP_2) | instskip(SKIP_3) | instid1(VALU_DEP_2)
	v_sub_f32_e32 v146, v134, v144
	v_sub_f32_e32 v134, v135, v134
	v_subrev_co_ci_u32_e32 v133, vcc_lo, 0, v133, vcc_lo
	v_cmp_eq_f32_e32 vcc_lo, 0x7f800000, v135
	v_sub_nc_u32_e32 v145, 0, v133
	v_cvt_f32_i32_e32 v133, v133
	s_or_b32 vcc_lo, vcc_lo, s30
	s_delay_alu instid0(VALU_DEP_2) | instskip(NEXT) | instid1(VALU_DEP_1)
	v_ldexp_f32 v144, v144, v145
	v_dual_add_f32 v147, 1.0, v144 :: v_dual_add_f32 v146, 1.0, v146
	s_delay_alu instid0(VALU_DEP_1) | instskip(NEXT) | instid1(VALU_DEP_2)
	v_add_f32_e32 v134, v134, v146
	v_add_f32_e32 v146, -1.0, v147
	s_delay_alu instid0(VALU_DEP_2) | instskip(NEXT) | instid1(VALU_DEP_2)
	v_ldexp_f32 v134, v134, v145
	v_dual_add_f32 v145, -1.0, v144 :: v_dual_sub_f32 v146, v144, v146
	s_delay_alu instid0(VALU_DEP_1) | instskip(NEXT) | instid1(VALU_DEP_2)
	v_add_f32_e32 v148, 1.0, v145
	v_add_f32_e32 v146, v134, v146
	s_delay_alu instid0(VALU_DEP_2) | instskip(NEXT) | instid1(VALU_DEP_2)
	v_sub_f32_e32 v144, v144, v148
	v_add_f32_e32 v148, v147, v146
	s_delay_alu instid0(VALU_DEP_2) | instskip(NEXT) | instid1(VALU_DEP_2)
	v_add_f32_e32 v134, v134, v144
	v_rcp_f32_e32 v144, v148
	v_sub_f32_e32 v147, v147, v148
	s_delay_alu instid0(VALU_DEP_1) | instskip(NEXT) | instid1(VALU_DEP_1)
	v_dual_add_f32 v149, v145, v134 :: v_dual_add_f32 v146, v146, v147
	v_sub_f32_e32 v145, v145, v149
	s_waitcnt_depctr 0xfff
	v_mul_f32_e32 v150, v149, v144
	s_delay_alu instid0(VALU_DEP_1) | instskip(NEXT) | instid1(VALU_DEP_1)
	v_dual_add_f32 v134, v134, v145 :: v_dual_mul_f32 v151, v148, v150
	v_fma_f32 v147, v150, v148, -v151
	s_delay_alu instid0(VALU_DEP_1) | instskip(NEXT) | instid1(VALU_DEP_1)
	v_fmac_f32_e32 v147, v150, v146
	v_add_f32_e32 v160, v151, v147
	s_delay_alu instid0(VALU_DEP_1) | instskip(SKIP_1) | instid1(VALU_DEP_2)
	v_sub_f32_e32 v161, v149, v160
	v_sub_f32_e32 v145, v160, v151
	;; [unrolled: 1-line block ×3, first 2 shown]
	s_delay_alu instid0(VALU_DEP_2) | instskip(NEXT) | instid1(VALU_DEP_2)
	v_sub_f32_e32 v145, v145, v147
	v_sub_f32_e32 v149, v149, v160
	s_delay_alu instid0(VALU_DEP_1) | instskip(NEXT) | instid1(VALU_DEP_1)
	v_add_f32_e32 v134, v134, v149
	v_add_f32_e32 v134, v145, v134
	s_delay_alu instid0(VALU_DEP_1) | instskip(NEXT) | instid1(VALU_DEP_1)
	v_add_f32_e32 v145, v161, v134
	v_mul_f32_e32 v147, v144, v145
	s_delay_alu instid0(VALU_DEP_1) | instskip(NEXT) | instid1(VALU_DEP_1)
	v_dual_sub_f32 v160, v161, v145 :: v_dual_mul_f32 v149, v148, v147
	v_add_f32_e32 v134, v134, v160
	s_delay_alu instid0(VALU_DEP_2) | instskip(NEXT) | instid1(VALU_DEP_1)
	v_fma_f32 v148, v147, v148, -v149
	v_fmac_f32_e32 v148, v147, v146
	s_delay_alu instid0(VALU_DEP_1) | instskip(NEXT) | instid1(VALU_DEP_1)
	v_add_f32_e32 v146, v149, v148
	v_sub_f32_e32 v151, v145, v146
	v_sub_f32_e32 v149, v146, v149
	s_delay_alu instid0(VALU_DEP_2) | instskip(NEXT) | instid1(VALU_DEP_1)
	v_sub_f32_e32 v145, v145, v151
	v_sub_f32_e32 v145, v145, v146
	s_delay_alu instid0(VALU_DEP_3) | instskip(NEXT) | instid1(VALU_DEP_2)
	v_sub_f32_e32 v146, v149, v148
	v_add_f32_e32 v134, v134, v145
	v_add_f32_e32 v145, v150, v147
	s_delay_alu instid0(VALU_DEP_2) | instskip(NEXT) | instid1(VALU_DEP_2)
	v_add_f32_e32 v134, v146, v134
	v_sub_f32_e32 v146, v145, v150
	s_delay_alu instid0(VALU_DEP_2) | instskip(NEXT) | instid1(VALU_DEP_2)
	v_add_f32_e32 v134, v151, v134
	v_sub_f32_e32 v146, v147, v146
	s_delay_alu instid0(VALU_DEP_2) | instskip(NEXT) | instid1(VALU_DEP_1)
	v_mul_f32_e32 v134, v144, v134
	v_add_f32_e32 v134, v146, v134
	s_delay_alu instid0(VALU_DEP_1) | instskip(NEXT) | instid1(VALU_DEP_1)
	v_add_f32_e32 v144, v145, v134
	v_mul_f32_e32 v146, v144, v144
	s_delay_alu instid0(VALU_DEP_1) | instskip(SKIP_1) | instid1(VALU_DEP_2)
	v_fmaak_f32 v147, s26, v146, 0x3ecc95a3
	v_mul_f32_e32 v148, v144, v146
	v_fmaak_f32 v146, v146, v147, 0x3f2aaada
	v_ldexp_f32 v147, v144, 1
	v_sub_f32_e32 v144, v144, v145
	s_delay_alu instid0(VALU_DEP_3) | instskip(SKIP_1) | instid1(VALU_DEP_2)
	v_mul_f32_e32 v146, v148, v146
	v_mul_f32_e32 v148, 0x3f317218, v133
	v_dual_sub_f32 v134, v134, v144 :: v_dual_add_f32 v145, v147, v146
	s_delay_alu instid0(VALU_DEP_1) | instskip(NEXT) | instid1(VALU_DEP_2)
	v_ldexp_f32 v134, v134, 1
	v_sub_f32_e32 v144, v145, v147
	s_delay_alu instid0(VALU_DEP_4) | instskip(NEXT) | instid1(VALU_DEP_1)
	v_fma_f32 v147, 0x3f317218, v133, -v148
	v_dual_sub_f32 v144, v146, v144 :: v_dual_fmac_f32 v147, 0xb102e308, v133
	s_delay_alu instid0(VALU_DEP_1) | instskip(NEXT) | instid1(VALU_DEP_1)
	v_dual_add_f32 v133, v134, v144 :: v_dual_add_f32 v134, v148, v147
	v_add_f32_e32 v144, v145, v133
	s_delay_alu instid0(VALU_DEP_2) | instskip(NEXT) | instid1(VALU_DEP_2)
	v_sub_f32_e32 v148, v134, v148
	v_dual_add_f32 v146, v134, v144 :: v_dual_sub_f32 v145, v144, v145
	s_delay_alu instid0(VALU_DEP_2) | instskip(NEXT) | instid1(VALU_DEP_2)
	v_sub_f32_e32 v147, v147, v148
	v_sub_f32_e32 v149, v146, v134
	s_delay_alu instid0(VALU_DEP_3) | instskip(NEXT) | instid1(VALU_DEP_2)
	v_sub_f32_e32 v133, v133, v145
	v_sub_f32_e32 v150, v146, v149
	;; [unrolled: 1-line block ×3, first 2 shown]
	s_delay_alu instid0(VALU_DEP_2) | instskip(NEXT) | instid1(VALU_DEP_1)
	v_dual_add_f32 v145, v147, v133 :: v_dual_sub_f32 v134, v134, v150
	v_add_f32_e32 v134, v144, v134
	s_delay_alu instid0(VALU_DEP_2) | instskip(NEXT) | instid1(VALU_DEP_2)
	v_sub_f32_e32 v144, v145, v147
	v_add_f32_e32 v134, v145, v134
	s_delay_alu instid0(VALU_DEP_2) | instskip(NEXT) | instid1(VALU_DEP_2)
	v_sub_f32_e32 v145, v145, v144
	v_dual_sub_f32 v133, v133, v144 :: v_dual_add_f32 v148, v146, v134
	s_delay_alu instid0(VALU_DEP_1) | instskip(NEXT) | instid1(VALU_DEP_1)
	v_dual_sub_f32 v145, v147, v145 :: v_dual_sub_f32 v144, v148, v146
	v_dual_add_f32 v133, v133, v145 :: v_dual_sub_f32 v134, v134, v144
	s_delay_alu instid0(VALU_DEP_1) | instskip(NEXT) | instid1(VALU_DEP_1)
	v_add_f32_e32 v133, v133, v134
	v_add_f32_e32 v133, v148, v133
	s_delay_alu instid0(VALU_DEP_1) | instskip(NEXT) | instid1(VALU_DEP_1)
	v_cndmask_b32_e32 v133, v133, v135, vcc_lo
	v_add_f32_e32 v31, v31, v133
	s_delay_alu instid0(VALU_DEP_1)
	v_cvt_f16_f32_e64 v134, v31
.LBB390_172:                            ;   in Loop: Header=BB390_154 Depth=1
	s_or_b32 exec_lo, exec_lo, vcc_hi
	s_delay_alu instid0(VALU_DEP_1)
	v_and_b32_e32 v31, 0xffff, v134
	v_mov_b32_e32 v133, v134
.LBB390_173:                            ;   in Loop: Header=BB390_154 Depth=1
	s_or_b32 exec_lo, exec_lo, s27
	s_waitcnt lgkmcnt(0)
	ds_bpermute_b32 v134, v128, v31
	s_mov_b32 s27, exec_lo
	v_cmpx_le_u32_e64 v129, v30
	s_cbranch_execz .LBB390_177
; %bb.174:                              ;   in Loop: Header=BB390_154 Depth=1
	s_waitcnt lgkmcnt(0)
	v_cvt_f32_f16_e64 v31, v134
	v_cvt_f32_f16_e64 v135, v133
	v_cmp_u_f16_e64 vcc_lo, v134, v134
	s_delay_alu instid0(VALU_DEP_2) | instskip(SKIP_1) | instid1(VALU_DEP_2)
	v_min_f32_e32 v144, v31, v135
	v_max_f32_e32 v145, v31, v135
	v_cndmask_b32_e32 v144, v144, v31, vcc_lo
	s_delay_alu instid0(VALU_DEP_2) | instskip(SKIP_1) | instid1(VALU_DEP_3)
	v_cndmask_b32_e32 v31, v145, v31, vcc_lo
	v_cmp_u_f16_e64 vcc_lo, v133, v133
	v_cndmask_b32_e32 v133, v144, v135, vcc_lo
	s_delay_alu instid0(VALU_DEP_3) | instskip(NEXT) | instid1(VALU_DEP_1)
	v_cndmask_b32_e32 v31, v31, v135, vcc_lo
	v_cmp_neq_f32_e32 vcc_lo, v133, v31
	v_cmp_class_f32_e64 vcc_hi, v133, 0x1f8
	s_delay_alu instid0(VALU_DEP_1) | instskip(NEXT) | instid1(SALU_CYCLE_1)
	s_or_b32 vcc_lo, vcc_lo, vcc_hi
	s_and_saveexec_b32 vcc_hi, vcc_lo
	s_cbranch_execz .LBB390_176
; %bb.175:                              ;   in Loop: Header=BB390_154 Depth=1
	v_sub_f32_e32 v133, v133, v31
	s_delay_alu instid0(VALU_DEP_1) | instskip(NEXT) | instid1(VALU_DEP_1)
	v_mul_f32_e32 v134, 0x3fb8aa3b, v133
	v_fma_f32 v135, 0x3fb8aa3b, v133, -v134
	v_rndne_f32_e32 v144, v134
	s_delay_alu instid0(VALU_DEP_1) | instskip(SKIP_1) | instid1(VALU_DEP_4)
	v_sub_f32_e32 v134, v134, v144
	v_cmp_ngt_f32_e32 vcc_lo, 0xc2ce8ed0, v133
	v_fmac_f32_e32 v135, 0x32a5705f, v133
	s_delay_alu instid0(VALU_DEP_1) | instskip(SKIP_1) | instid1(VALU_DEP_2)
	v_add_f32_e32 v134, v134, v135
	v_cvt_i32_f32_e32 v135, v144
	v_exp_f32_e32 v134, v134
	s_waitcnt_depctr 0xfff
	v_ldexp_f32 v134, v134, v135
	s_delay_alu instid0(VALU_DEP_1) | instskip(SKIP_1) | instid1(VALU_DEP_2)
	v_cndmask_b32_e32 v134, 0, v134, vcc_lo
	v_cmp_nlt_f32_e32 vcc_lo, 0x42b17218, v133
	v_cndmask_b32_e32 v135, 0x7f800000, v134, vcc_lo
	s_delay_alu instid0(VALU_DEP_1) | instskip(NEXT) | instid1(VALU_DEP_1)
	v_add_f32_e32 v144, 1.0, v135
	v_cvt_f64_f32_e32 v[133:134], v144
	s_delay_alu instid0(VALU_DEP_1) | instskip(SKIP_1) | instid1(VALU_DEP_1)
	v_frexp_exp_i32_f64_e32 v133, v[133:134]
	v_frexp_mant_f32_e32 v134, v144
	v_cmp_gt_f32_e32 vcc_lo, 0x3f2aaaab, v134
	v_add_f32_e32 v134, -1.0, v144
	v_cmp_gt_f32_e64 s30, 0x33800000, |v135|
	s_delay_alu instid0(VALU_DEP_2) | instskip(SKIP_3) | instid1(VALU_DEP_2)
	v_sub_f32_e32 v146, v134, v144
	v_sub_f32_e32 v134, v135, v134
	v_subrev_co_ci_u32_e32 v133, vcc_lo, 0, v133, vcc_lo
	v_cmp_eq_f32_e32 vcc_lo, 0x7f800000, v135
	v_sub_nc_u32_e32 v145, 0, v133
	v_cvt_f32_i32_e32 v133, v133
	s_or_b32 vcc_lo, vcc_lo, s30
	s_delay_alu instid0(VALU_DEP_2) | instskip(NEXT) | instid1(VALU_DEP_1)
	v_ldexp_f32 v144, v144, v145
	v_dual_add_f32 v147, 1.0, v144 :: v_dual_add_f32 v146, 1.0, v146
	s_delay_alu instid0(VALU_DEP_1) | instskip(NEXT) | instid1(VALU_DEP_2)
	v_add_f32_e32 v134, v134, v146
	v_add_f32_e32 v146, -1.0, v147
	s_delay_alu instid0(VALU_DEP_2) | instskip(NEXT) | instid1(VALU_DEP_2)
	v_ldexp_f32 v134, v134, v145
	v_dual_add_f32 v145, -1.0, v144 :: v_dual_sub_f32 v146, v144, v146
	s_delay_alu instid0(VALU_DEP_1) | instskip(NEXT) | instid1(VALU_DEP_2)
	v_add_f32_e32 v148, 1.0, v145
	v_add_f32_e32 v146, v134, v146
	s_delay_alu instid0(VALU_DEP_2) | instskip(NEXT) | instid1(VALU_DEP_2)
	v_sub_f32_e32 v144, v144, v148
	v_add_f32_e32 v148, v147, v146
	s_delay_alu instid0(VALU_DEP_2) | instskip(NEXT) | instid1(VALU_DEP_2)
	v_add_f32_e32 v134, v134, v144
	v_rcp_f32_e32 v144, v148
	v_sub_f32_e32 v147, v147, v148
	s_delay_alu instid0(VALU_DEP_1) | instskip(NEXT) | instid1(VALU_DEP_1)
	v_dual_add_f32 v149, v145, v134 :: v_dual_add_f32 v146, v146, v147
	v_sub_f32_e32 v145, v145, v149
	s_waitcnt_depctr 0xfff
	v_mul_f32_e32 v150, v149, v144
	s_delay_alu instid0(VALU_DEP_1) | instskip(NEXT) | instid1(VALU_DEP_1)
	v_dual_add_f32 v134, v134, v145 :: v_dual_mul_f32 v151, v148, v150
	v_fma_f32 v147, v150, v148, -v151
	s_delay_alu instid0(VALU_DEP_1) | instskip(NEXT) | instid1(VALU_DEP_1)
	v_fmac_f32_e32 v147, v150, v146
	v_add_f32_e32 v160, v151, v147
	s_delay_alu instid0(VALU_DEP_1) | instskip(SKIP_1) | instid1(VALU_DEP_2)
	v_sub_f32_e32 v161, v149, v160
	v_sub_f32_e32 v145, v160, v151
	v_sub_f32_e32 v149, v149, v161
	s_delay_alu instid0(VALU_DEP_2) | instskip(NEXT) | instid1(VALU_DEP_2)
	v_sub_f32_e32 v145, v145, v147
	v_sub_f32_e32 v149, v149, v160
	s_delay_alu instid0(VALU_DEP_1) | instskip(NEXT) | instid1(VALU_DEP_1)
	v_add_f32_e32 v134, v134, v149
	v_add_f32_e32 v134, v145, v134
	s_delay_alu instid0(VALU_DEP_1) | instskip(NEXT) | instid1(VALU_DEP_1)
	v_add_f32_e32 v145, v161, v134
	v_mul_f32_e32 v147, v144, v145
	s_delay_alu instid0(VALU_DEP_1) | instskip(NEXT) | instid1(VALU_DEP_1)
	v_dual_sub_f32 v160, v161, v145 :: v_dual_mul_f32 v149, v148, v147
	v_add_f32_e32 v134, v134, v160
	s_delay_alu instid0(VALU_DEP_2) | instskip(NEXT) | instid1(VALU_DEP_1)
	v_fma_f32 v148, v147, v148, -v149
	v_fmac_f32_e32 v148, v147, v146
	s_delay_alu instid0(VALU_DEP_1) | instskip(NEXT) | instid1(VALU_DEP_1)
	v_add_f32_e32 v146, v149, v148
	v_sub_f32_e32 v151, v145, v146
	v_sub_f32_e32 v149, v146, v149
	s_delay_alu instid0(VALU_DEP_2) | instskip(NEXT) | instid1(VALU_DEP_1)
	v_sub_f32_e32 v145, v145, v151
	v_sub_f32_e32 v145, v145, v146
	s_delay_alu instid0(VALU_DEP_3) | instskip(NEXT) | instid1(VALU_DEP_2)
	v_sub_f32_e32 v146, v149, v148
	v_add_f32_e32 v134, v134, v145
	v_add_f32_e32 v145, v150, v147
	s_delay_alu instid0(VALU_DEP_2) | instskip(NEXT) | instid1(VALU_DEP_2)
	v_add_f32_e32 v134, v146, v134
	v_sub_f32_e32 v146, v145, v150
	s_delay_alu instid0(VALU_DEP_2) | instskip(NEXT) | instid1(VALU_DEP_2)
	v_add_f32_e32 v134, v151, v134
	v_sub_f32_e32 v146, v147, v146
	s_delay_alu instid0(VALU_DEP_2) | instskip(NEXT) | instid1(VALU_DEP_1)
	v_mul_f32_e32 v134, v144, v134
	v_add_f32_e32 v134, v146, v134
	s_delay_alu instid0(VALU_DEP_1) | instskip(NEXT) | instid1(VALU_DEP_1)
	v_add_f32_e32 v144, v145, v134
	v_mul_f32_e32 v146, v144, v144
	s_delay_alu instid0(VALU_DEP_1) | instskip(SKIP_1) | instid1(VALU_DEP_2)
	v_fmaak_f32 v147, s26, v146, 0x3ecc95a3
	v_mul_f32_e32 v148, v144, v146
	v_fmaak_f32 v146, v146, v147, 0x3f2aaada
	v_ldexp_f32 v147, v144, 1
	v_sub_f32_e32 v144, v144, v145
	s_delay_alu instid0(VALU_DEP_3) | instskip(SKIP_1) | instid1(VALU_DEP_2)
	v_mul_f32_e32 v146, v148, v146
	v_mul_f32_e32 v148, 0x3f317218, v133
	v_dual_sub_f32 v134, v134, v144 :: v_dual_add_f32 v145, v147, v146
	s_delay_alu instid0(VALU_DEP_1) | instskip(NEXT) | instid1(VALU_DEP_2)
	v_ldexp_f32 v134, v134, 1
	v_sub_f32_e32 v144, v145, v147
	s_delay_alu instid0(VALU_DEP_4) | instskip(NEXT) | instid1(VALU_DEP_1)
	v_fma_f32 v147, 0x3f317218, v133, -v148
	v_dual_sub_f32 v144, v146, v144 :: v_dual_fmac_f32 v147, 0xb102e308, v133
	s_delay_alu instid0(VALU_DEP_1) | instskip(NEXT) | instid1(VALU_DEP_1)
	v_dual_add_f32 v133, v134, v144 :: v_dual_add_f32 v134, v148, v147
	v_add_f32_e32 v144, v145, v133
	s_delay_alu instid0(VALU_DEP_2) | instskip(NEXT) | instid1(VALU_DEP_2)
	v_sub_f32_e32 v148, v134, v148
	v_dual_add_f32 v146, v134, v144 :: v_dual_sub_f32 v145, v144, v145
	s_delay_alu instid0(VALU_DEP_2) | instskip(NEXT) | instid1(VALU_DEP_2)
	v_sub_f32_e32 v147, v147, v148
	v_sub_f32_e32 v149, v146, v134
	s_delay_alu instid0(VALU_DEP_3) | instskip(NEXT) | instid1(VALU_DEP_2)
	v_sub_f32_e32 v133, v133, v145
	v_sub_f32_e32 v150, v146, v149
	;; [unrolled: 1-line block ×3, first 2 shown]
	s_delay_alu instid0(VALU_DEP_2) | instskip(NEXT) | instid1(VALU_DEP_1)
	v_dual_add_f32 v145, v147, v133 :: v_dual_sub_f32 v134, v134, v150
	v_add_f32_e32 v134, v144, v134
	s_delay_alu instid0(VALU_DEP_2) | instskip(NEXT) | instid1(VALU_DEP_2)
	v_sub_f32_e32 v144, v145, v147
	v_add_f32_e32 v134, v145, v134
	s_delay_alu instid0(VALU_DEP_2) | instskip(NEXT) | instid1(VALU_DEP_2)
	v_sub_f32_e32 v145, v145, v144
	v_dual_sub_f32 v133, v133, v144 :: v_dual_add_f32 v148, v146, v134
	s_delay_alu instid0(VALU_DEP_1) | instskip(NEXT) | instid1(VALU_DEP_1)
	v_dual_sub_f32 v145, v147, v145 :: v_dual_sub_f32 v144, v148, v146
	v_dual_add_f32 v133, v133, v145 :: v_dual_sub_f32 v134, v134, v144
	s_delay_alu instid0(VALU_DEP_1) | instskip(NEXT) | instid1(VALU_DEP_1)
	v_add_f32_e32 v133, v133, v134
	v_add_f32_e32 v133, v148, v133
	s_delay_alu instid0(VALU_DEP_1) | instskip(NEXT) | instid1(VALU_DEP_1)
	v_cndmask_b32_e32 v133, v133, v135, vcc_lo
	v_add_f32_e32 v31, v31, v133
	s_delay_alu instid0(VALU_DEP_1)
	v_cvt_f16_f32_e64 v134, v31
.LBB390_176:                            ;   in Loop: Header=BB390_154 Depth=1
	s_or_b32 exec_lo, exec_lo, vcc_hi
	s_delay_alu instid0(VALU_DEP_1)
	v_and_b32_e32 v31, 0xffff, v134
	v_mov_b32_e32 v133, v134
.LBB390_177:                            ;   in Loop: Header=BB390_154 Depth=1
	s_or_b32 exec_lo, exec_lo, s27
	ds_bpermute_b32 v31, v131, v31
	s_mov_b32 s27, exec_lo
	v_cmpx_le_u32_e64 v132, v30
	s_cbranch_execz .LBB390_181
; %bb.178:                              ;   in Loop: Header=BB390_154 Depth=1
	s_waitcnt lgkmcnt(0)
	v_cvt_f32_f16_e32 v30, v31
	v_cvt_f32_f16_e64 v134, v133
	v_cmp_u_f16_e32 vcc_lo, v31, v31
	s_delay_alu instid0(VALU_DEP_2) | instskip(SKIP_1) | instid1(VALU_DEP_2)
	v_min_f32_e32 v135, v30, v134
	v_max_f32_e32 v144, v30, v134
	v_cndmask_b32_e32 v135, v135, v30, vcc_lo
	s_delay_alu instid0(VALU_DEP_2) | instskip(SKIP_1) | instid1(VALU_DEP_3)
	v_cndmask_b32_e32 v30, v144, v30, vcc_lo
	v_cmp_u_f16_e64 vcc_lo, v133, v133
	v_cndmask_b32_e32 v133, v135, v134, vcc_lo
	s_delay_alu instid0(VALU_DEP_3) | instskip(NEXT) | instid1(VALU_DEP_1)
	v_cndmask_b32_e32 v30, v30, v134, vcc_lo
	v_cmp_neq_f32_e32 vcc_lo, v133, v30
	v_cmp_class_f32_e64 vcc_hi, v133, 0x1f8
	s_delay_alu instid0(VALU_DEP_1) | instskip(NEXT) | instid1(SALU_CYCLE_1)
	s_or_b32 vcc_lo, vcc_lo, vcc_hi
	s_and_saveexec_b32 vcc_hi, vcc_lo
	s_cbranch_execz .LBB390_180
; %bb.179:                              ;   in Loop: Header=BB390_154 Depth=1
	v_sub_f32_e32 v31, v133, v30
	s_delay_alu instid0(VALU_DEP_1) | instskip(SKIP_1) | instid1(VALU_DEP_2)
	v_mul_f32_e32 v133, 0x3fb8aa3b, v31
	v_cmp_ngt_f32_e32 vcc_lo, 0xc2ce8ed0, v31
	v_fma_f32 v134, 0x3fb8aa3b, v31, -v133
	v_rndne_f32_e32 v135, v133
	s_delay_alu instid0(VALU_DEP_2) | instskip(NEXT) | instid1(VALU_DEP_2)
	v_fmac_f32_e32 v134, 0x32a5705f, v31
	v_sub_f32_e32 v133, v133, v135
	s_delay_alu instid0(VALU_DEP_1) | instskip(SKIP_1) | instid1(VALU_DEP_2)
	v_add_f32_e32 v133, v133, v134
	v_cvt_i32_f32_e32 v134, v135
	v_exp_f32_e32 v133, v133
	s_waitcnt_depctr 0xfff
	v_ldexp_f32 v133, v133, v134
	s_delay_alu instid0(VALU_DEP_1) | instskip(SKIP_1) | instid1(VALU_DEP_2)
	v_cndmask_b32_e32 v133, 0, v133, vcc_lo
	v_cmp_nlt_f32_e32 vcc_lo, 0x42b17218, v31
	v_cndmask_b32_e32 v31, 0x7f800000, v133, vcc_lo
	s_delay_alu instid0(VALU_DEP_1) | instskip(NEXT) | instid1(VALU_DEP_1)
	v_add_f32_e32 v135, 1.0, v31
	v_cvt_f64_f32_e32 v[133:134], v135
	s_delay_alu instid0(VALU_DEP_1) | instskip(SKIP_1) | instid1(VALU_DEP_1)
	v_frexp_exp_i32_f64_e32 v133, v[133:134]
	v_frexp_mant_f32_e32 v134, v135
	v_cmp_gt_f32_e32 vcc_lo, 0x3f2aaaab, v134
	v_add_f32_e32 v134, -1.0, v135
	s_delay_alu instid0(VALU_DEP_1) | instskip(NEXT) | instid1(VALU_DEP_1)
	v_dual_sub_f32 v145, v134, v135 :: v_dual_sub_f32 v134, v31, v134
	v_add_f32_e32 v145, 1.0, v145
	s_delay_alu instid0(VALU_DEP_1) | instskip(SKIP_1) | instid1(VALU_DEP_1)
	v_add_f32_e32 v134, v134, v145
	v_subrev_co_ci_u32_e32 v133, vcc_lo, 0, v133, vcc_lo
	v_sub_nc_u32_e32 v144, 0, v133
	v_cvt_f32_i32_e32 v133, v133
	s_delay_alu instid0(VALU_DEP_2) | instskip(SKIP_1) | instid1(VALU_DEP_2)
	v_ldexp_f32 v135, v135, v144
	v_ldexp_f32 v134, v134, v144
	v_add_f32_e32 v146, 1.0, v135
	v_add_f32_e32 v144, -1.0, v135
	v_cmp_eq_f32_e32 vcc_lo, 0x7f800000, v31
	v_cmp_gt_f32_e64 s30, 0x33800000, |v31|
	s_delay_alu instid0(VALU_DEP_4) | instskip(NEXT) | instid1(VALU_DEP_4)
	v_add_f32_e32 v145, -1.0, v146
	v_add_f32_e32 v147, 1.0, v144
	s_delay_alu instid0(VALU_DEP_3) | instskip(NEXT) | instid1(VALU_DEP_2)
	s_or_b32 vcc_lo, vcc_lo, s30
	v_sub_f32_e32 v145, v135, v145
	s_delay_alu instid0(VALU_DEP_2) | instskip(NEXT) | instid1(VALU_DEP_2)
	v_sub_f32_e32 v135, v135, v147
	v_add_f32_e32 v145, v134, v145
	s_delay_alu instid0(VALU_DEP_2) | instskip(NEXT) | instid1(VALU_DEP_1)
	v_add_f32_e32 v134, v134, v135
	v_add_f32_e32 v148, v144, v134
	s_delay_alu instid0(VALU_DEP_1) | instskip(NEXT) | instid1(VALU_DEP_1)
	v_dual_sub_f32 v144, v144, v148 :: v_dual_add_f32 v147, v146, v145
	v_add_f32_e32 v134, v134, v144
	s_delay_alu instid0(VALU_DEP_2) | instskip(SKIP_1) | instid1(VALU_DEP_1)
	v_rcp_f32_e32 v135, v147
	v_sub_f32_e32 v146, v146, v147
	v_add_f32_e32 v145, v145, v146
	s_waitcnt_depctr 0xfff
	v_mul_f32_e32 v149, v148, v135
	s_delay_alu instid0(VALU_DEP_1) | instskip(NEXT) | instid1(VALU_DEP_1)
	v_mul_f32_e32 v150, v147, v149
	v_fma_f32 v146, v149, v147, -v150
	s_delay_alu instid0(VALU_DEP_1) | instskip(NEXT) | instid1(VALU_DEP_1)
	v_fmac_f32_e32 v146, v149, v145
	v_add_f32_e32 v151, v150, v146
	s_delay_alu instid0(VALU_DEP_1) | instskip(SKIP_1) | instid1(VALU_DEP_2)
	v_sub_f32_e32 v160, v148, v151
	v_sub_f32_e32 v144, v151, v150
	;; [unrolled: 1-line block ×3, first 2 shown]
	s_delay_alu instid0(VALU_DEP_1) | instskip(NEXT) | instid1(VALU_DEP_3)
	v_sub_f32_e32 v148, v148, v151
	v_sub_f32_e32 v144, v144, v146
	s_delay_alu instid0(VALU_DEP_2) | instskip(NEXT) | instid1(VALU_DEP_1)
	v_add_f32_e32 v134, v134, v148
	v_add_f32_e32 v134, v144, v134
	s_delay_alu instid0(VALU_DEP_1) | instskip(NEXT) | instid1(VALU_DEP_1)
	v_add_f32_e32 v144, v160, v134
	v_mul_f32_e32 v146, v135, v144
	s_delay_alu instid0(VALU_DEP_1) | instskip(NEXT) | instid1(VALU_DEP_1)
	v_dual_sub_f32 v151, v160, v144 :: v_dual_mul_f32 v148, v147, v146
	v_add_f32_e32 v134, v134, v151
	s_delay_alu instid0(VALU_DEP_2) | instskip(NEXT) | instid1(VALU_DEP_1)
	v_fma_f32 v147, v146, v147, -v148
	v_fmac_f32_e32 v147, v146, v145
	s_delay_alu instid0(VALU_DEP_1) | instskip(NEXT) | instid1(VALU_DEP_1)
	v_add_f32_e32 v145, v148, v147
	v_sub_f32_e32 v150, v144, v145
	s_delay_alu instid0(VALU_DEP_1) | instskip(NEXT) | instid1(VALU_DEP_1)
	v_sub_f32_e32 v144, v144, v150
	v_sub_f32_e32 v144, v144, v145
	s_delay_alu instid0(VALU_DEP_1) | instskip(SKIP_2) | instid1(VALU_DEP_1)
	v_add_f32_e32 v134, v134, v144
	v_add_f32_e32 v144, v149, v146
	v_sub_f32_e32 v148, v145, v148
	v_sub_f32_e32 v145, v148, v147
	s_delay_alu instid0(VALU_DEP_1) | instskip(NEXT) | instid1(VALU_DEP_1)
	v_dual_add_f32 v134, v145, v134 :: v_dual_sub_f32 v145, v144, v149
	v_add_f32_e32 v134, v150, v134
	s_delay_alu instid0(VALU_DEP_1) | instskip(NEXT) | instid1(VALU_DEP_1)
	v_dual_sub_f32 v145, v146, v145 :: v_dual_mul_f32 v134, v135, v134
	v_add_f32_e32 v134, v145, v134
	s_delay_alu instid0(VALU_DEP_1) | instskip(NEXT) | instid1(VALU_DEP_1)
	v_add_f32_e32 v135, v144, v134
	v_mul_f32_e32 v145, v135, v135
	s_delay_alu instid0(VALU_DEP_1) | instskip(SKIP_1) | instid1(VALU_DEP_2)
	v_fmaak_f32 v146, s26, v145, 0x3ecc95a3
	v_mul_f32_e32 v147, v135, v145
	v_fmaak_f32 v145, v145, v146, 0x3f2aaada
	v_ldexp_f32 v146, v135, 1
	s_delay_alu instid0(VALU_DEP_2) | instskip(SKIP_1) | instid1(VALU_DEP_2)
	v_mul_f32_e32 v145, v147, v145
	v_mul_f32_e32 v147, 0x3f317218, v133
	v_dual_sub_f32 v135, v135, v144 :: v_dual_add_f32 v144, v146, v145
	s_delay_alu instid0(VALU_DEP_1) | instskip(NEXT) | instid1(VALU_DEP_3)
	v_dual_sub_f32 v134, v134, v135 :: v_dual_sub_f32 v135, v144, v146
	v_fma_f32 v146, 0x3f317218, v133, -v147
	s_delay_alu instid0(VALU_DEP_2) | instskip(NEXT) | instid1(VALU_DEP_2)
	v_ldexp_f32 v134, v134, 1
	v_dual_sub_f32 v135, v145, v135 :: v_dual_fmac_f32 v146, 0xb102e308, v133
	s_delay_alu instid0(VALU_DEP_1) | instskip(NEXT) | instid1(VALU_DEP_1)
	v_dual_add_f32 v133, v134, v135 :: v_dual_add_f32 v134, v147, v146
	v_add_f32_e32 v135, v144, v133
	s_delay_alu instid0(VALU_DEP_1) | instskip(NEXT) | instid1(VALU_DEP_1)
	v_add_f32_e32 v145, v134, v135
	v_sub_f32_e32 v148, v145, v134
	s_delay_alu instid0(VALU_DEP_1) | instskip(SKIP_1) | instid1(VALU_DEP_1)
	v_sub_f32_e32 v149, v145, v148
	v_sub_f32_e32 v144, v135, v144
	;; [unrolled: 1-line block ×4, first 2 shown]
	s_delay_alu instid0(VALU_DEP_1) | instskip(NEXT) | instid1(VALU_DEP_1)
	v_dual_sub_f32 v135, v135, v148 :: v_dual_sub_f32 v146, v146, v147
	v_add_f32_e32 v144, v146, v133
	v_sub_f32_e32 v134, v134, v149
	s_delay_alu instid0(VALU_DEP_1) | instskip(NEXT) | instid1(VALU_DEP_3)
	v_add_f32_e32 v134, v135, v134
	v_sub_f32_e32 v135, v144, v146
	s_delay_alu instid0(VALU_DEP_1) | instskip(NEXT) | instid1(VALU_DEP_1)
	v_dual_sub_f32 v133, v133, v135 :: v_dual_add_f32 v134, v144, v134
	v_dual_sub_f32 v144, v144, v135 :: v_dual_add_f32 v147, v145, v134
	s_delay_alu instid0(VALU_DEP_1) | instskip(NEXT) | instid1(VALU_DEP_1)
	v_dual_sub_f32 v135, v147, v145 :: v_dual_sub_f32 v144, v146, v144
	v_dual_sub_f32 v134, v134, v135 :: v_dual_add_f32 v133, v133, v144
	s_delay_alu instid0(VALU_DEP_1) | instskip(NEXT) | instid1(VALU_DEP_1)
	v_add_f32_e32 v133, v133, v134
	v_add_f32_e32 v133, v147, v133
	s_delay_alu instid0(VALU_DEP_1) | instskip(NEXT) | instid1(VALU_DEP_1)
	v_cndmask_b32_e32 v31, v133, v31, vcc_lo
	v_add_f32_e32 v30, v30, v31
	s_delay_alu instid0(VALU_DEP_1)
	v_cvt_f16_f32_e32 v31, v30
.LBB390_180:                            ;   in Loop: Header=BB390_154 Depth=1
	s_or_b32 exec_lo, exec_lo, vcc_hi
	s_delay_alu instid0(VALU_DEP_1)
	v_mov_b32_e32 v133, v31
.LBB390_181:                            ;   in Loop: Header=BB390_154 Depth=1
	s_or_b32 exec_lo, exec_lo, s27
	s_delay_alu instid0(VALU_DEP_1) | instskip(SKIP_4) | instid1(VALU_DEP_2)
	v_cvt_f32_f16_e64 v30, v133
	s_waitcnt lgkmcnt(1)
	v_cvt_f32_f16_e64 v134, v130
	v_cmp_u_f16_e64 vcc_lo, v133, v133
	s_waitcnt lgkmcnt(0)
	v_min_f32_e32 v31, v30, v134
	v_max_f32_e32 v135, v30, v134
	s_delay_alu instid0(VALU_DEP_2) | instskip(NEXT) | instid1(VALU_DEP_2)
	v_cndmask_b32_e32 v31, v31, v30, vcc_lo
	v_cndmask_b32_e32 v30, v135, v30, vcc_lo
	v_cmp_u_f16_e64 vcc_lo, v130, v130
	s_delay_alu instid0(VALU_DEP_3) | instskip(NEXT) | instid1(VALU_DEP_3)
	v_cndmask_b32_e32 v31, v31, v134, vcc_lo
	v_cndmask_b32_e32 v30, v30, v134, vcc_lo
	s_delay_alu instid0(VALU_DEP_2) | instskip(NEXT) | instid1(VALU_DEP_2)
	v_cmp_class_f32_e64 s27, v31, 0x1f8
	v_cmp_neq_f32_e32 vcc_lo, v31, v30
	s_delay_alu instid0(VALU_DEP_2) | instskip(NEXT) | instid1(SALU_CYCLE_1)
	s_or_b32 s27, vcc_lo, s27
	s_and_saveexec_b32 vcc_lo, s27
	s_delay_alu instid0(SALU_CYCLE_1)
	s_xor_b32 s27, exec_lo, vcc_lo
	s_cbranch_execz .LBB390_153
; %bb.182:                              ;   in Loop: Header=BB390_154 Depth=1
	v_sub_f32_e32 v31, v31, v30
	s_delay_alu instid0(VALU_DEP_1) | instskip(SKIP_1) | instid1(VALU_DEP_2)
	v_mul_f32_e32 v133, 0x3fb8aa3b, v31
	v_cmp_ngt_f32_e32 vcc_lo, 0xc2ce8ed0, v31
	v_fma_f32 v134, 0x3fb8aa3b, v31, -v133
	v_rndne_f32_e32 v135, v133
	s_delay_alu instid0(VALU_DEP_2) | instskip(NEXT) | instid1(VALU_DEP_2)
	v_fmac_f32_e32 v134, 0x32a5705f, v31
	v_sub_f32_e32 v133, v133, v135
	s_delay_alu instid0(VALU_DEP_1) | instskip(SKIP_1) | instid1(VALU_DEP_2)
	v_add_f32_e32 v133, v133, v134
	v_cvt_i32_f32_e32 v134, v135
	v_exp_f32_e32 v133, v133
	s_waitcnt_depctr 0xfff
	v_ldexp_f32 v133, v133, v134
	s_delay_alu instid0(VALU_DEP_1) | instskip(SKIP_1) | instid1(VALU_DEP_2)
	v_cndmask_b32_e32 v133, 0, v133, vcc_lo
	v_cmp_nlt_f32_e32 vcc_lo, 0x42b17218, v31
	v_cndmask_b32_e32 v31, 0x7f800000, v133, vcc_lo
	s_delay_alu instid0(VALU_DEP_1) | instskip(NEXT) | instid1(VALU_DEP_1)
	v_add_f32_e32 v135, 1.0, v31
	v_cvt_f64_f32_e32 v[133:134], v135
	s_delay_alu instid0(VALU_DEP_1) | instskip(SKIP_1) | instid1(VALU_DEP_1)
	v_frexp_exp_i32_f64_e32 v133, v[133:134]
	v_frexp_mant_f32_e32 v134, v135
	v_cmp_gt_f32_e32 vcc_lo, 0x3f2aaaab, v134
	v_add_f32_e32 v134, -1.0, v135
	s_delay_alu instid0(VALU_DEP_1) | instskip(NEXT) | instid1(VALU_DEP_1)
	v_dual_sub_f32 v145, v134, v135 :: v_dual_sub_f32 v134, v31, v134
	v_add_f32_e32 v145, 1.0, v145
	s_delay_alu instid0(VALU_DEP_1) | instskip(SKIP_1) | instid1(VALU_DEP_1)
	v_add_f32_e32 v134, v134, v145
	v_subrev_co_ci_u32_e32 v133, vcc_lo, 0, v133, vcc_lo
	v_sub_nc_u32_e32 v144, 0, v133
	v_cvt_f32_i32_e32 v133, v133
	s_delay_alu instid0(VALU_DEP_2) | instskip(SKIP_1) | instid1(VALU_DEP_2)
	v_ldexp_f32 v135, v135, v144
	v_ldexp_f32 v134, v134, v144
	v_add_f32_e32 v146, 1.0, v135
	v_add_f32_e32 v144, -1.0, v135
	v_cmp_eq_f32_e32 vcc_lo, 0x7f800000, v31
	v_cmp_gt_f32_e64 vcc_hi, 0x33800000, |v31|
	s_delay_alu instid0(VALU_DEP_4) | instskip(NEXT) | instid1(VALU_DEP_4)
	v_add_f32_e32 v145, -1.0, v146
	v_add_f32_e32 v147, 1.0, v144
	s_delay_alu instid0(VALU_DEP_3) | instskip(NEXT) | instid1(VALU_DEP_2)
	s_or_b32 vcc_lo, vcc_lo, vcc_hi
	v_sub_f32_e32 v145, v135, v145
	s_delay_alu instid0(VALU_DEP_2) | instskip(NEXT) | instid1(VALU_DEP_2)
	v_sub_f32_e32 v135, v135, v147
	v_add_f32_e32 v145, v134, v145
	s_delay_alu instid0(VALU_DEP_2) | instskip(NEXT) | instid1(VALU_DEP_1)
	v_add_f32_e32 v134, v134, v135
	v_add_f32_e32 v148, v144, v134
	s_delay_alu instid0(VALU_DEP_1) | instskip(NEXT) | instid1(VALU_DEP_1)
	v_dual_sub_f32 v144, v144, v148 :: v_dual_add_f32 v147, v146, v145
	v_add_f32_e32 v134, v134, v144
	s_delay_alu instid0(VALU_DEP_2) | instskip(SKIP_1) | instid1(VALU_DEP_1)
	v_rcp_f32_e32 v135, v147
	v_sub_f32_e32 v146, v146, v147
	v_add_f32_e32 v145, v145, v146
	s_waitcnt_depctr 0xfff
	v_mul_f32_e32 v149, v148, v135
	s_delay_alu instid0(VALU_DEP_1) | instskip(NEXT) | instid1(VALU_DEP_1)
	v_mul_f32_e32 v150, v147, v149
	v_fma_f32 v146, v149, v147, -v150
	s_delay_alu instid0(VALU_DEP_1) | instskip(NEXT) | instid1(VALU_DEP_1)
	v_fmac_f32_e32 v146, v149, v145
	v_add_f32_e32 v151, v150, v146
	s_delay_alu instid0(VALU_DEP_1) | instskip(SKIP_1) | instid1(VALU_DEP_2)
	v_sub_f32_e32 v160, v148, v151
	v_sub_f32_e32 v144, v151, v150
	;; [unrolled: 1-line block ×3, first 2 shown]
	s_delay_alu instid0(VALU_DEP_1) | instskip(NEXT) | instid1(VALU_DEP_3)
	v_sub_f32_e32 v148, v148, v151
	v_sub_f32_e32 v144, v144, v146
	s_delay_alu instid0(VALU_DEP_2) | instskip(NEXT) | instid1(VALU_DEP_1)
	v_add_f32_e32 v134, v134, v148
	v_add_f32_e32 v134, v144, v134
	s_delay_alu instid0(VALU_DEP_1) | instskip(NEXT) | instid1(VALU_DEP_1)
	v_add_f32_e32 v144, v160, v134
	v_mul_f32_e32 v146, v135, v144
	s_delay_alu instid0(VALU_DEP_1) | instskip(NEXT) | instid1(VALU_DEP_1)
	v_dual_sub_f32 v151, v160, v144 :: v_dual_mul_f32 v148, v147, v146
	v_add_f32_e32 v134, v134, v151
	s_delay_alu instid0(VALU_DEP_2) | instskip(NEXT) | instid1(VALU_DEP_1)
	v_fma_f32 v147, v146, v147, -v148
	v_fmac_f32_e32 v147, v146, v145
	s_delay_alu instid0(VALU_DEP_1) | instskip(NEXT) | instid1(VALU_DEP_1)
	v_add_f32_e32 v145, v148, v147
	v_sub_f32_e32 v150, v144, v145
	s_delay_alu instid0(VALU_DEP_1) | instskip(NEXT) | instid1(VALU_DEP_1)
	v_sub_f32_e32 v144, v144, v150
	v_sub_f32_e32 v144, v144, v145
	s_delay_alu instid0(VALU_DEP_1) | instskip(SKIP_2) | instid1(VALU_DEP_1)
	v_add_f32_e32 v134, v134, v144
	v_add_f32_e32 v144, v149, v146
	v_sub_f32_e32 v148, v145, v148
	v_sub_f32_e32 v145, v148, v147
	s_delay_alu instid0(VALU_DEP_1) | instskip(NEXT) | instid1(VALU_DEP_1)
	v_dual_add_f32 v134, v145, v134 :: v_dual_sub_f32 v145, v144, v149
	v_add_f32_e32 v134, v150, v134
	s_delay_alu instid0(VALU_DEP_1) | instskip(NEXT) | instid1(VALU_DEP_1)
	v_dual_sub_f32 v145, v146, v145 :: v_dual_mul_f32 v134, v135, v134
	v_add_f32_e32 v134, v145, v134
	s_delay_alu instid0(VALU_DEP_1) | instskip(NEXT) | instid1(VALU_DEP_1)
	v_add_f32_e32 v135, v144, v134
	v_mul_f32_e32 v145, v135, v135
	s_delay_alu instid0(VALU_DEP_1) | instskip(SKIP_1) | instid1(VALU_DEP_2)
	v_fmaak_f32 v146, s26, v145, 0x3ecc95a3
	v_mul_f32_e32 v147, v135, v145
	v_fmaak_f32 v145, v145, v146, 0x3f2aaada
	v_ldexp_f32 v146, v135, 1
	s_delay_alu instid0(VALU_DEP_2) | instskip(SKIP_1) | instid1(VALU_DEP_2)
	v_mul_f32_e32 v145, v147, v145
	v_mul_f32_e32 v147, 0x3f317218, v133
	v_dual_sub_f32 v135, v135, v144 :: v_dual_add_f32 v144, v146, v145
	s_delay_alu instid0(VALU_DEP_1) | instskip(NEXT) | instid1(VALU_DEP_3)
	v_dual_sub_f32 v134, v134, v135 :: v_dual_sub_f32 v135, v144, v146
	v_fma_f32 v146, 0x3f317218, v133, -v147
	s_delay_alu instid0(VALU_DEP_2) | instskip(NEXT) | instid1(VALU_DEP_2)
	v_ldexp_f32 v134, v134, 1
	v_dual_sub_f32 v135, v145, v135 :: v_dual_fmac_f32 v146, 0xb102e308, v133
	s_delay_alu instid0(VALU_DEP_1) | instskip(NEXT) | instid1(VALU_DEP_1)
	v_dual_add_f32 v133, v134, v135 :: v_dual_add_f32 v134, v147, v146
	v_add_f32_e32 v135, v144, v133
	s_delay_alu instid0(VALU_DEP_1) | instskip(NEXT) | instid1(VALU_DEP_1)
	v_add_f32_e32 v145, v134, v135
	v_sub_f32_e32 v148, v145, v134
	s_delay_alu instid0(VALU_DEP_1) | instskip(SKIP_1) | instid1(VALU_DEP_1)
	v_sub_f32_e32 v149, v145, v148
	v_sub_f32_e32 v144, v135, v144
	;; [unrolled: 1-line block ×4, first 2 shown]
	s_delay_alu instid0(VALU_DEP_1) | instskip(NEXT) | instid1(VALU_DEP_1)
	v_dual_sub_f32 v135, v135, v148 :: v_dual_sub_f32 v146, v146, v147
	v_add_f32_e32 v144, v146, v133
	v_sub_f32_e32 v134, v134, v149
	s_delay_alu instid0(VALU_DEP_1) | instskip(NEXT) | instid1(VALU_DEP_3)
	v_add_f32_e32 v134, v135, v134
	v_sub_f32_e32 v135, v144, v146
	s_delay_alu instid0(VALU_DEP_1) | instskip(NEXT) | instid1(VALU_DEP_1)
	v_dual_sub_f32 v133, v133, v135 :: v_dual_add_f32 v134, v144, v134
	v_dual_sub_f32 v144, v144, v135 :: v_dual_add_f32 v147, v145, v134
	s_delay_alu instid0(VALU_DEP_1) | instskip(NEXT) | instid1(VALU_DEP_1)
	v_dual_sub_f32 v135, v147, v145 :: v_dual_sub_f32 v144, v146, v144
	v_dual_sub_f32 v134, v134, v135 :: v_dual_add_f32 v133, v133, v144
	s_delay_alu instid0(VALU_DEP_1) | instskip(NEXT) | instid1(VALU_DEP_1)
	v_add_f32_e32 v133, v133, v134
	v_add_f32_e32 v133, v147, v133
	s_delay_alu instid0(VALU_DEP_1) | instskip(NEXT) | instid1(VALU_DEP_1)
	v_cndmask_b32_e32 v31, v133, v31, vcc_lo
	v_add_f32_e32 v30, v30, v31
	s_delay_alu instid0(VALU_DEP_1)
	v_cvt_f16_f32_e64 v133, v30
	s_branch .LBB390_153
.LBB390_183:                            ;   in Loop: Header=BB390_154 Depth=1
                                        ; implicit-def: $vgpr133
                                        ; implicit-def: $vgpr115
	s_cbranch_execz .LBB390_154
; %bb.184:
	s_and_saveexec_b32 s26, s25
	s_cbranch_execz .LBB390_188
; %bb.185:
	v_cvt_f32_f16_e64 v28, v130
	v_cvt_f32_f16_e32 v29, v103
	v_cmp_u_f16_e64 vcc_lo, v130, v130
	s_delay_alu instid0(VALU_DEP_2) | instskip(NEXT) | instid1(VALU_DEP_1)
	v_min_f32_e32 v30, v28, v29
	v_dual_max_f32 v31, v28, v29 :: v_dual_cndmask_b32 v30, v30, v28
	s_delay_alu instid0(VALU_DEP_1) | instskip(SKIP_1) | instid1(VALU_DEP_3)
	v_cndmask_b32_e32 v28, v31, v28, vcc_lo
	v_cmp_u_f16_e32 vcc_lo, v103, v103
	v_cndmask_b32_e32 v30, v30, v29, vcc_lo
	s_delay_alu instid0(VALU_DEP_3) | instskip(NEXT) | instid1(VALU_DEP_2)
	v_dual_cndmask_b32 v28, v28, v29 :: v_dual_mov_b32 v29, v130
	v_cmp_class_f32_e64 s25, v30, 0x1f8
	s_delay_alu instid0(VALU_DEP_2) | instskip(NEXT) | instid1(VALU_DEP_2)
	v_cmp_neq_f32_e32 vcc_lo, v30, v28
	s_or_b32 s27, vcc_lo, s25
	s_delay_alu instid0(SALU_CYCLE_1)
	s_and_saveexec_b32 s25, s27
	s_cbranch_execz .LBB390_187
; %bb.186:
	v_sub_f32_e32 v29, v30, v28
	s_mov_b32 s27, 0x3e9b6dac
	s_delay_alu instid0(VALU_DEP_1) | instskip(SKIP_1) | instid1(VALU_DEP_2)
	v_mul_f32_e32 v30, 0x3fb8aa3b, v29
	v_cmp_ngt_f32_e32 vcc_lo, 0xc2ce8ed0, v29
	v_fma_f32 v31, 0x3fb8aa3b, v29, -v30
	v_rndne_f32_e32 v103, v30
	s_delay_alu instid0(VALU_DEP_1) | instskip(NEXT) | instid1(VALU_DEP_1)
	v_dual_fmamk_f32 v31, v29, 0x32a5705f, v31 :: v_dual_sub_f32 v30, v30, v103
	v_add_f32_e32 v30, v30, v31
	v_cvt_i32_f32_e32 v31, v103
	s_delay_alu instid0(VALU_DEP_2) | instskip(SKIP_2) | instid1(VALU_DEP_1)
	v_exp_f32_e32 v30, v30
	s_waitcnt_depctr 0xfff
	v_ldexp_f32 v30, v30, v31
	v_cndmask_b32_e32 v30, 0, v30, vcc_lo
	v_cmp_nlt_f32_e32 vcc_lo, 0x42b17218, v29
	s_delay_alu instid0(VALU_DEP_2) | instskip(NEXT) | instid1(VALU_DEP_1)
	v_cndmask_b32_e32 v31, 0x7f800000, v30, vcc_lo
	v_add_f32_e32 v103, 1.0, v31
	s_delay_alu instid0(VALU_DEP_1) | instskip(NEXT) | instid1(VALU_DEP_1)
	v_cvt_f64_f32_e32 v[29:30], v103
	v_frexp_exp_i32_f64_e32 v29, v[29:30]
	v_frexp_mant_f32_e32 v30, v103
	s_delay_alu instid0(VALU_DEP_1) | instskip(SKIP_1) | instid1(VALU_DEP_1)
	v_cmp_gt_f32_e32 vcc_lo, 0x3f2aaaab, v30
	v_add_f32_e32 v30, -1.0, v103
	v_dual_sub_f32 v113, v30, v103 :: v_dual_sub_f32 v30, v31, v30
	s_delay_alu instid0(VALU_DEP_1) | instskip(SKIP_2) | instid1(VALU_DEP_2)
	v_add_f32_e32 v113, 1.0, v113
	v_subrev_co_ci_u32_e32 v29, vcc_lo, 0, v29, vcc_lo
	v_cmp_eq_f32_e32 vcc_lo, 0x7f800000, v31
	v_sub_nc_u32_e32 v112, 0, v29
	v_cvt_f32_i32_e32 v29, v29
	s_delay_alu instid0(VALU_DEP_2) | instskip(NEXT) | instid1(VALU_DEP_1)
	v_ldexp_f32 v103, v103, v112
	v_add_f32_e32 v114, 1.0, v103
	s_delay_alu instid0(VALU_DEP_1) | instskip(NEXT) | instid1(VALU_DEP_1)
	v_dual_add_f32 v30, v30, v113 :: v_dual_add_f32 v113, -1.0, v114
	v_ldexp_f32 v30, v30, v112
	s_delay_alu instid0(VALU_DEP_2) | instskip(NEXT) | instid1(VALU_DEP_1)
	v_dual_sub_f32 v113, v103, v113 :: v_dual_add_f32 v112, -1.0, v103
	v_add_f32_e32 v113, v30, v113
	s_delay_alu instid0(VALU_DEP_2) | instskip(NEXT) | instid1(VALU_DEP_1)
	v_add_f32_e32 v115, 1.0, v112
	v_sub_f32_e32 v103, v103, v115
	s_delay_alu instid0(VALU_DEP_1) | instskip(NEXT) | instid1(VALU_DEP_1)
	v_add_f32_e32 v30, v30, v103
	v_dual_add_f32 v116, v112, v30 :: v_dual_add_f32 v115, v114, v113
	s_delay_alu instid0(VALU_DEP_1) | instskip(NEXT) | instid1(VALU_DEP_2)
	v_sub_f32_e32 v112, v112, v116
	v_rcp_f32_e32 v103, v115
	v_sub_f32_e32 v114, v114, v115
	s_delay_alu instid0(VALU_DEP_1) | instskip(SKIP_2) | instid1(VALU_DEP_1)
	v_dual_add_f32 v30, v30, v112 :: v_dual_add_f32 v113, v113, v114
	s_waitcnt_depctr 0xfff
	v_mul_f32_e32 v117, v116, v103
	v_mul_f32_e32 v118, v115, v117
	s_delay_alu instid0(VALU_DEP_1) | instskip(NEXT) | instid1(VALU_DEP_1)
	v_fma_f32 v114, v117, v115, -v118
	v_fmac_f32_e32 v114, v117, v113
	s_delay_alu instid0(VALU_DEP_1) | instskip(NEXT) | instid1(VALU_DEP_1)
	v_add_f32_e32 v119, v118, v114
	v_sub_f32_e32 v128, v116, v119
	s_delay_alu instid0(VALU_DEP_1) | instskip(SKIP_1) | instid1(VALU_DEP_2)
	v_sub_f32_e32 v116, v116, v128
	v_sub_f32_e32 v112, v119, v118
	;; [unrolled: 1-line block ×3, first 2 shown]
	s_delay_alu instid0(VALU_DEP_2) | instskip(NEXT) | instid1(VALU_DEP_2)
	v_sub_f32_e32 v112, v112, v114
	v_add_f32_e32 v30, v30, v116
	s_delay_alu instid0(VALU_DEP_1) | instskip(NEXT) | instid1(VALU_DEP_1)
	v_add_f32_e32 v30, v112, v30
	v_add_f32_e32 v112, v128, v30
	s_delay_alu instid0(VALU_DEP_1) | instskip(NEXT) | instid1(VALU_DEP_1)
	v_mul_f32_e32 v114, v103, v112
	v_dual_sub_f32 v119, v128, v112 :: v_dual_mul_f32 v116, v115, v114
	s_delay_alu instid0(VALU_DEP_1) | instskip(NEXT) | instid1(VALU_DEP_2)
	v_add_f32_e32 v30, v30, v119
	v_fma_f32 v115, v114, v115, -v116
	s_delay_alu instid0(VALU_DEP_1) | instskip(NEXT) | instid1(VALU_DEP_1)
	v_fmac_f32_e32 v115, v114, v113
	v_add_f32_e32 v113, v116, v115
	s_delay_alu instid0(VALU_DEP_1) | instskip(SKIP_1) | instid1(VALU_DEP_2)
	v_sub_f32_e32 v118, v112, v113
	v_sub_f32_e32 v116, v113, v116
	;; [unrolled: 1-line block ×3, first 2 shown]
	s_delay_alu instid0(VALU_DEP_1) | instskip(NEXT) | instid1(VALU_DEP_1)
	v_sub_f32_e32 v112, v112, v113
	v_dual_sub_f32 v113, v116, v115 :: v_dual_add_f32 v30, v30, v112
	v_add_f32_e32 v112, v117, v114
	s_delay_alu instid0(VALU_DEP_1) | instskip(NEXT) | instid1(VALU_DEP_1)
	v_dual_add_f32 v30, v113, v30 :: v_dual_sub_f32 v113, v112, v117
	v_add_f32_e32 v30, v118, v30
	s_delay_alu instid0(VALU_DEP_1) | instskip(NEXT) | instid1(VALU_DEP_1)
	v_dual_sub_f32 v113, v114, v113 :: v_dual_mul_f32 v30, v103, v30
	v_add_f32_e32 v30, v113, v30
	s_delay_alu instid0(VALU_DEP_1) | instskip(NEXT) | instid1(VALU_DEP_1)
	v_add_f32_e32 v103, v112, v30
	v_mul_f32_e32 v113, v103, v103
	s_delay_alu instid0(VALU_DEP_1) | instskip(SKIP_2) | instid1(VALU_DEP_3)
	v_fmaak_f32 v114, s27, v113, 0x3ecc95a3
	v_mul_f32_e32 v115, v103, v113
	v_cmp_gt_f32_e64 s27, 0x33800000, |v31|
	v_fmaak_f32 v113, v113, v114, 0x3f2aaada
	v_ldexp_f32 v114, v103, 1
	v_sub_f32_e32 v103, v103, v112
	s_delay_alu instid0(VALU_DEP_4) | instskip(NEXT) | instid1(VALU_DEP_3)
	s_or_b32 vcc_lo, vcc_lo, s27
	v_mul_f32_e32 v113, v115, v113
	s_delay_alu instid0(VALU_DEP_2) | instskip(NEXT) | instid1(VALU_DEP_2)
	v_dual_mul_f32 v115, 0x3f317218, v29 :: v_dual_sub_f32 v30, v30, v103
	v_add_f32_e32 v112, v114, v113
	s_delay_alu instid0(VALU_DEP_2) | instskip(NEXT) | instid1(VALU_DEP_2)
	v_ldexp_f32 v30, v30, 1
	v_sub_f32_e32 v103, v112, v114
	s_delay_alu instid0(VALU_DEP_4) | instskip(NEXT) | instid1(VALU_DEP_2)
	v_fma_f32 v114, 0x3f317218, v29, -v115
	v_sub_f32_e32 v103, v113, v103
	s_delay_alu instid0(VALU_DEP_1) | instskip(NEXT) | instid1(VALU_DEP_1)
	v_dual_fmamk_f32 v29, v29, 0xb102e308, v114 :: v_dual_add_f32 v30, v30, v103
	v_add_f32_e32 v103, v115, v29
	s_delay_alu instid0(VALU_DEP_2) | instskip(NEXT) | instid1(VALU_DEP_2)
	v_add_f32_e32 v113, v112, v30
	v_sub_f32_e32 v115, v103, v115
	s_delay_alu instid0(VALU_DEP_2) | instskip(SKIP_1) | instid1(VALU_DEP_3)
	v_add_f32_e32 v114, v103, v113
	v_sub_f32_e32 v112, v113, v112
	v_sub_f32_e32 v29, v29, v115
	s_delay_alu instid0(VALU_DEP_3) | instskip(NEXT) | instid1(VALU_DEP_3)
	v_sub_f32_e32 v116, v114, v103
	v_sub_f32_e32 v30, v30, v112
	s_delay_alu instid0(VALU_DEP_2) | instskip(SKIP_1) | instid1(VALU_DEP_3)
	v_sub_f32_e32 v117, v114, v116
	v_sub_f32_e32 v112, v113, v116
	v_add_f32_e32 v113, v29, v30
	s_delay_alu instid0(VALU_DEP_3) | instskip(NEXT) | instid1(VALU_DEP_1)
	v_sub_f32_e32 v103, v103, v117
	v_dual_add_f32 v103, v112, v103 :: v_dual_sub_f32 v112, v113, v29
	s_delay_alu instid0(VALU_DEP_1) | instskip(NEXT) | instid1(VALU_DEP_2)
	v_add_f32_e32 v103, v113, v103
	v_sub_f32_e32 v113, v113, v112
	v_sub_f32_e32 v30, v30, v112
	s_delay_alu instid0(VALU_DEP_3) | instskip(NEXT) | instid1(VALU_DEP_1)
	v_add_f32_e32 v115, v114, v103
	v_dual_sub_f32 v29, v29, v113 :: v_dual_sub_f32 v112, v115, v114
	s_delay_alu instid0(VALU_DEP_1) | instskip(NEXT) | instid1(VALU_DEP_1)
	v_dual_add_f32 v29, v30, v29 :: v_dual_sub_f32 v30, v103, v112
	v_add_f32_e32 v29, v29, v30
	s_delay_alu instid0(VALU_DEP_1) | instskip(NEXT) | instid1(VALU_DEP_1)
	v_add_f32_e32 v29, v115, v29
	v_cndmask_b32_e32 v29, v29, v31, vcc_lo
	s_delay_alu instid0(VALU_DEP_1) | instskip(NEXT) | instid1(VALU_DEP_1)
	v_add_f32_e32 v28, v28, v29
	v_cvt_f16_f32_e32 v29, v28
.LBB390_187:
	s_or_b32 exec_lo, exec_lo, s25
	s_add_i32 vcc_lo, s28, 32
	s_mov_b32 vcc_hi, 0
	s_delay_alu instid0(VALU_DEP_1) | instskip(SKIP_1) | instid1(SALU_CYCLE_1)
	v_and_b32_e32 v30, 0xffff, v29
	s_lshl_b64 vcc, vcc, 2
	v_add_co_u32 v28, vcc_lo, v18, vcc_lo
	v_add_co_ci_u32_e32 v29, vcc_lo, vcc_hi, v19, vcc_lo
	s_delay_alu instid0(VALU_DEP_3)
	v_or_b32_e32 v30, 0x20000, v30
	flat_store_b32 v[28:29], v30
.LBB390_188:
	s_or_b32 exec_lo, exec_lo, s26
	s_delay_alu instid0(SALU_CYCLE_1)
	s_and_b32 exec_lo, exec_lo, s2
	s_cbranch_execz .LBB390_190
; %bb.189:
	v_mov_b32_e32 v28, 0
	ds_store_b16 v28, v130
.LBB390_190:
	s_or_b32 exec_lo, exec_lo, s29
	v_mov_b32_e32 v28, 0
	s_waitcnt lgkmcnt(0)
	s_waitcnt_vscnt null, 0x0
	s_barrier
	buffer_gl0_inv
	ds_load_u16 v103, v28
	v_mov_b32_e32 v28, v12
	s_and_saveexec_b32 s25, s1
	s_cbranch_execz .LBB390_194
; %bb.191:
	v_cvt_f32_f16_e32 v29, v102
	v_max_f32_e32 v28, v101, v101
	v_cmp_u_f16_e32 vcc_lo, v102, v102
	s_delay_alu instid0(VALU_DEP_2) | instskip(SKIP_1) | instid1(VALU_DEP_2)
	v_min_f32_e32 v30, v29, v28
	v_max_f32_e32 v28, v29, v28
	v_cndmask_b32_e32 v30, v30, v29, vcc_lo
	s_delay_alu instid0(VALU_DEP_2) | instskip(NEXT) | instid1(VALU_DEP_2)
	v_cndmask_b32_e32 v28, v28, v29, vcc_lo
	v_cndmask_b32_e64 v30, v30, v101, s24
	s_delay_alu instid0(VALU_DEP_2) | instskip(NEXT) | instid1(VALU_DEP_2)
	v_cndmask_b32_e64 v28, v28, v101, s24
	v_cmp_class_f32_e64 s24, v30, 0x1f8
	s_delay_alu instid0(VALU_DEP_2) | instskip(NEXT) | instid1(VALU_DEP_2)
	v_cmp_neq_f32_e32 vcc_lo, v30, v28
	s_or_b32 s26, vcc_lo, s24
	s_delay_alu instid0(SALU_CYCLE_1)
	s_and_saveexec_b32 s24, s26
	s_cbranch_execz .LBB390_193
; %bb.192:
	v_sub_f32_e32 v29, v30, v28
	s_mov_b32 s26, 0x3e9b6dac
	s_delay_alu instid0(VALU_DEP_1) | instskip(SKIP_1) | instid1(VALU_DEP_2)
	v_mul_f32_e32 v30, 0x3fb8aa3b, v29
	v_cmp_ngt_f32_e32 vcc_lo, 0xc2ce8ed0, v29
	v_fma_f32 v31, 0x3fb8aa3b, v29, -v30
	v_rndne_f32_e32 v101, v30
	s_delay_alu instid0(VALU_DEP_1) | instskip(NEXT) | instid1(VALU_DEP_1)
	v_dual_fmamk_f32 v31, v29, 0x32a5705f, v31 :: v_dual_sub_f32 v30, v30, v101
	v_add_f32_e32 v30, v30, v31
	v_cvt_i32_f32_e32 v31, v101
	s_delay_alu instid0(VALU_DEP_2) | instskip(SKIP_2) | instid1(VALU_DEP_1)
	v_exp_f32_e32 v30, v30
	s_waitcnt_depctr 0xfff
	v_ldexp_f32 v30, v30, v31
	v_cndmask_b32_e32 v30, 0, v30, vcc_lo
	v_cmp_nlt_f32_e32 vcc_lo, 0x42b17218, v29
	s_delay_alu instid0(VALU_DEP_2) | instskip(NEXT) | instid1(VALU_DEP_1)
	v_cndmask_b32_e32 v31, 0x7f800000, v30, vcc_lo
	v_add_f32_e32 v101, 1.0, v31
	s_delay_alu instid0(VALU_DEP_1) | instskip(NEXT) | instid1(VALU_DEP_1)
	v_cvt_f64_f32_e32 v[29:30], v101
	v_frexp_exp_i32_f64_e32 v29, v[29:30]
	v_frexp_mant_f32_e32 v30, v101
	s_delay_alu instid0(VALU_DEP_1) | instskip(SKIP_1) | instid1(VALU_DEP_1)
	v_cmp_gt_f32_e32 vcc_lo, 0x3f2aaaab, v30
	v_add_f32_e32 v30, -1.0, v101
	v_sub_f32_e32 v112, v30, v101
	v_sub_f32_e32 v30, v31, v30
	s_delay_alu instid0(VALU_DEP_2) | instskip(SKIP_2) | instid1(VALU_DEP_2)
	v_add_f32_e32 v112, 1.0, v112
	v_subrev_co_ci_u32_e32 v29, vcc_lo, 0, v29, vcc_lo
	v_cmp_eq_f32_e32 vcc_lo, 0x7f800000, v31
	v_sub_nc_u32_e32 v102, 0, v29
	v_cvt_f32_i32_e32 v29, v29
	s_delay_alu instid0(VALU_DEP_2) | instskip(NEXT) | instid1(VALU_DEP_1)
	v_ldexp_f32 v101, v101, v102
	v_dual_add_f32 v113, 1.0, v101 :: v_dual_add_f32 v30, v30, v112
	s_delay_alu instid0(VALU_DEP_1) | instskip(NEXT) | instid1(VALU_DEP_2)
	v_add_f32_e32 v112, -1.0, v113
	v_ldexp_f32 v30, v30, v102
	v_add_f32_e32 v102, -1.0, v101
	s_delay_alu instid0(VALU_DEP_3) | instskip(NEXT) | instid1(VALU_DEP_2)
	v_sub_f32_e32 v112, v101, v112
	v_add_f32_e32 v114, 1.0, v102
	s_delay_alu instid0(VALU_DEP_1) | instskip(NEXT) | instid1(VALU_DEP_1)
	v_dual_add_f32 v112, v30, v112 :: v_dual_sub_f32 v101, v101, v114
	v_add_f32_e32 v114, v113, v112
	s_delay_alu instid0(VALU_DEP_2) | instskip(NEXT) | instid1(VALU_DEP_2)
	v_add_f32_e32 v30, v30, v101
	v_rcp_f32_e32 v101, v114
	v_sub_f32_e32 v113, v113, v114
	s_delay_alu instid0(VALU_DEP_1) | instskip(SKIP_2) | instid1(VALU_DEP_1)
	v_dual_add_f32 v115, v102, v30 :: v_dual_add_f32 v112, v112, v113
	s_waitcnt_depctr 0xfff
	v_mul_f32_e32 v116, v115, v101
	v_mul_f32_e32 v117, v114, v116
	s_delay_alu instid0(VALU_DEP_1) | instskip(NEXT) | instid1(VALU_DEP_1)
	v_fma_f32 v113, v116, v114, -v117
	v_dual_fmac_f32 v113, v116, v112 :: v_dual_sub_f32 v102, v102, v115
	s_delay_alu instid0(VALU_DEP_1) | instskip(NEXT) | instid1(VALU_DEP_2)
	v_add_f32_e32 v118, v117, v113
	v_add_f32_e32 v30, v30, v102
	s_delay_alu instid0(VALU_DEP_2) | instskip(NEXT) | instid1(VALU_DEP_1)
	v_dual_sub_f32 v119, v115, v118 :: v_dual_sub_f32 v102, v118, v117
	v_dual_sub_f32 v115, v115, v119 :: v_dual_sub_f32 v102, v102, v113
	s_delay_alu instid0(VALU_DEP_1) | instskip(NEXT) | instid1(VALU_DEP_1)
	v_sub_f32_e32 v115, v115, v118
	v_add_f32_e32 v30, v30, v115
	s_delay_alu instid0(VALU_DEP_1) | instskip(NEXT) | instid1(VALU_DEP_1)
	v_add_f32_e32 v30, v102, v30
	v_add_f32_e32 v102, v119, v30
	s_delay_alu instid0(VALU_DEP_1) | instskip(NEXT) | instid1(VALU_DEP_1)
	v_mul_f32_e32 v113, v101, v102
	v_dual_mul_f32 v115, v114, v113 :: v_dual_sub_f32 v118, v119, v102
	s_delay_alu instid0(VALU_DEP_1) | instskip(NEXT) | instid1(VALU_DEP_2)
	v_fma_f32 v114, v113, v114, -v115
	v_add_f32_e32 v30, v30, v118
	s_delay_alu instid0(VALU_DEP_2) | instskip(NEXT) | instid1(VALU_DEP_1)
	v_fmac_f32_e32 v114, v113, v112
	v_add_f32_e32 v112, v115, v114
	s_delay_alu instid0(VALU_DEP_1) | instskip(NEXT) | instid1(VALU_DEP_1)
	v_sub_f32_e32 v117, v102, v112
	v_dual_sub_f32 v115, v112, v115 :: v_dual_sub_f32 v102, v102, v117
	s_delay_alu instid0(VALU_DEP_1) | instskip(NEXT) | instid1(VALU_DEP_2)
	v_sub_f32_e32 v102, v102, v112
	v_sub_f32_e32 v112, v115, v114
	s_delay_alu instid0(VALU_DEP_2) | instskip(SKIP_1) | instid1(VALU_DEP_2)
	v_add_f32_e32 v30, v30, v102
	v_add_f32_e32 v102, v116, v113
	;; [unrolled: 1-line block ×3, first 2 shown]
	s_delay_alu instid0(VALU_DEP_2) | instskip(NEXT) | instid1(VALU_DEP_2)
	v_sub_f32_e32 v112, v102, v116
	v_add_f32_e32 v30, v117, v30
	s_delay_alu instid0(VALU_DEP_2) | instskip(NEXT) | instid1(VALU_DEP_2)
	v_sub_f32_e32 v112, v113, v112
	v_mul_f32_e32 v30, v101, v30
	s_delay_alu instid0(VALU_DEP_1) | instskip(NEXT) | instid1(VALU_DEP_1)
	v_add_f32_e32 v30, v112, v30
	v_add_f32_e32 v101, v102, v30
	s_delay_alu instid0(VALU_DEP_1) | instskip(NEXT) | instid1(VALU_DEP_1)
	v_mul_f32_e32 v112, v101, v101
	v_fmaak_f32 v113, s26, v112, 0x3ecc95a3
	v_mul_f32_e32 v114, v101, v112
	v_cmp_gt_f32_e64 s26, 0x33800000, |v31|
	s_delay_alu instid0(VALU_DEP_3) | instskip(SKIP_2) | instid1(VALU_DEP_4)
	v_fmaak_f32 v112, v112, v113, 0x3f2aaada
	v_ldexp_f32 v113, v101, 1
	v_sub_f32_e32 v101, v101, v102
	s_or_b32 vcc_lo, vcc_lo, s26
	s_delay_alu instid0(VALU_DEP_3) | instskip(SKIP_1) | instid1(VALU_DEP_3)
	v_mul_f32_e32 v112, v114, v112
	v_mul_f32_e32 v114, 0x3f317218, v29
	v_sub_f32_e32 v30, v30, v101
	s_delay_alu instid0(VALU_DEP_3) | instskip(NEXT) | instid1(VALU_DEP_2)
	v_add_f32_e32 v102, v113, v112
	v_ldexp_f32 v30, v30, 1
	s_delay_alu instid0(VALU_DEP_2) | instskip(SKIP_1) | instid1(VALU_DEP_2)
	v_sub_f32_e32 v101, v102, v113
	v_fma_f32 v113, 0x3f317218, v29, -v114
	v_sub_f32_e32 v101, v112, v101
	s_delay_alu instid0(VALU_DEP_1) | instskip(NEXT) | instid1(VALU_DEP_1)
	v_dual_fmamk_f32 v29, v29, 0xb102e308, v113 :: v_dual_add_f32 v30, v30, v101
	v_add_f32_e32 v101, v114, v29
	s_delay_alu instid0(VALU_DEP_2) | instskip(NEXT) | instid1(VALU_DEP_2)
	v_add_f32_e32 v112, v102, v30
	v_sub_f32_e32 v114, v101, v114
	s_delay_alu instid0(VALU_DEP_2) | instskip(NEXT) | instid1(VALU_DEP_2)
	v_dual_add_f32 v113, v101, v112 :: v_dual_sub_f32 v102, v112, v102
	v_sub_f32_e32 v29, v29, v114
	s_delay_alu instid0(VALU_DEP_2) | instskip(NEXT) | instid1(VALU_DEP_1)
	v_dual_sub_f32 v115, v113, v101 :: v_dual_sub_f32 v30, v30, v102
	v_sub_f32_e32 v116, v113, v115
	v_sub_f32_e32 v102, v112, v115
	s_delay_alu instid0(VALU_DEP_3) | instskip(NEXT) | instid1(VALU_DEP_3)
	v_add_f32_e32 v112, v29, v30
	v_sub_f32_e32 v101, v101, v116
	s_delay_alu instid0(VALU_DEP_1) | instskip(NEXT) | instid1(VALU_DEP_3)
	v_add_f32_e32 v101, v102, v101
	v_sub_f32_e32 v102, v112, v29
	s_delay_alu instid0(VALU_DEP_2) | instskip(NEXT) | instid1(VALU_DEP_2)
	v_add_f32_e32 v101, v112, v101
	v_sub_f32_e32 v112, v112, v102
	v_sub_f32_e32 v30, v30, v102
	s_delay_alu instid0(VALU_DEP_3) | instskip(NEXT) | instid1(VALU_DEP_1)
	v_add_f32_e32 v114, v113, v101
	v_dual_sub_f32 v29, v29, v112 :: v_dual_sub_f32 v102, v114, v113
	s_delay_alu instid0(VALU_DEP_1) | instskip(NEXT) | instid1(VALU_DEP_1)
	v_dual_add_f32 v29, v30, v29 :: v_dual_sub_f32 v30, v101, v102
	v_add_f32_e32 v29, v29, v30
	s_delay_alu instid0(VALU_DEP_1) | instskip(NEXT) | instid1(VALU_DEP_1)
	v_add_f32_e32 v29, v114, v29
	v_cndmask_b32_e32 v29, v29, v31, vcc_lo
	s_delay_alu instid0(VALU_DEP_1) | instskip(NEXT) | instid1(VALU_DEP_1)
	v_add_f32_e32 v28, v28, v29
	v_cvt_f16_f32_e32 v102, v28
	s_delay_alu instid0(VALU_DEP_1)
	v_cvt_f32_f16_e32 v29, v102
.LBB390_193:
	s_or_b32 exec_lo, exec_lo, s24
	s_delay_alu instid0(VALU_DEP_1)
	v_dual_mov_b32 v101, v29 :: v_dual_mov_b32 v28, v102
.LBB390_194:
	s_or_b32 exec_lo, exec_lo, s25
	s_waitcnt lgkmcnt(0)
	v_cvt_f32_f16_e32 v102, v103
	v_cmp_u_f16_e32 vcc_lo, v103, v103
	v_max_f32_e32 v29, v101, v101
	s_delay_alu instid0(VALU_DEP_1) | instskip(NEXT) | instid1(VALU_DEP_1)
	v_min_f32_e32 v30, v102, v29
	v_cndmask_b32_e32 v30, v30, v102, vcc_lo
	v_max_f32_e32 v29, v102, v29
	s_delay_alu instid0(VALU_DEP_1) | instskip(SKIP_1) | instid1(VALU_DEP_4)
	v_cndmask_b32_e32 v31, v29, v102, vcc_lo
	v_cmp_u_f16_e32 vcc_lo, v28, v28
	v_cndmask_b32_e32 v29, v30, v101, vcc_lo
	s_delay_alu instid0(VALU_DEP_3) | instskip(NEXT) | instid1(VALU_DEP_2)
	v_cndmask_b32_e32 v28, v31, v101, vcc_lo
	v_cmp_class_f32_e64 s24, v29, 0x1f8
	s_delay_alu instid0(VALU_DEP_2) | instskip(NEXT) | instid1(VALU_DEP_2)
	v_cmp_neq_f32_e32 vcc_lo, v29, v28
	s_or_b32 s25, vcc_lo, s24
	s_delay_alu instid0(SALU_CYCLE_1)
	s_and_saveexec_b32 s24, s25
	s_cbranch_execz .LBB390_196
; %bb.195:
	v_sub_f32_e32 v29, v29, v28
	s_mov_b32 s25, 0x3e9b6dac
	s_delay_alu instid0(VALU_DEP_1) | instskip(NEXT) | instid1(VALU_DEP_1)
	v_mul_f32_e32 v30, 0x3fb8aa3b, v29
	v_fma_f32 v31, 0x3fb8aa3b, v29, -v30
	v_rndne_f32_e32 v101, v30
	s_delay_alu instid0(VALU_DEP_1) | instskip(SKIP_1) | instid1(VALU_DEP_4)
	v_sub_f32_e32 v30, v30, v101
	v_cmp_ngt_f32_e32 vcc_lo, 0xc2ce8ed0, v29
	v_fmamk_f32 v31, v29, 0x32a5705f, v31
	s_delay_alu instid0(VALU_DEP_1) | instskip(SKIP_1) | instid1(VALU_DEP_2)
	v_add_f32_e32 v30, v30, v31
	v_cvt_i32_f32_e32 v31, v101
	v_exp_f32_e32 v30, v30
	s_waitcnt_depctr 0xfff
	v_ldexp_f32 v30, v30, v31
	s_delay_alu instid0(VALU_DEP_1) | instskip(SKIP_1) | instid1(VALU_DEP_2)
	v_cndmask_b32_e32 v30, 0, v30, vcc_lo
	v_cmp_nlt_f32_e32 vcc_lo, 0x42b17218, v29
	v_cndmask_b32_e32 v31, 0x7f800000, v30, vcc_lo
	s_delay_alu instid0(VALU_DEP_1) | instskip(NEXT) | instid1(VALU_DEP_1)
	v_add_f32_e32 v101, 1.0, v31
	v_cvt_f64_f32_e32 v[29:30], v101
	s_delay_alu instid0(VALU_DEP_1) | instskip(SKIP_1) | instid1(VALU_DEP_1)
	v_frexp_exp_i32_f64_e32 v29, v[29:30]
	v_frexp_mant_f32_e32 v30, v101
	v_cmp_gt_f32_e32 vcc_lo, 0x3f2aaaab, v30
	v_add_f32_e32 v30, -1.0, v101
	s_delay_alu instid0(VALU_DEP_1) | instskip(SKIP_2) | instid1(VALU_DEP_2)
	v_dual_sub_f32 v103, v30, v101 :: v_dual_sub_f32 v30, v31, v30
	v_subrev_co_ci_u32_e32 v29, vcc_lo, 0, v29, vcc_lo
	v_cmp_eq_f32_e32 vcc_lo, 0x7f800000, v31
	v_sub_nc_u32_e32 v102, 0, v29
	v_cvt_f32_i32_e32 v29, v29
	s_delay_alu instid0(VALU_DEP_2) | instskip(NEXT) | instid1(VALU_DEP_1)
	v_ldexp_f32 v101, v101, v102
	v_dual_add_f32 v103, 1.0, v103 :: v_dual_add_f32 v112, 1.0, v101
	s_delay_alu instid0(VALU_DEP_1) | instskip(NEXT) | instid1(VALU_DEP_1)
	v_dual_add_f32 v30, v30, v103 :: v_dual_add_f32 v103, -1.0, v112
	v_ldexp_f32 v30, v30, v102
	s_delay_alu instid0(VALU_DEP_2) | instskip(NEXT) | instid1(VALU_DEP_1)
	v_dual_add_f32 v102, -1.0, v101 :: v_dual_sub_f32 v103, v101, v103
	v_add_f32_e32 v113, 1.0, v102
	s_delay_alu instid0(VALU_DEP_2) | instskip(NEXT) | instid1(VALU_DEP_2)
	v_add_f32_e32 v103, v30, v103
	v_sub_f32_e32 v101, v101, v113
	s_delay_alu instid0(VALU_DEP_1) | instskip(NEXT) | instid1(VALU_DEP_1)
	v_dual_add_f32 v113, v112, v103 :: v_dual_add_f32 v30, v30, v101
	v_rcp_f32_e32 v101, v113
	v_sub_f32_e32 v112, v112, v113
	s_delay_alu instid0(VALU_DEP_1) | instskip(NEXT) | instid1(VALU_DEP_1)
	v_dual_add_f32 v114, v102, v30 :: v_dual_add_f32 v103, v103, v112
	v_sub_f32_e32 v102, v102, v114
	s_waitcnt_depctr 0xfff
	v_mul_f32_e32 v115, v114, v101
	v_add_f32_e32 v30, v30, v102
	s_delay_alu instid0(VALU_DEP_2) | instskip(NEXT) | instid1(VALU_DEP_1)
	v_mul_f32_e32 v116, v113, v115
	v_fma_f32 v112, v115, v113, -v116
	s_delay_alu instid0(VALU_DEP_1) | instskip(NEXT) | instid1(VALU_DEP_1)
	v_fmac_f32_e32 v112, v115, v103
	v_add_f32_e32 v117, v116, v112
	s_delay_alu instid0(VALU_DEP_1) | instskip(SKIP_1) | instid1(VALU_DEP_2)
	v_sub_f32_e32 v118, v114, v117
	v_sub_f32_e32 v102, v117, v116
	;; [unrolled: 1-line block ×3, first 2 shown]
	s_delay_alu instid0(VALU_DEP_2) | instskip(NEXT) | instid1(VALU_DEP_2)
	v_sub_f32_e32 v102, v102, v112
	v_sub_f32_e32 v114, v114, v117
	s_delay_alu instid0(VALU_DEP_1) | instskip(NEXT) | instid1(VALU_DEP_1)
	v_add_f32_e32 v30, v30, v114
	v_add_f32_e32 v30, v102, v30
	s_delay_alu instid0(VALU_DEP_1) | instskip(NEXT) | instid1(VALU_DEP_1)
	v_add_f32_e32 v102, v118, v30
	v_mul_f32_e32 v112, v101, v102
	s_delay_alu instid0(VALU_DEP_1) | instskip(NEXT) | instid1(VALU_DEP_1)
	v_mul_f32_e32 v114, v113, v112
	v_fma_f32 v113, v112, v113, -v114
	s_delay_alu instid0(VALU_DEP_1) | instskip(SKIP_1) | instid1(VALU_DEP_2)
	v_fmac_f32_e32 v113, v112, v103
	v_sub_f32_e32 v117, v118, v102
	v_add_f32_e32 v103, v114, v113
	s_delay_alu instid0(VALU_DEP_2) | instskip(NEXT) | instid1(VALU_DEP_2)
	v_add_f32_e32 v30, v30, v117
	v_sub_f32_e32 v116, v102, v103
	v_sub_f32_e32 v114, v103, v114
	s_delay_alu instid0(VALU_DEP_2) | instskip(NEXT) | instid1(VALU_DEP_1)
	v_sub_f32_e32 v102, v102, v116
	v_sub_f32_e32 v102, v102, v103
	s_delay_alu instid0(VALU_DEP_3) | instskip(NEXT) | instid1(VALU_DEP_2)
	v_sub_f32_e32 v103, v114, v113
	v_add_f32_e32 v30, v30, v102
	v_add_f32_e32 v102, v115, v112
	s_delay_alu instid0(VALU_DEP_1) | instskip(NEXT) | instid1(VALU_DEP_1)
	v_dual_add_f32 v30, v103, v30 :: v_dual_sub_f32 v103, v102, v115
	v_add_f32_e32 v30, v116, v30
	s_delay_alu instid0(VALU_DEP_1) | instskip(NEXT) | instid1(VALU_DEP_1)
	v_dual_sub_f32 v103, v112, v103 :: v_dual_mul_f32 v30, v101, v30
	v_add_f32_e32 v30, v103, v30
	s_delay_alu instid0(VALU_DEP_1) | instskip(NEXT) | instid1(VALU_DEP_1)
	v_add_f32_e32 v101, v102, v30
	v_mul_f32_e32 v103, v101, v101
	s_delay_alu instid0(VALU_DEP_1) | instskip(SKIP_2) | instid1(VALU_DEP_3)
	v_fmaak_f32 v112, s25, v103, 0x3ecc95a3
	v_mul_f32_e32 v113, v101, v103
	v_cmp_gt_f32_e64 s25, 0x33800000, |v31|
	v_fmaak_f32 v103, v103, v112, 0x3f2aaada
	v_ldexp_f32 v112, v101, 1
	v_sub_f32_e32 v101, v101, v102
	s_delay_alu instid0(VALU_DEP_4) | instskip(NEXT) | instid1(VALU_DEP_3)
	s_or_b32 vcc_lo, vcc_lo, s25
	v_mul_f32_e32 v103, v113, v103
	v_mul_f32_e32 v113, 0x3f317218, v29
	s_delay_alu instid0(VALU_DEP_3) | instskip(NEXT) | instid1(VALU_DEP_3)
	v_sub_f32_e32 v30, v30, v101
	v_add_f32_e32 v102, v112, v103
	s_delay_alu instid0(VALU_DEP_2) | instskip(NEXT) | instid1(VALU_DEP_2)
	v_ldexp_f32 v30, v30, 1
	v_sub_f32_e32 v101, v102, v112
	v_fma_f32 v112, 0x3f317218, v29, -v113
	s_delay_alu instid0(VALU_DEP_2) | instskip(NEXT) | instid1(VALU_DEP_1)
	v_sub_f32_e32 v101, v103, v101
	v_dual_fmamk_f32 v29, v29, 0xb102e308, v112 :: v_dual_add_f32 v30, v30, v101
	s_delay_alu instid0(VALU_DEP_1) | instskip(NEXT) | instid1(VALU_DEP_2)
	v_add_f32_e32 v101, v113, v29
	v_add_f32_e32 v103, v102, v30
	s_delay_alu instid0(VALU_DEP_2) | instskip(NEXT) | instid1(VALU_DEP_2)
	v_sub_f32_e32 v113, v101, v113
	v_add_f32_e32 v112, v101, v103
	s_delay_alu instid0(VALU_DEP_2) | instskip(NEXT) | instid1(VALU_DEP_2)
	v_sub_f32_e32 v29, v29, v113
	v_sub_f32_e32 v114, v112, v101
	;; [unrolled: 1-line block ×3, first 2 shown]
	s_delay_alu instid0(VALU_DEP_2) | instskip(NEXT) | instid1(VALU_DEP_2)
	v_sub_f32_e32 v115, v112, v114
	v_sub_f32_e32 v30, v30, v102
	s_delay_alu instid0(VALU_DEP_2) | instskip(NEXT) | instid1(VALU_DEP_2)
	v_dual_sub_f32 v102, v103, v114 :: v_dual_sub_f32 v101, v101, v115
	v_add_f32_e32 v103, v29, v30
	s_delay_alu instid0(VALU_DEP_2) | instskip(NEXT) | instid1(VALU_DEP_2)
	v_add_f32_e32 v101, v102, v101
	v_sub_f32_e32 v102, v103, v29
	s_delay_alu instid0(VALU_DEP_2) | instskip(NEXT) | instid1(VALU_DEP_2)
	v_add_f32_e32 v101, v103, v101
	v_sub_f32_e32 v103, v103, v102
	s_delay_alu instid0(VALU_DEP_2) | instskip(NEXT) | instid1(VALU_DEP_2)
	v_dual_sub_f32 v30, v30, v102 :: v_dual_add_f32 v113, v112, v101
	v_sub_f32_e32 v29, v29, v103
	s_delay_alu instid0(VALU_DEP_1) | instskip(NEXT) | instid1(VALU_DEP_1)
	v_dual_sub_f32 v102, v113, v112 :: v_dual_add_f32 v29, v30, v29
	v_sub_f32_e32 v30, v101, v102
	s_delay_alu instid0(VALU_DEP_1) | instskip(NEXT) | instid1(VALU_DEP_1)
	v_add_f32_e32 v29, v29, v30
	v_add_f32_e32 v29, v113, v29
	s_delay_alu instid0(VALU_DEP_1) | instskip(NEXT) | instid1(VALU_DEP_1)
	v_cndmask_b32_e32 v29, v29, v31, vcc_lo
	v_add_f32_e32 v28, v28, v29
	s_delay_alu instid0(VALU_DEP_1) | instskip(NEXT) | instid1(VALU_DEP_1)
	v_cvt_f16_f32_e32 v103, v28
	v_cvt_f32_f16_e32 v102, v103
.LBB390_196:
	s_or_b32 exec_lo, exec_lo, s24
	s_delay_alu instid0(VALU_DEP_1) | instskip(SKIP_1) | instid1(VALU_DEP_2)
	v_dual_max_f32 v28, v36, v36 :: v_dual_max_f32 v29, v102, v102
	v_cmp_u_f16_e32 vcc_lo, v103, v103
	v_dual_mov_b32 v101, v103 :: v_dual_min_f32 v30, v29, v28
	s_delay_alu instid0(VALU_DEP_1) | instskip(NEXT) | instid1(VALU_DEP_1)
	v_dual_max_f32 v28, v29, v28 :: v_dual_cndmask_b32 v29, v30, v102
	v_cndmask_b32_e32 v28, v28, v102, vcc_lo
	s_delay_alu instid0(VALU_DEP_2) | instskip(NEXT) | instid1(VALU_DEP_2)
	v_cndmask_b32_e64 v30, v29, v36, s3
	v_cndmask_b32_e64 v29, v28, v36, s3
	v_mov_b32_e32 v28, v103
	s_delay_alu instid0(VALU_DEP_3) | instskip(NEXT) | instid1(VALU_DEP_3)
	v_cmp_class_f32_e64 s3, v30, 0x1f8
	v_cmp_neq_f32_e32 vcc_lo, v30, v29
	s_delay_alu instid0(VALU_DEP_2) | instskip(NEXT) | instid1(SALU_CYCLE_1)
	s_or_b32 s24, vcc_lo, s3
	s_and_saveexec_b32 s3, s24
	s_cbranch_execz .LBB390_198
; %bb.197:
	v_sub_f32_e32 v28, v30, v29
	s_mov_b32 s24, 0x3e9b6dac
	s_delay_alu instid0(VALU_DEP_1) | instskip(SKIP_1) | instid1(VALU_DEP_2)
	v_mul_f32_e32 v30, 0x3fb8aa3b, v28
	v_cmp_ngt_f32_e32 vcc_lo, 0xc2ce8ed0, v28
	v_fma_f32 v31, 0x3fb8aa3b, v28, -v30
	v_rndne_f32_e32 v101, v30
	s_delay_alu instid0(VALU_DEP_1) | instskip(NEXT) | instid1(VALU_DEP_1)
	v_dual_fmamk_f32 v31, v28, 0x32a5705f, v31 :: v_dual_sub_f32 v30, v30, v101
	v_add_f32_e32 v30, v30, v31
	v_cvt_i32_f32_e32 v31, v101
	s_delay_alu instid0(VALU_DEP_2) | instskip(SKIP_2) | instid1(VALU_DEP_1)
	v_exp_f32_e32 v30, v30
	s_waitcnt_depctr 0xfff
	v_ldexp_f32 v30, v30, v31
	v_cndmask_b32_e32 v30, 0, v30, vcc_lo
	v_cmp_nlt_f32_e32 vcc_lo, 0x42b17218, v28
	s_delay_alu instid0(VALU_DEP_2) | instskip(NEXT) | instid1(VALU_DEP_1)
	v_cndmask_b32_e32 v28, 0x7f800000, v30, vcc_lo
	v_add_f32_e32 v101, 1.0, v28
	s_delay_alu instid0(VALU_DEP_1) | instskip(NEXT) | instid1(VALU_DEP_1)
	v_cvt_f64_f32_e32 v[30:31], v101
	v_frexp_exp_i32_f64_e32 v30, v[30:31]
	v_frexp_mant_f32_e32 v31, v101
	s_delay_alu instid0(VALU_DEP_1) | instskip(SKIP_1) | instid1(VALU_DEP_1)
	v_cmp_gt_f32_e32 vcc_lo, 0x3f2aaaab, v31
	v_add_f32_e32 v31, -1.0, v101
	v_sub_f32_e32 v112, v31, v101
	s_delay_alu instid0(VALU_DEP_1) | instskip(SKIP_1) | instid1(VALU_DEP_1)
	v_add_f32_e32 v112, 1.0, v112
	v_subrev_co_ci_u32_e32 v30, vcc_lo, 0, v30, vcc_lo
	v_sub_nc_u32_e32 v102, 0, v30
	v_cvt_f32_i32_e32 v30, v30
	s_delay_alu instid0(VALU_DEP_2) | instskip(NEXT) | instid1(VALU_DEP_1)
	v_ldexp_f32 v101, v101, v102
	v_add_f32_e32 v113, 1.0, v101
	v_sub_f32_e32 v31, v28, v31
	v_cmp_eq_f32_e32 vcc_lo, 0x7f800000, v28
	s_delay_alu instid0(VALU_DEP_2) | instskip(NEXT) | instid1(VALU_DEP_1)
	v_add_f32_e32 v31, v31, v112
	v_ldexp_f32 v31, v31, v102
	v_add_f32_e32 v102, -1.0, v101
	v_add_f32_e32 v112, -1.0, v113
	s_delay_alu instid0(VALU_DEP_2) | instskip(NEXT) | instid1(VALU_DEP_2)
	v_add_f32_e32 v114, 1.0, v102
	v_sub_f32_e32 v112, v101, v112
	s_delay_alu instid0(VALU_DEP_1) | instskip(NEXT) | instid1(VALU_DEP_1)
	v_dual_sub_f32 v101, v101, v114 :: v_dual_add_f32 v112, v31, v112
	v_dual_add_f32 v31, v31, v101 :: v_dual_add_f32 v114, v113, v112
	s_delay_alu instid0(VALU_DEP_1) | instskip(SKIP_1) | instid1(VALU_DEP_1)
	v_rcp_f32_e32 v101, v114
	v_sub_f32_e32 v113, v113, v114
	v_dual_add_f32 v115, v102, v31 :: v_dual_add_f32 v112, v112, v113
	s_delay_alu instid0(VALU_DEP_1) | instskip(SKIP_3) | instid1(VALU_DEP_2)
	v_sub_f32_e32 v102, v102, v115
	s_waitcnt_depctr 0xfff
	v_mul_f32_e32 v116, v115, v101
	v_add_f32_e32 v31, v31, v102
	v_mul_f32_e32 v117, v114, v116
	s_delay_alu instid0(VALU_DEP_1) | instskip(NEXT) | instid1(VALU_DEP_1)
	v_fma_f32 v113, v116, v114, -v117
	v_fmac_f32_e32 v113, v116, v112
	s_delay_alu instid0(VALU_DEP_1) | instskip(NEXT) | instid1(VALU_DEP_1)
	v_add_f32_e32 v118, v117, v113
	v_sub_f32_e32 v119, v115, v118
	s_delay_alu instid0(VALU_DEP_1) | instskip(NEXT) | instid1(VALU_DEP_1)
	v_sub_f32_e32 v115, v115, v119
	v_dual_sub_f32 v115, v115, v118 :: v_dual_sub_f32 v102, v118, v117
	s_delay_alu instid0(VALU_DEP_1) | instskip(NEXT) | instid1(VALU_DEP_1)
	v_dual_add_f32 v31, v31, v115 :: v_dual_sub_f32 v102, v102, v113
	v_add_f32_e32 v31, v102, v31
	s_delay_alu instid0(VALU_DEP_1) | instskip(NEXT) | instid1(VALU_DEP_1)
	v_add_f32_e32 v102, v119, v31
	v_mul_f32_e32 v113, v101, v102
	s_delay_alu instid0(VALU_DEP_1) | instskip(NEXT) | instid1(VALU_DEP_1)
	v_dual_mul_f32 v115, v114, v113 :: v_dual_sub_f32 v118, v119, v102
	v_fma_f32 v114, v113, v114, -v115
	s_delay_alu instid0(VALU_DEP_1) | instskip(NEXT) | instid1(VALU_DEP_1)
	v_dual_add_f32 v31, v31, v118 :: v_dual_fmac_f32 v114, v113, v112
	v_add_f32_e32 v112, v115, v114
	s_delay_alu instid0(VALU_DEP_1) | instskip(NEXT) | instid1(VALU_DEP_1)
	v_sub_f32_e32 v117, v102, v112
	v_dual_sub_f32 v115, v112, v115 :: v_dual_sub_f32 v102, v102, v117
	s_delay_alu instid0(VALU_DEP_1) | instskip(NEXT) | instid1(VALU_DEP_1)
	v_sub_f32_e32 v102, v102, v112
	v_dual_add_f32 v31, v31, v102 :: v_dual_add_f32 v102, v116, v113
	s_delay_alu instid0(VALU_DEP_3) | instskip(NEXT) | instid1(VALU_DEP_1)
	v_sub_f32_e32 v112, v115, v114
	v_dual_add_f32 v31, v112, v31 :: v_dual_sub_f32 v112, v102, v116
	s_delay_alu instid0(VALU_DEP_1) | instskip(NEXT) | instid1(VALU_DEP_2)
	v_add_f32_e32 v31, v117, v31
	v_sub_f32_e32 v112, v113, v112
	s_delay_alu instid0(VALU_DEP_2) | instskip(NEXT) | instid1(VALU_DEP_1)
	v_mul_f32_e32 v31, v101, v31
	v_add_f32_e32 v31, v112, v31
	s_delay_alu instid0(VALU_DEP_1) | instskip(NEXT) | instid1(VALU_DEP_1)
	v_add_f32_e32 v101, v102, v31
	v_mul_f32_e32 v112, v101, v101
	s_delay_alu instid0(VALU_DEP_1) | instskip(SKIP_2) | instid1(VALU_DEP_3)
	v_fmaak_f32 v113, s24, v112, 0x3ecc95a3
	v_mul_f32_e32 v114, v101, v112
	v_cmp_gt_f32_e64 s24, 0x33800000, |v28|
	v_fmaak_f32 v112, v112, v113, 0x3f2aaada
	v_ldexp_f32 v113, v101, 1
	v_sub_f32_e32 v101, v101, v102
	s_delay_alu instid0(VALU_DEP_4) | instskip(NEXT) | instid1(VALU_DEP_1)
	s_or_b32 vcc_lo, vcc_lo, s24
	v_sub_f32_e32 v31, v31, v101
	s_delay_alu instid0(VALU_DEP_1) | instskip(SKIP_1) | instid1(VALU_DEP_1)
	v_ldexp_f32 v31, v31, 1
	v_mul_f32_e32 v112, v114, v112
	v_add_f32_e32 v102, v113, v112
	s_delay_alu instid0(VALU_DEP_1) | instskip(NEXT) | instid1(VALU_DEP_1)
	v_sub_f32_e32 v101, v102, v113
	v_sub_f32_e32 v101, v112, v101
	s_delay_alu instid0(VALU_DEP_1) | instskip(NEXT) | instid1(VALU_DEP_1)
	v_add_f32_e32 v31, v31, v101
	v_add_f32_e32 v112, v102, v31
	v_mul_f32_e32 v114, 0x3f317218, v30
	s_delay_alu instid0(VALU_DEP_1) | instskip(NEXT) | instid1(VALU_DEP_1)
	v_fma_f32 v113, 0x3f317218, v30, -v114
	v_fmamk_f32 v30, v30, 0xb102e308, v113
	s_delay_alu instid0(VALU_DEP_1) | instskip(NEXT) | instid1(VALU_DEP_1)
	v_add_f32_e32 v101, v114, v30
	v_add_f32_e32 v113, v101, v112
	s_delay_alu instid0(VALU_DEP_1) | instskip(NEXT) | instid1(VALU_DEP_1)
	v_sub_f32_e32 v115, v113, v101
	v_sub_f32_e32 v116, v113, v115
	;; [unrolled: 1-line block ×3, first 2 shown]
	s_delay_alu instid0(VALU_DEP_1) | instskip(SKIP_1) | instid1(VALU_DEP_4)
	v_dual_sub_f32 v31, v31, v102 :: v_dual_sub_f32 v102, v112, v115
	v_sub_f32_e32 v114, v101, v114
	v_sub_f32_e32 v101, v101, v116
	s_delay_alu instid0(VALU_DEP_1) | instskip(NEXT) | instid1(VALU_DEP_3)
	v_add_f32_e32 v101, v102, v101
	v_sub_f32_e32 v30, v30, v114
	s_delay_alu instid0(VALU_DEP_1) | instskip(NEXT) | instid1(VALU_DEP_1)
	v_add_f32_e32 v112, v30, v31
	v_add_f32_e32 v101, v112, v101
	v_sub_f32_e32 v102, v112, v30
	s_delay_alu instid0(VALU_DEP_1) | instskip(SKIP_1) | instid1(VALU_DEP_2)
	v_dual_add_f32 v114, v113, v101 :: v_dual_sub_f32 v31, v31, v102
	v_sub_f32_e32 v112, v112, v102
	v_sub_f32_e32 v102, v114, v113
	s_delay_alu instid0(VALU_DEP_2) | instskip(NEXT) | instid1(VALU_DEP_1)
	v_sub_f32_e32 v30, v30, v112
	v_add_f32_e32 v30, v31, v30
	s_delay_alu instid0(VALU_DEP_3) | instskip(NEXT) | instid1(VALU_DEP_1)
	v_sub_f32_e32 v31, v101, v102
	v_add_f32_e32 v30, v30, v31
	s_delay_alu instid0(VALU_DEP_1) | instskip(NEXT) | instid1(VALU_DEP_1)
	v_add_f32_e32 v30, v114, v30
	v_cndmask_b32_e32 v28, v30, v28, vcc_lo
	s_delay_alu instid0(VALU_DEP_1) | instskip(NEXT) | instid1(VALU_DEP_1)
	v_add_f32_e32 v28, v29, v28
	v_cvt_f16_f32_e32 v101, v28
	s_delay_alu instid0(VALU_DEP_1)
	v_cvt_f32_f16_e32 v102, v101
	v_mov_b32_e32 v28, v101
.LBB390_198:
	s_or_b32 exec_lo, exec_lo, s3
	s_delay_alu instid0(VALU_DEP_2) | instskip(SKIP_1) | instid1(VALU_DEP_2)
	v_dual_max_f32 v29, v65, v65 :: v_dual_max_f32 v30, v102, v102
	v_cmp_u_f16_e32 vcc_lo, v101, v101
	v_min_f32_e32 v31, v30, v29
	s_delay_alu instid0(VALU_DEP_1) | instskip(NEXT) | instid1(VALU_DEP_1)
	v_dual_max_f32 v29, v30, v29 :: v_dual_cndmask_b32 v30, v31, v102
	v_cndmask_b32_e32 v29, v29, v102, vcc_lo
	s_delay_alu instid0(VALU_DEP_2) | instskip(NEXT) | instid1(VALU_DEP_2)
	v_cndmask_b32_e64 v31, v30, v65, s4
	v_cndmask_b32_e64 v30, v29, v65, s4
	v_mov_b32_e32 v29, v28
	s_delay_alu instid0(VALU_DEP_3) | instskip(NEXT) | instid1(VALU_DEP_3)
	v_cmp_class_f32_e64 s3, v31, 0x1f8
	v_cmp_neq_f32_e32 vcc_lo, v31, v30
	s_delay_alu instid0(VALU_DEP_2) | instskip(NEXT) | instid1(SALU_CYCLE_1)
	s_or_b32 s4, vcc_lo, s3
	s_and_saveexec_b32 s3, s4
	s_cbranch_execz .LBB390_200
; %bb.199:
	v_sub_f32_e32 v29, v31, v30
	s_mov_b32 s4, 0x3e9b6dac
	s_delay_alu instid0(VALU_DEP_1) | instskip(SKIP_1) | instid1(VALU_DEP_2)
	v_mul_f32_e32 v31, 0x3fb8aa3b, v29
	v_cmp_ngt_f32_e32 vcc_lo, 0xc2ce8ed0, v29
	v_fma_f32 v65, 0x3fb8aa3b, v29, -v31
	v_rndne_f32_e32 v101, v31
	s_delay_alu instid0(VALU_DEP_2) | instskip(NEXT) | instid1(VALU_DEP_2)
	v_fmamk_f32 v65, v29, 0x32a5705f, v65
	v_sub_f32_e32 v31, v31, v101
	s_delay_alu instid0(VALU_DEP_1) | instskip(SKIP_1) | instid1(VALU_DEP_2)
	v_add_f32_e32 v31, v31, v65
	v_cvt_i32_f32_e32 v65, v101
	v_exp_f32_e32 v31, v31
	s_waitcnt_depctr 0xfff
	v_ldexp_f32 v31, v31, v65
	s_delay_alu instid0(VALU_DEP_1) | instskip(SKIP_1) | instid1(VALU_DEP_2)
	v_cndmask_b32_e32 v31, 0, v31, vcc_lo
	v_cmp_nlt_f32_e32 vcc_lo, 0x42b17218, v29
	v_cndmask_b32_e32 v29, 0x7f800000, v31, vcc_lo
	s_delay_alu instid0(VALU_DEP_1) | instskip(NEXT) | instid1(VALU_DEP_1)
	v_add_f32_e32 v31, 1.0, v29
	v_cvt_f64_f32_e32 v[101:102], v31
	s_delay_alu instid0(VALU_DEP_1) | instskip(SKIP_1) | instid1(VALU_DEP_1)
	v_frexp_exp_i32_f64_e32 v65, v[101:102]
	v_frexp_mant_f32_e32 v101, v31
	v_cmp_gt_f32_e32 vcc_lo, 0x3f2aaaab, v101
	v_add_f32_e32 v101, -1.0, v31
	s_delay_alu instid0(VALU_DEP_1) | instskip(NEXT) | instid1(VALU_DEP_1)
	v_sub_f32_e32 v112, v101, v31
	v_add_f32_e32 v112, 1.0, v112
	v_subrev_co_ci_u32_e32 v65, vcc_lo, 0, v65, vcc_lo
	s_delay_alu instid0(VALU_DEP_1) | instskip(SKIP_1) | instid1(VALU_DEP_2)
	v_sub_nc_u32_e32 v102, 0, v65
	v_cvt_f32_i32_e32 v65, v65
	v_ldexp_f32 v31, v31, v102
	v_sub_f32_e32 v101, v29, v101
	s_delay_alu instid0(VALU_DEP_2) | instskip(NEXT) | instid1(VALU_DEP_1)
	v_add_f32_e32 v113, 1.0, v31
	v_dual_add_f32 v101, v101, v112 :: v_dual_add_f32 v112, -1.0, v113
	s_delay_alu instid0(VALU_DEP_1) | instskip(SKIP_1) | instid1(VALU_DEP_3)
	v_ldexp_f32 v101, v101, v102
	v_add_f32_e32 v102, -1.0, v31
	v_sub_f32_e32 v112, v31, v112
	v_cmp_eq_f32_e32 vcc_lo, 0x7f800000, v29
	s_delay_alu instid0(VALU_DEP_3) | instskip(NEXT) | instid1(VALU_DEP_1)
	v_add_f32_e32 v114, 1.0, v102
	v_dual_add_f32 v112, v101, v112 :: v_dual_sub_f32 v31, v31, v114
	s_delay_alu instid0(VALU_DEP_1) | instskip(NEXT) | instid1(VALU_DEP_2)
	v_add_f32_e32 v114, v113, v112
	v_add_f32_e32 v31, v101, v31
	s_delay_alu instid0(VALU_DEP_2) | instskip(NEXT) | instid1(VALU_DEP_1)
	v_rcp_f32_e32 v101, v114
	v_add_f32_e32 v115, v102, v31
	s_delay_alu instid0(VALU_DEP_1) | instskip(SKIP_3) | instid1(VALU_DEP_2)
	v_sub_f32_e32 v102, v102, v115
	s_waitcnt_depctr 0xfff
	v_dual_mul_f32 v116, v115, v101 :: v_dual_sub_f32 v113, v113, v114
	v_add_f32_e32 v31, v31, v102
	v_dual_mul_f32 v117, v114, v116 :: v_dual_add_f32 v112, v112, v113
	s_delay_alu instid0(VALU_DEP_1) | instskip(NEXT) | instid1(VALU_DEP_1)
	v_fma_f32 v113, v116, v114, -v117
	v_fmac_f32_e32 v113, v116, v112
	s_delay_alu instid0(VALU_DEP_1) | instskip(NEXT) | instid1(VALU_DEP_1)
	v_add_f32_e32 v118, v117, v113
	v_dual_sub_f32 v119, v115, v118 :: v_dual_sub_f32 v102, v118, v117
	s_delay_alu instid0(VALU_DEP_1) | instskip(NEXT) | instid1(VALU_DEP_1)
	v_dual_sub_f32 v115, v115, v119 :: v_dual_sub_f32 v102, v102, v113
	v_sub_f32_e32 v115, v115, v118
	s_delay_alu instid0(VALU_DEP_1) | instskip(NEXT) | instid1(VALU_DEP_1)
	v_add_f32_e32 v31, v31, v115
	v_add_f32_e32 v31, v102, v31
	s_delay_alu instid0(VALU_DEP_1) | instskip(NEXT) | instid1(VALU_DEP_1)
	v_add_f32_e32 v102, v119, v31
	v_mul_f32_e32 v113, v101, v102
	s_delay_alu instid0(VALU_DEP_1) | instskip(NEXT) | instid1(VALU_DEP_1)
	v_dual_sub_f32 v118, v119, v102 :: v_dual_mul_f32 v115, v114, v113
	v_fma_f32 v114, v113, v114, -v115
	s_delay_alu instid0(VALU_DEP_1) | instskip(NEXT) | instid1(VALU_DEP_1)
	v_fmac_f32_e32 v114, v113, v112
	v_add_f32_e32 v112, v115, v114
	s_delay_alu instid0(VALU_DEP_1) | instskip(NEXT) | instid1(VALU_DEP_1)
	v_sub_f32_e32 v117, v102, v112
	v_dual_sub_f32 v115, v112, v115 :: v_dual_sub_f32 v102, v102, v117
	s_delay_alu instid0(VALU_DEP_1) | instskip(NEXT) | instid1(VALU_DEP_2)
	v_sub_f32_e32 v102, v102, v112
	v_sub_f32_e32 v112, v115, v114
	v_add_f32_e32 v31, v31, v118
	s_delay_alu instid0(VALU_DEP_1) | instskip(NEXT) | instid1(VALU_DEP_1)
	v_dual_add_f32 v31, v31, v102 :: v_dual_add_f32 v102, v116, v113
	v_dual_add_f32 v31, v112, v31 :: v_dual_sub_f32 v112, v102, v116
	s_delay_alu instid0(VALU_DEP_1) | instskip(NEXT) | instid1(VALU_DEP_2)
	v_add_f32_e32 v31, v117, v31
	v_sub_f32_e32 v112, v113, v112
	s_delay_alu instid0(VALU_DEP_2) | instskip(NEXT) | instid1(VALU_DEP_1)
	v_mul_f32_e32 v31, v101, v31
	v_add_f32_e32 v31, v112, v31
	s_delay_alu instid0(VALU_DEP_1) | instskip(NEXT) | instid1(VALU_DEP_1)
	v_add_f32_e32 v101, v102, v31
	v_mul_f32_e32 v112, v101, v101
	s_delay_alu instid0(VALU_DEP_1) | instskip(SKIP_2) | instid1(VALU_DEP_3)
	v_fmaak_f32 v113, s4, v112, 0x3ecc95a3
	v_mul_f32_e32 v114, v101, v112
	v_cmp_gt_f32_e64 s4, 0x33800000, |v29|
	v_fmaak_f32 v112, v112, v113, 0x3f2aaada
	v_ldexp_f32 v113, v101, 1
	v_sub_f32_e32 v101, v101, v102
	s_delay_alu instid0(VALU_DEP_4) | instskip(NEXT) | instid1(VALU_DEP_3)
	s_or_b32 vcc_lo, vcc_lo, s4
	v_mul_f32_e32 v112, v114, v112
	v_mul_f32_e32 v114, 0x3f317218, v65
	s_delay_alu instid0(VALU_DEP_2) | instskip(NEXT) | instid1(VALU_DEP_1)
	v_dual_sub_f32 v31, v31, v101 :: v_dual_add_f32 v102, v113, v112
	v_ldexp_f32 v31, v31, 1
	s_delay_alu instid0(VALU_DEP_2) | instskip(NEXT) | instid1(VALU_DEP_4)
	v_sub_f32_e32 v101, v102, v113
	v_fma_f32 v113, 0x3f317218, v65, -v114
	s_delay_alu instid0(VALU_DEP_2) | instskip(NEXT) | instid1(VALU_DEP_2)
	v_sub_f32_e32 v101, v112, v101
	v_fmamk_f32 v65, v65, 0xb102e308, v113
	s_delay_alu instid0(VALU_DEP_2) | instskip(NEXT) | instid1(VALU_DEP_2)
	v_add_f32_e32 v31, v31, v101
	v_add_f32_e32 v101, v114, v65
	s_delay_alu instid0(VALU_DEP_2) | instskip(NEXT) | instid1(VALU_DEP_2)
	v_add_f32_e32 v112, v102, v31
	v_sub_f32_e32 v114, v101, v114
	s_delay_alu instid0(VALU_DEP_2) | instskip(NEXT) | instid1(VALU_DEP_2)
	v_dual_add_f32 v113, v101, v112 :: v_dual_sub_f32 v102, v112, v102
	v_sub_f32_e32 v65, v65, v114
	s_delay_alu instid0(VALU_DEP_2) | instskip(NEXT) | instid1(VALU_DEP_1)
	v_sub_f32_e32 v115, v113, v101
	v_dual_sub_f32 v31, v31, v102 :: v_dual_sub_f32 v116, v113, v115
	v_sub_f32_e32 v102, v112, v115
	s_delay_alu instid0(VALU_DEP_2) | instskip(NEXT) | instid1(VALU_DEP_3)
	v_add_f32_e32 v112, v65, v31
	v_sub_f32_e32 v101, v101, v116
	s_delay_alu instid0(VALU_DEP_1) | instskip(NEXT) | instid1(VALU_DEP_3)
	v_add_f32_e32 v101, v102, v101
	v_sub_f32_e32 v102, v112, v65
	s_delay_alu instid0(VALU_DEP_2) | instskip(NEXT) | instid1(VALU_DEP_2)
	v_add_f32_e32 v101, v112, v101
	v_sub_f32_e32 v112, v112, v102
	s_delay_alu instid0(VALU_DEP_2) | instskip(NEXT) | instid1(VALU_DEP_1)
	v_dual_sub_f32 v31, v31, v102 :: v_dual_add_f32 v114, v113, v101
	v_dual_sub_f32 v65, v65, v112 :: v_dual_sub_f32 v102, v114, v113
	s_delay_alu instid0(VALU_DEP_1) | instskip(NEXT) | instid1(VALU_DEP_2)
	v_add_f32_e32 v31, v31, v65
	v_sub_f32_e32 v65, v101, v102
	s_delay_alu instid0(VALU_DEP_1) | instskip(NEXT) | instid1(VALU_DEP_1)
	v_add_f32_e32 v31, v31, v65
	v_add_f32_e32 v31, v114, v31
	s_delay_alu instid0(VALU_DEP_1) | instskip(NEXT) | instid1(VALU_DEP_1)
	v_cndmask_b32_e32 v29, v31, v29, vcc_lo
	v_add_f32_e32 v29, v30, v29
	s_delay_alu instid0(VALU_DEP_1) | instskip(NEXT) | instid1(VALU_DEP_1)
	v_cvt_f16_f32_e32 v101, v29
	v_cvt_f32_f16_e32 v102, v101
	v_mov_b32_e32 v29, v101
.LBB390_200:
	s_or_b32 exec_lo, exec_lo, s3
	v_max_f32_e32 v30, v66, v66
	s_delay_alu instid0(VALU_DEP_3) | instskip(SKIP_1) | instid1(VALU_DEP_2)
	v_max_f32_e32 v31, v102, v102
	v_cmp_u_f16_e32 vcc_lo, v101, v101
	v_min_f32_e32 v65, v31, v30
	v_max_f32_e32 v30, v31, v30
	s_delay_alu instid0(VALU_DEP_2) | instskip(NEXT) | instid1(VALU_DEP_2)
	v_cndmask_b32_e32 v31, v65, v102, vcc_lo
	v_cndmask_b32_e32 v30, v30, v102, vcc_lo
	s_delay_alu instid0(VALU_DEP_2) | instskip(NEXT) | instid1(VALU_DEP_2)
	v_cndmask_b32_e64 v65, v31, v66, s5
	v_cndmask_b32_e64 v31, v30, v66, s5
	v_mov_b32_e32 v30, v29
	s_delay_alu instid0(VALU_DEP_3) | instskip(NEXT) | instid1(VALU_DEP_3)
	v_cmp_class_f32_e64 s3, v65, 0x1f8
	v_cmp_neq_f32_e32 vcc_lo, v65, v31
	s_delay_alu instid0(VALU_DEP_2) | instskip(NEXT) | instid1(SALU_CYCLE_1)
	s_or_b32 s4, vcc_lo, s3
	s_and_saveexec_b32 s3, s4
	s_cbranch_execz .LBB390_202
; %bb.201:
	v_sub_f32_e32 v30, v65, v31
	s_mov_b32 s4, 0x3e9b6dac
	s_delay_alu instid0(VALU_DEP_1) | instskip(SKIP_1) | instid1(VALU_DEP_2)
	v_mul_f32_e32 v65, 0x3fb8aa3b, v30
	v_cmp_ngt_f32_e32 vcc_lo, 0xc2ce8ed0, v30
	v_fma_f32 v66, 0x3fb8aa3b, v30, -v65
	v_rndne_f32_e32 v101, v65
	s_delay_alu instid0(VALU_DEP_1) | instskip(NEXT) | instid1(VALU_DEP_1)
	v_dual_fmamk_f32 v66, v30, 0x32a5705f, v66 :: v_dual_sub_f32 v65, v65, v101
	v_add_f32_e32 v65, v65, v66
	v_cvt_i32_f32_e32 v66, v101
	s_delay_alu instid0(VALU_DEP_2) | instskip(SKIP_2) | instid1(VALU_DEP_1)
	v_exp_f32_e32 v65, v65
	s_waitcnt_depctr 0xfff
	v_ldexp_f32 v65, v65, v66
	v_cndmask_b32_e32 v65, 0, v65, vcc_lo
	v_cmp_nlt_f32_e32 vcc_lo, 0x42b17218, v30
	s_delay_alu instid0(VALU_DEP_2) | instskip(NEXT) | instid1(VALU_DEP_1)
	v_cndmask_b32_e32 v30, 0x7f800000, v65, vcc_lo
	v_add_f32_e32 v101, 1.0, v30
	s_delay_alu instid0(VALU_DEP_1) | instskip(NEXT) | instid1(VALU_DEP_1)
	v_cvt_f64_f32_e32 v[65:66], v101
	v_frexp_exp_i32_f64_e32 v65, v[65:66]
	v_frexp_mant_f32_e32 v66, v101
	s_delay_alu instid0(VALU_DEP_1) | instskip(SKIP_1) | instid1(VALU_DEP_1)
	v_cmp_gt_f32_e32 vcc_lo, 0x3f2aaaab, v66
	v_add_f32_e32 v66, -1.0, v101
	v_sub_f32_e32 v112, v66, v101
	s_delay_alu instid0(VALU_DEP_1) | instskip(SKIP_1) | instid1(VALU_DEP_1)
	v_add_f32_e32 v112, 1.0, v112
	v_subrev_co_ci_u32_e32 v65, vcc_lo, 0, v65, vcc_lo
	v_sub_nc_u32_e32 v102, 0, v65
	v_cvt_f32_i32_e32 v65, v65
	s_delay_alu instid0(VALU_DEP_2) | instskip(NEXT) | instid1(VALU_DEP_1)
	v_ldexp_f32 v101, v101, v102
	v_dual_sub_f32 v66, v30, v66 :: v_dual_add_f32 v113, 1.0, v101
	s_delay_alu instid0(VALU_DEP_1) | instskip(NEXT) | instid1(VALU_DEP_1)
	v_add_f32_e32 v66, v66, v112
	v_ldexp_f32 v66, v66, v102
	v_add_f32_e32 v102, -1.0, v101
	s_delay_alu instid0(VALU_DEP_4) | instskip(NEXT) | instid1(VALU_DEP_2)
	v_add_f32_e32 v112, -1.0, v113
	v_add_f32_e32 v114, 1.0, v102
	s_delay_alu instid0(VALU_DEP_2) | instskip(NEXT) | instid1(VALU_DEP_1)
	v_sub_f32_e32 v112, v101, v112
	v_dual_sub_f32 v101, v101, v114 :: v_dual_add_f32 v112, v66, v112
	v_cmp_eq_f32_e32 vcc_lo, 0x7f800000, v30
	s_delay_alu instid0(VALU_DEP_2) | instskip(NEXT) | instid1(VALU_DEP_1)
	v_add_f32_e32 v66, v66, v101
	v_dual_add_f32 v114, v113, v112 :: v_dual_add_f32 v115, v102, v66
	s_delay_alu instid0(VALU_DEP_1) | instskip(SKIP_1) | instid1(VALU_DEP_1)
	v_rcp_f32_e32 v101, v114
	v_sub_f32_e32 v113, v113, v114
	v_add_f32_e32 v112, v112, v113
	s_waitcnt_depctr 0xfff
	v_mul_f32_e32 v116, v115, v101
	s_delay_alu instid0(VALU_DEP_1) | instskip(SKIP_1) | instid1(VALU_DEP_2)
	v_mul_f32_e32 v117, v114, v116
	v_sub_f32_e32 v102, v102, v115
	v_fma_f32 v113, v116, v114, -v117
	s_delay_alu instid0(VALU_DEP_1) | instskip(NEXT) | instid1(VALU_DEP_1)
	v_dual_add_f32 v66, v66, v102 :: v_dual_fmac_f32 v113, v116, v112
	v_add_f32_e32 v118, v117, v113
	s_delay_alu instid0(VALU_DEP_1) | instskip(NEXT) | instid1(VALU_DEP_1)
	v_dual_sub_f32 v119, v115, v118 :: v_dual_sub_f32 v102, v118, v117
	v_dual_sub_f32 v115, v115, v119 :: v_dual_sub_f32 v102, v102, v113
	s_delay_alu instid0(VALU_DEP_1) | instskip(NEXT) | instid1(VALU_DEP_1)
	v_sub_f32_e32 v115, v115, v118
	v_add_f32_e32 v66, v66, v115
	s_delay_alu instid0(VALU_DEP_1) | instskip(NEXT) | instid1(VALU_DEP_1)
	v_add_f32_e32 v66, v102, v66
	v_add_f32_e32 v102, v119, v66
	s_delay_alu instid0(VALU_DEP_1) | instskip(NEXT) | instid1(VALU_DEP_1)
	v_mul_f32_e32 v113, v101, v102
	v_dual_mul_f32 v115, v114, v113 :: v_dual_sub_f32 v118, v119, v102
	s_delay_alu instid0(VALU_DEP_1) | instskip(NEXT) | instid1(VALU_DEP_2)
	v_fma_f32 v114, v113, v114, -v115
	v_add_f32_e32 v66, v66, v118
	s_delay_alu instid0(VALU_DEP_2) | instskip(NEXT) | instid1(VALU_DEP_1)
	v_fmac_f32_e32 v114, v113, v112
	v_add_f32_e32 v112, v115, v114
	s_delay_alu instid0(VALU_DEP_1) | instskip(NEXT) | instid1(VALU_DEP_1)
	v_sub_f32_e32 v117, v102, v112
	v_dual_sub_f32 v115, v112, v115 :: v_dual_sub_f32 v102, v102, v117
	s_delay_alu instid0(VALU_DEP_1) | instskip(NEXT) | instid1(VALU_DEP_2)
	v_sub_f32_e32 v102, v102, v112
	v_sub_f32_e32 v112, v115, v114
	s_delay_alu instid0(VALU_DEP_2) | instskip(SKIP_1) | instid1(VALU_DEP_2)
	v_add_f32_e32 v66, v66, v102
	v_add_f32_e32 v102, v116, v113
	v_add_f32_e32 v66, v112, v66
	s_delay_alu instid0(VALU_DEP_2) | instskip(NEXT) | instid1(VALU_DEP_2)
	v_sub_f32_e32 v112, v102, v116
	v_add_f32_e32 v66, v117, v66
	s_delay_alu instid0(VALU_DEP_2) | instskip(NEXT) | instid1(VALU_DEP_2)
	v_sub_f32_e32 v112, v113, v112
	v_mul_f32_e32 v66, v101, v66
	s_delay_alu instid0(VALU_DEP_1) | instskip(NEXT) | instid1(VALU_DEP_1)
	v_add_f32_e32 v66, v112, v66
	v_add_f32_e32 v101, v102, v66
	s_delay_alu instid0(VALU_DEP_1) | instskip(NEXT) | instid1(VALU_DEP_1)
	v_mul_f32_e32 v112, v101, v101
	v_fmaak_f32 v113, s4, v112, 0x3ecc95a3
	v_mul_f32_e32 v114, v101, v112
	v_cmp_gt_f32_e64 s4, 0x33800000, |v30|
	s_delay_alu instid0(VALU_DEP_3) | instskip(SKIP_2) | instid1(VALU_DEP_4)
	v_fmaak_f32 v112, v112, v113, 0x3f2aaada
	v_ldexp_f32 v113, v101, 1
	v_sub_f32_e32 v101, v101, v102
	s_or_b32 vcc_lo, vcc_lo, s4
	s_delay_alu instid0(VALU_DEP_3) | instskip(SKIP_1) | instid1(VALU_DEP_3)
	v_mul_f32_e32 v112, v114, v112
	v_mul_f32_e32 v114, 0x3f317218, v65
	v_sub_f32_e32 v66, v66, v101
	s_delay_alu instid0(VALU_DEP_3) | instskip(NEXT) | instid1(VALU_DEP_2)
	v_add_f32_e32 v102, v113, v112
	v_ldexp_f32 v66, v66, 1
	s_delay_alu instid0(VALU_DEP_2) | instskip(SKIP_1) | instid1(VALU_DEP_2)
	v_sub_f32_e32 v101, v102, v113
	v_fma_f32 v113, 0x3f317218, v65, -v114
	v_sub_f32_e32 v101, v112, v101
	s_delay_alu instid0(VALU_DEP_1) | instskip(NEXT) | instid1(VALU_DEP_1)
	v_dual_fmamk_f32 v65, v65, 0xb102e308, v113 :: v_dual_add_f32 v66, v66, v101
	v_add_f32_e32 v101, v114, v65
	s_delay_alu instid0(VALU_DEP_2) | instskip(NEXT) | instid1(VALU_DEP_2)
	v_add_f32_e32 v112, v102, v66
	v_sub_f32_e32 v114, v101, v114
	s_delay_alu instid0(VALU_DEP_2) | instskip(NEXT) | instid1(VALU_DEP_2)
	v_dual_add_f32 v113, v101, v112 :: v_dual_sub_f32 v102, v112, v102
	v_sub_f32_e32 v65, v65, v114
	s_delay_alu instid0(VALU_DEP_2) | instskip(NEXT) | instid1(VALU_DEP_1)
	v_dual_sub_f32 v115, v113, v101 :: v_dual_sub_f32 v66, v66, v102
	v_sub_f32_e32 v116, v113, v115
	v_sub_f32_e32 v102, v112, v115
	s_delay_alu instid0(VALU_DEP_3) | instskip(NEXT) | instid1(VALU_DEP_3)
	v_add_f32_e32 v112, v65, v66
	v_sub_f32_e32 v101, v101, v116
	s_delay_alu instid0(VALU_DEP_1) | instskip(NEXT) | instid1(VALU_DEP_3)
	v_add_f32_e32 v101, v102, v101
	v_sub_f32_e32 v102, v112, v65
	s_delay_alu instid0(VALU_DEP_2) | instskip(NEXT) | instid1(VALU_DEP_2)
	v_add_f32_e32 v101, v112, v101
	v_sub_f32_e32 v112, v112, v102
	v_sub_f32_e32 v66, v66, v102
	s_delay_alu instid0(VALU_DEP_3) | instskip(NEXT) | instid1(VALU_DEP_1)
	v_add_f32_e32 v114, v113, v101
	v_dual_sub_f32 v65, v65, v112 :: v_dual_sub_f32 v102, v114, v113
	s_delay_alu instid0(VALU_DEP_1) | instskip(NEXT) | instid1(VALU_DEP_1)
	v_dual_add_f32 v65, v66, v65 :: v_dual_sub_f32 v66, v101, v102
	v_add_f32_e32 v65, v65, v66
	s_delay_alu instid0(VALU_DEP_1) | instskip(NEXT) | instid1(VALU_DEP_1)
	v_add_f32_e32 v65, v114, v65
	v_cndmask_b32_e32 v30, v65, v30, vcc_lo
	s_delay_alu instid0(VALU_DEP_1) | instskip(NEXT) | instid1(VALU_DEP_1)
	v_add_f32_e32 v30, v31, v30
	v_cvt_f16_f32_e32 v101, v30
	s_delay_alu instid0(VALU_DEP_1)
	v_cvt_f32_f16_e32 v102, v101
	v_mov_b32_e32 v30, v101
.LBB390_202:
	s_or_b32 exec_lo, exec_lo, s3
	v_max_f32_e32 v31, v67, v67
	s_delay_alu instid0(VALU_DEP_3) | instskip(SKIP_1) | instid1(VALU_DEP_2)
	v_max_f32_e32 v65, v102, v102
	v_cmp_u_f16_e32 vcc_lo, v101, v101
	v_min_f32_e32 v66, v65, v31
	v_max_f32_e32 v31, v65, v31
	s_delay_alu instid0(VALU_DEP_1) | instskip(NEXT) | instid1(VALU_DEP_3)
	v_cndmask_b32_e32 v31, v31, v102, vcc_lo
	v_cndmask_b32_e32 v65, v66, v102, vcc_lo
	s_delay_alu instid0(VALU_DEP_1) | instskip(NEXT) | instid1(VALU_DEP_3)
	v_cndmask_b32_e64 v66, v65, v67, s6
	v_cndmask_b32_e64 v65, v31, v67, s6
	v_mov_b32_e32 v31, v30
	s_delay_alu instid0(VALU_DEP_3) | instskip(NEXT) | instid1(VALU_DEP_3)
	v_cmp_class_f32_e64 s3, v66, 0x1f8
	v_cmp_neq_f32_e32 vcc_lo, v66, v65
	s_delay_alu instid0(VALU_DEP_2) | instskip(NEXT) | instid1(SALU_CYCLE_1)
	s_or_b32 s4, vcc_lo, s3
	s_and_saveexec_b32 s3, s4
	s_cbranch_execz .LBB390_204
; %bb.203:
	v_sub_f32_e32 v31, v66, v65
	s_mov_b32 s4, 0x3e9b6dac
	s_delay_alu instid0(VALU_DEP_1) | instskip(SKIP_1) | instid1(VALU_DEP_2)
	v_mul_f32_e32 v66, 0x3fb8aa3b, v31
	v_cmp_ngt_f32_e32 vcc_lo, 0xc2ce8ed0, v31
	v_fma_f32 v67, 0x3fb8aa3b, v31, -v66
	v_rndne_f32_e32 v101, v66
	s_delay_alu instid0(VALU_DEP_1) | instskip(NEXT) | instid1(VALU_DEP_1)
	v_dual_fmamk_f32 v67, v31, 0x32a5705f, v67 :: v_dual_sub_f32 v66, v66, v101
	v_add_f32_e32 v66, v66, v67
	v_cvt_i32_f32_e32 v67, v101
	s_delay_alu instid0(VALU_DEP_2) | instskip(SKIP_2) | instid1(VALU_DEP_1)
	v_exp_f32_e32 v66, v66
	s_waitcnt_depctr 0xfff
	v_ldexp_f32 v66, v66, v67
	v_cndmask_b32_e32 v66, 0, v66, vcc_lo
	v_cmp_nlt_f32_e32 vcc_lo, 0x42b17218, v31
	s_delay_alu instid0(VALU_DEP_2) | instskip(NEXT) | instid1(VALU_DEP_1)
	v_cndmask_b32_e32 v31, 0x7f800000, v66, vcc_lo
	v_add_f32_e32 v101, 1.0, v31
	s_delay_alu instid0(VALU_DEP_1) | instskip(NEXT) | instid1(VALU_DEP_1)
	v_cvt_f64_f32_e32 v[66:67], v101
	v_frexp_exp_i32_f64_e32 v66, v[66:67]
	v_frexp_mant_f32_e32 v67, v101
	s_delay_alu instid0(VALU_DEP_1) | instskip(SKIP_1) | instid1(VALU_DEP_1)
	v_cmp_gt_f32_e32 vcc_lo, 0x3f2aaaab, v67
	v_add_f32_e32 v67, -1.0, v101
	v_sub_f32_e32 v112, v67, v101
	s_delay_alu instid0(VALU_DEP_1) | instskip(SKIP_2) | instid1(VALU_DEP_2)
	v_add_f32_e32 v112, 1.0, v112
	v_subrev_co_ci_u32_e32 v66, vcc_lo, 0, v66, vcc_lo
	v_cmp_eq_f32_e32 vcc_lo, 0x7f800000, v31
	v_sub_nc_u32_e32 v102, 0, v66
	v_cvt_f32_i32_e32 v66, v66
	s_delay_alu instid0(VALU_DEP_2) | instskip(NEXT) | instid1(VALU_DEP_1)
	v_ldexp_f32 v101, v101, v102
	v_add_f32_e32 v113, 1.0, v101
	v_sub_f32_e32 v67, v31, v67
	s_delay_alu instid0(VALU_DEP_1) | instskip(NEXT) | instid1(VALU_DEP_1)
	v_dual_add_f32 v67, v67, v112 :: v_dual_add_f32 v112, -1.0, v113
	v_ldexp_f32 v67, v67, v102
	v_add_f32_e32 v102, -1.0, v101
	s_delay_alu instid0(VALU_DEP_3) | instskip(NEXT) | instid1(VALU_DEP_2)
	v_sub_f32_e32 v112, v101, v112
	v_add_f32_e32 v114, 1.0, v102
	s_delay_alu instid0(VALU_DEP_1) | instskip(NEXT) | instid1(VALU_DEP_1)
	v_dual_add_f32 v112, v67, v112 :: v_dual_sub_f32 v101, v101, v114
	v_add_f32_e32 v67, v67, v101
	s_delay_alu instid0(VALU_DEP_1) | instskip(NEXT) | instid1(VALU_DEP_1)
	v_dual_add_f32 v115, v102, v67 :: v_dual_add_f32 v114, v113, v112
	v_sub_f32_e32 v102, v102, v115
	s_delay_alu instid0(VALU_DEP_2) | instskip(SKIP_1) | instid1(VALU_DEP_1)
	v_rcp_f32_e32 v101, v114
	v_sub_f32_e32 v113, v113, v114
	v_add_f32_e32 v112, v112, v113
	s_waitcnt_depctr 0xfff
	v_mul_f32_e32 v116, v115, v101
	s_delay_alu instid0(VALU_DEP_1) | instskip(NEXT) | instid1(VALU_DEP_1)
	v_mul_f32_e32 v117, v114, v116
	v_fma_f32 v113, v116, v114, -v117
	s_delay_alu instid0(VALU_DEP_1) | instskip(NEXT) | instid1(VALU_DEP_1)
	v_fmac_f32_e32 v113, v116, v112
	v_add_f32_e32 v118, v117, v113
	s_delay_alu instid0(VALU_DEP_1) | instskip(NEXT) | instid1(VALU_DEP_1)
	v_sub_f32_e32 v119, v115, v118
	v_sub_f32_e32 v115, v115, v119
	v_dual_add_f32 v67, v67, v102 :: v_dual_sub_f32 v102, v118, v117
	s_delay_alu instid0(VALU_DEP_1) | instskip(NEXT) | instid1(VALU_DEP_1)
	v_dual_sub_f32 v115, v115, v118 :: v_dual_sub_f32 v102, v102, v113
	v_add_f32_e32 v67, v67, v115
	s_delay_alu instid0(VALU_DEP_1) | instskip(NEXT) | instid1(VALU_DEP_1)
	v_add_f32_e32 v67, v102, v67
	v_add_f32_e32 v102, v119, v67
	s_delay_alu instid0(VALU_DEP_1) | instskip(NEXT) | instid1(VALU_DEP_1)
	v_mul_f32_e32 v113, v101, v102
	v_dual_mul_f32 v115, v114, v113 :: v_dual_sub_f32 v118, v119, v102
	s_delay_alu instid0(VALU_DEP_1) | instskip(NEXT) | instid1(VALU_DEP_1)
	v_fma_f32 v114, v113, v114, -v115
	v_fmac_f32_e32 v114, v113, v112
	s_delay_alu instid0(VALU_DEP_1) | instskip(NEXT) | instid1(VALU_DEP_1)
	v_add_f32_e32 v112, v115, v114
	v_sub_f32_e32 v117, v102, v112
	s_delay_alu instid0(VALU_DEP_1) | instskip(NEXT) | instid1(VALU_DEP_1)
	v_dual_sub_f32 v102, v102, v117 :: v_dual_add_f32 v67, v67, v118
	v_sub_f32_e32 v102, v102, v112
	s_delay_alu instid0(VALU_DEP_1) | instskip(SKIP_1) | instid1(VALU_DEP_1)
	v_dual_add_f32 v67, v67, v102 :: v_dual_add_f32 v102, v116, v113
	v_sub_f32_e32 v115, v112, v115
	v_sub_f32_e32 v112, v115, v114
	s_delay_alu instid0(VALU_DEP_1) | instskip(NEXT) | instid1(VALU_DEP_1)
	v_dual_add_f32 v67, v112, v67 :: v_dual_sub_f32 v112, v102, v116
	v_sub_f32_e32 v112, v113, v112
	s_delay_alu instid0(VALU_DEP_2) | instskip(NEXT) | instid1(VALU_DEP_1)
	v_add_f32_e32 v67, v117, v67
	v_mul_f32_e32 v67, v101, v67
	s_delay_alu instid0(VALU_DEP_1) | instskip(NEXT) | instid1(VALU_DEP_1)
	v_add_f32_e32 v67, v112, v67
	v_add_f32_e32 v101, v102, v67
	s_delay_alu instid0(VALU_DEP_1) | instskip(NEXT) | instid1(VALU_DEP_1)
	v_mul_f32_e32 v112, v101, v101
	v_fmaak_f32 v113, s4, v112, 0x3ecc95a3
	v_mul_f32_e32 v114, v101, v112
	v_cmp_gt_f32_e64 s4, 0x33800000, |v31|
	s_delay_alu instid0(VALU_DEP_3) | instskip(SKIP_2) | instid1(VALU_DEP_4)
	v_fmaak_f32 v112, v112, v113, 0x3f2aaada
	v_ldexp_f32 v113, v101, 1
	v_sub_f32_e32 v101, v101, v102
	s_or_b32 vcc_lo, vcc_lo, s4
	s_delay_alu instid0(VALU_DEP_1) | instskip(NEXT) | instid1(VALU_DEP_1)
	v_sub_f32_e32 v67, v67, v101
	v_ldexp_f32 v67, v67, 1
	v_mul_f32_e32 v112, v114, v112
	s_delay_alu instid0(VALU_DEP_1) | instskip(NEXT) | instid1(VALU_DEP_1)
	v_add_f32_e32 v102, v113, v112
	v_dual_mul_f32 v114, 0x3f317218, v66 :: v_dual_sub_f32 v101, v102, v113
	s_delay_alu instid0(VALU_DEP_1) | instskip(NEXT) | instid1(VALU_DEP_1)
	v_fma_f32 v113, 0x3f317218, v66, -v114
	v_dual_sub_f32 v101, v112, v101 :: v_dual_fmamk_f32 v66, v66, 0xb102e308, v113
	s_delay_alu instid0(VALU_DEP_1) | instskip(NEXT) | instid1(VALU_DEP_1)
	v_add_f32_e32 v67, v67, v101
	v_add_f32_e32 v112, v102, v67
	s_delay_alu instid0(VALU_DEP_3) | instskip(NEXT) | instid1(VALU_DEP_1)
	v_add_f32_e32 v101, v114, v66
	v_dual_sub_f32 v102, v112, v102 :: v_dual_add_f32 v113, v101, v112
	s_delay_alu instid0(VALU_DEP_1) | instskip(NEXT) | instid1(VALU_DEP_2)
	v_sub_f32_e32 v67, v67, v102
	v_sub_f32_e32 v115, v113, v101
	s_delay_alu instid0(VALU_DEP_1) | instskip(SKIP_1) | instid1(VALU_DEP_1)
	v_sub_f32_e32 v102, v112, v115
	v_sub_f32_e32 v114, v101, v114
	;; [unrolled: 1-line block ×4, first 2 shown]
	s_delay_alu instid0(VALU_DEP_1) | instskip(NEXT) | instid1(VALU_DEP_1)
	v_dual_add_f32 v112, v66, v67 :: v_dual_sub_f32 v101, v101, v116
	v_dual_add_f32 v101, v102, v101 :: v_dual_sub_f32 v102, v112, v66
	s_delay_alu instid0(VALU_DEP_1) | instskip(NEXT) | instid1(VALU_DEP_2)
	v_add_f32_e32 v101, v112, v101
	v_sub_f32_e32 v112, v112, v102
	s_delay_alu instid0(VALU_DEP_1) | instskip(NEXT) | instid1(VALU_DEP_3)
	v_sub_f32_e32 v66, v66, v112
	v_dual_add_f32 v114, v113, v101 :: v_dual_sub_f32 v67, v67, v102
	s_delay_alu instid0(VALU_DEP_1) | instskip(NEXT) | instid1(VALU_DEP_2)
	v_sub_f32_e32 v102, v114, v113
	v_add_f32_e32 v66, v67, v66
	s_delay_alu instid0(VALU_DEP_2) | instskip(NEXT) | instid1(VALU_DEP_1)
	v_sub_f32_e32 v67, v101, v102
	v_add_f32_e32 v66, v66, v67
	s_delay_alu instid0(VALU_DEP_1) | instskip(NEXT) | instid1(VALU_DEP_1)
	v_add_f32_e32 v66, v114, v66
	v_cndmask_b32_e32 v31, v66, v31, vcc_lo
	s_delay_alu instid0(VALU_DEP_1) | instskip(NEXT) | instid1(VALU_DEP_1)
	v_add_f32_e32 v31, v65, v31
	v_cvt_f16_f32_e32 v101, v31
	s_delay_alu instid0(VALU_DEP_1)
	v_mov_b32_e32 v31, v101
	v_cvt_f32_f16_e32 v102, v101
.LBB390_204:
	s_or_b32 exec_lo, exec_lo, s3
	s_delay_alu instid0(VALU_DEP_1) | instskip(SKIP_1) | instid1(VALU_DEP_2)
	v_dual_max_f32 v65, v68, v68 :: v_dual_max_f32 v66, v102, v102
	v_cmp_u_f16_e32 vcc_lo, v101, v101
	v_min_f32_e32 v67, v66, v65
	s_delay_alu instid0(VALU_DEP_1) | instskip(NEXT) | instid1(VALU_DEP_1)
	v_dual_max_f32 v65, v66, v65 :: v_dual_cndmask_b32 v66, v67, v102
	v_cndmask_b32_e32 v65, v65, v102, vcc_lo
	s_delay_alu instid0(VALU_DEP_2) | instskip(NEXT) | instid1(VALU_DEP_2)
	v_cndmask_b32_e64 v67, v66, v68, s7
	v_cndmask_b32_e64 v66, v65, v68, s7
	v_mov_b32_e32 v65, v31
	s_delay_alu instid0(VALU_DEP_3) | instskip(NEXT) | instid1(VALU_DEP_3)
	v_cmp_class_f32_e64 s3, v67, 0x1f8
	v_cmp_neq_f32_e32 vcc_lo, v67, v66
	s_delay_alu instid0(VALU_DEP_2) | instskip(NEXT) | instid1(SALU_CYCLE_1)
	s_or_b32 s4, vcc_lo, s3
	s_and_saveexec_b32 s3, s4
	s_cbranch_execz .LBB390_206
; %bb.205:
	v_sub_f32_e32 v65, v67, v66
	s_mov_b32 s4, 0x3e9b6dac
	s_delay_alu instid0(VALU_DEP_1) | instskip(SKIP_1) | instid1(VALU_DEP_2)
	v_mul_f32_e32 v67, 0x3fb8aa3b, v65
	v_cmp_ngt_f32_e32 vcc_lo, 0xc2ce8ed0, v65
	v_fma_f32 v68, 0x3fb8aa3b, v65, -v67
	v_rndne_f32_e32 v101, v67
	s_delay_alu instid0(VALU_DEP_1) | instskip(NEXT) | instid1(VALU_DEP_1)
	v_dual_fmamk_f32 v68, v65, 0x32a5705f, v68 :: v_dual_sub_f32 v67, v67, v101
	v_add_f32_e32 v67, v67, v68
	v_cvt_i32_f32_e32 v68, v101
	s_delay_alu instid0(VALU_DEP_2) | instskip(SKIP_2) | instid1(VALU_DEP_1)
	v_exp_f32_e32 v67, v67
	s_waitcnt_depctr 0xfff
	v_ldexp_f32 v67, v67, v68
	v_cndmask_b32_e32 v67, 0, v67, vcc_lo
	v_cmp_nlt_f32_e32 vcc_lo, 0x42b17218, v65
	s_delay_alu instid0(VALU_DEP_2) | instskip(NEXT) | instid1(VALU_DEP_1)
	v_cndmask_b32_e32 v65, 0x7f800000, v67, vcc_lo
	v_add_f32_e32 v101, 1.0, v65
	s_delay_alu instid0(VALU_DEP_1) | instskip(NEXT) | instid1(VALU_DEP_1)
	v_cvt_f64_f32_e32 v[67:68], v101
	v_frexp_exp_i32_f64_e32 v67, v[67:68]
	v_frexp_mant_f32_e32 v68, v101
	s_delay_alu instid0(VALU_DEP_1) | instskip(SKIP_1) | instid1(VALU_DEP_1)
	v_cmp_gt_f32_e32 vcc_lo, 0x3f2aaaab, v68
	v_add_f32_e32 v68, -1.0, v101
	v_sub_f32_e32 v112, v68, v101
	v_sub_f32_e32 v68, v65, v68
	s_delay_alu instid0(VALU_DEP_2) | instskip(NEXT) | instid1(VALU_DEP_1)
	v_add_f32_e32 v112, 1.0, v112
	v_add_f32_e32 v68, v68, v112
	v_subrev_co_ci_u32_e32 v67, vcc_lo, 0, v67, vcc_lo
	v_cmp_eq_f32_e32 vcc_lo, 0x7f800000, v65
	s_delay_alu instid0(VALU_DEP_2) | instskip(SKIP_1) | instid1(VALU_DEP_2)
	v_sub_nc_u32_e32 v102, 0, v67
	v_cvt_f32_i32_e32 v67, v67
	v_ldexp_f32 v101, v101, v102
	v_ldexp_f32 v68, v68, v102
	s_delay_alu instid0(VALU_DEP_2) | instskip(SKIP_1) | instid1(VALU_DEP_1)
	v_add_f32_e32 v113, 1.0, v101
	v_add_f32_e32 v102, -1.0, v101
	v_add_f32_e32 v114, 1.0, v102
	s_delay_alu instid0(VALU_DEP_3) | instskip(NEXT) | instid1(VALU_DEP_1)
	v_add_f32_e32 v112, -1.0, v113
	v_sub_f32_e32 v112, v101, v112
	s_delay_alu instid0(VALU_DEP_1) | instskip(NEXT) | instid1(VALU_DEP_1)
	v_dual_sub_f32 v101, v101, v114 :: v_dual_add_f32 v112, v68, v112
	v_add_f32_e32 v114, v113, v112
	s_delay_alu instid0(VALU_DEP_2) | instskip(NEXT) | instid1(VALU_DEP_2)
	v_add_f32_e32 v68, v68, v101
	v_rcp_f32_e32 v101, v114
	v_sub_f32_e32 v113, v113, v114
	s_delay_alu instid0(VALU_DEP_1) | instskip(NEXT) | instid1(VALU_DEP_1)
	v_dual_add_f32 v115, v102, v68 :: v_dual_add_f32 v112, v112, v113
	v_sub_f32_e32 v102, v102, v115
	s_waitcnt_depctr 0xfff
	v_mul_f32_e32 v116, v115, v101
	s_delay_alu instid0(VALU_DEP_1) | instskip(NEXT) | instid1(VALU_DEP_1)
	v_mul_f32_e32 v117, v114, v116
	v_fma_f32 v113, v116, v114, -v117
	s_delay_alu instid0(VALU_DEP_1) | instskip(NEXT) | instid1(VALU_DEP_1)
	v_fmac_f32_e32 v113, v116, v112
	v_add_f32_e32 v118, v117, v113
	s_delay_alu instid0(VALU_DEP_1) | instskip(NEXT) | instid1(VALU_DEP_1)
	v_sub_f32_e32 v119, v115, v118
	v_dual_sub_f32 v115, v115, v119 :: v_dual_add_f32 v68, v68, v102
	s_delay_alu instid0(VALU_DEP_1) | instskip(NEXT) | instid1(VALU_DEP_1)
	v_dual_sub_f32 v102, v118, v117 :: v_dual_sub_f32 v115, v115, v118
	v_sub_f32_e32 v102, v102, v113
	s_delay_alu instid0(VALU_DEP_2) | instskip(NEXT) | instid1(VALU_DEP_1)
	v_add_f32_e32 v68, v68, v115
	v_add_f32_e32 v68, v102, v68
	s_delay_alu instid0(VALU_DEP_1) | instskip(NEXT) | instid1(VALU_DEP_1)
	v_add_f32_e32 v102, v119, v68
	v_mul_f32_e32 v113, v101, v102
	s_delay_alu instid0(VALU_DEP_1) | instskip(NEXT) | instid1(VALU_DEP_1)
	v_dual_sub_f32 v118, v119, v102 :: v_dual_mul_f32 v115, v114, v113
	v_add_f32_e32 v68, v68, v118
	s_delay_alu instid0(VALU_DEP_2) | instskip(NEXT) | instid1(VALU_DEP_1)
	v_fma_f32 v114, v113, v114, -v115
	v_fmac_f32_e32 v114, v113, v112
	s_delay_alu instid0(VALU_DEP_1) | instskip(NEXT) | instid1(VALU_DEP_1)
	v_add_f32_e32 v112, v115, v114
	v_sub_f32_e32 v117, v102, v112
	s_delay_alu instid0(VALU_DEP_1) | instskip(NEXT) | instid1(VALU_DEP_1)
	v_dual_sub_f32 v115, v112, v115 :: v_dual_sub_f32 v102, v102, v117
	v_sub_f32_e32 v102, v102, v112
	s_delay_alu instid0(VALU_DEP_2) | instskip(NEXT) | instid1(VALU_DEP_2)
	v_sub_f32_e32 v112, v115, v114
	v_add_f32_e32 v68, v68, v102
	v_add_f32_e32 v102, v116, v113
	s_delay_alu instid0(VALU_DEP_2) | instskip(NEXT) | instid1(VALU_DEP_2)
	v_add_f32_e32 v68, v112, v68
	v_sub_f32_e32 v112, v102, v116
	s_delay_alu instid0(VALU_DEP_2) | instskip(NEXT) | instid1(VALU_DEP_2)
	v_add_f32_e32 v68, v117, v68
	v_sub_f32_e32 v112, v113, v112
	s_delay_alu instid0(VALU_DEP_2) | instskip(NEXT) | instid1(VALU_DEP_1)
	v_mul_f32_e32 v68, v101, v68
	v_add_f32_e32 v68, v112, v68
	s_delay_alu instid0(VALU_DEP_1) | instskip(NEXT) | instid1(VALU_DEP_1)
	v_add_f32_e32 v101, v102, v68
	v_mul_f32_e32 v112, v101, v101
	s_delay_alu instid0(VALU_DEP_1) | instskip(SKIP_2) | instid1(VALU_DEP_3)
	v_fmaak_f32 v113, s4, v112, 0x3ecc95a3
	v_mul_f32_e32 v114, v101, v112
	v_cmp_gt_f32_e64 s4, 0x33800000, |v65|
	v_fmaak_f32 v112, v112, v113, 0x3f2aaada
	v_ldexp_f32 v113, v101, 1
	v_sub_f32_e32 v101, v101, v102
	s_delay_alu instid0(VALU_DEP_4) | instskip(NEXT) | instid1(VALU_DEP_3)
	s_or_b32 vcc_lo, vcc_lo, s4
	v_mul_f32_e32 v112, v114, v112
	v_mul_f32_e32 v114, 0x3f317218, v67
	s_delay_alu instid0(VALU_DEP_3) | instskip(NEXT) | instid1(VALU_DEP_3)
	v_sub_f32_e32 v68, v68, v101
	v_add_f32_e32 v102, v113, v112
	s_delay_alu instid0(VALU_DEP_2) | instskip(NEXT) | instid1(VALU_DEP_2)
	v_ldexp_f32 v68, v68, 1
	v_sub_f32_e32 v101, v102, v113
	v_fma_f32 v113, 0x3f317218, v67, -v114
	s_delay_alu instid0(VALU_DEP_2) | instskip(NEXT) | instid1(VALU_DEP_1)
	v_sub_f32_e32 v101, v112, v101
	v_dual_fmamk_f32 v67, v67, 0xb102e308, v113 :: v_dual_add_f32 v68, v68, v101
	s_delay_alu instid0(VALU_DEP_1) | instskip(NEXT) | instid1(VALU_DEP_2)
	v_add_f32_e32 v101, v114, v67
	v_add_f32_e32 v112, v102, v68
	s_delay_alu instid0(VALU_DEP_2) | instskip(NEXT) | instid1(VALU_DEP_2)
	v_sub_f32_e32 v114, v101, v114
	v_dual_add_f32 v113, v101, v112 :: v_dual_sub_f32 v102, v112, v102
	s_delay_alu instid0(VALU_DEP_2) | instskip(NEXT) | instid1(VALU_DEP_2)
	v_sub_f32_e32 v67, v67, v114
	v_dual_sub_f32 v115, v113, v101 :: v_dual_sub_f32 v68, v68, v102
	s_delay_alu instid0(VALU_DEP_1) | instskip(SKIP_1) | instid1(VALU_DEP_3)
	v_sub_f32_e32 v116, v113, v115
	v_sub_f32_e32 v102, v112, v115
	v_add_f32_e32 v112, v67, v68
	s_delay_alu instid0(VALU_DEP_3) | instskip(NEXT) | instid1(VALU_DEP_1)
	v_sub_f32_e32 v101, v101, v116
	v_dual_add_f32 v101, v102, v101 :: v_dual_sub_f32 v102, v112, v67
	s_delay_alu instid0(VALU_DEP_1) | instskip(NEXT) | instid1(VALU_DEP_2)
	v_add_f32_e32 v101, v112, v101
	v_sub_f32_e32 v112, v112, v102
	v_sub_f32_e32 v68, v68, v102
	s_delay_alu instid0(VALU_DEP_2) | instskip(NEXT) | instid1(VALU_DEP_1)
	v_dual_add_f32 v114, v113, v101 :: v_dual_sub_f32 v67, v67, v112
	v_dual_sub_f32 v102, v114, v113 :: v_dual_add_f32 v67, v68, v67
	s_delay_alu instid0(VALU_DEP_1) | instskip(NEXT) | instid1(VALU_DEP_1)
	v_sub_f32_e32 v68, v101, v102
	v_add_f32_e32 v67, v67, v68
	s_delay_alu instid0(VALU_DEP_1) | instskip(NEXT) | instid1(VALU_DEP_1)
	v_add_f32_e32 v67, v114, v67
	v_cndmask_b32_e32 v65, v67, v65, vcc_lo
	s_delay_alu instid0(VALU_DEP_1) | instskip(NEXT) | instid1(VALU_DEP_1)
	v_add_f32_e32 v65, v66, v65
	v_cvt_f16_f32_e32 v101, v65
	s_delay_alu instid0(VALU_DEP_1)
	v_cvt_f32_f16_e32 v102, v101
	v_mov_b32_e32 v65, v101
.LBB390_206:
	s_or_b32 exec_lo, exec_lo, s3
	s_delay_alu instid0(VALU_DEP_2) | instskip(SKIP_1) | instid1(VALU_DEP_2)
	v_dual_max_f32 v66, v69, v69 :: v_dual_max_f32 v67, v102, v102
	v_cmp_u_f16_e32 vcc_lo, v101, v101
	v_min_f32_e32 v68, v67, v66
	v_max_f32_e32 v66, v67, v66
	s_delay_alu instid0(VALU_DEP_2) | instskip(NEXT) | instid1(VALU_DEP_2)
	v_cndmask_b32_e32 v67, v68, v102, vcc_lo
	v_cndmask_b32_e32 v66, v66, v102, vcc_lo
	s_delay_alu instid0(VALU_DEP_2) | instskip(NEXT) | instid1(VALU_DEP_2)
	v_cndmask_b32_e64 v68, v67, v69, s8
	v_cndmask_b32_e64 v67, v66, v69, s8
	v_mov_b32_e32 v66, v65
	s_delay_alu instid0(VALU_DEP_3) | instskip(NEXT) | instid1(VALU_DEP_3)
	v_cmp_class_f32_e64 s3, v68, 0x1f8
	v_cmp_neq_f32_e32 vcc_lo, v68, v67
	s_delay_alu instid0(VALU_DEP_2) | instskip(NEXT) | instid1(SALU_CYCLE_1)
	s_or_b32 s4, vcc_lo, s3
	s_and_saveexec_b32 s3, s4
	s_cbranch_execz .LBB390_208
; %bb.207:
	v_sub_f32_e32 v66, v68, v67
	s_mov_b32 s4, 0x3e9b6dac
	s_delay_alu instid0(VALU_DEP_1) | instskip(SKIP_1) | instid1(VALU_DEP_2)
	v_mul_f32_e32 v68, 0x3fb8aa3b, v66
	v_cmp_ngt_f32_e32 vcc_lo, 0xc2ce8ed0, v66
	v_fma_f32 v69, 0x3fb8aa3b, v66, -v68
	v_rndne_f32_e32 v101, v68
	s_delay_alu instid0(VALU_DEP_1) | instskip(NEXT) | instid1(VALU_DEP_1)
	v_dual_fmamk_f32 v69, v66, 0x32a5705f, v69 :: v_dual_sub_f32 v68, v68, v101
	v_add_f32_e32 v68, v68, v69
	v_cvt_i32_f32_e32 v69, v101
	s_delay_alu instid0(VALU_DEP_2) | instskip(SKIP_2) | instid1(VALU_DEP_1)
	v_exp_f32_e32 v68, v68
	s_waitcnt_depctr 0xfff
	v_ldexp_f32 v68, v68, v69
	v_cndmask_b32_e32 v68, 0, v68, vcc_lo
	v_cmp_nlt_f32_e32 vcc_lo, 0x42b17218, v66
	s_delay_alu instid0(VALU_DEP_2) | instskip(NEXT) | instid1(VALU_DEP_1)
	v_cndmask_b32_e32 v66, 0x7f800000, v68, vcc_lo
	v_add_f32_e32 v101, 1.0, v66
	s_delay_alu instid0(VALU_DEP_1) | instskip(NEXT) | instid1(VALU_DEP_1)
	v_cvt_f64_f32_e32 v[68:69], v101
	v_frexp_exp_i32_f64_e32 v68, v[68:69]
	v_frexp_mant_f32_e32 v69, v101
	s_delay_alu instid0(VALU_DEP_1) | instskip(SKIP_1) | instid1(VALU_DEP_1)
	v_cmp_gt_f32_e32 vcc_lo, 0x3f2aaaab, v69
	v_add_f32_e32 v69, -1.0, v101
	v_sub_f32_e32 v112, v69, v101
	s_delay_alu instid0(VALU_DEP_1) | instskip(SKIP_1) | instid1(VALU_DEP_1)
	v_dual_sub_f32 v69, v66, v69 :: v_dual_add_f32 v112, 1.0, v112
	v_subrev_co_ci_u32_e32 v68, vcc_lo, 0, v68, vcc_lo
	v_sub_nc_u32_e32 v102, 0, v68
	v_cvt_f32_i32_e32 v68, v68
	s_delay_alu instid0(VALU_DEP_2) | instskip(NEXT) | instid1(VALU_DEP_1)
	v_ldexp_f32 v101, v101, v102
	v_add_f32_e32 v113, 1.0, v101
	s_delay_alu instid0(VALU_DEP_1) | instskip(NEXT) | instid1(VALU_DEP_1)
	v_dual_add_f32 v69, v69, v112 :: v_dual_add_f32 v112, -1.0, v113
	v_ldexp_f32 v69, v69, v102
	v_add_f32_e32 v102, -1.0, v101
	s_delay_alu instid0(VALU_DEP_3) | instskip(NEXT) | instid1(VALU_DEP_2)
	v_sub_f32_e32 v112, v101, v112
	v_add_f32_e32 v114, 1.0, v102
	s_delay_alu instid0(VALU_DEP_2) | instskip(NEXT) | instid1(VALU_DEP_2)
	v_add_f32_e32 v112, v69, v112
	v_sub_f32_e32 v101, v101, v114
	v_cmp_eq_f32_e32 vcc_lo, 0x7f800000, v66
	s_delay_alu instid0(VALU_DEP_3) | instskip(NEXT) | instid1(VALU_DEP_3)
	v_add_f32_e32 v114, v113, v112
	v_add_f32_e32 v69, v69, v101
	s_delay_alu instid0(VALU_DEP_2) | instskip(SKIP_1) | instid1(VALU_DEP_2)
	v_rcp_f32_e32 v101, v114
	v_sub_f32_e32 v113, v113, v114
	v_add_f32_e32 v115, v102, v69
	s_delay_alu instid0(VALU_DEP_2) | instskip(NEXT) | instid1(VALU_DEP_2)
	v_add_f32_e32 v112, v112, v113
	v_sub_f32_e32 v102, v102, v115
	s_waitcnt_depctr 0xfff
	v_dual_mul_f32 v116, v115, v101 :: v_dual_add_f32 v69, v69, v102
	s_delay_alu instid0(VALU_DEP_1) | instskip(NEXT) | instid1(VALU_DEP_1)
	v_mul_f32_e32 v117, v114, v116
	v_fma_f32 v113, v116, v114, -v117
	s_delay_alu instid0(VALU_DEP_1) | instskip(NEXT) | instid1(VALU_DEP_1)
	v_fmac_f32_e32 v113, v116, v112
	v_add_f32_e32 v118, v117, v113
	s_delay_alu instid0(VALU_DEP_1) | instskip(NEXT) | instid1(VALU_DEP_1)
	v_sub_f32_e32 v119, v115, v118
	v_sub_f32_e32 v115, v115, v119
	s_delay_alu instid0(VALU_DEP_1) | instskip(NEXT) | instid1(VALU_DEP_1)
	v_dual_sub_f32 v115, v115, v118 :: v_dual_sub_f32 v102, v118, v117
	v_dual_add_f32 v69, v69, v115 :: v_dual_sub_f32 v102, v102, v113
	s_delay_alu instid0(VALU_DEP_1) | instskip(NEXT) | instid1(VALU_DEP_1)
	v_add_f32_e32 v69, v102, v69
	v_add_f32_e32 v102, v119, v69
	s_delay_alu instid0(VALU_DEP_1) | instskip(NEXT) | instid1(VALU_DEP_1)
	v_mul_f32_e32 v113, v101, v102
	v_dual_sub_f32 v118, v119, v102 :: v_dual_mul_f32 v115, v114, v113
	s_delay_alu instid0(VALU_DEP_1) | instskip(NEXT) | instid1(VALU_DEP_1)
	v_fma_f32 v114, v113, v114, -v115
	v_fmac_f32_e32 v114, v113, v112
	s_delay_alu instid0(VALU_DEP_3) | instskip(NEXT) | instid1(VALU_DEP_2)
	v_add_f32_e32 v69, v69, v118
	v_add_f32_e32 v112, v115, v114
	s_delay_alu instid0(VALU_DEP_1) | instskip(NEXT) | instid1(VALU_DEP_1)
	v_sub_f32_e32 v117, v102, v112
	v_dual_sub_f32 v115, v112, v115 :: v_dual_sub_f32 v102, v102, v117
	s_delay_alu instid0(VALU_DEP_1) | instskip(NEXT) | instid1(VALU_DEP_2)
	v_sub_f32_e32 v102, v102, v112
	v_sub_f32_e32 v112, v115, v114
	s_delay_alu instid0(VALU_DEP_2) | instskip(NEXT) | instid1(VALU_DEP_1)
	v_dual_add_f32 v69, v69, v102 :: v_dual_add_f32 v102, v116, v113
	v_dual_add_f32 v69, v112, v69 :: v_dual_sub_f32 v112, v102, v116
	s_delay_alu instid0(VALU_DEP_1) | instskip(NEXT) | instid1(VALU_DEP_2)
	v_add_f32_e32 v69, v117, v69
	v_sub_f32_e32 v112, v113, v112
	s_delay_alu instid0(VALU_DEP_2) | instskip(NEXT) | instid1(VALU_DEP_1)
	v_mul_f32_e32 v69, v101, v69
	v_add_f32_e32 v69, v112, v69
	s_delay_alu instid0(VALU_DEP_1) | instskip(NEXT) | instid1(VALU_DEP_1)
	v_add_f32_e32 v101, v102, v69
	v_mul_f32_e32 v112, v101, v101
	s_delay_alu instid0(VALU_DEP_1) | instskip(SKIP_2) | instid1(VALU_DEP_3)
	v_fmaak_f32 v113, s4, v112, 0x3ecc95a3
	v_mul_f32_e32 v114, v101, v112
	v_cmp_gt_f32_e64 s4, 0x33800000, |v66|
	v_fmaak_f32 v112, v112, v113, 0x3f2aaada
	v_ldexp_f32 v113, v101, 1
	v_sub_f32_e32 v101, v101, v102
	s_delay_alu instid0(VALU_DEP_4) | instskip(NEXT) | instid1(VALU_DEP_1)
	s_or_b32 vcc_lo, vcc_lo, s4
	v_dual_mul_f32 v112, v114, v112 :: v_dual_sub_f32 v69, v69, v101
	s_delay_alu instid0(VALU_DEP_1) | instskip(SKIP_1) | instid1(VALU_DEP_3)
	v_add_f32_e32 v102, v113, v112
	v_mul_f32_e32 v114, 0x3f317218, v68
	v_ldexp_f32 v69, v69, 1
	s_delay_alu instid0(VALU_DEP_3) | instskip(NEXT) | instid1(VALU_DEP_3)
	v_sub_f32_e32 v101, v102, v113
	v_fma_f32 v113, 0x3f317218, v68, -v114
	s_delay_alu instid0(VALU_DEP_2) | instskip(NEXT) | instid1(VALU_DEP_1)
	v_sub_f32_e32 v101, v112, v101
	v_dual_fmamk_f32 v68, v68, 0xb102e308, v113 :: v_dual_add_f32 v69, v69, v101
	s_delay_alu instid0(VALU_DEP_1) | instskip(NEXT) | instid1(VALU_DEP_2)
	v_add_f32_e32 v101, v114, v68
	v_add_f32_e32 v112, v102, v69
	s_delay_alu instid0(VALU_DEP_2) | instskip(NEXT) | instid1(VALU_DEP_1)
	v_sub_f32_e32 v114, v101, v114
	v_dual_add_f32 v113, v101, v112 :: v_dual_sub_f32 v68, v68, v114
	s_delay_alu instid0(VALU_DEP_1) | instskip(NEXT) | instid1(VALU_DEP_1)
	v_sub_f32_e32 v115, v113, v101
	v_sub_f32_e32 v116, v113, v115
	s_delay_alu instid0(VALU_DEP_1) | instskip(NEXT) | instid1(VALU_DEP_1)
	v_dual_sub_f32 v101, v101, v116 :: v_dual_sub_f32 v102, v112, v102
	v_dual_sub_f32 v69, v69, v102 :: v_dual_sub_f32 v102, v112, v115
	s_delay_alu instid0(VALU_DEP_1) | instskip(NEXT) | instid1(VALU_DEP_1)
	v_add_f32_e32 v112, v68, v69
	v_dual_add_f32 v101, v102, v101 :: v_dual_sub_f32 v102, v112, v68
	s_delay_alu instid0(VALU_DEP_1) | instskip(NEXT) | instid1(VALU_DEP_2)
	v_sub_f32_e32 v69, v69, v102
	v_add_f32_e32 v101, v112, v101
	v_sub_f32_e32 v112, v112, v102
	s_delay_alu instid0(VALU_DEP_2) | instskip(NEXT) | instid1(VALU_DEP_1)
	v_add_f32_e32 v114, v113, v101
	v_sub_f32_e32 v102, v114, v113
	s_delay_alu instid0(VALU_DEP_3) | instskip(NEXT) | instid1(VALU_DEP_1)
	v_sub_f32_e32 v68, v68, v112
	v_add_f32_e32 v68, v69, v68
	s_delay_alu instid0(VALU_DEP_3) | instskip(NEXT) | instid1(VALU_DEP_1)
	v_sub_f32_e32 v69, v101, v102
	v_add_f32_e32 v68, v68, v69
	s_delay_alu instid0(VALU_DEP_1) | instskip(NEXT) | instid1(VALU_DEP_1)
	v_add_f32_e32 v68, v114, v68
	v_cndmask_b32_e32 v66, v68, v66, vcc_lo
	s_delay_alu instid0(VALU_DEP_1) | instskip(NEXT) | instid1(VALU_DEP_1)
	v_add_f32_e32 v66, v67, v66
	v_cvt_f16_f32_e32 v101, v66
	s_delay_alu instid0(VALU_DEP_1)
	v_cvt_f32_f16_e32 v102, v101
	v_mov_b32_e32 v66, v101
.LBB390_208:
	s_or_b32 exec_lo, exec_lo, s3
	v_max_f32_e32 v67, v70, v70
	s_delay_alu instid0(VALU_DEP_3) | instskip(SKIP_1) | instid1(VALU_DEP_2)
	v_max_f32_e32 v68, v102, v102
	v_cmp_u_f16_e32 vcc_lo, v101, v101
	v_min_f32_e32 v69, v68, v67
	s_delay_alu instid0(VALU_DEP_1) | instskip(NEXT) | instid1(VALU_DEP_1)
	v_dual_max_f32 v67, v68, v67 :: v_dual_cndmask_b32 v68, v69, v102
	v_cndmask_b32_e32 v67, v67, v102, vcc_lo
	s_delay_alu instid0(VALU_DEP_2) | instskip(NEXT) | instid1(VALU_DEP_2)
	v_cndmask_b32_e64 v69, v68, v70, s9
	v_cndmask_b32_e64 v68, v67, v70, s9
	v_mov_b32_e32 v67, v66
	s_delay_alu instid0(VALU_DEP_3) | instskip(NEXT) | instid1(VALU_DEP_3)
	v_cmp_class_f32_e64 s3, v69, 0x1f8
	v_cmp_neq_f32_e32 vcc_lo, v69, v68
	s_delay_alu instid0(VALU_DEP_2) | instskip(NEXT) | instid1(SALU_CYCLE_1)
	s_or_b32 s4, vcc_lo, s3
	s_and_saveexec_b32 s3, s4
	s_cbranch_execz .LBB390_210
; %bb.209:
	v_sub_f32_e32 v67, v69, v68
	s_mov_b32 s4, 0x3e9b6dac
	s_delay_alu instid0(VALU_DEP_1) | instskip(SKIP_1) | instid1(VALU_DEP_2)
	v_mul_f32_e32 v69, 0x3fb8aa3b, v67
	v_cmp_ngt_f32_e32 vcc_lo, 0xc2ce8ed0, v67
	v_fma_f32 v70, 0x3fb8aa3b, v67, -v69
	v_rndne_f32_e32 v101, v69
	s_delay_alu instid0(VALU_DEP_1) | instskip(NEXT) | instid1(VALU_DEP_1)
	v_dual_fmamk_f32 v70, v67, 0x32a5705f, v70 :: v_dual_sub_f32 v69, v69, v101
	v_add_f32_e32 v69, v69, v70
	v_cvt_i32_f32_e32 v70, v101
	s_delay_alu instid0(VALU_DEP_2) | instskip(SKIP_2) | instid1(VALU_DEP_1)
	v_exp_f32_e32 v69, v69
	s_waitcnt_depctr 0xfff
	v_ldexp_f32 v69, v69, v70
	v_cndmask_b32_e32 v69, 0, v69, vcc_lo
	v_cmp_nlt_f32_e32 vcc_lo, 0x42b17218, v67
	s_delay_alu instid0(VALU_DEP_2) | instskip(NEXT) | instid1(VALU_DEP_1)
	v_cndmask_b32_e32 v67, 0x7f800000, v69, vcc_lo
	v_add_f32_e32 v101, 1.0, v67
	s_delay_alu instid0(VALU_DEP_1) | instskip(NEXT) | instid1(VALU_DEP_1)
	v_cvt_f64_f32_e32 v[69:70], v101
	v_frexp_exp_i32_f64_e32 v69, v[69:70]
	v_frexp_mant_f32_e32 v70, v101
	s_delay_alu instid0(VALU_DEP_1) | instskip(SKIP_1) | instid1(VALU_DEP_1)
	v_cmp_gt_f32_e32 vcc_lo, 0x3f2aaaab, v70
	v_add_f32_e32 v70, -1.0, v101
	v_sub_f32_e32 v112, v70, v101
	v_sub_f32_e32 v70, v67, v70
	s_delay_alu instid0(VALU_DEP_2) | instskip(NEXT) | instid1(VALU_DEP_1)
	v_add_f32_e32 v112, 1.0, v112
	v_add_f32_e32 v70, v70, v112
	v_subrev_co_ci_u32_e32 v69, vcc_lo, 0, v69, vcc_lo
	v_cmp_eq_f32_e32 vcc_lo, 0x7f800000, v67
	s_delay_alu instid0(VALU_DEP_2) | instskip(SKIP_1) | instid1(VALU_DEP_2)
	v_sub_nc_u32_e32 v102, 0, v69
	v_cvt_f32_i32_e32 v69, v69
	v_ldexp_f32 v101, v101, v102
	v_ldexp_f32 v70, v70, v102
	s_delay_alu instid0(VALU_DEP_2) | instskip(SKIP_1) | instid1(VALU_DEP_2)
	v_add_f32_e32 v113, 1.0, v101
	v_add_f32_e32 v102, -1.0, v101
	v_add_f32_e32 v112, -1.0, v113
	s_delay_alu instid0(VALU_DEP_2) | instskip(NEXT) | instid1(VALU_DEP_2)
	v_add_f32_e32 v114, 1.0, v102
	v_sub_f32_e32 v112, v101, v112
	s_delay_alu instid0(VALU_DEP_1) | instskip(NEXT) | instid1(VALU_DEP_1)
	v_dual_sub_f32 v101, v101, v114 :: v_dual_add_f32 v112, v70, v112
	v_add_f32_e32 v70, v70, v101
	s_delay_alu instid0(VALU_DEP_1) | instskip(NEXT) | instid1(VALU_DEP_1)
	v_dual_add_f32 v114, v113, v112 :: v_dual_add_f32 v115, v102, v70
	v_rcp_f32_e32 v101, v114
	v_sub_f32_e32 v113, v113, v114
	s_delay_alu instid0(VALU_DEP_1) | instskip(SKIP_2) | instid1(VALU_DEP_1)
	v_add_f32_e32 v112, v112, v113
	s_waitcnt_depctr 0xfff
	v_mul_f32_e32 v116, v115, v101
	v_mul_f32_e32 v117, v114, v116
	s_delay_alu instid0(VALU_DEP_1) | instskip(NEXT) | instid1(VALU_DEP_1)
	v_fma_f32 v113, v116, v114, -v117
	v_fmac_f32_e32 v113, v116, v112
	s_delay_alu instid0(VALU_DEP_1) | instskip(NEXT) | instid1(VALU_DEP_1)
	v_add_f32_e32 v118, v117, v113
	v_dual_sub_f32 v102, v102, v115 :: v_dual_sub_f32 v119, v115, v118
	s_delay_alu instid0(VALU_DEP_1) | instskip(NEXT) | instid1(VALU_DEP_1)
	v_sub_f32_e32 v115, v115, v119
	v_sub_f32_e32 v115, v115, v118
	s_delay_alu instid0(VALU_DEP_3) | instskip(SKIP_1) | instid1(VALU_DEP_2)
	v_add_f32_e32 v70, v70, v102
	v_sub_f32_e32 v102, v118, v117
	v_add_f32_e32 v70, v70, v115
	s_delay_alu instid0(VALU_DEP_2) | instskip(NEXT) | instid1(VALU_DEP_1)
	v_sub_f32_e32 v102, v102, v113
	v_add_f32_e32 v70, v102, v70
	s_delay_alu instid0(VALU_DEP_1) | instskip(NEXT) | instid1(VALU_DEP_1)
	v_add_f32_e32 v102, v119, v70
	v_mul_f32_e32 v113, v101, v102
	s_delay_alu instid0(VALU_DEP_1) | instskip(NEXT) | instid1(VALU_DEP_1)
	v_dual_mul_f32 v115, v114, v113 :: v_dual_sub_f32 v118, v119, v102
	v_fma_f32 v114, v113, v114, -v115
	s_delay_alu instid0(VALU_DEP_2) | instskip(NEXT) | instid1(VALU_DEP_2)
	v_add_f32_e32 v70, v70, v118
	v_fmac_f32_e32 v114, v113, v112
	s_delay_alu instid0(VALU_DEP_1) | instskip(NEXT) | instid1(VALU_DEP_1)
	v_add_f32_e32 v112, v115, v114
	v_sub_f32_e32 v117, v102, v112
	s_delay_alu instid0(VALU_DEP_1) | instskip(NEXT) | instid1(VALU_DEP_1)
	v_dual_sub_f32 v115, v112, v115 :: v_dual_sub_f32 v102, v102, v117
	v_sub_f32_e32 v102, v102, v112
	s_delay_alu instid0(VALU_DEP_2) | instskip(NEXT) | instid1(VALU_DEP_2)
	v_sub_f32_e32 v112, v115, v114
	v_add_f32_e32 v70, v70, v102
	v_add_f32_e32 v102, v116, v113
	s_delay_alu instid0(VALU_DEP_2) | instskip(NEXT) | instid1(VALU_DEP_2)
	v_add_f32_e32 v70, v112, v70
	v_sub_f32_e32 v112, v102, v116
	s_delay_alu instid0(VALU_DEP_2) | instskip(NEXT) | instid1(VALU_DEP_2)
	v_add_f32_e32 v70, v117, v70
	v_sub_f32_e32 v112, v113, v112
	s_delay_alu instid0(VALU_DEP_2) | instskip(NEXT) | instid1(VALU_DEP_1)
	v_mul_f32_e32 v70, v101, v70
	v_add_f32_e32 v70, v112, v70
	s_delay_alu instid0(VALU_DEP_1) | instskip(NEXT) | instid1(VALU_DEP_1)
	v_add_f32_e32 v101, v102, v70
	v_mul_f32_e32 v112, v101, v101
	s_delay_alu instid0(VALU_DEP_1) | instskip(SKIP_2) | instid1(VALU_DEP_3)
	v_fmaak_f32 v113, s4, v112, 0x3ecc95a3
	v_mul_f32_e32 v114, v101, v112
	v_cmp_gt_f32_e64 s4, 0x33800000, |v67|
	v_fmaak_f32 v112, v112, v113, 0x3f2aaada
	v_ldexp_f32 v113, v101, 1
	v_sub_f32_e32 v101, v101, v102
	s_delay_alu instid0(VALU_DEP_4) | instskip(NEXT) | instid1(VALU_DEP_3)
	s_or_b32 vcc_lo, vcc_lo, s4
	v_mul_f32_e32 v112, v114, v112
	v_mul_f32_e32 v114, 0x3f317218, v69
	s_delay_alu instid0(VALU_DEP_3) | instskip(NEXT) | instid1(VALU_DEP_3)
	v_sub_f32_e32 v70, v70, v101
	v_add_f32_e32 v102, v113, v112
	s_delay_alu instid0(VALU_DEP_2) | instskip(NEXT) | instid1(VALU_DEP_2)
	v_ldexp_f32 v70, v70, 1
	v_sub_f32_e32 v101, v102, v113
	v_fma_f32 v113, 0x3f317218, v69, -v114
	s_delay_alu instid0(VALU_DEP_2) | instskip(NEXT) | instid1(VALU_DEP_1)
	v_sub_f32_e32 v101, v112, v101
	v_dual_fmamk_f32 v69, v69, 0xb102e308, v113 :: v_dual_add_f32 v70, v70, v101
	s_delay_alu instid0(VALU_DEP_1) | instskip(NEXT) | instid1(VALU_DEP_2)
	v_add_f32_e32 v101, v114, v69
	v_add_f32_e32 v112, v102, v70
	s_delay_alu instid0(VALU_DEP_2) | instskip(NEXT) | instid1(VALU_DEP_2)
	v_sub_f32_e32 v114, v101, v114
	v_dual_add_f32 v113, v101, v112 :: v_dual_sub_f32 v102, v112, v102
	s_delay_alu instid0(VALU_DEP_2) | instskip(NEXT) | instid1(VALU_DEP_2)
	v_sub_f32_e32 v69, v69, v114
	v_dual_sub_f32 v115, v113, v101 :: v_dual_sub_f32 v70, v70, v102
	s_delay_alu instid0(VALU_DEP_1) | instskip(SKIP_1) | instid1(VALU_DEP_3)
	v_sub_f32_e32 v116, v113, v115
	v_sub_f32_e32 v102, v112, v115
	v_add_f32_e32 v112, v69, v70
	s_delay_alu instid0(VALU_DEP_3) | instskip(NEXT) | instid1(VALU_DEP_1)
	v_sub_f32_e32 v101, v101, v116
	v_add_f32_e32 v101, v102, v101
	s_delay_alu instid0(VALU_DEP_3) | instskip(NEXT) | instid1(VALU_DEP_2)
	v_sub_f32_e32 v102, v112, v69
	v_add_f32_e32 v101, v112, v101
	s_delay_alu instid0(VALU_DEP_2) | instskip(SKIP_1) | instid1(VALU_DEP_3)
	v_sub_f32_e32 v112, v112, v102
	v_sub_f32_e32 v70, v70, v102
	v_add_f32_e32 v114, v113, v101
	s_delay_alu instid0(VALU_DEP_1) | instskip(NEXT) | instid1(VALU_DEP_1)
	v_dual_sub_f32 v69, v69, v112 :: v_dual_sub_f32 v102, v114, v113
	v_dual_add_f32 v69, v70, v69 :: v_dual_sub_f32 v70, v101, v102
	s_delay_alu instid0(VALU_DEP_1) | instskip(NEXT) | instid1(VALU_DEP_1)
	v_add_f32_e32 v69, v69, v70
	v_add_f32_e32 v69, v114, v69
	s_delay_alu instid0(VALU_DEP_1) | instskip(NEXT) | instid1(VALU_DEP_1)
	v_cndmask_b32_e32 v67, v69, v67, vcc_lo
	v_add_f32_e32 v67, v68, v67
	s_delay_alu instid0(VALU_DEP_1) | instskip(NEXT) | instid1(VALU_DEP_1)
	v_cvt_f16_f32_e32 v101, v67
	v_mov_b32_e32 v67, v101
	v_cvt_f32_f16_e32 v102, v101
.LBB390_210:
	s_or_b32 exec_lo, exec_lo, s3
	s_delay_alu instid0(VALU_DEP_1) | instskip(SKIP_1) | instid1(VALU_DEP_2)
	v_dual_max_f32 v68, v71, v71 :: v_dual_max_f32 v69, v102, v102
	v_cmp_u_f16_e32 vcc_lo, v101, v101
	v_min_f32_e32 v70, v69, v68
	s_delay_alu instid0(VALU_DEP_1) | instskip(NEXT) | instid1(VALU_DEP_1)
	v_dual_max_f32 v68, v69, v68 :: v_dual_cndmask_b32 v69, v70, v102
	v_cndmask_b32_e32 v68, v68, v102, vcc_lo
	s_delay_alu instid0(VALU_DEP_2) | instskip(NEXT) | instid1(VALU_DEP_2)
	v_cndmask_b32_e64 v70, v69, v71, s10
	v_cndmask_b32_e64 v69, v68, v71, s10
	v_mov_b32_e32 v68, v67
	s_delay_alu instid0(VALU_DEP_3) | instskip(NEXT) | instid1(VALU_DEP_3)
	v_cmp_class_f32_e64 s3, v70, 0x1f8
	v_cmp_neq_f32_e32 vcc_lo, v70, v69
	s_delay_alu instid0(VALU_DEP_2) | instskip(NEXT) | instid1(SALU_CYCLE_1)
	s_or_b32 s4, vcc_lo, s3
	s_and_saveexec_b32 s3, s4
	s_cbranch_execz .LBB390_212
; %bb.211:
	v_sub_f32_e32 v68, v70, v69
	s_mov_b32 s4, 0x3e9b6dac
	s_delay_alu instid0(VALU_DEP_1) | instskip(SKIP_1) | instid1(VALU_DEP_2)
	v_mul_f32_e32 v70, 0x3fb8aa3b, v68
	v_cmp_ngt_f32_e32 vcc_lo, 0xc2ce8ed0, v68
	v_fma_f32 v71, 0x3fb8aa3b, v68, -v70
	v_rndne_f32_e32 v101, v70
	s_delay_alu instid0(VALU_DEP_1) | instskip(NEXT) | instid1(VALU_DEP_1)
	v_dual_fmamk_f32 v71, v68, 0x32a5705f, v71 :: v_dual_sub_f32 v70, v70, v101
	v_add_f32_e32 v70, v70, v71
	v_cvt_i32_f32_e32 v71, v101
	s_delay_alu instid0(VALU_DEP_2) | instskip(SKIP_2) | instid1(VALU_DEP_1)
	v_exp_f32_e32 v70, v70
	s_waitcnt_depctr 0xfff
	v_ldexp_f32 v70, v70, v71
	v_cndmask_b32_e32 v70, 0, v70, vcc_lo
	v_cmp_nlt_f32_e32 vcc_lo, 0x42b17218, v68
	s_delay_alu instid0(VALU_DEP_2) | instskip(NEXT) | instid1(VALU_DEP_1)
	v_cndmask_b32_e32 v68, 0x7f800000, v70, vcc_lo
	v_add_f32_e32 v101, 1.0, v68
	s_delay_alu instid0(VALU_DEP_1) | instskip(NEXT) | instid1(VALU_DEP_1)
	v_cvt_f64_f32_e32 v[70:71], v101
	v_frexp_exp_i32_f64_e32 v70, v[70:71]
	v_frexp_mant_f32_e32 v71, v101
	s_delay_alu instid0(VALU_DEP_1) | instskip(SKIP_1) | instid1(VALU_DEP_1)
	v_cmp_gt_f32_e32 vcc_lo, 0x3f2aaaab, v71
	v_add_f32_e32 v71, -1.0, v101
	v_sub_f32_e32 v112, v71, v101
	s_delay_alu instid0(VALU_DEP_1) | instskip(SKIP_1) | instid1(VALU_DEP_1)
	v_add_f32_e32 v112, 1.0, v112
	v_subrev_co_ci_u32_e32 v70, vcc_lo, 0, v70, vcc_lo
	v_sub_nc_u32_e32 v102, 0, v70
	v_cvt_f32_i32_e32 v70, v70
	s_delay_alu instid0(VALU_DEP_2) | instskip(NEXT) | instid1(VALU_DEP_1)
	v_ldexp_f32 v101, v101, v102
	v_add_f32_e32 v113, 1.0, v101
	v_sub_f32_e32 v71, v68, v71
	v_cmp_eq_f32_e32 vcc_lo, 0x7f800000, v68
	s_delay_alu instid0(VALU_DEP_2) | instskip(NEXT) | instid1(VALU_DEP_1)
	v_add_f32_e32 v71, v71, v112
	v_ldexp_f32 v71, v71, v102
	v_add_f32_e32 v102, -1.0, v101
	v_add_f32_e32 v112, -1.0, v113
	s_delay_alu instid0(VALU_DEP_2) | instskip(NEXT) | instid1(VALU_DEP_2)
	v_add_f32_e32 v114, 1.0, v102
	v_sub_f32_e32 v112, v101, v112
	s_delay_alu instid0(VALU_DEP_1) | instskip(NEXT) | instid1(VALU_DEP_1)
	v_dual_sub_f32 v101, v101, v114 :: v_dual_add_f32 v112, v71, v112
	v_dual_add_f32 v71, v71, v101 :: v_dual_add_f32 v114, v113, v112
	s_delay_alu instid0(VALU_DEP_1) | instskip(SKIP_1) | instid1(VALU_DEP_1)
	v_rcp_f32_e32 v101, v114
	v_sub_f32_e32 v113, v113, v114
	v_dual_add_f32 v115, v102, v71 :: v_dual_add_f32 v112, v112, v113
	s_delay_alu instid0(VALU_DEP_1) | instskip(SKIP_3) | instid1(VALU_DEP_2)
	v_sub_f32_e32 v102, v102, v115
	s_waitcnt_depctr 0xfff
	v_mul_f32_e32 v116, v115, v101
	v_add_f32_e32 v71, v71, v102
	v_mul_f32_e32 v117, v114, v116
	s_delay_alu instid0(VALU_DEP_1) | instskip(NEXT) | instid1(VALU_DEP_1)
	v_fma_f32 v113, v116, v114, -v117
	v_fmac_f32_e32 v113, v116, v112
	s_delay_alu instid0(VALU_DEP_1) | instskip(NEXT) | instid1(VALU_DEP_1)
	v_add_f32_e32 v118, v117, v113
	v_sub_f32_e32 v119, v115, v118
	s_delay_alu instid0(VALU_DEP_1) | instskip(NEXT) | instid1(VALU_DEP_1)
	v_sub_f32_e32 v115, v115, v119
	v_dual_sub_f32 v115, v115, v118 :: v_dual_sub_f32 v102, v118, v117
	s_delay_alu instid0(VALU_DEP_1) | instskip(NEXT) | instid1(VALU_DEP_1)
	v_dual_add_f32 v71, v71, v115 :: v_dual_sub_f32 v102, v102, v113
	v_add_f32_e32 v71, v102, v71
	s_delay_alu instid0(VALU_DEP_1) | instskip(NEXT) | instid1(VALU_DEP_1)
	v_add_f32_e32 v102, v119, v71
	v_mul_f32_e32 v113, v101, v102
	s_delay_alu instid0(VALU_DEP_1) | instskip(NEXT) | instid1(VALU_DEP_1)
	v_dual_mul_f32 v115, v114, v113 :: v_dual_sub_f32 v118, v119, v102
	v_fma_f32 v114, v113, v114, -v115
	s_delay_alu instid0(VALU_DEP_1) | instskip(NEXT) | instid1(VALU_DEP_1)
	v_dual_add_f32 v71, v71, v118 :: v_dual_fmac_f32 v114, v113, v112
	v_add_f32_e32 v112, v115, v114
	s_delay_alu instid0(VALU_DEP_1) | instskip(NEXT) | instid1(VALU_DEP_1)
	v_sub_f32_e32 v117, v102, v112
	v_dual_sub_f32 v115, v112, v115 :: v_dual_sub_f32 v102, v102, v117
	s_delay_alu instid0(VALU_DEP_1) | instskip(NEXT) | instid1(VALU_DEP_1)
	v_sub_f32_e32 v102, v102, v112
	v_dual_add_f32 v71, v71, v102 :: v_dual_add_f32 v102, v116, v113
	s_delay_alu instid0(VALU_DEP_3) | instskip(NEXT) | instid1(VALU_DEP_1)
	v_sub_f32_e32 v112, v115, v114
	v_dual_add_f32 v71, v112, v71 :: v_dual_sub_f32 v112, v102, v116
	s_delay_alu instid0(VALU_DEP_1) | instskip(NEXT) | instid1(VALU_DEP_2)
	v_add_f32_e32 v71, v117, v71
	v_sub_f32_e32 v112, v113, v112
	s_delay_alu instid0(VALU_DEP_2) | instskip(NEXT) | instid1(VALU_DEP_1)
	v_mul_f32_e32 v71, v101, v71
	v_add_f32_e32 v71, v112, v71
	s_delay_alu instid0(VALU_DEP_1) | instskip(NEXT) | instid1(VALU_DEP_1)
	v_add_f32_e32 v101, v102, v71
	v_mul_f32_e32 v112, v101, v101
	s_delay_alu instid0(VALU_DEP_1) | instskip(SKIP_2) | instid1(VALU_DEP_3)
	v_fmaak_f32 v113, s4, v112, 0x3ecc95a3
	v_mul_f32_e32 v114, v101, v112
	v_cmp_gt_f32_e64 s4, 0x33800000, |v68|
	v_fmaak_f32 v112, v112, v113, 0x3f2aaada
	v_ldexp_f32 v113, v101, 1
	v_sub_f32_e32 v101, v101, v102
	s_delay_alu instid0(VALU_DEP_4) | instskip(NEXT) | instid1(VALU_DEP_1)
	s_or_b32 vcc_lo, vcc_lo, s4
	v_sub_f32_e32 v71, v71, v101
	s_delay_alu instid0(VALU_DEP_1) | instskip(SKIP_1) | instid1(VALU_DEP_1)
	v_ldexp_f32 v71, v71, 1
	v_mul_f32_e32 v112, v114, v112
	v_add_f32_e32 v102, v113, v112
	s_delay_alu instid0(VALU_DEP_1) | instskip(NEXT) | instid1(VALU_DEP_1)
	v_sub_f32_e32 v101, v102, v113
	v_sub_f32_e32 v101, v112, v101
	s_delay_alu instid0(VALU_DEP_1) | instskip(NEXT) | instid1(VALU_DEP_1)
	v_add_f32_e32 v71, v71, v101
	v_add_f32_e32 v112, v102, v71
	v_mul_f32_e32 v114, 0x3f317218, v70
	s_delay_alu instid0(VALU_DEP_1) | instskip(NEXT) | instid1(VALU_DEP_1)
	v_fma_f32 v113, 0x3f317218, v70, -v114
	v_fmamk_f32 v70, v70, 0xb102e308, v113
	s_delay_alu instid0(VALU_DEP_1) | instskip(NEXT) | instid1(VALU_DEP_1)
	v_add_f32_e32 v101, v114, v70
	v_add_f32_e32 v113, v101, v112
	s_delay_alu instid0(VALU_DEP_1) | instskip(NEXT) | instid1(VALU_DEP_1)
	v_sub_f32_e32 v115, v113, v101
	v_sub_f32_e32 v116, v113, v115
	;; [unrolled: 1-line block ×3, first 2 shown]
	s_delay_alu instid0(VALU_DEP_1) | instskip(SKIP_1) | instid1(VALU_DEP_4)
	v_dual_sub_f32 v71, v71, v102 :: v_dual_sub_f32 v102, v112, v115
	v_sub_f32_e32 v114, v101, v114
	v_sub_f32_e32 v101, v101, v116
	s_delay_alu instid0(VALU_DEP_1) | instskip(NEXT) | instid1(VALU_DEP_3)
	v_add_f32_e32 v101, v102, v101
	v_sub_f32_e32 v70, v70, v114
	s_delay_alu instid0(VALU_DEP_1) | instskip(NEXT) | instid1(VALU_DEP_1)
	v_add_f32_e32 v112, v70, v71
	v_add_f32_e32 v101, v112, v101
	v_sub_f32_e32 v102, v112, v70
	s_delay_alu instid0(VALU_DEP_1) | instskip(SKIP_1) | instid1(VALU_DEP_2)
	v_dual_add_f32 v114, v113, v101 :: v_dual_sub_f32 v71, v71, v102
	v_sub_f32_e32 v112, v112, v102
	v_sub_f32_e32 v102, v114, v113
	s_delay_alu instid0(VALU_DEP_2) | instskip(NEXT) | instid1(VALU_DEP_1)
	v_sub_f32_e32 v70, v70, v112
	v_add_f32_e32 v70, v71, v70
	s_delay_alu instid0(VALU_DEP_3) | instskip(NEXT) | instid1(VALU_DEP_1)
	v_sub_f32_e32 v71, v101, v102
	v_add_f32_e32 v70, v70, v71
	s_delay_alu instid0(VALU_DEP_1) | instskip(NEXT) | instid1(VALU_DEP_1)
	v_add_f32_e32 v70, v114, v70
	v_cndmask_b32_e32 v68, v70, v68, vcc_lo
	s_delay_alu instid0(VALU_DEP_1) | instskip(NEXT) | instid1(VALU_DEP_1)
	v_add_f32_e32 v68, v69, v68
	v_cvt_f16_f32_e32 v101, v68
	s_delay_alu instid0(VALU_DEP_1)
	v_cvt_f32_f16_e32 v102, v101
	v_mov_b32_e32 v68, v101
.LBB390_212:
	s_or_b32 exec_lo, exec_lo, s3
	s_delay_alu instid0(VALU_DEP_2) | instskip(SKIP_1) | instid1(VALU_DEP_2)
	v_dual_max_f32 v69, v80, v80 :: v_dual_max_f32 v70, v102, v102
	v_cmp_u_f16_e32 vcc_lo, v101, v101
	v_min_f32_e32 v71, v70, v69
	s_delay_alu instid0(VALU_DEP_1) | instskip(NEXT) | instid1(VALU_DEP_1)
	v_dual_max_f32 v69, v70, v69 :: v_dual_cndmask_b32 v70, v71, v102
	v_cndmask_b32_e32 v69, v69, v102, vcc_lo
	s_delay_alu instid0(VALU_DEP_2) | instskip(NEXT) | instid1(VALU_DEP_2)
	v_cndmask_b32_e64 v71, v70, v80, s11
	v_cndmask_b32_e64 v70, v69, v80, s11
	v_mov_b32_e32 v69, v68
	s_delay_alu instid0(VALU_DEP_3) | instskip(NEXT) | instid1(VALU_DEP_3)
	v_cmp_class_f32_e64 s3, v71, 0x1f8
	v_cmp_neq_f32_e32 vcc_lo, v71, v70
	s_delay_alu instid0(VALU_DEP_2) | instskip(NEXT) | instid1(SALU_CYCLE_1)
	s_or_b32 s4, vcc_lo, s3
	s_and_saveexec_b32 s3, s4
	s_cbranch_execz .LBB390_214
; %bb.213:
	v_sub_f32_e32 v69, v71, v70
	s_mov_b32 s4, 0x3e9b6dac
	s_delay_alu instid0(VALU_DEP_1) | instskip(SKIP_1) | instid1(VALU_DEP_2)
	v_mul_f32_e32 v71, 0x3fb8aa3b, v69
	v_cmp_ngt_f32_e32 vcc_lo, 0xc2ce8ed0, v69
	v_fma_f32 v80, 0x3fb8aa3b, v69, -v71
	v_rndne_f32_e32 v101, v71
	s_delay_alu instid0(VALU_DEP_1) | instskip(NEXT) | instid1(VALU_DEP_1)
	v_dual_fmamk_f32 v80, v69, 0x32a5705f, v80 :: v_dual_sub_f32 v71, v71, v101
	v_add_f32_e32 v71, v71, v80
	v_cvt_i32_f32_e32 v80, v101
	s_delay_alu instid0(VALU_DEP_2) | instskip(SKIP_2) | instid1(VALU_DEP_1)
	v_exp_f32_e32 v71, v71
	s_waitcnt_depctr 0xfff
	v_ldexp_f32 v71, v71, v80
	v_cndmask_b32_e32 v71, 0, v71, vcc_lo
	v_cmp_nlt_f32_e32 vcc_lo, 0x42b17218, v69
	s_delay_alu instid0(VALU_DEP_2) | instskip(NEXT) | instid1(VALU_DEP_1)
	v_cndmask_b32_e32 v69, 0x7f800000, v71, vcc_lo
	v_add_f32_e32 v71, 1.0, v69
	s_delay_alu instid0(VALU_DEP_1) | instskip(NEXT) | instid1(VALU_DEP_1)
	v_cvt_f64_f32_e32 v[101:102], v71
	v_frexp_exp_i32_f64_e32 v80, v[101:102]
	v_frexp_mant_f32_e32 v101, v71
	s_delay_alu instid0(VALU_DEP_1) | instskip(SKIP_1) | instid1(VALU_DEP_1)
	v_cmp_gt_f32_e32 vcc_lo, 0x3f2aaaab, v101
	v_add_f32_e32 v101, -1.0, v71
	v_sub_f32_e32 v112, v101, v71
	s_delay_alu instid0(VALU_DEP_1) | instskip(SKIP_1) | instid1(VALU_DEP_1)
	v_add_f32_e32 v112, 1.0, v112
	v_subrev_co_ci_u32_e32 v80, vcc_lo, 0, v80, vcc_lo
	v_sub_nc_u32_e32 v102, 0, v80
	v_cvt_f32_i32_e32 v80, v80
	s_delay_alu instid0(VALU_DEP_2) | instskip(SKIP_1) | instid1(VALU_DEP_2)
	v_ldexp_f32 v71, v71, v102
	v_sub_f32_e32 v101, v69, v101
	v_add_f32_e32 v113, 1.0, v71
	s_delay_alu instid0(VALU_DEP_1) | instskip(NEXT) | instid1(VALU_DEP_1)
	v_dual_add_f32 v101, v101, v112 :: v_dual_add_f32 v112, -1.0, v113
	v_ldexp_f32 v101, v101, v102
	v_add_f32_e32 v102, -1.0, v71
	s_delay_alu instid0(VALU_DEP_3) | instskip(SKIP_1) | instid1(VALU_DEP_3)
	v_sub_f32_e32 v112, v71, v112
	v_cmp_eq_f32_e32 vcc_lo, 0x7f800000, v69
	v_add_f32_e32 v114, 1.0, v102
	s_delay_alu instid0(VALU_DEP_1) | instskip(NEXT) | instid1(VALU_DEP_1)
	v_dual_add_f32 v112, v101, v112 :: v_dual_sub_f32 v71, v71, v114
	v_add_f32_e32 v114, v113, v112
	s_delay_alu instid0(VALU_DEP_2) | instskip(NEXT) | instid1(VALU_DEP_2)
	v_add_f32_e32 v71, v101, v71
	v_rcp_f32_e32 v101, v114
	s_delay_alu instid0(VALU_DEP_1) | instskip(NEXT) | instid1(VALU_DEP_1)
	v_add_f32_e32 v115, v102, v71
	v_sub_f32_e32 v102, v102, v115
	s_waitcnt_depctr 0xfff
	v_dual_mul_f32 v116, v115, v101 :: v_dual_sub_f32 v113, v113, v114
	v_add_f32_e32 v71, v71, v102
	s_delay_alu instid0(VALU_DEP_2) | instskip(NEXT) | instid1(VALU_DEP_1)
	v_dual_mul_f32 v117, v114, v116 :: v_dual_add_f32 v112, v112, v113
	v_fma_f32 v113, v116, v114, -v117
	s_delay_alu instid0(VALU_DEP_1) | instskip(NEXT) | instid1(VALU_DEP_1)
	v_fmac_f32_e32 v113, v116, v112
	v_add_f32_e32 v118, v117, v113
	s_delay_alu instid0(VALU_DEP_1) | instskip(NEXT) | instid1(VALU_DEP_1)
	v_dual_sub_f32 v102, v118, v117 :: v_dual_sub_f32 v119, v115, v118
	v_dual_sub_f32 v102, v102, v113 :: v_dual_sub_f32 v115, v115, v119
	s_delay_alu instid0(VALU_DEP_1) | instskip(NEXT) | instid1(VALU_DEP_1)
	v_sub_f32_e32 v115, v115, v118
	v_add_f32_e32 v71, v71, v115
	s_delay_alu instid0(VALU_DEP_1) | instskip(NEXT) | instid1(VALU_DEP_1)
	v_add_f32_e32 v71, v102, v71
	v_add_f32_e32 v102, v119, v71
	s_delay_alu instid0(VALU_DEP_1) | instskip(SKIP_1) | instid1(VALU_DEP_2)
	v_sub_f32_e32 v118, v119, v102
	v_mul_f32_e32 v113, v101, v102
	v_add_f32_e32 v71, v71, v118
	s_delay_alu instid0(VALU_DEP_2) | instskip(NEXT) | instid1(VALU_DEP_1)
	v_mul_f32_e32 v115, v114, v113
	v_fma_f32 v114, v113, v114, -v115
	s_delay_alu instid0(VALU_DEP_1) | instskip(NEXT) | instid1(VALU_DEP_1)
	v_fmac_f32_e32 v114, v113, v112
	v_add_f32_e32 v112, v115, v114
	s_delay_alu instid0(VALU_DEP_1) | instskip(SKIP_1) | instid1(VALU_DEP_1)
	v_sub_f32_e32 v115, v112, v115
	v_sub_f32_e32 v117, v102, v112
	;; [unrolled: 1-line block ×3, first 2 shown]
	s_delay_alu instid0(VALU_DEP_1) | instskip(NEXT) | instid1(VALU_DEP_4)
	v_sub_f32_e32 v102, v102, v112
	v_sub_f32_e32 v112, v115, v114
	s_delay_alu instid0(VALU_DEP_2) | instskip(NEXT) | instid1(VALU_DEP_1)
	v_dual_add_f32 v71, v71, v102 :: v_dual_add_f32 v102, v116, v113
	v_dual_add_f32 v71, v112, v71 :: v_dual_sub_f32 v112, v102, v116
	s_delay_alu instid0(VALU_DEP_1) | instskip(NEXT) | instid1(VALU_DEP_2)
	v_add_f32_e32 v71, v117, v71
	v_sub_f32_e32 v112, v113, v112
	s_delay_alu instid0(VALU_DEP_2) | instskip(NEXT) | instid1(VALU_DEP_1)
	v_mul_f32_e32 v71, v101, v71
	v_add_f32_e32 v71, v112, v71
	s_delay_alu instid0(VALU_DEP_1) | instskip(NEXT) | instid1(VALU_DEP_1)
	v_add_f32_e32 v101, v102, v71
	v_mul_f32_e32 v112, v101, v101
	s_delay_alu instid0(VALU_DEP_1) | instskip(SKIP_2) | instid1(VALU_DEP_3)
	v_fmaak_f32 v113, s4, v112, 0x3ecc95a3
	v_mul_f32_e32 v114, v101, v112
	v_cmp_gt_f32_e64 s4, 0x33800000, |v69|
	v_fmaak_f32 v112, v112, v113, 0x3f2aaada
	v_ldexp_f32 v113, v101, 1
	v_sub_f32_e32 v101, v101, v102
	s_delay_alu instid0(VALU_DEP_4) | instskip(NEXT) | instid1(VALU_DEP_3)
	s_or_b32 vcc_lo, vcc_lo, s4
	v_mul_f32_e32 v112, v114, v112
	s_delay_alu instid0(VALU_DEP_2) | instskip(NEXT) | instid1(VALU_DEP_2)
	v_dual_mul_f32 v114, 0x3f317218, v80 :: v_dual_sub_f32 v71, v71, v101
	v_add_f32_e32 v102, v113, v112
	s_delay_alu instid0(VALU_DEP_2) | instskip(NEXT) | instid1(VALU_DEP_2)
	v_ldexp_f32 v71, v71, 1
	v_sub_f32_e32 v101, v102, v113
	s_delay_alu instid0(VALU_DEP_4) | instskip(NEXT) | instid1(VALU_DEP_2)
	v_fma_f32 v113, 0x3f317218, v80, -v114
	v_sub_f32_e32 v101, v112, v101
	s_delay_alu instid0(VALU_DEP_1) | instskip(NEXT) | instid1(VALU_DEP_1)
	v_dual_fmamk_f32 v80, v80, 0xb102e308, v113 :: v_dual_add_f32 v71, v71, v101
	v_add_f32_e32 v112, v102, v71
	s_delay_alu instid0(VALU_DEP_1) | instskip(NEXT) | instid1(VALU_DEP_1)
	v_sub_f32_e32 v102, v112, v102
	v_sub_f32_e32 v71, v71, v102
	s_delay_alu instid0(VALU_DEP_4) | instskip(NEXT) | instid1(VALU_DEP_1)
	v_add_f32_e32 v101, v114, v80
	v_add_f32_e32 v113, v101, v112
	v_sub_f32_e32 v114, v101, v114
	s_delay_alu instid0(VALU_DEP_1) | instskip(NEXT) | instid1(VALU_DEP_1)
	v_dual_sub_f32 v80, v80, v114 :: v_dual_sub_f32 v115, v113, v101
	v_sub_f32_e32 v116, v113, v115
	v_sub_f32_e32 v102, v112, v115
	s_delay_alu instid0(VALU_DEP_2) | instskip(NEXT) | instid1(VALU_DEP_1)
	v_dual_add_f32 v112, v80, v71 :: v_dual_sub_f32 v101, v101, v116
	v_dual_add_f32 v101, v102, v101 :: v_dual_sub_f32 v102, v112, v80
	s_delay_alu instid0(VALU_DEP_1) | instskip(NEXT) | instid1(VALU_DEP_2)
	v_add_f32_e32 v101, v112, v101
	v_sub_f32_e32 v112, v112, v102
	s_delay_alu instid0(VALU_DEP_2) | instskip(NEXT) | instid1(VALU_DEP_2)
	v_dual_add_f32 v114, v113, v101 :: v_dual_sub_f32 v71, v71, v102
	v_sub_f32_e32 v80, v80, v112
	s_delay_alu instid0(VALU_DEP_1) | instskip(NEXT) | instid1(VALU_DEP_1)
	v_dual_sub_f32 v102, v114, v113 :: v_dual_add_f32 v71, v71, v80
	v_sub_f32_e32 v80, v101, v102
	s_delay_alu instid0(VALU_DEP_1) | instskip(NEXT) | instid1(VALU_DEP_1)
	v_add_f32_e32 v71, v71, v80
	v_add_f32_e32 v71, v114, v71
	s_delay_alu instid0(VALU_DEP_1) | instskip(NEXT) | instid1(VALU_DEP_1)
	v_cndmask_b32_e32 v69, v71, v69, vcc_lo
	v_add_f32_e32 v69, v70, v69
	s_delay_alu instid0(VALU_DEP_1) | instskip(NEXT) | instid1(VALU_DEP_1)
	v_cvt_f16_f32_e32 v101, v69
	v_cvt_f32_f16_e32 v102, v101
	v_mov_b32_e32 v69, v101
.LBB390_214:
	s_or_b32 exec_lo, exec_lo, s3
	s_delay_alu instid0(VALU_DEP_2) | instskip(SKIP_1) | instid1(VALU_DEP_2)
	v_dual_max_f32 v70, v81, v81 :: v_dual_max_f32 v71, v102, v102
	v_cmp_u_f16_e32 vcc_lo, v101, v101
	v_min_f32_e32 v80, v71, v70
	v_max_f32_e32 v70, v71, v70
	s_delay_alu instid0(VALU_DEP_2) | instskip(NEXT) | instid1(VALU_DEP_2)
	v_cndmask_b32_e32 v71, v80, v102, vcc_lo
	v_cndmask_b32_e32 v70, v70, v102, vcc_lo
	s_delay_alu instid0(VALU_DEP_2) | instskip(NEXT) | instid1(VALU_DEP_2)
	v_cndmask_b32_e64 v80, v71, v81, s12
	v_cndmask_b32_e64 v71, v70, v81, s12
	v_mov_b32_e32 v70, v69
	s_delay_alu instid0(VALU_DEP_3) | instskip(NEXT) | instid1(VALU_DEP_3)
	v_cmp_class_f32_e64 s3, v80, 0x1f8
	v_cmp_neq_f32_e32 vcc_lo, v80, v71
	s_delay_alu instid0(VALU_DEP_2) | instskip(NEXT) | instid1(SALU_CYCLE_1)
	s_or_b32 s4, vcc_lo, s3
	s_and_saveexec_b32 s3, s4
	s_cbranch_execz .LBB390_216
; %bb.215:
	v_sub_f32_e32 v70, v80, v71
	s_mov_b32 s4, 0x3e9b6dac
	s_delay_alu instid0(VALU_DEP_1) | instskip(SKIP_1) | instid1(VALU_DEP_2)
	v_mul_f32_e32 v80, 0x3fb8aa3b, v70
	v_cmp_ngt_f32_e32 vcc_lo, 0xc2ce8ed0, v70
	v_fma_f32 v81, 0x3fb8aa3b, v70, -v80
	v_rndne_f32_e32 v101, v80
	s_delay_alu instid0(VALU_DEP_1) | instskip(NEXT) | instid1(VALU_DEP_1)
	v_dual_fmamk_f32 v81, v70, 0x32a5705f, v81 :: v_dual_sub_f32 v80, v80, v101
	v_add_f32_e32 v80, v80, v81
	v_cvt_i32_f32_e32 v81, v101
	s_delay_alu instid0(VALU_DEP_2) | instskip(SKIP_2) | instid1(VALU_DEP_1)
	v_exp_f32_e32 v80, v80
	s_waitcnt_depctr 0xfff
	v_ldexp_f32 v80, v80, v81
	v_cndmask_b32_e32 v80, 0, v80, vcc_lo
	v_cmp_nlt_f32_e32 vcc_lo, 0x42b17218, v70
	s_delay_alu instid0(VALU_DEP_2) | instskip(NEXT) | instid1(VALU_DEP_1)
	v_cndmask_b32_e32 v70, 0x7f800000, v80, vcc_lo
	v_add_f32_e32 v101, 1.0, v70
	s_delay_alu instid0(VALU_DEP_1) | instskip(NEXT) | instid1(VALU_DEP_1)
	v_cvt_f64_f32_e32 v[80:81], v101
	v_frexp_exp_i32_f64_e32 v80, v[80:81]
	v_frexp_mant_f32_e32 v81, v101
	s_delay_alu instid0(VALU_DEP_1) | instskip(SKIP_1) | instid1(VALU_DEP_1)
	v_cmp_gt_f32_e32 vcc_lo, 0x3f2aaaab, v81
	v_add_f32_e32 v81, -1.0, v101
	v_sub_f32_e32 v112, v81, v101
	s_delay_alu instid0(VALU_DEP_1) | instskip(SKIP_1) | instid1(VALU_DEP_1)
	v_dual_sub_f32 v81, v70, v81 :: v_dual_add_f32 v112, 1.0, v112
	v_subrev_co_ci_u32_e32 v80, vcc_lo, 0, v80, vcc_lo
	v_sub_nc_u32_e32 v102, 0, v80
	v_cvt_f32_i32_e32 v80, v80
	s_delay_alu instid0(VALU_DEP_2) | instskip(NEXT) | instid1(VALU_DEP_1)
	v_ldexp_f32 v101, v101, v102
	v_add_f32_e32 v113, 1.0, v101
	s_delay_alu instid0(VALU_DEP_1) | instskip(NEXT) | instid1(VALU_DEP_1)
	v_dual_add_f32 v81, v81, v112 :: v_dual_add_f32 v112, -1.0, v113
	v_ldexp_f32 v81, v81, v102
	v_add_f32_e32 v102, -1.0, v101
	s_delay_alu instid0(VALU_DEP_3) | instskip(NEXT) | instid1(VALU_DEP_2)
	v_sub_f32_e32 v112, v101, v112
	v_add_f32_e32 v114, 1.0, v102
	s_delay_alu instid0(VALU_DEP_2) | instskip(NEXT) | instid1(VALU_DEP_2)
	v_add_f32_e32 v112, v81, v112
	v_sub_f32_e32 v101, v101, v114
	v_cmp_eq_f32_e32 vcc_lo, 0x7f800000, v70
	s_delay_alu instid0(VALU_DEP_3) | instskip(NEXT) | instid1(VALU_DEP_3)
	v_add_f32_e32 v114, v113, v112
	v_add_f32_e32 v81, v81, v101
	s_delay_alu instid0(VALU_DEP_2) | instskip(SKIP_1) | instid1(VALU_DEP_2)
	v_rcp_f32_e32 v101, v114
	v_sub_f32_e32 v113, v113, v114
	v_add_f32_e32 v115, v102, v81
	s_delay_alu instid0(VALU_DEP_2) | instskip(NEXT) | instid1(VALU_DEP_2)
	v_add_f32_e32 v112, v112, v113
	v_sub_f32_e32 v102, v102, v115
	s_waitcnt_depctr 0xfff
	v_dual_mul_f32 v116, v115, v101 :: v_dual_add_f32 v81, v81, v102
	s_delay_alu instid0(VALU_DEP_1) | instskip(NEXT) | instid1(VALU_DEP_1)
	v_mul_f32_e32 v117, v114, v116
	v_fma_f32 v113, v116, v114, -v117
	s_delay_alu instid0(VALU_DEP_1) | instskip(NEXT) | instid1(VALU_DEP_1)
	v_fmac_f32_e32 v113, v116, v112
	v_add_f32_e32 v118, v117, v113
	s_delay_alu instid0(VALU_DEP_1) | instskip(NEXT) | instid1(VALU_DEP_1)
	v_sub_f32_e32 v119, v115, v118
	v_sub_f32_e32 v115, v115, v119
	s_delay_alu instid0(VALU_DEP_1) | instskip(NEXT) | instid1(VALU_DEP_1)
	v_dual_sub_f32 v115, v115, v118 :: v_dual_sub_f32 v102, v118, v117
	v_dual_add_f32 v81, v81, v115 :: v_dual_sub_f32 v102, v102, v113
	s_delay_alu instid0(VALU_DEP_1) | instskip(NEXT) | instid1(VALU_DEP_1)
	v_add_f32_e32 v81, v102, v81
	v_add_f32_e32 v102, v119, v81
	s_delay_alu instid0(VALU_DEP_1) | instskip(NEXT) | instid1(VALU_DEP_1)
	v_mul_f32_e32 v113, v101, v102
	v_dual_sub_f32 v118, v119, v102 :: v_dual_mul_f32 v115, v114, v113
	s_delay_alu instid0(VALU_DEP_1) | instskip(NEXT) | instid1(VALU_DEP_1)
	v_fma_f32 v114, v113, v114, -v115
	v_fmac_f32_e32 v114, v113, v112
	s_delay_alu instid0(VALU_DEP_3) | instskip(NEXT) | instid1(VALU_DEP_2)
	v_add_f32_e32 v81, v81, v118
	v_add_f32_e32 v112, v115, v114
	s_delay_alu instid0(VALU_DEP_1) | instskip(NEXT) | instid1(VALU_DEP_1)
	v_sub_f32_e32 v117, v102, v112
	v_dual_sub_f32 v115, v112, v115 :: v_dual_sub_f32 v102, v102, v117
	s_delay_alu instid0(VALU_DEP_1) | instskip(NEXT) | instid1(VALU_DEP_2)
	v_sub_f32_e32 v102, v102, v112
	v_sub_f32_e32 v112, v115, v114
	s_delay_alu instid0(VALU_DEP_2) | instskip(NEXT) | instid1(VALU_DEP_1)
	v_dual_add_f32 v81, v81, v102 :: v_dual_add_f32 v102, v116, v113
	v_dual_add_f32 v81, v112, v81 :: v_dual_sub_f32 v112, v102, v116
	s_delay_alu instid0(VALU_DEP_1) | instskip(NEXT) | instid1(VALU_DEP_2)
	v_add_f32_e32 v81, v117, v81
	v_sub_f32_e32 v112, v113, v112
	s_delay_alu instid0(VALU_DEP_2) | instskip(NEXT) | instid1(VALU_DEP_1)
	v_mul_f32_e32 v81, v101, v81
	v_add_f32_e32 v81, v112, v81
	s_delay_alu instid0(VALU_DEP_1) | instskip(NEXT) | instid1(VALU_DEP_1)
	v_add_f32_e32 v101, v102, v81
	v_mul_f32_e32 v112, v101, v101
	s_delay_alu instid0(VALU_DEP_1) | instskip(SKIP_2) | instid1(VALU_DEP_3)
	v_fmaak_f32 v113, s4, v112, 0x3ecc95a3
	v_mul_f32_e32 v114, v101, v112
	v_cmp_gt_f32_e64 s4, 0x33800000, |v70|
	v_fmaak_f32 v112, v112, v113, 0x3f2aaada
	v_ldexp_f32 v113, v101, 1
	v_sub_f32_e32 v101, v101, v102
	s_delay_alu instid0(VALU_DEP_4) | instskip(NEXT) | instid1(VALU_DEP_1)
	s_or_b32 vcc_lo, vcc_lo, s4
	v_dual_mul_f32 v112, v114, v112 :: v_dual_sub_f32 v81, v81, v101
	s_delay_alu instid0(VALU_DEP_1) | instskip(SKIP_1) | instid1(VALU_DEP_3)
	v_add_f32_e32 v102, v113, v112
	v_mul_f32_e32 v114, 0x3f317218, v80
	v_ldexp_f32 v81, v81, 1
	s_delay_alu instid0(VALU_DEP_3) | instskip(NEXT) | instid1(VALU_DEP_3)
	v_sub_f32_e32 v101, v102, v113
	v_fma_f32 v113, 0x3f317218, v80, -v114
	s_delay_alu instid0(VALU_DEP_2) | instskip(NEXT) | instid1(VALU_DEP_1)
	v_sub_f32_e32 v101, v112, v101
	v_dual_fmamk_f32 v80, v80, 0xb102e308, v113 :: v_dual_add_f32 v81, v81, v101
	s_delay_alu instid0(VALU_DEP_1) | instskip(NEXT) | instid1(VALU_DEP_2)
	v_add_f32_e32 v101, v114, v80
	v_add_f32_e32 v112, v102, v81
	s_delay_alu instid0(VALU_DEP_2) | instskip(NEXT) | instid1(VALU_DEP_1)
	v_sub_f32_e32 v114, v101, v114
	v_dual_add_f32 v113, v101, v112 :: v_dual_sub_f32 v80, v80, v114
	s_delay_alu instid0(VALU_DEP_1) | instskip(NEXT) | instid1(VALU_DEP_1)
	v_sub_f32_e32 v115, v113, v101
	v_sub_f32_e32 v116, v113, v115
	s_delay_alu instid0(VALU_DEP_1) | instskip(NEXT) | instid1(VALU_DEP_1)
	v_dual_sub_f32 v101, v101, v116 :: v_dual_sub_f32 v102, v112, v102
	v_dual_sub_f32 v81, v81, v102 :: v_dual_sub_f32 v102, v112, v115
	s_delay_alu instid0(VALU_DEP_1) | instskip(NEXT) | instid1(VALU_DEP_1)
	v_add_f32_e32 v112, v80, v81
	v_dual_add_f32 v101, v102, v101 :: v_dual_sub_f32 v102, v112, v80
	s_delay_alu instid0(VALU_DEP_1) | instskip(NEXT) | instid1(VALU_DEP_2)
	v_sub_f32_e32 v81, v81, v102
	v_add_f32_e32 v101, v112, v101
	v_sub_f32_e32 v112, v112, v102
	s_delay_alu instid0(VALU_DEP_2) | instskip(NEXT) | instid1(VALU_DEP_1)
	v_add_f32_e32 v114, v113, v101
	v_sub_f32_e32 v102, v114, v113
	s_delay_alu instid0(VALU_DEP_3) | instskip(NEXT) | instid1(VALU_DEP_1)
	v_sub_f32_e32 v80, v80, v112
	v_add_f32_e32 v80, v81, v80
	s_delay_alu instid0(VALU_DEP_3) | instskip(NEXT) | instid1(VALU_DEP_1)
	v_sub_f32_e32 v81, v101, v102
	v_add_f32_e32 v80, v80, v81
	s_delay_alu instid0(VALU_DEP_1) | instskip(NEXT) | instid1(VALU_DEP_1)
	v_add_f32_e32 v80, v114, v80
	v_cndmask_b32_e32 v70, v80, v70, vcc_lo
	s_delay_alu instid0(VALU_DEP_1) | instskip(NEXT) | instid1(VALU_DEP_1)
	v_add_f32_e32 v70, v71, v70
	v_cvt_f16_f32_e32 v101, v70
	s_delay_alu instid0(VALU_DEP_1)
	v_cvt_f32_f16_e32 v102, v101
	v_mov_b32_e32 v70, v101
.LBB390_216:
	s_or_b32 exec_lo, exec_lo, s3
	v_max_f32_e32 v71, v82, v82
	s_delay_alu instid0(VALU_DEP_3) | instskip(SKIP_1) | instid1(VALU_DEP_2)
	v_max_f32_e32 v80, v102, v102
	v_cmp_u_f16_e32 vcc_lo, v101, v101
	v_min_f32_e32 v81, v80, v71
	s_delay_alu instid0(VALU_DEP_1) | instskip(NEXT) | instid1(VALU_DEP_1)
	v_dual_max_f32 v71, v80, v71 :: v_dual_cndmask_b32 v80, v81, v102
	v_cndmask_b32_e32 v71, v71, v102, vcc_lo
	s_delay_alu instid0(VALU_DEP_2) | instskip(NEXT) | instid1(VALU_DEP_2)
	v_cndmask_b32_e64 v81, v80, v82, s13
	v_cndmask_b32_e64 v80, v71, v82, s13
	v_mov_b32_e32 v71, v70
	s_delay_alu instid0(VALU_DEP_3) | instskip(NEXT) | instid1(VALU_DEP_3)
	v_cmp_class_f32_e64 s3, v81, 0x1f8
	v_cmp_neq_f32_e32 vcc_lo, v81, v80
	s_delay_alu instid0(VALU_DEP_2) | instskip(NEXT) | instid1(SALU_CYCLE_1)
	s_or_b32 s4, vcc_lo, s3
	s_and_saveexec_b32 s3, s4
	s_cbranch_execz .LBB390_218
; %bb.217:
	v_sub_f32_e32 v71, v81, v80
	s_mov_b32 s4, 0x3e9b6dac
	s_delay_alu instid0(VALU_DEP_1) | instskip(SKIP_1) | instid1(VALU_DEP_2)
	v_mul_f32_e32 v81, 0x3fb8aa3b, v71
	v_cmp_ngt_f32_e32 vcc_lo, 0xc2ce8ed0, v71
	v_fma_f32 v82, 0x3fb8aa3b, v71, -v81
	v_rndne_f32_e32 v101, v81
	s_delay_alu instid0(VALU_DEP_1) | instskip(NEXT) | instid1(VALU_DEP_1)
	v_dual_fmamk_f32 v82, v71, 0x32a5705f, v82 :: v_dual_sub_f32 v81, v81, v101
	v_add_f32_e32 v81, v81, v82
	v_cvt_i32_f32_e32 v82, v101
	s_delay_alu instid0(VALU_DEP_2) | instskip(SKIP_2) | instid1(VALU_DEP_1)
	v_exp_f32_e32 v81, v81
	s_waitcnt_depctr 0xfff
	v_ldexp_f32 v81, v81, v82
	v_cndmask_b32_e32 v81, 0, v81, vcc_lo
	v_cmp_nlt_f32_e32 vcc_lo, 0x42b17218, v71
	s_delay_alu instid0(VALU_DEP_2) | instskip(NEXT) | instid1(VALU_DEP_1)
	v_cndmask_b32_e32 v71, 0x7f800000, v81, vcc_lo
	v_add_f32_e32 v101, 1.0, v71
	s_delay_alu instid0(VALU_DEP_1) | instskip(NEXT) | instid1(VALU_DEP_1)
	v_cvt_f64_f32_e32 v[81:82], v101
	v_frexp_exp_i32_f64_e32 v81, v[81:82]
	v_frexp_mant_f32_e32 v82, v101
	s_delay_alu instid0(VALU_DEP_1) | instskip(SKIP_1) | instid1(VALU_DEP_1)
	v_cmp_gt_f32_e32 vcc_lo, 0x3f2aaaab, v82
	v_add_f32_e32 v82, -1.0, v101
	v_sub_f32_e32 v112, v82, v101
	v_sub_f32_e32 v82, v71, v82
	s_delay_alu instid0(VALU_DEP_2) | instskip(NEXT) | instid1(VALU_DEP_1)
	v_add_f32_e32 v112, 1.0, v112
	v_add_f32_e32 v82, v82, v112
	v_subrev_co_ci_u32_e32 v81, vcc_lo, 0, v81, vcc_lo
	v_cmp_eq_f32_e32 vcc_lo, 0x7f800000, v71
	s_delay_alu instid0(VALU_DEP_2) | instskip(SKIP_1) | instid1(VALU_DEP_2)
	v_sub_nc_u32_e32 v102, 0, v81
	v_cvt_f32_i32_e32 v81, v81
	v_ldexp_f32 v101, v101, v102
	v_ldexp_f32 v82, v82, v102
	s_delay_alu instid0(VALU_DEP_2) | instskip(SKIP_1) | instid1(VALU_DEP_2)
	v_add_f32_e32 v113, 1.0, v101
	v_add_f32_e32 v102, -1.0, v101
	v_add_f32_e32 v112, -1.0, v113
	s_delay_alu instid0(VALU_DEP_2) | instskip(NEXT) | instid1(VALU_DEP_2)
	v_add_f32_e32 v114, 1.0, v102
	v_sub_f32_e32 v112, v101, v112
	s_delay_alu instid0(VALU_DEP_1) | instskip(NEXT) | instid1(VALU_DEP_1)
	v_dual_sub_f32 v101, v101, v114 :: v_dual_add_f32 v112, v82, v112
	v_add_f32_e32 v82, v82, v101
	s_delay_alu instid0(VALU_DEP_1) | instskip(NEXT) | instid1(VALU_DEP_1)
	v_dual_add_f32 v114, v113, v112 :: v_dual_add_f32 v115, v102, v82
	v_rcp_f32_e32 v101, v114
	v_sub_f32_e32 v113, v113, v114
	s_delay_alu instid0(VALU_DEP_1) | instskip(SKIP_2) | instid1(VALU_DEP_1)
	v_add_f32_e32 v112, v112, v113
	s_waitcnt_depctr 0xfff
	v_mul_f32_e32 v116, v115, v101
	v_mul_f32_e32 v117, v114, v116
	s_delay_alu instid0(VALU_DEP_1) | instskip(NEXT) | instid1(VALU_DEP_1)
	v_fma_f32 v113, v116, v114, -v117
	v_fmac_f32_e32 v113, v116, v112
	s_delay_alu instid0(VALU_DEP_1) | instskip(NEXT) | instid1(VALU_DEP_1)
	v_add_f32_e32 v118, v117, v113
	v_dual_sub_f32 v102, v102, v115 :: v_dual_sub_f32 v119, v115, v118
	s_delay_alu instid0(VALU_DEP_1) | instskip(NEXT) | instid1(VALU_DEP_1)
	v_sub_f32_e32 v115, v115, v119
	v_sub_f32_e32 v115, v115, v118
	s_delay_alu instid0(VALU_DEP_3) | instskip(SKIP_1) | instid1(VALU_DEP_2)
	v_add_f32_e32 v82, v82, v102
	v_sub_f32_e32 v102, v118, v117
	v_add_f32_e32 v82, v82, v115
	s_delay_alu instid0(VALU_DEP_2) | instskip(NEXT) | instid1(VALU_DEP_1)
	v_sub_f32_e32 v102, v102, v113
	v_add_f32_e32 v82, v102, v82
	s_delay_alu instid0(VALU_DEP_1) | instskip(NEXT) | instid1(VALU_DEP_1)
	v_add_f32_e32 v102, v119, v82
	v_mul_f32_e32 v113, v101, v102
	s_delay_alu instid0(VALU_DEP_1) | instskip(NEXT) | instid1(VALU_DEP_1)
	v_dual_mul_f32 v115, v114, v113 :: v_dual_sub_f32 v118, v119, v102
	v_fma_f32 v114, v113, v114, -v115
	s_delay_alu instid0(VALU_DEP_2) | instskip(NEXT) | instid1(VALU_DEP_2)
	v_add_f32_e32 v82, v82, v118
	v_fmac_f32_e32 v114, v113, v112
	s_delay_alu instid0(VALU_DEP_1) | instskip(NEXT) | instid1(VALU_DEP_1)
	v_add_f32_e32 v112, v115, v114
	v_sub_f32_e32 v117, v102, v112
	s_delay_alu instid0(VALU_DEP_1) | instskip(NEXT) | instid1(VALU_DEP_1)
	v_dual_sub_f32 v115, v112, v115 :: v_dual_sub_f32 v102, v102, v117
	v_sub_f32_e32 v102, v102, v112
	s_delay_alu instid0(VALU_DEP_2) | instskip(NEXT) | instid1(VALU_DEP_2)
	v_sub_f32_e32 v112, v115, v114
	v_add_f32_e32 v82, v82, v102
	v_add_f32_e32 v102, v116, v113
	s_delay_alu instid0(VALU_DEP_2) | instskip(NEXT) | instid1(VALU_DEP_2)
	v_add_f32_e32 v82, v112, v82
	v_sub_f32_e32 v112, v102, v116
	s_delay_alu instid0(VALU_DEP_2) | instskip(NEXT) | instid1(VALU_DEP_2)
	v_add_f32_e32 v82, v117, v82
	v_sub_f32_e32 v112, v113, v112
	s_delay_alu instid0(VALU_DEP_2) | instskip(NEXT) | instid1(VALU_DEP_1)
	v_mul_f32_e32 v82, v101, v82
	v_add_f32_e32 v82, v112, v82
	s_delay_alu instid0(VALU_DEP_1) | instskip(NEXT) | instid1(VALU_DEP_1)
	v_add_f32_e32 v101, v102, v82
	v_mul_f32_e32 v112, v101, v101
	s_delay_alu instid0(VALU_DEP_1) | instskip(SKIP_2) | instid1(VALU_DEP_3)
	v_fmaak_f32 v113, s4, v112, 0x3ecc95a3
	v_mul_f32_e32 v114, v101, v112
	v_cmp_gt_f32_e64 s4, 0x33800000, |v71|
	v_fmaak_f32 v112, v112, v113, 0x3f2aaada
	v_ldexp_f32 v113, v101, 1
	v_sub_f32_e32 v101, v101, v102
	s_delay_alu instid0(VALU_DEP_4) | instskip(NEXT) | instid1(VALU_DEP_3)
	s_or_b32 vcc_lo, vcc_lo, s4
	v_mul_f32_e32 v112, v114, v112
	v_mul_f32_e32 v114, 0x3f317218, v81
	s_delay_alu instid0(VALU_DEP_3) | instskip(NEXT) | instid1(VALU_DEP_3)
	v_sub_f32_e32 v82, v82, v101
	v_add_f32_e32 v102, v113, v112
	s_delay_alu instid0(VALU_DEP_2) | instskip(NEXT) | instid1(VALU_DEP_2)
	v_ldexp_f32 v82, v82, 1
	v_sub_f32_e32 v101, v102, v113
	v_fma_f32 v113, 0x3f317218, v81, -v114
	s_delay_alu instid0(VALU_DEP_2) | instskip(NEXT) | instid1(VALU_DEP_1)
	v_sub_f32_e32 v101, v112, v101
	v_dual_fmamk_f32 v81, v81, 0xb102e308, v113 :: v_dual_add_f32 v82, v82, v101
	s_delay_alu instid0(VALU_DEP_1) | instskip(NEXT) | instid1(VALU_DEP_2)
	v_add_f32_e32 v101, v114, v81
	v_add_f32_e32 v112, v102, v82
	s_delay_alu instid0(VALU_DEP_2) | instskip(NEXT) | instid1(VALU_DEP_2)
	v_sub_f32_e32 v114, v101, v114
	v_dual_add_f32 v113, v101, v112 :: v_dual_sub_f32 v102, v112, v102
	s_delay_alu instid0(VALU_DEP_2) | instskip(NEXT) | instid1(VALU_DEP_2)
	v_sub_f32_e32 v81, v81, v114
	v_dual_sub_f32 v115, v113, v101 :: v_dual_sub_f32 v82, v82, v102
	s_delay_alu instid0(VALU_DEP_1) | instskip(SKIP_1) | instid1(VALU_DEP_3)
	v_sub_f32_e32 v116, v113, v115
	v_sub_f32_e32 v102, v112, v115
	v_add_f32_e32 v112, v81, v82
	s_delay_alu instid0(VALU_DEP_3) | instskip(NEXT) | instid1(VALU_DEP_1)
	v_sub_f32_e32 v101, v101, v116
	v_add_f32_e32 v101, v102, v101
	s_delay_alu instid0(VALU_DEP_3) | instskip(NEXT) | instid1(VALU_DEP_2)
	v_sub_f32_e32 v102, v112, v81
	v_add_f32_e32 v101, v112, v101
	s_delay_alu instid0(VALU_DEP_2) | instskip(SKIP_1) | instid1(VALU_DEP_3)
	v_sub_f32_e32 v112, v112, v102
	v_sub_f32_e32 v82, v82, v102
	v_add_f32_e32 v114, v113, v101
	s_delay_alu instid0(VALU_DEP_1) | instskip(NEXT) | instid1(VALU_DEP_1)
	v_dual_sub_f32 v81, v81, v112 :: v_dual_sub_f32 v102, v114, v113
	v_dual_add_f32 v81, v82, v81 :: v_dual_sub_f32 v82, v101, v102
	s_delay_alu instid0(VALU_DEP_1) | instskip(NEXT) | instid1(VALU_DEP_1)
	v_add_f32_e32 v81, v81, v82
	v_add_f32_e32 v81, v114, v81
	s_delay_alu instid0(VALU_DEP_1) | instskip(NEXT) | instid1(VALU_DEP_1)
	v_cndmask_b32_e32 v71, v81, v71, vcc_lo
	v_add_f32_e32 v71, v80, v71
	s_delay_alu instid0(VALU_DEP_1) | instskip(NEXT) | instid1(VALU_DEP_1)
	v_cvt_f16_f32_e32 v101, v71
	v_mov_b32_e32 v71, v101
	v_cvt_f32_f16_e32 v102, v101
.LBB390_218:
	s_or_b32 exec_lo, exec_lo, s3
	s_delay_alu instid0(VALU_DEP_1) | instskip(SKIP_1) | instid1(VALU_DEP_2)
	v_dual_max_f32 v80, v83, v83 :: v_dual_max_f32 v81, v102, v102
	v_cmp_u_f16_e32 vcc_lo, v101, v101
	v_min_f32_e32 v82, v81, v80
	s_delay_alu instid0(VALU_DEP_1) | instskip(NEXT) | instid1(VALU_DEP_1)
	v_dual_max_f32 v80, v81, v80 :: v_dual_cndmask_b32 v81, v82, v102
	v_cndmask_b32_e32 v80, v80, v102, vcc_lo
	s_delay_alu instid0(VALU_DEP_2) | instskip(NEXT) | instid1(VALU_DEP_2)
	v_cndmask_b32_e64 v82, v81, v83, s14
	v_cndmask_b32_e64 v81, v80, v83, s14
	v_mov_b32_e32 v80, v71
	s_delay_alu instid0(VALU_DEP_3) | instskip(NEXT) | instid1(VALU_DEP_3)
	v_cmp_class_f32_e64 s3, v82, 0x1f8
	v_cmp_neq_f32_e32 vcc_lo, v82, v81
	s_delay_alu instid0(VALU_DEP_2) | instskip(NEXT) | instid1(SALU_CYCLE_1)
	s_or_b32 s4, vcc_lo, s3
	s_and_saveexec_b32 s3, s4
	s_cbranch_execz .LBB390_220
; %bb.219:
	v_sub_f32_e32 v80, v82, v81
	s_mov_b32 s4, 0x3e9b6dac
	s_delay_alu instid0(VALU_DEP_1) | instskip(SKIP_1) | instid1(VALU_DEP_2)
	v_mul_f32_e32 v82, 0x3fb8aa3b, v80
	v_cmp_ngt_f32_e32 vcc_lo, 0xc2ce8ed0, v80
	v_fma_f32 v83, 0x3fb8aa3b, v80, -v82
	v_rndne_f32_e32 v101, v82
	s_delay_alu instid0(VALU_DEP_1) | instskip(NEXT) | instid1(VALU_DEP_1)
	v_dual_fmamk_f32 v83, v80, 0x32a5705f, v83 :: v_dual_sub_f32 v82, v82, v101
	v_add_f32_e32 v82, v82, v83
	v_cvt_i32_f32_e32 v83, v101
	s_delay_alu instid0(VALU_DEP_2) | instskip(SKIP_2) | instid1(VALU_DEP_1)
	v_exp_f32_e32 v82, v82
	s_waitcnt_depctr 0xfff
	v_ldexp_f32 v82, v82, v83
	v_cndmask_b32_e32 v82, 0, v82, vcc_lo
	v_cmp_nlt_f32_e32 vcc_lo, 0x42b17218, v80
	s_delay_alu instid0(VALU_DEP_2) | instskip(NEXT) | instid1(VALU_DEP_1)
	v_cndmask_b32_e32 v80, 0x7f800000, v82, vcc_lo
	v_add_f32_e32 v101, 1.0, v80
	s_delay_alu instid0(VALU_DEP_1) | instskip(NEXT) | instid1(VALU_DEP_1)
	v_cvt_f64_f32_e32 v[82:83], v101
	v_frexp_exp_i32_f64_e32 v82, v[82:83]
	v_frexp_mant_f32_e32 v83, v101
	s_delay_alu instid0(VALU_DEP_1) | instskip(SKIP_1) | instid1(VALU_DEP_1)
	v_cmp_gt_f32_e32 vcc_lo, 0x3f2aaaab, v83
	v_add_f32_e32 v83, -1.0, v101
	v_sub_f32_e32 v112, v83, v101
	s_delay_alu instid0(VALU_DEP_1) | instskip(SKIP_1) | instid1(VALU_DEP_1)
	v_add_f32_e32 v112, 1.0, v112
	v_subrev_co_ci_u32_e32 v82, vcc_lo, 0, v82, vcc_lo
	v_sub_nc_u32_e32 v102, 0, v82
	v_cvt_f32_i32_e32 v82, v82
	s_delay_alu instid0(VALU_DEP_2) | instskip(NEXT) | instid1(VALU_DEP_1)
	v_ldexp_f32 v101, v101, v102
	v_add_f32_e32 v113, 1.0, v101
	v_sub_f32_e32 v83, v80, v83
	v_cmp_eq_f32_e32 vcc_lo, 0x7f800000, v80
	s_delay_alu instid0(VALU_DEP_2) | instskip(NEXT) | instid1(VALU_DEP_1)
	v_add_f32_e32 v83, v83, v112
	v_ldexp_f32 v83, v83, v102
	v_add_f32_e32 v102, -1.0, v101
	v_add_f32_e32 v112, -1.0, v113
	s_delay_alu instid0(VALU_DEP_2) | instskip(NEXT) | instid1(VALU_DEP_2)
	v_add_f32_e32 v114, 1.0, v102
	v_sub_f32_e32 v112, v101, v112
	s_delay_alu instid0(VALU_DEP_1) | instskip(NEXT) | instid1(VALU_DEP_1)
	v_dual_sub_f32 v101, v101, v114 :: v_dual_add_f32 v112, v83, v112
	v_dual_add_f32 v83, v83, v101 :: v_dual_add_f32 v114, v113, v112
	s_delay_alu instid0(VALU_DEP_1) | instskip(SKIP_1) | instid1(VALU_DEP_1)
	v_rcp_f32_e32 v101, v114
	v_sub_f32_e32 v113, v113, v114
	v_dual_add_f32 v115, v102, v83 :: v_dual_add_f32 v112, v112, v113
	s_delay_alu instid0(VALU_DEP_1) | instskip(SKIP_3) | instid1(VALU_DEP_2)
	v_sub_f32_e32 v102, v102, v115
	s_waitcnt_depctr 0xfff
	v_mul_f32_e32 v116, v115, v101
	v_add_f32_e32 v83, v83, v102
	v_mul_f32_e32 v117, v114, v116
	s_delay_alu instid0(VALU_DEP_1) | instskip(NEXT) | instid1(VALU_DEP_1)
	v_fma_f32 v113, v116, v114, -v117
	v_fmac_f32_e32 v113, v116, v112
	s_delay_alu instid0(VALU_DEP_1) | instskip(NEXT) | instid1(VALU_DEP_1)
	v_add_f32_e32 v118, v117, v113
	v_sub_f32_e32 v119, v115, v118
	s_delay_alu instid0(VALU_DEP_1) | instskip(NEXT) | instid1(VALU_DEP_1)
	v_sub_f32_e32 v115, v115, v119
	v_dual_sub_f32 v115, v115, v118 :: v_dual_sub_f32 v102, v118, v117
	s_delay_alu instid0(VALU_DEP_1) | instskip(NEXT) | instid1(VALU_DEP_1)
	v_dual_add_f32 v83, v83, v115 :: v_dual_sub_f32 v102, v102, v113
	v_add_f32_e32 v83, v102, v83
	s_delay_alu instid0(VALU_DEP_1) | instskip(NEXT) | instid1(VALU_DEP_1)
	v_add_f32_e32 v102, v119, v83
	v_mul_f32_e32 v113, v101, v102
	s_delay_alu instid0(VALU_DEP_1) | instskip(NEXT) | instid1(VALU_DEP_1)
	v_dual_mul_f32 v115, v114, v113 :: v_dual_sub_f32 v118, v119, v102
	v_fma_f32 v114, v113, v114, -v115
	s_delay_alu instid0(VALU_DEP_1) | instskip(NEXT) | instid1(VALU_DEP_1)
	v_dual_add_f32 v83, v83, v118 :: v_dual_fmac_f32 v114, v113, v112
	v_add_f32_e32 v112, v115, v114
	s_delay_alu instid0(VALU_DEP_1) | instskip(NEXT) | instid1(VALU_DEP_1)
	v_sub_f32_e32 v117, v102, v112
	v_dual_sub_f32 v115, v112, v115 :: v_dual_sub_f32 v102, v102, v117
	s_delay_alu instid0(VALU_DEP_1) | instskip(NEXT) | instid1(VALU_DEP_1)
	v_sub_f32_e32 v102, v102, v112
	v_dual_add_f32 v83, v83, v102 :: v_dual_add_f32 v102, v116, v113
	s_delay_alu instid0(VALU_DEP_3) | instskip(NEXT) | instid1(VALU_DEP_1)
	v_sub_f32_e32 v112, v115, v114
	v_dual_add_f32 v83, v112, v83 :: v_dual_sub_f32 v112, v102, v116
	s_delay_alu instid0(VALU_DEP_1) | instskip(NEXT) | instid1(VALU_DEP_2)
	v_add_f32_e32 v83, v117, v83
	v_sub_f32_e32 v112, v113, v112
	s_delay_alu instid0(VALU_DEP_2) | instskip(NEXT) | instid1(VALU_DEP_1)
	v_mul_f32_e32 v83, v101, v83
	v_add_f32_e32 v83, v112, v83
	s_delay_alu instid0(VALU_DEP_1) | instskip(NEXT) | instid1(VALU_DEP_1)
	v_add_f32_e32 v101, v102, v83
	v_mul_f32_e32 v112, v101, v101
	s_delay_alu instid0(VALU_DEP_1) | instskip(SKIP_2) | instid1(VALU_DEP_3)
	v_fmaak_f32 v113, s4, v112, 0x3ecc95a3
	v_mul_f32_e32 v114, v101, v112
	v_cmp_gt_f32_e64 s4, 0x33800000, |v80|
	v_fmaak_f32 v112, v112, v113, 0x3f2aaada
	v_ldexp_f32 v113, v101, 1
	v_sub_f32_e32 v101, v101, v102
	s_delay_alu instid0(VALU_DEP_4) | instskip(NEXT) | instid1(VALU_DEP_1)
	s_or_b32 vcc_lo, vcc_lo, s4
	v_sub_f32_e32 v83, v83, v101
	s_delay_alu instid0(VALU_DEP_1) | instskip(SKIP_1) | instid1(VALU_DEP_1)
	v_ldexp_f32 v83, v83, 1
	v_mul_f32_e32 v112, v114, v112
	v_add_f32_e32 v102, v113, v112
	s_delay_alu instid0(VALU_DEP_1) | instskip(NEXT) | instid1(VALU_DEP_1)
	v_sub_f32_e32 v101, v102, v113
	v_sub_f32_e32 v101, v112, v101
	s_delay_alu instid0(VALU_DEP_1) | instskip(NEXT) | instid1(VALU_DEP_1)
	v_add_f32_e32 v83, v83, v101
	v_add_f32_e32 v112, v102, v83
	v_mul_f32_e32 v114, 0x3f317218, v82
	s_delay_alu instid0(VALU_DEP_1) | instskip(NEXT) | instid1(VALU_DEP_1)
	v_fma_f32 v113, 0x3f317218, v82, -v114
	v_fmamk_f32 v82, v82, 0xb102e308, v113
	s_delay_alu instid0(VALU_DEP_1) | instskip(NEXT) | instid1(VALU_DEP_1)
	v_add_f32_e32 v101, v114, v82
	v_add_f32_e32 v113, v101, v112
	s_delay_alu instid0(VALU_DEP_1) | instskip(NEXT) | instid1(VALU_DEP_1)
	v_sub_f32_e32 v115, v113, v101
	v_sub_f32_e32 v116, v113, v115
	;; [unrolled: 1-line block ×3, first 2 shown]
	s_delay_alu instid0(VALU_DEP_1) | instskip(SKIP_1) | instid1(VALU_DEP_4)
	v_dual_sub_f32 v83, v83, v102 :: v_dual_sub_f32 v102, v112, v115
	v_sub_f32_e32 v114, v101, v114
	v_sub_f32_e32 v101, v101, v116
	s_delay_alu instid0(VALU_DEP_1) | instskip(NEXT) | instid1(VALU_DEP_3)
	v_add_f32_e32 v101, v102, v101
	v_sub_f32_e32 v82, v82, v114
	s_delay_alu instid0(VALU_DEP_1) | instskip(NEXT) | instid1(VALU_DEP_1)
	v_add_f32_e32 v112, v82, v83
	v_add_f32_e32 v101, v112, v101
	v_sub_f32_e32 v102, v112, v82
	s_delay_alu instid0(VALU_DEP_1) | instskip(SKIP_1) | instid1(VALU_DEP_2)
	v_dual_add_f32 v114, v113, v101 :: v_dual_sub_f32 v83, v83, v102
	v_sub_f32_e32 v112, v112, v102
	v_sub_f32_e32 v102, v114, v113
	s_delay_alu instid0(VALU_DEP_2) | instskip(NEXT) | instid1(VALU_DEP_1)
	v_sub_f32_e32 v82, v82, v112
	v_add_f32_e32 v82, v83, v82
	s_delay_alu instid0(VALU_DEP_3) | instskip(NEXT) | instid1(VALU_DEP_1)
	v_sub_f32_e32 v83, v101, v102
	v_add_f32_e32 v82, v82, v83
	s_delay_alu instid0(VALU_DEP_1) | instskip(NEXT) | instid1(VALU_DEP_1)
	v_add_f32_e32 v82, v114, v82
	v_cndmask_b32_e32 v80, v82, v80, vcc_lo
	s_delay_alu instid0(VALU_DEP_1) | instskip(NEXT) | instid1(VALU_DEP_1)
	v_add_f32_e32 v80, v81, v80
	v_cvt_f16_f32_e32 v101, v80
	s_delay_alu instid0(VALU_DEP_1)
	v_cvt_f32_f16_e32 v102, v101
	v_mov_b32_e32 v80, v101
.LBB390_220:
	s_or_b32 exec_lo, exec_lo, s3
	s_delay_alu instid0(VALU_DEP_2) | instskip(SKIP_1) | instid1(VALU_DEP_2)
	v_dual_max_f32 v81, v84, v84 :: v_dual_max_f32 v82, v102, v102
	v_cmp_u_f16_e32 vcc_lo, v101, v101
	v_min_f32_e32 v83, v82, v81
	s_delay_alu instid0(VALU_DEP_1) | instskip(NEXT) | instid1(VALU_DEP_1)
	v_dual_max_f32 v81, v82, v81 :: v_dual_cndmask_b32 v82, v83, v102
	v_cndmask_b32_e32 v81, v81, v102, vcc_lo
	s_delay_alu instid0(VALU_DEP_2) | instskip(NEXT) | instid1(VALU_DEP_2)
	v_cndmask_b32_e64 v83, v82, v84, s15
	v_cndmask_b32_e64 v82, v81, v84, s15
	v_mov_b32_e32 v81, v80
	s_delay_alu instid0(VALU_DEP_3) | instskip(NEXT) | instid1(VALU_DEP_3)
	v_cmp_class_f32_e64 s3, v83, 0x1f8
	v_cmp_neq_f32_e32 vcc_lo, v83, v82
	s_delay_alu instid0(VALU_DEP_2) | instskip(NEXT) | instid1(SALU_CYCLE_1)
	s_or_b32 s4, vcc_lo, s3
	s_and_saveexec_b32 s3, s4
	s_cbranch_execz .LBB390_222
; %bb.221:
	v_sub_f32_e32 v81, v83, v82
	s_mov_b32 s4, 0x3e9b6dac
	s_delay_alu instid0(VALU_DEP_1) | instskip(SKIP_1) | instid1(VALU_DEP_2)
	v_mul_f32_e32 v83, 0x3fb8aa3b, v81
	v_cmp_ngt_f32_e32 vcc_lo, 0xc2ce8ed0, v81
	v_fma_f32 v84, 0x3fb8aa3b, v81, -v83
	v_rndne_f32_e32 v101, v83
	s_delay_alu instid0(VALU_DEP_1) | instskip(NEXT) | instid1(VALU_DEP_1)
	v_dual_fmamk_f32 v84, v81, 0x32a5705f, v84 :: v_dual_sub_f32 v83, v83, v101
	v_add_f32_e32 v83, v83, v84
	v_cvt_i32_f32_e32 v84, v101
	s_delay_alu instid0(VALU_DEP_2) | instskip(SKIP_2) | instid1(VALU_DEP_1)
	v_exp_f32_e32 v83, v83
	s_waitcnt_depctr 0xfff
	v_ldexp_f32 v83, v83, v84
	v_cndmask_b32_e32 v83, 0, v83, vcc_lo
	v_cmp_nlt_f32_e32 vcc_lo, 0x42b17218, v81
	s_delay_alu instid0(VALU_DEP_2) | instskip(NEXT) | instid1(VALU_DEP_1)
	v_cndmask_b32_e32 v81, 0x7f800000, v83, vcc_lo
	v_add_f32_e32 v101, 1.0, v81
	s_delay_alu instid0(VALU_DEP_1) | instskip(NEXT) | instid1(VALU_DEP_1)
	v_cvt_f64_f32_e32 v[83:84], v101
	v_frexp_exp_i32_f64_e32 v83, v[83:84]
	v_frexp_mant_f32_e32 v84, v101
	s_delay_alu instid0(VALU_DEP_1) | instskip(SKIP_1) | instid1(VALU_DEP_1)
	v_cmp_gt_f32_e32 vcc_lo, 0x3f2aaaab, v84
	v_add_f32_e32 v84, -1.0, v101
	v_sub_f32_e32 v112, v84, v101
	v_sub_f32_e32 v84, v81, v84
	s_delay_alu instid0(VALU_DEP_2) | instskip(NEXT) | instid1(VALU_DEP_1)
	v_add_f32_e32 v112, 1.0, v112
	v_add_f32_e32 v84, v84, v112
	v_subrev_co_ci_u32_e32 v83, vcc_lo, 0, v83, vcc_lo
	v_cmp_eq_f32_e32 vcc_lo, 0x7f800000, v81
	s_delay_alu instid0(VALU_DEP_2) | instskip(SKIP_1) | instid1(VALU_DEP_2)
	v_sub_nc_u32_e32 v102, 0, v83
	v_cvt_f32_i32_e32 v83, v83
	v_ldexp_f32 v101, v101, v102
	v_ldexp_f32 v84, v84, v102
	s_delay_alu instid0(VALU_DEP_2) | instskip(SKIP_1) | instid1(VALU_DEP_1)
	v_add_f32_e32 v113, 1.0, v101
	v_add_f32_e32 v102, -1.0, v101
	v_add_f32_e32 v114, 1.0, v102
	s_delay_alu instid0(VALU_DEP_3) | instskip(NEXT) | instid1(VALU_DEP_1)
	v_add_f32_e32 v112, -1.0, v113
	v_sub_f32_e32 v112, v101, v112
	s_delay_alu instid0(VALU_DEP_1) | instskip(NEXT) | instid1(VALU_DEP_1)
	v_dual_sub_f32 v101, v101, v114 :: v_dual_add_f32 v112, v84, v112
	v_add_f32_e32 v114, v113, v112
	s_delay_alu instid0(VALU_DEP_2) | instskip(NEXT) | instid1(VALU_DEP_2)
	v_add_f32_e32 v84, v84, v101
	v_rcp_f32_e32 v101, v114
	v_sub_f32_e32 v113, v113, v114
	s_delay_alu instid0(VALU_DEP_1) | instskip(NEXT) | instid1(VALU_DEP_1)
	v_dual_add_f32 v115, v102, v84 :: v_dual_add_f32 v112, v112, v113
	v_sub_f32_e32 v102, v102, v115
	s_waitcnt_depctr 0xfff
	v_mul_f32_e32 v116, v115, v101
	s_delay_alu instid0(VALU_DEP_1) | instskip(NEXT) | instid1(VALU_DEP_1)
	v_mul_f32_e32 v117, v114, v116
	v_fma_f32 v113, v116, v114, -v117
	s_delay_alu instid0(VALU_DEP_1) | instskip(NEXT) | instid1(VALU_DEP_1)
	v_fmac_f32_e32 v113, v116, v112
	v_add_f32_e32 v118, v117, v113
	s_delay_alu instid0(VALU_DEP_1) | instskip(NEXT) | instid1(VALU_DEP_1)
	v_sub_f32_e32 v119, v115, v118
	v_dual_sub_f32 v115, v115, v119 :: v_dual_add_f32 v84, v84, v102
	s_delay_alu instid0(VALU_DEP_1) | instskip(NEXT) | instid1(VALU_DEP_1)
	v_dual_sub_f32 v102, v118, v117 :: v_dual_sub_f32 v115, v115, v118
	v_sub_f32_e32 v102, v102, v113
	s_delay_alu instid0(VALU_DEP_2) | instskip(NEXT) | instid1(VALU_DEP_1)
	v_add_f32_e32 v84, v84, v115
	v_add_f32_e32 v84, v102, v84
	s_delay_alu instid0(VALU_DEP_1) | instskip(NEXT) | instid1(VALU_DEP_1)
	v_add_f32_e32 v102, v119, v84
	v_mul_f32_e32 v113, v101, v102
	s_delay_alu instid0(VALU_DEP_1) | instskip(NEXT) | instid1(VALU_DEP_1)
	v_dual_sub_f32 v118, v119, v102 :: v_dual_mul_f32 v115, v114, v113
	v_add_f32_e32 v84, v84, v118
	s_delay_alu instid0(VALU_DEP_2) | instskip(NEXT) | instid1(VALU_DEP_1)
	v_fma_f32 v114, v113, v114, -v115
	v_fmac_f32_e32 v114, v113, v112
	s_delay_alu instid0(VALU_DEP_1) | instskip(NEXT) | instid1(VALU_DEP_1)
	v_add_f32_e32 v112, v115, v114
	v_sub_f32_e32 v117, v102, v112
	s_delay_alu instid0(VALU_DEP_1) | instskip(NEXT) | instid1(VALU_DEP_1)
	v_dual_sub_f32 v115, v112, v115 :: v_dual_sub_f32 v102, v102, v117
	v_sub_f32_e32 v102, v102, v112
	s_delay_alu instid0(VALU_DEP_2) | instskip(NEXT) | instid1(VALU_DEP_2)
	v_sub_f32_e32 v112, v115, v114
	v_add_f32_e32 v84, v84, v102
	v_add_f32_e32 v102, v116, v113
	s_delay_alu instid0(VALU_DEP_2) | instskip(NEXT) | instid1(VALU_DEP_2)
	v_add_f32_e32 v84, v112, v84
	v_sub_f32_e32 v112, v102, v116
	s_delay_alu instid0(VALU_DEP_2) | instskip(NEXT) | instid1(VALU_DEP_2)
	v_add_f32_e32 v84, v117, v84
	v_sub_f32_e32 v112, v113, v112
	s_delay_alu instid0(VALU_DEP_2) | instskip(NEXT) | instid1(VALU_DEP_1)
	v_mul_f32_e32 v84, v101, v84
	v_add_f32_e32 v84, v112, v84
	s_delay_alu instid0(VALU_DEP_1) | instskip(NEXT) | instid1(VALU_DEP_1)
	v_add_f32_e32 v101, v102, v84
	v_mul_f32_e32 v112, v101, v101
	s_delay_alu instid0(VALU_DEP_1) | instskip(SKIP_2) | instid1(VALU_DEP_3)
	v_fmaak_f32 v113, s4, v112, 0x3ecc95a3
	v_mul_f32_e32 v114, v101, v112
	v_cmp_gt_f32_e64 s4, 0x33800000, |v81|
	v_fmaak_f32 v112, v112, v113, 0x3f2aaada
	v_ldexp_f32 v113, v101, 1
	v_sub_f32_e32 v101, v101, v102
	s_delay_alu instid0(VALU_DEP_4) | instskip(NEXT) | instid1(VALU_DEP_3)
	s_or_b32 vcc_lo, vcc_lo, s4
	v_mul_f32_e32 v112, v114, v112
	v_mul_f32_e32 v114, 0x3f317218, v83
	s_delay_alu instid0(VALU_DEP_3) | instskip(NEXT) | instid1(VALU_DEP_3)
	v_sub_f32_e32 v84, v84, v101
	v_add_f32_e32 v102, v113, v112
	s_delay_alu instid0(VALU_DEP_2) | instskip(NEXT) | instid1(VALU_DEP_2)
	v_ldexp_f32 v84, v84, 1
	v_sub_f32_e32 v101, v102, v113
	v_fma_f32 v113, 0x3f317218, v83, -v114
	s_delay_alu instid0(VALU_DEP_2) | instskip(NEXT) | instid1(VALU_DEP_1)
	v_sub_f32_e32 v101, v112, v101
	v_dual_fmamk_f32 v83, v83, 0xb102e308, v113 :: v_dual_add_f32 v84, v84, v101
	s_delay_alu instid0(VALU_DEP_1) | instskip(NEXT) | instid1(VALU_DEP_2)
	v_add_f32_e32 v101, v114, v83
	v_add_f32_e32 v112, v102, v84
	s_delay_alu instid0(VALU_DEP_2) | instskip(NEXT) | instid1(VALU_DEP_2)
	v_sub_f32_e32 v114, v101, v114
	v_dual_add_f32 v113, v101, v112 :: v_dual_sub_f32 v102, v112, v102
	s_delay_alu instid0(VALU_DEP_2) | instskip(NEXT) | instid1(VALU_DEP_2)
	v_sub_f32_e32 v83, v83, v114
	v_dual_sub_f32 v115, v113, v101 :: v_dual_sub_f32 v84, v84, v102
	s_delay_alu instid0(VALU_DEP_1) | instskip(SKIP_1) | instid1(VALU_DEP_3)
	v_sub_f32_e32 v116, v113, v115
	v_sub_f32_e32 v102, v112, v115
	v_add_f32_e32 v112, v83, v84
	s_delay_alu instid0(VALU_DEP_3) | instskip(NEXT) | instid1(VALU_DEP_1)
	v_sub_f32_e32 v101, v101, v116
	v_dual_add_f32 v101, v102, v101 :: v_dual_sub_f32 v102, v112, v83
	s_delay_alu instid0(VALU_DEP_1) | instskip(NEXT) | instid1(VALU_DEP_2)
	v_add_f32_e32 v101, v112, v101
	v_sub_f32_e32 v112, v112, v102
	v_sub_f32_e32 v84, v84, v102
	s_delay_alu instid0(VALU_DEP_2) | instskip(NEXT) | instid1(VALU_DEP_1)
	v_dual_add_f32 v114, v113, v101 :: v_dual_sub_f32 v83, v83, v112
	v_dual_sub_f32 v102, v114, v113 :: v_dual_add_f32 v83, v84, v83
	s_delay_alu instid0(VALU_DEP_1) | instskip(NEXT) | instid1(VALU_DEP_1)
	v_sub_f32_e32 v84, v101, v102
	v_add_f32_e32 v83, v83, v84
	s_delay_alu instid0(VALU_DEP_1) | instskip(NEXT) | instid1(VALU_DEP_1)
	v_add_f32_e32 v83, v114, v83
	v_cndmask_b32_e32 v81, v83, v81, vcc_lo
	s_delay_alu instid0(VALU_DEP_1) | instskip(NEXT) | instid1(VALU_DEP_1)
	v_add_f32_e32 v81, v82, v81
	v_cvt_f16_f32_e32 v101, v81
	s_delay_alu instid0(VALU_DEP_1)
	v_cvt_f32_f16_e32 v102, v101
	v_mov_b32_e32 v81, v101
.LBB390_222:
	s_or_b32 exec_lo, exec_lo, s3
	s_delay_alu instid0(VALU_DEP_2) | instskip(SKIP_1) | instid1(VALU_DEP_2)
	v_dual_max_f32 v82, v85, v85 :: v_dual_max_f32 v83, v102, v102
	v_cmp_u_f16_e32 vcc_lo, v101, v101
	v_min_f32_e32 v84, v83, v82
	v_max_f32_e32 v82, v83, v82
	s_delay_alu instid0(VALU_DEP_2) | instskip(NEXT) | instid1(VALU_DEP_2)
	v_cndmask_b32_e32 v83, v84, v102, vcc_lo
	v_cndmask_b32_e32 v82, v82, v102, vcc_lo
	s_delay_alu instid0(VALU_DEP_2) | instskip(NEXT) | instid1(VALU_DEP_2)
	v_cndmask_b32_e64 v84, v83, v85, s16
	v_cndmask_b32_e64 v83, v82, v85, s16
	v_mov_b32_e32 v82, v81
	s_delay_alu instid0(VALU_DEP_3) | instskip(NEXT) | instid1(VALU_DEP_3)
	v_cmp_class_f32_e64 s3, v84, 0x1f8
	v_cmp_neq_f32_e32 vcc_lo, v84, v83
	s_delay_alu instid0(VALU_DEP_2) | instskip(NEXT) | instid1(SALU_CYCLE_1)
	s_or_b32 s4, vcc_lo, s3
	s_and_saveexec_b32 s3, s4
	s_cbranch_execz .LBB390_224
; %bb.223:
	v_sub_f32_e32 v82, v84, v83
	s_mov_b32 s4, 0x3e9b6dac
	s_delay_alu instid0(VALU_DEP_1) | instskip(SKIP_1) | instid1(VALU_DEP_2)
	v_mul_f32_e32 v84, 0x3fb8aa3b, v82
	v_cmp_ngt_f32_e32 vcc_lo, 0xc2ce8ed0, v82
	v_fma_f32 v85, 0x3fb8aa3b, v82, -v84
	v_rndne_f32_e32 v101, v84
	s_delay_alu instid0(VALU_DEP_1) | instskip(NEXT) | instid1(VALU_DEP_1)
	v_dual_fmamk_f32 v85, v82, 0x32a5705f, v85 :: v_dual_sub_f32 v84, v84, v101
	v_add_f32_e32 v84, v84, v85
	v_cvt_i32_f32_e32 v85, v101
	s_delay_alu instid0(VALU_DEP_2) | instskip(SKIP_2) | instid1(VALU_DEP_1)
	v_exp_f32_e32 v84, v84
	s_waitcnt_depctr 0xfff
	v_ldexp_f32 v84, v84, v85
	v_cndmask_b32_e32 v84, 0, v84, vcc_lo
	v_cmp_nlt_f32_e32 vcc_lo, 0x42b17218, v82
	s_delay_alu instid0(VALU_DEP_2) | instskip(NEXT) | instid1(VALU_DEP_1)
	v_cndmask_b32_e32 v82, 0x7f800000, v84, vcc_lo
	v_add_f32_e32 v101, 1.0, v82
	s_delay_alu instid0(VALU_DEP_1) | instskip(NEXT) | instid1(VALU_DEP_1)
	v_cvt_f64_f32_e32 v[84:85], v101
	v_frexp_exp_i32_f64_e32 v84, v[84:85]
	v_frexp_mant_f32_e32 v85, v101
	s_delay_alu instid0(VALU_DEP_1) | instskip(SKIP_1) | instid1(VALU_DEP_1)
	v_cmp_gt_f32_e32 vcc_lo, 0x3f2aaaab, v85
	v_add_f32_e32 v85, -1.0, v101
	v_sub_f32_e32 v112, v85, v101
	s_delay_alu instid0(VALU_DEP_1) | instskip(SKIP_1) | instid1(VALU_DEP_1)
	v_dual_sub_f32 v85, v82, v85 :: v_dual_add_f32 v112, 1.0, v112
	v_subrev_co_ci_u32_e32 v84, vcc_lo, 0, v84, vcc_lo
	v_sub_nc_u32_e32 v102, 0, v84
	v_cvt_f32_i32_e32 v84, v84
	s_delay_alu instid0(VALU_DEP_2) | instskip(NEXT) | instid1(VALU_DEP_1)
	v_ldexp_f32 v101, v101, v102
	v_add_f32_e32 v113, 1.0, v101
	s_delay_alu instid0(VALU_DEP_1) | instskip(NEXT) | instid1(VALU_DEP_1)
	v_dual_add_f32 v85, v85, v112 :: v_dual_add_f32 v112, -1.0, v113
	v_ldexp_f32 v85, v85, v102
	v_add_f32_e32 v102, -1.0, v101
	s_delay_alu instid0(VALU_DEP_3) | instskip(NEXT) | instid1(VALU_DEP_2)
	v_sub_f32_e32 v112, v101, v112
	v_add_f32_e32 v114, 1.0, v102
	s_delay_alu instid0(VALU_DEP_2) | instskip(NEXT) | instid1(VALU_DEP_2)
	v_add_f32_e32 v112, v85, v112
	v_sub_f32_e32 v101, v101, v114
	v_cmp_eq_f32_e32 vcc_lo, 0x7f800000, v82
	s_delay_alu instid0(VALU_DEP_3) | instskip(NEXT) | instid1(VALU_DEP_3)
	v_add_f32_e32 v114, v113, v112
	v_add_f32_e32 v85, v85, v101
	s_delay_alu instid0(VALU_DEP_2) | instskip(SKIP_1) | instid1(VALU_DEP_2)
	v_rcp_f32_e32 v101, v114
	v_sub_f32_e32 v113, v113, v114
	v_add_f32_e32 v115, v102, v85
	s_delay_alu instid0(VALU_DEP_2) | instskip(NEXT) | instid1(VALU_DEP_2)
	v_add_f32_e32 v112, v112, v113
	v_sub_f32_e32 v102, v102, v115
	s_waitcnt_depctr 0xfff
	v_dual_mul_f32 v116, v115, v101 :: v_dual_add_f32 v85, v85, v102
	s_delay_alu instid0(VALU_DEP_1) | instskip(NEXT) | instid1(VALU_DEP_1)
	v_mul_f32_e32 v117, v114, v116
	v_fma_f32 v113, v116, v114, -v117
	s_delay_alu instid0(VALU_DEP_1) | instskip(NEXT) | instid1(VALU_DEP_1)
	v_fmac_f32_e32 v113, v116, v112
	v_add_f32_e32 v118, v117, v113
	s_delay_alu instid0(VALU_DEP_1) | instskip(NEXT) | instid1(VALU_DEP_1)
	v_sub_f32_e32 v119, v115, v118
	v_sub_f32_e32 v115, v115, v119
	s_delay_alu instid0(VALU_DEP_1) | instskip(NEXT) | instid1(VALU_DEP_1)
	v_dual_sub_f32 v115, v115, v118 :: v_dual_sub_f32 v102, v118, v117
	v_dual_add_f32 v85, v85, v115 :: v_dual_sub_f32 v102, v102, v113
	s_delay_alu instid0(VALU_DEP_1) | instskip(NEXT) | instid1(VALU_DEP_1)
	v_add_f32_e32 v85, v102, v85
	v_add_f32_e32 v102, v119, v85
	s_delay_alu instid0(VALU_DEP_1) | instskip(NEXT) | instid1(VALU_DEP_1)
	v_mul_f32_e32 v113, v101, v102
	v_dual_sub_f32 v118, v119, v102 :: v_dual_mul_f32 v115, v114, v113
	s_delay_alu instid0(VALU_DEP_1) | instskip(NEXT) | instid1(VALU_DEP_1)
	v_fma_f32 v114, v113, v114, -v115
	v_fmac_f32_e32 v114, v113, v112
	s_delay_alu instid0(VALU_DEP_3) | instskip(NEXT) | instid1(VALU_DEP_2)
	v_add_f32_e32 v85, v85, v118
	v_add_f32_e32 v112, v115, v114
	s_delay_alu instid0(VALU_DEP_1) | instskip(NEXT) | instid1(VALU_DEP_1)
	v_sub_f32_e32 v117, v102, v112
	v_dual_sub_f32 v115, v112, v115 :: v_dual_sub_f32 v102, v102, v117
	s_delay_alu instid0(VALU_DEP_1) | instskip(NEXT) | instid1(VALU_DEP_2)
	v_sub_f32_e32 v102, v102, v112
	v_sub_f32_e32 v112, v115, v114
	s_delay_alu instid0(VALU_DEP_2) | instskip(NEXT) | instid1(VALU_DEP_1)
	v_dual_add_f32 v85, v85, v102 :: v_dual_add_f32 v102, v116, v113
	v_dual_add_f32 v85, v112, v85 :: v_dual_sub_f32 v112, v102, v116
	s_delay_alu instid0(VALU_DEP_1) | instskip(NEXT) | instid1(VALU_DEP_2)
	v_add_f32_e32 v85, v117, v85
	v_sub_f32_e32 v112, v113, v112
	s_delay_alu instid0(VALU_DEP_2) | instskip(NEXT) | instid1(VALU_DEP_1)
	v_mul_f32_e32 v85, v101, v85
	v_add_f32_e32 v85, v112, v85
	s_delay_alu instid0(VALU_DEP_1) | instskip(NEXT) | instid1(VALU_DEP_1)
	v_add_f32_e32 v101, v102, v85
	v_mul_f32_e32 v112, v101, v101
	s_delay_alu instid0(VALU_DEP_1) | instskip(SKIP_2) | instid1(VALU_DEP_3)
	v_fmaak_f32 v113, s4, v112, 0x3ecc95a3
	v_mul_f32_e32 v114, v101, v112
	v_cmp_gt_f32_e64 s4, 0x33800000, |v82|
	v_fmaak_f32 v112, v112, v113, 0x3f2aaada
	v_ldexp_f32 v113, v101, 1
	v_sub_f32_e32 v101, v101, v102
	s_delay_alu instid0(VALU_DEP_4) | instskip(NEXT) | instid1(VALU_DEP_1)
	s_or_b32 vcc_lo, vcc_lo, s4
	v_dual_mul_f32 v112, v114, v112 :: v_dual_sub_f32 v85, v85, v101
	s_delay_alu instid0(VALU_DEP_1) | instskip(SKIP_1) | instid1(VALU_DEP_3)
	v_add_f32_e32 v102, v113, v112
	v_mul_f32_e32 v114, 0x3f317218, v84
	v_ldexp_f32 v85, v85, 1
	s_delay_alu instid0(VALU_DEP_3) | instskip(NEXT) | instid1(VALU_DEP_3)
	v_sub_f32_e32 v101, v102, v113
	v_fma_f32 v113, 0x3f317218, v84, -v114
	s_delay_alu instid0(VALU_DEP_2) | instskip(NEXT) | instid1(VALU_DEP_1)
	v_sub_f32_e32 v101, v112, v101
	v_dual_fmamk_f32 v84, v84, 0xb102e308, v113 :: v_dual_add_f32 v85, v85, v101
	s_delay_alu instid0(VALU_DEP_1) | instskip(NEXT) | instid1(VALU_DEP_2)
	v_add_f32_e32 v101, v114, v84
	v_add_f32_e32 v112, v102, v85
	s_delay_alu instid0(VALU_DEP_2) | instskip(NEXT) | instid1(VALU_DEP_1)
	v_sub_f32_e32 v114, v101, v114
	v_dual_add_f32 v113, v101, v112 :: v_dual_sub_f32 v84, v84, v114
	s_delay_alu instid0(VALU_DEP_1) | instskip(NEXT) | instid1(VALU_DEP_1)
	v_sub_f32_e32 v115, v113, v101
	v_sub_f32_e32 v116, v113, v115
	s_delay_alu instid0(VALU_DEP_1) | instskip(NEXT) | instid1(VALU_DEP_1)
	v_dual_sub_f32 v101, v101, v116 :: v_dual_sub_f32 v102, v112, v102
	v_dual_sub_f32 v85, v85, v102 :: v_dual_sub_f32 v102, v112, v115
	s_delay_alu instid0(VALU_DEP_1) | instskip(NEXT) | instid1(VALU_DEP_1)
	v_add_f32_e32 v112, v84, v85
	v_dual_add_f32 v101, v102, v101 :: v_dual_sub_f32 v102, v112, v84
	s_delay_alu instid0(VALU_DEP_1) | instskip(NEXT) | instid1(VALU_DEP_2)
	v_sub_f32_e32 v85, v85, v102
	v_add_f32_e32 v101, v112, v101
	v_sub_f32_e32 v112, v112, v102
	s_delay_alu instid0(VALU_DEP_2) | instskip(NEXT) | instid1(VALU_DEP_1)
	v_add_f32_e32 v114, v113, v101
	v_sub_f32_e32 v102, v114, v113
	s_delay_alu instid0(VALU_DEP_3) | instskip(NEXT) | instid1(VALU_DEP_1)
	v_sub_f32_e32 v84, v84, v112
	v_add_f32_e32 v84, v85, v84
	s_delay_alu instid0(VALU_DEP_3) | instskip(NEXT) | instid1(VALU_DEP_1)
	v_sub_f32_e32 v85, v101, v102
	v_add_f32_e32 v84, v84, v85
	s_delay_alu instid0(VALU_DEP_1) | instskip(NEXT) | instid1(VALU_DEP_1)
	v_add_f32_e32 v84, v114, v84
	v_cndmask_b32_e32 v82, v84, v82, vcc_lo
	s_delay_alu instid0(VALU_DEP_1) | instskip(NEXT) | instid1(VALU_DEP_1)
	v_add_f32_e32 v82, v83, v82
	v_cvt_f16_f32_e32 v101, v82
	s_delay_alu instid0(VALU_DEP_1)
	v_cvt_f32_f16_e32 v102, v101
	v_mov_b32_e32 v82, v101
.LBB390_224:
	s_or_b32 exec_lo, exec_lo, s3
	v_max_f32_e32 v83, v86, v86
	s_delay_alu instid0(VALU_DEP_3) | instskip(SKIP_1) | instid1(VALU_DEP_2)
	v_max_f32_e32 v84, v102, v102
	v_cmp_u_f16_e32 vcc_lo, v101, v101
	v_min_f32_e32 v85, v84, v83
	s_delay_alu instid0(VALU_DEP_1) | instskip(NEXT) | instid1(VALU_DEP_1)
	v_dual_max_f32 v83, v84, v83 :: v_dual_cndmask_b32 v84, v85, v102
	v_cndmask_b32_e32 v83, v83, v102, vcc_lo
	s_delay_alu instid0(VALU_DEP_2) | instskip(NEXT) | instid1(VALU_DEP_2)
	v_cndmask_b32_e64 v85, v84, v86, s17
	v_cndmask_b32_e64 v84, v83, v86, s17
	v_mov_b32_e32 v83, v82
	s_delay_alu instid0(VALU_DEP_3) | instskip(NEXT) | instid1(VALU_DEP_3)
	v_cmp_class_f32_e64 s3, v85, 0x1f8
	v_cmp_neq_f32_e32 vcc_lo, v85, v84
	s_delay_alu instid0(VALU_DEP_2) | instskip(NEXT) | instid1(SALU_CYCLE_1)
	s_or_b32 s4, vcc_lo, s3
	s_and_saveexec_b32 s3, s4
	s_cbranch_execz .LBB390_226
; %bb.225:
	v_sub_f32_e32 v83, v85, v84
	s_mov_b32 s4, 0x3e9b6dac
	s_delay_alu instid0(VALU_DEP_1) | instskip(SKIP_1) | instid1(VALU_DEP_2)
	v_mul_f32_e32 v85, 0x3fb8aa3b, v83
	v_cmp_ngt_f32_e32 vcc_lo, 0xc2ce8ed0, v83
	v_fma_f32 v86, 0x3fb8aa3b, v83, -v85
	v_rndne_f32_e32 v101, v85
	s_delay_alu instid0(VALU_DEP_1) | instskip(NEXT) | instid1(VALU_DEP_1)
	v_dual_fmamk_f32 v86, v83, 0x32a5705f, v86 :: v_dual_sub_f32 v85, v85, v101
	v_add_f32_e32 v85, v85, v86
	v_cvt_i32_f32_e32 v86, v101
	s_delay_alu instid0(VALU_DEP_2) | instskip(SKIP_2) | instid1(VALU_DEP_1)
	v_exp_f32_e32 v85, v85
	s_waitcnt_depctr 0xfff
	v_ldexp_f32 v85, v85, v86
	v_cndmask_b32_e32 v85, 0, v85, vcc_lo
	v_cmp_nlt_f32_e32 vcc_lo, 0x42b17218, v83
	s_delay_alu instid0(VALU_DEP_2) | instskip(NEXT) | instid1(VALU_DEP_1)
	v_cndmask_b32_e32 v83, 0x7f800000, v85, vcc_lo
	v_add_f32_e32 v101, 1.0, v83
	s_delay_alu instid0(VALU_DEP_1) | instskip(NEXT) | instid1(VALU_DEP_1)
	v_cvt_f64_f32_e32 v[85:86], v101
	v_frexp_exp_i32_f64_e32 v85, v[85:86]
	v_frexp_mant_f32_e32 v86, v101
	s_delay_alu instid0(VALU_DEP_1) | instskip(SKIP_1) | instid1(VALU_DEP_1)
	v_cmp_gt_f32_e32 vcc_lo, 0x3f2aaaab, v86
	v_add_f32_e32 v86, -1.0, v101
	v_sub_f32_e32 v112, v86, v101
	v_sub_f32_e32 v86, v83, v86
	s_delay_alu instid0(VALU_DEP_2) | instskip(NEXT) | instid1(VALU_DEP_1)
	v_add_f32_e32 v112, 1.0, v112
	v_add_f32_e32 v86, v86, v112
	v_subrev_co_ci_u32_e32 v85, vcc_lo, 0, v85, vcc_lo
	v_cmp_eq_f32_e32 vcc_lo, 0x7f800000, v83
	s_delay_alu instid0(VALU_DEP_2) | instskip(SKIP_1) | instid1(VALU_DEP_2)
	v_sub_nc_u32_e32 v102, 0, v85
	v_cvt_f32_i32_e32 v85, v85
	v_ldexp_f32 v101, v101, v102
	v_ldexp_f32 v86, v86, v102
	s_delay_alu instid0(VALU_DEP_2) | instskip(SKIP_1) | instid1(VALU_DEP_2)
	v_add_f32_e32 v113, 1.0, v101
	v_add_f32_e32 v102, -1.0, v101
	v_add_f32_e32 v112, -1.0, v113
	s_delay_alu instid0(VALU_DEP_2) | instskip(NEXT) | instid1(VALU_DEP_2)
	v_add_f32_e32 v114, 1.0, v102
	v_sub_f32_e32 v112, v101, v112
	s_delay_alu instid0(VALU_DEP_1) | instskip(NEXT) | instid1(VALU_DEP_1)
	v_dual_sub_f32 v101, v101, v114 :: v_dual_add_f32 v112, v86, v112
	v_add_f32_e32 v86, v86, v101
	s_delay_alu instid0(VALU_DEP_1) | instskip(NEXT) | instid1(VALU_DEP_1)
	v_dual_add_f32 v114, v113, v112 :: v_dual_add_f32 v115, v102, v86
	v_rcp_f32_e32 v101, v114
	v_sub_f32_e32 v113, v113, v114
	s_delay_alu instid0(VALU_DEP_1) | instskip(SKIP_2) | instid1(VALU_DEP_1)
	v_add_f32_e32 v112, v112, v113
	s_waitcnt_depctr 0xfff
	v_mul_f32_e32 v116, v115, v101
	v_mul_f32_e32 v117, v114, v116
	s_delay_alu instid0(VALU_DEP_1) | instskip(NEXT) | instid1(VALU_DEP_1)
	v_fma_f32 v113, v116, v114, -v117
	v_fmac_f32_e32 v113, v116, v112
	s_delay_alu instid0(VALU_DEP_1) | instskip(NEXT) | instid1(VALU_DEP_1)
	v_add_f32_e32 v118, v117, v113
	v_dual_sub_f32 v102, v102, v115 :: v_dual_sub_f32 v119, v115, v118
	s_delay_alu instid0(VALU_DEP_1) | instskip(NEXT) | instid1(VALU_DEP_1)
	v_sub_f32_e32 v115, v115, v119
	v_sub_f32_e32 v115, v115, v118
	s_delay_alu instid0(VALU_DEP_3) | instskip(SKIP_1) | instid1(VALU_DEP_2)
	v_add_f32_e32 v86, v86, v102
	v_sub_f32_e32 v102, v118, v117
	v_add_f32_e32 v86, v86, v115
	s_delay_alu instid0(VALU_DEP_2) | instskip(NEXT) | instid1(VALU_DEP_1)
	v_sub_f32_e32 v102, v102, v113
	v_add_f32_e32 v86, v102, v86
	s_delay_alu instid0(VALU_DEP_1) | instskip(NEXT) | instid1(VALU_DEP_1)
	v_add_f32_e32 v102, v119, v86
	v_mul_f32_e32 v113, v101, v102
	s_delay_alu instid0(VALU_DEP_1) | instskip(NEXT) | instid1(VALU_DEP_1)
	v_dual_mul_f32 v115, v114, v113 :: v_dual_sub_f32 v118, v119, v102
	v_fma_f32 v114, v113, v114, -v115
	s_delay_alu instid0(VALU_DEP_2) | instskip(NEXT) | instid1(VALU_DEP_2)
	v_add_f32_e32 v86, v86, v118
	v_fmac_f32_e32 v114, v113, v112
	s_delay_alu instid0(VALU_DEP_1) | instskip(NEXT) | instid1(VALU_DEP_1)
	v_add_f32_e32 v112, v115, v114
	v_sub_f32_e32 v117, v102, v112
	s_delay_alu instid0(VALU_DEP_1) | instskip(NEXT) | instid1(VALU_DEP_1)
	v_dual_sub_f32 v115, v112, v115 :: v_dual_sub_f32 v102, v102, v117
	v_sub_f32_e32 v102, v102, v112
	s_delay_alu instid0(VALU_DEP_2) | instskip(NEXT) | instid1(VALU_DEP_2)
	v_sub_f32_e32 v112, v115, v114
	v_add_f32_e32 v86, v86, v102
	v_add_f32_e32 v102, v116, v113
	s_delay_alu instid0(VALU_DEP_2) | instskip(NEXT) | instid1(VALU_DEP_2)
	v_add_f32_e32 v86, v112, v86
	v_sub_f32_e32 v112, v102, v116
	s_delay_alu instid0(VALU_DEP_2) | instskip(NEXT) | instid1(VALU_DEP_2)
	v_add_f32_e32 v86, v117, v86
	v_sub_f32_e32 v112, v113, v112
	s_delay_alu instid0(VALU_DEP_2) | instskip(NEXT) | instid1(VALU_DEP_1)
	v_mul_f32_e32 v86, v101, v86
	v_add_f32_e32 v86, v112, v86
	s_delay_alu instid0(VALU_DEP_1) | instskip(NEXT) | instid1(VALU_DEP_1)
	v_add_f32_e32 v101, v102, v86
	v_mul_f32_e32 v112, v101, v101
	s_delay_alu instid0(VALU_DEP_1) | instskip(SKIP_2) | instid1(VALU_DEP_3)
	v_fmaak_f32 v113, s4, v112, 0x3ecc95a3
	v_mul_f32_e32 v114, v101, v112
	v_cmp_gt_f32_e64 s4, 0x33800000, |v83|
	v_fmaak_f32 v112, v112, v113, 0x3f2aaada
	v_ldexp_f32 v113, v101, 1
	v_sub_f32_e32 v101, v101, v102
	s_delay_alu instid0(VALU_DEP_4) | instskip(NEXT) | instid1(VALU_DEP_3)
	s_or_b32 vcc_lo, vcc_lo, s4
	v_mul_f32_e32 v112, v114, v112
	v_mul_f32_e32 v114, 0x3f317218, v85
	s_delay_alu instid0(VALU_DEP_3) | instskip(NEXT) | instid1(VALU_DEP_3)
	v_sub_f32_e32 v86, v86, v101
	v_add_f32_e32 v102, v113, v112
	s_delay_alu instid0(VALU_DEP_2) | instskip(NEXT) | instid1(VALU_DEP_2)
	v_ldexp_f32 v86, v86, 1
	v_sub_f32_e32 v101, v102, v113
	v_fma_f32 v113, 0x3f317218, v85, -v114
	s_delay_alu instid0(VALU_DEP_2) | instskip(NEXT) | instid1(VALU_DEP_1)
	v_sub_f32_e32 v101, v112, v101
	v_dual_fmamk_f32 v85, v85, 0xb102e308, v113 :: v_dual_add_f32 v86, v86, v101
	s_delay_alu instid0(VALU_DEP_1) | instskip(NEXT) | instid1(VALU_DEP_2)
	v_add_f32_e32 v101, v114, v85
	v_add_f32_e32 v112, v102, v86
	s_delay_alu instid0(VALU_DEP_2) | instskip(NEXT) | instid1(VALU_DEP_2)
	v_sub_f32_e32 v114, v101, v114
	v_dual_add_f32 v113, v101, v112 :: v_dual_sub_f32 v102, v112, v102
	s_delay_alu instid0(VALU_DEP_2) | instskip(NEXT) | instid1(VALU_DEP_2)
	v_sub_f32_e32 v85, v85, v114
	v_dual_sub_f32 v115, v113, v101 :: v_dual_sub_f32 v86, v86, v102
	s_delay_alu instid0(VALU_DEP_1) | instskip(SKIP_1) | instid1(VALU_DEP_3)
	v_sub_f32_e32 v116, v113, v115
	v_sub_f32_e32 v102, v112, v115
	v_add_f32_e32 v112, v85, v86
	s_delay_alu instid0(VALU_DEP_3) | instskip(NEXT) | instid1(VALU_DEP_1)
	v_sub_f32_e32 v101, v101, v116
	v_add_f32_e32 v101, v102, v101
	s_delay_alu instid0(VALU_DEP_3) | instskip(NEXT) | instid1(VALU_DEP_2)
	v_sub_f32_e32 v102, v112, v85
	v_add_f32_e32 v101, v112, v101
	s_delay_alu instid0(VALU_DEP_2) | instskip(SKIP_1) | instid1(VALU_DEP_3)
	v_sub_f32_e32 v112, v112, v102
	v_sub_f32_e32 v86, v86, v102
	v_add_f32_e32 v114, v113, v101
	s_delay_alu instid0(VALU_DEP_1) | instskip(NEXT) | instid1(VALU_DEP_1)
	v_dual_sub_f32 v85, v85, v112 :: v_dual_sub_f32 v102, v114, v113
	v_dual_add_f32 v85, v86, v85 :: v_dual_sub_f32 v86, v101, v102
	s_delay_alu instid0(VALU_DEP_1) | instskip(NEXT) | instid1(VALU_DEP_1)
	v_add_f32_e32 v85, v85, v86
	v_add_f32_e32 v85, v114, v85
	s_delay_alu instid0(VALU_DEP_1) | instskip(NEXT) | instid1(VALU_DEP_1)
	v_cndmask_b32_e32 v83, v85, v83, vcc_lo
	v_add_f32_e32 v83, v84, v83
	s_delay_alu instid0(VALU_DEP_1) | instskip(NEXT) | instid1(VALU_DEP_1)
	v_cvt_f16_f32_e32 v101, v83
	v_mov_b32_e32 v83, v101
	v_cvt_f32_f16_e32 v102, v101
.LBB390_226:
	s_or_b32 exec_lo, exec_lo, s3
	s_delay_alu instid0(VALU_DEP_1) | instskip(SKIP_1) | instid1(VALU_DEP_2)
	v_dual_max_f32 v84, v87, v87 :: v_dual_max_f32 v85, v102, v102
	v_cmp_u_f16_e32 vcc_lo, v101, v101
	v_min_f32_e32 v86, v85, v84
	s_delay_alu instid0(VALU_DEP_1) | instskip(NEXT) | instid1(VALU_DEP_1)
	v_dual_max_f32 v84, v85, v84 :: v_dual_cndmask_b32 v85, v86, v102
	v_cndmask_b32_e32 v84, v84, v102, vcc_lo
	s_delay_alu instid0(VALU_DEP_2) | instskip(NEXT) | instid1(VALU_DEP_2)
	v_cndmask_b32_e64 v86, v85, v87, s18
	v_cndmask_b32_e64 v85, v84, v87, s18
	v_mov_b32_e32 v84, v83
	s_delay_alu instid0(VALU_DEP_3) | instskip(NEXT) | instid1(VALU_DEP_3)
	v_cmp_class_f32_e64 s3, v86, 0x1f8
	v_cmp_neq_f32_e32 vcc_lo, v86, v85
	s_delay_alu instid0(VALU_DEP_2) | instskip(NEXT) | instid1(SALU_CYCLE_1)
	s_or_b32 s4, vcc_lo, s3
	s_and_saveexec_b32 s3, s4
	s_cbranch_execz .LBB390_228
; %bb.227:
	v_sub_f32_e32 v84, v86, v85
	s_mov_b32 s4, 0x3e9b6dac
	s_delay_alu instid0(VALU_DEP_1) | instskip(SKIP_1) | instid1(VALU_DEP_2)
	v_mul_f32_e32 v86, 0x3fb8aa3b, v84
	v_cmp_ngt_f32_e32 vcc_lo, 0xc2ce8ed0, v84
	v_fma_f32 v87, 0x3fb8aa3b, v84, -v86
	v_rndne_f32_e32 v101, v86
	s_delay_alu instid0(VALU_DEP_1) | instskip(NEXT) | instid1(VALU_DEP_1)
	v_dual_fmamk_f32 v87, v84, 0x32a5705f, v87 :: v_dual_sub_f32 v86, v86, v101
	v_add_f32_e32 v86, v86, v87
	v_cvt_i32_f32_e32 v87, v101
	s_delay_alu instid0(VALU_DEP_2) | instskip(SKIP_2) | instid1(VALU_DEP_1)
	v_exp_f32_e32 v86, v86
	s_waitcnt_depctr 0xfff
	v_ldexp_f32 v86, v86, v87
	v_cndmask_b32_e32 v86, 0, v86, vcc_lo
	v_cmp_nlt_f32_e32 vcc_lo, 0x42b17218, v84
	s_delay_alu instid0(VALU_DEP_2) | instskip(NEXT) | instid1(VALU_DEP_1)
	v_cndmask_b32_e32 v84, 0x7f800000, v86, vcc_lo
	v_add_f32_e32 v101, 1.0, v84
	s_delay_alu instid0(VALU_DEP_1) | instskip(NEXT) | instid1(VALU_DEP_1)
	v_cvt_f64_f32_e32 v[86:87], v101
	v_frexp_exp_i32_f64_e32 v86, v[86:87]
	v_frexp_mant_f32_e32 v87, v101
	s_delay_alu instid0(VALU_DEP_1) | instskip(SKIP_1) | instid1(VALU_DEP_1)
	v_cmp_gt_f32_e32 vcc_lo, 0x3f2aaaab, v87
	v_add_f32_e32 v87, -1.0, v101
	v_sub_f32_e32 v112, v87, v101
	s_delay_alu instid0(VALU_DEP_1) | instskip(SKIP_1) | instid1(VALU_DEP_1)
	v_add_f32_e32 v112, 1.0, v112
	v_subrev_co_ci_u32_e32 v86, vcc_lo, 0, v86, vcc_lo
	v_sub_nc_u32_e32 v102, 0, v86
	v_cvt_f32_i32_e32 v86, v86
	s_delay_alu instid0(VALU_DEP_2) | instskip(NEXT) | instid1(VALU_DEP_1)
	v_ldexp_f32 v101, v101, v102
	v_add_f32_e32 v113, 1.0, v101
	v_sub_f32_e32 v87, v84, v87
	v_cmp_eq_f32_e32 vcc_lo, 0x7f800000, v84
	s_delay_alu instid0(VALU_DEP_2) | instskip(NEXT) | instid1(VALU_DEP_1)
	v_add_f32_e32 v87, v87, v112
	v_ldexp_f32 v87, v87, v102
	v_add_f32_e32 v102, -1.0, v101
	v_add_f32_e32 v112, -1.0, v113
	s_delay_alu instid0(VALU_DEP_2) | instskip(NEXT) | instid1(VALU_DEP_2)
	v_add_f32_e32 v114, 1.0, v102
	v_sub_f32_e32 v112, v101, v112
	s_delay_alu instid0(VALU_DEP_1) | instskip(NEXT) | instid1(VALU_DEP_1)
	v_dual_sub_f32 v101, v101, v114 :: v_dual_add_f32 v112, v87, v112
	v_dual_add_f32 v87, v87, v101 :: v_dual_add_f32 v114, v113, v112
	s_delay_alu instid0(VALU_DEP_1) | instskip(SKIP_1) | instid1(VALU_DEP_1)
	v_rcp_f32_e32 v101, v114
	v_sub_f32_e32 v113, v113, v114
	v_dual_add_f32 v115, v102, v87 :: v_dual_add_f32 v112, v112, v113
	s_delay_alu instid0(VALU_DEP_1) | instskip(SKIP_3) | instid1(VALU_DEP_2)
	v_sub_f32_e32 v102, v102, v115
	s_waitcnt_depctr 0xfff
	v_mul_f32_e32 v116, v115, v101
	v_add_f32_e32 v87, v87, v102
	v_mul_f32_e32 v117, v114, v116
	s_delay_alu instid0(VALU_DEP_1) | instskip(NEXT) | instid1(VALU_DEP_1)
	v_fma_f32 v113, v116, v114, -v117
	v_fmac_f32_e32 v113, v116, v112
	s_delay_alu instid0(VALU_DEP_1) | instskip(NEXT) | instid1(VALU_DEP_1)
	v_add_f32_e32 v118, v117, v113
	v_sub_f32_e32 v119, v115, v118
	s_delay_alu instid0(VALU_DEP_1) | instskip(NEXT) | instid1(VALU_DEP_1)
	v_sub_f32_e32 v115, v115, v119
	v_dual_sub_f32 v115, v115, v118 :: v_dual_sub_f32 v102, v118, v117
	s_delay_alu instid0(VALU_DEP_1) | instskip(NEXT) | instid1(VALU_DEP_1)
	v_dual_add_f32 v87, v87, v115 :: v_dual_sub_f32 v102, v102, v113
	v_add_f32_e32 v87, v102, v87
	s_delay_alu instid0(VALU_DEP_1) | instskip(NEXT) | instid1(VALU_DEP_1)
	v_add_f32_e32 v102, v119, v87
	v_mul_f32_e32 v113, v101, v102
	s_delay_alu instid0(VALU_DEP_1) | instskip(NEXT) | instid1(VALU_DEP_1)
	v_dual_mul_f32 v115, v114, v113 :: v_dual_sub_f32 v118, v119, v102
	v_fma_f32 v114, v113, v114, -v115
	s_delay_alu instid0(VALU_DEP_1) | instskip(NEXT) | instid1(VALU_DEP_1)
	v_dual_add_f32 v87, v87, v118 :: v_dual_fmac_f32 v114, v113, v112
	v_add_f32_e32 v112, v115, v114
	s_delay_alu instid0(VALU_DEP_1) | instskip(NEXT) | instid1(VALU_DEP_1)
	v_sub_f32_e32 v117, v102, v112
	v_dual_sub_f32 v115, v112, v115 :: v_dual_sub_f32 v102, v102, v117
	s_delay_alu instid0(VALU_DEP_1) | instskip(NEXT) | instid1(VALU_DEP_1)
	v_sub_f32_e32 v102, v102, v112
	v_dual_add_f32 v87, v87, v102 :: v_dual_add_f32 v102, v116, v113
	s_delay_alu instid0(VALU_DEP_3) | instskip(NEXT) | instid1(VALU_DEP_1)
	v_sub_f32_e32 v112, v115, v114
	v_dual_add_f32 v87, v112, v87 :: v_dual_sub_f32 v112, v102, v116
	s_delay_alu instid0(VALU_DEP_1) | instskip(NEXT) | instid1(VALU_DEP_2)
	v_add_f32_e32 v87, v117, v87
	v_sub_f32_e32 v112, v113, v112
	s_delay_alu instid0(VALU_DEP_2) | instskip(NEXT) | instid1(VALU_DEP_1)
	v_mul_f32_e32 v87, v101, v87
	v_add_f32_e32 v87, v112, v87
	s_delay_alu instid0(VALU_DEP_1) | instskip(NEXT) | instid1(VALU_DEP_1)
	v_add_f32_e32 v101, v102, v87
	v_mul_f32_e32 v112, v101, v101
	s_delay_alu instid0(VALU_DEP_1) | instskip(SKIP_2) | instid1(VALU_DEP_3)
	v_fmaak_f32 v113, s4, v112, 0x3ecc95a3
	v_mul_f32_e32 v114, v101, v112
	v_cmp_gt_f32_e64 s4, 0x33800000, |v84|
	v_fmaak_f32 v112, v112, v113, 0x3f2aaada
	v_ldexp_f32 v113, v101, 1
	v_sub_f32_e32 v101, v101, v102
	s_delay_alu instid0(VALU_DEP_4) | instskip(NEXT) | instid1(VALU_DEP_1)
	s_or_b32 vcc_lo, vcc_lo, s4
	v_sub_f32_e32 v87, v87, v101
	s_delay_alu instid0(VALU_DEP_1) | instskip(SKIP_1) | instid1(VALU_DEP_1)
	v_ldexp_f32 v87, v87, 1
	v_mul_f32_e32 v112, v114, v112
	v_add_f32_e32 v102, v113, v112
	s_delay_alu instid0(VALU_DEP_1) | instskip(NEXT) | instid1(VALU_DEP_1)
	v_sub_f32_e32 v101, v102, v113
	v_sub_f32_e32 v101, v112, v101
	s_delay_alu instid0(VALU_DEP_1) | instskip(NEXT) | instid1(VALU_DEP_1)
	v_add_f32_e32 v87, v87, v101
	v_add_f32_e32 v112, v102, v87
	v_mul_f32_e32 v114, 0x3f317218, v86
	s_delay_alu instid0(VALU_DEP_1) | instskip(NEXT) | instid1(VALU_DEP_1)
	v_fma_f32 v113, 0x3f317218, v86, -v114
	v_fmamk_f32 v86, v86, 0xb102e308, v113
	s_delay_alu instid0(VALU_DEP_1) | instskip(NEXT) | instid1(VALU_DEP_1)
	v_add_f32_e32 v101, v114, v86
	v_add_f32_e32 v113, v101, v112
	s_delay_alu instid0(VALU_DEP_1) | instskip(NEXT) | instid1(VALU_DEP_1)
	v_sub_f32_e32 v115, v113, v101
	v_sub_f32_e32 v116, v113, v115
	;; [unrolled: 1-line block ×3, first 2 shown]
	s_delay_alu instid0(VALU_DEP_1) | instskip(SKIP_1) | instid1(VALU_DEP_4)
	v_dual_sub_f32 v87, v87, v102 :: v_dual_sub_f32 v102, v112, v115
	v_sub_f32_e32 v114, v101, v114
	v_sub_f32_e32 v101, v101, v116
	s_delay_alu instid0(VALU_DEP_1) | instskip(NEXT) | instid1(VALU_DEP_3)
	v_add_f32_e32 v101, v102, v101
	v_sub_f32_e32 v86, v86, v114
	s_delay_alu instid0(VALU_DEP_1) | instskip(NEXT) | instid1(VALU_DEP_1)
	v_add_f32_e32 v112, v86, v87
	v_add_f32_e32 v101, v112, v101
	v_sub_f32_e32 v102, v112, v86
	s_delay_alu instid0(VALU_DEP_1) | instskip(SKIP_1) | instid1(VALU_DEP_2)
	v_dual_add_f32 v114, v113, v101 :: v_dual_sub_f32 v87, v87, v102
	v_sub_f32_e32 v112, v112, v102
	v_sub_f32_e32 v102, v114, v113
	s_delay_alu instid0(VALU_DEP_2) | instskip(NEXT) | instid1(VALU_DEP_1)
	v_sub_f32_e32 v86, v86, v112
	v_add_f32_e32 v86, v87, v86
	s_delay_alu instid0(VALU_DEP_3) | instskip(NEXT) | instid1(VALU_DEP_1)
	v_sub_f32_e32 v87, v101, v102
	v_add_f32_e32 v86, v86, v87
	s_delay_alu instid0(VALU_DEP_1) | instskip(NEXT) | instid1(VALU_DEP_1)
	v_add_f32_e32 v86, v114, v86
	v_cndmask_b32_e32 v84, v86, v84, vcc_lo
	s_delay_alu instid0(VALU_DEP_1) | instskip(NEXT) | instid1(VALU_DEP_1)
	v_add_f32_e32 v84, v85, v84
	v_cvt_f16_f32_e32 v101, v84
	s_delay_alu instid0(VALU_DEP_1)
	v_cvt_f32_f16_e32 v102, v101
	v_mov_b32_e32 v84, v101
.LBB390_228:
	s_or_b32 exec_lo, exec_lo, s3
	s_delay_alu instid0(VALU_DEP_2) | instskip(SKIP_1) | instid1(VALU_DEP_2)
	v_dual_max_f32 v85, v96, v96 :: v_dual_max_f32 v86, v102, v102
	v_cmp_u_f16_e32 vcc_lo, v101, v101
	v_min_f32_e32 v87, v86, v85
	s_delay_alu instid0(VALU_DEP_1) | instskip(NEXT) | instid1(VALU_DEP_1)
	v_dual_max_f32 v85, v86, v85 :: v_dual_cndmask_b32 v86, v87, v102
	v_cndmask_b32_e32 v85, v85, v102, vcc_lo
	s_delay_alu instid0(VALU_DEP_2) | instskip(NEXT) | instid1(VALU_DEP_2)
	v_cndmask_b32_e64 v87, v86, v96, s19
	v_cndmask_b32_e64 v86, v85, v96, s19
	v_mov_b32_e32 v85, v84
	s_delay_alu instid0(VALU_DEP_3) | instskip(NEXT) | instid1(VALU_DEP_3)
	v_cmp_class_f32_e64 s3, v87, 0x1f8
	v_cmp_neq_f32_e32 vcc_lo, v87, v86
	s_delay_alu instid0(VALU_DEP_2) | instskip(NEXT) | instid1(SALU_CYCLE_1)
	s_or_b32 s4, vcc_lo, s3
	s_and_saveexec_b32 s3, s4
	s_cbranch_execz .LBB390_230
; %bb.229:
	v_sub_f32_e32 v85, v87, v86
	s_mov_b32 s4, 0x3e9b6dac
	s_delay_alu instid0(VALU_DEP_1) | instskip(SKIP_1) | instid1(VALU_DEP_2)
	v_mul_f32_e32 v87, 0x3fb8aa3b, v85
	v_cmp_ngt_f32_e32 vcc_lo, 0xc2ce8ed0, v85
	v_fma_f32 v96, 0x3fb8aa3b, v85, -v87
	v_rndne_f32_e32 v101, v87
	s_delay_alu instid0(VALU_DEP_1) | instskip(NEXT) | instid1(VALU_DEP_1)
	v_dual_fmamk_f32 v96, v85, 0x32a5705f, v96 :: v_dual_sub_f32 v87, v87, v101
	v_add_f32_e32 v87, v87, v96
	v_cvt_i32_f32_e32 v96, v101
	s_delay_alu instid0(VALU_DEP_2) | instskip(SKIP_2) | instid1(VALU_DEP_1)
	v_exp_f32_e32 v87, v87
	s_waitcnt_depctr 0xfff
	v_ldexp_f32 v87, v87, v96
	v_cndmask_b32_e32 v87, 0, v87, vcc_lo
	v_cmp_nlt_f32_e32 vcc_lo, 0x42b17218, v85
	s_delay_alu instid0(VALU_DEP_2) | instskip(NEXT) | instid1(VALU_DEP_1)
	v_cndmask_b32_e32 v85, 0x7f800000, v87, vcc_lo
	v_add_f32_e32 v87, 1.0, v85
	s_delay_alu instid0(VALU_DEP_1) | instskip(NEXT) | instid1(VALU_DEP_1)
	v_cvt_f64_f32_e32 v[101:102], v87
	v_frexp_exp_i32_f64_e32 v96, v[101:102]
	v_frexp_mant_f32_e32 v101, v87
	s_delay_alu instid0(VALU_DEP_1) | instskip(SKIP_1) | instid1(VALU_DEP_1)
	v_cmp_gt_f32_e32 vcc_lo, 0x3f2aaaab, v101
	v_add_f32_e32 v101, -1.0, v87
	v_sub_f32_e32 v112, v101, v87
	s_delay_alu instid0(VALU_DEP_1) | instskip(SKIP_1) | instid1(VALU_DEP_1)
	v_add_f32_e32 v112, 1.0, v112
	v_subrev_co_ci_u32_e32 v96, vcc_lo, 0, v96, vcc_lo
	v_sub_nc_u32_e32 v102, 0, v96
	v_cvt_f32_i32_e32 v96, v96
	s_delay_alu instid0(VALU_DEP_2) | instskip(SKIP_1) | instid1(VALU_DEP_2)
	v_ldexp_f32 v87, v87, v102
	v_sub_f32_e32 v101, v85, v101
	v_add_f32_e32 v113, 1.0, v87
	s_delay_alu instid0(VALU_DEP_1) | instskip(NEXT) | instid1(VALU_DEP_1)
	v_dual_add_f32 v101, v101, v112 :: v_dual_add_f32 v112, -1.0, v113
	v_ldexp_f32 v101, v101, v102
	v_add_f32_e32 v102, -1.0, v87
	s_delay_alu instid0(VALU_DEP_3) | instskip(SKIP_1) | instid1(VALU_DEP_3)
	v_sub_f32_e32 v112, v87, v112
	v_cmp_eq_f32_e32 vcc_lo, 0x7f800000, v85
	v_add_f32_e32 v114, 1.0, v102
	s_delay_alu instid0(VALU_DEP_1) | instskip(NEXT) | instid1(VALU_DEP_1)
	v_dual_add_f32 v112, v101, v112 :: v_dual_sub_f32 v87, v87, v114
	v_add_f32_e32 v114, v113, v112
	s_delay_alu instid0(VALU_DEP_2) | instskip(NEXT) | instid1(VALU_DEP_2)
	v_add_f32_e32 v87, v101, v87
	v_rcp_f32_e32 v101, v114
	s_delay_alu instid0(VALU_DEP_1) | instskip(NEXT) | instid1(VALU_DEP_1)
	v_add_f32_e32 v115, v102, v87
	v_sub_f32_e32 v102, v102, v115
	s_waitcnt_depctr 0xfff
	v_dual_mul_f32 v116, v115, v101 :: v_dual_sub_f32 v113, v113, v114
	v_add_f32_e32 v87, v87, v102
	s_delay_alu instid0(VALU_DEP_2) | instskip(NEXT) | instid1(VALU_DEP_1)
	v_dual_mul_f32 v117, v114, v116 :: v_dual_add_f32 v112, v112, v113
	v_fma_f32 v113, v116, v114, -v117
	s_delay_alu instid0(VALU_DEP_1) | instskip(NEXT) | instid1(VALU_DEP_1)
	v_fmac_f32_e32 v113, v116, v112
	v_add_f32_e32 v118, v117, v113
	s_delay_alu instid0(VALU_DEP_1) | instskip(NEXT) | instid1(VALU_DEP_1)
	v_dual_sub_f32 v102, v118, v117 :: v_dual_sub_f32 v119, v115, v118
	v_dual_sub_f32 v102, v102, v113 :: v_dual_sub_f32 v115, v115, v119
	s_delay_alu instid0(VALU_DEP_1) | instskip(NEXT) | instid1(VALU_DEP_1)
	v_sub_f32_e32 v115, v115, v118
	v_add_f32_e32 v87, v87, v115
	s_delay_alu instid0(VALU_DEP_1) | instskip(NEXT) | instid1(VALU_DEP_1)
	v_add_f32_e32 v87, v102, v87
	v_add_f32_e32 v102, v119, v87
	s_delay_alu instid0(VALU_DEP_1) | instskip(SKIP_1) | instid1(VALU_DEP_2)
	v_sub_f32_e32 v118, v119, v102
	v_mul_f32_e32 v113, v101, v102
	v_add_f32_e32 v87, v87, v118
	s_delay_alu instid0(VALU_DEP_2) | instskip(NEXT) | instid1(VALU_DEP_1)
	v_mul_f32_e32 v115, v114, v113
	v_fma_f32 v114, v113, v114, -v115
	s_delay_alu instid0(VALU_DEP_1) | instskip(NEXT) | instid1(VALU_DEP_1)
	v_fmac_f32_e32 v114, v113, v112
	v_add_f32_e32 v112, v115, v114
	s_delay_alu instid0(VALU_DEP_1) | instskip(SKIP_1) | instid1(VALU_DEP_1)
	v_sub_f32_e32 v115, v112, v115
	v_sub_f32_e32 v117, v102, v112
	;; [unrolled: 1-line block ×3, first 2 shown]
	s_delay_alu instid0(VALU_DEP_1) | instskip(NEXT) | instid1(VALU_DEP_4)
	v_sub_f32_e32 v102, v102, v112
	v_sub_f32_e32 v112, v115, v114
	s_delay_alu instid0(VALU_DEP_2) | instskip(NEXT) | instid1(VALU_DEP_1)
	v_dual_add_f32 v87, v87, v102 :: v_dual_add_f32 v102, v116, v113
	v_dual_add_f32 v87, v112, v87 :: v_dual_sub_f32 v112, v102, v116
	s_delay_alu instid0(VALU_DEP_1) | instskip(NEXT) | instid1(VALU_DEP_2)
	v_add_f32_e32 v87, v117, v87
	v_sub_f32_e32 v112, v113, v112
	s_delay_alu instid0(VALU_DEP_2) | instskip(NEXT) | instid1(VALU_DEP_1)
	v_mul_f32_e32 v87, v101, v87
	v_add_f32_e32 v87, v112, v87
	s_delay_alu instid0(VALU_DEP_1) | instskip(NEXT) | instid1(VALU_DEP_1)
	v_add_f32_e32 v101, v102, v87
	v_mul_f32_e32 v112, v101, v101
	s_delay_alu instid0(VALU_DEP_1) | instskip(SKIP_2) | instid1(VALU_DEP_3)
	v_fmaak_f32 v113, s4, v112, 0x3ecc95a3
	v_mul_f32_e32 v114, v101, v112
	v_cmp_gt_f32_e64 s4, 0x33800000, |v85|
	v_fmaak_f32 v112, v112, v113, 0x3f2aaada
	v_ldexp_f32 v113, v101, 1
	v_sub_f32_e32 v101, v101, v102
	s_delay_alu instid0(VALU_DEP_4) | instskip(NEXT) | instid1(VALU_DEP_3)
	s_or_b32 vcc_lo, vcc_lo, s4
	v_mul_f32_e32 v112, v114, v112
	s_delay_alu instid0(VALU_DEP_2) | instskip(NEXT) | instid1(VALU_DEP_2)
	v_dual_mul_f32 v114, 0x3f317218, v96 :: v_dual_sub_f32 v87, v87, v101
	v_add_f32_e32 v102, v113, v112
	s_delay_alu instid0(VALU_DEP_2) | instskip(NEXT) | instid1(VALU_DEP_2)
	v_ldexp_f32 v87, v87, 1
	v_sub_f32_e32 v101, v102, v113
	s_delay_alu instid0(VALU_DEP_4) | instskip(NEXT) | instid1(VALU_DEP_2)
	v_fma_f32 v113, 0x3f317218, v96, -v114
	v_sub_f32_e32 v101, v112, v101
	s_delay_alu instid0(VALU_DEP_1) | instskip(NEXT) | instid1(VALU_DEP_1)
	v_dual_fmamk_f32 v96, v96, 0xb102e308, v113 :: v_dual_add_f32 v87, v87, v101
	v_add_f32_e32 v112, v102, v87
	s_delay_alu instid0(VALU_DEP_1) | instskip(NEXT) | instid1(VALU_DEP_1)
	v_sub_f32_e32 v102, v112, v102
	v_sub_f32_e32 v87, v87, v102
	s_delay_alu instid0(VALU_DEP_4) | instskip(NEXT) | instid1(VALU_DEP_1)
	v_add_f32_e32 v101, v114, v96
	v_add_f32_e32 v113, v101, v112
	v_sub_f32_e32 v114, v101, v114
	s_delay_alu instid0(VALU_DEP_1) | instskip(NEXT) | instid1(VALU_DEP_1)
	v_dual_sub_f32 v96, v96, v114 :: v_dual_sub_f32 v115, v113, v101
	v_sub_f32_e32 v116, v113, v115
	v_sub_f32_e32 v102, v112, v115
	s_delay_alu instid0(VALU_DEP_2) | instskip(NEXT) | instid1(VALU_DEP_1)
	v_dual_add_f32 v112, v96, v87 :: v_dual_sub_f32 v101, v101, v116
	v_dual_add_f32 v101, v102, v101 :: v_dual_sub_f32 v102, v112, v96
	s_delay_alu instid0(VALU_DEP_1) | instskip(NEXT) | instid1(VALU_DEP_2)
	v_add_f32_e32 v101, v112, v101
	v_sub_f32_e32 v112, v112, v102
	s_delay_alu instid0(VALU_DEP_2) | instskip(NEXT) | instid1(VALU_DEP_2)
	v_dual_add_f32 v114, v113, v101 :: v_dual_sub_f32 v87, v87, v102
	v_sub_f32_e32 v96, v96, v112
	s_delay_alu instid0(VALU_DEP_1) | instskip(NEXT) | instid1(VALU_DEP_1)
	v_dual_sub_f32 v102, v114, v113 :: v_dual_add_f32 v87, v87, v96
	v_sub_f32_e32 v96, v101, v102
	s_delay_alu instid0(VALU_DEP_1) | instskip(NEXT) | instid1(VALU_DEP_1)
	v_add_f32_e32 v87, v87, v96
	v_add_f32_e32 v87, v114, v87
	s_delay_alu instid0(VALU_DEP_1) | instskip(NEXT) | instid1(VALU_DEP_1)
	v_cndmask_b32_e32 v85, v87, v85, vcc_lo
	v_add_f32_e32 v85, v86, v85
	s_delay_alu instid0(VALU_DEP_1) | instskip(NEXT) | instid1(VALU_DEP_1)
	v_cvt_f16_f32_e32 v101, v85
	v_cvt_f32_f16_e32 v102, v101
	v_mov_b32_e32 v85, v101
.LBB390_230:
	s_or_b32 exec_lo, exec_lo, s3
	s_delay_alu instid0(VALU_DEP_2) | instskip(SKIP_1) | instid1(VALU_DEP_2)
	v_dual_max_f32 v86, v97, v97 :: v_dual_max_f32 v87, v102, v102
	v_cmp_u_f16_e32 vcc_lo, v101, v101
	v_min_f32_e32 v96, v87, v86
	v_max_f32_e32 v86, v87, v86
	s_delay_alu instid0(VALU_DEP_2) | instskip(NEXT) | instid1(VALU_DEP_2)
	v_cndmask_b32_e32 v87, v96, v102, vcc_lo
	v_cndmask_b32_e32 v86, v86, v102, vcc_lo
	s_delay_alu instid0(VALU_DEP_2) | instskip(NEXT) | instid1(VALU_DEP_2)
	v_cndmask_b32_e64 v96, v87, v97, s20
	v_cndmask_b32_e64 v87, v86, v97, s20
	v_mov_b32_e32 v86, v85
	s_delay_alu instid0(VALU_DEP_3) | instskip(NEXT) | instid1(VALU_DEP_3)
	v_cmp_class_f32_e64 s3, v96, 0x1f8
	v_cmp_neq_f32_e32 vcc_lo, v96, v87
	s_delay_alu instid0(VALU_DEP_2) | instskip(NEXT) | instid1(SALU_CYCLE_1)
	s_or_b32 s4, vcc_lo, s3
	s_and_saveexec_b32 s3, s4
	s_cbranch_execz .LBB390_232
; %bb.231:
	v_sub_f32_e32 v86, v96, v87
	s_mov_b32 s4, 0x3e9b6dac
	s_delay_alu instid0(VALU_DEP_1) | instskip(SKIP_1) | instid1(VALU_DEP_2)
	v_mul_f32_e32 v96, 0x3fb8aa3b, v86
	v_cmp_ngt_f32_e32 vcc_lo, 0xc2ce8ed0, v86
	v_fma_f32 v97, 0x3fb8aa3b, v86, -v96
	v_rndne_f32_e32 v101, v96
	s_delay_alu instid0(VALU_DEP_1) | instskip(NEXT) | instid1(VALU_DEP_1)
	v_dual_fmamk_f32 v97, v86, 0x32a5705f, v97 :: v_dual_sub_f32 v96, v96, v101
	v_add_f32_e32 v96, v96, v97
	v_cvt_i32_f32_e32 v97, v101
	s_delay_alu instid0(VALU_DEP_2) | instskip(SKIP_2) | instid1(VALU_DEP_1)
	v_exp_f32_e32 v96, v96
	s_waitcnt_depctr 0xfff
	v_ldexp_f32 v96, v96, v97
	v_cndmask_b32_e32 v96, 0, v96, vcc_lo
	v_cmp_nlt_f32_e32 vcc_lo, 0x42b17218, v86
	s_delay_alu instid0(VALU_DEP_2) | instskip(NEXT) | instid1(VALU_DEP_1)
	v_cndmask_b32_e32 v86, 0x7f800000, v96, vcc_lo
	v_add_f32_e32 v101, 1.0, v86
	s_delay_alu instid0(VALU_DEP_1) | instskip(NEXT) | instid1(VALU_DEP_1)
	v_cvt_f64_f32_e32 v[96:97], v101
	v_frexp_exp_i32_f64_e32 v96, v[96:97]
	v_frexp_mant_f32_e32 v97, v101
	s_delay_alu instid0(VALU_DEP_1) | instskip(SKIP_1) | instid1(VALU_DEP_1)
	v_cmp_gt_f32_e32 vcc_lo, 0x3f2aaaab, v97
	v_add_f32_e32 v97, -1.0, v101
	v_sub_f32_e32 v112, v97, v101
	s_delay_alu instid0(VALU_DEP_1) | instskip(SKIP_1) | instid1(VALU_DEP_1)
	v_dual_sub_f32 v97, v86, v97 :: v_dual_add_f32 v112, 1.0, v112
	v_subrev_co_ci_u32_e32 v96, vcc_lo, 0, v96, vcc_lo
	v_sub_nc_u32_e32 v102, 0, v96
	v_cvt_f32_i32_e32 v96, v96
	s_delay_alu instid0(VALU_DEP_2) | instskip(NEXT) | instid1(VALU_DEP_1)
	v_ldexp_f32 v101, v101, v102
	v_add_f32_e32 v113, 1.0, v101
	s_delay_alu instid0(VALU_DEP_1) | instskip(NEXT) | instid1(VALU_DEP_1)
	v_dual_add_f32 v97, v97, v112 :: v_dual_add_f32 v112, -1.0, v113
	v_ldexp_f32 v97, v97, v102
	v_add_f32_e32 v102, -1.0, v101
	s_delay_alu instid0(VALU_DEP_3) | instskip(NEXT) | instid1(VALU_DEP_2)
	v_sub_f32_e32 v112, v101, v112
	v_add_f32_e32 v114, 1.0, v102
	s_delay_alu instid0(VALU_DEP_2) | instskip(NEXT) | instid1(VALU_DEP_2)
	v_add_f32_e32 v112, v97, v112
	v_sub_f32_e32 v101, v101, v114
	v_cmp_eq_f32_e32 vcc_lo, 0x7f800000, v86
	s_delay_alu instid0(VALU_DEP_3) | instskip(NEXT) | instid1(VALU_DEP_3)
	v_add_f32_e32 v114, v113, v112
	v_add_f32_e32 v97, v97, v101
	s_delay_alu instid0(VALU_DEP_2) | instskip(SKIP_1) | instid1(VALU_DEP_2)
	v_rcp_f32_e32 v101, v114
	v_sub_f32_e32 v113, v113, v114
	v_add_f32_e32 v115, v102, v97
	s_delay_alu instid0(VALU_DEP_2) | instskip(NEXT) | instid1(VALU_DEP_2)
	v_add_f32_e32 v112, v112, v113
	v_sub_f32_e32 v102, v102, v115
	s_waitcnt_depctr 0xfff
	v_dual_mul_f32 v116, v115, v101 :: v_dual_add_f32 v97, v97, v102
	s_delay_alu instid0(VALU_DEP_1) | instskip(NEXT) | instid1(VALU_DEP_1)
	v_mul_f32_e32 v117, v114, v116
	v_fma_f32 v113, v116, v114, -v117
	s_delay_alu instid0(VALU_DEP_1) | instskip(NEXT) | instid1(VALU_DEP_1)
	v_fmac_f32_e32 v113, v116, v112
	v_add_f32_e32 v118, v117, v113
	s_delay_alu instid0(VALU_DEP_1) | instskip(NEXT) | instid1(VALU_DEP_1)
	v_sub_f32_e32 v119, v115, v118
	v_sub_f32_e32 v115, v115, v119
	s_delay_alu instid0(VALU_DEP_1) | instskip(NEXT) | instid1(VALU_DEP_1)
	v_dual_sub_f32 v115, v115, v118 :: v_dual_sub_f32 v102, v118, v117
	v_dual_add_f32 v97, v97, v115 :: v_dual_sub_f32 v102, v102, v113
	s_delay_alu instid0(VALU_DEP_1) | instskip(NEXT) | instid1(VALU_DEP_1)
	v_add_f32_e32 v97, v102, v97
	v_add_f32_e32 v102, v119, v97
	s_delay_alu instid0(VALU_DEP_1) | instskip(NEXT) | instid1(VALU_DEP_1)
	v_mul_f32_e32 v113, v101, v102
	v_dual_sub_f32 v118, v119, v102 :: v_dual_mul_f32 v115, v114, v113
	s_delay_alu instid0(VALU_DEP_1) | instskip(NEXT) | instid1(VALU_DEP_1)
	v_fma_f32 v114, v113, v114, -v115
	v_fmac_f32_e32 v114, v113, v112
	s_delay_alu instid0(VALU_DEP_3) | instskip(NEXT) | instid1(VALU_DEP_2)
	v_add_f32_e32 v97, v97, v118
	v_add_f32_e32 v112, v115, v114
	s_delay_alu instid0(VALU_DEP_1) | instskip(NEXT) | instid1(VALU_DEP_1)
	v_sub_f32_e32 v117, v102, v112
	v_dual_sub_f32 v115, v112, v115 :: v_dual_sub_f32 v102, v102, v117
	s_delay_alu instid0(VALU_DEP_1) | instskip(NEXT) | instid1(VALU_DEP_2)
	v_sub_f32_e32 v102, v102, v112
	v_sub_f32_e32 v112, v115, v114
	s_delay_alu instid0(VALU_DEP_2) | instskip(NEXT) | instid1(VALU_DEP_1)
	v_dual_add_f32 v97, v97, v102 :: v_dual_add_f32 v102, v116, v113
	v_dual_add_f32 v97, v112, v97 :: v_dual_sub_f32 v112, v102, v116
	s_delay_alu instid0(VALU_DEP_1) | instskip(NEXT) | instid1(VALU_DEP_2)
	v_add_f32_e32 v97, v117, v97
	v_sub_f32_e32 v112, v113, v112
	s_delay_alu instid0(VALU_DEP_2) | instskip(NEXT) | instid1(VALU_DEP_1)
	v_mul_f32_e32 v97, v101, v97
	v_add_f32_e32 v97, v112, v97
	s_delay_alu instid0(VALU_DEP_1) | instskip(NEXT) | instid1(VALU_DEP_1)
	v_add_f32_e32 v101, v102, v97
	v_mul_f32_e32 v112, v101, v101
	s_delay_alu instid0(VALU_DEP_1) | instskip(SKIP_2) | instid1(VALU_DEP_3)
	v_fmaak_f32 v113, s4, v112, 0x3ecc95a3
	v_mul_f32_e32 v114, v101, v112
	v_cmp_gt_f32_e64 s4, 0x33800000, |v86|
	v_fmaak_f32 v112, v112, v113, 0x3f2aaada
	v_ldexp_f32 v113, v101, 1
	v_sub_f32_e32 v101, v101, v102
	s_delay_alu instid0(VALU_DEP_4) | instskip(NEXT) | instid1(VALU_DEP_1)
	s_or_b32 vcc_lo, vcc_lo, s4
	v_dual_mul_f32 v112, v114, v112 :: v_dual_sub_f32 v97, v97, v101
	s_delay_alu instid0(VALU_DEP_1) | instskip(SKIP_1) | instid1(VALU_DEP_3)
	v_add_f32_e32 v102, v113, v112
	v_mul_f32_e32 v114, 0x3f317218, v96
	v_ldexp_f32 v97, v97, 1
	s_delay_alu instid0(VALU_DEP_3) | instskip(NEXT) | instid1(VALU_DEP_3)
	v_sub_f32_e32 v101, v102, v113
	v_fma_f32 v113, 0x3f317218, v96, -v114
	s_delay_alu instid0(VALU_DEP_2) | instskip(NEXT) | instid1(VALU_DEP_1)
	v_sub_f32_e32 v101, v112, v101
	v_dual_fmamk_f32 v96, v96, 0xb102e308, v113 :: v_dual_add_f32 v97, v97, v101
	s_delay_alu instid0(VALU_DEP_1) | instskip(NEXT) | instid1(VALU_DEP_2)
	v_add_f32_e32 v101, v114, v96
	v_add_f32_e32 v112, v102, v97
	s_delay_alu instid0(VALU_DEP_2) | instskip(NEXT) | instid1(VALU_DEP_1)
	v_sub_f32_e32 v114, v101, v114
	v_dual_add_f32 v113, v101, v112 :: v_dual_sub_f32 v96, v96, v114
	s_delay_alu instid0(VALU_DEP_1) | instskip(NEXT) | instid1(VALU_DEP_1)
	v_sub_f32_e32 v115, v113, v101
	v_sub_f32_e32 v116, v113, v115
	s_delay_alu instid0(VALU_DEP_1) | instskip(NEXT) | instid1(VALU_DEP_1)
	v_dual_sub_f32 v101, v101, v116 :: v_dual_sub_f32 v102, v112, v102
	v_dual_sub_f32 v97, v97, v102 :: v_dual_sub_f32 v102, v112, v115
	s_delay_alu instid0(VALU_DEP_1) | instskip(NEXT) | instid1(VALU_DEP_1)
	v_add_f32_e32 v112, v96, v97
	v_dual_add_f32 v101, v102, v101 :: v_dual_sub_f32 v102, v112, v96
	s_delay_alu instid0(VALU_DEP_1) | instskip(NEXT) | instid1(VALU_DEP_2)
	v_sub_f32_e32 v97, v97, v102
	v_add_f32_e32 v101, v112, v101
	v_sub_f32_e32 v112, v112, v102
	s_delay_alu instid0(VALU_DEP_2) | instskip(NEXT) | instid1(VALU_DEP_1)
	v_add_f32_e32 v114, v113, v101
	v_sub_f32_e32 v102, v114, v113
	s_delay_alu instid0(VALU_DEP_3) | instskip(NEXT) | instid1(VALU_DEP_1)
	v_sub_f32_e32 v96, v96, v112
	v_add_f32_e32 v96, v97, v96
	s_delay_alu instid0(VALU_DEP_3) | instskip(NEXT) | instid1(VALU_DEP_1)
	v_sub_f32_e32 v97, v101, v102
	v_add_f32_e32 v96, v96, v97
	s_delay_alu instid0(VALU_DEP_1) | instskip(NEXT) | instid1(VALU_DEP_1)
	v_add_f32_e32 v96, v114, v96
	v_cndmask_b32_e32 v86, v96, v86, vcc_lo
	s_delay_alu instid0(VALU_DEP_1) | instskip(NEXT) | instid1(VALU_DEP_1)
	v_add_f32_e32 v86, v87, v86
	v_cvt_f16_f32_e32 v101, v86
	s_delay_alu instid0(VALU_DEP_1)
	v_cvt_f32_f16_e32 v102, v101
	v_mov_b32_e32 v86, v101
.LBB390_232:
	s_or_b32 exec_lo, exec_lo, s3
	v_max_f32_e32 v87, v98, v98
	s_delay_alu instid0(VALU_DEP_3) | instskip(SKIP_1) | instid1(VALU_DEP_2)
	v_max_f32_e32 v96, v102, v102
	v_cmp_u_f16_e32 vcc_lo, v101, v101
	v_min_f32_e32 v97, v96, v87
	s_delay_alu instid0(VALU_DEP_1) | instskip(NEXT) | instid1(VALU_DEP_1)
	v_dual_max_f32 v87, v96, v87 :: v_dual_cndmask_b32 v96, v97, v102
	v_cndmask_b32_e32 v87, v87, v102, vcc_lo
	s_delay_alu instid0(VALU_DEP_2) | instskip(NEXT) | instid1(VALU_DEP_2)
	v_cndmask_b32_e64 v97, v96, v98, s21
	v_cndmask_b32_e64 v96, v87, v98, s21
	v_mov_b32_e32 v87, v86
	s_delay_alu instid0(VALU_DEP_3) | instskip(NEXT) | instid1(VALU_DEP_3)
	v_cmp_class_f32_e64 s3, v97, 0x1f8
	v_cmp_neq_f32_e32 vcc_lo, v97, v96
	s_delay_alu instid0(VALU_DEP_2) | instskip(NEXT) | instid1(SALU_CYCLE_1)
	s_or_b32 s4, vcc_lo, s3
	s_and_saveexec_b32 s3, s4
	s_cbranch_execz .LBB390_234
; %bb.233:
	v_sub_f32_e32 v87, v97, v96
	s_mov_b32 s4, 0x3e9b6dac
	s_delay_alu instid0(VALU_DEP_1) | instskip(SKIP_1) | instid1(VALU_DEP_2)
	v_mul_f32_e32 v97, 0x3fb8aa3b, v87
	v_cmp_ngt_f32_e32 vcc_lo, 0xc2ce8ed0, v87
	v_fma_f32 v98, 0x3fb8aa3b, v87, -v97
	v_rndne_f32_e32 v101, v97
	s_delay_alu instid0(VALU_DEP_1) | instskip(NEXT) | instid1(VALU_DEP_1)
	v_dual_fmamk_f32 v98, v87, 0x32a5705f, v98 :: v_dual_sub_f32 v97, v97, v101
	v_add_f32_e32 v97, v97, v98
	v_cvt_i32_f32_e32 v98, v101
	s_delay_alu instid0(VALU_DEP_2) | instskip(SKIP_2) | instid1(VALU_DEP_1)
	v_exp_f32_e32 v97, v97
	s_waitcnt_depctr 0xfff
	v_ldexp_f32 v97, v97, v98
	v_cndmask_b32_e32 v97, 0, v97, vcc_lo
	v_cmp_nlt_f32_e32 vcc_lo, 0x42b17218, v87
	s_delay_alu instid0(VALU_DEP_2) | instskip(NEXT) | instid1(VALU_DEP_1)
	v_cndmask_b32_e32 v87, 0x7f800000, v97, vcc_lo
	v_add_f32_e32 v101, 1.0, v87
	s_delay_alu instid0(VALU_DEP_1) | instskip(NEXT) | instid1(VALU_DEP_1)
	v_cvt_f64_f32_e32 v[97:98], v101
	v_frexp_exp_i32_f64_e32 v97, v[97:98]
	v_frexp_mant_f32_e32 v98, v101
	s_delay_alu instid0(VALU_DEP_1) | instskip(SKIP_1) | instid1(VALU_DEP_1)
	v_cmp_gt_f32_e32 vcc_lo, 0x3f2aaaab, v98
	v_add_f32_e32 v98, -1.0, v101
	v_sub_f32_e32 v112, v98, v101
	v_sub_f32_e32 v98, v87, v98
	s_delay_alu instid0(VALU_DEP_2) | instskip(NEXT) | instid1(VALU_DEP_1)
	v_add_f32_e32 v112, 1.0, v112
	v_add_f32_e32 v98, v98, v112
	v_subrev_co_ci_u32_e32 v97, vcc_lo, 0, v97, vcc_lo
	v_cmp_eq_f32_e32 vcc_lo, 0x7f800000, v87
	s_delay_alu instid0(VALU_DEP_2) | instskip(SKIP_1) | instid1(VALU_DEP_2)
	v_sub_nc_u32_e32 v102, 0, v97
	v_cvt_f32_i32_e32 v97, v97
	v_ldexp_f32 v101, v101, v102
	v_ldexp_f32 v98, v98, v102
	s_delay_alu instid0(VALU_DEP_2) | instskip(SKIP_1) | instid1(VALU_DEP_2)
	v_add_f32_e32 v113, 1.0, v101
	v_add_f32_e32 v102, -1.0, v101
	v_add_f32_e32 v112, -1.0, v113
	s_delay_alu instid0(VALU_DEP_2) | instskip(NEXT) | instid1(VALU_DEP_2)
	v_add_f32_e32 v114, 1.0, v102
	v_sub_f32_e32 v112, v101, v112
	s_delay_alu instid0(VALU_DEP_1) | instskip(NEXT) | instid1(VALU_DEP_1)
	v_dual_sub_f32 v101, v101, v114 :: v_dual_add_f32 v112, v98, v112
	v_add_f32_e32 v98, v98, v101
	s_delay_alu instid0(VALU_DEP_1) | instskip(NEXT) | instid1(VALU_DEP_1)
	v_dual_add_f32 v114, v113, v112 :: v_dual_add_f32 v115, v102, v98
	v_rcp_f32_e32 v101, v114
	v_sub_f32_e32 v113, v113, v114
	s_delay_alu instid0(VALU_DEP_1) | instskip(SKIP_2) | instid1(VALU_DEP_1)
	v_add_f32_e32 v112, v112, v113
	s_waitcnt_depctr 0xfff
	v_mul_f32_e32 v116, v115, v101
	v_mul_f32_e32 v117, v114, v116
	s_delay_alu instid0(VALU_DEP_1) | instskip(NEXT) | instid1(VALU_DEP_1)
	v_fma_f32 v113, v116, v114, -v117
	v_fmac_f32_e32 v113, v116, v112
	s_delay_alu instid0(VALU_DEP_1) | instskip(NEXT) | instid1(VALU_DEP_1)
	v_add_f32_e32 v118, v117, v113
	v_dual_sub_f32 v102, v102, v115 :: v_dual_sub_f32 v119, v115, v118
	s_delay_alu instid0(VALU_DEP_1) | instskip(NEXT) | instid1(VALU_DEP_1)
	v_sub_f32_e32 v115, v115, v119
	v_sub_f32_e32 v115, v115, v118
	s_delay_alu instid0(VALU_DEP_3) | instskip(SKIP_1) | instid1(VALU_DEP_2)
	v_add_f32_e32 v98, v98, v102
	v_sub_f32_e32 v102, v118, v117
	v_add_f32_e32 v98, v98, v115
	s_delay_alu instid0(VALU_DEP_2) | instskip(NEXT) | instid1(VALU_DEP_1)
	v_sub_f32_e32 v102, v102, v113
	v_add_f32_e32 v98, v102, v98
	s_delay_alu instid0(VALU_DEP_1) | instskip(NEXT) | instid1(VALU_DEP_1)
	v_add_f32_e32 v102, v119, v98
	v_mul_f32_e32 v113, v101, v102
	s_delay_alu instid0(VALU_DEP_1) | instskip(NEXT) | instid1(VALU_DEP_1)
	v_dual_mul_f32 v115, v114, v113 :: v_dual_sub_f32 v118, v119, v102
	v_fma_f32 v114, v113, v114, -v115
	s_delay_alu instid0(VALU_DEP_2) | instskip(NEXT) | instid1(VALU_DEP_2)
	v_add_f32_e32 v98, v98, v118
	v_fmac_f32_e32 v114, v113, v112
	s_delay_alu instid0(VALU_DEP_1) | instskip(NEXT) | instid1(VALU_DEP_1)
	v_add_f32_e32 v112, v115, v114
	v_sub_f32_e32 v117, v102, v112
	s_delay_alu instid0(VALU_DEP_1) | instskip(NEXT) | instid1(VALU_DEP_1)
	v_dual_sub_f32 v115, v112, v115 :: v_dual_sub_f32 v102, v102, v117
	v_sub_f32_e32 v102, v102, v112
	s_delay_alu instid0(VALU_DEP_2) | instskip(NEXT) | instid1(VALU_DEP_2)
	v_sub_f32_e32 v112, v115, v114
	v_add_f32_e32 v98, v98, v102
	v_add_f32_e32 v102, v116, v113
	s_delay_alu instid0(VALU_DEP_2) | instskip(NEXT) | instid1(VALU_DEP_2)
	v_add_f32_e32 v98, v112, v98
	v_sub_f32_e32 v112, v102, v116
	s_delay_alu instid0(VALU_DEP_2) | instskip(NEXT) | instid1(VALU_DEP_2)
	v_add_f32_e32 v98, v117, v98
	v_sub_f32_e32 v112, v113, v112
	s_delay_alu instid0(VALU_DEP_2) | instskip(NEXT) | instid1(VALU_DEP_1)
	v_mul_f32_e32 v98, v101, v98
	v_add_f32_e32 v98, v112, v98
	s_delay_alu instid0(VALU_DEP_1) | instskip(NEXT) | instid1(VALU_DEP_1)
	v_add_f32_e32 v101, v102, v98
	v_mul_f32_e32 v112, v101, v101
	s_delay_alu instid0(VALU_DEP_1) | instskip(SKIP_2) | instid1(VALU_DEP_3)
	v_fmaak_f32 v113, s4, v112, 0x3ecc95a3
	v_mul_f32_e32 v114, v101, v112
	v_cmp_gt_f32_e64 s4, 0x33800000, |v87|
	v_fmaak_f32 v112, v112, v113, 0x3f2aaada
	v_ldexp_f32 v113, v101, 1
	v_sub_f32_e32 v101, v101, v102
	s_delay_alu instid0(VALU_DEP_4) | instskip(NEXT) | instid1(VALU_DEP_3)
	s_or_b32 vcc_lo, vcc_lo, s4
	v_mul_f32_e32 v112, v114, v112
	v_mul_f32_e32 v114, 0x3f317218, v97
	s_delay_alu instid0(VALU_DEP_3) | instskip(NEXT) | instid1(VALU_DEP_3)
	v_sub_f32_e32 v98, v98, v101
	v_add_f32_e32 v102, v113, v112
	s_delay_alu instid0(VALU_DEP_2) | instskip(NEXT) | instid1(VALU_DEP_2)
	v_ldexp_f32 v98, v98, 1
	v_sub_f32_e32 v101, v102, v113
	v_fma_f32 v113, 0x3f317218, v97, -v114
	s_delay_alu instid0(VALU_DEP_2) | instskip(NEXT) | instid1(VALU_DEP_1)
	v_sub_f32_e32 v101, v112, v101
	v_dual_fmamk_f32 v97, v97, 0xb102e308, v113 :: v_dual_add_f32 v98, v98, v101
	s_delay_alu instid0(VALU_DEP_1) | instskip(NEXT) | instid1(VALU_DEP_2)
	v_add_f32_e32 v101, v114, v97
	v_add_f32_e32 v112, v102, v98
	s_delay_alu instid0(VALU_DEP_2) | instskip(NEXT) | instid1(VALU_DEP_2)
	v_sub_f32_e32 v114, v101, v114
	v_dual_add_f32 v113, v101, v112 :: v_dual_sub_f32 v102, v112, v102
	s_delay_alu instid0(VALU_DEP_2) | instskip(NEXT) | instid1(VALU_DEP_2)
	v_sub_f32_e32 v97, v97, v114
	v_dual_sub_f32 v115, v113, v101 :: v_dual_sub_f32 v98, v98, v102
	s_delay_alu instid0(VALU_DEP_1) | instskip(SKIP_1) | instid1(VALU_DEP_3)
	v_sub_f32_e32 v116, v113, v115
	v_sub_f32_e32 v102, v112, v115
	v_add_f32_e32 v112, v97, v98
	s_delay_alu instid0(VALU_DEP_3) | instskip(NEXT) | instid1(VALU_DEP_1)
	v_sub_f32_e32 v101, v101, v116
	v_add_f32_e32 v101, v102, v101
	s_delay_alu instid0(VALU_DEP_3) | instskip(NEXT) | instid1(VALU_DEP_2)
	v_sub_f32_e32 v102, v112, v97
	v_add_f32_e32 v101, v112, v101
	s_delay_alu instid0(VALU_DEP_2) | instskip(SKIP_1) | instid1(VALU_DEP_3)
	v_sub_f32_e32 v112, v112, v102
	v_sub_f32_e32 v98, v98, v102
	v_add_f32_e32 v114, v113, v101
	s_delay_alu instid0(VALU_DEP_1) | instskip(NEXT) | instid1(VALU_DEP_1)
	v_dual_sub_f32 v97, v97, v112 :: v_dual_sub_f32 v102, v114, v113
	v_dual_add_f32 v97, v98, v97 :: v_dual_sub_f32 v98, v101, v102
	s_delay_alu instid0(VALU_DEP_1) | instskip(NEXT) | instid1(VALU_DEP_1)
	v_add_f32_e32 v97, v97, v98
	v_add_f32_e32 v97, v114, v97
	s_delay_alu instid0(VALU_DEP_1) | instskip(NEXT) | instid1(VALU_DEP_1)
	v_cndmask_b32_e32 v87, v97, v87, vcc_lo
	v_add_f32_e32 v87, v96, v87
	s_delay_alu instid0(VALU_DEP_1) | instskip(NEXT) | instid1(VALU_DEP_1)
	v_cvt_f16_f32_e32 v101, v87
	v_mov_b32_e32 v87, v101
	v_cvt_f32_f16_e32 v102, v101
.LBB390_234:
	s_or_b32 exec_lo, exec_lo, s3
	s_delay_alu instid0(VALU_DEP_1) | instskip(SKIP_1) | instid1(VALU_DEP_2)
	v_dual_max_f32 v96, v99, v99 :: v_dual_max_f32 v97, v102, v102
	v_cmp_u_f16_e32 vcc_lo, v101, v101
	v_min_f32_e32 v98, v97, v96
	s_delay_alu instid0(VALU_DEP_1) | instskip(NEXT) | instid1(VALU_DEP_1)
	v_dual_max_f32 v96, v97, v96 :: v_dual_cndmask_b32 v97, v98, v102
	v_cndmask_b32_e32 v96, v96, v102, vcc_lo
	s_delay_alu instid0(VALU_DEP_2) | instskip(NEXT) | instid1(VALU_DEP_2)
	v_cndmask_b32_e64 v98, v97, v99, s22
	v_cndmask_b32_e64 v97, v96, v99, s22
	v_mov_b32_e32 v96, v87
	s_delay_alu instid0(VALU_DEP_3) | instskip(NEXT) | instid1(VALU_DEP_3)
	v_cmp_class_f32_e64 s3, v98, 0x1f8
	v_cmp_neq_f32_e32 vcc_lo, v98, v97
	s_delay_alu instid0(VALU_DEP_2) | instskip(NEXT) | instid1(SALU_CYCLE_1)
	s_or_b32 s4, vcc_lo, s3
	s_and_saveexec_b32 s3, s4
	s_cbranch_execz .LBB390_236
; %bb.235:
	v_sub_f32_e32 v96, v98, v97
	s_mov_b32 s4, 0x3e9b6dac
	s_delay_alu instid0(VALU_DEP_1) | instskip(SKIP_1) | instid1(VALU_DEP_2)
	v_mul_f32_e32 v98, 0x3fb8aa3b, v96
	v_cmp_ngt_f32_e32 vcc_lo, 0xc2ce8ed0, v96
	v_fma_f32 v99, 0x3fb8aa3b, v96, -v98
	v_rndne_f32_e32 v101, v98
	s_delay_alu instid0(VALU_DEP_1) | instskip(NEXT) | instid1(VALU_DEP_1)
	v_dual_fmamk_f32 v99, v96, 0x32a5705f, v99 :: v_dual_sub_f32 v98, v98, v101
	v_add_f32_e32 v98, v98, v99
	v_cvt_i32_f32_e32 v99, v101
	s_delay_alu instid0(VALU_DEP_2) | instskip(SKIP_2) | instid1(VALU_DEP_1)
	v_exp_f32_e32 v98, v98
	s_waitcnt_depctr 0xfff
	v_ldexp_f32 v98, v98, v99
	v_cndmask_b32_e32 v98, 0, v98, vcc_lo
	v_cmp_nlt_f32_e32 vcc_lo, 0x42b17218, v96
	s_delay_alu instid0(VALU_DEP_2) | instskip(NEXT) | instid1(VALU_DEP_1)
	v_cndmask_b32_e32 v96, 0x7f800000, v98, vcc_lo
	v_add_f32_e32 v101, 1.0, v96
	s_delay_alu instid0(VALU_DEP_1) | instskip(NEXT) | instid1(VALU_DEP_1)
	v_cvt_f64_f32_e32 v[98:99], v101
	v_frexp_exp_i32_f64_e32 v98, v[98:99]
	v_frexp_mant_f32_e32 v99, v101
	s_delay_alu instid0(VALU_DEP_1) | instskip(SKIP_1) | instid1(VALU_DEP_1)
	v_cmp_gt_f32_e32 vcc_lo, 0x3f2aaaab, v99
	v_add_f32_e32 v99, -1.0, v101
	v_sub_f32_e32 v112, v99, v101
	s_delay_alu instid0(VALU_DEP_1) | instskip(SKIP_1) | instid1(VALU_DEP_1)
	v_add_f32_e32 v112, 1.0, v112
	v_subrev_co_ci_u32_e32 v98, vcc_lo, 0, v98, vcc_lo
	v_sub_nc_u32_e32 v102, 0, v98
	v_cvt_f32_i32_e32 v98, v98
	s_delay_alu instid0(VALU_DEP_2) | instskip(NEXT) | instid1(VALU_DEP_1)
	v_ldexp_f32 v101, v101, v102
	v_add_f32_e32 v113, 1.0, v101
	v_sub_f32_e32 v99, v96, v99
	v_cmp_eq_f32_e32 vcc_lo, 0x7f800000, v96
	s_delay_alu instid0(VALU_DEP_2) | instskip(NEXT) | instid1(VALU_DEP_1)
	v_add_f32_e32 v99, v99, v112
	v_ldexp_f32 v99, v99, v102
	v_add_f32_e32 v102, -1.0, v101
	v_add_f32_e32 v112, -1.0, v113
	s_delay_alu instid0(VALU_DEP_2) | instskip(NEXT) | instid1(VALU_DEP_2)
	v_add_f32_e32 v114, 1.0, v102
	v_sub_f32_e32 v112, v101, v112
	s_delay_alu instid0(VALU_DEP_1) | instskip(NEXT) | instid1(VALU_DEP_1)
	v_dual_sub_f32 v101, v101, v114 :: v_dual_add_f32 v112, v99, v112
	v_dual_add_f32 v99, v99, v101 :: v_dual_add_f32 v114, v113, v112
	s_delay_alu instid0(VALU_DEP_1) | instskip(SKIP_1) | instid1(VALU_DEP_1)
	v_rcp_f32_e32 v101, v114
	v_sub_f32_e32 v113, v113, v114
	v_dual_add_f32 v115, v102, v99 :: v_dual_add_f32 v112, v112, v113
	s_delay_alu instid0(VALU_DEP_1) | instskip(SKIP_3) | instid1(VALU_DEP_2)
	v_sub_f32_e32 v102, v102, v115
	s_waitcnt_depctr 0xfff
	v_mul_f32_e32 v116, v115, v101
	v_add_f32_e32 v99, v99, v102
	v_mul_f32_e32 v117, v114, v116
	s_delay_alu instid0(VALU_DEP_1) | instskip(NEXT) | instid1(VALU_DEP_1)
	v_fma_f32 v113, v116, v114, -v117
	v_fmac_f32_e32 v113, v116, v112
	s_delay_alu instid0(VALU_DEP_1) | instskip(NEXT) | instid1(VALU_DEP_1)
	v_add_f32_e32 v118, v117, v113
	v_sub_f32_e32 v119, v115, v118
	s_delay_alu instid0(VALU_DEP_1) | instskip(NEXT) | instid1(VALU_DEP_1)
	v_sub_f32_e32 v115, v115, v119
	v_dual_sub_f32 v115, v115, v118 :: v_dual_sub_f32 v102, v118, v117
	s_delay_alu instid0(VALU_DEP_1) | instskip(NEXT) | instid1(VALU_DEP_1)
	v_dual_add_f32 v99, v99, v115 :: v_dual_sub_f32 v102, v102, v113
	v_add_f32_e32 v99, v102, v99
	s_delay_alu instid0(VALU_DEP_1) | instskip(NEXT) | instid1(VALU_DEP_1)
	v_add_f32_e32 v102, v119, v99
	v_mul_f32_e32 v113, v101, v102
	s_delay_alu instid0(VALU_DEP_1) | instskip(NEXT) | instid1(VALU_DEP_1)
	v_dual_mul_f32 v115, v114, v113 :: v_dual_sub_f32 v118, v119, v102
	v_fma_f32 v114, v113, v114, -v115
	s_delay_alu instid0(VALU_DEP_1) | instskip(NEXT) | instid1(VALU_DEP_1)
	v_dual_add_f32 v99, v99, v118 :: v_dual_fmac_f32 v114, v113, v112
	v_add_f32_e32 v112, v115, v114
	s_delay_alu instid0(VALU_DEP_1) | instskip(NEXT) | instid1(VALU_DEP_1)
	v_sub_f32_e32 v117, v102, v112
	v_dual_sub_f32 v115, v112, v115 :: v_dual_sub_f32 v102, v102, v117
	s_delay_alu instid0(VALU_DEP_1) | instskip(NEXT) | instid1(VALU_DEP_1)
	v_sub_f32_e32 v102, v102, v112
	v_dual_add_f32 v99, v99, v102 :: v_dual_add_f32 v102, v116, v113
	s_delay_alu instid0(VALU_DEP_3) | instskip(NEXT) | instid1(VALU_DEP_1)
	v_sub_f32_e32 v112, v115, v114
	v_dual_add_f32 v99, v112, v99 :: v_dual_sub_f32 v112, v102, v116
	s_delay_alu instid0(VALU_DEP_1) | instskip(NEXT) | instid1(VALU_DEP_2)
	v_add_f32_e32 v99, v117, v99
	v_sub_f32_e32 v112, v113, v112
	s_delay_alu instid0(VALU_DEP_2) | instskip(NEXT) | instid1(VALU_DEP_1)
	v_mul_f32_e32 v99, v101, v99
	v_add_f32_e32 v99, v112, v99
	s_delay_alu instid0(VALU_DEP_1) | instskip(NEXT) | instid1(VALU_DEP_1)
	v_add_f32_e32 v101, v102, v99
	v_mul_f32_e32 v112, v101, v101
	s_delay_alu instid0(VALU_DEP_1) | instskip(SKIP_2) | instid1(VALU_DEP_3)
	v_fmaak_f32 v113, s4, v112, 0x3ecc95a3
	v_mul_f32_e32 v114, v101, v112
	v_cmp_gt_f32_e64 s4, 0x33800000, |v96|
	v_fmaak_f32 v112, v112, v113, 0x3f2aaada
	v_ldexp_f32 v113, v101, 1
	v_sub_f32_e32 v101, v101, v102
	s_delay_alu instid0(VALU_DEP_4) | instskip(NEXT) | instid1(VALU_DEP_1)
	s_or_b32 vcc_lo, vcc_lo, s4
	v_sub_f32_e32 v99, v99, v101
	s_delay_alu instid0(VALU_DEP_1) | instskip(SKIP_1) | instid1(VALU_DEP_1)
	v_ldexp_f32 v99, v99, 1
	v_mul_f32_e32 v112, v114, v112
	v_add_f32_e32 v102, v113, v112
	s_delay_alu instid0(VALU_DEP_1) | instskip(NEXT) | instid1(VALU_DEP_1)
	v_sub_f32_e32 v101, v102, v113
	v_sub_f32_e32 v101, v112, v101
	s_delay_alu instid0(VALU_DEP_1) | instskip(NEXT) | instid1(VALU_DEP_1)
	v_add_f32_e32 v99, v99, v101
	v_add_f32_e32 v112, v102, v99
	v_mul_f32_e32 v114, 0x3f317218, v98
	s_delay_alu instid0(VALU_DEP_1) | instskip(NEXT) | instid1(VALU_DEP_1)
	v_fma_f32 v113, 0x3f317218, v98, -v114
	v_fmamk_f32 v98, v98, 0xb102e308, v113
	s_delay_alu instid0(VALU_DEP_1) | instskip(NEXT) | instid1(VALU_DEP_1)
	v_add_f32_e32 v101, v114, v98
	v_add_f32_e32 v113, v101, v112
	s_delay_alu instid0(VALU_DEP_1) | instskip(NEXT) | instid1(VALU_DEP_1)
	v_sub_f32_e32 v115, v113, v101
	v_sub_f32_e32 v116, v113, v115
	;; [unrolled: 1-line block ×3, first 2 shown]
	s_delay_alu instid0(VALU_DEP_1) | instskip(SKIP_1) | instid1(VALU_DEP_4)
	v_dual_sub_f32 v99, v99, v102 :: v_dual_sub_f32 v102, v112, v115
	v_sub_f32_e32 v114, v101, v114
	v_sub_f32_e32 v101, v101, v116
	s_delay_alu instid0(VALU_DEP_1) | instskip(NEXT) | instid1(VALU_DEP_3)
	v_add_f32_e32 v101, v102, v101
	v_sub_f32_e32 v98, v98, v114
	s_delay_alu instid0(VALU_DEP_1) | instskip(NEXT) | instid1(VALU_DEP_1)
	v_add_f32_e32 v112, v98, v99
	v_add_f32_e32 v101, v112, v101
	v_sub_f32_e32 v102, v112, v98
	s_delay_alu instid0(VALU_DEP_1) | instskip(SKIP_1) | instid1(VALU_DEP_2)
	v_dual_add_f32 v114, v113, v101 :: v_dual_sub_f32 v99, v99, v102
	v_sub_f32_e32 v112, v112, v102
	v_sub_f32_e32 v102, v114, v113
	s_delay_alu instid0(VALU_DEP_2) | instskip(NEXT) | instid1(VALU_DEP_1)
	v_sub_f32_e32 v98, v98, v112
	v_add_f32_e32 v98, v99, v98
	s_delay_alu instid0(VALU_DEP_3) | instskip(NEXT) | instid1(VALU_DEP_1)
	v_sub_f32_e32 v99, v101, v102
	v_add_f32_e32 v98, v98, v99
	s_delay_alu instid0(VALU_DEP_1) | instskip(NEXT) | instid1(VALU_DEP_1)
	v_add_f32_e32 v98, v114, v98
	v_cndmask_b32_e32 v96, v98, v96, vcc_lo
	s_delay_alu instid0(VALU_DEP_1) | instskip(NEXT) | instid1(VALU_DEP_1)
	v_add_f32_e32 v96, v97, v96
	v_cvt_f16_f32_e32 v101, v96
	s_delay_alu instid0(VALU_DEP_1)
	v_cvt_f32_f16_e32 v102, v101
	v_mov_b32_e32 v96, v101
.LBB390_236:
	s_or_b32 exec_lo, exec_lo, s3
	s_delay_alu instid0(VALU_DEP_2) | instskip(SKIP_1) | instid1(VALU_DEP_2)
	v_dual_max_f32 v97, v100, v100 :: v_dual_max_f32 v98, v102, v102
	v_cmp_u_f16_e32 vcc_lo, v101, v101
	v_min_f32_e32 v99, v98, v97
	s_delay_alu instid0(VALU_DEP_1) | instskip(NEXT) | instid1(VALU_DEP_1)
	v_dual_max_f32 v97, v98, v97 :: v_dual_cndmask_b32 v98, v99, v102
	v_cndmask_b32_e32 v97, v97, v102, vcc_lo
	s_delay_alu instid0(VALU_DEP_2) | instskip(NEXT) | instid1(VALU_DEP_2)
	v_cndmask_b32_e64 v99, v98, v100, s23
	v_cndmask_b32_e64 v97, v97, v100, s23
	v_mov_b32_e32 v98, v96
	s_delay_alu instid0(VALU_DEP_3) | instskip(NEXT) | instid1(VALU_DEP_3)
	v_cmp_class_f32_e64 s3, v99, 0x1f8
	v_cmp_neq_f32_e32 vcc_lo, v99, v97
	s_delay_alu instid0(VALU_DEP_2) | instskip(NEXT) | instid1(SALU_CYCLE_1)
	s_or_b32 s4, vcc_lo, s3
	s_and_saveexec_b32 s3, s4
	s_cbranch_execz .LBB390_238
; %bb.237:
	v_sub_f32_e32 v98, v99, v97
	s_mov_b32 s4, 0x3e9b6dac
	s_delay_alu instid0(VALU_DEP_1) | instskip(SKIP_1) | instid1(VALU_DEP_2)
	v_mul_f32_e32 v99, 0x3fb8aa3b, v98
	v_cmp_ngt_f32_e32 vcc_lo, 0xc2ce8ed0, v98
	v_fma_f32 v100, 0x3fb8aa3b, v98, -v99
	v_rndne_f32_e32 v101, v99
	s_delay_alu instid0(VALU_DEP_1) | instskip(NEXT) | instid1(VALU_DEP_1)
	v_dual_fmamk_f32 v100, v98, 0x32a5705f, v100 :: v_dual_sub_f32 v99, v99, v101
	v_add_f32_e32 v99, v99, v100
	v_cvt_i32_f32_e32 v100, v101
	s_delay_alu instid0(VALU_DEP_2) | instskip(SKIP_2) | instid1(VALU_DEP_1)
	v_exp_f32_e32 v99, v99
	s_waitcnt_depctr 0xfff
	v_ldexp_f32 v99, v99, v100
	v_cndmask_b32_e32 v99, 0, v99, vcc_lo
	v_cmp_nlt_f32_e32 vcc_lo, 0x42b17218, v98
	s_delay_alu instid0(VALU_DEP_2) | instskip(NEXT) | instid1(VALU_DEP_1)
	v_cndmask_b32_e32 v100, 0x7f800000, v99, vcc_lo
	v_add_f32_e32 v101, 1.0, v100
	s_delay_alu instid0(VALU_DEP_1) | instskip(NEXT) | instid1(VALU_DEP_1)
	v_cvt_f64_f32_e32 v[98:99], v101
	v_frexp_exp_i32_f64_e32 v98, v[98:99]
	v_frexp_mant_f32_e32 v99, v101
	s_delay_alu instid0(VALU_DEP_1) | instskip(SKIP_1) | instid1(VALU_DEP_1)
	v_cmp_gt_f32_e32 vcc_lo, 0x3f2aaaab, v99
	v_add_f32_e32 v99, -1.0, v101
	v_dual_sub_f32 v112, v99, v101 :: v_dual_sub_f32 v99, v100, v99
	s_delay_alu instid0(VALU_DEP_1) | instskip(SKIP_2) | instid1(VALU_DEP_2)
	v_add_f32_e32 v112, 1.0, v112
	v_subrev_co_ci_u32_e32 v98, vcc_lo, 0, v98, vcc_lo
	v_cmp_eq_f32_e32 vcc_lo, 0x7f800000, v100
	v_sub_nc_u32_e32 v102, 0, v98
	v_cvt_f32_i32_e32 v98, v98
	s_delay_alu instid0(VALU_DEP_2) | instskip(SKIP_1) | instid1(VALU_DEP_2)
	v_ldexp_f32 v101, v101, v102
	v_add_f32_e32 v99, v99, v112
	v_add_f32_e32 v113, 1.0, v101
	s_delay_alu instid0(VALU_DEP_2) | instskip(SKIP_1) | instid1(VALU_DEP_3)
	v_ldexp_f32 v99, v99, v102
	v_add_f32_e32 v102, -1.0, v101
	v_add_f32_e32 v112, -1.0, v113
	s_delay_alu instid0(VALU_DEP_2) | instskip(NEXT) | instid1(VALU_DEP_2)
	v_add_f32_e32 v114, 1.0, v102
	v_sub_f32_e32 v112, v101, v112
	s_delay_alu instid0(VALU_DEP_1) | instskip(NEXT) | instid1(VALU_DEP_1)
	v_dual_sub_f32 v101, v101, v114 :: v_dual_add_f32 v112, v99, v112
	v_dual_add_f32 v99, v99, v101 :: v_dual_add_f32 v114, v113, v112
	s_delay_alu instid0(VALU_DEP_1) | instskip(SKIP_1) | instid1(VALU_DEP_1)
	v_rcp_f32_e32 v101, v114
	v_sub_f32_e32 v113, v113, v114
	v_dual_add_f32 v115, v102, v99 :: v_dual_add_f32 v112, v112, v113
	s_delay_alu instid0(VALU_DEP_1) | instskip(SKIP_3) | instid1(VALU_DEP_2)
	v_sub_f32_e32 v102, v102, v115
	s_waitcnt_depctr 0xfff
	v_mul_f32_e32 v116, v115, v101
	v_add_f32_e32 v99, v99, v102
	v_mul_f32_e32 v117, v114, v116
	s_delay_alu instid0(VALU_DEP_1) | instskip(NEXT) | instid1(VALU_DEP_1)
	v_fma_f32 v113, v116, v114, -v117
	v_fmac_f32_e32 v113, v116, v112
	s_delay_alu instid0(VALU_DEP_1) | instskip(NEXT) | instid1(VALU_DEP_1)
	v_add_f32_e32 v118, v117, v113
	v_sub_f32_e32 v119, v115, v118
	s_delay_alu instid0(VALU_DEP_1) | instskip(NEXT) | instid1(VALU_DEP_1)
	v_dual_sub_f32 v115, v115, v119 :: v_dual_sub_f32 v102, v118, v117
	v_dual_sub_f32 v115, v115, v118 :: v_dual_sub_f32 v102, v102, v113
	s_delay_alu instid0(VALU_DEP_1) | instskip(NEXT) | instid1(VALU_DEP_1)
	v_add_f32_e32 v99, v99, v115
	v_add_f32_e32 v99, v102, v99
	s_delay_alu instid0(VALU_DEP_1) | instskip(NEXT) | instid1(VALU_DEP_1)
	v_add_f32_e32 v102, v119, v99
	v_mul_f32_e32 v113, v101, v102
	s_delay_alu instid0(VALU_DEP_1) | instskip(NEXT) | instid1(VALU_DEP_1)
	v_dual_sub_f32 v118, v119, v102 :: v_dual_mul_f32 v115, v114, v113
	v_add_f32_e32 v99, v99, v118
	s_delay_alu instid0(VALU_DEP_2) | instskip(NEXT) | instid1(VALU_DEP_1)
	v_fma_f32 v114, v113, v114, -v115
	v_fmac_f32_e32 v114, v113, v112
	s_delay_alu instid0(VALU_DEP_1) | instskip(NEXT) | instid1(VALU_DEP_1)
	v_add_f32_e32 v112, v115, v114
	v_sub_f32_e32 v115, v112, v115
	v_sub_f32_e32 v117, v102, v112
	s_delay_alu instid0(VALU_DEP_1) | instskip(NEXT) | instid1(VALU_DEP_1)
	v_sub_f32_e32 v102, v102, v117
	v_sub_f32_e32 v102, v102, v112
	s_delay_alu instid0(VALU_DEP_4) | instskip(NEXT) | instid1(VALU_DEP_2)
	v_sub_f32_e32 v112, v115, v114
	v_dual_add_f32 v99, v99, v102 :: v_dual_add_f32 v102, v116, v113
	s_delay_alu instid0(VALU_DEP_1) | instskip(NEXT) | instid1(VALU_DEP_1)
	v_dual_add_f32 v99, v112, v99 :: v_dual_sub_f32 v112, v102, v116
	v_add_f32_e32 v99, v117, v99
	s_delay_alu instid0(VALU_DEP_2) | instskip(NEXT) | instid1(VALU_DEP_2)
	v_sub_f32_e32 v112, v113, v112
	v_mul_f32_e32 v99, v101, v99
	s_delay_alu instid0(VALU_DEP_1) | instskip(NEXT) | instid1(VALU_DEP_1)
	v_add_f32_e32 v99, v112, v99
	v_add_f32_e32 v101, v102, v99
	s_delay_alu instid0(VALU_DEP_1) | instskip(NEXT) | instid1(VALU_DEP_1)
	v_mul_f32_e32 v112, v101, v101
	v_fmaak_f32 v113, s4, v112, 0x3ecc95a3
	v_mul_f32_e32 v114, v101, v112
	v_cmp_gt_f32_e64 s4, 0x33800000, |v100|
	s_delay_alu instid0(VALU_DEP_3) | instskip(SKIP_2) | instid1(VALU_DEP_4)
	v_fmaak_f32 v112, v112, v113, 0x3f2aaada
	v_ldexp_f32 v113, v101, 1
	v_sub_f32_e32 v101, v101, v102
	s_or_b32 vcc_lo, vcc_lo, s4
	s_delay_alu instid0(VALU_DEP_3) | instskip(NEXT) | instid1(VALU_DEP_2)
	v_mul_f32_e32 v112, v114, v112
	v_dual_mul_f32 v114, 0x3f317218, v98 :: v_dual_sub_f32 v99, v99, v101
	s_delay_alu instid0(VALU_DEP_2) | instskip(NEXT) | instid1(VALU_DEP_2)
	v_add_f32_e32 v102, v113, v112
	v_ldexp_f32 v99, v99, 1
	s_delay_alu instid0(VALU_DEP_2) | instskip(NEXT) | instid1(VALU_DEP_4)
	v_sub_f32_e32 v101, v102, v113
	v_fma_f32 v113, 0x3f317218, v98, -v114
	s_delay_alu instid0(VALU_DEP_1) | instskip(NEXT) | instid1(VALU_DEP_1)
	v_dual_sub_f32 v101, v112, v101 :: v_dual_fmamk_f32 v98, v98, 0xb102e308, v113
	v_add_f32_e32 v99, v99, v101
	s_delay_alu instid0(VALU_DEP_2) | instskip(NEXT) | instid1(VALU_DEP_1)
	v_add_f32_e32 v101, v114, v98
	v_sub_f32_e32 v114, v101, v114
	s_delay_alu instid0(VALU_DEP_3) | instskip(NEXT) | instid1(VALU_DEP_1)
	v_add_f32_e32 v112, v102, v99
	v_dual_sub_f32 v98, v98, v114 :: v_dual_add_f32 v113, v101, v112
	v_sub_f32_e32 v102, v112, v102
	s_delay_alu instid0(VALU_DEP_1) | instskip(NEXT) | instid1(VALU_DEP_3)
	v_sub_f32_e32 v99, v99, v102
	v_sub_f32_e32 v115, v113, v101
	s_delay_alu instid0(VALU_DEP_1) | instskip(NEXT) | instid1(VALU_DEP_3)
	v_sub_f32_e32 v102, v112, v115
	v_add_f32_e32 v112, v98, v99
	v_sub_f32_e32 v116, v113, v115
	s_delay_alu instid0(VALU_DEP_1) | instskip(NEXT) | instid1(VALU_DEP_1)
	v_sub_f32_e32 v101, v101, v116
	v_dual_add_f32 v101, v102, v101 :: v_dual_sub_f32 v102, v112, v98
	s_delay_alu instid0(VALU_DEP_1) | instskip(NEXT) | instid1(VALU_DEP_2)
	v_add_f32_e32 v101, v112, v101
	v_sub_f32_e32 v112, v112, v102
	s_delay_alu instid0(VALU_DEP_1) | instskip(NEXT) | instid1(VALU_DEP_3)
	v_sub_f32_e32 v98, v98, v112
	v_dual_add_f32 v114, v113, v101 :: v_dual_sub_f32 v99, v99, v102
	s_delay_alu instid0(VALU_DEP_1) | instskip(NEXT) | instid1(VALU_DEP_2)
	v_sub_f32_e32 v102, v114, v113
	v_add_f32_e32 v98, v99, v98
	s_delay_alu instid0(VALU_DEP_2) | instskip(NEXT) | instid1(VALU_DEP_1)
	v_sub_f32_e32 v99, v101, v102
	v_add_f32_e32 v98, v98, v99
	s_delay_alu instid0(VALU_DEP_1) | instskip(NEXT) | instid1(VALU_DEP_1)
	v_add_f32_e32 v98, v114, v98
	v_cndmask_b32_e32 v98, v98, v100, vcc_lo
	s_delay_alu instid0(VALU_DEP_1) | instskip(NEXT) | instid1(VALU_DEP_1)
	v_add_f32_e32 v97, v97, v98
	v_cvt_f16_f32_e32 v98, v97
.LBB390_238:
	s_or_b32 exec_lo, exec_lo, s3
	s_branch .LBB390_365
.LBB390_239:
                                        ; implicit-def: $vgpr103
                                        ; implicit-def: $vgpr28
                                        ; implicit-def: $vgpr29
                                        ; implicit-def: $vgpr30
                                        ; implicit-def: $vgpr31
                                        ; implicit-def: $vgpr65
                                        ; implicit-def: $vgpr66
                                        ; implicit-def: $vgpr67
                                        ; implicit-def: $vgpr68
                                        ; implicit-def: $vgpr69
                                        ; implicit-def: $vgpr70
                                        ; implicit-def: $vgpr71
                                        ; implicit-def: $vgpr80
                                        ; implicit-def: $vgpr81
                                        ; implicit-def: $vgpr82
                                        ; implicit-def: $vgpr83
                                        ; implicit-def: $vgpr84
                                        ; implicit-def: $vgpr85
                                        ; implicit-def: $vgpr86
                                        ; implicit-def: $vgpr87
                                        ; implicit-def: $vgpr96
                                        ; implicit-def: $vgpr98
	s_cbranch_execz .LBB390_365
; %bb.240:
	v_cmp_ne_u64_e32 vcc_lo, 0, v[6:7]
	s_and_b32 s4, s2, vcc_lo
	s_delay_alu instid0(SALU_CYCLE_1)
	s_and_saveexec_b32 s3, s4
	s_cbranch_execz .LBB390_244
; %bb.241:
	flat_load_u16 v3, v[2:3]
	v_cvt_f32_f16_e32 v2, v12
	s_waitcnt vmcnt(0) lgkmcnt(0)
	v_cvt_f32_f16_e32 v6, v3
	v_cmp_u_f16_e32 vcc_lo, v3, v3
	s_delay_alu instid0(VALU_DEP_2) | instskip(SKIP_1) | instid1(VALU_DEP_2)
	v_min_f32_e32 v7, v6, v2
	v_max_f32_e32 v28, v6, v2
	v_cndmask_b32_e32 v7, v7, v6, vcc_lo
	s_delay_alu instid0(VALU_DEP_2) | instskip(SKIP_1) | instid1(VALU_DEP_3)
	v_cndmask_b32_e32 v28, v28, v6, vcc_lo
	v_cmp_u_f16_e32 vcc_lo, v12, v12
	v_cndmask_b32_e32 v6, v7, v2, vcc_lo
	s_delay_alu instid0(VALU_DEP_3) | instskip(NEXT) | instid1(VALU_DEP_2)
	v_cndmask_b32_e32 v2, v28, v2, vcc_lo
	v_cmp_class_f32_e64 s4, v6, 0x1f8
	s_delay_alu instid0(VALU_DEP_2) | instskip(NEXT) | instid1(VALU_DEP_2)
	v_cmp_neq_f32_e32 vcc_lo, v6, v2
	s_or_b32 s5, vcc_lo, s4
	s_delay_alu instid0(SALU_CYCLE_1)
	s_and_saveexec_b32 s4, s5
	s_cbranch_execz .LBB390_243
; %bb.242:
	v_sub_f32_e32 v3, v6, v2
	s_mov_b32 s5, 0x3e9b6dac
	s_delay_alu instid0(VALU_DEP_1) | instskip(SKIP_1) | instid1(VALU_DEP_2)
	v_mul_f32_e32 v6, 0x3fb8aa3b, v3
	v_cmp_ngt_f32_e32 vcc_lo, 0xc2ce8ed0, v3
	v_fma_f32 v7, 0x3fb8aa3b, v3, -v6
	v_rndne_f32_e32 v12, v6
	s_delay_alu instid0(VALU_DEP_1) | instskip(NEXT) | instid1(VALU_DEP_1)
	v_dual_fmamk_f32 v7, v3, 0x32a5705f, v7 :: v_dual_sub_f32 v6, v6, v12
	v_add_f32_e32 v6, v6, v7
	v_cvt_i32_f32_e32 v7, v12
	s_delay_alu instid0(VALU_DEP_2) | instskip(SKIP_2) | instid1(VALU_DEP_1)
	v_exp_f32_e32 v6, v6
	s_waitcnt_depctr 0xfff
	v_ldexp_f32 v6, v6, v7
	v_cndmask_b32_e32 v6, 0, v6, vcc_lo
	v_cmp_nlt_f32_e32 vcc_lo, 0x42b17218, v3
	s_delay_alu instid0(VALU_DEP_2) | instskip(NEXT) | instid1(VALU_DEP_1)
	v_cndmask_b32_e32 v3, 0x7f800000, v6, vcc_lo
	v_add_f32_e32 v12, 1.0, v3
	s_delay_alu instid0(VALU_DEP_1) | instskip(NEXT) | instid1(VALU_DEP_1)
	v_cvt_f64_f32_e32 v[6:7], v12
	v_frexp_exp_i32_f64_e32 v6, v[6:7]
	v_frexp_mant_f32_e32 v7, v12
	s_delay_alu instid0(VALU_DEP_1) | instskip(SKIP_1) | instid1(VALU_DEP_1)
	v_cmp_gt_f32_e32 vcc_lo, 0x3f2aaaab, v7
	v_add_f32_e32 v7, -1.0, v12
	v_sub_f32_e32 v29, v7, v12
	v_sub_f32_e32 v7, v3, v7
	s_delay_alu instid0(VALU_DEP_2) | instskip(SKIP_1) | instid1(VALU_DEP_1)
	v_add_f32_e32 v29, 1.0, v29
	v_subrev_co_ci_u32_e32 v6, vcc_lo, 0, v6, vcc_lo
	v_sub_nc_u32_e32 v28, 0, v6
	v_cvt_f32_i32_e32 v6, v6
	s_delay_alu instid0(VALU_DEP_2) | instskip(NEXT) | instid1(VALU_DEP_1)
	v_ldexp_f32 v12, v12, v28
	v_dual_add_f32 v7, v7, v29 :: v_dual_add_f32 v30, 1.0, v12
	s_delay_alu instid0(VALU_DEP_1) | instskip(SKIP_2) | instid1(VALU_DEP_4)
	v_ldexp_f32 v7, v7, v28
	v_add_f32_e32 v28, -1.0, v12
	v_cmp_eq_f32_e32 vcc_lo, 0x7f800000, v3
	v_add_f32_e32 v29, -1.0, v30
	s_delay_alu instid0(VALU_DEP_3) | instskip(NEXT) | instid1(VALU_DEP_2)
	v_add_f32_e32 v31, 1.0, v28
	v_sub_f32_e32 v29, v12, v29
	s_delay_alu instid0(VALU_DEP_1) | instskip(NEXT) | instid1(VALU_DEP_1)
	v_dual_sub_f32 v12, v12, v31 :: v_dual_add_f32 v29, v7, v29
	v_add_f32_e32 v7, v7, v12
	s_delay_alu instid0(VALU_DEP_2) | instskip(NEXT) | instid1(VALU_DEP_2)
	v_add_f32_e32 v31, v30, v29
	v_add_f32_e32 v65, v28, v7
	s_delay_alu instid0(VALU_DEP_2) | instskip(SKIP_1) | instid1(VALU_DEP_1)
	v_rcp_f32_e32 v12, v31
	v_sub_f32_e32 v30, v30, v31
	v_dual_sub_f32 v28, v28, v65 :: v_dual_add_f32 v29, v29, v30
	s_delay_alu instid0(VALU_DEP_1) | instskip(SKIP_2) | instid1(VALU_DEP_1)
	v_add_f32_e32 v7, v7, v28
	s_waitcnt_depctr 0xfff
	v_mul_f32_e32 v66, v65, v12
	v_mul_f32_e32 v67, v31, v66
	s_delay_alu instid0(VALU_DEP_1) | instskip(NEXT) | instid1(VALU_DEP_1)
	v_fma_f32 v30, v66, v31, -v67
	v_fmac_f32_e32 v30, v66, v29
	s_delay_alu instid0(VALU_DEP_1) | instskip(NEXT) | instid1(VALU_DEP_1)
	v_add_f32_e32 v68, v67, v30
	v_dual_sub_f32 v28, v68, v67 :: v_dual_sub_f32 v69, v65, v68
	s_delay_alu instid0(VALU_DEP_1) | instskip(NEXT) | instid1(VALU_DEP_1)
	v_dual_sub_f32 v28, v28, v30 :: v_dual_sub_f32 v65, v65, v69
	v_sub_f32_e32 v65, v65, v68
	s_delay_alu instid0(VALU_DEP_1) | instskip(NEXT) | instid1(VALU_DEP_1)
	v_add_f32_e32 v7, v7, v65
	v_add_f32_e32 v7, v28, v7
	s_delay_alu instid0(VALU_DEP_1) | instskip(NEXT) | instid1(VALU_DEP_1)
	v_add_f32_e32 v28, v69, v7
	v_mul_f32_e32 v30, v12, v28
	s_delay_alu instid0(VALU_DEP_1) | instskip(NEXT) | instid1(VALU_DEP_1)
	v_dual_sub_f32 v68, v69, v28 :: v_dual_mul_f32 v65, v31, v30
	v_add_f32_e32 v7, v7, v68
	s_delay_alu instid0(VALU_DEP_2) | instskip(NEXT) | instid1(VALU_DEP_1)
	v_fma_f32 v31, v30, v31, -v65
	v_fmac_f32_e32 v31, v30, v29
	s_delay_alu instid0(VALU_DEP_1) | instskip(NEXT) | instid1(VALU_DEP_1)
	v_add_f32_e32 v29, v65, v31
	v_sub_f32_e32 v67, v28, v29
	s_delay_alu instid0(VALU_DEP_1) | instskip(NEXT) | instid1(VALU_DEP_1)
	v_dual_sub_f32 v65, v29, v65 :: v_dual_sub_f32 v28, v28, v67
	v_dual_sub_f32 v28, v28, v29 :: v_dual_sub_f32 v29, v65, v31
	s_delay_alu instid0(VALU_DEP_1) | instskip(NEXT) | instid1(VALU_DEP_1)
	v_dual_add_f32 v7, v7, v28 :: v_dual_add_f32 v28, v66, v30
	v_add_f32_e32 v7, v29, v7
	s_delay_alu instid0(VALU_DEP_2) | instskip(NEXT) | instid1(VALU_DEP_2)
	v_sub_f32_e32 v29, v28, v66
	v_add_f32_e32 v7, v67, v7
	s_delay_alu instid0(VALU_DEP_2) | instskip(NEXT) | instid1(VALU_DEP_2)
	v_sub_f32_e32 v29, v30, v29
	v_mul_f32_e32 v7, v12, v7
	s_delay_alu instid0(VALU_DEP_1) | instskip(NEXT) | instid1(VALU_DEP_1)
	v_add_f32_e32 v7, v29, v7
	v_add_f32_e32 v12, v28, v7
	s_delay_alu instid0(VALU_DEP_1) | instskip(NEXT) | instid1(VALU_DEP_1)
	v_mul_f32_e32 v29, v12, v12
	v_fmaak_f32 v30, s5, v29, 0x3ecc95a3
	v_mul_f32_e32 v31, v12, v29
	v_cmp_gt_f32_e64 s5, 0x33800000, |v3|
	s_delay_alu instid0(VALU_DEP_3) | instskip(SKIP_2) | instid1(VALU_DEP_4)
	v_fmaak_f32 v29, v29, v30, 0x3f2aaada
	v_ldexp_f32 v30, v12, 1
	v_sub_f32_e32 v12, v12, v28
	s_or_b32 vcc_lo, vcc_lo, s5
	s_delay_alu instid0(VALU_DEP_3) | instskip(SKIP_1) | instid1(VALU_DEP_2)
	v_mul_f32_e32 v29, v31, v29
	v_mul_f32_e32 v31, 0x3f317218, v6
	v_dual_sub_f32 v7, v7, v12 :: v_dual_add_f32 v28, v30, v29
	s_delay_alu instid0(VALU_DEP_1) | instskip(NEXT) | instid1(VALU_DEP_2)
	v_ldexp_f32 v7, v7, 1
	v_sub_f32_e32 v12, v28, v30
	s_delay_alu instid0(VALU_DEP_4) | instskip(NEXT) | instid1(VALU_DEP_2)
	v_fma_f32 v30, 0x3f317218, v6, -v31
	v_sub_f32_e32 v12, v29, v12
	s_delay_alu instid0(VALU_DEP_1) | instskip(NEXT) | instid1(VALU_DEP_1)
	v_dual_fmamk_f32 v6, v6, 0xb102e308, v30 :: v_dual_add_f32 v7, v7, v12
	v_dual_add_f32 v12, v31, v6 :: v_dual_add_f32 v29, v28, v7
	s_delay_alu instid0(VALU_DEP_1) | instskip(NEXT) | instid1(VALU_DEP_2)
	v_sub_f32_e32 v31, v12, v31
	v_add_f32_e32 v30, v12, v29
	v_sub_f32_e32 v28, v29, v28
	s_delay_alu instid0(VALU_DEP_3) | instskip(NEXT) | instid1(VALU_DEP_3)
	v_sub_f32_e32 v6, v6, v31
	v_sub_f32_e32 v65, v30, v12
	s_delay_alu instid0(VALU_DEP_1) | instskip(NEXT) | instid1(VALU_DEP_1)
	v_dual_sub_f32 v7, v7, v28 :: v_dual_sub_f32 v66, v30, v65
	v_dual_sub_f32 v28, v29, v65 :: v_dual_add_f32 v29, v6, v7
	s_delay_alu instid0(VALU_DEP_2) | instskip(NEXT) | instid1(VALU_DEP_1)
	v_sub_f32_e32 v12, v12, v66
	v_add_f32_e32 v12, v28, v12
	s_delay_alu instid0(VALU_DEP_3) | instskip(NEXT) | instid1(VALU_DEP_2)
	v_sub_f32_e32 v28, v29, v6
	v_add_f32_e32 v12, v29, v12
	s_delay_alu instid0(VALU_DEP_2) | instskip(SKIP_1) | instid1(VALU_DEP_3)
	v_sub_f32_e32 v29, v29, v28
	v_sub_f32_e32 v7, v7, v28
	v_add_f32_e32 v31, v30, v12
	s_delay_alu instid0(VALU_DEP_3) | instskip(NEXT) | instid1(VALU_DEP_2)
	v_sub_f32_e32 v6, v6, v29
	v_sub_f32_e32 v28, v31, v30
	s_delay_alu instid0(VALU_DEP_1) | instskip(NEXT) | instid1(VALU_DEP_1)
	v_dual_add_f32 v6, v7, v6 :: v_dual_sub_f32 v7, v12, v28
	v_add_f32_e32 v6, v6, v7
	s_delay_alu instid0(VALU_DEP_1) | instskip(NEXT) | instid1(VALU_DEP_1)
	v_add_f32_e32 v6, v31, v6
	v_cndmask_b32_e32 v3, v6, v3, vcc_lo
	s_delay_alu instid0(VALU_DEP_1) | instskip(NEXT) | instid1(VALU_DEP_1)
	v_add_f32_e32 v2, v2, v3
	v_cvt_f16_f32_e32 v3, v2
.LBB390_243:
	s_or_b32 exec_lo, exec_lo, s4
	s_delay_alu instid0(VALU_DEP_1)
	v_mov_b32_e32 v12, v3
.LBB390_244:
	s_or_b32 exec_lo, exec_lo, s3
	s_delay_alu instid0(VALU_DEP_1)
	v_cvt_f32_f16_e32 v2, v12
	v_cmp_u_f16_e64 s23, v12, v12
	v_cmp_u_f16_e32 vcc_lo, v64, v64
	v_mov_b32_e32 v31, v12
	v_mov_b32_e32 v30, v12
	v_min_f32_e32 v28, v2, v36
	v_max_f32_e32 v29, v2, v36
	v_mov_b32_e32 v64, v2
	s_delay_alu instid0(VALU_DEP_3) | instskip(NEXT) | instid1(VALU_DEP_3)
	v_cndmask_b32_e64 v3, v28, v2, s23
	v_cndmask_b32_e64 v7, v29, v2, s23
	s_delay_alu instid0(VALU_DEP_2) | instskip(NEXT) | instid1(VALU_DEP_2)
	v_cndmask_b32_e32 v6, v3, v36, vcc_lo
	v_cndmask_b32_e32 v3, v7, v36, vcc_lo
	s_delay_alu instid0(VALU_DEP_2) | instskip(NEXT) | instid1(VALU_DEP_2)
	v_cmp_class_f32_e64 s4, v6, 0x1f8
	v_cmp_neq_f32_e64 s3, v6, v3
	s_delay_alu instid0(VALU_DEP_1) | instskip(NEXT) | instid1(SALU_CYCLE_1)
	s_or_b32 s3, s3, s4
	s_and_saveexec_b32 s4, s3
	s_cbranch_execz .LBB390_246
; %bb.245:
	v_sub_f32_e32 v6, v6, v3
	s_delay_alu instid0(VALU_DEP_1) | instskip(NEXT) | instid1(VALU_DEP_1)
	v_mul_f32_e32 v7, 0x3fb8aa3b, v6
	v_fma_f32 v30, 0x3fb8aa3b, v6, -v7
	v_rndne_f32_e32 v31, v7
	s_delay_alu instid0(VALU_DEP_1) | instskip(NEXT) | instid1(VALU_DEP_1)
	v_dual_fmamk_f32 v30, v6, 0x32a5705f, v30 :: v_dual_sub_f32 v7, v7, v31
	v_add_f32_e32 v7, v7, v30
	v_cvt_i32_f32_e32 v30, v31
	v_cmp_ngt_f32_e64 s3, 0xc2ce8ed0, v6
	s_delay_alu instid0(VALU_DEP_3) | instskip(SKIP_2) | instid1(VALU_DEP_1)
	v_exp_f32_e32 v7, v7
	s_waitcnt_depctr 0xfff
	v_ldexp_f32 v7, v7, v30
	v_cndmask_b32_e64 v7, 0, v7, s3
	v_cmp_nlt_f32_e64 s3, 0x42b17218, v6
	s_delay_alu instid0(VALU_DEP_1) | instskip(NEXT) | instid1(VALU_DEP_1)
	v_cndmask_b32_e64 v30, 0x7f800000, v7, s3
	v_add_f32_e32 v31, 1.0, v30
	v_cmp_gt_f32_e64 s5, 0x33800000, |v30|
	s_delay_alu instid0(VALU_DEP_2) | instskip(NEXT) | instid1(VALU_DEP_1)
	v_cvt_f64_f32_e32 v[6:7], v31
	v_frexp_exp_i32_f64_e32 v6, v[6:7]
	v_frexp_mant_f32_e32 v7, v31
	s_delay_alu instid0(VALU_DEP_1) | instskip(SKIP_1) | instid1(VALU_DEP_1)
	v_cmp_gt_f32_e64 s3, 0x3f2aaaab, v7
	v_add_f32_e32 v7, -1.0, v31
	v_sub_f32_e32 v65, v7, v31
	v_sub_f32_e32 v7, v30, v7
	s_delay_alu instid0(VALU_DEP_4) | instskip(SKIP_1) | instid1(VALU_DEP_1)
	v_subrev_co_ci_u32_e64 v6, s3, 0, v6, s3
	s_mov_b32 s3, 0x3e9b6dac
	v_sub_nc_u32_e32 v64, 0, v6
	v_cvt_f32_i32_e32 v6, v6
	s_delay_alu instid0(VALU_DEP_2) | instskip(NEXT) | instid1(VALU_DEP_1)
	v_ldexp_f32 v31, v31, v64
	v_dual_add_f32 v65, 1.0, v65 :: v_dual_add_f32 v66, 1.0, v31
	s_delay_alu instid0(VALU_DEP_1) | instskip(NEXT) | instid1(VALU_DEP_2)
	v_add_f32_e32 v7, v7, v65
	v_add_f32_e32 v65, -1.0, v66
	s_delay_alu instid0(VALU_DEP_2) | instskip(NEXT) | instid1(VALU_DEP_2)
	v_ldexp_f32 v7, v7, v64
	v_dual_add_f32 v64, -1.0, v31 :: v_dual_sub_f32 v65, v31, v65
	s_delay_alu instid0(VALU_DEP_1) | instskip(NEXT) | instid1(VALU_DEP_2)
	v_add_f32_e32 v67, 1.0, v64
	v_add_f32_e32 v65, v7, v65
	s_delay_alu instid0(VALU_DEP_2) | instskip(NEXT) | instid1(VALU_DEP_2)
	v_sub_f32_e32 v31, v31, v67
	v_add_f32_e32 v67, v66, v65
	s_delay_alu instid0(VALU_DEP_2) | instskip(NEXT) | instid1(VALU_DEP_2)
	v_add_f32_e32 v7, v7, v31
	v_rcp_f32_e32 v31, v67
	v_sub_f32_e32 v66, v66, v67
	s_delay_alu instid0(VALU_DEP_1) | instskip(NEXT) | instid1(VALU_DEP_1)
	v_dual_add_f32 v68, v64, v7 :: v_dual_add_f32 v65, v65, v66
	v_sub_f32_e32 v64, v64, v68
	s_waitcnt_depctr 0xfff
	v_mul_f32_e32 v69, v68, v31
	v_add_f32_e32 v7, v7, v64
	s_delay_alu instid0(VALU_DEP_2) | instskip(NEXT) | instid1(VALU_DEP_1)
	v_mul_f32_e32 v70, v67, v69
	v_fma_f32 v66, v69, v67, -v70
	s_delay_alu instid0(VALU_DEP_1) | instskip(NEXT) | instid1(VALU_DEP_1)
	v_fmac_f32_e32 v66, v69, v65
	v_add_f32_e32 v71, v70, v66
	s_delay_alu instid0(VALU_DEP_1) | instskip(SKIP_1) | instid1(VALU_DEP_2)
	v_sub_f32_e32 v80, v68, v71
	v_sub_f32_e32 v64, v71, v70
	;; [unrolled: 1-line block ×3, first 2 shown]
	s_delay_alu instid0(VALU_DEP_2) | instskip(NEXT) | instid1(VALU_DEP_2)
	v_sub_f32_e32 v64, v64, v66
	v_sub_f32_e32 v68, v68, v71
	s_delay_alu instid0(VALU_DEP_1) | instskip(NEXT) | instid1(VALU_DEP_1)
	v_add_f32_e32 v7, v7, v68
	v_add_f32_e32 v7, v64, v7
	s_delay_alu instid0(VALU_DEP_1) | instskip(NEXT) | instid1(VALU_DEP_1)
	v_add_f32_e32 v64, v80, v7
	v_mul_f32_e32 v66, v31, v64
	s_delay_alu instid0(VALU_DEP_1) | instskip(NEXT) | instid1(VALU_DEP_1)
	v_dual_sub_f32 v71, v80, v64 :: v_dual_mul_f32 v68, v67, v66
	v_add_f32_e32 v7, v7, v71
	s_delay_alu instid0(VALU_DEP_2) | instskip(NEXT) | instid1(VALU_DEP_1)
	v_fma_f32 v67, v66, v67, -v68
	v_fmac_f32_e32 v67, v66, v65
	s_delay_alu instid0(VALU_DEP_1) | instskip(NEXT) | instid1(VALU_DEP_1)
	v_add_f32_e32 v65, v68, v67
	v_sub_f32_e32 v70, v64, v65
	v_sub_f32_e32 v68, v65, v68
	s_delay_alu instid0(VALU_DEP_2) | instskip(NEXT) | instid1(VALU_DEP_1)
	v_sub_f32_e32 v64, v64, v70
	v_sub_f32_e32 v64, v64, v65
	s_delay_alu instid0(VALU_DEP_1) | instskip(NEXT) | instid1(VALU_DEP_4)
	v_dual_add_f32 v7, v7, v64 :: v_dual_add_f32 v64, v69, v66
	v_sub_f32_e32 v65, v68, v67
	s_delay_alu instid0(VALU_DEP_1) | instskip(NEXT) | instid1(VALU_DEP_3)
	v_add_f32_e32 v7, v65, v7
	v_sub_f32_e32 v65, v64, v69
	s_delay_alu instid0(VALU_DEP_2) | instskip(NEXT) | instid1(VALU_DEP_2)
	v_add_f32_e32 v7, v70, v7
	v_sub_f32_e32 v65, v66, v65
	s_delay_alu instid0(VALU_DEP_2) | instskip(NEXT) | instid1(VALU_DEP_1)
	v_mul_f32_e32 v7, v31, v7
	v_add_f32_e32 v7, v65, v7
	s_delay_alu instid0(VALU_DEP_1) | instskip(NEXT) | instid1(VALU_DEP_1)
	v_add_f32_e32 v31, v64, v7
	v_mul_f32_e32 v65, v31, v31
	s_delay_alu instid0(VALU_DEP_1) | instskip(SKIP_2) | instid1(VALU_DEP_3)
	v_fmaak_f32 v66, s3, v65, 0x3ecc95a3
	v_mul_f32_e32 v67, v31, v65
	v_cmp_eq_f32_e64 s3, 0x7f800000, v30
	v_fmaak_f32 v65, v65, v66, 0x3f2aaada
	v_ldexp_f32 v66, v31, 1
	v_sub_f32_e32 v31, v31, v64
	s_delay_alu instid0(VALU_DEP_4) | instskip(NEXT) | instid1(VALU_DEP_3)
	s_or_b32 s3, s3, s5
	v_mul_f32_e32 v65, v67, v65
	v_mul_f32_e32 v67, 0x3f317218, v6
	s_delay_alu instid0(VALU_DEP_2) | instskip(NEXT) | instid1(VALU_DEP_1)
	v_dual_sub_f32 v7, v7, v31 :: v_dual_add_f32 v64, v66, v65
	v_ldexp_f32 v7, v7, 1
	s_delay_alu instid0(VALU_DEP_2) | instskip(NEXT) | instid1(VALU_DEP_4)
	v_sub_f32_e32 v31, v64, v66
	v_fma_f32 v66, 0x3f317218, v6, -v67
	s_delay_alu instid0(VALU_DEP_1) | instskip(NEXT) | instid1(VALU_DEP_1)
	v_dual_sub_f32 v31, v65, v31 :: v_dual_fmamk_f32 v6, v6, 0xb102e308, v66
	v_add_f32_e32 v7, v7, v31
	s_delay_alu instid0(VALU_DEP_2) | instskip(NEXT) | instid1(VALU_DEP_2)
	v_add_f32_e32 v31, v67, v6
	v_add_f32_e32 v65, v64, v7
	s_delay_alu instid0(VALU_DEP_2) | instskip(NEXT) | instid1(VALU_DEP_2)
	v_sub_f32_e32 v67, v31, v67
	v_add_f32_e32 v66, v31, v65
	v_sub_f32_e32 v64, v65, v64
	s_delay_alu instid0(VALU_DEP_3) | instskip(NEXT) | instid1(VALU_DEP_2)
	v_sub_f32_e32 v6, v6, v67
	v_dual_sub_f32 v68, v66, v31 :: v_dual_sub_f32 v7, v7, v64
	s_delay_alu instid0(VALU_DEP_1) | instskip(NEXT) | instid1(VALU_DEP_2)
	v_sub_f32_e32 v69, v66, v68
	v_dual_sub_f32 v64, v65, v68 :: v_dual_add_f32 v65, v6, v7
	s_delay_alu instid0(VALU_DEP_2) | instskip(NEXT) | instid1(VALU_DEP_1)
	v_sub_f32_e32 v31, v31, v69
	v_dual_add_f32 v31, v64, v31 :: v_dual_sub_f32 v64, v65, v6
	s_delay_alu instid0(VALU_DEP_1) | instskip(NEXT) | instid1(VALU_DEP_2)
	v_add_f32_e32 v31, v65, v31
	v_sub_f32_e32 v65, v65, v64
	v_sub_f32_e32 v7, v7, v64
	s_delay_alu instid0(VALU_DEP_3) | instskip(NEXT) | instid1(VALU_DEP_3)
	v_add_f32_e32 v67, v66, v31
	v_sub_f32_e32 v6, v6, v65
	s_delay_alu instid0(VALU_DEP_2) | instskip(NEXT) | instid1(VALU_DEP_2)
	v_sub_f32_e32 v64, v67, v66
	v_add_f32_e32 v6, v7, v6
	s_delay_alu instid0(VALU_DEP_2) | instskip(NEXT) | instid1(VALU_DEP_1)
	v_sub_f32_e32 v7, v31, v64
	v_add_f32_e32 v6, v6, v7
	s_delay_alu instid0(VALU_DEP_1) | instskip(NEXT) | instid1(VALU_DEP_1)
	v_add_f32_e32 v6, v67, v6
	v_cndmask_b32_e64 v6, v6, v30, s3
	s_delay_alu instid0(VALU_DEP_1) | instskip(NEXT) | instid1(VALU_DEP_1)
	v_add_f32_e32 v3, v3, v6
	v_cvt_f16_f32_e32 v31, v3
	s_delay_alu instid0(VALU_DEP_1)
	v_mov_b32_e32 v30, v31
	v_cvt_f32_f16_e32 v64, v31
.LBB390_246:
	s_or_b32 exec_lo, exec_lo, s4
	v_cvt_f32_f16_e32 v3, v13
	s_delay_alu instid0(VALU_DEP_2) | instskip(SKIP_1) | instid1(VALU_DEP_2)
	v_max_f32_e32 v6, v64, v64
	v_cmp_u_f16_e64 s3, v31, v31
	v_min_f32_e32 v7, v6, v3
	v_max_f32_e32 v6, v6, v3
	s_delay_alu instid0(VALU_DEP_2) | instskip(NEXT) | instid1(VALU_DEP_2)
	v_cndmask_b32_e64 v7, v7, v64, s3
	v_cndmask_b32_e64 v6, v6, v64, s3
	v_cmp_u_f16_e64 s3, v13, v13
	s_delay_alu instid0(VALU_DEP_1) | instskip(NEXT) | instid1(VALU_DEP_3)
	v_cndmask_b32_e64 v7, v7, v3, s3
	v_cndmask_b32_e64 v6, v6, v3, s3
	s_delay_alu instid0(VALU_DEP_2) | instskip(NEXT) | instid1(VALU_DEP_2)
	v_cmp_class_f32_e64 s5, v7, 0x1f8
	v_cmp_neq_f32_e64 s4, v7, v6
	s_delay_alu instid0(VALU_DEP_1) | instskip(NEXT) | instid1(SALU_CYCLE_1)
	s_or_b32 s4, s4, s5
	s_and_saveexec_b32 s5, s4
	s_cbranch_execz .LBB390_248
; %bb.247:
	v_sub_f32_e32 v7, v7, v6
	s_delay_alu instid0(VALU_DEP_1) | instskip(SKIP_1) | instid1(VALU_DEP_2)
	v_mul_f32_e32 v13, 0x3fb8aa3b, v7
	v_cmp_ngt_f32_e64 s4, 0xc2ce8ed0, v7
	v_fma_f32 v30, 0x3fb8aa3b, v7, -v13
	v_rndne_f32_e32 v31, v13
	s_delay_alu instid0(VALU_DEP_1) | instskip(NEXT) | instid1(VALU_DEP_1)
	v_dual_fmamk_f32 v30, v7, 0x32a5705f, v30 :: v_dual_sub_f32 v13, v13, v31
	v_add_f32_e32 v13, v13, v30
	v_cvt_i32_f32_e32 v30, v31
	s_delay_alu instid0(VALU_DEP_2) | instskip(SKIP_2) | instid1(VALU_DEP_1)
	v_exp_f32_e32 v13, v13
	s_waitcnt_depctr 0xfff
	v_ldexp_f32 v13, v13, v30
	v_cndmask_b32_e64 v13, 0, v13, s4
	v_cmp_nlt_f32_e64 s4, 0x42b17218, v7
	s_delay_alu instid0(VALU_DEP_1) | instskip(NEXT) | instid1(VALU_DEP_1)
	v_cndmask_b32_e64 v7, 0x7f800000, v13, s4
	v_add_f32_e32 v13, 1.0, v7
	v_cmp_gt_f32_e64 s6, 0x33800000, |v7|
	s_delay_alu instid0(VALU_DEP_2) | instskip(NEXT) | instid1(VALU_DEP_1)
	v_cvt_f64_f32_e32 v[30:31], v13
	v_frexp_exp_i32_f64_e32 v30, v[30:31]
	v_frexp_mant_f32_e32 v31, v13
	s_delay_alu instid0(VALU_DEP_1) | instskip(SKIP_1) | instid1(VALU_DEP_1)
	v_cmp_gt_f32_e64 s4, 0x3f2aaaab, v31
	v_add_f32_e32 v31, -1.0, v13
	v_sub_f32_e32 v65, v31, v13
	s_delay_alu instid0(VALU_DEP_1) | instskip(NEXT) | instid1(VALU_DEP_4)
	v_add_f32_e32 v65, 1.0, v65
	v_subrev_co_ci_u32_e64 v30, s4, 0, v30, s4
	s_mov_b32 s4, 0x3e9b6dac
	s_delay_alu instid0(VALU_DEP_1) | instskip(SKIP_1) | instid1(VALU_DEP_2)
	v_sub_nc_u32_e32 v64, 0, v30
	v_cvt_f32_i32_e32 v30, v30
	v_ldexp_f32 v13, v13, v64
	s_delay_alu instid0(VALU_DEP_1) | instskip(NEXT) | instid1(VALU_DEP_1)
	v_dual_sub_f32 v31, v7, v31 :: v_dual_add_f32 v66, 1.0, v13
	v_add_f32_e32 v31, v31, v65
	s_delay_alu instid0(VALU_DEP_1) | instskip(NEXT) | instid1(VALU_DEP_3)
	v_ldexp_f32 v31, v31, v64
	v_dual_add_f32 v64, -1.0, v13 :: v_dual_add_f32 v65, -1.0, v66
	s_delay_alu instid0(VALU_DEP_1) | instskip(NEXT) | instid1(VALU_DEP_2)
	v_add_f32_e32 v67, 1.0, v64
	v_sub_f32_e32 v65, v13, v65
	s_delay_alu instid0(VALU_DEP_2) | instskip(NEXT) | instid1(VALU_DEP_2)
	v_sub_f32_e32 v13, v13, v67
	v_add_f32_e32 v65, v31, v65
	s_delay_alu instid0(VALU_DEP_2) | instskip(NEXT) | instid1(VALU_DEP_2)
	v_add_f32_e32 v13, v31, v13
	v_add_f32_e32 v67, v66, v65
	s_delay_alu instid0(VALU_DEP_2) | instskip(NEXT) | instid1(VALU_DEP_2)
	v_add_f32_e32 v68, v64, v13
	v_rcp_f32_e32 v31, v67
	v_sub_f32_e32 v66, v66, v67
	s_delay_alu instid0(VALU_DEP_1) | instskip(NEXT) | instid1(VALU_DEP_1)
	v_dual_sub_f32 v64, v64, v68 :: v_dual_add_f32 v65, v65, v66
	v_add_f32_e32 v13, v13, v64
	s_waitcnt_depctr 0xfff
	v_mul_f32_e32 v69, v68, v31
	s_delay_alu instid0(VALU_DEP_1) | instskip(NEXT) | instid1(VALU_DEP_1)
	v_mul_f32_e32 v70, v67, v69
	v_fma_f32 v66, v69, v67, -v70
	s_delay_alu instid0(VALU_DEP_1) | instskip(NEXT) | instid1(VALU_DEP_1)
	v_fmac_f32_e32 v66, v69, v65
	v_add_f32_e32 v71, v70, v66
	s_delay_alu instid0(VALU_DEP_1) | instskip(SKIP_1) | instid1(VALU_DEP_2)
	v_sub_f32_e32 v80, v68, v71
	v_sub_f32_e32 v64, v71, v70
	;; [unrolled: 1-line block ×3, first 2 shown]
	s_delay_alu instid0(VALU_DEP_2) | instskip(NEXT) | instid1(VALU_DEP_2)
	v_sub_f32_e32 v64, v64, v66
	v_sub_f32_e32 v68, v68, v71
	s_delay_alu instid0(VALU_DEP_1) | instskip(NEXT) | instid1(VALU_DEP_1)
	v_add_f32_e32 v13, v13, v68
	v_add_f32_e32 v13, v64, v13
	s_delay_alu instid0(VALU_DEP_1) | instskip(NEXT) | instid1(VALU_DEP_1)
	v_add_f32_e32 v64, v80, v13
	v_mul_f32_e32 v66, v31, v64
	s_delay_alu instid0(VALU_DEP_1) | instskip(NEXT) | instid1(VALU_DEP_1)
	v_dual_sub_f32 v71, v80, v64 :: v_dual_mul_f32 v68, v67, v66
	v_add_f32_e32 v13, v13, v71
	s_delay_alu instid0(VALU_DEP_2) | instskip(NEXT) | instid1(VALU_DEP_1)
	v_fma_f32 v67, v66, v67, -v68
	v_fmac_f32_e32 v67, v66, v65
	s_delay_alu instid0(VALU_DEP_1) | instskip(NEXT) | instid1(VALU_DEP_1)
	v_add_f32_e32 v65, v68, v67
	v_sub_f32_e32 v70, v64, v65
	v_sub_f32_e32 v68, v65, v68
	s_delay_alu instid0(VALU_DEP_2) | instskip(NEXT) | instid1(VALU_DEP_1)
	v_sub_f32_e32 v64, v64, v70
	v_sub_f32_e32 v64, v64, v65
	s_delay_alu instid0(VALU_DEP_3) | instskip(NEXT) | instid1(VALU_DEP_2)
	v_sub_f32_e32 v65, v68, v67
	v_add_f32_e32 v13, v13, v64
	v_add_f32_e32 v64, v69, v66
	s_delay_alu instid0(VALU_DEP_2) | instskip(NEXT) | instid1(VALU_DEP_2)
	v_add_f32_e32 v13, v65, v13
	v_sub_f32_e32 v65, v64, v69
	s_delay_alu instid0(VALU_DEP_2) | instskip(NEXT) | instid1(VALU_DEP_2)
	v_add_f32_e32 v13, v70, v13
	v_sub_f32_e32 v65, v66, v65
	s_delay_alu instid0(VALU_DEP_2) | instskip(NEXT) | instid1(VALU_DEP_1)
	v_mul_f32_e32 v13, v31, v13
	v_add_f32_e32 v13, v65, v13
	s_delay_alu instid0(VALU_DEP_1) | instskip(NEXT) | instid1(VALU_DEP_1)
	v_add_f32_e32 v31, v64, v13
	v_mul_f32_e32 v65, v31, v31
	s_delay_alu instid0(VALU_DEP_1) | instskip(SKIP_2) | instid1(VALU_DEP_3)
	v_fmaak_f32 v66, s4, v65, 0x3ecc95a3
	v_mul_f32_e32 v67, v31, v65
	v_cmp_eq_f32_e64 s4, 0x7f800000, v7
	v_fmaak_f32 v65, v65, v66, 0x3f2aaada
	v_ldexp_f32 v66, v31, 1
	v_sub_f32_e32 v31, v31, v64
	s_delay_alu instid0(VALU_DEP_4) | instskip(NEXT) | instid1(VALU_DEP_3)
	s_or_b32 s4, s4, s6
	v_mul_f32_e32 v65, v67, v65
	v_mul_f32_e32 v67, 0x3f317218, v30
	s_delay_alu instid0(VALU_DEP_2) | instskip(NEXT) | instid1(VALU_DEP_1)
	v_dual_sub_f32 v13, v13, v31 :: v_dual_add_f32 v64, v66, v65
	v_ldexp_f32 v13, v13, 1
	s_delay_alu instid0(VALU_DEP_2) | instskip(NEXT) | instid1(VALU_DEP_4)
	v_sub_f32_e32 v31, v64, v66
	v_fma_f32 v66, 0x3f317218, v30, -v67
	s_delay_alu instid0(VALU_DEP_1) | instskip(NEXT) | instid1(VALU_DEP_1)
	v_dual_sub_f32 v31, v65, v31 :: v_dual_fmamk_f32 v30, v30, 0xb102e308, v66
	v_add_f32_e32 v13, v13, v31
	s_delay_alu instid0(VALU_DEP_2) | instskip(NEXT) | instid1(VALU_DEP_2)
	v_add_f32_e32 v31, v67, v30
	v_add_f32_e32 v65, v64, v13
	s_delay_alu instid0(VALU_DEP_2) | instskip(NEXT) | instid1(VALU_DEP_2)
	v_sub_f32_e32 v67, v31, v67
	v_add_f32_e32 v66, v31, v65
	v_sub_f32_e32 v64, v65, v64
	s_delay_alu instid0(VALU_DEP_3) | instskip(NEXT) | instid1(VALU_DEP_2)
	v_sub_f32_e32 v30, v30, v67
	v_dual_sub_f32 v68, v66, v31 :: v_dual_sub_f32 v13, v13, v64
	s_delay_alu instid0(VALU_DEP_1) | instskip(NEXT) | instid1(VALU_DEP_2)
	v_sub_f32_e32 v69, v66, v68
	v_dual_sub_f32 v64, v65, v68 :: v_dual_add_f32 v65, v30, v13
	s_delay_alu instid0(VALU_DEP_2) | instskip(NEXT) | instid1(VALU_DEP_1)
	v_sub_f32_e32 v31, v31, v69
	v_dual_add_f32 v31, v64, v31 :: v_dual_sub_f32 v64, v65, v30
	s_delay_alu instid0(VALU_DEP_1) | instskip(NEXT) | instid1(VALU_DEP_2)
	v_add_f32_e32 v31, v65, v31
	v_sub_f32_e32 v65, v65, v64
	v_sub_f32_e32 v13, v13, v64
	s_delay_alu instid0(VALU_DEP_3) | instskip(NEXT) | instid1(VALU_DEP_3)
	v_add_f32_e32 v67, v66, v31
	v_sub_f32_e32 v30, v30, v65
	s_delay_alu instid0(VALU_DEP_2) | instskip(NEXT) | instid1(VALU_DEP_1)
	v_sub_f32_e32 v64, v67, v66
	v_dual_add_f32 v13, v13, v30 :: v_dual_sub_f32 v30, v31, v64
	s_delay_alu instid0(VALU_DEP_1) | instskip(NEXT) | instid1(VALU_DEP_1)
	v_add_f32_e32 v13, v13, v30
	v_add_f32_e32 v13, v67, v13
	s_delay_alu instid0(VALU_DEP_1) | instskip(NEXT) | instid1(VALU_DEP_1)
	v_cndmask_b32_e64 v7, v13, v7, s4
	v_add_f32_e32 v6, v6, v7
	s_delay_alu instid0(VALU_DEP_1) | instskip(NEXT) | instid1(VALU_DEP_1)
	v_cvt_f16_f32_e32 v31, v6
	v_cvt_f32_f16_e32 v64, v31
	v_mov_b32_e32 v30, v31
.LBB390_248:
	s_or_b32 exec_lo, exec_lo, s5
	v_cvt_f32_f16_e32 v6, v55
	s_delay_alu instid0(VALU_DEP_3) | instskip(SKIP_1) | instid1(VALU_DEP_2)
	v_max_f32_e32 v7, v64, v64
	v_cmp_u_f16_e64 s4, v31, v31
	v_min_f32_e32 v13, v7, v6
	v_max_f32_e32 v7, v7, v6
	s_delay_alu instid0(VALU_DEP_2) | instskip(NEXT) | instid1(VALU_DEP_2)
	v_cndmask_b32_e64 v13, v13, v64, s4
	v_cndmask_b32_e64 v7, v7, v64, s4
	v_cmp_u_f16_e64 s4, v55, v55
	s_delay_alu instid0(VALU_DEP_1) | instskip(NEXT) | instid1(VALU_DEP_3)
	v_cndmask_b32_e64 v13, v13, v6, s4
	v_cndmask_b32_e64 v7, v7, v6, s4
	s_delay_alu instid0(VALU_DEP_2) | instskip(NEXT) | instid1(VALU_DEP_2)
	v_cmp_class_f32_e64 s6, v13, 0x1f8
	v_cmp_neq_f32_e64 s5, v13, v7
	s_delay_alu instid0(VALU_DEP_1) | instskip(NEXT) | instid1(SALU_CYCLE_1)
	s_or_b32 s5, s5, s6
	s_and_saveexec_b32 s6, s5
	s_cbranch_execz .LBB390_250
; %bb.249:
	v_sub_f32_e32 v13, v13, v7
	s_delay_alu instid0(VALU_DEP_1) | instskip(SKIP_1) | instid1(VALU_DEP_2)
	v_mul_f32_e32 v30, 0x3fb8aa3b, v13
	v_cmp_ngt_f32_e64 s5, 0xc2ce8ed0, v13
	v_fma_f32 v31, 0x3fb8aa3b, v13, -v30
	v_rndne_f32_e32 v55, v30
	s_delay_alu instid0(VALU_DEP_1) | instskip(NEXT) | instid1(VALU_DEP_1)
	v_dual_fmamk_f32 v31, v13, 0x32a5705f, v31 :: v_dual_sub_f32 v30, v30, v55
	v_add_f32_e32 v30, v30, v31
	v_cvt_i32_f32_e32 v31, v55
	s_delay_alu instid0(VALU_DEP_2) | instskip(SKIP_2) | instid1(VALU_DEP_1)
	v_exp_f32_e32 v30, v30
	s_waitcnt_depctr 0xfff
	v_ldexp_f32 v30, v30, v31
	v_cndmask_b32_e64 v30, 0, v30, s5
	v_cmp_nlt_f32_e64 s5, 0x42b17218, v13
	s_delay_alu instid0(VALU_DEP_1) | instskip(NEXT) | instid1(VALU_DEP_1)
	v_cndmask_b32_e64 v13, 0x7f800000, v30, s5
	v_add_f32_e32 v55, 1.0, v13
	v_cmp_gt_f32_e64 s7, 0x33800000, |v13|
	s_delay_alu instid0(VALU_DEP_2) | instskip(NEXT) | instid1(VALU_DEP_1)
	v_cvt_f64_f32_e32 v[30:31], v55
	v_frexp_exp_i32_f64_e32 v30, v[30:31]
	v_frexp_mant_f32_e32 v31, v55
	s_delay_alu instid0(VALU_DEP_1) | instskip(SKIP_1) | instid1(VALU_DEP_1)
	v_cmp_gt_f32_e64 s5, 0x3f2aaaab, v31
	v_add_f32_e32 v31, -1.0, v55
	v_sub_f32_e32 v65, v31, v55
	v_sub_f32_e32 v31, v13, v31
	s_delay_alu instid0(VALU_DEP_4) | instskip(SKIP_1) | instid1(VALU_DEP_1)
	v_subrev_co_ci_u32_e64 v30, s5, 0, v30, s5
	s_mov_b32 s5, 0x3e9b6dac
	v_sub_nc_u32_e32 v64, 0, v30
	v_cvt_f32_i32_e32 v30, v30
	s_delay_alu instid0(VALU_DEP_2) | instskip(NEXT) | instid1(VALU_DEP_1)
	v_ldexp_f32 v55, v55, v64
	v_dual_add_f32 v65, 1.0, v65 :: v_dual_add_f32 v66, 1.0, v55
	s_delay_alu instid0(VALU_DEP_1) | instskip(NEXT) | instid1(VALU_DEP_1)
	v_add_f32_e32 v31, v31, v65
	v_ldexp_f32 v31, v31, v64
	s_delay_alu instid0(VALU_DEP_3) | instskip(NEXT) | instid1(VALU_DEP_1)
	v_dual_add_f32 v64, -1.0, v55 :: v_dual_add_f32 v65, -1.0, v66
	v_add_f32_e32 v67, 1.0, v64
	s_delay_alu instid0(VALU_DEP_2) | instskip(NEXT) | instid1(VALU_DEP_2)
	v_sub_f32_e32 v65, v55, v65
	v_sub_f32_e32 v55, v55, v67
	s_delay_alu instid0(VALU_DEP_2) | instskip(NEXT) | instid1(VALU_DEP_2)
	v_add_f32_e32 v65, v31, v65
	v_add_f32_e32 v31, v31, v55
	s_delay_alu instid0(VALU_DEP_1) | instskip(NEXT) | instid1(VALU_DEP_1)
	v_dual_add_f32 v67, v66, v65 :: v_dual_add_f32 v68, v64, v31
	v_rcp_f32_e32 v55, v67
	v_sub_f32_e32 v66, v66, v67
	s_delay_alu instid0(VALU_DEP_1) | instskip(NEXT) | instid1(VALU_DEP_1)
	v_dual_sub_f32 v64, v64, v68 :: v_dual_add_f32 v65, v65, v66
	v_add_f32_e32 v31, v31, v64
	s_waitcnt_depctr 0xfff
	v_mul_f32_e32 v69, v68, v55
	s_delay_alu instid0(VALU_DEP_1) | instskip(NEXT) | instid1(VALU_DEP_1)
	v_mul_f32_e32 v70, v67, v69
	v_fma_f32 v66, v69, v67, -v70
	s_delay_alu instid0(VALU_DEP_1) | instskip(NEXT) | instid1(VALU_DEP_1)
	v_fmac_f32_e32 v66, v69, v65
	v_add_f32_e32 v71, v70, v66
	s_delay_alu instid0(VALU_DEP_1) | instskip(SKIP_1) | instid1(VALU_DEP_2)
	v_sub_f32_e32 v80, v68, v71
	v_sub_f32_e32 v64, v71, v70
	;; [unrolled: 1-line block ×3, first 2 shown]
	s_delay_alu instid0(VALU_DEP_2) | instskip(NEXT) | instid1(VALU_DEP_2)
	v_sub_f32_e32 v64, v64, v66
	v_sub_f32_e32 v68, v68, v71
	s_delay_alu instid0(VALU_DEP_1) | instskip(NEXT) | instid1(VALU_DEP_1)
	v_add_f32_e32 v31, v31, v68
	v_add_f32_e32 v31, v64, v31
	s_delay_alu instid0(VALU_DEP_1) | instskip(NEXT) | instid1(VALU_DEP_1)
	v_add_f32_e32 v64, v80, v31
	v_mul_f32_e32 v66, v55, v64
	s_delay_alu instid0(VALU_DEP_1) | instskip(NEXT) | instid1(VALU_DEP_1)
	v_dual_sub_f32 v71, v80, v64 :: v_dual_mul_f32 v68, v67, v66
	v_add_f32_e32 v31, v31, v71
	s_delay_alu instid0(VALU_DEP_2) | instskip(NEXT) | instid1(VALU_DEP_1)
	v_fma_f32 v67, v66, v67, -v68
	v_fmac_f32_e32 v67, v66, v65
	s_delay_alu instid0(VALU_DEP_1) | instskip(NEXT) | instid1(VALU_DEP_1)
	v_add_f32_e32 v65, v68, v67
	v_sub_f32_e32 v70, v64, v65
	s_delay_alu instid0(VALU_DEP_1) | instskip(NEXT) | instid1(VALU_DEP_1)
	v_sub_f32_e32 v64, v64, v70
	v_sub_f32_e32 v64, v64, v65
	s_delay_alu instid0(VALU_DEP_1) | instskip(SKIP_1) | instid1(VALU_DEP_1)
	v_dual_add_f32 v31, v31, v64 :: v_dual_add_f32 v64, v69, v66
	v_sub_f32_e32 v68, v65, v68
	v_sub_f32_e32 v65, v68, v67
	s_delay_alu instid0(VALU_DEP_1) | instskip(NEXT) | instid1(VALU_DEP_4)
	v_add_f32_e32 v31, v65, v31
	v_sub_f32_e32 v65, v64, v69
	s_delay_alu instid0(VALU_DEP_2) | instskip(NEXT) | instid1(VALU_DEP_2)
	v_add_f32_e32 v31, v70, v31
	v_sub_f32_e32 v65, v66, v65
	s_delay_alu instid0(VALU_DEP_2) | instskip(NEXT) | instid1(VALU_DEP_1)
	v_mul_f32_e32 v31, v55, v31
	v_add_f32_e32 v31, v65, v31
	s_delay_alu instid0(VALU_DEP_1) | instskip(NEXT) | instid1(VALU_DEP_1)
	v_add_f32_e32 v55, v64, v31
	v_mul_f32_e32 v65, v55, v55
	s_delay_alu instid0(VALU_DEP_1) | instskip(SKIP_2) | instid1(VALU_DEP_3)
	v_fmaak_f32 v66, s5, v65, 0x3ecc95a3
	v_mul_f32_e32 v67, v55, v65
	v_cmp_eq_f32_e64 s5, 0x7f800000, v13
	v_fmaak_f32 v65, v65, v66, 0x3f2aaada
	v_ldexp_f32 v66, v55, 1
	v_sub_f32_e32 v55, v55, v64
	s_delay_alu instid0(VALU_DEP_4) | instskip(NEXT) | instid1(VALU_DEP_3)
	s_or_b32 s5, s5, s7
	v_mul_f32_e32 v65, v67, v65
	v_mul_f32_e32 v67, 0x3f317218, v30
	s_delay_alu instid0(VALU_DEP_2) | instskip(NEXT) | instid1(VALU_DEP_1)
	v_dual_sub_f32 v31, v31, v55 :: v_dual_add_f32 v64, v66, v65
	v_ldexp_f32 v31, v31, 1
	s_delay_alu instid0(VALU_DEP_2) | instskip(NEXT) | instid1(VALU_DEP_4)
	v_sub_f32_e32 v55, v64, v66
	v_fma_f32 v66, 0x3f317218, v30, -v67
	s_delay_alu instid0(VALU_DEP_1) | instskip(NEXT) | instid1(VALU_DEP_1)
	v_dual_sub_f32 v55, v65, v55 :: v_dual_fmamk_f32 v30, v30, 0xb102e308, v66
	v_add_f32_e32 v31, v31, v55
	s_delay_alu instid0(VALU_DEP_2) | instskip(NEXT) | instid1(VALU_DEP_2)
	v_add_f32_e32 v55, v67, v30
	v_add_f32_e32 v65, v64, v31
	s_delay_alu instid0(VALU_DEP_2) | instskip(NEXT) | instid1(VALU_DEP_2)
	v_sub_f32_e32 v67, v55, v67
	v_add_f32_e32 v66, v55, v65
	v_sub_f32_e32 v64, v65, v64
	s_delay_alu instid0(VALU_DEP_3) | instskip(NEXT) | instid1(VALU_DEP_2)
	v_sub_f32_e32 v30, v30, v67
	v_dual_sub_f32 v68, v66, v55 :: v_dual_sub_f32 v31, v31, v64
	s_delay_alu instid0(VALU_DEP_1) | instskip(NEXT) | instid1(VALU_DEP_2)
	v_sub_f32_e32 v69, v66, v68
	v_dual_sub_f32 v64, v65, v68 :: v_dual_add_f32 v65, v30, v31
	s_delay_alu instid0(VALU_DEP_2) | instskip(NEXT) | instid1(VALU_DEP_1)
	v_sub_f32_e32 v55, v55, v69
	v_dual_add_f32 v55, v64, v55 :: v_dual_sub_f32 v64, v65, v30
	s_delay_alu instid0(VALU_DEP_1) | instskip(NEXT) | instid1(VALU_DEP_2)
	v_add_f32_e32 v55, v65, v55
	v_sub_f32_e32 v65, v65, v64
	v_sub_f32_e32 v31, v31, v64
	s_delay_alu instid0(VALU_DEP_3) | instskip(NEXT) | instid1(VALU_DEP_3)
	v_add_f32_e32 v67, v66, v55
	v_sub_f32_e32 v30, v30, v65
	s_delay_alu instid0(VALU_DEP_2) | instskip(NEXT) | instid1(VALU_DEP_2)
	v_sub_f32_e32 v64, v67, v66
	v_add_f32_e32 v30, v31, v30
	s_delay_alu instid0(VALU_DEP_2) | instskip(NEXT) | instid1(VALU_DEP_1)
	v_sub_f32_e32 v31, v55, v64
	v_add_f32_e32 v30, v30, v31
	s_delay_alu instid0(VALU_DEP_1) | instskip(NEXT) | instid1(VALU_DEP_1)
	v_add_f32_e32 v30, v67, v30
	v_cndmask_b32_e64 v13, v30, v13, s5
	s_delay_alu instid0(VALU_DEP_1) | instskip(NEXT) | instid1(VALU_DEP_1)
	v_add_f32_e32 v7, v7, v13
	v_cvt_f16_f32_e32 v31, v7
	s_delay_alu instid0(VALU_DEP_1)
	v_cvt_f32_f16_e32 v64, v31
	v_mov_b32_e32 v30, v31
.LBB390_250:
	s_or_b32 exec_lo, exec_lo, s6
	v_cvt_f32_f16_e32 v7, v26
	s_delay_alu instid0(VALU_DEP_3) | instskip(SKIP_1) | instid1(VALU_DEP_2)
	v_max_f32_e32 v13, v64, v64
	v_cmp_u_f16_e64 s5, v31, v31
	v_min_f32_e32 v55, v13, v7
	v_max_f32_e32 v13, v13, v7
	s_delay_alu instid0(VALU_DEP_2) | instskip(NEXT) | instid1(VALU_DEP_2)
	v_cndmask_b32_e64 v55, v55, v64, s5
	v_cndmask_b32_e64 v13, v13, v64, s5
	v_cmp_u_f16_e64 s5, v26, v26
	s_delay_alu instid0(VALU_DEP_1) | instskip(NEXT) | instid1(VALU_DEP_3)
	v_cndmask_b32_e64 v26, v55, v7, s5
	v_cndmask_b32_e64 v13, v13, v7, s5
	s_delay_alu instid0(VALU_DEP_2) | instskip(NEXT) | instid1(VALU_DEP_2)
	v_cmp_class_f32_e64 s7, v26, 0x1f8
	v_cmp_neq_f32_e64 s6, v26, v13
	s_delay_alu instid0(VALU_DEP_1) | instskip(NEXT) | instid1(SALU_CYCLE_1)
	s_or_b32 s6, s6, s7
	s_and_saveexec_b32 s7, s6
	s_cbranch_execz .LBB390_252
; %bb.251:
	v_sub_f32_e32 v26, v26, v13
	s_delay_alu instid0(VALU_DEP_1) | instskip(SKIP_1) | instid1(VALU_DEP_2)
	v_mul_f32_e32 v30, 0x3fb8aa3b, v26
	v_cmp_ngt_f32_e64 s6, 0xc2ce8ed0, v26
	v_fma_f32 v31, 0x3fb8aa3b, v26, -v30
	v_rndne_f32_e32 v55, v30
	s_delay_alu instid0(VALU_DEP_2) | instskip(NEXT) | instid1(VALU_DEP_2)
	v_fmamk_f32 v31, v26, 0x32a5705f, v31
	v_sub_f32_e32 v30, v30, v55
	s_delay_alu instid0(VALU_DEP_1) | instskip(SKIP_1) | instid1(VALU_DEP_2)
	v_add_f32_e32 v30, v30, v31
	v_cvt_i32_f32_e32 v31, v55
	v_exp_f32_e32 v30, v30
	s_waitcnt_depctr 0xfff
	v_ldexp_f32 v30, v30, v31
	s_delay_alu instid0(VALU_DEP_1) | instskip(SKIP_1) | instid1(VALU_DEP_1)
	v_cndmask_b32_e64 v30, 0, v30, s6
	v_cmp_nlt_f32_e64 s6, 0x42b17218, v26
	v_cndmask_b32_e64 v26, 0x7f800000, v30, s6
	s_delay_alu instid0(VALU_DEP_1) | instskip(SKIP_1) | instid1(VALU_DEP_2)
	v_add_f32_e32 v55, 1.0, v26
	v_cmp_gt_f32_e64 s8, 0x33800000, |v26|
	v_cvt_f64_f32_e32 v[30:31], v55
	s_delay_alu instid0(VALU_DEP_1) | instskip(SKIP_1) | instid1(VALU_DEP_1)
	v_frexp_exp_i32_f64_e32 v30, v[30:31]
	v_frexp_mant_f32_e32 v31, v55
	v_cmp_gt_f32_e64 s6, 0x3f2aaaab, v31
	v_add_f32_e32 v31, -1.0, v55
	s_delay_alu instid0(VALU_DEP_1) | instskip(SKIP_1) | instid1(VALU_DEP_2)
	v_sub_f32_e32 v65, v31, v55
	v_sub_f32_e32 v31, v26, v31
	v_add_f32_e32 v65, 1.0, v65
	v_subrev_co_ci_u32_e64 v30, s6, 0, v30, s6
	s_mov_b32 s6, 0x3e9b6dac
	s_delay_alu instid0(VALU_DEP_1) | instskip(SKIP_1) | instid1(VALU_DEP_2)
	v_sub_nc_u32_e32 v64, 0, v30
	v_cvt_f32_i32_e32 v30, v30
	v_ldexp_f32 v55, v55, v64
	s_delay_alu instid0(VALU_DEP_1) | instskip(NEXT) | instid1(VALU_DEP_1)
	v_dual_add_f32 v31, v31, v65 :: v_dual_add_f32 v66, 1.0, v55
	v_ldexp_f32 v31, v31, v64
	s_delay_alu instid0(VALU_DEP_2) | instskip(NEXT) | instid1(VALU_DEP_1)
	v_dual_add_f32 v64, -1.0, v55 :: v_dual_add_f32 v65, -1.0, v66
	v_add_f32_e32 v67, 1.0, v64
	s_delay_alu instid0(VALU_DEP_2) | instskip(NEXT) | instid1(VALU_DEP_2)
	v_sub_f32_e32 v65, v55, v65
	v_sub_f32_e32 v55, v55, v67
	s_delay_alu instid0(VALU_DEP_2) | instskip(NEXT) | instid1(VALU_DEP_2)
	v_add_f32_e32 v65, v31, v65
	v_add_f32_e32 v31, v31, v55
	s_delay_alu instid0(VALU_DEP_1) | instskip(NEXT) | instid1(VALU_DEP_1)
	v_dual_add_f32 v68, v64, v31 :: v_dual_add_f32 v67, v66, v65
	v_sub_f32_e32 v64, v64, v68
	s_delay_alu instid0(VALU_DEP_2) | instskip(NEXT) | instid1(VALU_DEP_1)
	v_rcp_f32_e32 v55, v67
	v_dual_sub_f32 v66, v66, v67 :: v_dual_add_f32 v31, v31, v64
	s_delay_alu instid0(VALU_DEP_1) | instskip(SKIP_2) | instid1(VALU_DEP_1)
	v_add_f32_e32 v65, v65, v66
	s_waitcnt_depctr 0xfff
	v_mul_f32_e32 v69, v68, v55
	v_mul_f32_e32 v70, v67, v69
	s_delay_alu instid0(VALU_DEP_1) | instskip(NEXT) | instid1(VALU_DEP_1)
	v_fma_f32 v66, v69, v67, -v70
	v_fmac_f32_e32 v66, v69, v65
	s_delay_alu instid0(VALU_DEP_1) | instskip(NEXT) | instid1(VALU_DEP_1)
	v_add_f32_e32 v71, v70, v66
	v_sub_f32_e32 v80, v68, v71
	v_sub_f32_e32 v64, v71, v70
	s_delay_alu instid0(VALU_DEP_2) | instskip(NEXT) | instid1(VALU_DEP_2)
	v_sub_f32_e32 v68, v68, v80
	v_sub_f32_e32 v64, v64, v66
	s_delay_alu instid0(VALU_DEP_2) | instskip(NEXT) | instid1(VALU_DEP_1)
	v_sub_f32_e32 v68, v68, v71
	v_add_f32_e32 v31, v31, v68
	s_delay_alu instid0(VALU_DEP_1) | instskip(NEXT) | instid1(VALU_DEP_1)
	v_add_f32_e32 v31, v64, v31
	v_add_f32_e32 v64, v80, v31
	s_delay_alu instid0(VALU_DEP_1) | instskip(NEXT) | instid1(VALU_DEP_1)
	v_mul_f32_e32 v66, v55, v64
	v_dual_sub_f32 v71, v80, v64 :: v_dual_mul_f32 v68, v67, v66
	s_delay_alu instid0(VALU_DEP_1) | instskip(NEXT) | instid1(VALU_DEP_1)
	v_fma_f32 v67, v66, v67, -v68
	v_fmac_f32_e32 v67, v66, v65
	s_delay_alu instid0(VALU_DEP_1) | instskip(NEXT) | instid1(VALU_DEP_1)
	v_add_f32_e32 v65, v68, v67
	v_dual_add_f32 v31, v31, v71 :: v_dual_sub_f32 v70, v64, v65
	s_delay_alu instid0(VALU_DEP_1) | instskip(NEXT) | instid1(VALU_DEP_1)
	v_sub_f32_e32 v64, v64, v70
	v_sub_f32_e32 v64, v64, v65
	s_delay_alu instid0(VALU_DEP_1) | instskip(SKIP_1) | instid1(VALU_DEP_1)
	v_dual_add_f32 v31, v31, v64 :: v_dual_add_f32 v64, v69, v66
	v_sub_f32_e32 v68, v65, v68
	v_sub_f32_e32 v65, v68, v67
	s_delay_alu instid0(VALU_DEP_1) | instskip(NEXT) | instid1(VALU_DEP_4)
	v_add_f32_e32 v31, v65, v31
	v_sub_f32_e32 v65, v64, v69
	s_delay_alu instid0(VALU_DEP_2) | instskip(NEXT) | instid1(VALU_DEP_2)
	v_add_f32_e32 v31, v70, v31
	v_sub_f32_e32 v65, v66, v65
	s_delay_alu instid0(VALU_DEP_2) | instskip(NEXT) | instid1(VALU_DEP_1)
	v_mul_f32_e32 v31, v55, v31
	v_add_f32_e32 v31, v65, v31
	s_delay_alu instid0(VALU_DEP_1) | instskip(NEXT) | instid1(VALU_DEP_1)
	v_add_f32_e32 v55, v64, v31
	v_mul_f32_e32 v65, v55, v55
	s_delay_alu instid0(VALU_DEP_1) | instskip(SKIP_2) | instid1(VALU_DEP_3)
	v_fmaak_f32 v66, s6, v65, 0x3ecc95a3
	v_mul_f32_e32 v67, v55, v65
	v_cmp_eq_f32_e64 s6, 0x7f800000, v26
	v_fmaak_f32 v65, v65, v66, 0x3f2aaada
	v_ldexp_f32 v66, v55, 1
	v_sub_f32_e32 v55, v55, v64
	s_delay_alu instid0(VALU_DEP_4) | instskip(NEXT) | instid1(VALU_DEP_3)
	s_or_b32 s6, s6, s8
	v_mul_f32_e32 v65, v67, v65
	v_mul_f32_e32 v67, 0x3f317218, v30
	s_delay_alu instid0(VALU_DEP_2) | instskip(NEXT) | instid1(VALU_DEP_1)
	v_dual_sub_f32 v31, v31, v55 :: v_dual_add_f32 v64, v66, v65
	v_ldexp_f32 v31, v31, 1
	s_delay_alu instid0(VALU_DEP_2) | instskip(NEXT) | instid1(VALU_DEP_4)
	v_sub_f32_e32 v55, v64, v66
	v_fma_f32 v66, 0x3f317218, v30, -v67
	s_delay_alu instid0(VALU_DEP_1) | instskip(NEXT) | instid1(VALU_DEP_1)
	v_dual_sub_f32 v55, v65, v55 :: v_dual_fmamk_f32 v30, v30, 0xb102e308, v66
	v_add_f32_e32 v31, v31, v55
	s_delay_alu instid0(VALU_DEP_2) | instskip(NEXT) | instid1(VALU_DEP_2)
	v_add_f32_e32 v55, v67, v30
	v_add_f32_e32 v65, v64, v31
	s_delay_alu instid0(VALU_DEP_2) | instskip(NEXT) | instid1(VALU_DEP_2)
	v_sub_f32_e32 v67, v55, v67
	v_add_f32_e32 v66, v55, v65
	v_sub_f32_e32 v64, v65, v64
	s_delay_alu instid0(VALU_DEP_3) | instskip(NEXT) | instid1(VALU_DEP_2)
	v_sub_f32_e32 v30, v30, v67
	v_dual_sub_f32 v68, v66, v55 :: v_dual_sub_f32 v31, v31, v64
	s_delay_alu instid0(VALU_DEP_1) | instskip(NEXT) | instid1(VALU_DEP_2)
	v_sub_f32_e32 v69, v66, v68
	v_dual_sub_f32 v64, v65, v68 :: v_dual_add_f32 v65, v30, v31
	s_delay_alu instid0(VALU_DEP_2) | instskip(NEXT) | instid1(VALU_DEP_1)
	v_sub_f32_e32 v55, v55, v69
	v_dual_add_f32 v55, v64, v55 :: v_dual_sub_f32 v64, v65, v30
	s_delay_alu instid0(VALU_DEP_1) | instskip(NEXT) | instid1(VALU_DEP_2)
	v_add_f32_e32 v55, v65, v55
	v_sub_f32_e32 v65, v65, v64
	v_sub_f32_e32 v31, v31, v64
	s_delay_alu instid0(VALU_DEP_3) | instskip(NEXT) | instid1(VALU_DEP_3)
	v_add_f32_e32 v67, v66, v55
	v_sub_f32_e32 v30, v30, v65
	s_delay_alu instid0(VALU_DEP_2) | instskip(NEXT) | instid1(VALU_DEP_2)
	v_sub_f32_e32 v64, v67, v66
	v_add_f32_e32 v30, v31, v30
	s_delay_alu instid0(VALU_DEP_2) | instskip(NEXT) | instid1(VALU_DEP_1)
	v_sub_f32_e32 v31, v55, v64
	v_add_f32_e32 v30, v30, v31
	s_delay_alu instid0(VALU_DEP_1) | instskip(NEXT) | instid1(VALU_DEP_1)
	v_add_f32_e32 v30, v67, v30
	v_cndmask_b32_e64 v26, v30, v26, s6
	s_delay_alu instid0(VALU_DEP_1) | instskip(NEXT) | instid1(VALU_DEP_1)
	v_add_f32_e32 v13, v13, v26
	v_cvt_f16_f32_e32 v31, v13
	s_delay_alu instid0(VALU_DEP_1)
	v_cvt_f32_f16_e32 v64, v31
	v_mov_b32_e32 v30, v31
.LBB390_252:
	s_or_b32 exec_lo, exec_lo, s7
	v_cvt_f32_f16_e32 v13, v54
	s_delay_alu instid0(VALU_DEP_3) | instskip(SKIP_1) | instid1(VALU_DEP_2)
	v_max_f32_e32 v26, v64, v64
	v_cmp_u_f16_e64 s6, v31, v31
	v_min_f32_e32 v55, v26, v13
	v_max_f32_e32 v26, v26, v13
	s_delay_alu instid0(VALU_DEP_2) | instskip(NEXT) | instid1(VALU_DEP_2)
	v_cndmask_b32_e64 v55, v55, v64, s6
	v_cndmask_b32_e64 v26, v26, v64, s6
	v_cmp_u_f16_e64 s6, v54, v54
	s_delay_alu instid0(VALU_DEP_1) | instskip(NEXT) | instid1(VALU_DEP_3)
	v_cndmask_b32_e64 v54, v55, v13, s6
	v_cndmask_b32_e64 v26, v26, v13, s6
	s_delay_alu instid0(VALU_DEP_2) | instskip(NEXT) | instid1(VALU_DEP_2)
	v_cmp_class_f32_e64 s8, v54, 0x1f8
	v_cmp_neq_f32_e64 s7, v54, v26
	s_delay_alu instid0(VALU_DEP_1) | instskip(NEXT) | instid1(SALU_CYCLE_1)
	s_or_b32 s7, s7, s8
	s_and_saveexec_b32 s8, s7
	s_cbranch_execz .LBB390_254
; %bb.253:
	v_sub_f32_e32 v30, v54, v26
	s_delay_alu instid0(VALU_DEP_1) | instskip(NEXT) | instid1(VALU_DEP_1)
	v_mul_f32_e32 v31, 0x3fb8aa3b, v30
	v_fma_f32 v54, 0x3fb8aa3b, v30, -v31
	v_rndne_f32_e32 v55, v31
	s_delay_alu instid0(VALU_DEP_1) | instskip(SKIP_1) | instid1(VALU_DEP_2)
	v_dual_sub_f32 v31, v31, v55 :: v_dual_fmamk_f32 v54, v30, 0x32a5705f, v54
	v_cmp_ngt_f32_e64 s7, 0xc2ce8ed0, v30
	v_add_f32_e32 v31, v31, v54
	v_cvt_i32_f32_e32 v54, v55
	s_delay_alu instid0(VALU_DEP_2) | instskip(SKIP_2) | instid1(VALU_DEP_1)
	v_exp_f32_e32 v31, v31
	s_waitcnt_depctr 0xfff
	v_ldexp_f32 v31, v31, v54
	v_cndmask_b32_e64 v31, 0, v31, s7
	v_cmp_nlt_f32_e64 s7, 0x42b17218, v30
	s_delay_alu instid0(VALU_DEP_1) | instskip(NEXT) | instid1(VALU_DEP_1)
	v_cndmask_b32_e64 v54, 0x7f800000, v31, s7
	v_add_f32_e32 v55, 1.0, v54
	v_cmp_gt_f32_e64 s9, 0x33800000, |v54|
	s_delay_alu instid0(VALU_DEP_2) | instskip(NEXT) | instid1(VALU_DEP_1)
	v_cvt_f64_f32_e32 v[30:31], v55
	v_frexp_exp_i32_f64_e32 v30, v[30:31]
	v_frexp_mant_f32_e32 v31, v55
	s_delay_alu instid0(VALU_DEP_1) | instskip(SKIP_1) | instid1(VALU_DEP_1)
	v_cmp_gt_f32_e64 s7, 0x3f2aaaab, v31
	v_add_f32_e32 v31, -1.0, v55
	v_sub_f32_e32 v65, v31, v55
	v_sub_f32_e32 v31, v54, v31
	s_delay_alu instid0(VALU_DEP_4) | instskip(SKIP_1) | instid1(VALU_DEP_1)
	v_subrev_co_ci_u32_e64 v30, s7, 0, v30, s7
	s_mov_b32 s7, 0x3e9b6dac
	v_sub_nc_u32_e32 v64, 0, v30
	v_cvt_f32_i32_e32 v30, v30
	s_delay_alu instid0(VALU_DEP_2) | instskip(NEXT) | instid1(VALU_DEP_1)
	v_ldexp_f32 v55, v55, v64
	v_dual_add_f32 v66, 1.0, v55 :: v_dual_add_f32 v65, 1.0, v65
	s_delay_alu instid0(VALU_DEP_1) | instskip(NEXT) | instid1(VALU_DEP_2)
	v_add_f32_e32 v31, v31, v65
	v_add_f32_e32 v65, -1.0, v66
	s_delay_alu instid0(VALU_DEP_2) | instskip(NEXT) | instid1(VALU_DEP_2)
	v_ldexp_f32 v31, v31, v64
	v_dual_add_f32 v64, -1.0, v55 :: v_dual_sub_f32 v65, v55, v65
	s_delay_alu instid0(VALU_DEP_1) | instskip(NEXT) | instid1(VALU_DEP_2)
	v_add_f32_e32 v67, 1.0, v64
	v_add_f32_e32 v65, v31, v65
	s_delay_alu instid0(VALU_DEP_2) | instskip(NEXT) | instid1(VALU_DEP_2)
	v_sub_f32_e32 v55, v55, v67
	v_add_f32_e32 v67, v66, v65
	s_delay_alu instid0(VALU_DEP_2) | instskip(NEXT) | instid1(VALU_DEP_2)
	v_add_f32_e32 v31, v31, v55
	v_rcp_f32_e32 v55, v67
	v_sub_f32_e32 v66, v66, v67
	s_delay_alu instid0(VALU_DEP_1) | instskip(NEXT) | instid1(VALU_DEP_1)
	v_dual_add_f32 v68, v64, v31 :: v_dual_add_f32 v65, v65, v66
	v_sub_f32_e32 v64, v64, v68
	s_waitcnt_depctr 0xfff
	v_mul_f32_e32 v69, v68, v55
	v_add_f32_e32 v31, v31, v64
	s_delay_alu instid0(VALU_DEP_2) | instskip(NEXT) | instid1(VALU_DEP_1)
	v_mul_f32_e32 v70, v67, v69
	v_fma_f32 v66, v69, v67, -v70
	s_delay_alu instid0(VALU_DEP_1) | instskip(NEXT) | instid1(VALU_DEP_1)
	v_fmac_f32_e32 v66, v69, v65
	v_add_f32_e32 v71, v70, v66
	s_delay_alu instid0(VALU_DEP_1) | instskip(SKIP_1) | instid1(VALU_DEP_2)
	v_sub_f32_e32 v80, v68, v71
	v_sub_f32_e32 v64, v71, v70
	;; [unrolled: 1-line block ×3, first 2 shown]
	s_delay_alu instid0(VALU_DEP_2) | instskip(NEXT) | instid1(VALU_DEP_2)
	v_sub_f32_e32 v64, v64, v66
	v_sub_f32_e32 v68, v68, v71
	s_delay_alu instid0(VALU_DEP_1) | instskip(NEXT) | instid1(VALU_DEP_1)
	v_add_f32_e32 v31, v31, v68
	v_add_f32_e32 v31, v64, v31
	s_delay_alu instid0(VALU_DEP_1) | instskip(NEXT) | instid1(VALU_DEP_1)
	v_add_f32_e32 v64, v80, v31
	v_mul_f32_e32 v66, v55, v64
	s_delay_alu instid0(VALU_DEP_1) | instskip(NEXT) | instid1(VALU_DEP_1)
	v_dual_sub_f32 v71, v80, v64 :: v_dual_mul_f32 v68, v67, v66
	v_add_f32_e32 v31, v31, v71
	s_delay_alu instid0(VALU_DEP_2) | instskip(NEXT) | instid1(VALU_DEP_1)
	v_fma_f32 v67, v66, v67, -v68
	v_fmac_f32_e32 v67, v66, v65
	s_delay_alu instid0(VALU_DEP_1) | instskip(NEXT) | instid1(VALU_DEP_1)
	v_add_f32_e32 v65, v68, v67
	v_sub_f32_e32 v70, v64, v65
	v_sub_f32_e32 v68, v65, v68
	s_delay_alu instid0(VALU_DEP_2) | instskip(NEXT) | instid1(VALU_DEP_1)
	v_sub_f32_e32 v64, v64, v70
	v_sub_f32_e32 v64, v64, v65
	s_delay_alu instid0(VALU_DEP_3) | instskip(NEXT) | instid1(VALU_DEP_2)
	v_sub_f32_e32 v65, v68, v67
	v_dual_add_f32 v31, v31, v64 :: v_dual_add_f32 v64, v69, v66
	s_delay_alu instid0(VALU_DEP_1) | instskip(NEXT) | instid1(VALU_DEP_2)
	v_add_f32_e32 v31, v65, v31
	v_sub_f32_e32 v65, v64, v69
	s_delay_alu instid0(VALU_DEP_2) | instskip(NEXT) | instid1(VALU_DEP_2)
	v_add_f32_e32 v31, v70, v31
	v_sub_f32_e32 v65, v66, v65
	s_delay_alu instid0(VALU_DEP_2) | instskip(NEXT) | instid1(VALU_DEP_1)
	v_mul_f32_e32 v31, v55, v31
	v_add_f32_e32 v31, v65, v31
	s_delay_alu instid0(VALU_DEP_1) | instskip(NEXT) | instid1(VALU_DEP_1)
	v_add_f32_e32 v55, v64, v31
	v_mul_f32_e32 v65, v55, v55
	s_delay_alu instid0(VALU_DEP_1) | instskip(SKIP_2) | instid1(VALU_DEP_3)
	v_fmaak_f32 v66, s7, v65, 0x3ecc95a3
	v_mul_f32_e32 v67, v55, v65
	v_cmp_eq_f32_e64 s7, 0x7f800000, v54
	v_fmaak_f32 v65, v65, v66, 0x3f2aaada
	v_ldexp_f32 v66, v55, 1
	v_sub_f32_e32 v55, v55, v64
	s_delay_alu instid0(VALU_DEP_4) | instskip(NEXT) | instid1(VALU_DEP_3)
	s_or_b32 s7, s7, s9
	v_mul_f32_e32 v65, v67, v65
	v_mul_f32_e32 v67, 0x3f317218, v30
	s_delay_alu instid0(VALU_DEP_2) | instskip(NEXT) | instid1(VALU_DEP_1)
	v_dual_sub_f32 v31, v31, v55 :: v_dual_add_f32 v64, v66, v65
	v_ldexp_f32 v31, v31, 1
	s_delay_alu instid0(VALU_DEP_2) | instskip(NEXT) | instid1(VALU_DEP_4)
	v_sub_f32_e32 v55, v64, v66
	v_fma_f32 v66, 0x3f317218, v30, -v67
	s_delay_alu instid0(VALU_DEP_1) | instskip(NEXT) | instid1(VALU_DEP_1)
	v_dual_sub_f32 v55, v65, v55 :: v_dual_fmamk_f32 v30, v30, 0xb102e308, v66
	v_add_f32_e32 v31, v31, v55
	s_delay_alu instid0(VALU_DEP_2) | instskip(NEXT) | instid1(VALU_DEP_2)
	v_add_f32_e32 v55, v67, v30
	v_add_f32_e32 v65, v64, v31
	s_delay_alu instid0(VALU_DEP_2) | instskip(NEXT) | instid1(VALU_DEP_2)
	v_sub_f32_e32 v67, v55, v67
	v_add_f32_e32 v66, v55, v65
	v_sub_f32_e32 v64, v65, v64
	s_delay_alu instid0(VALU_DEP_3) | instskip(NEXT) | instid1(VALU_DEP_2)
	v_sub_f32_e32 v30, v30, v67
	v_dual_sub_f32 v68, v66, v55 :: v_dual_sub_f32 v31, v31, v64
	s_delay_alu instid0(VALU_DEP_1) | instskip(NEXT) | instid1(VALU_DEP_2)
	v_sub_f32_e32 v69, v66, v68
	v_dual_sub_f32 v64, v65, v68 :: v_dual_add_f32 v65, v30, v31
	s_delay_alu instid0(VALU_DEP_2) | instskip(NEXT) | instid1(VALU_DEP_1)
	v_sub_f32_e32 v55, v55, v69
	v_dual_add_f32 v55, v64, v55 :: v_dual_sub_f32 v64, v65, v30
	s_delay_alu instid0(VALU_DEP_1) | instskip(NEXT) | instid1(VALU_DEP_2)
	v_add_f32_e32 v55, v65, v55
	v_sub_f32_e32 v65, v65, v64
	v_sub_f32_e32 v31, v31, v64
	s_delay_alu instid0(VALU_DEP_3) | instskip(NEXT) | instid1(VALU_DEP_3)
	v_add_f32_e32 v67, v66, v55
	v_sub_f32_e32 v30, v30, v65
	s_delay_alu instid0(VALU_DEP_2) | instskip(NEXT) | instid1(VALU_DEP_2)
	v_sub_f32_e32 v64, v67, v66
	v_add_f32_e32 v30, v31, v30
	s_delay_alu instid0(VALU_DEP_2) | instskip(NEXT) | instid1(VALU_DEP_1)
	v_sub_f32_e32 v31, v55, v64
	v_add_f32_e32 v30, v30, v31
	s_delay_alu instid0(VALU_DEP_1) | instskip(NEXT) | instid1(VALU_DEP_1)
	v_add_f32_e32 v30, v67, v30
	v_cndmask_b32_e64 v30, v30, v54, s7
	s_delay_alu instid0(VALU_DEP_1) | instskip(NEXT) | instid1(VALU_DEP_1)
	v_add_f32_e32 v26, v26, v30
	v_cvt_f16_f32_e32 v31, v26
	s_delay_alu instid0(VALU_DEP_1)
	v_mov_b32_e32 v30, v31
	v_cvt_f32_f16_e32 v64, v31
.LBB390_254:
	s_or_b32 exec_lo, exec_lo, s8
	v_cvt_f32_f16_e32 v26, v27
	s_delay_alu instid0(VALU_DEP_2) | instskip(SKIP_1) | instid1(VALU_DEP_2)
	v_max_f32_e32 v54, v64, v64
	v_cmp_u_f16_e64 s7, v31, v31
	v_min_f32_e32 v55, v54, v26
	v_max_f32_e32 v54, v54, v26
	s_delay_alu instid0(VALU_DEP_2) | instskip(NEXT) | instid1(VALU_DEP_2)
	v_cndmask_b32_e64 v55, v55, v64, s7
	v_cndmask_b32_e64 v65, v54, v64, s7
	v_cmp_u_f16_e64 s7, v27, v27
	s_delay_alu instid0(VALU_DEP_1) | instskip(NEXT) | instid1(VALU_DEP_3)
	v_cndmask_b32_e64 v54, v55, v26, s7
	v_cndmask_b32_e64 v27, v65, v26, s7
	s_delay_alu instid0(VALU_DEP_2) | instskip(NEXT) | instid1(VALU_DEP_2)
	v_cmp_class_f32_e64 s9, v54, 0x1f8
	v_cmp_neq_f32_e64 s8, v54, v27
	s_delay_alu instid0(VALU_DEP_1) | instskip(NEXT) | instid1(SALU_CYCLE_1)
	s_or_b32 s8, s8, s9
	s_and_saveexec_b32 s9, s8
	s_cbranch_execz .LBB390_256
; %bb.255:
	v_sub_f32_e32 v30, v54, v27
	s_delay_alu instid0(VALU_DEP_1) | instskip(NEXT) | instid1(VALU_DEP_1)
	v_mul_f32_e32 v31, 0x3fb8aa3b, v30
	v_fma_f32 v54, 0x3fb8aa3b, v30, -v31
	v_rndne_f32_e32 v55, v31
	s_delay_alu instid0(VALU_DEP_1) | instskip(NEXT) | instid1(VALU_DEP_1)
	v_dual_fmamk_f32 v54, v30, 0x32a5705f, v54 :: v_dual_sub_f32 v31, v31, v55
	v_add_f32_e32 v31, v31, v54
	v_cvt_i32_f32_e32 v54, v55
	v_cmp_ngt_f32_e64 s8, 0xc2ce8ed0, v30
	s_delay_alu instid0(VALU_DEP_3) | instskip(SKIP_2) | instid1(VALU_DEP_1)
	v_exp_f32_e32 v31, v31
	s_waitcnt_depctr 0xfff
	v_ldexp_f32 v31, v31, v54
	v_cndmask_b32_e64 v31, 0, v31, s8
	v_cmp_nlt_f32_e64 s8, 0x42b17218, v30
	s_delay_alu instid0(VALU_DEP_1) | instskip(NEXT) | instid1(VALU_DEP_1)
	v_cndmask_b32_e64 v54, 0x7f800000, v31, s8
	v_add_f32_e32 v55, 1.0, v54
	v_cmp_gt_f32_e64 s10, 0x33800000, |v54|
	s_delay_alu instid0(VALU_DEP_2) | instskip(NEXT) | instid1(VALU_DEP_1)
	v_cvt_f64_f32_e32 v[30:31], v55
	v_frexp_exp_i32_f64_e32 v30, v[30:31]
	v_frexp_mant_f32_e32 v31, v55
	s_delay_alu instid0(VALU_DEP_1) | instskip(SKIP_1) | instid1(VALU_DEP_1)
	v_cmp_gt_f32_e64 s8, 0x3f2aaaab, v31
	v_add_f32_e32 v31, -1.0, v55
	v_sub_f32_e32 v65, v31, v55
	v_sub_f32_e32 v31, v54, v31
	s_delay_alu instid0(VALU_DEP_4) | instskip(SKIP_1) | instid1(VALU_DEP_1)
	v_subrev_co_ci_u32_e64 v30, s8, 0, v30, s8
	s_mov_b32 s8, 0x3e9b6dac
	v_sub_nc_u32_e32 v64, 0, v30
	v_cvt_f32_i32_e32 v30, v30
	s_delay_alu instid0(VALU_DEP_2) | instskip(NEXT) | instid1(VALU_DEP_1)
	v_ldexp_f32 v55, v55, v64
	v_dual_add_f32 v65, 1.0, v65 :: v_dual_add_f32 v66, 1.0, v55
	s_delay_alu instid0(VALU_DEP_1) | instskip(NEXT) | instid1(VALU_DEP_2)
	v_add_f32_e32 v31, v31, v65
	v_add_f32_e32 v65, -1.0, v66
	s_delay_alu instid0(VALU_DEP_2) | instskip(NEXT) | instid1(VALU_DEP_2)
	v_ldexp_f32 v31, v31, v64
	v_dual_add_f32 v64, -1.0, v55 :: v_dual_sub_f32 v65, v55, v65
	s_delay_alu instid0(VALU_DEP_1) | instskip(NEXT) | instid1(VALU_DEP_2)
	v_add_f32_e32 v67, 1.0, v64
	v_add_f32_e32 v65, v31, v65
	s_delay_alu instid0(VALU_DEP_2) | instskip(NEXT) | instid1(VALU_DEP_2)
	v_sub_f32_e32 v55, v55, v67
	v_add_f32_e32 v67, v66, v65
	s_delay_alu instid0(VALU_DEP_2) | instskip(NEXT) | instid1(VALU_DEP_2)
	v_add_f32_e32 v31, v31, v55
	v_rcp_f32_e32 v55, v67
	v_sub_f32_e32 v66, v66, v67
	s_delay_alu instid0(VALU_DEP_1) | instskip(NEXT) | instid1(VALU_DEP_1)
	v_dual_add_f32 v68, v64, v31 :: v_dual_add_f32 v65, v65, v66
	v_sub_f32_e32 v64, v64, v68
	s_waitcnt_depctr 0xfff
	v_mul_f32_e32 v69, v68, v55
	v_add_f32_e32 v31, v31, v64
	s_delay_alu instid0(VALU_DEP_2) | instskip(NEXT) | instid1(VALU_DEP_1)
	v_mul_f32_e32 v70, v67, v69
	v_fma_f32 v66, v69, v67, -v70
	s_delay_alu instid0(VALU_DEP_1) | instskip(NEXT) | instid1(VALU_DEP_1)
	v_fmac_f32_e32 v66, v69, v65
	v_add_f32_e32 v71, v70, v66
	s_delay_alu instid0(VALU_DEP_1) | instskip(SKIP_1) | instid1(VALU_DEP_2)
	v_sub_f32_e32 v80, v68, v71
	v_sub_f32_e32 v64, v71, v70
	;; [unrolled: 1-line block ×3, first 2 shown]
	s_delay_alu instid0(VALU_DEP_2) | instskip(NEXT) | instid1(VALU_DEP_2)
	v_sub_f32_e32 v64, v64, v66
	v_sub_f32_e32 v68, v68, v71
	s_delay_alu instid0(VALU_DEP_1) | instskip(NEXT) | instid1(VALU_DEP_1)
	v_add_f32_e32 v31, v31, v68
	v_add_f32_e32 v31, v64, v31
	s_delay_alu instid0(VALU_DEP_1) | instskip(NEXT) | instid1(VALU_DEP_1)
	v_add_f32_e32 v64, v80, v31
	v_mul_f32_e32 v66, v55, v64
	s_delay_alu instid0(VALU_DEP_1) | instskip(NEXT) | instid1(VALU_DEP_1)
	v_dual_sub_f32 v71, v80, v64 :: v_dual_mul_f32 v68, v67, v66
	v_add_f32_e32 v31, v31, v71
	s_delay_alu instid0(VALU_DEP_2) | instskip(NEXT) | instid1(VALU_DEP_1)
	v_fma_f32 v67, v66, v67, -v68
	v_fmac_f32_e32 v67, v66, v65
	s_delay_alu instid0(VALU_DEP_1) | instskip(NEXT) | instid1(VALU_DEP_1)
	v_add_f32_e32 v65, v68, v67
	v_sub_f32_e32 v70, v64, v65
	v_sub_f32_e32 v68, v65, v68
	s_delay_alu instid0(VALU_DEP_2) | instskip(NEXT) | instid1(VALU_DEP_1)
	v_sub_f32_e32 v64, v64, v70
	v_sub_f32_e32 v64, v64, v65
	s_delay_alu instid0(VALU_DEP_1) | instskip(NEXT) | instid1(VALU_DEP_4)
	v_dual_add_f32 v31, v31, v64 :: v_dual_add_f32 v64, v69, v66
	v_sub_f32_e32 v65, v68, v67
	s_delay_alu instid0(VALU_DEP_1) | instskip(NEXT) | instid1(VALU_DEP_3)
	v_add_f32_e32 v31, v65, v31
	v_sub_f32_e32 v65, v64, v69
	s_delay_alu instid0(VALU_DEP_2) | instskip(NEXT) | instid1(VALU_DEP_2)
	v_add_f32_e32 v31, v70, v31
	v_sub_f32_e32 v65, v66, v65
	s_delay_alu instid0(VALU_DEP_2) | instskip(NEXT) | instid1(VALU_DEP_1)
	v_mul_f32_e32 v31, v55, v31
	v_add_f32_e32 v31, v65, v31
	s_delay_alu instid0(VALU_DEP_1) | instskip(NEXT) | instid1(VALU_DEP_1)
	v_add_f32_e32 v55, v64, v31
	v_mul_f32_e32 v65, v55, v55
	s_delay_alu instid0(VALU_DEP_1) | instskip(SKIP_2) | instid1(VALU_DEP_3)
	v_fmaak_f32 v66, s8, v65, 0x3ecc95a3
	v_mul_f32_e32 v67, v55, v65
	v_cmp_eq_f32_e64 s8, 0x7f800000, v54
	v_fmaak_f32 v65, v65, v66, 0x3f2aaada
	v_ldexp_f32 v66, v55, 1
	v_sub_f32_e32 v55, v55, v64
	s_delay_alu instid0(VALU_DEP_4) | instskip(NEXT) | instid1(VALU_DEP_3)
	s_or_b32 s8, s8, s10
	v_mul_f32_e32 v65, v67, v65
	v_mul_f32_e32 v67, 0x3f317218, v30
	s_delay_alu instid0(VALU_DEP_2) | instskip(NEXT) | instid1(VALU_DEP_1)
	v_dual_sub_f32 v31, v31, v55 :: v_dual_add_f32 v64, v66, v65
	v_ldexp_f32 v31, v31, 1
	s_delay_alu instid0(VALU_DEP_2) | instskip(NEXT) | instid1(VALU_DEP_4)
	v_sub_f32_e32 v55, v64, v66
	v_fma_f32 v66, 0x3f317218, v30, -v67
	s_delay_alu instid0(VALU_DEP_1) | instskip(NEXT) | instid1(VALU_DEP_1)
	v_dual_sub_f32 v55, v65, v55 :: v_dual_fmamk_f32 v30, v30, 0xb102e308, v66
	v_add_f32_e32 v31, v31, v55
	s_delay_alu instid0(VALU_DEP_2) | instskip(NEXT) | instid1(VALU_DEP_2)
	v_add_f32_e32 v55, v67, v30
	v_add_f32_e32 v65, v64, v31
	s_delay_alu instid0(VALU_DEP_2) | instskip(NEXT) | instid1(VALU_DEP_2)
	v_sub_f32_e32 v67, v55, v67
	v_add_f32_e32 v66, v55, v65
	v_sub_f32_e32 v64, v65, v64
	s_delay_alu instid0(VALU_DEP_3) | instskip(NEXT) | instid1(VALU_DEP_2)
	v_sub_f32_e32 v30, v30, v67
	v_dual_sub_f32 v68, v66, v55 :: v_dual_sub_f32 v31, v31, v64
	s_delay_alu instid0(VALU_DEP_1) | instskip(NEXT) | instid1(VALU_DEP_2)
	v_sub_f32_e32 v69, v66, v68
	v_dual_sub_f32 v64, v65, v68 :: v_dual_add_f32 v65, v30, v31
	s_delay_alu instid0(VALU_DEP_2) | instskip(NEXT) | instid1(VALU_DEP_1)
	v_sub_f32_e32 v55, v55, v69
	v_dual_add_f32 v55, v64, v55 :: v_dual_sub_f32 v64, v65, v30
	s_delay_alu instid0(VALU_DEP_1) | instskip(NEXT) | instid1(VALU_DEP_2)
	v_add_f32_e32 v55, v65, v55
	v_sub_f32_e32 v65, v65, v64
	v_sub_f32_e32 v31, v31, v64
	s_delay_alu instid0(VALU_DEP_3) | instskip(NEXT) | instid1(VALU_DEP_3)
	v_add_f32_e32 v67, v66, v55
	v_sub_f32_e32 v30, v30, v65
	s_delay_alu instid0(VALU_DEP_2) | instskip(NEXT) | instid1(VALU_DEP_2)
	v_sub_f32_e32 v64, v67, v66
	v_add_f32_e32 v30, v31, v30
	s_delay_alu instid0(VALU_DEP_2) | instskip(NEXT) | instid1(VALU_DEP_1)
	v_sub_f32_e32 v31, v55, v64
	v_add_f32_e32 v30, v30, v31
	s_delay_alu instid0(VALU_DEP_1) | instskip(NEXT) | instid1(VALU_DEP_1)
	v_add_f32_e32 v30, v67, v30
	v_cndmask_b32_e64 v30, v30, v54, s8
	s_delay_alu instid0(VALU_DEP_1) | instskip(NEXT) | instid1(VALU_DEP_1)
	v_add_f32_e32 v27, v27, v30
	v_cvt_f16_f32_e32 v31, v27
	s_delay_alu instid0(VALU_DEP_1)
	v_mov_b32_e32 v30, v31
	v_cvt_f32_f16_e32 v64, v31
.LBB390_256:
	s_or_b32 exec_lo, exec_lo, s9
	v_cvt_f32_f16_e32 v27, v53
	s_delay_alu instid0(VALU_DEP_2) | instskip(SKIP_1) | instid1(VALU_DEP_2)
	v_max_f32_e32 v54, v64, v64
	v_cmp_u_f16_e64 s8, v31, v31
	v_min_f32_e32 v55, v54, v27
	v_max_f32_e32 v54, v54, v27
	s_delay_alu instid0(VALU_DEP_2) | instskip(NEXT) | instid1(VALU_DEP_2)
	v_cndmask_b32_e64 v55, v55, v64, s8
	v_cndmask_b32_e64 v65, v54, v64, s8
	v_cmp_u_f16_e64 s8, v53, v53
	s_delay_alu instid0(VALU_DEP_1) | instskip(NEXT) | instid1(VALU_DEP_3)
	v_cndmask_b32_e64 v54, v55, v27, s8
	v_cndmask_b32_e64 v53, v65, v27, s8
	s_delay_alu instid0(VALU_DEP_2) | instskip(NEXT) | instid1(VALU_DEP_2)
	v_cmp_class_f32_e64 s10, v54, 0x1f8
	v_cmp_neq_f32_e64 s9, v54, v53
	s_delay_alu instid0(VALU_DEP_1) | instskip(NEXT) | instid1(SALU_CYCLE_1)
	s_or_b32 s9, s9, s10
	s_and_saveexec_b32 s10, s9
	s_cbranch_execz .LBB390_258
; %bb.257:
	v_sub_f32_e32 v30, v54, v53
	s_delay_alu instid0(VALU_DEP_1) | instskip(NEXT) | instid1(VALU_DEP_1)
	v_mul_f32_e32 v31, 0x3fb8aa3b, v30
	v_fma_f32 v54, 0x3fb8aa3b, v30, -v31
	v_rndne_f32_e32 v55, v31
	s_delay_alu instid0(VALU_DEP_1) | instskip(SKIP_1) | instid1(VALU_DEP_2)
	v_dual_sub_f32 v31, v31, v55 :: v_dual_fmamk_f32 v54, v30, 0x32a5705f, v54
	v_cmp_ngt_f32_e64 s9, 0xc2ce8ed0, v30
	v_add_f32_e32 v31, v31, v54
	v_cvt_i32_f32_e32 v54, v55
	s_delay_alu instid0(VALU_DEP_2) | instskip(SKIP_2) | instid1(VALU_DEP_1)
	v_exp_f32_e32 v31, v31
	s_waitcnt_depctr 0xfff
	v_ldexp_f32 v31, v31, v54
	v_cndmask_b32_e64 v31, 0, v31, s9
	v_cmp_nlt_f32_e64 s9, 0x42b17218, v30
	s_delay_alu instid0(VALU_DEP_1) | instskip(NEXT) | instid1(VALU_DEP_1)
	v_cndmask_b32_e64 v54, 0x7f800000, v31, s9
	v_add_f32_e32 v55, 1.0, v54
	v_cmp_gt_f32_e64 s11, 0x33800000, |v54|
	s_delay_alu instid0(VALU_DEP_2) | instskip(NEXT) | instid1(VALU_DEP_1)
	v_cvt_f64_f32_e32 v[30:31], v55
	v_frexp_exp_i32_f64_e32 v30, v[30:31]
	v_frexp_mant_f32_e32 v31, v55
	s_delay_alu instid0(VALU_DEP_1) | instskip(SKIP_1) | instid1(VALU_DEP_1)
	v_cmp_gt_f32_e64 s9, 0x3f2aaaab, v31
	v_add_f32_e32 v31, -1.0, v55
	v_sub_f32_e32 v65, v31, v55
	v_sub_f32_e32 v31, v54, v31
	s_delay_alu instid0(VALU_DEP_4) | instskip(SKIP_1) | instid1(VALU_DEP_1)
	v_subrev_co_ci_u32_e64 v30, s9, 0, v30, s9
	s_mov_b32 s9, 0x3e9b6dac
	v_sub_nc_u32_e32 v64, 0, v30
	v_cvt_f32_i32_e32 v30, v30
	s_delay_alu instid0(VALU_DEP_2) | instskip(NEXT) | instid1(VALU_DEP_1)
	v_ldexp_f32 v55, v55, v64
	v_dual_add_f32 v66, 1.0, v55 :: v_dual_add_f32 v65, 1.0, v65
	s_delay_alu instid0(VALU_DEP_1) | instskip(NEXT) | instid1(VALU_DEP_2)
	v_add_f32_e32 v31, v31, v65
	v_add_f32_e32 v65, -1.0, v66
	s_delay_alu instid0(VALU_DEP_2) | instskip(NEXT) | instid1(VALU_DEP_2)
	v_ldexp_f32 v31, v31, v64
	v_dual_add_f32 v64, -1.0, v55 :: v_dual_sub_f32 v65, v55, v65
	s_delay_alu instid0(VALU_DEP_1) | instskip(NEXT) | instid1(VALU_DEP_2)
	v_add_f32_e32 v67, 1.0, v64
	v_add_f32_e32 v65, v31, v65
	s_delay_alu instid0(VALU_DEP_2) | instskip(NEXT) | instid1(VALU_DEP_2)
	v_sub_f32_e32 v55, v55, v67
	v_add_f32_e32 v67, v66, v65
	s_delay_alu instid0(VALU_DEP_2) | instskip(NEXT) | instid1(VALU_DEP_2)
	v_add_f32_e32 v31, v31, v55
	v_rcp_f32_e32 v55, v67
	v_sub_f32_e32 v66, v66, v67
	s_delay_alu instid0(VALU_DEP_1) | instskip(NEXT) | instid1(VALU_DEP_1)
	v_dual_add_f32 v68, v64, v31 :: v_dual_add_f32 v65, v65, v66
	v_sub_f32_e32 v64, v64, v68
	s_waitcnt_depctr 0xfff
	v_mul_f32_e32 v69, v68, v55
	v_add_f32_e32 v31, v31, v64
	s_delay_alu instid0(VALU_DEP_2) | instskip(NEXT) | instid1(VALU_DEP_1)
	v_mul_f32_e32 v70, v67, v69
	v_fma_f32 v66, v69, v67, -v70
	s_delay_alu instid0(VALU_DEP_1) | instskip(NEXT) | instid1(VALU_DEP_1)
	v_fmac_f32_e32 v66, v69, v65
	v_add_f32_e32 v71, v70, v66
	s_delay_alu instid0(VALU_DEP_1) | instskip(SKIP_1) | instid1(VALU_DEP_2)
	v_sub_f32_e32 v80, v68, v71
	v_sub_f32_e32 v64, v71, v70
	;; [unrolled: 1-line block ×3, first 2 shown]
	s_delay_alu instid0(VALU_DEP_2) | instskip(NEXT) | instid1(VALU_DEP_2)
	v_sub_f32_e32 v64, v64, v66
	v_sub_f32_e32 v68, v68, v71
	s_delay_alu instid0(VALU_DEP_1) | instskip(NEXT) | instid1(VALU_DEP_1)
	v_add_f32_e32 v31, v31, v68
	v_add_f32_e32 v31, v64, v31
	s_delay_alu instid0(VALU_DEP_1) | instskip(NEXT) | instid1(VALU_DEP_1)
	v_add_f32_e32 v64, v80, v31
	v_mul_f32_e32 v66, v55, v64
	s_delay_alu instid0(VALU_DEP_1) | instskip(NEXT) | instid1(VALU_DEP_1)
	v_dual_sub_f32 v71, v80, v64 :: v_dual_mul_f32 v68, v67, v66
	v_add_f32_e32 v31, v31, v71
	s_delay_alu instid0(VALU_DEP_2) | instskip(NEXT) | instid1(VALU_DEP_1)
	v_fma_f32 v67, v66, v67, -v68
	v_fmac_f32_e32 v67, v66, v65
	s_delay_alu instid0(VALU_DEP_1) | instskip(NEXT) | instid1(VALU_DEP_1)
	v_add_f32_e32 v65, v68, v67
	v_sub_f32_e32 v70, v64, v65
	v_sub_f32_e32 v68, v65, v68
	s_delay_alu instid0(VALU_DEP_2) | instskip(NEXT) | instid1(VALU_DEP_1)
	v_sub_f32_e32 v64, v64, v70
	v_sub_f32_e32 v64, v64, v65
	s_delay_alu instid0(VALU_DEP_3) | instskip(NEXT) | instid1(VALU_DEP_2)
	v_sub_f32_e32 v65, v68, v67
	v_dual_add_f32 v31, v31, v64 :: v_dual_add_f32 v64, v69, v66
	s_delay_alu instid0(VALU_DEP_1) | instskip(NEXT) | instid1(VALU_DEP_2)
	v_add_f32_e32 v31, v65, v31
	v_sub_f32_e32 v65, v64, v69
	s_delay_alu instid0(VALU_DEP_2) | instskip(NEXT) | instid1(VALU_DEP_2)
	v_add_f32_e32 v31, v70, v31
	v_sub_f32_e32 v65, v66, v65
	s_delay_alu instid0(VALU_DEP_2) | instskip(NEXT) | instid1(VALU_DEP_1)
	v_mul_f32_e32 v31, v55, v31
	v_add_f32_e32 v31, v65, v31
	s_delay_alu instid0(VALU_DEP_1) | instskip(NEXT) | instid1(VALU_DEP_1)
	v_add_f32_e32 v55, v64, v31
	v_mul_f32_e32 v65, v55, v55
	s_delay_alu instid0(VALU_DEP_1) | instskip(SKIP_2) | instid1(VALU_DEP_3)
	v_fmaak_f32 v66, s9, v65, 0x3ecc95a3
	v_mul_f32_e32 v67, v55, v65
	v_cmp_eq_f32_e64 s9, 0x7f800000, v54
	v_fmaak_f32 v65, v65, v66, 0x3f2aaada
	v_ldexp_f32 v66, v55, 1
	v_sub_f32_e32 v55, v55, v64
	s_delay_alu instid0(VALU_DEP_4) | instskip(NEXT) | instid1(VALU_DEP_3)
	s_or_b32 s9, s9, s11
	v_mul_f32_e32 v65, v67, v65
	v_mul_f32_e32 v67, 0x3f317218, v30
	s_delay_alu instid0(VALU_DEP_2) | instskip(NEXT) | instid1(VALU_DEP_1)
	v_dual_sub_f32 v31, v31, v55 :: v_dual_add_f32 v64, v66, v65
	v_ldexp_f32 v31, v31, 1
	s_delay_alu instid0(VALU_DEP_2) | instskip(NEXT) | instid1(VALU_DEP_4)
	v_sub_f32_e32 v55, v64, v66
	v_fma_f32 v66, 0x3f317218, v30, -v67
	s_delay_alu instid0(VALU_DEP_1) | instskip(NEXT) | instid1(VALU_DEP_1)
	v_dual_sub_f32 v55, v65, v55 :: v_dual_fmamk_f32 v30, v30, 0xb102e308, v66
	v_add_f32_e32 v31, v31, v55
	s_delay_alu instid0(VALU_DEP_2) | instskip(NEXT) | instid1(VALU_DEP_2)
	v_add_f32_e32 v55, v67, v30
	v_add_f32_e32 v65, v64, v31
	s_delay_alu instid0(VALU_DEP_2) | instskip(NEXT) | instid1(VALU_DEP_2)
	v_sub_f32_e32 v67, v55, v67
	v_add_f32_e32 v66, v55, v65
	v_sub_f32_e32 v64, v65, v64
	s_delay_alu instid0(VALU_DEP_3) | instskip(NEXT) | instid1(VALU_DEP_2)
	v_sub_f32_e32 v30, v30, v67
	v_dual_sub_f32 v68, v66, v55 :: v_dual_sub_f32 v31, v31, v64
	s_delay_alu instid0(VALU_DEP_1) | instskip(NEXT) | instid1(VALU_DEP_2)
	v_sub_f32_e32 v69, v66, v68
	v_dual_sub_f32 v64, v65, v68 :: v_dual_add_f32 v65, v30, v31
	s_delay_alu instid0(VALU_DEP_2) | instskip(NEXT) | instid1(VALU_DEP_1)
	v_sub_f32_e32 v55, v55, v69
	v_dual_add_f32 v55, v64, v55 :: v_dual_sub_f32 v64, v65, v30
	s_delay_alu instid0(VALU_DEP_1) | instskip(NEXT) | instid1(VALU_DEP_2)
	v_add_f32_e32 v55, v65, v55
	v_sub_f32_e32 v65, v65, v64
	v_sub_f32_e32 v31, v31, v64
	s_delay_alu instid0(VALU_DEP_3) | instskip(NEXT) | instid1(VALU_DEP_3)
	v_add_f32_e32 v67, v66, v55
	v_sub_f32_e32 v30, v30, v65
	s_delay_alu instid0(VALU_DEP_2) | instskip(NEXT) | instid1(VALU_DEP_2)
	v_sub_f32_e32 v64, v67, v66
	v_add_f32_e32 v30, v31, v30
	s_delay_alu instid0(VALU_DEP_2) | instskip(NEXT) | instid1(VALU_DEP_1)
	v_sub_f32_e32 v31, v55, v64
	v_add_f32_e32 v30, v30, v31
	s_delay_alu instid0(VALU_DEP_1) | instskip(NEXT) | instid1(VALU_DEP_1)
	v_add_f32_e32 v30, v67, v30
	v_cndmask_b32_e64 v30, v30, v54, s9
	s_delay_alu instid0(VALU_DEP_1) | instskip(NEXT) | instid1(VALU_DEP_1)
	v_add_f32_e32 v30, v53, v30
	v_cvt_f16_f32_e32 v31, v30
	s_delay_alu instid0(VALU_DEP_1)
	v_mov_b32_e32 v30, v31
	v_cvt_f32_f16_e32 v64, v31
.LBB390_258:
	s_or_b32 exec_lo, exec_lo, s10
	v_cvt_f32_f16_e32 v53, v24
	s_delay_alu instid0(VALU_DEP_2) | instskip(SKIP_1) | instid1(VALU_DEP_2)
	v_max_f32_e32 v54, v64, v64
	v_cmp_u_f16_e64 s9, v31, v31
	v_min_f32_e32 v55, v54, v53
	v_max_f32_e32 v54, v54, v53
	s_delay_alu instid0(VALU_DEP_2) | instskip(NEXT) | instid1(VALU_DEP_2)
	v_cndmask_b32_e64 v55, v55, v64, s9
	v_cndmask_b32_e64 v65, v54, v64, s9
	v_cmp_u_f16_e64 s9, v24, v24
	s_delay_alu instid0(VALU_DEP_1) | instskip(NEXT) | instid1(VALU_DEP_3)
	v_cndmask_b32_e64 v54, v55, v53, s9
	v_cndmask_b32_e64 v24, v65, v53, s9
	s_delay_alu instid0(VALU_DEP_2) | instskip(NEXT) | instid1(VALU_DEP_2)
	v_cmp_class_f32_e64 s11, v54, 0x1f8
	v_cmp_neq_f32_e64 s10, v54, v24
	s_delay_alu instid0(VALU_DEP_1) | instskip(NEXT) | instid1(SALU_CYCLE_1)
	s_or_b32 s10, s10, s11
	s_and_saveexec_b32 s11, s10
	s_cbranch_execz .LBB390_260
; %bb.259:
	v_sub_f32_e32 v30, v54, v24
	s_delay_alu instid0(VALU_DEP_1) | instskip(NEXT) | instid1(VALU_DEP_1)
	v_mul_f32_e32 v31, 0x3fb8aa3b, v30
	v_fma_f32 v54, 0x3fb8aa3b, v30, -v31
	v_rndne_f32_e32 v55, v31
	s_delay_alu instid0(VALU_DEP_1) | instskip(SKIP_1) | instid1(VALU_DEP_2)
	v_dual_sub_f32 v31, v31, v55 :: v_dual_fmamk_f32 v54, v30, 0x32a5705f, v54
	v_cmp_ngt_f32_e64 s10, 0xc2ce8ed0, v30
	v_add_f32_e32 v31, v31, v54
	v_cvt_i32_f32_e32 v54, v55
	s_delay_alu instid0(VALU_DEP_2) | instskip(SKIP_2) | instid1(VALU_DEP_1)
	v_exp_f32_e32 v31, v31
	s_waitcnt_depctr 0xfff
	v_ldexp_f32 v31, v31, v54
	v_cndmask_b32_e64 v31, 0, v31, s10
	v_cmp_nlt_f32_e64 s10, 0x42b17218, v30
	s_delay_alu instid0(VALU_DEP_1) | instskip(NEXT) | instid1(VALU_DEP_1)
	v_cndmask_b32_e64 v54, 0x7f800000, v31, s10
	v_add_f32_e32 v55, 1.0, v54
	v_cmp_gt_f32_e64 s12, 0x33800000, |v54|
	s_delay_alu instid0(VALU_DEP_2) | instskip(NEXT) | instid1(VALU_DEP_1)
	v_cvt_f64_f32_e32 v[30:31], v55
	v_frexp_exp_i32_f64_e32 v30, v[30:31]
	v_frexp_mant_f32_e32 v31, v55
	s_delay_alu instid0(VALU_DEP_1) | instskip(SKIP_1) | instid1(VALU_DEP_1)
	v_cmp_gt_f32_e64 s10, 0x3f2aaaab, v31
	v_add_f32_e32 v31, -1.0, v55
	v_sub_f32_e32 v65, v31, v55
	v_sub_f32_e32 v31, v54, v31
	s_delay_alu instid0(VALU_DEP_4) | instskip(SKIP_1) | instid1(VALU_DEP_1)
	v_subrev_co_ci_u32_e64 v30, s10, 0, v30, s10
	s_mov_b32 s10, 0x3e9b6dac
	v_sub_nc_u32_e32 v64, 0, v30
	v_cvt_f32_i32_e32 v30, v30
	s_delay_alu instid0(VALU_DEP_2) | instskip(NEXT) | instid1(VALU_DEP_1)
	v_ldexp_f32 v55, v55, v64
	v_dual_add_f32 v66, 1.0, v55 :: v_dual_add_f32 v65, 1.0, v65
	s_delay_alu instid0(VALU_DEP_1) | instskip(NEXT) | instid1(VALU_DEP_2)
	v_add_f32_e32 v31, v31, v65
	v_add_f32_e32 v65, -1.0, v66
	s_delay_alu instid0(VALU_DEP_2) | instskip(NEXT) | instid1(VALU_DEP_2)
	v_ldexp_f32 v31, v31, v64
	v_dual_add_f32 v64, -1.0, v55 :: v_dual_sub_f32 v65, v55, v65
	s_delay_alu instid0(VALU_DEP_1) | instskip(NEXT) | instid1(VALU_DEP_2)
	v_add_f32_e32 v67, 1.0, v64
	v_add_f32_e32 v65, v31, v65
	s_delay_alu instid0(VALU_DEP_2) | instskip(NEXT) | instid1(VALU_DEP_2)
	v_sub_f32_e32 v55, v55, v67
	v_add_f32_e32 v67, v66, v65
	s_delay_alu instid0(VALU_DEP_2) | instskip(NEXT) | instid1(VALU_DEP_2)
	v_add_f32_e32 v31, v31, v55
	v_rcp_f32_e32 v55, v67
	v_sub_f32_e32 v66, v66, v67
	s_delay_alu instid0(VALU_DEP_1) | instskip(NEXT) | instid1(VALU_DEP_1)
	v_dual_add_f32 v68, v64, v31 :: v_dual_add_f32 v65, v65, v66
	v_sub_f32_e32 v64, v64, v68
	s_waitcnt_depctr 0xfff
	v_mul_f32_e32 v69, v68, v55
	v_add_f32_e32 v31, v31, v64
	s_delay_alu instid0(VALU_DEP_2) | instskip(NEXT) | instid1(VALU_DEP_1)
	v_mul_f32_e32 v70, v67, v69
	v_fma_f32 v66, v69, v67, -v70
	s_delay_alu instid0(VALU_DEP_1) | instskip(NEXT) | instid1(VALU_DEP_1)
	v_fmac_f32_e32 v66, v69, v65
	v_add_f32_e32 v71, v70, v66
	s_delay_alu instid0(VALU_DEP_1) | instskip(SKIP_1) | instid1(VALU_DEP_2)
	v_sub_f32_e32 v80, v68, v71
	v_sub_f32_e32 v64, v71, v70
	;; [unrolled: 1-line block ×3, first 2 shown]
	s_delay_alu instid0(VALU_DEP_2) | instskip(NEXT) | instid1(VALU_DEP_2)
	v_sub_f32_e32 v64, v64, v66
	v_sub_f32_e32 v68, v68, v71
	s_delay_alu instid0(VALU_DEP_1) | instskip(NEXT) | instid1(VALU_DEP_1)
	v_add_f32_e32 v31, v31, v68
	v_add_f32_e32 v31, v64, v31
	s_delay_alu instid0(VALU_DEP_1) | instskip(NEXT) | instid1(VALU_DEP_1)
	v_add_f32_e32 v64, v80, v31
	v_mul_f32_e32 v66, v55, v64
	s_delay_alu instid0(VALU_DEP_1) | instskip(NEXT) | instid1(VALU_DEP_1)
	v_dual_sub_f32 v71, v80, v64 :: v_dual_mul_f32 v68, v67, v66
	v_add_f32_e32 v31, v31, v71
	s_delay_alu instid0(VALU_DEP_2) | instskip(NEXT) | instid1(VALU_DEP_1)
	v_fma_f32 v67, v66, v67, -v68
	v_fmac_f32_e32 v67, v66, v65
	s_delay_alu instid0(VALU_DEP_1) | instskip(NEXT) | instid1(VALU_DEP_1)
	v_add_f32_e32 v65, v68, v67
	v_sub_f32_e32 v70, v64, v65
	v_sub_f32_e32 v68, v65, v68
	s_delay_alu instid0(VALU_DEP_2) | instskip(NEXT) | instid1(VALU_DEP_1)
	v_sub_f32_e32 v64, v64, v70
	v_sub_f32_e32 v64, v64, v65
	s_delay_alu instid0(VALU_DEP_3) | instskip(NEXT) | instid1(VALU_DEP_2)
	v_sub_f32_e32 v65, v68, v67
	v_dual_add_f32 v31, v31, v64 :: v_dual_add_f32 v64, v69, v66
	s_delay_alu instid0(VALU_DEP_1) | instskip(NEXT) | instid1(VALU_DEP_2)
	v_add_f32_e32 v31, v65, v31
	v_sub_f32_e32 v65, v64, v69
	s_delay_alu instid0(VALU_DEP_2) | instskip(NEXT) | instid1(VALU_DEP_2)
	v_add_f32_e32 v31, v70, v31
	v_sub_f32_e32 v65, v66, v65
	s_delay_alu instid0(VALU_DEP_2) | instskip(NEXT) | instid1(VALU_DEP_1)
	v_mul_f32_e32 v31, v55, v31
	v_add_f32_e32 v31, v65, v31
	s_delay_alu instid0(VALU_DEP_1) | instskip(NEXT) | instid1(VALU_DEP_1)
	v_add_f32_e32 v55, v64, v31
	v_mul_f32_e32 v65, v55, v55
	s_delay_alu instid0(VALU_DEP_1) | instskip(SKIP_2) | instid1(VALU_DEP_3)
	v_fmaak_f32 v66, s10, v65, 0x3ecc95a3
	v_mul_f32_e32 v67, v55, v65
	v_cmp_eq_f32_e64 s10, 0x7f800000, v54
	v_fmaak_f32 v65, v65, v66, 0x3f2aaada
	v_ldexp_f32 v66, v55, 1
	v_sub_f32_e32 v55, v55, v64
	s_delay_alu instid0(VALU_DEP_4) | instskip(NEXT) | instid1(VALU_DEP_3)
	s_or_b32 s10, s10, s12
	v_mul_f32_e32 v65, v67, v65
	v_mul_f32_e32 v67, 0x3f317218, v30
	s_delay_alu instid0(VALU_DEP_2) | instskip(NEXT) | instid1(VALU_DEP_1)
	v_dual_sub_f32 v31, v31, v55 :: v_dual_add_f32 v64, v66, v65
	v_ldexp_f32 v31, v31, 1
	s_delay_alu instid0(VALU_DEP_2) | instskip(NEXT) | instid1(VALU_DEP_4)
	v_sub_f32_e32 v55, v64, v66
	v_fma_f32 v66, 0x3f317218, v30, -v67
	s_delay_alu instid0(VALU_DEP_1) | instskip(NEXT) | instid1(VALU_DEP_1)
	v_dual_sub_f32 v55, v65, v55 :: v_dual_fmamk_f32 v30, v30, 0xb102e308, v66
	v_add_f32_e32 v31, v31, v55
	s_delay_alu instid0(VALU_DEP_2) | instskip(NEXT) | instid1(VALU_DEP_2)
	v_add_f32_e32 v55, v67, v30
	v_add_f32_e32 v65, v64, v31
	s_delay_alu instid0(VALU_DEP_2) | instskip(NEXT) | instid1(VALU_DEP_2)
	v_sub_f32_e32 v67, v55, v67
	v_add_f32_e32 v66, v55, v65
	v_sub_f32_e32 v64, v65, v64
	s_delay_alu instid0(VALU_DEP_3) | instskip(NEXT) | instid1(VALU_DEP_2)
	v_sub_f32_e32 v30, v30, v67
	v_dual_sub_f32 v68, v66, v55 :: v_dual_sub_f32 v31, v31, v64
	s_delay_alu instid0(VALU_DEP_1) | instskip(NEXT) | instid1(VALU_DEP_2)
	v_sub_f32_e32 v69, v66, v68
	v_dual_sub_f32 v64, v65, v68 :: v_dual_add_f32 v65, v30, v31
	s_delay_alu instid0(VALU_DEP_2) | instskip(NEXT) | instid1(VALU_DEP_1)
	v_sub_f32_e32 v55, v55, v69
	v_dual_add_f32 v55, v64, v55 :: v_dual_sub_f32 v64, v65, v30
	s_delay_alu instid0(VALU_DEP_1) | instskip(NEXT) | instid1(VALU_DEP_2)
	v_add_f32_e32 v55, v65, v55
	v_sub_f32_e32 v65, v65, v64
	v_sub_f32_e32 v31, v31, v64
	s_delay_alu instid0(VALU_DEP_3) | instskip(NEXT) | instid1(VALU_DEP_3)
	v_add_f32_e32 v67, v66, v55
	v_sub_f32_e32 v30, v30, v65
	s_delay_alu instid0(VALU_DEP_2) | instskip(NEXT) | instid1(VALU_DEP_2)
	v_sub_f32_e32 v64, v67, v66
	v_add_f32_e32 v30, v31, v30
	s_delay_alu instid0(VALU_DEP_2) | instskip(NEXT) | instid1(VALU_DEP_1)
	v_sub_f32_e32 v31, v55, v64
	v_add_f32_e32 v30, v30, v31
	s_delay_alu instid0(VALU_DEP_1) | instskip(NEXT) | instid1(VALU_DEP_1)
	v_add_f32_e32 v30, v67, v30
	v_cndmask_b32_e64 v30, v30, v54, s10
	s_delay_alu instid0(VALU_DEP_1) | instskip(NEXT) | instid1(VALU_DEP_1)
	v_add_f32_e32 v24, v24, v30
	v_cvt_f16_f32_e32 v31, v24
	s_delay_alu instid0(VALU_DEP_1)
	v_mov_b32_e32 v30, v31
	v_cvt_f32_f16_e32 v64, v31
.LBB390_260:
	s_or_b32 exec_lo, exec_lo, s11
	v_cvt_f32_f16_e32 v24, v52
	s_delay_alu instid0(VALU_DEP_2) | instskip(SKIP_1) | instid1(VALU_DEP_2)
	v_max_f32_e32 v54, v64, v64
	v_cmp_u_f16_e64 s10, v31, v31
	v_min_f32_e32 v55, v54, v24
	v_max_f32_e32 v54, v54, v24
	s_delay_alu instid0(VALU_DEP_2) | instskip(NEXT) | instid1(VALU_DEP_2)
	v_cndmask_b32_e64 v55, v55, v64, s10
	v_cndmask_b32_e64 v65, v54, v64, s10
	v_cmp_u_f16_e64 s10, v52, v52
	s_delay_alu instid0(VALU_DEP_1) | instskip(NEXT) | instid1(VALU_DEP_3)
	v_cndmask_b32_e64 v54, v55, v24, s10
	v_cndmask_b32_e64 v52, v65, v24, s10
	s_delay_alu instid0(VALU_DEP_2) | instskip(NEXT) | instid1(VALU_DEP_2)
	v_cmp_class_f32_e64 s12, v54, 0x1f8
	v_cmp_neq_f32_e64 s11, v54, v52
	s_delay_alu instid0(VALU_DEP_1) | instskip(NEXT) | instid1(SALU_CYCLE_1)
	s_or_b32 s11, s11, s12
	s_and_saveexec_b32 s12, s11
	s_cbranch_execz .LBB390_262
; %bb.261:
	v_sub_f32_e32 v30, v54, v52
	s_delay_alu instid0(VALU_DEP_1) | instskip(NEXT) | instid1(VALU_DEP_1)
	v_mul_f32_e32 v31, 0x3fb8aa3b, v30
	v_fma_f32 v54, 0x3fb8aa3b, v30, -v31
	v_rndne_f32_e32 v55, v31
	s_delay_alu instid0(VALU_DEP_1) | instskip(SKIP_1) | instid1(VALU_DEP_2)
	v_dual_sub_f32 v31, v31, v55 :: v_dual_fmamk_f32 v54, v30, 0x32a5705f, v54
	v_cmp_ngt_f32_e64 s11, 0xc2ce8ed0, v30
	v_add_f32_e32 v31, v31, v54
	v_cvt_i32_f32_e32 v54, v55
	s_delay_alu instid0(VALU_DEP_2) | instskip(SKIP_2) | instid1(VALU_DEP_1)
	v_exp_f32_e32 v31, v31
	s_waitcnt_depctr 0xfff
	v_ldexp_f32 v31, v31, v54
	v_cndmask_b32_e64 v31, 0, v31, s11
	v_cmp_nlt_f32_e64 s11, 0x42b17218, v30
	s_delay_alu instid0(VALU_DEP_1) | instskip(NEXT) | instid1(VALU_DEP_1)
	v_cndmask_b32_e64 v54, 0x7f800000, v31, s11
	v_add_f32_e32 v55, 1.0, v54
	v_cmp_gt_f32_e64 s13, 0x33800000, |v54|
	s_delay_alu instid0(VALU_DEP_2) | instskip(NEXT) | instid1(VALU_DEP_1)
	v_cvt_f64_f32_e32 v[30:31], v55
	v_frexp_exp_i32_f64_e32 v30, v[30:31]
	v_frexp_mant_f32_e32 v31, v55
	s_delay_alu instid0(VALU_DEP_1) | instskip(SKIP_1) | instid1(VALU_DEP_1)
	v_cmp_gt_f32_e64 s11, 0x3f2aaaab, v31
	v_add_f32_e32 v31, -1.0, v55
	v_sub_f32_e32 v65, v31, v55
	v_sub_f32_e32 v31, v54, v31
	s_delay_alu instid0(VALU_DEP_4) | instskip(SKIP_1) | instid1(VALU_DEP_1)
	v_subrev_co_ci_u32_e64 v30, s11, 0, v30, s11
	s_mov_b32 s11, 0x3e9b6dac
	v_sub_nc_u32_e32 v64, 0, v30
	v_cvt_f32_i32_e32 v30, v30
	s_delay_alu instid0(VALU_DEP_2) | instskip(NEXT) | instid1(VALU_DEP_1)
	v_ldexp_f32 v55, v55, v64
	v_dual_add_f32 v66, 1.0, v55 :: v_dual_add_f32 v65, 1.0, v65
	s_delay_alu instid0(VALU_DEP_1) | instskip(NEXT) | instid1(VALU_DEP_2)
	v_add_f32_e32 v31, v31, v65
	v_add_f32_e32 v65, -1.0, v66
	s_delay_alu instid0(VALU_DEP_2) | instskip(NEXT) | instid1(VALU_DEP_2)
	v_ldexp_f32 v31, v31, v64
	v_dual_add_f32 v64, -1.0, v55 :: v_dual_sub_f32 v65, v55, v65
	s_delay_alu instid0(VALU_DEP_1) | instskip(NEXT) | instid1(VALU_DEP_2)
	v_add_f32_e32 v67, 1.0, v64
	v_add_f32_e32 v65, v31, v65
	s_delay_alu instid0(VALU_DEP_2) | instskip(NEXT) | instid1(VALU_DEP_2)
	v_sub_f32_e32 v55, v55, v67
	v_add_f32_e32 v67, v66, v65
	s_delay_alu instid0(VALU_DEP_2) | instskip(NEXT) | instid1(VALU_DEP_2)
	v_add_f32_e32 v31, v31, v55
	v_rcp_f32_e32 v55, v67
	v_sub_f32_e32 v66, v66, v67
	s_delay_alu instid0(VALU_DEP_1) | instskip(NEXT) | instid1(VALU_DEP_1)
	v_dual_add_f32 v68, v64, v31 :: v_dual_add_f32 v65, v65, v66
	v_sub_f32_e32 v64, v64, v68
	s_waitcnt_depctr 0xfff
	v_mul_f32_e32 v69, v68, v55
	v_add_f32_e32 v31, v31, v64
	s_delay_alu instid0(VALU_DEP_2) | instskip(NEXT) | instid1(VALU_DEP_1)
	v_mul_f32_e32 v70, v67, v69
	v_fma_f32 v66, v69, v67, -v70
	s_delay_alu instid0(VALU_DEP_1) | instskip(NEXT) | instid1(VALU_DEP_1)
	v_fmac_f32_e32 v66, v69, v65
	v_add_f32_e32 v71, v70, v66
	s_delay_alu instid0(VALU_DEP_1) | instskip(SKIP_1) | instid1(VALU_DEP_2)
	v_sub_f32_e32 v80, v68, v71
	v_sub_f32_e32 v64, v71, v70
	;; [unrolled: 1-line block ×3, first 2 shown]
	s_delay_alu instid0(VALU_DEP_2) | instskip(NEXT) | instid1(VALU_DEP_2)
	v_sub_f32_e32 v64, v64, v66
	v_sub_f32_e32 v68, v68, v71
	s_delay_alu instid0(VALU_DEP_1) | instskip(NEXT) | instid1(VALU_DEP_1)
	v_add_f32_e32 v31, v31, v68
	v_add_f32_e32 v31, v64, v31
	s_delay_alu instid0(VALU_DEP_1) | instskip(NEXT) | instid1(VALU_DEP_1)
	v_add_f32_e32 v64, v80, v31
	v_mul_f32_e32 v66, v55, v64
	s_delay_alu instid0(VALU_DEP_1) | instskip(NEXT) | instid1(VALU_DEP_1)
	v_dual_sub_f32 v71, v80, v64 :: v_dual_mul_f32 v68, v67, v66
	v_add_f32_e32 v31, v31, v71
	s_delay_alu instid0(VALU_DEP_2) | instskip(NEXT) | instid1(VALU_DEP_1)
	v_fma_f32 v67, v66, v67, -v68
	v_fmac_f32_e32 v67, v66, v65
	s_delay_alu instid0(VALU_DEP_1) | instskip(NEXT) | instid1(VALU_DEP_1)
	v_add_f32_e32 v65, v68, v67
	v_sub_f32_e32 v70, v64, v65
	v_sub_f32_e32 v68, v65, v68
	s_delay_alu instid0(VALU_DEP_2) | instskip(NEXT) | instid1(VALU_DEP_1)
	v_sub_f32_e32 v64, v64, v70
	v_sub_f32_e32 v64, v64, v65
	s_delay_alu instid0(VALU_DEP_3) | instskip(NEXT) | instid1(VALU_DEP_2)
	v_sub_f32_e32 v65, v68, v67
	v_dual_add_f32 v31, v31, v64 :: v_dual_add_f32 v64, v69, v66
	s_delay_alu instid0(VALU_DEP_1) | instskip(NEXT) | instid1(VALU_DEP_2)
	v_add_f32_e32 v31, v65, v31
	v_sub_f32_e32 v65, v64, v69
	s_delay_alu instid0(VALU_DEP_2) | instskip(NEXT) | instid1(VALU_DEP_2)
	v_add_f32_e32 v31, v70, v31
	v_sub_f32_e32 v65, v66, v65
	s_delay_alu instid0(VALU_DEP_2) | instskip(NEXT) | instid1(VALU_DEP_1)
	v_mul_f32_e32 v31, v55, v31
	v_add_f32_e32 v31, v65, v31
	s_delay_alu instid0(VALU_DEP_1) | instskip(NEXT) | instid1(VALU_DEP_1)
	v_add_f32_e32 v55, v64, v31
	v_mul_f32_e32 v65, v55, v55
	s_delay_alu instid0(VALU_DEP_1) | instskip(SKIP_2) | instid1(VALU_DEP_3)
	v_fmaak_f32 v66, s11, v65, 0x3ecc95a3
	v_mul_f32_e32 v67, v55, v65
	v_cmp_eq_f32_e64 s11, 0x7f800000, v54
	v_fmaak_f32 v65, v65, v66, 0x3f2aaada
	v_ldexp_f32 v66, v55, 1
	v_sub_f32_e32 v55, v55, v64
	s_delay_alu instid0(VALU_DEP_4) | instskip(NEXT) | instid1(VALU_DEP_3)
	s_or_b32 s11, s11, s13
	v_mul_f32_e32 v65, v67, v65
	v_mul_f32_e32 v67, 0x3f317218, v30
	s_delay_alu instid0(VALU_DEP_2) | instskip(NEXT) | instid1(VALU_DEP_1)
	v_dual_sub_f32 v31, v31, v55 :: v_dual_add_f32 v64, v66, v65
	v_ldexp_f32 v31, v31, 1
	s_delay_alu instid0(VALU_DEP_2) | instskip(NEXT) | instid1(VALU_DEP_4)
	v_sub_f32_e32 v55, v64, v66
	v_fma_f32 v66, 0x3f317218, v30, -v67
	s_delay_alu instid0(VALU_DEP_1) | instskip(NEXT) | instid1(VALU_DEP_1)
	v_dual_sub_f32 v55, v65, v55 :: v_dual_fmamk_f32 v30, v30, 0xb102e308, v66
	v_add_f32_e32 v31, v31, v55
	s_delay_alu instid0(VALU_DEP_2) | instskip(NEXT) | instid1(VALU_DEP_2)
	v_add_f32_e32 v55, v67, v30
	v_add_f32_e32 v65, v64, v31
	s_delay_alu instid0(VALU_DEP_2) | instskip(NEXT) | instid1(VALU_DEP_2)
	v_sub_f32_e32 v67, v55, v67
	v_add_f32_e32 v66, v55, v65
	v_sub_f32_e32 v64, v65, v64
	s_delay_alu instid0(VALU_DEP_3) | instskip(NEXT) | instid1(VALU_DEP_2)
	v_sub_f32_e32 v30, v30, v67
	v_dual_sub_f32 v68, v66, v55 :: v_dual_sub_f32 v31, v31, v64
	s_delay_alu instid0(VALU_DEP_1) | instskip(NEXT) | instid1(VALU_DEP_2)
	v_sub_f32_e32 v69, v66, v68
	v_dual_sub_f32 v64, v65, v68 :: v_dual_add_f32 v65, v30, v31
	s_delay_alu instid0(VALU_DEP_2) | instskip(NEXT) | instid1(VALU_DEP_1)
	v_sub_f32_e32 v55, v55, v69
	v_dual_add_f32 v55, v64, v55 :: v_dual_sub_f32 v64, v65, v30
	s_delay_alu instid0(VALU_DEP_1) | instskip(NEXT) | instid1(VALU_DEP_2)
	v_add_f32_e32 v55, v65, v55
	v_sub_f32_e32 v65, v65, v64
	v_sub_f32_e32 v31, v31, v64
	s_delay_alu instid0(VALU_DEP_3) | instskip(NEXT) | instid1(VALU_DEP_3)
	v_add_f32_e32 v67, v66, v55
	v_sub_f32_e32 v30, v30, v65
	s_delay_alu instid0(VALU_DEP_2) | instskip(NEXT) | instid1(VALU_DEP_2)
	v_sub_f32_e32 v64, v67, v66
	v_add_f32_e32 v30, v31, v30
	s_delay_alu instid0(VALU_DEP_2) | instskip(NEXT) | instid1(VALU_DEP_1)
	v_sub_f32_e32 v31, v55, v64
	v_add_f32_e32 v30, v30, v31
	s_delay_alu instid0(VALU_DEP_1) | instskip(NEXT) | instid1(VALU_DEP_1)
	v_add_f32_e32 v30, v67, v30
	v_cndmask_b32_e64 v30, v30, v54, s11
	s_delay_alu instid0(VALU_DEP_1) | instskip(NEXT) | instid1(VALU_DEP_1)
	v_add_f32_e32 v30, v52, v30
	v_cvt_f16_f32_e32 v31, v30
	s_delay_alu instid0(VALU_DEP_1)
	v_mov_b32_e32 v30, v31
	v_cvt_f32_f16_e32 v64, v31
.LBB390_262:
	s_or_b32 exec_lo, exec_lo, s12
	v_cvt_f32_f16_e32 v52, v25
	s_delay_alu instid0(VALU_DEP_2) | instskip(SKIP_1) | instid1(VALU_DEP_2)
	v_max_f32_e32 v54, v64, v64
	v_cmp_u_f16_e64 s11, v31, v31
	v_min_f32_e32 v55, v54, v52
	v_max_f32_e32 v54, v54, v52
	s_delay_alu instid0(VALU_DEP_2) | instskip(NEXT) | instid1(VALU_DEP_2)
	v_cndmask_b32_e64 v55, v55, v64, s11
	v_cndmask_b32_e64 v65, v54, v64, s11
	v_cmp_u_f16_e64 s11, v25, v25
	s_delay_alu instid0(VALU_DEP_1) | instskip(NEXT) | instid1(VALU_DEP_3)
	v_cndmask_b32_e64 v54, v55, v52, s11
	v_cndmask_b32_e64 v25, v65, v52, s11
	s_delay_alu instid0(VALU_DEP_2) | instskip(NEXT) | instid1(VALU_DEP_2)
	v_cmp_class_f32_e64 s13, v54, 0x1f8
	v_cmp_neq_f32_e64 s12, v54, v25
	s_delay_alu instid0(VALU_DEP_1) | instskip(NEXT) | instid1(SALU_CYCLE_1)
	s_or_b32 s12, s12, s13
	s_and_saveexec_b32 s13, s12
	s_cbranch_execz .LBB390_264
; %bb.263:
	v_sub_f32_e32 v30, v54, v25
	s_delay_alu instid0(VALU_DEP_1) | instskip(NEXT) | instid1(VALU_DEP_1)
	v_mul_f32_e32 v31, 0x3fb8aa3b, v30
	v_fma_f32 v54, 0x3fb8aa3b, v30, -v31
	v_rndne_f32_e32 v55, v31
	s_delay_alu instid0(VALU_DEP_1) | instskip(SKIP_1) | instid1(VALU_DEP_2)
	v_dual_sub_f32 v31, v31, v55 :: v_dual_fmamk_f32 v54, v30, 0x32a5705f, v54
	v_cmp_ngt_f32_e64 s12, 0xc2ce8ed0, v30
	v_add_f32_e32 v31, v31, v54
	v_cvt_i32_f32_e32 v54, v55
	s_delay_alu instid0(VALU_DEP_2) | instskip(SKIP_2) | instid1(VALU_DEP_1)
	v_exp_f32_e32 v31, v31
	s_waitcnt_depctr 0xfff
	v_ldexp_f32 v31, v31, v54
	v_cndmask_b32_e64 v31, 0, v31, s12
	v_cmp_nlt_f32_e64 s12, 0x42b17218, v30
	s_delay_alu instid0(VALU_DEP_1) | instskip(NEXT) | instid1(VALU_DEP_1)
	v_cndmask_b32_e64 v54, 0x7f800000, v31, s12
	v_add_f32_e32 v55, 1.0, v54
	v_cmp_gt_f32_e64 s14, 0x33800000, |v54|
	s_delay_alu instid0(VALU_DEP_2) | instskip(NEXT) | instid1(VALU_DEP_1)
	v_cvt_f64_f32_e32 v[30:31], v55
	v_frexp_exp_i32_f64_e32 v30, v[30:31]
	v_frexp_mant_f32_e32 v31, v55
	s_delay_alu instid0(VALU_DEP_1) | instskip(SKIP_1) | instid1(VALU_DEP_1)
	v_cmp_gt_f32_e64 s12, 0x3f2aaaab, v31
	v_add_f32_e32 v31, -1.0, v55
	v_sub_f32_e32 v65, v31, v55
	v_sub_f32_e32 v31, v54, v31
	s_delay_alu instid0(VALU_DEP_4) | instskip(SKIP_1) | instid1(VALU_DEP_1)
	v_subrev_co_ci_u32_e64 v30, s12, 0, v30, s12
	s_mov_b32 s12, 0x3e9b6dac
	v_sub_nc_u32_e32 v64, 0, v30
	v_cvt_f32_i32_e32 v30, v30
	s_delay_alu instid0(VALU_DEP_2) | instskip(NEXT) | instid1(VALU_DEP_1)
	v_ldexp_f32 v55, v55, v64
	v_dual_add_f32 v66, 1.0, v55 :: v_dual_add_f32 v65, 1.0, v65
	s_delay_alu instid0(VALU_DEP_1) | instskip(NEXT) | instid1(VALU_DEP_2)
	v_add_f32_e32 v31, v31, v65
	v_add_f32_e32 v65, -1.0, v66
	s_delay_alu instid0(VALU_DEP_2) | instskip(NEXT) | instid1(VALU_DEP_2)
	v_ldexp_f32 v31, v31, v64
	v_dual_add_f32 v64, -1.0, v55 :: v_dual_sub_f32 v65, v55, v65
	s_delay_alu instid0(VALU_DEP_1) | instskip(NEXT) | instid1(VALU_DEP_2)
	v_add_f32_e32 v67, 1.0, v64
	v_add_f32_e32 v65, v31, v65
	s_delay_alu instid0(VALU_DEP_2) | instskip(NEXT) | instid1(VALU_DEP_2)
	v_sub_f32_e32 v55, v55, v67
	v_add_f32_e32 v67, v66, v65
	s_delay_alu instid0(VALU_DEP_2) | instskip(NEXT) | instid1(VALU_DEP_2)
	v_add_f32_e32 v31, v31, v55
	v_rcp_f32_e32 v55, v67
	v_sub_f32_e32 v66, v66, v67
	s_delay_alu instid0(VALU_DEP_1) | instskip(NEXT) | instid1(VALU_DEP_1)
	v_dual_add_f32 v68, v64, v31 :: v_dual_add_f32 v65, v65, v66
	v_sub_f32_e32 v64, v64, v68
	s_waitcnt_depctr 0xfff
	v_mul_f32_e32 v69, v68, v55
	v_add_f32_e32 v31, v31, v64
	s_delay_alu instid0(VALU_DEP_2) | instskip(NEXT) | instid1(VALU_DEP_1)
	v_mul_f32_e32 v70, v67, v69
	v_fma_f32 v66, v69, v67, -v70
	s_delay_alu instid0(VALU_DEP_1) | instskip(NEXT) | instid1(VALU_DEP_1)
	v_fmac_f32_e32 v66, v69, v65
	v_add_f32_e32 v71, v70, v66
	s_delay_alu instid0(VALU_DEP_1) | instskip(SKIP_1) | instid1(VALU_DEP_2)
	v_sub_f32_e32 v80, v68, v71
	v_sub_f32_e32 v64, v71, v70
	;; [unrolled: 1-line block ×3, first 2 shown]
	s_delay_alu instid0(VALU_DEP_2) | instskip(NEXT) | instid1(VALU_DEP_2)
	v_sub_f32_e32 v64, v64, v66
	v_sub_f32_e32 v68, v68, v71
	s_delay_alu instid0(VALU_DEP_1) | instskip(NEXT) | instid1(VALU_DEP_1)
	v_add_f32_e32 v31, v31, v68
	v_add_f32_e32 v31, v64, v31
	s_delay_alu instid0(VALU_DEP_1) | instskip(NEXT) | instid1(VALU_DEP_1)
	v_add_f32_e32 v64, v80, v31
	v_mul_f32_e32 v66, v55, v64
	s_delay_alu instid0(VALU_DEP_1) | instskip(NEXT) | instid1(VALU_DEP_1)
	v_dual_sub_f32 v71, v80, v64 :: v_dual_mul_f32 v68, v67, v66
	v_add_f32_e32 v31, v31, v71
	s_delay_alu instid0(VALU_DEP_2) | instskip(NEXT) | instid1(VALU_DEP_1)
	v_fma_f32 v67, v66, v67, -v68
	v_fmac_f32_e32 v67, v66, v65
	s_delay_alu instid0(VALU_DEP_1) | instskip(NEXT) | instid1(VALU_DEP_1)
	v_add_f32_e32 v65, v68, v67
	v_sub_f32_e32 v70, v64, v65
	v_sub_f32_e32 v68, v65, v68
	s_delay_alu instid0(VALU_DEP_2) | instskip(NEXT) | instid1(VALU_DEP_1)
	v_sub_f32_e32 v64, v64, v70
	v_sub_f32_e32 v64, v64, v65
	s_delay_alu instid0(VALU_DEP_3) | instskip(NEXT) | instid1(VALU_DEP_2)
	v_sub_f32_e32 v65, v68, v67
	v_dual_add_f32 v31, v31, v64 :: v_dual_add_f32 v64, v69, v66
	s_delay_alu instid0(VALU_DEP_1) | instskip(NEXT) | instid1(VALU_DEP_2)
	v_add_f32_e32 v31, v65, v31
	v_sub_f32_e32 v65, v64, v69
	s_delay_alu instid0(VALU_DEP_2) | instskip(NEXT) | instid1(VALU_DEP_2)
	v_add_f32_e32 v31, v70, v31
	v_sub_f32_e32 v65, v66, v65
	s_delay_alu instid0(VALU_DEP_2) | instskip(NEXT) | instid1(VALU_DEP_1)
	v_mul_f32_e32 v31, v55, v31
	v_add_f32_e32 v31, v65, v31
	s_delay_alu instid0(VALU_DEP_1) | instskip(NEXT) | instid1(VALU_DEP_1)
	v_add_f32_e32 v55, v64, v31
	v_mul_f32_e32 v65, v55, v55
	s_delay_alu instid0(VALU_DEP_1) | instskip(SKIP_2) | instid1(VALU_DEP_3)
	v_fmaak_f32 v66, s12, v65, 0x3ecc95a3
	v_mul_f32_e32 v67, v55, v65
	v_cmp_eq_f32_e64 s12, 0x7f800000, v54
	v_fmaak_f32 v65, v65, v66, 0x3f2aaada
	v_ldexp_f32 v66, v55, 1
	v_sub_f32_e32 v55, v55, v64
	s_delay_alu instid0(VALU_DEP_4) | instskip(NEXT) | instid1(VALU_DEP_3)
	s_or_b32 s12, s12, s14
	v_mul_f32_e32 v65, v67, v65
	v_mul_f32_e32 v67, 0x3f317218, v30
	s_delay_alu instid0(VALU_DEP_2) | instskip(NEXT) | instid1(VALU_DEP_1)
	v_dual_sub_f32 v31, v31, v55 :: v_dual_add_f32 v64, v66, v65
	v_ldexp_f32 v31, v31, 1
	s_delay_alu instid0(VALU_DEP_2) | instskip(NEXT) | instid1(VALU_DEP_4)
	v_sub_f32_e32 v55, v64, v66
	v_fma_f32 v66, 0x3f317218, v30, -v67
	s_delay_alu instid0(VALU_DEP_1) | instskip(NEXT) | instid1(VALU_DEP_1)
	v_dual_sub_f32 v55, v65, v55 :: v_dual_fmamk_f32 v30, v30, 0xb102e308, v66
	v_add_f32_e32 v31, v31, v55
	s_delay_alu instid0(VALU_DEP_2) | instskip(NEXT) | instid1(VALU_DEP_2)
	v_add_f32_e32 v55, v67, v30
	v_add_f32_e32 v65, v64, v31
	s_delay_alu instid0(VALU_DEP_2) | instskip(NEXT) | instid1(VALU_DEP_2)
	v_sub_f32_e32 v67, v55, v67
	v_add_f32_e32 v66, v55, v65
	v_sub_f32_e32 v64, v65, v64
	s_delay_alu instid0(VALU_DEP_3) | instskip(NEXT) | instid1(VALU_DEP_2)
	v_sub_f32_e32 v30, v30, v67
	v_dual_sub_f32 v68, v66, v55 :: v_dual_sub_f32 v31, v31, v64
	s_delay_alu instid0(VALU_DEP_1) | instskip(NEXT) | instid1(VALU_DEP_2)
	v_sub_f32_e32 v69, v66, v68
	v_dual_sub_f32 v64, v65, v68 :: v_dual_add_f32 v65, v30, v31
	s_delay_alu instid0(VALU_DEP_2) | instskip(NEXT) | instid1(VALU_DEP_1)
	v_sub_f32_e32 v55, v55, v69
	v_dual_add_f32 v55, v64, v55 :: v_dual_sub_f32 v64, v65, v30
	s_delay_alu instid0(VALU_DEP_1) | instskip(NEXT) | instid1(VALU_DEP_2)
	v_add_f32_e32 v55, v65, v55
	v_sub_f32_e32 v65, v65, v64
	v_sub_f32_e32 v31, v31, v64
	s_delay_alu instid0(VALU_DEP_3) | instskip(NEXT) | instid1(VALU_DEP_3)
	v_add_f32_e32 v67, v66, v55
	v_sub_f32_e32 v30, v30, v65
	s_delay_alu instid0(VALU_DEP_2) | instskip(NEXT) | instid1(VALU_DEP_2)
	v_sub_f32_e32 v64, v67, v66
	v_add_f32_e32 v30, v31, v30
	s_delay_alu instid0(VALU_DEP_2) | instskip(NEXT) | instid1(VALU_DEP_1)
	v_sub_f32_e32 v31, v55, v64
	v_add_f32_e32 v30, v30, v31
	s_delay_alu instid0(VALU_DEP_1) | instskip(NEXT) | instid1(VALU_DEP_1)
	v_add_f32_e32 v30, v67, v30
	v_cndmask_b32_e64 v30, v30, v54, s12
	s_delay_alu instid0(VALU_DEP_1) | instskip(NEXT) | instid1(VALU_DEP_1)
	v_add_f32_e32 v25, v25, v30
	v_cvt_f16_f32_e32 v31, v25
	s_delay_alu instid0(VALU_DEP_1)
	v_mov_b32_e32 v30, v31
	v_cvt_f32_f16_e32 v64, v31
.LBB390_264:
	s_or_b32 exec_lo, exec_lo, s13
	v_cvt_f32_f16_e32 v25, v51
	s_delay_alu instid0(VALU_DEP_2) | instskip(SKIP_1) | instid1(VALU_DEP_2)
	v_max_f32_e32 v54, v64, v64
	v_cmp_u_f16_e64 s12, v31, v31
	v_min_f32_e32 v55, v54, v25
	v_max_f32_e32 v54, v54, v25
	s_delay_alu instid0(VALU_DEP_2) | instskip(NEXT) | instid1(VALU_DEP_2)
	v_cndmask_b32_e64 v55, v55, v64, s12
	v_cndmask_b32_e64 v65, v54, v64, s12
	v_cmp_u_f16_e64 s12, v51, v51
	s_delay_alu instid0(VALU_DEP_1) | instskip(NEXT) | instid1(VALU_DEP_3)
	v_cndmask_b32_e64 v54, v55, v25, s12
	v_cndmask_b32_e64 v51, v65, v25, s12
	s_delay_alu instid0(VALU_DEP_2) | instskip(NEXT) | instid1(VALU_DEP_2)
	v_cmp_class_f32_e64 s14, v54, 0x1f8
	v_cmp_neq_f32_e64 s13, v54, v51
	s_delay_alu instid0(VALU_DEP_1) | instskip(NEXT) | instid1(SALU_CYCLE_1)
	s_or_b32 s13, s13, s14
	s_and_saveexec_b32 s14, s13
	s_cbranch_execz .LBB390_266
; %bb.265:
	v_sub_f32_e32 v30, v54, v51
	s_delay_alu instid0(VALU_DEP_1) | instskip(NEXT) | instid1(VALU_DEP_1)
	v_mul_f32_e32 v31, 0x3fb8aa3b, v30
	v_fma_f32 v54, 0x3fb8aa3b, v30, -v31
	v_rndne_f32_e32 v55, v31
	s_delay_alu instid0(VALU_DEP_1) | instskip(NEXT) | instid1(VALU_DEP_1)
	v_dual_fmamk_f32 v54, v30, 0x32a5705f, v54 :: v_dual_sub_f32 v31, v31, v55
	v_add_f32_e32 v31, v31, v54
	v_cvt_i32_f32_e32 v54, v55
	v_cmp_ngt_f32_e64 s13, 0xc2ce8ed0, v30
	s_delay_alu instid0(VALU_DEP_3) | instskip(SKIP_2) | instid1(VALU_DEP_1)
	v_exp_f32_e32 v31, v31
	s_waitcnt_depctr 0xfff
	v_ldexp_f32 v31, v31, v54
	v_cndmask_b32_e64 v31, 0, v31, s13
	v_cmp_nlt_f32_e64 s13, 0x42b17218, v30
	s_delay_alu instid0(VALU_DEP_1) | instskip(NEXT) | instid1(VALU_DEP_1)
	v_cndmask_b32_e64 v54, 0x7f800000, v31, s13
	v_add_f32_e32 v55, 1.0, v54
	v_cmp_gt_f32_e64 s15, 0x33800000, |v54|
	s_delay_alu instid0(VALU_DEP_2) | instskip(NEXT) | instid1(VALU_DEP_1)
	v_cvt_f64_f32_e32 v[30:31], v55
	v_frexp_exp_i32_f64_e32 v30, v[30:31]
	v_frexp_mant_f32_e32 v31, v55
	s_delay_alu instid0(VALU_DEP_1) | instskip(SKIP_1) | instid1(VALU_DEP_1)
	v_cmp_gt_f32_e64 s13, 0x3f2aaaab, v31
	v_add_f32_e32 v31, -1.0, v55
	v_sub_f32_e32 v65, v31, v55
	v_sub_f32_e32 v31, v54, v31
	s_delay_alu instid0(VALU_DEP_4) | instskip(SKIP_1) | instid1(VALU_DEP_1)
	v_subrev_co_ci_u32_e64 v30, s13, 0, v30, s13
	s_mov_b32 s13, 0x3e9b6dac
	v_sub_nc_u32_e32 v64, 0, v30
	v_cvt_f32_i32_e32 v30, v30
	s_delay_alu instid0(VALU_DEP_2) | instskip(NEXT) | instid1(VALU_DEP_1)
	v_ldexp_f32 v55, v55, v64
	v_dual_add_f32 v65, 1.0, v65 :: v_dual_add_f32 v66, 1.0, v55
	s_delay_alu instid0(VALU_DEP_1) | instskip(NEXT) | instid1(VALU_DEP_2)
	v_add_f32_e32 v31, v31, v65
	v_add_f32_e32 v65, -1.0, v66
	s_delay_alu instid0(VALU_DEP_2) | instskip(NEXT) | instid1(VALU_DEP_2)
	v_ldexp_f32 v31, v31, v64
	v_dual_add_f32 v64, -1.0, v55 :: v_dual_sub_f32 v65, v55, v65
	s_delay_alu instid0(VALU_DEP_1) | instskip(NEXT) | instid1(VALU_DEP_2)
	v_add_f32_e32 v67, 1.0, v64
	v_add_f32_e32 v65, v31, v65
	s_delay_alu instid0(VALU_DEP_2) | instskip(NEXT) | instid1(VALU_DEP_2)
	v_sub_f32_e32 v55, v55, v67
	v_add_f32_e32 v67, v66, v65
	s_delay_alu instid0(VALU_DEP_2) | instskip(NEXT) | instid1(VALU_DEP_2)
	v_add_f32_e32 v31, v31, v55
	v_rcp_f32_e32 v55, v67
	v_sub_f32_e32 v66, v66, v67
	s_delay_alu instid0(VALU_DEP_1) | instskip(NEXT) | instid1(VALU_DEP_1)
	v_dual_add_f32 v68, v64, v31 :: v_dual_add_f32 v65, v65, v66
	v_sub_f32_e32 v64, v64, v68
	s_waitcnt_depctr 0xfff
	v_mul_f32_e32 v69, v68, v55
	v_add_f32_e32 v31, v31, v64
	s_delay_alu instid0(VALU_DEP_2) | instskip(NEXT) | instid1(VALU_DEP_1)
	v_mul_f32_e32 v70, v67, v69
	v_fma_f32 v66, v69, v67, -v70
	s_delay_alu instid0(VALU_DEP_1) | instskip(NEXT) | instid1(VALU_DEP_1)
	v_fmac_f32_e32 v66, v69, v65
	v_add_f32_e32 v71, v70, v66
	s_delay_alu instid0(VALU_DEP_1) | instskip(SKIP_1) | instid1(VALU_DEP_2)
	v_sub_f32_e32 v80, v68, v71
	v_sub_f32_e32 v64, v71, v70
	;; [unrolled: 1-line block ×3, first 2 shown]
	s_delay_alu instid0(VALU_DEP_2) | instskip(NEXT) | instid1(VALU_DEP_2)
	v_sub_f32_e32 v64, v64, v66
	v_sub_f32_e32 v68, v68, v71
	s_delay_alu instid0(VALU_DEP_1) | instskip(NEXT) | instid1(VALU_DEP_1)
	v_add_f32_e32 v31, v31, v68
	v_add_f32_e32 v31, v64, v31
	s_delay_alu instid0(VALU_DEP_1) | instskip(NEXT) | instid1(VALU_DEP_1)
	v_add_f32_e32 v64, v80, v31
	v_mul_f32_e32 v66, v55, v64
	s_delay_alu instid0(VALU_DEP_1) | instskip(NEXT) | instid1(VALU_DEP_1)
	v_dual_sub_f32 v71, v80, v64 :: v_dual_mul_f32 v68, v67, v66
	v_add_f32_e32 v31, v31, v71
	s_delay_alu instid0(VALU_DEP_2) | instskip(NEXT) | instid1(VALU_DEP_1)
	v_fma_f32 v67, v66, v67, -v68
	v_fmac_f32_e32 v67, v66, v65
	s_delay_alu instid0(VALU_DEP_1) | instskip(NEXT) | instid1(VALU_DEP_1)
	v_add_f32_e32 v65, v68, v67
	v_sub_f32_e32 v70, v64, v65
	v_sub_f32_e32 v68, v65, v68
	s_delay_alu instid0(VALU_DEP_2) | instskip(NEXT) | instid1(VALU_DEP_1)
	v_sub_f32_e32 v64, v64, v70
	v_sub_f32_e32 v64, v64, v65
	s_delay_alu instid0(VALU_DEP_1) | instskip(NEXT) | instid1(VALU_DEP_4)
	v_dual_add_f32 v31, v31, v64 :: v_dual_add_f32 v64, v69, v66
	v_sub_f32_e32 v65, v68, v67
	s_delay_alu instid0(VALU_DEP_1) | instskip(NEXT) | instid1(VALU_DEP_3)
	v_add_f32_e32 v31, v65, v31
	v_sub_f32_e32 v65, v64, v69
	s_delay_alu instid0(VALU_DEP_2) | instskip(NEXT) | instid1(VALU_DEP_2)
	v_add_f32_e32 v31, v70, v31
	v_sub_f32_e32 v65, v66, v65
	s_delay_alu instid0(VALU_DEP_2) | instskip(NEXT) | instid1(VALU_DEP_1)
	v_mul_f32_e32 v31, v55, v31
	v_add_f32_e32 v31, v65, v31
	s_delay_alu instid0(VALU_DEP_1) | instskip(NEXT) | instid1(VALU_DEP_1)
	v_add_f32_e32 v55, v64, v31
	v_mul_f32_e32 v65, v55, v55
	s_delay_alu instid0(VALU_DEP_1) | instskip(SKIP_2) | instid1(VALU_DEP_3)
	v_fmaak_f32 v66, s13, v65, 0x3ecc95a3
	v_mul_f32_e32 v67, v55, v65
	v_cmp_eq_f32_e64 s13, 0x7f800000, v54
	v_fmaak_f32 v65, v65, v66, 0x3f2aaada
	v_ldexp_f32 v66, v55, 1
	v_sub_f32_e32 v55, v55, v64
	s_delay_alu instid0(VALU_DEP_4) | instskip(NEXT) | instid1(VALU_DEP_3)
	s_or_b32 s13, s13, s15
	v_mul_f32_e32 v65, v67, v65
	v_mul_f32_e32 v67, 0x3f317218, v30
	s_delay_alu instid0(VALU_DEP_2) | instskip(NEXT) | instid1(VALU_DEP_1)
	v_dual_sub_f32 v31, v31, v55 :: v_dual_add_f32 v64, v66, v65
	v_ldexp_f32 v31, v31, 1
	s_delay_alu instid0(VALU_DEP_2) | instskip(NEXT) | instid1(VALU_DEP_4)
	v_sub_f32_e32 v55, v64, v66
	v_fma_f32 v66, 0x3f317218, v30, -v67
	s_delay_alu instid0(VALU_DEP_1) | instskip(NEXT) | instid1(VALU_DEP_1)
	v_dual_sub_f32 v55, v65, v55 :: v_dual_fmamk_f32 v30, v30, 0xb102e308, v66
	v_add_f32_e32 v31, v31, v55
	s_delay_alu instid0(VALU_DEP_2) | instskip(NEXT) | instid1(VALU_DEP_2)
	v_add_f32_e32 v55, v67, v30
	v_add_f32_e32 v65, v64, v31
	s_delay_alu instid0(VALU_DEP_2) | instskip(NEXT) | instid1(VALU_DEP_2)
	v_sub_f32_e32 v67, v55, v67
	v_add_f32_e32 v66, v55, v65
	v_sub_f32_e32 v64, v65, v64
	s_delay_alu instid0(VALU_DEP_3) | instskip(NEXT) | instid1(VALU_DEP_2)
	v_sub_f32_e32 v30, v30, v67
	v_dual_sub_f32 v68, v66, v55 :: v_dual_sub_f32 v31, v31, v64
	s_delay_alu instid0(VALU_DEP_1) | instskip(NEXT) | instid1(VALU_DEP_2)
	v_sub_f32_e32 v69, v66, v68
	v_dual_sub_f32 v64, v65, v68 :: v_dual_add_f32 v65, v30, v31
	s_delay_alu instid0(VALU_DEP_2) | instskip(NEXT) | instid1(VALU_DEP_1)
	v_sub_f32_e32 v55, v55, v69
	v_dual_add_f32 v55, v64, v55 :: v_dual_sub_f32 v64, v65, v30
	s_delay_alu instid0(VALU_DEP_1) | instskip(NEXT) | instid1(VALU_DEP_2)
	v_add_f32_e32 v55, v65, v55
	v_sub_f32_e32 v65, v65, v64
	v_sub_f32_e32 v31, v31, v64
	s_delay_alu instid0(VALU_DEP_3) | instskip(NEXT) | instid1(VALU_DEP_3)
	v_add_f32_e32 v67, v66, v55
	v_sub_f32_e32 v30, v30, v65
	s_delay_alu instid0(VALU_DEP_2) | instskip(NEXT) | instid1(VALU_DEP_2)
	v_sub_f32_e32 v64, v67, v66
	v_add_f32_e32 v30, v31, v30
	s_delay_alu instid0(VALU_DEP_2) | instskip(NEXT) | instid1(VALU_DEP_1)
	v_sub_f32_e32 v31, v55, v64
	v_add_f32_e32 v30, v30, v31
	s_delay_alu instid0(VALU_DEP_1) | instskip(NEXT) | instid1(VALU_DEP_1)
	v_add_f32_e32 v30, v67, v30
	v_cndmask_b32_e64 v30, v30, v54, s13
	s_delay_alu instid0(VALU_DEP_1) | instskip(NEXT) | instid1(VALU_DEP_1)
	v_add_f32_e32 v30, v51, v30
	v_cvt_f16_f32_e32 v31, v30
	s_delay_alu instid0(VALU_DEP_1)
	v_cvt_f32_f16_e32 v64, v31
	v_mov_b32_e32 v30, v31
.LBB390_266:
	s_or_b32 exec_lo, exec_lo, s14
	v_cvt_f32_f16_e32 v51, v22
	s_delay_alu instid0(VALU_DEP_3) | instskip(SKIP_1) | instid1(VALU_DEP_2)
	v_max_f32_e32 v54, v64, v64
	v_cmp_u_f16_e64 s13, v31, v31
	v_min_f32_e32 v55, v54, v51
	v_max_f32_e32 v54, v54, v51
	s_delay_alu instid0(VALU_DEP_2) | instskip(NEXT) | instid1(VALU_DEP_2)
	v_cndmask_b32_e64 v55, v55, v64, s13
	v_cndmask_b32_e64 v65, v54, v64, s13
	v_cmp_u_f16_e64 s13, v22, v22
	s_delay_alu instid0(VALU_DEP_1) | instskip(NEXT) | instid1(VALU_DEP_3)
	v_cndmask_b32_e64 v54, v55, v51, s13
	v_cndmask_b32_e64 v22, v65, v51, s13
	s_delay_alu instid0(VALU_DEP_2) | instskip(NEXT) | instid1(VALU_DEP_2)
	v_cmp_class_f32_e64 s15, v54, 0x1f8
	v_cmp_neq_f32_e64 s14, v54, v22
	s_delay_alu instid0(VALU_DEP_1) | instskip(NEXT) | instid1(SALU_CYCLE_1)
	s_or_b32 s14, s14, s15
	s_and_saveexec_b32 s15, s14
	s_cbranch_execz .LBB390_268
; %bb.267:
	v_sub_f32_e32 v30, v54, v22
	s_delay_alu instid0(VALU_DEP_1) | instskip(NEXT) | instid1(VALU_DEP_1)
	v_mul_f32_e32 v31, 0x3fb8aa3b, v30
	v_fma_f32 v54, 0x3fb8aa3b, v30, -v31
	v_rndne_f32_e32 v55, v31
	s_delay_alu instid0(VALU_DEP_1) | instskip(SKIP_1) | instid1(VALU_DEP_2)
	v_dual_sub_f32 v31, v31, v55 :: v_dual_fmamk_f32 v54, v30, 0x32a5705f, v54
	v_cmp_ngt_f32_e64 s14, 0xc2ce8ed0, v30
	v_add_f32_e32 v31, v31, v54
	v_cvt_i32_f32_e32 v54, v55
	s_delay_alu instid0(VALU_DEP_2) | instskip(SKIP_2) | instid1(VALU_DEP_1)
	v_exp_f32_e32 v31, v31
	s_waitcnt_depctr 0xfff
	v_ldexp_f32 v31, v31, v54
	v_cndmask_b32_e64 v31, 0, v31, s14
	v_cmp_nlt_f32_e64 s14, 0x42b17218, v30
	s_delay_alu instid0(VALU_DEP_1) | instskip(NEXT) | instid1(VALU_DEP_1)
	v_cndmask_b32_e64 v54, 0x7f800000, v31, s14
	v_add_f32_e32 v55, 1.0, v54
	v_cmp_gt_f32_e64 s16, 0x33800000, |v54|
	s_delay_alu instid0(VALU_DEP_2) | instskip(NEXT) | instid1(VALU_DEP_1)
	v_cvt_f64_f32_e32 v[30:31], v55
	v_frexp_exp_i32_f64_e32 v30, v[30:31]
	v_frexp_mant_f32_e32 v31, v55
	s_delay_alu instid0(VALU_DEP_1) | instskip(SKIP_1) | instid1(VALU_DEP_1)
	v_cmp_gt_f32_e64 s14, 0x3f2aaaab, v31
	v_add_f32_e32 v31, -1.0, v55
	v_sub_f32_e32 v65, v31, v55
	v_sub_f32_e32 v31, v54, v31
	s_delay_alu instid0(VALU_DEP_4) | instskip(SKIP_1) | instid1(VALU_DEP_1)
	v_subrev_co_ci_u32_e64 v30, s14, 0, v30, s14
	s_mov_b32 s14, 0x3e9b6dac
	v_sub_nc_u32_e32 v64, 0, v30
	v_cvt_f32_i32_e32 v30, v30
	s_delay_alu instid0(VALU_DEP_2) | instskip(NEXT) | instid1(VALU_DEP_1)
	v_ldexp_f32 v55, v55, v64
	v_dual_add_f32 v66, 1.0, v55 :: v_dual_add_f32 v65, 1.0, v65
	s_delay_alu instid0(VALU_DEP_1) | instskip(NEXT) | instid1(VALU_DEP_2)
	v_add_f32_e32 v31, v31, v65
	v_add_f32_e32 v65, -1.0, v66
	s_delay_alu instid0(VALU_DEP_2) | instskip(NEXT) | instid1(VALU_DEP_2)
	v_ldexp_f32 v31, v31, v64
	v_dual_add_f32 v64, -1.0, v55 :: v_dual_sub_f32 v65, v55, v65
	s_delay_alu instid0(VALU_DEP_1) | instskip(NEXT) | instid1(VALU_DEP_2)
	v_add_f32_e32 v67, 1.0, v64
	v_add_f32_e32 v65, v31, v65
	s_delay_alu instid0(VALU_DEP_2) | instskip(NEXT) | instid1(VALU_DEP_2)
	v_sub_f32_e32 v55, v55, v67
	v_add_f32_e32 v67, v66, v65
	s_delay_alu instid0(VALU_DEP_2) | instskip(NEXT) | instid1(VALU_DEP_2)
	v_add_f32_e32 v31, v31, v55
	v_rcp_f32_e32 v55, v67
	v_sub_f32_e32 v66, v66, v67
	s_delay_alu instid0(VALU_DEP_1) | instskip(NEXT) | instid1(VALU_DEP_1)
	v_dual_add_f32 v68, v64, v31 :: v_dual_add_f32 v65, v65, v66
	v_sub_f32_e32 v64, v64, v68
	s_waitcnt_depctr 0xfff
	v_mul_f32_e32 v69, v68, v55
	v_add_f32_e32 v31, v31, v64
	s_delay_alu instid0(VALU_DEP_2) | instskip(NEXT) | instid1(VALU_DEP_1)
	v_mul_f32_e32 v70, v67, v69
	v_fma_f32 v66, v69, v67, -v70
	s_delay_alu instid0(VALU_DEP_1) | instskip(NEXT) | instid1(VALU_DEP_1)
	v_fmac_f32_e32 v66, v69, v65
	v_add_f32_e32 v71, v70, v66
	s_delay_alu instid0(VALU_DEP_1) | instskip(SKIP_1) | instid1(VALU_DEP_2)
	v_sub_f32_e32 v80, v68, v71
	v_sub_f32_e32 v64, v71, v70
	;; [unrolled: 1-line block ×3, first 2 shown]
	s_delay_alu instid0(VALU_DEP_2) | instskip(NEXT) | instid1(VALU_DEP_2)
	v_sub_f32_e32 v64, v64, v66
	v_sub_f32_e32 v68, v68, v71
	s_delay_alu instid0(VALU_DEP_1) | instskip(NEXT) | instid1(VALU_DEP_1)
	v_add_f32_e32 v31, v31, v68
	v_add_f32_e32 v31, v64, v31
	s_delay_alu instid0(VALU_DEP_1) | instskip(NEXT) | instid1(VALU_DEP_1)
	v_add_f32_e32 v64, v80, v31
	v_mul_f32_e32 v66, v55, v64
	s_delay_alu instid0(VALU_DEP_1) | instskip(NEXT) | instid1(VALU_DEP_1)
	v_dual_sub_f32 v71, v80, v64 :: v_dual_mul_f32 v68, v67, v66
	v_add_f32_e32 v31, v31, v71
	s_delay_alu instid0(VALU_DEP_2) | instskip(NEXT) | instid1(VALU_DEP_1)
	v_fma_f32 v67, v66, v67, -v68
	v_fmac_f32_e32 v67, v66, v65
	s_delay_alu instid0(VALU_DEP_1) | instskip(NEXT) | instid1(VALU_DEP_1)
	v_add_f32_e32 v65, v68, v67
	v_sub_f32_e32 v70, v64, v65
	v_sub_f32_e32 v68, v65, v68
	s_delay_alu instid0(VALU_DEP_2) | instskip(NEXT) | instid1(VALU_DEP_1)
	v_sub_f32_e32 v64, v64, v70
	v_sub_f32_e32 v64, v64, v65
	s_delay_alu instid0(VALU_DEP_3) | instskip(NEXT) | instid1(VALU_DEP_2)
	v_sub_f32_e32 v65, v68, v67
	v_dual_add_f32 v31, v31, v64 :: v_dual_add_f32 v64, v69, v66
	s_delay_alu instid0(VALU_DEP_1) | instskip(NEXT) | instid1(VALU_DEP_2)
	v_add_f32_e32 v31, v65, v31
	v_sub_f32_e32 v65, v64, v69
	s_delay_alu instid0(VALU_DEP_2) | instskip(NEXT) | instid1(VALU_DEP_2)
	v_add_f32_e32 v31, v70, v31
	v_sub_f32_e32 v65, v66, v65
	s_delay_alu instid0(VALU_DEP_2) | instskip(NEXT) | instid1(VALU_DEP_1)
	v_mul_f32_e32 v31, v55, v31
	v_add_f32_e32 v31, v65, v31
	s_delay_alu instid0(VALU_DEP_1) | instskip(NEXT) | instid1(VALU_DEP_1)
	v_add_f32_e32 v55, v64, v31
	v_mul_f32_e32 v65, v55, v55
	s_delay_alu instid0(VALU_DEP_1) | instskip(SKIP_2) | instid1(VALU_DEP_3)
	v_fmaak_f32 v66, s14, v65, 0x3ecc95a3
	v_mul_f32_e32 v67, v55, v65
	v_cmp_eq_f32_e64 s14, 0x7f800000, v54
	v_fmaak_f32 v65, v65, v66, 0x3f2aaada
	v_ldexp_f32 v66, v55, 1
	v_sub_f32_e32 v55, v55, v64
	s_delay_alu instid0(VALU_DEP_4) | instskip(NEXT) | instid1(VALU_DEP_3)
	s_or_b32 s14, s14, s16
	v_mul_f32_e32 v65, v67, v65
	v_mul_f32_e32 v67, 0x3f317218, v30
	s_delay_alu instid0(VALU_DEP_2) | instskip(NEXT) | instid1(VALU_DEP_1)
	v_dual_sub_f32 v31, v31, v55 :: v_dual_add_f32 v64, v66, v65
	v_ldexp_f32 v31, v31, 1
	s_delay_alu instid0(VALU_DEP_2) | instskip(NEXT) | instid1(VALU_DEP_4)
	v_sub_f32_e32 v55, v64, v66
	v_fma_f32 v66, 0x3f317218, v30, -v67
	s_delay_alu instid0(VALU_DEP_1) | instskip(NEXT) | instid1(VALU_DEP_1)
	v_dual_sub_f32 v55, v65, v55 :: v_dual_fmamk_f32 v30, v30, 0xb102e308, v66
	v_add_f32_e32 v31, v31, v55
	s_delay_alu instid0(VALU_DEP_2) | instskip(NEXT) | instid1(VALU_DEP_2)
	v_add_f32_e32 v55, v67, v30
	v_add_f32_e32 v65, v64, v31
	s_delay_alu instid0(VALU_DEP_2) | instskip(NEXT) | instid1(VALU_DEP_2)
	v_sub_f32_e32 v67, v55, v67
	v_add_f32_e32 v66, v55, v65
	v_sub_f32_e32 v64, v65, v64
	s_delay_alu instid0(VALU_DEP_3) | instskip(NEXT) | instid1(VALU_DEP_2)
	v_sub_f32_e32 v30, v30, v67
	v_dual_sub_f32 v68, v66, v55 :: v_dual_sub_f32 v31, v31, v64
	s_delay_alu instid0(VALU_DEP_1) | instskip(NEXT) | instid1(VALU_DEP_2)
	v_sub_f32_e32 v69, v66, v68
	v_dual_sub_f32 v64, v65, v68 :: v_dual_add_f32 v65, v30, v31
	s_delay_alu instid0(VALU_DEP_2) | instskip(NEXT) | instid1(VALU_DEP_1)
	v_sub_f32_e32 v55, v55, v69
	v_dual_add_f32 v55, v64, v55 :: v_dual_sub_f32 v64, v65, v30
	s_delay_alu instid0(VALU_DEP_1) | instskip(NEXT) | instid1(VALU_DEP_2)
	v_add_f32_e32 v55, v65, v55
	v_sub_f32_e32 v65, v65, v64
	v_sub_f32_e32 v31, v31, v64
	s_delay_alu instid0(VALU_DEP_3) | instskip(NEXT) | instid1(VALU_DEP_3)
	v_add_f32_e32 v67, v66, v55
	v_sub_f32_e32 v30, v30, v65
	s_delay_alu instid0(VALU_DEP_2) | instskip(NEXT) | instid1(VALU_DEP_2)
	v_sub_f32_e32 v64, v67, v66
	v_add_f32_e32 v30, v31, v30
	s_delay_alu instid0(VALU_DEP_2) | instskip(NEXT) | instid1(VALU_DEP_1)
	v_sub_f32_e32 v31, v55, v64
	v_add_f32_e32 v30, v30, v31
	s_delay_alu instid0(VALU_DEP_1) | instskip(NEXT) | instid1(VALU_DEP_1)
	v_add_f32_e32 v30, v67, v30
	v_cndmask_b32_e64 v30, v30, v54, s14
	s_delay_alu instid0(VALU_DEP_1) | instskip(NEXT) | instid1(VALU_DEP_1)
	v_add_f32_e32 v22, v22, v30
	v_cvt_f16_f32_e32 v31, v22
	s_delay_alu instid0(VALU_DEP_1)
	v_mov_b32_e32 v30, v31
	v_cvt_f32_f16_e32 v64, v31
.LBB390_268:
	s_or_b32 exec_lo, exec_lo, s15
	v_cvt_f32_f16_e32 v22, v50
	s_delay_alu instid0(VALU_DEP_2) | instskip(SKIP_1) | instid1(VALU_DEP_2)
	v_max_f32_e32 v54, v64, v64
	v_cmp_u_f16_e64 s14, v31, v31
	v_min_f32_e32 v55, v54, v22
	v_max_f32_e32 v54, v54, v22
	s_delay_alu instid0(VALU_DEP_2) | instskip(NEXT) | instid1(VALU_DEP_2)
	v_cndmask_b32_e64 v55, v55, v64, s14
	v_cndmask_b32_e64 v65, v54, v64, s14
	v_cmp_u_f16_e64 s14, v50, v50
	s_delay_alu instid0(VALU_DEP_1) | instskip(NEXT) | instid1(VALU_DEP_3)
	v_cndmask_b32_e64 v54, v55, v22, s14
	v_cndmask_b32_e64 v50, v65, v22, s14
	s_delay_alu instid0(VALU_DEP_2) | instskip(NEXT) | instid1(VALU_DEP_2)
	v_cmp_class_f32_e64 s16, v54, 0x1f8
	v_cmp_neq_f32_e64 s15, v54, v50
	s_delay_alu instid0(VALU_DEP_1) | instskip(NEXT) | instid1(SALU_CYCLE_1)
	s_or_b32 s15, s15, s16
	s_and_saveexec_b32 s16, s15
	s_cbranch_execz .LBB390_270
; %bb.269:
	v_sub_f32_e32 v30, v54, v50
	s_delay_alu instid0(VALU_DEP_1) | instskip(NEXT) | instid1(VALU_DEP_1)
	v_mul_f32_e32 v31, 0x3fb8aa3b, v30
	v_fma_f32 v54, 0x3fb8aa3b, v30, -v31
	v_rndne_f32_e32 v55, v31
	s_delay_alu instid0(VALU_DEP_1) | instskip(SKIP_1) | instid1(VALU_DEP_2)
	v_dual_sub_f32 v31, v31, v55 :: v_dual_fmamk_f32 v54, v30, 0x32a5705f, v54
	v_cmp_ngt_f32_e64 s15, 0xc2ce8ed0, v30
	v_add_f32_e32 v31, v31, v54
	v_cvt_i32_f32_e32 v54, v55
	s_delay_alu instid0(VALU_DEP_2) | instskip(SKIP_2) | instid1(VALU_DEP_1)
	v_exp_f32_e32 v31, v31
	s_waitcnt_depctr 0xfff
	v_ldexp_f32 v31, v31, v54
	v_cndmask_b32_e64 v31, 0, v31, s15
	v_cmp_nlt_f32_e64 s15, 0x42b17218, v30
	s_delay_alu instid0(VALU_DEP_1) | instskip(NEXT) | instid1(VALU_DEP_1)
	v_cndmask_b32_e64 v54, 0x7f800000, v31, s15
	v_add_f32_e32 v55, 1.0, v54
	v_cmp_gt_f32_e64 s17, 0x33800000, |v54|
	s_delay_alu instid0(VALU_DEP_2) | instskip(NEXT) | instid1(VALU_DEP_1)
	v_cvt_f64_f32_e32 v[30:31], v55
	v_frexp_exp_i32_f64_e32 v30, v[30:31]
	v_frexp_mant_f32_e32 v31, v55
	s_delay_alu instid0(VALU_DEP_1) | instskip(SKIP_1) | instid1(VALU_DEP_1)
	v_cmp_gt_f32_e64 s15, 0x3f2aaaab, v31
	v_add_f32_e32 v31, -1.0, v55
	v_sub_f32_e32 v65, v31, v55
	v_sub_f32_e32 v31, v54, v31
	s_delay_alu instid0(VALU_DEP_4) | instskip(SKIP_1) | instid1(VALU_DEP_1)
	v_subrev_co_ci_u32_e64 v30, s15, 0, v30, s15
	s_mov_b32 s15, 0x3e9b6dac
	v_sub_nc_u32_e32 v64, 0, v30
	v_cvt_f32_i32_e32 v30, v30
	s_delay_alu instid0(VALU_DEP_2) | instskip(NEXT) | instid1(VALU_DEP_1)
	v_ldexp_f32 v55, v55, v64
	v_dual_add_f32 v66, 1.0, v55 :: v_dual_add_f32 v65, 1.0, v65
	s_delay_alu instid0(VALU_DEP_1) | instskip(NEXT) | instid1(VALU_DEP_2)
	v_add_f32_e32 v31, v31, v65
	v_add_f32_e32 v65, -1.0, v66
	s_delay_alu instid0(VALU_DEP_2) | instskip(NEXT) | instid1(VALU_DEP_2)
	v_ldexp_f32 v31, v31, v64
	v_dual_add_f32 v64, -1.0, v55 :: v_dual_sub_f32 v65, v55, v65
	s_delay_alu instid0(VALU_DEP_1) | instskip(NEXT) | instid1(VALU_DEP_2)
	v_add_f32_e32 v67, 1.0, v64
	v_add_f32_e32 v65, v31, v65
	s_delay_alu instid0(VALU_DEP_2) | instskip(NEXT) | instid1(VALU_DEP_2)
	v_sub_f32_e32 v55, v55, v67
	v_add_f32_e32 v67, v66, v65
	s_delay_alu instid0(VALU_DEP_2) | instskip(NEXT) | instid1(VALU_DEP_2)
	v_add_f32_e32 v31, v31, v55
	v_rcp_f32_e32 v55, v67
	v_sub_f32_e32 v66, v66, v67
	s_delay_alu instid0(VALU_DEP_1) | instskip(NEXT) | instid1(VALU_DEP_1)
	v_dual_add_f32 v68, v64, v31 :: v_dual_add_f32 v65, v65, v66
	v_sub_f32_e32 v64, v64, v68
	s_waitcnt_depctr 0xfff
	v_mul_f32_e32 v69, v68, v55
	v_add_f32_e32 v31, v31, v64
	s_delay_alu instid0(VALU_DEP_2) | instskip(NEXT) | instid1(VALU_DEP_1)
	v_mul_f32_e32 v70, v67, v69
	v_fma_f32 v66, v69, v67, -v70
	s_delay_alu instid0(VALU_DEP_1) | instskip(NEXT) | instid1(VALU_DEP_1)
	v_fmac_f32_e32 v66, v69, v65
	v_add_f32_e32 v71, v70, v66
	s_delay_alu instid0(VALU_DEP_1) | instskip(SKIP_1) | instid1(VALU_DEP_2)
	v_sub_f32_e32 v80, v68, v71
	v_sub_f32_e32 v64, v71, v70
	;; [unrolled: 1-line block ×3, first 2 shown]
	s_delay_alu instid0(VALU_DEP_2) | instskip(NEXT) | instid1(VALU_DEP_2)
	v_sub_f32_e32 v64, v64, v66
	v_sub_f32_e32 v68, v68, v71
	s_delay_alu instid0(VALU_DEP_1) | instskip(NEXT) | instid1(VALU_DEP_1)
	v_add_f32_e32 v31, v31, v68
	v_add_f32_e32 v31, v64, v31
	s_delay_alu instid0(VALU_DEP_1) | instskip(NEXT) | instid1(VALU_DEP_1)
	v_add_f32_e32 v64, v80, v31
	v_mul_f32_e32 v66, v55, v64
	s_delay_alu instid0(VALU_DEP_1) | instskip(NEXT) | instid1(VALU_DEP_1)
	v_dual_sub_f32 v71, v80, v64 :: v_dual_mul_f32 v68, v67, v66
	v_add_f32_e32 v31, v31, v71
	s_delay_alu instid0(VALU_DEP_2) | instskip(NEXT) | instid1(VALU_DEP_1)
	v_fma_f32 v67, v66, v67, -v68
	v_fmac_f32_e32 v67, v66, v65
	s_delay_alu instid0(VALU_DEP_1) | instskip(NEXT) | instid1(VALU_DEP_1)
	v_add_f32_e32 v65, v68, v67
	v_sub_f32_e32 v70, v64, v65
	v_sub_f32_e32 v68, v65, v68
	s_delay_alu instid0(VALU_DEP_2) | instskip(NEXT) | instid1(VALU_DEP_1)
	v_sub_f32_e32 v64, v64, v70
	v_sub_f32_e32 v64, v64, v65
	s_delay_alu instid0(VALU_DEP_3) | instskip(NEXT) | instid1(VALU_DEP_2)
	v_sub_f32_e32 v65, v68, v67
	v_dual_add_f32 v31, v31, v64 :: v_dual_add_f32 v64, v69, v66
	s_delay_alu instid0(VALU_DEP_1) | instskip(NEXT) | instid1(VALU_DEP_2)
	v_add_f32_e32 v31, v65, v31
	v_sub_f32_e32 v65, v64, v69
	s_delay_alu instid0(VALU_DEP_2) | instskip(NEXT) | instid1(VALU_DEP_2)
	v_add_f32_e32 v31, v70, v31
	v_sub_f32_e32 v65, v66, v65
	s_delay_alu instid0(VALU_DEP_2) | instskip(NEXT) | instid1(VALU_DEP_1)
	v_mul_f32_e32 v31, v55, v31
	v_add_f32_e32 v31, v65, v31
	s_delay_alu instid0(VALU_DEP_1) | instskip(NEXT) | instid1(VALU_DEP_1)
	v_add_f32_e32 v55, v64, v31
	v_mul_f32_e32 v65, v55, v55
	s_delay_alu instid0(VALU_DEP_1) | instskip(SKIP_2) | instid1(VALU_DEP_3)
	v_fmaak_f32 v66, s15, v65, 0x3ecc95a3
	v_mul_f32_e32 v67, v55, v65
	v_cmp_eq_f32_e64 s15, 0x7f800000, v54
	v_fmaak_f32 v65, v65, v66, 0x3f2aaada
	v_ldexp_f32 v66, v55, 1
	v_sub_f32_e32 v55, v55, v64
	s_delay_alu instid0(VALU_DEP_4) | instskip(NEXT) | instid1(VALU_DEP_3)
	s_or_b32 s15, s15, s17
	v_mul_f32_e32 v65, v67, v65
	v_mul_f32_e32 v67, 0x3f317218, v30
	s_delay_alu instid0(VALU_DEP_2) | instskip(NEXT) | instid1(VALU_DEP_1)
	v_dual_sub_f32 v31, v31, v55 :: v_dual_add_f32 v64, v66, v65
	v_ldexp_f32 v31, v31, 1
	s_delay_alu instid0(VALU_DEP_2) | instskip(NEXT) | instid1(VALU_DEP_4)
	v_sub_f32_e32 v55, v64, v66
	v_fma_f32 v66, 0x3f317218, v30, -v67
	s_delay_alu instid0(VALU_DEP_1) | instskip(NEXT) | instid1(VALU_DEP_1)
	v_dual_sub_f32 v55, v65, v55 :: v_dual_fmamk_f32 v30, v30, 0xb102e308, v66
	v_add_f32_e32 v31, v31, v55
	s_delay_alu instid0(VALU_DEP_2) | instskip(NEXT) | instid1(VALU_DEP_2)
	v_add_f32_e32 v55, v67, v30
	v_add_f32_e32 v65, v64, v31
	s_delay_alu instid0(VALU_DEP_2) | instskip(NEXT) | instid1(VALU_DEP_2)
	v_sub_f32_e32 v67, v55, v67
	v_add_f32_e32 v66, v55, v65
	v_sub_f32_e32 v64, v65, v64
	s_delay_alu instid0(VALU_DEP_3) | instskip(NEXT) | instid1(VALU_DEP_2)
	v_sub_f32_e32 v30, v30, v67
	v_dual_sub_f32 v68, v66, v55 :: v_dual_sub_f32 v31, v31, v64
	s_delay_alu instid0(VALU_DEP_1) | instskip(NEXT) | instid1(VALU_DEP_2)
	v_sub_f32_e32 v69, v66, v68
	v_dual_sub_f32 v64, v65, v68 :: v_dual_add_f32 v65, v30, v31
	s_delay_alu instid0(VALU_DEP_2) | instskip(NEXT) | instid1(VALU_DEP_1)
	v_sub_f32_e32 v55, v55, v69
	v_dual_add_f32 v55, v64, v55 :: v_dual_sub_f32 v64, v65, v30
	s_delay_alu instid0(VALU_DEP_1) | instskip(NEXT) | instid1(VALU_DEP_2)
	v_add_f32_e32 v55, v65, v55
	v_sub_f32_e32 v65, v65, v64
	v_sub_f32_e32 v31, v31, v64
	s_delay_alu instid0(VALU_DEP_3) | instskip(NEXT) | instid1(VALU_DEP_3)
	v_add_f32_e32 v67, v66, v55
	v_sub_f32_e32 v30, v30, v65
	s_delay_alu instid0(VALU_DEP_2) | instskip(NEXT) | instid1(VALU_DEP_2)
	v_sub_f32_e32 v64, v67, v66
	v_add_f32_e32 v30, v31, v30
	s_delay_alu instid0(VALU_DEP_2) | instskip(NEXT) | instid1(VALU_DEP_1)
	v_sub_f32_e32 v31, v55, v64
	v_add_f32_e32 v30, v30, v31
	s_delay_alu instid0(VALU_DEP_1) | instskip(NEXT) | instid1(VALU_DEP_1)
	v_add_f32_e32 v30, v67, v30
	v_cndmask_b32_e64 v30, v30, v54, s15
	s_delay_alu instid0(VALU_DEP_1) | instskip(NEXT) | instid1(VALU_DEP_1)
	v_add_f32_e32 v30, v50, v30
	v_cvt_f16_f32_e32 v31, v30
	s_delay_alu instid0(VALU_DEP_1)
	v_mov_b32_e32 v30, v31
	v_cvt_f32_f16_e32 v64, v31
.LBB390_270:
	s_or_b32 exec_lo, exec_lo, s16
	v_cvt_f32_f16_e32 v50, v23
	s_delay_alu instid0(VALU_DEP_2) | instskip(SKIP_1) | instid1(VALU_DEP_2)
	v_max_f32_e32 v54, v64, v64
	v_cmp_u_f16_e64 s15, v31, v31
	v_min_f32_e32 v55, v54, v50
	v_max_f32_e32 v54, v54, v50
	s_delay_alu instid0(VALU_DEP_2) | instskip(NEXT) | instid1(VALU_DEP_2)
	v_cndmask_b32_e64 v55, v55, v64, s15
	v_cndmask_b32_e64 v65, v54, v64, s15
	v_cmp_u_f16_e64 s15, v23, v23
	s_delay_alu instid0(VALU_DEP_1) | instskip(NEXT) | instid1(VALU_DEP_3)
	v_cndmask_b32_e64 v54, v55, v50, s15
	v_cndmask_b32_e64 v23, v65, v50, s15
	s_delay_alu instid0(VALU_DEP_2) | instskip(NEXT) | instid1(VALU_DEP_2)
	v_cmp_class_f32_e64 s17, v54, 0x1f8
	v_cmp_neq_f32_e64 s16, v54, v23
	s_delay_alu instid0(VALU_DEP_1) | instskip(NEXT) | instid1(SALU_CYCLE_1)
	s_or_b32 s16, s16, s17
	s_and_saveexec_b32 s17, s16
	s_cbranch_execz .LBB390_272
; %bb.271:
	v_sub_f32_e32 v30, v54, v23
	s_delay_alu instid0(VALU_DEP_1) | instskip(NEXT) | instid1(VALU_DEP_1)
	v_mul_f32_e32 v31, 0x3fb8aa3b, v30
	v_fma_f32 v54, 0x3fb8aa3b, v30, -v31
	v_rndne_f32_e32 v55, v31
	s_delay_alu instid0(VALU_DEP_1) | instskip(NEXT) | instid1(VALU_DEP_1)
	v_dual_fmamk_f32 v54, v30, 0x32a5705f, v54 :: v_dual_sub_f32 v31, v31, v55
	v_add_f32_e32 v31, v31, v54
	v_cvt_i32_f32_e32 v54, v55
	v_cmp_ngt_f32_e64 s16, 0xc2ce8ed0, v30
	s_delay_alu instid0(VALU_DEP_3) | instskip(SKIP_2) | instid1(VALU_DEP_1)
	v_exp_f32_e32 v31, v31
	s_waitcnt_depctr 0xfff
	v_ldexp_f32 v31, v31, v54
	v_cndmask_b32_e64 v31, 0, v31, s16
	v_cmp_nlt_f32_e64 s16, 0x42b17218, v30
	s_delay_alu instid0(VALU_DEP_1) | instskip(NEXT) | instid1(VALU_DEP_1)
	v_cndmask_b32_e64 v54, 0x7f800000, v31, s16
	v_add_f32_e32 v55, 1.0, v54
	v_cmp_gt_f32_e64 s18, 0x33800000, |v54|
	s_delay_alu instid0(VALU_DEP_2) | instskip(NEXT) | instid1(VALU_DEP_1)
	v_cvt_f64_f32_e32 v[30:31], v55
	v_frexp_exp_i32_f64_e32 v30, v[30:31]
	v_frexp_mant_f32_e32 v31, v55
	s_delay_alu instid0(VALU_DEP_1) | instskip(SKIP_1) | instid1(VALU_DEP_1)
	v_cmp_gt_f32_e64 s16, 0x3f2aaaab, v31
	v_add_f32_e32 v31, -1.0, v55
	v_sub_f32_e32 v65, v31, v55
	v_sub_f32_e32 v31, v54, v31
	s_delay_alu instid0(VALU_DEP_4) | instskip(SKIP_1) | instid1(VALU_DEP_1)
	v_subrev_co_ci_u32_e64 v30, s16, 0, v30, s16
	s_mov_b32 s16, 0x3e9b6dac
	v_sub_nc_u32_e32 v64, 0, v30
	v_cvt_f32_i32_e32 v30, v30
	s_delay_alu instid0(VALU_DEP_2) | instskip(NEXT) | instid1(VALU_DEP_1)
	v_ldexp_f32 v55, v55, v64
	v_dual_add_f32 v65, 1.0, v65 :: v_dual_add_f32 v66, 1.0, v55
	s_delay_alu instid0(VALU_DEP_1) | instskip(NEXT) | instid1(VALU_DEP_2)
	v_add_f32_e32 v31, v31, v65
	v_add_f32_e32 v65, -1.0, v66
	s_delay_alu instid0(VALU_DEP_2) | instskip(NEXT) | instid1(VALU_DEP_2)
	v_ldexp_f32 v31, v31, v64
	v_dual_add_f32 v64, -1.0, v55 :: v_dual_sub_f32 v65, v55, v65
	s_delay_alu instid0(VALU_DEP_1) | instskip(NEXT) | instid1(VALU_DEP_2)
	v_add_f32_e32 v67, 1.0, v64
	v_add_f32_e32 v65, v31, v65
	s_delay_alu instid0(VALU_DEP_2) | instskip(NEXT) | instid1(VALU_DEP_2)
	v_sub_f32_e32 v55, v55, v67
	v_add_f32_e32 v67, v66, v65
	s_delay_alu instid0(VALU_DEP_2) | instskip(NEXT) | instid1(VALU_DEP_2)
	v_add_f32_e32 v31, v31, v55
	v_rcp_f32_e32 v55, v67
	v_sub_f32_e32 v66, v66, v67
	s_delay_alu instid0(VALU_DEP_1) | instskip(NEXT) | instid1(VALU_DEP_1)
	v_dual_add_f32 v68, v64, v31 :: v_dual_add_f32 v65, v65, v66
	v_sub_f32_e32 v64, v64, v68
	s_waitcnt_depctr 0xfff
	v_mul_f32_e32 v69, v68, v55
	v_add_f32_e32 v31, v31, v64
	s_delay_alu instid0(VALU_DEP_2) | instskip(NEXT) | instid1(VALU_DEP_1)
	v_mul_f32_e32 v70, v67, v69
	v_fma_f32 v66, v69, v67, -v70
	s_delay_alu instid0(VALU_DEP_1) | instskip(NEXT) | instid1(VALU_DEP_1)
	v_fmac_f32_e32 v66, v69, v65
	v_add_f32_e32 v71, v70, v66
	s_delay_alu instid0(VALU_DEP_1) | instskip(SKIP_1) | instid1(VALU_DEP_2)
	v_sub_f32_e32 v80, v68, v71
	v_sub_f32_e32 v64, v71, v70
	;; [unrolled: 1-line block ×3, first 2 shown]
	s_delay_alu instid0(VALU_DEP_2) | instskip(NEXT) | instid1(VALU_DEP_2)
	v_sub_f32_e32 v64, v64, v66
	v_sub_f32_e32 v68, v68, v71
	s_delay_alu instid0(VALU_DEP_1) | instskip(NEXT) | instid1(VALU_DEP_1)
	v_add_f32_e32 v31, v31, v68
	v_add_f32_e32 v31, v64, v31
	s_delay_alu instid0(VALU_DEP_1) | instskip(NEXT) | instid1(VALU_DEP_1)
	v_add_f32_e32 v64, v80, v31
	v_mul_f32_e32 v66, v55, v64
	s_delay_alu instid0(VALU_DEP_1) | instskip(NEXT) | instid1(VALU_DEP_1)
	v_dual_sub_f32 v71, v80, v64 :: v_dual_mul_f32 v68, v67, v66
	v_add_f32_e32 v31, v31, v71
	s_delay_alu instid0(VALU_DEP_2) | instskip(NEXT) | instid1(VALU_DEP_1)
	v_fma_f32 v67, v66, v67, -v68
	v_fmac_f32_e32 v67, v66, v65
	s_delay_alu instid0(VALU_DEP_1) | instskip(NEXT) | instid1(VALU_DEP_1)
	v_add_f32_e32 v65, v68, v67
	v_sub_f32_e32 v70, v64, v65
	v_sub_f32_e32 v68, v65, v68
	s_delay_alu instid0(VALU_DEP_2) | instskip(NEXT) | instid1(VALU_DEP_1)
	v_sub_f32_e32 v64, v64, v70
	v_sub_f32_e32 v64, v64, v65
	s_delay_alu instid0(VALU_DEP_1) | instskip(NEXT) | instid1(VALU_DEP_4)
	v_dual_add_f32 v31, v31, v64 :: v_dual_add_f32 v64, v69, v66
	v_sub_f32_e32 v65, v68, v67
	s_delay_alu instid0(VALU_DEP_1) | instskip(NEXT) | instid1(VALU_DEP_3)
	v_add_f32_e32 v31, v65, v31
	v_sub_f32_e32 v65, v64, v69
	s_delay_alu instid0(VALU_DEP_2) | instskip(NEXT) | instid1(VALU_DEP_2)
	v_add_f32_e32 v31, v70, v31
	v_sub_f32_e32 v65, v66, v65
	s_delay_alu instid0(VALU_DEP_2) | instskip(NEXT) | instid1(VALU_DEP_1)
	v_mul_f32_e32 v31, v55, v31
	v_add_f32_e32 v31, v65, v31
	s_delay_alu instid0(VALU_DEP_1) | instskip(NEXT) | instid1(VALU_DEP_1)
	v_add_f32_e32 v55, v64, v31
	v_mul_f32_e32 v65, v55, v55
	s_delay_alu instid0(VALU_DEP_1) | instskip(SKIP_2) | instid1(VALU_DEP_3)
	v_fmaak_f32 v66, s16, v65, 0x3ecc95a3
	v_mul_f32_e32 v67, v55, v65
	v_cmp_eq_f32_e64 s16, 0x7f800000, v54
	v_fmaak_f32 v65, v65, v66, 0x3f2aaada
	v_ldexp_f32 v66, v55, 1
	v_sub_f32_e32 v55, v55, v64
	s_delay_alu instid0(VALU_DEP_4) | instskip(NEXT) | instid1(VALU_DEP_3)
	s_or_b32 s16, s16, s18
	v_mul_f32_e32 v65, v67, v65
	v_mul_f32_e32 v67, 0x3f317218, v30
	s_delay_alu instid0(VALU_DEP_2) | instskip(NEXT) | instid1(VALU_DEP_1)
	v_dual_sub_f32 v31, v31, v55 :: v_dual_add_f32 v64, v66, v65
	v_ldexp_f32 v31, v31, 1
	s_delay_alu instid0(VALU_DEP_2) | instskip(NEXT) | instid1(VALU_DEP_4)
	v_sub_f32_e32 v55, v64, v66
	v_fma_f32 v66, 0x3f317218, v30, -v67
	s_delay_alu instid0(VALU_DEP_1) | instskip(NEXT) | instid1(VALU_DEP_1)
	v_dual_sub_f32 v55, v65, v55 :: v_dual_fmamk_f32 v30, v30, 0xb102e308, v66
	v_add_f32_e32 v31, v31, v55
	s_delay_alu instid0(VALU_DEP_2) | instskip(NEXT) | instid1(VALU_DEP_2)
	v_add_f32_e32 v55, v67, v30
	v_add_f32_e32 v65, v64, v31
	s_delay_alu instid0(VALU_DEP_2) | instskip(NEXT) | instid1(VALU_DEP_2)
	v_sub_f32_e32 v67, v55, v67
	v_add_f32_e32 v66, v55, v65
	v_sub_f32_e32 v64, v65, v64
	s_delay_alu instid0(VALU_DEP_3) | instskip(NEXT) | instid1(VALU_DEP_2)
	v_sub_f32_e32 v30, v30, v67
	v_dual_sub_f32 v68, v66, v55 :: v_dual_sub_f32 v31, v31, v64
	s_delay_alu instid0(VALU_DEP_1) | instskip(NEXT) | instid1(VALU_DEP_2)
	v_sub_f32_e32 v69, v66, v68
	v_dual_sub_f32 v64, v65, v68 :: v_dual_add_f32 v65, v30, v31
	s_delay_alu instid0(VALU_DEP_2) | instskip(NEXT) | instid1(VALU_DEP_1)
	v_sub_f32_e32 v55, v55, v69
	v_dual_add_f32 v55, v64, v55 :: v_dual_sub_f32 v64, v65, v30
	s_delay_alu instid0(VALU_DEP_1) | instskip(NEXT) | instid1(VALU_DEP_2)
	v_add_f32_e32 v55, v65, v55
	v_sub_f32_e32 v65, v65, v64
	v_sub_f32_e32 v31, v31, v64
	s_delay_alu instid0(VALU_DEP_3) | instskip(NEXT) | instid1(VALU_DEP_3)
	v_add_f32_e32 v67, v66, v55
	v_sub_f32_e32 v30, v30, v65
	s_delay_alu instid0(VALU_DEP_2) | instskip(NEXT) | instid1(VALU_DEP_2)
	v_sub_f32_e32 v64, v67, v66
	v_add_f32_e32 v30, v31, v30
	s_delay_alu instid0(VALU_DEP_2) | instskip(NEXT) | instid1(VALU_DEP_1)
	v_sub_f32_e32 v31, v55, v64
	v_add_f32_e32 v30, v30, v31
	s_delay_alu instid0(VALU_DEP_1) | instskip(NEXT) | instid1(VALU_DEP_1)
	v_add_f32_e32 v30, v67, v30
	v_cndmask_b32_e64 v30, v30, v54, s16
	s_delay_alu instid0(VALU_DEP_1) | instskip(NEXT) | instid1(VALU_DEP_1)
	v_add_f32_e32 v23, v23, v30
	v_cvt_f16_f32_e32 v31, v23
	s_delay_alu instid0(VALU_DEP_1)
	v_mov_b32_e32 v30, v31
	v_cvt_f32_f16_e32 v64, v31
.LBB390_272:
	s_or_b32 exec_lo, exec_lo, s17
	v_cvt_f32_f16_e32 v23, v49
	s_delay_alu instid0(VALU_DEP_2) | instskip(SKIP_1) | instid1(VALU_DEP_2)
	v_max_f32_e32 v54, v64, v64
	v_cmp_u_f16_e64 s16, v31, v31
	v_min_f32_e32 v55, v54, v23
	v_max_f32_e32 v54, v54, v23
	s_delay_alu instid0(VALU_DEP_2) | instskip(NEXT) | instid1(VALU_DEP_2)
	v_cndmask_b32_e64 v55, v55, v64, s16
	v_cndmask_b32_e64 v65, v54, v64, s16
	v_cmp_u_f16_e64 s16, v49, v49
	s_delay_alu instid0(VALU_DEP_1) | instskip(NEXT) | instid1(VALU_DEP_3)
	v_cndmask_b32_e64 v54, v55, v23, s16
	v_cndmask_b32_e64 v49, v65, v23, s16
	s_delay_alu instid0(VALU_DEP_2) | instskip(NEXT) | instid1(VALU_DEP_2)
	v_cmp_class_f32_e64 s18, v54, 0x1f8
	v_cmp_neq_f32_e64 s17, v54, v49
	s_delay_alu instid0(VALU_DEP_1) | instskip(NEXT) | instid1(SALU_CYCLE_1)
	s_or_b32 s17, s17, s18
	s_and_saveexec_b32 s18, s17
	s_cbranch_execz .LBB390_274
; %bb.273:
	v_sub_f32_e32 v30, v54, v49
	s_delay_alu instid0(VALU_DEP_1) | instskip(NEXT) | instid1(VALU_DEP_1)
	v_mul_f32_e32 v31, 0x3fb8aa3b, v30
	v_fma_f32 v54, 0x3fb8aa3b, v30, -v31
	v_rndne_f32_e32 v55, v31
	s_delay_alu instid0(VALU_DEP_1) | instskip(SKIP_1) | instid1(VALU_DEP_2)
	v_dual_sub_f32 v31, v31, v55 :: v_dual_fmamk_f32 v54, v30, 0x32a5705f, v54
	v_cmp_ngt_f32_e64 s17, 0xc2ce8ed0, v30
	v_add_f32_e32 v31, v31, v54
	v_cvt_i32_f32_e32 v54, v55
	s_delay_alu instid0(VALU_DEP_2) | instskip(SKIP_2) | instid1(VALU_DEP_1)
	v_exp_f32_e32 v31, v31
	s_waitcnt_depctr 0xfff
	v_ldexp_f32 v31, v31, v54
	v_cndmask_b32_e64 v31, 0, v31, s17
	v_cmp_nlt_f32_e64 s17, 0x42b17218, v30
	s_delay_alu instid0(VALU_DEP_1) | instskip(NEXT) | instid1(VALU_DEP_1)
	v_cndmask_b32_e64 v54, 0x7f800000, v31, s17
	v_add_f32_e32 v55, 1.0, v54
	v_cmp_gt_f32_e64 s19, 0x33800000, |v54|
	s_delay_alu instid0(VALU_DEP_2) | instskip(NEXT) | instid1(VALU_DEP_1)
	v_cvt_f64_f32_e32 v[30:31], v55
	v_frexp_exp_i32_f64_e32 v30, v[30:31]
	v_frexp_mant_f32_e32 v31, v55
	s_delay_alu instid0(VALU_DEP_1) | instskip(SKIP_1) | instid1(VALU_DEP_1)
	v_cmp_gt_f32_e64 s17, 0x3f2aaaab, v31
	v_add_f32_e32 v31, -1.0, v55
	v_sub_f32_e32 v65, v31, v55
	v_sub_f32_e32 v31, v54, v31
	s_delay_alu instid0(VALU_DEP_4) | instskip(SKIP_1) | instid1(VALU_DEP_1)
	v_subrev_co_ci_u32_e64 v30, s17, 0, v30, s17
	s_mov_b32 s17, 0x3e9b6dac
	v_sub_nc_u32_e32 v64, 0, v30
	v_cvt_f32_i32_e32 v30, v30
	s_delay_alu instid0(VALU_DEP_2) | instskip(NEXT) | instid1(VALU_DEP_1)
	v_ldexp_f32 v55, v55, v64
	v_dual_add_f32 v66, 1.0, v55 :: v_dual_add_f32 v65, 1.0, v65
	s_delay_alu instid0(VALU_DEP_1) | instskip(NEXT) | instid1(VALU_DEP_2)
	v_add_f32_e32 v31, v31, v65
	v_add_f32_e32 v65, -1.0, v66
	s_delay_alu instid0(VALU_DEP_2) | instskip(NEXT) | instid1(VALU_DEP_2)
	v_ldexp_f32 v31, v31, v64
	v_dual_add_f32 v64, -1.0, v55 :: v_dual_sub_f32 v65, v55, v65
	s_delay_alu instid0(VALU_DEP_1) | instskip(NEXT) | instid1(VALU_DEP_2)
	v_add_f32_e32 v67, 1.0, v64
	v_add_f32_e32 v65, v31, v65
	s_delay_alu instid0(VALU_DEP_2) | instskip(NEXT) | instid1(VALU_DEP_2)
	v_sub_f32_e32 v55, v55, v67
	v_add_f32_e32 v67, v66, v65
	s_delay_alu instid0(VALU_DEP_2) | instskip(NEXT) | instid1(VALU_DEP_2)
	v_add_f32_e32 v31, v31, v55
	v_rcp_f32_e32 v55, v67
	v_sub_f32_e32 v66, v66, v67
	s_delay_alu instid0(VALU_DEP_1) | instskip(NEXT) | instid1(VALU_DEP_1)
	v_dual_add_f32 v68, v64, v31 :: v_dual_add_f32 v65, v65, v66
	v_sub_f32_e32 v64, v64, v68
	s_waitcnt_depctr 0xfff
	v_mul_f32_e32 v69, v68, v55
	v_add_f32_e32 v31, v31, v64
	s_delay_alu instid0(VALU_DEP_2) | instskip(NEXT) | instid1(VALU_DEP_1)
	v_mul_f32_e32 v70, v67, v69
	v_fma_f32 v66, v69, v67, -v70
	s_delay_alu instid0(VALU_DEP_1) | instskip(NEXT) | instid1(VALU_DEP_1)
	v_fmac_f32_e32 v66, v69, v65
	v_add_f32_e32 v71, v70, v66
	s_delay_alu instid0(VALU_DEP_1) | instskip(SKIP_1) | instid1(VALU_DEP_2)
	v_sub_f32_e32 v80, v68, v71
	v_sub_f32_e32 v64, v71, v70
	;; [unrolled: 1-line block ×3, first 2 shown]
	s_delay_alu instid0(VALU_DEP_2) | instskip(NEXT) | instid1(VALU_DEP_2)
	v_sub_f32_e32 v64, v64, v66
	v_sub_f32_e32 v68, v68, v71
	s_delay_alu instid0(VALU_DEP_1) | instskip(NEXT) | instid1(VALU_DEP_1)
	v_add_f32_e32 v31, v31, v68
	v_add_f32_e32 v31, v64, v31
	s_delay_alu instid0(VALU_DEP_1) | instskip(NEXT) | instid1(VALU_DEP_1)
	v_add_f32_e32 v64, v80, v31
	v_mul_f32_e32 v66, v55, v64
	s_delay_alu instid0(VALU_DEP_1) | instskip(NEXT) | instid1(VALU_DEP_1)
	v_dual_sub_f32 v71, v80, v64 :: v_dual_mul_f32 v68, v67, v66
	v_add_f32_e32 v31, v31, v71
	s_delay_alu instid0(VALU_DEP_2) | instskip(NEXT) | instid1(VALU_DEP_1)
	v_fma_f32 v67, v66, v67, -v68
	v_fmac_f32_e32 v67, v66, v65
	s_delay_alu instid0(VALU_DEP_1) | instskip(NEXT) | instid1(VALU_DEP_1)
	v_add_f32_e32 v65, v68, v67
	v_sub_f32_e32 v70, v64, v65
	v_sub_f32_e32 v68, v65, v68
	s_delay_alu instid0(VALU_DEP_2) | instskip(NEXT) | instid1(VALU_DEP_1)
	v_sub_f32_e32 v64, v64, v70
	v_sub_f32_e32 v64, v64, v65
	s_delay_alu instid0(VALU_DEP_3) | instskip(NEXT) | instid1(VALU_DEP_2)
	v_sub_f32_e32 v65, v68, v67
	v_dual_add_f32 v31, v31, v64 :: v_dual_add_f32 v64, v69, v66
	s_delay_alu instid0(VALU_DEP_1) | instskip(NEXT) | instid1(VALU_DEP_2)
	v_add_f32_e32 v31, v65, v31
	v_sub_f32_e32 v65, v64, v69
	s_delay_alu instid0(VALU_DEP_2) | instskip(NEXT) | instid1(VALU_DEP_2)
	v_add_f32_e32 v31, v70, v31
	v_sub_f32_e32 v65, v66, v65
	s_delay_alu instid0(VALU_DEP_2) | instskip(NEXT) | instid1(VALU_DEP_1)
	v_mul_f32_e32 v31, v55, v31
	v_add_f32_e32 v31, v65, v31
	s_delay_alu instid0(VALU_DEP_1) | instskip(NEXT) | instid1(VALU_DEP_1)
	v_add_f32_e32 v55, v64, v31
	v_mul_f32_e32 v65, v55, v55
	s_delay_alu instid0(VALU_DEP_1) | instskip(SKIP_2) | instid1(VALU_DEP_3)
	v_fmaak_f32 v66, s17, v65, 0x3ecc95a3
	v_mul_f32_e32 v67, v55, v65
	v_cmp_eq_f32_e64 s17, 0x7f800000, v54
	v_fmaak_f32 v65, v65, v66, 0x3f2aaada
	v_ldexp_f32 v66, v55, 1
	v_sub_f32_e32 v55, v55, v64
	s_delay_alu instid0(VALU_DEP_4) | instskip(NEXT) | instid1(VALU_DEP_3)
	s_or_b32 s17, s17, s19
	v_mul_f32_e32 v65, v67, v65
	v_mul_f32_e32 v67, 0x3f317218, v30
	s_delay_alu instid0(VALU_DEP_2) | instskip(NEXT) | instid1(VALU_DEP_1)
	v_dual_sub_f32 v31, v31, v55 :: v_dual_add_f32 v64, v66, v65
	v_ldexp_f32 v31, v31, 1
	s_delay_alu instid0(VALU_DEP_2) | instskip(NEXT) | instid1(VALU_DEP_4)
	v_sub_f32_e32 v55, v64, v66
	v_fma_f32 v66, 0x3f317218, v30, -v67
	s_delay_alu instid0(VALU_DEP_1) | instskip(NEXT) | instid1(VALU_DEP_1)
	v_dual_sub_f32 v55, v65, v55 :: v_dual_fmamk_f32 v30, v30, 0xb102e308, v66
	v_add_f32_e32 v31, v31, v55
	s_delay_alu instid0(VALU_DEP_2) | instskip(NEXT) | instid1(VALU_DEP_2)
	v_add_f32_e32 v55, v67, v30
	v_add_f32_e32 v65, v64, v31
	s_delay_alu instid0(VALU_DEP_2) | instskip(NEXT) | instid1(VALU_DEP_2)
	v_sub_f32_e32 v67, v55, v67
	v_add_f32_e32 v66, v55, v65
	v_sub_f32_e32 v64, v65, v64
	s_delay_alu instid0(VALU_DEP_3) | instskip(NEXT) | instid1(VALU_DEP_2)
	v_sub_f32_e32 v30, v30, v67
	v_dual_sub_f32 v68, v66, v55 :: v_dual_sub_f32 v31, v31, v64
	s_delay_alu instid0(VALU_DEP_1) | instskip(NEXT) | instid1(VALU_DEP_2)
	v_sub_f32_e32 v69, v66, v68
	v_dual_sub_f32 v64, v65, v68 :: v_dual_add_f32 v65, v30, v31
	s_delay_alu instid0(VALU_DEP_2) | instskip(NEXT) | instid1(VALU_DEP_1)
	v_sub_f32_e32 v55, v55, v69
	v_dual_add_f32 v55, v64, v55 :: v_dual_sub_f32 v64, v65, v30
	s_delay_alu instid0(VALU_DEP_1) | instskip(NEXT) | instid1(VALU_DEP_2)
	v_add_f32_e32 v55, v65, v55
	v_sub_f32_e32 v65, v65, v64
	v_sub_f32_e32 v31, v31, v64
	s_delay_alu instid0(VALU_DEP_3) | instskip(NEXT) | instid1(VALU_DEP_3)
	v_add_f32_e32 v67, v66, v55
	v_sub_f32_e32 v30, v30, v65
	s_delay_alu instid0(VALU_DEP_2) | instskip(NEXT) | instid1(VALU_DEP_2)
	v_sub_f32_e32 v64, v67, v66
	v_add_f32_e32 v30, v31, v30
	s_delay_alu instid0(VALU_DEP_2) | instskip(NEXT) | instid1(VALU_DEP_1)
	v_sub_f32_e32 v31, v55, v64
	v_add_f32_e32 v30, v30, v31
	s_delay_alu instid0(VALU_DEP_1) | instskip(NEXT) | instid1(VALU_DEP_1)
	v_add_f32_e32 v30, v67, v30
	v_cndmask_b32_e64 v30, v30, v54, s17
	s_delay_alu instid0(VALU_DEP_1) | instskip(NEXT) | instid1(VALU_DEP_1)
	v_add_f32_e32 v30, v49, v30
	v_cvt_f16_f32_e32 v31, v30
	s_delay_alu instid0(VALU_DEP_1)
	v_mov_b32_e32 v30, v31
	v_cvt_f32_f16_e32 v64, v31
.LBB390_274:
	s_or_b32 exec_lo, exec_lo, s18
	v_cvt_f32_f16_e32 v49, v16
	s_delay_alu instid0(VALU_DEP_2) | instskip(SKIP_1) | instid1(VALU_DEP_2)
	v_max_f32_e32 v54, v64, v64
	v_cmp_u_f16_e64 s17, v31, v31
	v_min_f32_e32 v55, v54, v49
	v_max_f32_e32 v54, v54, v49
	s_delay_alu instid0(VALU_DEP_2) | instskip(NEXT) | instid1(VALU_DEP_2)
	v_cndmask_b32_e64 v55, v55, v64, s17
	v_cndmask_b32_e64 v65, v54, v64, s17
	v_cmp_u_f16_e64 s17, v16, v16
	s_delay_alu instid0(VALU_DEP_1) | instskip(NEXT) | instid1(VALU_DEP_3)
	v_cndmask_b32_e64 v54, v55, v49, s17
	v_cndmask_b32_e64 v16, v65, v49, s17
	s_delay_alu instid0(VALU_DEP_2) | instskip(NEXT) | instid1(VALU_DEP_2)
	v_cmp_class_f32_e64 s19, v54, 0x1f8
	v_cmp_neq_f32_e64 s18, v54, v16
	s_delay_alu instid0(VALU_DEP_1) | instskip(NEXT) | instid1(SALU_CYCLE_1)
	s_or_b32 s18, s18, s19
	s_and_saveexec_b32 s19, s18
	s_cbranch_execz .LBB390_276
; %bb.275:
	v_sub_f32_e32 v30, v54, v16
	s_delay_alu instid0(VALU_DEP_1) | instskip(NEXT) | instid1(VALU_DEP_1)
	v_mul_f32_e32 v31, 0x3fb8aa3b, v30
	v_fma_f32 v54, 0x3fb8aa3b, v30, -v31
	v_rndne_f32_e32 v55, v31
	s_delay_alu instid0(VALU_DEP_1) | instskip(SKIP_1) | instid1(VALU_DEP_2)
	v_dual_sub_f32 v31, v31, v55 :: v_dual_fmamk_f32 v54, v30, 0x32a5705f, v54
	v_cmp_ngt_f32_e64 s18, 0xc2ce8ed0, v30
	v_add_f32_e32 v31, v31, v54
	v_cvt_i32_f32_e32 v54, v55
	s_delay_alu instid0(VALU_DEP_2) | instskip(SKIP_2) | instid1(VALU_DEP_1)
	v_exp_f32_e32 v31, v31
	s_waitcnt_depctr 0xfff
	v_ldexp_f32 v31, v31, v54
	v_cndmask_b32_e64 v31, 0, v31, s18
	v_cmp_nlt_f32_e64 s18, 0x42b17218, v30
	s_delay_alu instid0(VALU_DEP_1) | instskip(NEXT) | instid1(VALU_DEP_1)
	v_cndmask_b32_e64 v54, 0x7f800000, v31, s18
	v_add_f32_e32 v55, 1.0, v54
	v_cmp_gt_f32_e64 s20, 0x33800000, |v54|
	s_delay_alu instid0(VALU_DEP_2) | instskip(NEXT) | instid1(VALU_DEP_1)
	v_cvt_f64_f32_e32 v[30:31], v55
	v_frexp_exp_i32_f64_e32 v30, v[30:31]
	v_frexp_mant_f32_e32 v31, v55
	s_delay_alu instid0(VALU_DEP_1) | instskip(SKIP_1) | instid1(VALU_DEP_1)
	v_cmp_gt_f32_e64 s18, 0x3f2aaaab, v31
	v_add_f32_e32 v31, -1.0, v55
	v_sub_f32_e32 v65, v31, v55
	v_sub_f32_e32 v31, v54, v31
	s_delay_alu instid0(VALU_DEP_4) | instskip(SKIP_1) | instid1(VALU_DEP_1)
	v_subrev_co_ci_u32_e64 v30, s18, 0, v30, s18
	s_mov_b32 s18, 0x3e9b6dac
	v_sub_nc_u32_e32 v64, 0, v30
	v_cvt_f32_i32_e32 v30, v30
	s_delay_alu instid0(VALU_DEP_2) | instskip(NEXT) | instid1(VALU_DEP_1)
	v_ldexp_f32 v55, v55, v64
	v_dual_add_f32 v66, 1.0, v55 :: v_dual_add_f32 v65, 1.0, v65
	s_delay_alu instid0(VALU_DEP_1) | instskip(NEXT) | instid1(VALU_DEP_2)
	v_add_f32_e32 v31, v31, v65
	v_add_f32_e32 v65, -1.0, v66
	s_delay_alu instid0(VALU_DEP_2) | instskip(NEXT) | instid1(VALU_DEP_2)
	v_ldexp_f32 v31, v31, v64
	v_dual_add_f32 v64, -1.0, v55 :: v_dual_sub_f32 v65, v55, v65
	s_delay_alu instid0(VALU_DEP_1) | instskip(NEXT) | instid1(VALU_DEP_2)
	v_add_f32_e32 v67, 1.0, v64
	v_add_f32_e32 v65, v31, v65
	s_delay_alu instid0(VALU_DEP_2) | instskip(NEXT) | instid1(VALU_DEP_2)
	v_sub_f32_e32 v55, v55, v67
	v_add_f32_e32 v67, v66, v65
	s_delay_alu instid0(VALU_DEP_2) | instskip(NEXT) | instid1(VALU_DEP_2)
	v_add_f32_e32 v31, v31, v55
	v_rcp_f32_e32 v55, v67
	v_sub_f32_e32 v66, v66, v67
	s_delay_alu instid0(VALU_DEP_1) | instskip(NEXT) | instid1(VALU_DEP_1)
	v_dual_add_f32 v68, v64, v31 :: v_dual_add_f32 v65, v65, v66
	v_sub_f32_e32 v64, v64, v68
	s_waitcnt_depctr 0xfff
	v_mul_f32_e32 v69, v68, v55
	v_add_f32_e32 v31, v31, v64
	s_delay_alu instid0(VALU_DEP_2) | instskip(NEXT) | instid1(VALU_DEP_1)
	v_mul_f32_e32 v70, v67, v69
	v_fma_f32 v66, v69, v67, -v70
	s_delay_alu instid0(VALU_DEP_1) | instskip(NEXT) | instid1(VALU_DEP_1)
	v_fmac_f32_e32 v66, v69, v65
	v_add_f32_e32 v71, v70, v66
	s_delay_alu instid0(VALU_DEP_1) | instskip(SKIP_1) | instid1(VALU_DEP_2)
	v_sub_f32_e32 v80, v68, v71
	v_sub_f32_e32 v64, v71, v70
	;; [unrolled: 1-line block ×3, first 2 shown]
	s_delay_alu instid0(VALU_DEP_2) | instskip(NEXT) | instid1(VALU_DEP_2)
	v_sub_f32_e32 v64, v64, v66
	v_sub_f32_e32 v68, v68, v71
	s_delay_alu instid0(VALU_DEP_1) | instskip(NEXT) | instid1(VALU_DEP_1)
	v_add_f32_e32 v31, v31, v68
	v_add_f32_e32 v31, v64, v31
	s_delay_alu instid0(VALU_DEP_1) | instskip(NEXT) | instid1(VALU_DEP_1)
	v_add_f32_e32 v64, v80, v31
	v_mul_f32_e32 v66, v55, v64
	s_delay_alu instid0(VALU_DEP_1) | instskip(NEXT) | instid1(VALU_DEP_1)
	v_dual_sub_f32 v71, v80, v64 :: v_dual_mul_f32 v68, v67, v66
	v_add_f32_e32 v31, v31, v71
	s_delay_alu instid0(VALU_DEP_2) | instskip(NEXT) | instid1(VALU_DEP_1)
	v_fma_f32 v67, v66, v67, -v68
	v_fmac_f32_e32 v67, v66, v65
	s_delay_alu instid0(VALU_DEP_1) | instskip(NEXT) | instid1(VALU_DEP_1)
	v_add_f32_e32 v65, v68, v67
	v_sub_f32_e32 v70, v64, v65
	v_sub_f32_e32 v68, v65, v68
	s_delay_alu instid0(VALU_DEP_2) | instskip(NEXT) | instid1(VALU_DEP_1)
	v_sub_f32_e32 v64, v64, v70
	v_sub_f32_e32 v64, v64, v65
	s_delay_alu instid0(VALU_DEP_3) | instskip(NEXT) | instid1(VALU_DEP_2)
	v_sub_f32_e32 v65, v68, v67
	v_dual_add_f32 v31, v31, v64 :: v_dual_add_f32 v64, v69, v66
	s_delay_alu instid0(VALU_DEP_1) | instskip(NEXT) | instid1(VALU_DEP_2)
	v_add_f32_e32 v31, v65, v31
	v_sub_f32_e32 v65, v64, v69
	s_delay_alu instid0(VALU_DEP_2) | instskip(NEXT) | instid1(VALU_DEP_2)
	v_add_f32_e32 v31, v70, v31
	v_sub_f32_e32 v65, v66, v65
	s_delay_alu instid0(VALU_DEP_2) | instskip(NEXT) | instid1(VALU_DEP_1)
	v_mul_f32_e32 v31, v55, v31
	v_add_f32_e32 v31, v65, v31
	s_delay_alu instid0(VALU_DEP_1) | instskip(NEXT) | instid1(VALU_DEP_1)
	v_add_f32_e32 v55, v64, v31
	v_mul_f32_e32 v65, v55, v55
	s_delay_alu instid0(VALU_DEP_1) | instskip(SKIP_2) | instid1(VALU_DEP_3)
	v_fmaak_f32 v66, s18, v65, 0x3ecc95a3
	v_mul_f32_e32 v67, v55, v65
	v_cmp_eq_f32_e64 s18, 0x7f800000, v54
	v_fmaak_f32 v65, v65, v66, 0x3f2aaada
	v_ldexp_f32 v66, v55, 1
	v_sub_f32_e32 v55, v55, v64
	s_delay_alu instid0(VALU_DEP_4) | instskip(NEXT) | instid1(VALU_DEP_3)
	s_or_b32 s18, s18, s20
	v_mul_f32_e32 v65, v67, v65
	v_mul_f32_e32 v67, 0x3f317218, v30
	s_delay_alu instid0(VALU_DEP_2) | instskip(NEXT) | instid1(VALU_DEP_1)
	v_dual_sub_f32 v31, v31, v55 :: v_dual_add_f32 v64, v66, v65
	v_ldexp_f32 v31, v31, 1
	s_delay_alu instid0(VALU_DEP_2) | instskip(NEXT) | instid1(VALU_DEP_4)
	v_sub_f32_e32 v55, v64, v66
	v_fma_f32 v66, 0x3f317218, v30, -v67
	s_delay_alu instid0(VALU_DEP_1) | instskip(NEXT) | instid1(VALU_DEP_1)
	v_dual_sub_f32 v55, v65, v55 :: v_dual_fmamk_f32 v30, v30, 0xb102e308, v66
	v_add_f32_e32 v31, v31, v55
	s_delay_alu instid0(VALU_DEP_2) | instskip(NEXT) | instid1(VALU_DEP_2)
	v_add_f32_e32 v55, v67, v30
	v_add_f32_e32 v65, v64, v31
	s_delay_alu instid0(VALU_DEP_2) | instskip(NEXT) | instid1(VALU_DEP_2)
	v_sub_f32_e32 v67, v55, v67
	v_add_f32_e32 v66, v55, v65
	v_sub_f32_e32 v64, v65, v64
	s_delay_alu instid0(VALU_DEP_3) | instskip(NEXT) | instid1(VALU_DEP_2)
	v_sub_f32_e32 v30, v30, v67
	v_dual_sub_f32 v68, v66, v55 :: v_dual_sub_f32 v31, v31, v64
	s_delay_alu instid0(VALU_DEP_1) | instskip(NEXT) | instid1(VALU_DEP_2)
	v_sub_f32_e32 v69, v66, v68
	v_dual_sub_f32 v64, v65, v68 :: v_dual_add_f32 v65, v30, v31
	s_delay_alu instid0(VALU_DEP_2) | instskip(NEXT) | instid1(VALU_DEP_1)
	v_sub_f32_e32 v55, v55, v69
	v_dual_add_f32 v55, v64, v55 :: v_dual_sub_f32 v64, v65, v30
	s_delay_alu instid0(VALU_DEP_1) | instskip(NEXT) | instid1(VALU_DEP_2)
	v_add_f32_e32 v55, v65, v55
	v_sub_f32_e32 v65, v65, v64
	v_sub_f32_e32 v31, v31, v64
	s_delay_alu instid0(VALU_DEP_3) | instskip(NEXT) | instid1(VALU_DEP_3)
	v_add_f32_e32 v67, v66, v55
	v_sub_f32_e32 v30, v30, v65
	s_delay_alu instid0(VALU_DEP_2) | instskip(NEXT) | instid1(VALU_DEP_2)
	v_sub_f32_e32 v64, v67, v66
	v_add_f32_e32 v30, v31, v30
	s_delay_alu instid0(VALU_DEP_2) | instskip(NEXT) | instid1(VALU_DEP_1)
	v_sub_f32_e32 v31, v55, v64
	v_add_f32_e32 v30, v30, v31
	s_delay_alu instid0(VALU_DEP_1) | instskip(NEXT) | instid1(VALU_DEP_1)
	v_add_f32_e32 v30, v67, v30
	v_cndmask_b32_e64 v30, v30, v54, s18
	s_delay_alu instid0(VALU_DEP_1) | instskip(NEXT) | instid1(VALU_DEP_1)
	v_add_f32_e32 v16, v16, v30
	v_cvt_f16_f32_e32 v31, v16
	s_delay_alu instid0(VALU_DEP_1)
	v_mov_b32_e32 v30, v31
	v_cvt_f32_f16_e32 v64, v31
.LBB390_276:
	s_or_b32 exec_lo, exec_lo, s19
	v_cvt_f32_f16_e32 v16, v48
	s_delay_alu instid0(VALU_DEP_2) | instskip(SKIP_1) | instid1(VALU_DEP_2)
	v_max_f32_e32 v54, v64, v64
	v_cmp_u_f16_e64 s18, v31, v31
	v_min_f32_e32 v55, v54, v16
	v_max_f32_e32 v54, v54, v16
	s_delay_alu instid0(VALU_DEP_2) | instskip(NEXT) | instid1(VALU_DEP_2)
	v_cndmask_b32_e64 v55, v55, v64, s18
	v_cndmask_b32_e64 v65, v54, v64, s18
	v_cmp_u_f16_e64 s18, v48, v48
	s_delay_alu instid0(VALU_DEP_1) | instskip(NEXT) | instid1(VALU_DEP_3)
	v_cndmask_b32_e64 v54, v55, v16, s18
	v_cndmask_b32_e64 v48, v65, v16, s18
	s_delay_alu instid0(VALU_DEP_2) | instskip(NEXT) | instid1(VALU_DEP_2)
	v_cmp_class_f32_e64 s20, v54, 0x1f8
	v_cmp_neq_f32_e64 s19, v54, v48
	s_delay_alu instid0(VALU_DEP_1) | instskip(NEXT) | instid1(SALU_CYCLE_1)
	s_or_b32 s19, s19, s20
	s_and_saveexec_b32 s20, s19
	s_cbranch_execz .LBB390_278
; %bb.277:
	v_sub_f32_e32 v30, v54, v48
	s_delay_alu instid0(VALU_DEP_1) | instskip(NEXT) | instid1(VALU_DEP_1)
	v_mul_f32_e32 v31, 0x3fb8aa3b, v30
	v_fma_f32 v54, 0x3fb8aa3b, v30, -v31
	v_rndne_f32_e32 v55, v31
	s_delay_alu instid0(VALU_DEP_1) | instskip(SKIP_1) | instid1(VALU_DEP_2)
	v_dual_sub_f32 v31, v31, v55 :: v_dual_fmamk_f32 v54, v30, 0x32a5705f, v54
	v_cmp_ngt_f32_e64 s19, 0xc2ce8ed0, v30
	v_add_f32_e32 v31, v31, v54
	v_cvt_i32_f32_e32 v54, v55
	s_delay_alu instid0(VALU_DEP_2) | instskip(SKIP_2) | instid1(VALU_DEP_1)
	v_exp_f32_e32 v31, v31
	s_waitcnt_depctr 0xfff
	v_ldexp_f32 v31, v31, v54
	v_cndmask_b32_e64 v31, 0, v31, s19
	v_cmp_nlt_f32_e64 s19, 0x42b17218, v30
	s_delay_alu instid0(VALU_DEP_1) | instskip(NEXT) | instid1(VALU_DEP_1)
	v_cndmask_b32_e64 v54, 0x7f800000, v31, s19
	v_add_f32_e32 v55, 1.0, v54
	v_cmp_gt_f32_e64 s21, 0x33800000, |v54|
	s_delay_alu instid0(VALU_DEP_2) | instskip(NEXT) | instid1(VALU_DEP_1)
	v_cvt_f64_f32_e32 v[30:31], v55
	v_frexp_exp_i32_f64_e32 v30, v[30:31]
	v_frexp_mant_f32_e32 v31, v55
	s_delay_alu instid0(VALU_DEP_1) | instskip(SKIP_1) | instid1(VALU_DEP_1)
	v_cmp_gt_f32_e64 s19, 0x3f2aaaab, v31
	v_add_f32_e32 v31, -1.0, v55
	v_sub_f32_e32 v65, v31, v55
	v_sub_f32_e32 v31, v54, v31
	s_delay_alu instid0(VALU_DEP_4) | instskip(SKIP_1) | instid1(VALU_DEP_1)
	v_subrev_co_ci_u32_e64 v30, s19, 0, v30, s19
	s_mov_b32 s19, 0x3e9b6dac
	v_sub_nc_u32_e32 v64, 0, v30
	v_cvt_f32_i32_e32 v30, v30
	s_delay_alu instid0(VALU_DEP_2) | instskip(NEXT) | instid1(VALU_DEP_1)
	v_ldexp_f32 v55, v55, v64
	v_dual_add_f32 v66, 1.0, v55 :: v_dual_add_f32 v65, 1.0, v65
	s_delay_alu instid0(VALU_DEP_1) | instskip(NEXT) | instid1(VALU_DEP_2)
	v_add_f32_e32 v31, v31, v65
	v_add_f32_e32 v65, -1.0, v66
	s_delay_alu instid0(VALU_DEP_2) | instskip(NEXT) | instid1(VALU_DEP_2)
	v_ldexp_f32 v31, v31, v64
	v_dual_add_f32 v64, -1.0, v55 :: v_dual_sub_f32 v65, v55, v65
	s_delay_alu instid0(VALU_DEP_1) | instskip(NEXT) | instid1(VALU_DEP_2)
	v_add_f32_e32 v67, 1.0, v64
	v_add_f32_e32 v65, v31, v65
	s_delay_alu instid0(VALU_DEP_2) | instskip(NEXT) | instid1(VALU_DEP_2)
	v_sub_f32_e32 v55, v55, v67
	v_add_f32_e32 v67, v66, v65
	s_delay_alu instid0(VALU_DEP_2) | instskip(NEXT) | instid1(VALU_DEP_2)
	v_add_f32_e32 v31, v31, v55
	v_rcp_f32_e32 v55, v67
	v_sub_f32_e32 v66, v66, v67
	s_delay_alu instid0(VALU_DEP_1) | instskip(NEXT) | instid1(VALU_DEP_1)
	v_dual_add_f32 v68, v64, v31 :: v_dual_add_f32 v65, v65, v66
	v_sub_f32_e32 v64, v64, v68
	s_waitcnt_depctr 0xfff
	v_mul_f32_e32 v69, v68, v55
	v_add_f32_e32 v31, v31, v64
	s_delay_alu instid0(VALU_DEP_2) | instskip(NEXT) | instid1(VALU_DEP_1)
	v_mul_f32_e32 v70, v67, v69
	v_fma_f32 v66, v69, v67, -v70
	s_delay_alu instid0(VALU_DEP_1) | instskip(NEXT) | instid1(VALU_DEP_1)
	v_fmac_f32_e32 v66, v69, v65
	v_add_f32_e32 v71, v70, v66
	s_delay_alu instid0(VALU_DEP_1) | instskip(SKIP_1) | instid1(VALU_DEP_2)
	v_sub_f32_e32 v80, v68, v71
	v_sub_f32_e32 v64, v71, v70
	;; [unrolled: 1-line block ×3, first 2 shown]
	s_delay_alu instid0(VALU_DEP_2) | instskip(NEXT) | instid1(VALU_DEP_2)
	v_sub_f32_e32 v64, v64, v66
	v_sub_f32_e32 v68, v68, v71
	s_delay_alu instid0(VALU_DEP_1) | instskip(NEXT) | instid1(VALU_DEP_1)
	v_add_f32_e32 v31, v31, v68
	v_add_f32_e32 v31, v64, v31
	s_delay_alu instid0(VALU_DEP_1) | instskip(NEXT) | instid1(VALU_DEP_1)
	v_add_f32_e32 v64, v80, v31
	v_mul_f32_e32 v66, v55, v64
	s_delay_alu instid0(VALU_DEP_1) | instskip(NEXT) | instid1(VALU_DEP_1)
	v_dual_sub_f32 v71, v80, v64 :: v_dual_mul_f32 v68, v67, v66
	v_add_f32_e32 v31, v31, v71
	s_delay_alu instid0(VALU_DEP_2) | instskip(NEXT) | instid1(VALU_DEP_1)
	v_fma_f32 v67, v66, v67, -v68
	v_fmac_f32_e32 v67, v66, v65
	s_delay_alu instid0(VALU_DEP_1) | instskip(NEXT) | instid1(VALU_DEP_1)
	v_add_f32_e32 v65, v68, v67
	v_sub_f32_e32 v70, v64, v65
	v_sub_f32_e32 v68, v65, v68
	s_delay_alu instid0(VALU_DEP_2) | instskip(NEXT) | instid1(VALU_DEP_1)
	v_sub_f32_e32 v64, v64, v70
	v_sub_f32_e32 v64, v64, v65
	s_delay_alu instid0(VALU_DEP_3) | instskip(NEXT) | instid1(VALU_DEP_2)
	v_sub_f32_e32 v65, v68, v67
	v_dual_add_f32 v31, v31, v64 :: v_dual_add_f32 v64, v69, v66
	s_delay_alu instid0(VALU_DEP_1) | instskip(NEXT) | instid1(VALU_DEP_2)
	v_add_f32_e32 v31, v65, v31
	v_sub_f32_e32 v65, v64, v69
	s_delay_alu instid0(VALU_DEP_2) | instskip(NEXT) | instid1(VALU_DEP_2)
	v_add_f32_e32 v31, v70, v31
	v_sub_f32_e32 v65, v66, v65
	s_delay_alu instid0(VALU_DEP_2) | instskip(NEXT) | instid1(VALU_DEP_1)
	v_mul_f32_e32 v31, v55, v31
	v_add_f32_e32 v31, v65, v31
	s_delay_alu instid0(VALU_DEP_1) | instskip(NEXT) | instid1(VALU_DEP_1)
	v_add_f32_e32 v55, v64, v31
	v_mul_f32_e32 v65, v55, v55
	s_delay_alu instid0(VALU_DEP_1) | instskip(SKIP_2) | instid1(VALU_DEP_3)
	v_fmaak_f32 v66, s19, v65, 0x3ecc95a3
	v_mul_f32_e32 v67, v55, v65
	v_cmp_eq_f32_e64 s19, 0x7f800000, v54
	v_fmaak_f32 v65, v65, v66, 0x3f2aaada
	v_ldexp_f32 v66, v55, 1
	v_sub_f32_e32 v55, v55, v64
	s_delay_alu instid0(VALU_DEP_4) | instskip(NEXT) | instid1(VALU_DEP_3)
	s_or_b32 s19, s19, s21
	v_mul_f32_e32 v65, v67, v65
	v_mul_f32_e32 v67, 0x3f317218, v30
	s_delay_alu instid0(VALU_DEP_2) | instskip(NEXT) | instid1(VALU_DEP_1)
	v_dual_sub_f32 v31, v31, v55 :: v_dual_add_f32 v64, v66, v65
	v_ldexp_f32 v31, v31, 1
	s_delay_alu instid0(VALU_DEP_2) | instskip(NEXT) | instid1(VALU_DEP_4)
	v_sub_f32_e32 v55, v64, v66
	v_fma_f32 v66, 0x3f317218, v30, -v67
	s_delay_alu instid0(VALU_DEP_1) | instskip(NEXT) | instid1(VALU_DEP_1)
	v_dual_sub_f32 v55, v65, v55 :: v_dual_fmamk_f32 v30, v30, 0xb102e308, v66
	v_add_f32_e32 v31, v31, v55
	s_delay_alu instid0(VALU_DEP_2) | instskip(NEXT) | instid1(VALU_DEP_2)
	v_add_f32_e32 v55, v67, v30
	v_add_f32_e32 v65, v64, v31
	s_delay_alu instid0(VALU_DEP_2) | instskip(NEXT) | instid1(VALU_DEP_2)
	v_sub_f32_e32 v67, v55, v67
	v_add_f32_e32 v66, v55, v65
	v_sub_f32_e32 v64, v65, v64
	s_delay_alu instid0(VALU_DEP_3) | instskip(NEXT) | instid1(VALU_DEP_2)
	v_sub_f32_e32 v30, v30, v67
	v_dual_sub_f32 v68, v66, v55 :: v_dual_sub_f32 v31, v31, v64
	s_delay_alu instid0(VALU_DEP_1) | instskip(NEXT) | instid1(VALU_DEP_2)
	v_sub_f32_e32 v69, v66, v68
	v_dual_sub_f32 v64, v65, v68 :: v_dual_add_f32 v65, v30, v31
	s_delay_alu instid0(VALU_DEP_2) | instskip(NEXT) | instid1(VALU_DEP_1)
	v_sub_f32_e32 v55, v55, v69
	v_dual_add_f32 v55, v64, v55 :: v_dual_sub_f32 v64, v65, v30
	s_delay_alu instid0(VALU_DEP_1) | instskip(NEXT) | instid1(VALU_DEP_2)
	v_add_f32_e32 v55, v65, v55
	v_sub_f32_e32 v65, v65, v64
	v_sub_f32_e32 v31, v31, v64
	s_delay_alu instid0(VALU_DEP_3) | instskip(NEXT) | instid1(VALU_DEP_3)
	v_add_f32_e32 v67, v66, v55
	v_sub_f32_e32 v30, v30, v65
	s_delay_alu instid0(VALU_DEP_2) | instskip(NEXT) | instid1(VALU_DEP_2)
	v_sub_f32_e32 v64, v67, v66
	v_add_f32_e32 v30, v31, v30
	s_delay_alu instid0(VALU_DEP_2) | instskip(NEXT) | instid1(VALU_DEP_1)
	v_sub_f32_e32 v31, v55, v64
	v_add_f32_e32 v30, v30, v31
	s_delay_alu instid0(VALU_DEP_1) | instskip(NEXT) | instid1(VALU_DEP_1)
	v_add_f32_e32 v30, v67, v30
	v_cndmask_b32_e64 v30, v30, v54, s19
	s_delay_alu instid0(VALU_DEP_1) | instskip(NEXT) | instid1(VALU_DEP_1)
	v_add_f32_e32 v30, v48, v30
	v_cvt_f16_f32_e32 v31, v30
	s_delay_alu instid0(VALU_DEP_1)
	v_mov_b32_e32 v30, v31
	v_cvt_f32_f16_e32 v64, v31
.LBB390_278:
	s_or_b32 exec_lo, exec_lo, s20
	v_cvt_f32_f16_e32 v48, v17
	s_delay_alu instid0(VALU_DEP_2) | instskip(SKIP_1) | instid1(VALU_DEP_2)
	v_max_f32_e32 v54, v64, v64
	v_cmp_u_f16_e64 s19, v31, v31
	v_min_f32_e32 v55, v54, v48
	v_max_f32_e32 v54, v54, v48
	s_delay_alu instid0(VALU_DEP_2) | instskip(NEXT) | instid1(VALU_DEP_2)
	v_cndmask_b32_e64 v55, v55, v64, s19
	v_cndmask_b32_e64 v65, v54, v64, s19
	v_cmp_u_f16_e64 s19, v17, v17
	s_delay_alu instid0(VALU_DEP_1) | instskip(NEXT) | instid1(VALU_DEP_3)
	v_cndmask_b32_e64 v54, v55, v48, s19
	v_cndmask_b32_e64 v17, v65, v48, s19
	s_delay_alu instid0(VALU_DEP_2) | instskip(NEXT) | instid1(VALU_DEP_2)
	v_cmp_class_f32_e64 s21, v54, 0x1f8
	v_cmp_neq_f32_e64 s20, v54, v17
	s_delay_alu instid0(VALU_DEP_1) | instskip(NEXT) | instid1(SALU_CYCLE_1)
	s_or_b32 s20, s20, s21
	s_and_saveexec_b32 s21, s20
	s_cbranch_execz .LBB390_280
; %bb.279:
	v_sub_f32_e32 v30, v54, v17
	s_delay_alu instid0(VALU_DEP_1) | instskip(NEXT) | instid1(VALU_DEP_1)
	v_mul_f32_e32 v31, 0x3fb8aa3b, v30
	v_fma_f32 v54, 0x3fb8aa3b, v30, -v31
	v_rndne_f32_e32 v55, v31
	s_delay_alu instid0(VALU_DEP_1) | instskip(SKIP_1) | instid1(VALU_DEP_2)
	v_dual_sub_f32 v31, v31, v55 :: v_dual_fmamk_f32 v54, v30, 0x32a5705f, v54
	v_cmp_ngt_f32_e64 s20, 0xc2ce8ed0, v30
	v_add_f32_e32 v31, v31, v54
	v_cvt_i32_f32_e32 v54, v55
	s_delay_alu instid0(VALU_DEP_2) | instskip(SKIP_2) | instid1(VALU_DEP_1)
	v_exp_f32_e32 v31, v31
	s_waitcnt_depctr 0xfff
	v_ldexp_f32 v31, v31, v54
	v_cndmask_b32_e64 v31, 0, v31, s20
	v_cmp_nlt_f32_e64 s20, 0x42b17218, v30
	s_delay_alu instid0(VALU_DEP_1) | instskip(NEXT) | instid1(VALU_DEP_1)
	v_cndmask_b32_e64 v54, 0x7f800000, v31, s20
	v_add_f32_e32 v55, 1.0, v54
	v_cmp_gt_f32_e64 s22, 0x33800000, |v54|
	s_delay_alu instid0(VALU_DEP_2) | instskip(NEXT) | instid1(VALU_DEP_1)
	v_cvt_f64_f32_e32 v[30:31], v55
	v_frexp_exp_i32_f64_e32 v30, v[30:31]
	v_frexp_mant_f32_e32 v31, v55
	s_delay_alu instid0(VALU_DEP_1) | instskip(SKIP_1) | instid1(VALU_DEP_1)
	v_cmp_gt_f32_e64 s20, 0x3f2aaaab, v31
	v_add_f32_e32 v31, -1.0, v55
	v_sub_f32_e32 v65, v31, v55
	v_sub_f32_e32 v31, v54, v31
	s_delay_alu instid0(VALU_DEP_4) | instskip(SKIP_1) | instid1(VALU_DEP_1)
	v_subrev_co_ci_u32_e64 v30, s20, 0, v30, s20
	s_mov_b32 s20, 0x3e9b6dac
	v_sub_nc_u32_e32 v64, 0, v30
	v_cvt_f32_i32_e32 v30, v30
	s_delay_alu instid0(VALU_DEP_2) | instskip(NEXT) | instid1(VALU_DEP_1)
	v_ldexp_f32 v55, v55, v64
	v_dual_add_f32 v66, 1.0, v55 :: v_dual_add_f32 v65, 1.0, v65
	s_delay_alu instid0(VALU_DEP_1) | instskip(NEXT) | instid1(VALU_DEP_2)
	v_add_f32_e32 v31, v31, v65
	v_add_f32_e32 v65, -1.0, v66
	s_delay_alu instid0(VALU_DEP_2) | instskip(NEXT) | instid1(VALU_DEP_2)
	v_ldexp_f32 v31, v31, v64
	v_dual_add_f32 v64, -1.0, v55 :: v_dual_sub_f32 v65, v55, v65
	s_delay_alu instid0(VALU_DEP_1) | instskip(NEXT) | instid1(VALU_DEP_2)
	v_add_f32_e32 v67, 1.0, v64
	v_add_f32_e32 v65, v31, v65
	s_delay_alu instid0(VALU_DEP_2) | instskip(NEXT) | instid1(VALU_DEP_2)
	v_sub_f32_e32 v55, v55, v67
	v_add_f32_e32 v67, v66, v65
	s_delay_alu instid0(VALU_DEP_2) | instskip(NEXT) | instid1(VALU_DEP_2)
	v_add_f32_e32 v31, v31, v55
	v_rcp_f32_e32 v55, v67
	v_sub_f32_e32 v66, v66, v67
	s_delay_alu instid0(VALU_DEP_1) | instskip(NEXT) | instid1(VALU_DEP_1)
	v_dual_add_f32 v68, v64, v31 :: v_dual_add_f32 v65, v65, v66
	v_sub_f32_e32 v64, v64, v68
	s_waitcnt_depctr 0xfff
	v_mul_f32_e32 v69, v68, v55
	v_add_f32_e32 v31, v31, v64
	s_delay_alu instid0(VALU_DEP_2) | instskip(NEXT) | instid1(VALU_DEP_1)
	v_mul_f32_e32 v70, v67, v69
	v_fma_f32 v66, v69, v67, -v70
	s_delay_alu instid0(VALU_DEP_1) | instskip(NEXT) | instid1(VALU_DEP_1)
	v_fmac_f32_e32 v66, v69, v65
	v_add_f32_e32 v71, v70, v66
	s_delay_alu instid0(VALU_DEP_1) | instskip(SKIP_1) | instid1(VALU_DEP_2)
	v_sub_f32_e32 v80, v68, v71
	v_sub_f32_e32 v64, v71, v70
	;; [unrolled: 1-line block ×3, first 2 shown]
	s_delay_alu instid0(VALU_DEP_2) | instskip(NEXT) | instid1(VALU_DEP_2)
	v_sub_f32_e32 v64, v64, v66
	v_sub_f32_e32 v68, v68, v71
	s_delay_alu instid0(VALU_DEP_1) | instskip(NEXT) | instid1(VALU_DEP_1)
	v_add_f32_e32 v31, v31, v68
	v_add_f32_e32 v31, v64, v31
	s_delay_alu instid0(VALU_DEP_1) | instskip(NEXT) | instid1(VALU_DEP_1)
	v_add_f32_e32 v64, v80, v31
	v_mul_f32_e32 v66, v55, v64
	s_delay_alu instid0(VALU_DEP_1) | instskip(NEXT) | instid1(VALU_DEP_1)
	v_dual_sub_f32 v71, v80, v64 :: v_dual_mul_f32 v68, v67, v66
	v_add_f32_e32 v31, v31, v71
	s_delay_alu instid0(VALU_DEP_2) | instskip(NEXT) | instid1(VALU_DEP_1)
	v_fma_f32 v67, v66, v67, -v68
	v_fmac_f32_e32 v67, v66, v65
	s_delay_alu instid0(VALU_DEP_1) | instskip(NEXT) | instid1(VALU_DEP_1)
	v_add_f32_e32 v65, v68, v67
	v_sub_f32_e32 v70, v64, v65
	v_sub_f32_e32 v68, v65, v68
	s_delay_alu instid0(VALU_DEP_2) | instskip(NEXT) | instid1(VALU_DEP_1)
	v_sub_f32_e32 v64, v64, v70
	v_sub_f32_e32 v64, v64, v65
	s_delay_alu instid0(VALU_DEP_3) | instskip(NEXT) | instid1(VALU_DEP_2)
	v_sub_f32_e32 v65, v68, v67
	v_dual_add_f32 v31, v31, v64 :: v_dual_add_f32 v64, v69, v66
	s_delay_alu instid0(VALU_DEP_1) | instskip(NEXT) | instid1(VALU_DEP_2)
	v_add_f32_e32 v31, v65, v31
	v_sub_f32_e32 v65, v64, v69
	s_delay_alu instid0(VALU_DEP_2) | instskip(NEXT) | instid1(VALU_DEP_2)
	v_add_f32_e32 v31, v70, v31
	v_sub_f32_e32 v65, v66, v65
	s_delay_alu instid0(VALU_DEP_2) | instskip(NEXT) | instid1(VALU_DEP_1)
	v_mul_f32_e32 v31, v55, v31
	v_add_f32_e32 v31, v65, v31
	s_delay_alu instid0(VALU_DEP_1) | instskip(NEXT) | instid1(VALU_DEP_1)
	v_add_f32_e32 v55, v64, v31
	v_mul_f32_e32 v65, v55, v55
	s_delay_alu instid0(VALU_DEP_1) | instskip(SKIP_2) | instid1(VALU_DEP_3)
	v_fmaak_f32 v66, s20, v65, 0x3ecc95a3
	v_mul_f32_e32 v67, v55, v65
	v_cmp_eq_f32_e64 s20, 0x7f800000, v54
	v_fmaak_f32 v65, v65, v66, 0x3f2aaada
	v_ldexp_f32 v66, v55, 1
	v_sub_f32_e32 v55, v55, v64
	s_delay_alu instid0(VALU_DEP_4) | instskip(NEXT) | instid1(VALU_DEP_3)
	s_or_b32 s20, s20, s22
	v_mul_f32_e32 v65, v67, v65
	v_mul_f32_e32 v67, 0x3f317218, v30
	s_delay_alu instid0(VALU_DEP_2) | instskip(NEXT) | instid1(VALU_DEP_1)
	v_dual_sub_f32 v31, v31, v55 :: v_dual_add_f32 v64, v66, v65
	v_ldexp_f32 v31, v31, 1
	s_delay_alu instid0(VALU_DEP_2) | instskip(NEXT) | instid1(VALU_DEP_4)
	v_sub_f32_e32 v55, v64, v66
	v_fma_f32 v66, 0x3f317218, v30, -v67
	s_delay_alu instid0(VALU_DEP_1) | instskip(NEXT) | instid1(VALU_DEP_1)
	v_dual_sub_f32 v55, v65, v55 :: v_dual_fmamk_f32 v30, v30, 0xb102e308, v66
	v_add_f32_e32 v31, v31, v55
	s_delay_alu instid0(VALU_DEP_2) | instskip(NEXT) | instid1(VALU_DEP_2)
	v_add_f32_e32 v55, v67, v30
	v_add_f32_e32 v65, v64, v31
	s_delay_alu instid0(VALU_DEP_2) | instskip(NEXT) | instid1(VALU_DEP_2)
	v_sub_f32_e32 v67, v55, v67
	v_add_f32_e32 v66, v55, v65
	v_sub_f32_e32 v64, v65, v64
	s_delay_alu instid0(VALU_DEP_3) | instskip(NEXT) | instid1(VALU_DEP_2)
	v_sub_f32_e32 v30, v30, v67
	v_dual_sub_f32 v68, v66, v55 :: v_dual_sub_f32 v31, v31, v64
	s_delay_alu instid0(VALU_DEP_1) | instskip(NEXT) | instid1(VALU_DEP_2)
	v_sub_f32_e32 v69, v66, v68
	v_dual_sub_f32 v64, v65, v68 :: v_dual_add_f32 v65, v30, v31
	s_delay_alu instid0(VALU_DEP_2) | instskip(NEXT) | instid1(VALU_DEP_1)
	v_sub_f32_e32 v55, v55, v69
	v_dual_add_f32 v55, v64, v55 :: v_dual_sub_f32 v64, v65, v30
	s_delay_alu instid0(VALU_DEP_1) | instskip(NEXT) | instid1(VALU_DEP_2)
	v_add_f32_e32 v55, v65, v55
	v_sub_f32_e32 v65, v65, v64
	v_sub_f32_e32 v31, v31, v64
	s_delay_alu instid0(VALU_DEP_3) | instskip(NEXT) | instid1(VALU_DEP_3)
	v_add_f32_e32 v67, v66, v55
	v_sub_f32_e32 v30, v30, v65
	s_delay_alu instid0(VALU_DEP_2) | instskip(NEXT) | instid1(VALU_DEP_2)
	v_sub_f32_e32 v64, v67, v66
	v_add_f32_e32 v30, v31, v30
	s_delay_alu instid0(VALU_DEP_2) | instskip(NEXT) | instid1(VALU_DEP_1)
	v_sub_f32_e32 v31, v55, v64
	v_add_f32_e32 v30, v30, v31
	s_delay_alu instid0(VALU_DEP_1) | instskip(NEXT) | instid1(VALU_DEP_1)
	v_add_f32_e32 v30, v67, v30
	v_cndmask_b32_e64 v30, v30, v54, s20
	s_delay_alu instid0(VALU_DEP_1) | instskip(NEXT) | instid1(VALU_DEP_1)
	v_add_f32_e32 v17, v17, v30
	v_cvt_f16_f32_e32 v31, v17
	s_delay_alu instid0(VALU_DEP_1)
	v_mov_b32_e32 v30, v31
	v_cvt_f32_f16_e32 v64, v31
.LBB390_280:
	s_or_b32 exec_lo, exec_lo, s21
	v_cvt_f32_f16_e32 v17, v39
	s_delay_alu instid0(VALU_DEP_2) | instskip(SKIP_1) | instid1(VALU_DEP_2)
	v_max_f32_e32 v54, v64, v64
	v_cmp_u_f16_e64 s20, v31, v31
	v_min_f32_e32 v55, v54, v17
	v_max_f32_e32 v54, v54, v17
	s_delay_alu instid0(VALU_DEP_2) | instskip(NEXT) | instid1(VALU_DEP_2)
	v_cndmask_b32_e64 v55, v55, v64, s20
	v_cndmask_b32_e64 v65, v54, v64, s20
	v_cmp_u_f16_e64 s20, v39, v39
	s_delay_alu instid0(VALU_DEP_1) | instskip(NEXT) | instid1(VALU_DEP_3)
	v_cndmask_b32_e64 v54, v55, v17, s20
	v_cndmask_b32_e64 v39, v65, v17, s20
	s_delay_alu instid0(VALU_DEP_2) | instskip(NEXT) | instid1(VALU_DEP_2)
	v_cmp_class_f32_e64 s22, v54, 0x1f8
	v_cmp_neq_f32_e64 s21, v54, v39
	s_delay_alu instid0(VALU_DEP_1) | instskip(NEXT) | instid1(SALU_CYCLE_1)
	s_or_b32 s21, s21, s22
	s_and_saveexec_b32 s22, s21
	s_cbranch_execz .LBB390_282
; %bb.281:
	v_sub_f32_e32 v30, v54, v39
	s_delay_alu instid0(VALU_DEP_1) | instskip(NEXT) | instid1(VALU_DEP_1)
	v_mul_f32_e32 v31, 0x3fb8aa3b, v30
	v_fma_f32 v54, 0x3fb8aa3b, v30, -v31
	v_rndne_f32_e32 v55, v31
	s_delay_alu instid0(VALU_DEP_1) | instskip(NEXT) | instid1(VALU_DEP_1)
	v_dual_fmamk_f32 v54, v30, 0x32a5705f, v54 :: v_dual_sub_f32 v31, v31, v55
	v_add_f32_e32 v31, v31, v54
	v_cvt_i32_f32_e32 v54, v55
	v_cmp_ngt_f32_e64 s21, 0xc2ce8ed0, v30
	s_delay_alu instid0(VALU_DEP_3) | instskip(SKIP_2) | instid1(VALU_DEP_1)
	v_exp_f32_e32 v31, v31
	s_waitcnt_depctr 0xfff
	v_ldexp_f32 v31, v31, v54
	v_cndmask_b32_e64 v31, 0, v31, s21
	v_cmp_nlt_f32_e64 s21, 0x42b17218, v30
	s_delay_alu instid0(VALU_DEP_1) | instskip(NEXT) | instid1(VALU_DEP_1)
	v_cndmask_b32_e64 v54, 0x7f800000, v31, s21
	v_add_f32_e32 v55, 1.0, v54
	v_cmp_gt_f32_e64 s24, 0x33800000, |v54|
	s_delay_alu instid0(VALU_DEP_2) | instskip(NEXT) | instid1(VALU_DEP_1)
	v_cvt_f64_f32_e32 v[30:31], v55
	v_frexp_exp_i32_f64_e32 v30, v[30:31]
	v_frexp_mant_f32_e32 v31, v55
	s_delay_alu instid0(VALU_DEP_1) | instskip(SKIP_1) | instid1(VALU_DEP_1)
	v_cmp_gt_f32_e64 s21, 0x3f2aaaab, v31
	v_add_f32_e32 v31, -1.0, v55
	v_sub_f32_e32 v65, v31, v55
	v_sub_f32_e32 v31, v54, v31
	s_delay_alu instid0(VALU_DEP_4) | instskip(SKIP_1) | instid1(VALU_DEP_1)
	v_subrev_co_ci_u32_e64 v30, s21, 0, v30, s21
	s_mov_b32 s21, 0x3e9b6dac
	v_sub_nc_u32_e32 v64, 0, v30
	v_cvt_f32_i32_e32 v30, v30
	s_delay_alu instid0(VALU_DEP_2) | instskip(NEXT) | instid1(VALU_DEP_1)
	v_ldexp_f32 v55, v55, v64
	v_dual_add_f32 v65, 1.0, v65 :: v_dual_add_f32 v66, 1.0, v55
	s_delay_alu instid0(VALU_DEP_1) | instskip(NEXT) | instid1(VALU_DEP_2)
	v_add_f32_e32 v31, v31, v65
	v_add_f32_e32 v65, -1.0, v66
	s_delay_alu instid0(VALU_DEP_2) | instskip(NEXT) | instid1(VALU_DEP_2)
	v_ldexp_f32 v31, v31, v64
	v_dual_add_f32 v64, -1.0, v55 :: v_dual_sub_f32 v65, v55, v65
	s_delay_alu instid0(VALU_DEP_1) | instskip(NEXT) | instid1(VALU_DEP_2)
	v_add_f32_e32 v67, 1.0, v64
	v_add_f32_e32 v65, v31, v65
	s_delay_alu instid0(VALU_DEP_2) | instskip(NEXT) | instid1(VALU_DEP_2)
	v_sub_f32_e32 v55, v55, v67
	v_add_f32_e32 v67, v66, v65
	s_delay_alu instid0(VALU_DEP_2) | instskip(NEXT) | instid1(VALU_DEP_2)
	v_add_f32_e32 v31, v31, v55
	v_rcp_f32_e32 v55, v67
	v_sub_f32_e32 v66, v66, v67
	s_delay_alu instid0(VALU_DEP_1) | instskip(NEXT) | instid1(VALU_DEP_1)
	v_dual_add_f32 v68, v64, v31 :: v_dual_add_f32 v65, v65, v66
	v_sub_f32_e32 v64, v64, v68
	s_waitcnt_depctr 0xfff
	v_mul_f32_e32 v69, v68, v55
	v_add_f32_e32 v31, v31, v64
	s_delay_alu instid0(VALU_DEP_2) | instskip(NEXT) | instid1(VALU_DEP_1)
	v_mul_f32_e32 v70, v67, v69
	v_fma_f32 v66, v69, v67, -v70
	s_delay_alu instid0(VALU_DEP_1) | instskip(NEXT) | instid1(VALU_DEP_1)
	v_fmac_f32_e32 v66, v69, v65
	v_add_f32_e32 v71, v70, v66
	s_delay_alu instid0(VALU_DEP_1) | instskip(SKIP_1) | instid1(VALU_DEP_2)
	v_sub_f32_e32 v80, v68, v71
	v_sub_f32_e32 v64, v71, v70
	;; [unrolled: 1-line block ×3, first 2 shown]
	s_delay_alu instid0(VALU_DEP_2) | instskip(NEXT) | instid1(VALU_DEP_2)
	v_sub_f32_e32 v64, v64, v66
	v_sub_f32_e32 v68, v68, v71
	s_delay_alu instid0(VALU_DEP_1) | instskip(NEXT) | instid1(VALU_DEP_1)
	v_add_f32_e32 v31, v31, v68
	v_add_f32_e32 v31, v64, v31
	s_delay_alu instid0(VALU_DEP_1) | instskip(NEXT) | instid1(VALU_DEP_1)
	v_add_f32_e32 v64, v80, v31
	v_mul_f32_e32 v66, v55, v64
	s_delay_alu instid0(VALU_DEP_1) | instskip(NEXT) | instid1(VALU_DEP_1)
	v_dual_sub_f32 v71, v80, v64 :: v_dual_mul_f32 v68, v67, v66
	v_add_f32_e32 v31, v31, v71
	s_delay_alu instid0(VALU_DEP_2) | instskip(NEXT) | instid1(VALU_DEP_1)
	v_fma_f32 v67, v66, v67, -v68
	v_fmac_f32_e32 v67, v66, v65
	s_delay_alu instid0(VALU_DEP_1) | instskip(NEXT) | instid1(VALU_DEP_1)
	v_add_f32_e32 v65, v68, v67
	v_sub_f32_e32 v70, v64, v65
	v_sub_f32_e32 v68, v65, v68
	s_delay_alu instid0(VALU_DEP_2) | instskip(NEXT) | instid1(VALU_DEP_1)
	v_sub_f32_e32 v64, v64, v70
	v_sub_f32_e32 v64, v64, v65
	s_delay_alu instid0(VALU_DEP_1) | instskip(NEXT) | instid1(VALU_DEP_4)
	v_dual_add_f32 v31, v31, v64 :: v_dual_add_f32 v64, v69, v66
	v_sub_f32_e32 v65, v68, v67
	s_delay_alu instid0(VALU_DEP_1) | instskip(NEXT) | instid1(VALU_DEP_3)
	v_add_f32_e32 v31, v65, v31
	v_sub_f32_e32 v65, v64, v69
	s_delay_alu instid0(VALU_DEP_2) | instskip(NEXT) | instid1(VALU_DEP_2)
	v_add_f32_e32 v31, v70, v31
	v_sub_f32_e32 v65, v66, v65
	s_delay_alu instid0(VALU_DEP_2) | instskip(NEXT) | instid1(VALU_DEP_1)
	v_mul_f32_e32 v31, v55, v31
	v_add_f32_e32 v31, v65, v31
	s_delay_alu instid0(VALU_DEP_1) | instskip(NEXT) | instid1(VALU_DEP_1)
	v_add_f32_e32 v55, v64, v31
	v_mul_f32_e32 v65, v55, v55
	s_delay_alu instid0(VALU_DEP_1) | instskip(SKIP_2) | instid1(VALU_DEP_3)
	v_fmaak_f32 v66, s21, v65, 0x3ecc95a3
	v_mul_f32_e32 v67, v55, v65
	v_cmp_eq_f32_e64 s21, 0x7f800000, v54
	v_fmaak_f32 v65, v65, v66, 0x3f2aaada
	v_ldexp_f32 v66, v55, 1
	v_sub_f32_e32 v55, v55, v64
	s_delay_alu instid0(VALU_DEP_4) | instskip(NEXT) | instid1(VALU_DEP_3)
	s_or_b32 s21, s21, s24
	v_mul_f32_e32 v65, v67, v65
	v_mul_f32_e32 v67, 0x3f317218, v30
	s_delay_alu instid0(VALU_DEP_2) | instskip(NEXT) | instid1(VALU_DEP_1)
	v_dual_sub_f32 v31, v31, v55 :: v_dual_add_f32 v64, v66, v65
	v_ldexp_f32 v31, v31, 1
	s_delay_alu instid0(VALU_DEP_2) | instskip(NEXT) | instid1(VALU_DEP_4)
	v_sub_f32_e32 v55, v64, v66
	v_fma_f32 v66, 0x3f317218, v30, -v67
	s_delay_alu instid0(VALU_DEP_1) | instskip(NEXT) | instid1(VALU_DEP_1)
	v_dual_sub_f32 v55, v65, v55 :: v_dual_fmamk_f32 v30, v30, 0xb102e308, v66
	v_add_f32_e32 v31, v31, v55
	s_delay_alu instid0(VALU_DEP_2) | instskip(NEXT) | instid1(VALU_DEP_2)
	v_add_f32_e32 v55, v67, v30
	v_add_f32_e32 v65, v64, v31
	s_delay_alu instid0(VALU_DEP_2) | instskip(NEXT) | instid1(VALU_DEP_2)
	v_sub_f32_e32 v67, v55, v67
	v_add_f32_e32 v66, v55, v65
	v_sub_f32_e32 v64, v65, v64
	s_delay_alu instid0(VALU_DEP_3) | instskip(NEXT) | instid1(VALU_DEP_2)
	v_sub_f32_e32 v30, v30, v67
	v_dual_sub_f32 v68, v66, v55 :: v_dual_sub_f32 v31, v31, v64
	s_delay_alu instid0(VALU_DEP_1) | instskip(NEXT) | instid1(VALU_DEP_2)
	v_sub_f32_e32 v69, v66, v68
	v_dual_sub_f32 v64, v65, v68 :: v_dual_add_f32 v65, v30, v31
	s_delay_alu instid0(VALU_DEP_2) | instskip(NEXT) | instid1(VALU_DEP_1)
	v_sub_f32_e32 v55, v55, v69
	v_dual_add_f32 v55, v64, v55 :: v_dual_sub_f32 v64, v65, v30
	s_delay_alu instid0(VALU_DEP_1) | instskip(NEXT) | instid1(VALU_DEP_2)
	v_add_f32_e32 v55, v65, v55
	v_sub_f32_e32 v65, v65, v64
	v_sub_f32_e32 v31, v31, v64
	s_delay_alu instid0(VALU_DEP_3) | instskip(NEXT) | instid1(VALU_DEP_3)
	v_add_f32_e32 v67, v66, v55
	v_sub_f32_e32 v30, v30, v65
	s_delay_alu instid0(VALU_DEP_2) | instskip(NEXT) | instid1(VALU_DEP_2)
	v_sub_f32_e32 v64, v67, v66
	v_add_f32_e32 v30, v31, v30
	s_delay_alu instid0(VALU_DEP_2) | instskip(NEXT) | instid1(VALU_DEP_1)
	v_sub_f32_e32 v31, v55, v64
	v_add_f32_e32 v30, v30, v31
	s_delay_alu instid0(VALU_DEP_1) | instskip(NEXT) | instid1(VALU_DEP_1)
	v_add_f32_e32 v30, v67, v30
	v_cndmask_b32_e64 v30, v30, v54, s21
	s_delay_alu instid0(VALU_DEP_1) | instskip(NEXT) | instid1(VALU_DEP_1)
	v_add_f32_e32 v30, v39, v30
	v_cvt_f16_f32_e32 v31, v30
	s_delay_alu instid0(VALU_DEP_1)
	v_cvt_f32_f16_e32 v64, v31
	v_mov_b32_e32 v30, v31
.LBB390_282:
	s_or_b32 exec_lo, exec_lo, s22
	v_cvt_f32_f16_e32 v39, v38
	s_delay_alu instid0(VALU_DEP_3) | instskip(SKIP_1) | instid1(VALU_DEP_2)
	v_max_f32_e32 v54, v64, v64
	v_cmp_u_f16_e64 s21, v31, v31
	v_min_f32_e32 v55, v54, v39
	v_max_f32_e32 v54, v54, v39
	s_delay_alu instid0(VALU_DEP_2) | instskip(NEXT) | instid1(VALU_DEP_2)
	v_cndmask_b32_e64 v55, v55, v64, s21
	v_cndmask_b32_e64 v65, v54, v64, s21
	v_cmp_u_f16_e64 s21, v38, v38
	s_delay_alu instid0(VALU_DEP_1) | instskip(NEXT) | instid1(VALU_DEP_3)
	v_cndmask_b32_e64 v54, v55, v39, s21
	v_cndmask_b32_e64 v38, v65, v39, s21
	s_delay_alu instid0(VALU_DEP_2) | instskip(NEXT) | instid1(VALU_DEP_2)
	v_cmp_class_f32_e64 s24, v54, 0x1f8
	v_cmp_neq_f32_e64 s22, v54, v38
	s_delay_alu instid0(VALU_DEP_1) | instskip(NEXT) | instid1(SALU_CYCLE_1)
	s_or_b32 s22, s22, s24
	s_and_saveexec_b32 s24, s22
	s_cbranch_execz .LBB390_284
; %bb.283:
	v_sub_f32_e32 v30, v54, v38
	s_delay_alu instid0(VALU_DEP_1) | instskip(NEXT) | instid1(VALU_DEP_1)
	v_mul_f32_e32 v31, 0x3fb8aa3b, v30
	v_fma_f32 v54, 0x3fb8aa3b, v30, -v31
	v_rndne_f32_e32 v55, v31
	s_delay_alu instid0(VALU_DEP_1) | instskip(SKIP_1) | instid1(VALU_DEP_2)
	v_dual_sub_f32 v31, v31, v55 :: v_dual_fmamk_f32 v54, v30, 0x32a5705f, v54
	v_cmp_ngt_f32_e64 s22, 0xc2ce8ed0, v30
	v_add_f32_e32 v31, v31, v54
	v_cvt_i32_f32_e32 v54, v55
	s_delay_alu instid0(VALU_DEP_2) | instskip(SKIP_2) | instid1(VALU_DEP_1)
	v_exp_f32_e32 v31, v31
	s_waitcnt_depctr 0xfff
	v_ldexp_f32 v31, v31, v54
	v_cndmask_b32_e64 v31, 0, v31, s22
	v_cmp_nlt_f32_e64 s22, 0x42b17218, v30
	s_delay_alu instid0(VALU_DEP_1) | instskip(NEXT) | instid1(VALU_DEP_1)
	v_cndmask_b32_e64 v54, 0x7f800000, v31, s22
	v_add_f32_e32 v55, 1.0, v54
	v_cmp_gt_f32_e64 s25, 0x33800000, |v54|
	s_delay_alu instid0(VALU_DEP_2) | instskip(NEXT) | instid1(VALU_DEP_1)
	v_cvt_f64_f32_e32 v[30:31], v55
	v_frexp_exp_i32_f64_e32 v30, v[30:31]
	v_frexp_mant_f32_e32 v31, v55
	s_delay_alu instid0(VALU_DEP_1) | instskip(SKIP_1) | instid1(VALU_DEP_1)
	v_cmp_gt_f32_e64 s22, 0x3f2aaaab, v31
	v_add_f32_e32 v31, -1.0, v55
	v_sub_f32_e32 v65, v31, v55
	v_sub_f32_e32 v31, v54, v31
	s_delay_alu instid0(VALU_DEP_4) | instskip(SKIP_1) | instid1(VALU_DEP_1)
	v_subrev_co_ci_u32_e64 v30, s22, 0, v30, s22
	s_mov_b32 s22, 0x3e9b6dac
	v_sub_nc_u32_e32 v64, 0, v30
	v_cvt_f32_i32_e32 v30, v30
	s_delay_alu instid0(VALU_DEP_2) | instskip(NEXT) | instid1(VALU_DEP_1)
	v_ldexp_f32 v55, v55, v64
	v_dual_add_f32 v66, 1.0, v55 :: v_dual_add_f32 v65, 1.0, v65
	s_delay_alu instid0(VALU_DEP_1) | instskip(NEXT) | instid1(VALU_DEP_2)
	v_add_f32_e32 v31, v31, v65
	v_add_f32_e32 v65, -1.0, v66
	s_delay_alu instid0(VALU_DEP_2) | instskip(NEXT) | instid1(VALU_DEP_2)
	v_ldexp_f32 v31, v31, v64
	v_dual_add_f32 v64, -1.0, v55 :: v_dual_sub_f32 v65, v55, v65
	s_delay_alu instid0(VALU_DEP_1) | instskip(NEXT) | instid1(VALU_DEP_2)
	v_add_f32_e32 v67, 1.0, v64
	v_add_f32_e32 v65, v31, v65
	s_delay_alu instid0(VALU_DEP_2) | instskip(NEXT) | instid1(VALU_DEP_2)
	v_sub_f32_e32 v55, v55, v67
	v_add_f32_e32 v67, v66, v65
	s_delay_alu instid0(VALU_DEP_2) | instskip(NEXT) | instid1(VALU_DEP_2)
	v_add_f32_e32 v31, v31, v55
	v_rcp_f32_e32 v55, v67
	v_sub_f32_e32 v66, v66, v67
	s_delay_alu instid0(VALU_DEP_1) | instskip(NEXT) | instid1(VALU_DEP_1)
	v_dual_add_f32 v68, v64, v31 :: v_dual_add_f32 v65, v65, v66
	v_sub_f32_e32 v64, v64, v68
	s_waitcnt_depctr 0xfff
	v_mul_f32_e32 v69, v68, v55
	v_add_f32_e32 v31, v31, v64
	s_delay_alu instid0(VALU_DEP_2) | instskip(NEXT) | instid1(VALU_DEP_1)
	v_mul_f32_e32 v70, v67, v69
	v_fma_f32 v66, v69, v67, -v70
	s_delay_alu instid0(VALU_DEP_1) | instskip(NEXT) | instid1(VALU_DEP_1)
	v_fmac_f32_e32 v66, v69, v65
	v_add_f32_e32 v71, v70, v66
	s_delay_alu instid0(VALU_DEP_1) | instskip(SKIP_1) | instid1(VALU_DEP_2)
	v_sub_f32_e32 v80, v68, v71
	v_sub_f32_e32 v64, v71, v70
	;; [unrolled: 1-line block ×3, first 2 shown]
	s_delay_alu instid0(VALU_DEP_2) | instskip(NEXT) | instid1(VALU_DEP_2)
	v_sub_f32_e32 v64, v64, v66
	v_sub_f32_e32 v68, v68, v71
	s_delay_alu instid0(VALU_DEP_1) | instskip(NEXT) | instid1(VALU_DEP_1)
	v_add_f32_e32 v31, v31, v68
	v_add_f32_e32 v31, v64, v31
	s_delay_alu instid0(VALU_DEP_1) | instskip(NEXT) | instid1(VALU_DEP_1)
	v_add_f32_e32 v64, v80, v31
	v_mul_f32_e32 v66, v55, v64
	s_delay_alu instid0(VALU_DEP_1) | instskip(NEXT) | instid1(VALU_DEP_1)
	v_dual_sub_f32 v71, v80, v64 :: v_dual_mul_f32 v68, v67, v66
	v_add_f32_e32 v31, v31, v71
	s_delay_alu instid0(VALU_DEP_2) | instskip(NEXT) | instid1(VALU_DEP_1)
	v_fma_f32 v67, v66, v67, -v68
	v_fmac_f32_e32 v67, v66, v65
	s_delay_alu instid0(VALU_DEP_1) | instskip(NEXT) | instid1(VALU_DEP_1)
	v_add_f32_e32 v65, v68, v67
	v_sub_f32_e32 v70, v64, v65
	v_sub_f32_e32 v68, v65, v68
	s_delay_alu instid0(VALU_DEP_2) | instskip(NEXT) | instid1(VALU_DEP_1)
	v_sub_f32_e32 v64, v64, v70
	v_sub_f32_e32 v64, v64, v65
	s_delay_alu instid0(VALU_DEP_3) | instskip(NEXT) | instid1(VALU_DEP_2)
	v_sub_f32_e32 v65, v68, v67
	v_dual_add_f32 v31, v31, v64 :: v_dual_add_f32 v64, v69, v66
	s_delay_alu instid0(VALU_DEP_1) | instskip(NEXT) | instid1(VALU_DEP_2)
	v_add_f32_e32 v31, v65, v31
	v_sub_f32_e32 v65, v64, v69
	s_delay_alu instid0(VALU_DEP_2) | instskip(NEXT) | instid1(VALU_DEP_2)
	v_add_f32_e32 v31, v70, v31
	v_sub_f32_e32 v65, v66, v65
	s_delay_alu instid0(VALU_DEP_2) | instskip(NEXT) | instid1(VALU_DEP_1)
	v_mul_f32_e32 v31, v55, v31
	v_add_f32_e32 v31, v65, v31
	s_delay_alu instid0(VALU_DEP_1) | instskip(NEXT) | instid1(VALU_DEP_1)
	v_add_f32_e32 v55, v64, v31
	v_mul_f32_e32 v65, v55, v55
	s_delay_alu instid0(VALU_DEP_1) | instskip(SKIP_2) | instid1(VALU_DEP_3)
	v_fmaak_f32 v66, s22, v65, 0x3ecc95a3
	v_mul_f32_e32 v67, v55, v65
	v_cmp_eq_f32_e64 s22, 0x7f800000, v54
	v_fmaak_f32 v65, v65, v66, 0x3f2aaada
	v_ldexp_f32 v66, v55, 1
	v_sub_f32_e32 v55, v55, v64
	s_delay_alu instid0(VALU_DEP_4) | instskip(NEXT) | instid1(VALU_DEP_3)
	s_or_b32 s22, s22, s25
	v_mul_f32_e32 v65, v67, v65
	v_mul_f32_e32 v67, 0x3f317218, v30
	s_delay_alu instid0(VALU_DEP_2) | instskip(NEXT) | instid1(VALU_DEP_1)
	v_dual_sub_f32 v31, v31, v55 :: v_dual_add_f32 v64, v66, v65
	v_ldexp_f32 v31, v31, 1
	s_delay_alu instid0(VALU_DEP_2) | instskip(NEXT) | instid1(VALU_DEP_4)
	v_sub_f32_e32 v55, v64, v66
	v_fma_f32 v66, 0x3f317218, v30, -v67
	s_delay_alu instid0(VALU_DEP_1) | instskip(NEXT) | instid1(VALU_DEP_1)
	v_dual_sub_f32 v55, v65, v55 :: v_dual_fmamk_f32 v30, v30, 0xb102e308, v66
	v_add_f32_e32 v31, v31, v55
	s_delay_alu instid0(VALU_DEP_2) | instskip(NEXT) | instid1(VALU_DEP_2)
	v_add_f32_e32 v55, v67, v30
	v_add_f32_e32 v65, v64, v31
	s_delay_alu instid0(VALU_DEP_2) | instskip(NEXT) | instid1(VALU_DEP_2)
	v_sub_f32_e32 v67, v55, v67
	v_add_f32_e32 v66, v55, v65
	v_sub_f32_e32 v64, v65, v64
	s_delay_alu instid0(VALU_DEP_3) | instskip(NEXT) | instid1(VALU_DEP_2)
	v_sub_f32_e32 v30, v30, v67
	v_dual_sub_f32 v68, v66, v55 :: v_dual_sub_f32 v31, v31, v64
	s_delay_alu instid0(VALU_DEP_1) | instskip(NEXT) | instid1(VALU_DEP_2)
	v_sub_f32_e32 v69, v66, v68
	v_dual_sub_f32 v64, v65, v68 :: v_dual_add_f32 v65, v30, v31
	s_delay_alu instid0(VALU_DEP_2) | instskip(NEXT) | instid1(VALU_DEP_1)
	v_sub_f32_e32 v55, v55, v69
	v_dual_add_f32 v55, v64, v55 :: v_dual_sub_f32 v64, v65, v30
	s_delay_alu instid0(VALU_DEP_1) | instskip(NEXT) | instid1(VALU_DEP_2)
	v_add_f32_e32 v55, v65, v55
	v_sub_f32_e32 v65, v65, v64
	v_sub_f32_e32 v31, v31, v64
	s_delay_alu instid0(VALU_DEP_3) | instskip(NEXT) | instid1(VALU_DEP_3)
	v_add_f32_e32 v67, v66, v55
	v_sub_f32_e32 v30, v30, v65
	s_delay_alu instid0(VALU_DEP_2) | instskip(NEXT) | instid1(VALU_DEP_2)
	v_sub_f32_e32 v64, v67, v66
	v_add_f32_e32 v30, v31, v30
	s_delay_alu instid0(VALU_DEP_2) | instskip(NEXT) | instid1(VALU_DEP_1)
	v_sub_f32_e32 v31, v55, v64
	v_add_f32_e32 v30, v30, v31
	s_delay_alu instid0(VALU_DEP_1) | instskip(NEXT) | instid1(VALU_DEP_1)
	v_add_f32_e32 v30, v67, v30
	v_cndmask_b32_e64 v30, v30, v54, s22
	s_delay_alu instid0(VALU_DEP_1) | instskip(NEXT) | instid1(VALU_DEP_1)
	v_add_f32_e32 v30, v38, v30
	v_cvt_f16_f32_e32 v31, v30
	s_delay_alu instid0(VALU_DEP_1)
	v_mov_b32_e32 v30, v31
	v_cvt_f32_f16_e32 v64, v31
.LBB390_284:
	s_or_b32 exec_lo, exec_lo, s24
	v_cvt_f32_f16_e32 v38, v37
	s_delay_alu instid0(VALU_DEP_2) | instskip(SKIP_1) | instid1(VALU_DEP_2)
	v_max_f32_e32 v54, v64, v64
	v_cmp_u_f16_e64 s22, v31, v31
	v_min_f32_e32 v55, v54, v38
	v_max_f32_e32 v54, v54, v38
	s_delay_alu instid0(VALU_DEP_2) | instskip(NEXT) | instid1(VALU_DEP_2)
	v_cndmask_b32_e64 v31, v55, v64, s22
	v_cndmask_b32_e64 v54, v54, v64, s22
	v_cmp_u_f16_e64 s22, v37, v37
	s_delay_alu instid0(VALU_DEP_1) | instskip(NEXT) | instid1(VALU_DEP_3)
	v_cndmask_b32_e64 v37, v31, v38, s22
	v_cndmask_b32_e64 v31, v54, v38, s22
	s_delay_alu instid0(VALU_DEP_2) | instskip(NEXT) | instid1(VALU_DEP_2)
	v_cmp_class_f32_e64 s25, v37, 0x1f8
	v_cmp_neq_f32_e64 s24, v37, v31
	s_delay_alu instid0(VALU_DEP_1) | instskip(NEXT) | instid1(SALU_CYCLE_1)
	s_or_b32 s24, s24, s25
	s_and_saveexec_b32 s25, s24
	s_cbranch_execz .LBB390_286
; %bb.285:
	v_sub_f32_e32 v30, v37, v31
	s_delay_alu instid0(VALU_DEP_1) | instskip(SKIP_1) | instid1(VALU_DEP_2)
	v_mul_f32_e32 v37, 0x3fb8aa3b, v30
	v_cmp_ngt_f32_e64 s24, 0xc2ce8ed0, v30
	v_fma_f32 v54, 0x3fb8aa3b, v30, -v37
	v_rndne_f32_e32 v55, v37
	s_delay_alu instid0(VALU_DEP_1) | instskip(NEXT) | instid1(VALU_DEP_1)
	v_dual_fmamk_f32 v54, v30, 0x32a5705f, v54 :: v_dual_sub_f32 v37, v37, v55
	v_add_f32_e32 v37, v37, v54
	v_cvt_i32_f32_e32 v54, v55
	s_delay_alu instid0(VALU_DEP_2) | instskip(SKIP_2) | instid1(VALU_DEP_1)
	v_exp_f32_e32 v37, v37
	s_waitcnt_depctr 0xfff
	v_ldexp_f32 v37, v37, v54
	v_cndmask_b32_e64 v37, 0, v37, s24
	v_cmp_nlt_f32_e64 s24, 0x42b17218, v30
	s_delay_alu instid0(VALU_DEP_1) | instskip(NEXT) | instid1(VALU_DEP_1)
	v_cndmask_b32_e64 v30, 0x7f800000, v37, s24
	v_add_f32_e32 v37, 1.0, v30
	v_cmp_gt_f32_e64 s26, 0x33800000, |v30|
	s_delay_alu instid0(VALU_DEP_2) | instskip(NEXT) | instid1(VALU_DEP_1)
	v_cvt_f64_f32_e32 v[54:55], v37
	v_frexp_exp_i32_f64_e32 v54, v[54:55]
	v_frexp_mant_f32_e32 v55, v37
	s_delay_alu instid0(VALU_DEP_1) | instskip(SKIP_1) | instid1(VALU_DEP_1)
	v_cmp_gt_f32_e64 s24, 0x3f2aaaab, v55
	v_add_f32_e32 v55, -1.0, v37
	v_sub_f32_e32 v65, v55, v37
	s_delay_alu instid0(VALU_DEP_1) | instskip(NEXT) | instid1(VALU_DEP_4)
	v_add_f32_e32 v65, 1.0, v65
	v_subrev_co_ci_u32_e64 v54, s24, 0, v54, s24
	s_mov_b32 s24, 0x3e9b6dac
	s_delay_alu instid0(VALU_DEP_1) | instskip(SKIP_1) | instid1(VALU_DEP_2)
	v_sub_nc_u32_e32 v64, 0, v54
	v_cvt_f32_i32_e32 v54, v54
	v_ldexp_f32 v37, v37, v64
	s_delay_alu instid0(VALU_DEP_1) | instskip(NEXT) | instid1(VALU_DEP_1)
	v_dual_sub_f32 v55, v30, v55 :: v_dual_add_f32 v66, 1.0, v37
	v_add_f32_e32 v55, v55, v65
	s_delay_alu instid0(VALU_DEP_2) | instskip(NEXT) | instid1(VALU_DEP_2)
	v_add_f32_e32 v65, -1.0, v66
	v_ldexp_f32 v55, v55, v64
	v_add_f32_e32 v64, -1.0, v37
	s_delay_alu instid0(VALU_DEP_3) | instskip(NEXT) | instid1(VALU_DEP_2)
	v_sub_f32_e32 v65, v37, v65
	v_add_f32_e32 v67, 1.0, v64
	s_delay_alu instid0(VALU_DEP_2) | instskip(NEXT) | instid1(VALU_DEP_2)
	v_add_f32_e32 v65, v55, v65
	v_sub_f32_e32 v37, v37, v67
	s_delay_alu instid0(VALU_DEP_2) | instskip(NEXT) | instid1(VALU_DEP_2)
	v_add_f32_e32 v67, v66, v65
	v_add_f32_e32 v37, v55, v37
	s_delay_alu instid0(VALU_DEP_2) | instskip(SKIP_1) | instid1(VALU_DEP_1)
	v_rcp_f32_e32 v55, v67
	v_sub_f32_e32 v66, v66, v67
	v_dual_add_f32 v68, v64, v37 :: v_dual_add_f32 v65, v65, v66
	s_delay_alu instid0(VALU_DEP_1) | instskip(SKIP_2) | instid1(VALU_DEP_1)
	v_sub_f32_e32 v64, v64, v68
	s_waitcnt_depctr 0xfff
	v_mul_f32_e32 v69, v68, v55
	v_dual_add_f32 v37, v37, v64 :: v_dual_mul_f32 v70, v67, v69
	s_delay_alu instid0(VALU_DEP_1) | instskip(NEXT) | instid1(VALU_DEP_1)
	v_fma_f32 v66, v69, v67, -v70
	v_fmac_f32_e32 v66, v69, v65
	s_delay_alu instid0(VALU_DEP_1) | instskip(NEXT) | instid1(VALU_DEP_1)
	v_add_f32_e32 v71, v70, v66
	v_sub_f32_e32 v80, v68, v71
	v_sub_f32_e32 v64, v71, v70
	s_delay_alu instid0(VALU_DEP_2) | instskip(NEXT) | instid1(VALU_DEP_2)
	v_sub_f32_e32 v68, v68, v80
	v_sub_f32_e32 v64, v64, v66
	s_delay_alu instid0(VALU_DEP_2) | instskip(NEXT) | instid1(VALU_DEP_1)
	v_sub_f32_e32 v68, v68, v71
	v_add_f32_e32 v37, v37, v68
	s_delay_alu instid0(VALU_DEP_1) | instskip(NEXT) | instid1(VALU_DEP_1)
	v_add_f32_e32 v37, v64, v37
	v_add_f32_e32 v64, v80, v37
	s_delay_alu instid0(VALU_DEP_1) | instskip(NEXT) | instid1(VALU_DEP_1)
	v_mul_f32_e32 v66, v55, v64
	v_dual_sub_f32 v71, v80, v64 :: v_dual_mul_f32 v68, v67, v66
	s_delay_alu instid0(VALU_DEP_1) | instskip(NEXT) | instid1(VALU_DEP_1)
	v_fma_f32 v67, v66, v67, -v68
	v_fmac_f32_e32 v67, v66, v65
	s_delay_alu instid0(VALU_DEP_1) | instskip(NEXT) | instid1(VALU_DEP_1)
	v_add_f32_e32 v65, v68, v67
	v_sub_f32_e32 v70, v64, v65
	v_sub_f32_e32 v68, v65, v68
	s_delay_alu instid0(VALU_DEP_2) | instskip(NEXT) | instid1(VALU_DEP_1)
	v_dual_add_f32 v37, v37, v71 :: v_dual_sub_f32 v64, v64, v70
	v_sub_f32_e32 v64, v64, v65
	s_delay_alu instid0(VALU_DEP_1) | instskip(NEXT) | instid1(VALU_DEP_4)
	v_add_f32_e32 v37, v37, v64
	v_dual_add_f32 v64, v69, v66 :: v_dual_sub_f32 v65, v68, v67
	s_delay_alu instid0(VALU_DEP_1) | instskip(NEXT) | instid1(VALU_DEP_2)
	v_add_f32_e32 v37, v65, v37
	v_sub_f32_e32 v65, v64, v69
	s_delay_alu instid0(VALU_DEP_2) | instskip(NEXT) | instid1(VALU_DEP_2)
	v_add_f32_e32 v37, v70, v37
	v_sub_f32_e32 v65, v66, v65
	s_delay_alu instid0(VALU_DEP_2) | instskip(NEXT) | instid1(VALU_DEP_1)
	v_mul_f32_e32 v37, v55, v37
	v_add_f32_e32 v37, v65, v37
	s_delay_alu instid0(VALU_DEP_1) | instskip(NEXT) | instid1(VALU_DEP_1)
	v_add_f32_e32 v55, v64, v37
	v_mul_f32_e32 v65, v55, v55
	s_delay_alu instid0(VALU_DEP_1) | instskip(SKIP_2) | instid1(VALU_DEP_3)
	v_fmaak_f32 v66, s24, v65, 0x3ecc95a3
	v_mul_f32_e32 v67, v55, v65
	v_cmp_eq_f32_e64 s24, 0x7f800000, v30
	v_fmaak_f32 v65, v65, v66, 0x3f2aaada
	v_ldexp_f32 v66, v55, 1
	v_sub_f32_e32 v55, v55, v64
	s_delay_alu instid0(VALU_DEP_4) | instskip(NEXT) | instid1(VALU_DEP_3)
	s_or_b32 s24, s24, s26
	v_mul_f32_e32 v65, v67, v65
	v_mul_f32_e32 v67, 0x3f317218, v54
	s_delay_alu instid0(VALU_DEP_2) | instskip(NEXT) | instid1(VALU_DEP_1)
	v_dual_sub_f32 v37, v37, v55 :: v_dual_add_f32 v64, v66, v65
	v_ldexp_f32 v37, v37, 1
	s_delay_alu instid0(VALU_DEP_2) | instskip(NEXT) | instid1(VALU_DEP_4)
	v_sub_f32_e32 v55, v64, v66
	v_fma_f32 v66, 0x3f317218, v54, -v67
	s_delay_alu instid0(VALU_DEP_1) | instskip(NEXT) | instid1(VALU_DEP_1)
	v_dual_sub_f32 v55, v65, v55 :: v_dual_fmamk_f32 v54, v54, 0xb102e308, v66
	v_add_f32_e32 v37, v37, v55
	s_delay_alu instid0(VALU_DEP_2) | instskip(NEXT) | instid1(VALU_DEP_2)
	v_add_f32_e32 v55, v67, v54
	v_add_f32_e32 v65, v64, v37
	s_delay_alu instid0(VALU_DEP_2) | instskip(NEXT) | instid1(VALU_DEP_2)
	v_sub_f32_e32 v67, v55, v67
	v_add_f32_e32 v66, v55, v65
	v_sub_f32_e32 v64, v65, v64
	s_delay_alu instid0(VALU_DEP_3) | instskip(NEXT) | instid1(VALU_DEP_2)
	v_sub_f32_e32 v54, v54, v67
	v_dual_sub_f32 v68, v66, v55 :: v_dual_sub_f32 v37, v37, v64
	s_delay_alu instid0(VALU_DEP_1) | instskip(NEXT) | instid1(VALU_DEP_2)
	v_sub_f32_e32 v69, v66, v68
	v_dual_sub_f32 v64, v65, v68 :: v_dual_add_f32 v65, v54, v37
	s_delay_alu instid0(VALU_DEP_2) | instskip(NEXT) | instid1(VALU_DEP_1)
	v_sub_f32_e32 v55, v55, v69
	v_dual_add_f32 v55, v64, v55 :: v_dual_sub_f32 v64, v65, v54
	s_delay_alu instid0(VALU_DEP_1) | instskip(NEXT) | instid1(VALU_DEP_2)
	v_add_f32_e32 v55, v65, v55
	v_sub_f32_e32 v65, v65, v64
	v_sub_f32_e32 v37, v37, v64
	s_delay_alu instid0(VALU_DEP_3) | instskip(NEXT) | instid1(VALU_DEP_3)
	v_add_f32_e32 v67, v66, v55
	v_sub_f32_e32 v54, v54, v65
	s_delay_alu instid0(VALU_DEP_2) | instskip(NEXT) | instid1(VALU_DEP_1)
	v_sub_f32_e32 v64, v67, v66
	v_dual_add_f32 v37, v37, v54 :: v_dual_sub_f32 v54, v55, v64
	s_delay_alu instid0(VALU_DEP_1) | instskip(NEXT) | instid1(VALU_DEP_1)
	v_add_f32_e32 v37, v37, v54
	v_add_f32_e32 v37, v67, v37
	s_delay_alu instid0(VALU_DEP_1) | instskip(NEXT) | instid1(VALU_DEP_1)
	v_cndmask_b32_e64 v30, v37, v30, s24
	v_add_f32_e32 v30, v31, v30
	s_delay_alu instid0(VALU_DEP_1)
	v_cvt_f16_f32_e32 v30, v30
.LBB390_286:
	s_or_b32 exec_lo, exec_lo, s25
	v_lshrrev_b32_e32 v31, 5, v21
	s_mov_b32 s26, exec_lo
	s_delay_alu instid0(VALU_DEP_1)
	v_add_lshl_u32 v31, v31, v21, 1
	ds_store_b16 v31, v30
	s_waitcnt lgkmcnt(0)
	s_barrier
	buffer_gl0_inv
	v_cmpx_gt_u32_e32 32, v21
	s_cbranch_execz .LBB390_314
; %bb.287:
	v_lshrrev_b32_e32 v31, 3, v21
	s_delay_alu instid0(VALU_DEP_1) | instskip(NEXT) | instid1(VALU_DEP_1)
	v_and_b32_e32 v31, 0x7e, v31
	v_lshl_or_b32 v31, v21, 2, v31
	ds_load_u16 v64, v31
	ds_load_u16 v54, v31 offset:2
	s_waitcnt lgkmcnt(1)
	v_cvt_f32_f16_e32 v37, v64
	s_waitcnt lgkmcnt(0)
	v_cvt_f32_f16_e32 v65, v54
	v_cmp_u_f16_e64 s24, v64, v64
	v_cmp_u_f16_e64 s25, v54, v54
	s_delay_alu instid0(VALU_DEP_3) | instskip(SKIP_1) | instid1(VALU_DEP_2)
	v_max_f32_e32 v66, v37, v65
	v_min_f32_e32 v55, v37, v65
	v_cndmask_b32_e64 v66, v66, v37, s24
	s_delay_alu instid0(VALU_DEP_2) | instskip(NEXT) | instid1(VALU_DEP_2)
	v_cndmask_b32_e64 v55, v55, v37, s24
	v_cndmask_b32_e64 v54, v66, v65, s25
	s_delay_alu instid0(VALU_DEP_2) | instskip(NEXT) | instid1(VALU_DEP_1)
	v_cndmask_b32_e64 v55, v55, v65, s25
	v_cmp_neq_f32_e64 s25, v55, v54
	v_cmp_class_f32_e64 s27, v55, 0x1f8
	s_delay_alu instid0(VALU_DEP_1) | instskip(NEXT) | instid1(SALU_CYCLE_1)
	s_or_b32 s25, s25, s27
	s_and_saveexec_b32 s27, s25
	s_cbranch_execz .LBB390_289
; %bb.288:
	v_sub_f32_e32 v55, v55, v54
	s_delay_alu instid0(VALU_DEP_1) | instskip(NEXT) | instid1(VALU_DEP_1)
	v_mul_f32_e32 v64, 0x3fb8aa3b, v55
	v_fma_f32 v65, 0x3fb8aa3b, v55, -v64
	v_rndne_f32_e32 v66, v64
	s_delay_alu instid0(VALU_DEP_1) | instskip(NEXT) | instid1(VALU_DEP_1)
	v_dual_fmamk_f32 v65, v55, 0x32a5705f, v65 :: v_dual_sub_f32 v64, v64, v66
	v_add_f32_e32 v64, v64, v65
	v_cvt_i32_f32_e32 v65, v66
	v_cmp_ngt_f32_e64 s25, 0xc2ce8ed0, v55
	s_delay_alu instid0(VALU_DEP_3) | instskip(SKIP_2) | instid1(VALU_DEP_1)
	v_exp_f32_e32 v64, v64
	s_waitcnt_depctr 0xfff
	v_ldexp_f32 v64, v64, v65
	v_cndmask_b32_e64 v64, 0, v64, s25
	v_cmp_nlt_f32_e64 s25, 0x42b17218, v55
	s_delay_alu instid0(VALU_DEP_1) | instskip(NEXT) | instid1(VALU_DEP_1)
	v_cndmask_b32_e64 v55, 0x7f800000, v64, s25
	v_add_f32_e32 v66, 1.0, v55
	v_cmp_gt_f32_e64 s28, 0x33800000, |v55|
	s_delay_alu instid0(VALU_DEP_2) | instskip(NEXT) | instid1(VALU_DEP_1)
	v_cvt_f64_f32_e32 v[64:65], v66
	v_frexp_exp_i32_f64_e32 v64, v[64:65]
	v_frexp_mant_f32_e32 v65, v66
	s_delay_alu instid0(VALU_DEP_1) | instskip(SKIP_1) | instid1(VALU_DEP_1)
	v_cmp_gt_f32_e64 s25, 0x3f2aaaab, v65
	v_add_f32_e32 v65, -1.0, v66
	v_dual_sub_f32 v68, v65, v66 :: v_dual_sub_f32 v65, v55, v65
	s_delay_alu instid0(VALU_DEP_3) | instskip(SKIP_1) | instid1(VALU_DEP_1)
	v_subrev_co_ci_u32_e64 v64, s25, 0, v64, s25
	s_mov_b32 s25, 0x3e9b6dac
	v_sub_nc_u32_e32 v67, 0, v64
	v_cvt_f32_i32_e32 v64, v64
	s_delay_alu instid0(VALU_DEP_2) | instskip(NEXT) | instid1(VALU_DEP_1)
	v_ldexp_f32 v66, v66, v67
	v_dual_add_f32 v68, 1.0, v68 :: v_dual_add_f32 v69, 1.0, v66
	s_delay_alu instid0(VALU_DEP_1) | instskip(NEXT) | instid1(VALU_DEP_1)
	v_dual_add_f32 v65, v65, v68 :: v_dual_add_f32 v68, -1.0, v69
	v_ldexp_f32 v65, v65, v67
	s_delay_alu instid0(VALU_DEP_2) | instskip(NEXT) | instid1(VALU_DEP_1)
	v_dual_add_f32 v67, -1.0, v66 :: v_dual_sub_f32 v68, v66, v68
	v_add_f32_e32 v70, 1.0, v67
	s_delay_alu instid0(VALU_DEP_2) | instskip(NEXT) | instid1(VALU_DEP_2)
	v_add_f32_e32 v68, v65, v68
	v_sub_f32_e32 v66, v66, v70
	s_delay_alu instid0(VALU_DEP_1) | instskip(NEXT) | instid1(VALU_DEP_1)
	v_add_f32_e32 v65, v65, v66
	v_dual_add_f32 v71, v67, v65 :: v_dual_add_f32 v70, v69, v68
	s_delay_alu instid0(VALU_DEP_1) | instskip(NEXT) | instid1(VALU_DEP_2)
	v_sub_f32_e32 v67, v67, v71
	v_rcp_f32_e32 v66, v70
	v_sub_f32_e32 v69, v69, v70
	s_delay_alu instid0(VALU_DEP_1) | instskip(SKIP_2) | instid1(VALU_DEP_1)
	v_dual_add_f32 v65, v65, v67 :: v_dual_add_f32 v68, v68, v69
	s_waitcnt_depctr 0xfff
	v_mul_f32_e32 v80, v71, v66
	v_mul_f32_e32 v81, v70, v80
	s_delay_alu instid0(VALU_DEP_1) | instskip(NEXT) | instid1(VALU_DEP_1)
	v_fma_f32 v69, v80, v70, -v81
	v_fmac_f32_e32 v69, v80, v68
	s_delay_alu instid0(VALU_DEP_1) | instskip(NEXT) | instid1(VALU_DEP_1)
	v_add_f32_e32 v82, v81, v69
	v_sub_f32_e32 v83, v71, v82
	s_delay_alu instid0(VALU_DEP_1) | instskip(SKIP_1) | instid1(VALU_DEP_2)
	v_sub_f32_e32 v71, v71, v83
	v_sub_f32_e32 v67, v82, v81
	;; [unrolled: 1-line block ×3, first 2 shown]
	s_delay_alu instid0(VALU_DEP_2) | instskip(NEXT) | instid1(VALU_DEP_2)
	v_sub_f32_e32 v67, v67, v69
	v_add_f32_e32 v65, v65, v71
	s_delay_alu instid0(VALU_DEP_1) | instskip(NEXT) | instid1(VALU_DEP_1)
	v_add_f32_e32 v65, v67, v65
	v_add_f32_e32 v67, v83, v65
	s_delay_alu instid0(VALU_DEP_1) | instskip(NEXT) | instid1(VALU_DEP_1)
	v_mul_f32_e32 v69, v66, v67
	v_dual_sub_f32 v82, v83, v67 :: v_dual_mul_f32 v71, v70, v69
	s_delay_alu instid0(VALU_DEP_1) | instskip(NEXT) | instid1(VALU_DEP_2)
	v_add_f32_e32 v65, v65, v82
	v_fma_f32 v70, v69, v70, -v71
	s_delay_alu instid0(VALU_DEP_1) | instskip(NEXT) | instid1(VALU_DEP_1)
	v_fmac_f32_e32 v70, v69, v68
	v_add_f32_e32 v68, v71, v70
	s_delay_alu instid0(VALU_DEP_1) | instskip(SKIP_1) | instid1(VALU_DEP_2)
	v_sub_f32_e32 v81, v67, v68
	v_sub_f32_e32 v71, v68, v71
	;; [unrolled: 1-line block ×3, first 2 shown]
	s_delay_alu instid0(VALU_DEP_1) | instskip(NEXT) | instid1(VALU_DEP_1)
	v_sub_f32_e32 v67, v67, v68
	v_dual_sub_f32 v68, v71, v70 :: v_dual_add_f32 v65, v65, v67
	v_add_f32_e32 v67, v80, v69
	s_delay_alu instid0(VALU_DEP_1) | instskip(NEXT) | instid1(VALU_DEP_1)
	v_dual_add_f32 v65, v68, v65 :: v_dual_sub_f32 v68, v67, v80
	v_add_f32_e32 v65, v81, v65
	s_delay_alu instid0(VALU_DEP_1) | instskip(NEXT) | instid1(VALU_DEP_1)
	v_dual_sub_f32 v68, v69, v68 :: v_dual_mul_f32 v65, v66, v65
	v_add_f32_e32 v65, v68, v65
	s_delay_alu instid0(VALU_DEP_1) | instskip(NEXT) | instid1(VALU_DEP_1)
	v_add_f32_e32 v66, v67, v65
	v_mul_f32_e32 v68, v66, v66
	s_delay_alu instid0(VALU_DEP_1) | instskip(SKIP_2) | instid1(VALU_DEP_3)
	v_fmaak_f32 v69, s25, v68, 0x3ecc95a3
	v_mul_f32_e32 v70, v66, v68
	v_cmp_eq_f32_e64 s25, 0x7f800000, v55
	v_fmaak_f32 v68, v68, v69, 0x3f2aaada
	v_ldexp_f32 v69, v66, 1
	v_sub_f32_e32 v66, v66, v67
	s_delay_alu instid0(VALU_DEP_4) | instskip(NEXT) | instid1(VALU_DEP_3)
	s_or_b32 s25, s25, s28
	v_mul_f32_e32 v68, v70, v68
	s_delay_alu instid0(VALU_DEP_2) | instskip(NEXT) | instid1(VALU_DEP_2)
	v_dual_mul_f32 v70, 0x3f317218, v64 :: v_dual_sub_f32 v65, v65, v66
	v_add_f32_e32 v67, v69, v68
	s_delay_alu instid0(VALU_DEP_2) | instskip(NEXT) | instid1(VALU_DEP_2)
	v_ldexp_f32 v65, v65, 1
	v_sub_f32_e32 v66, v67, v69
	s_delay_alu instid0(VALU_DEP_4) | instskip(NEXT) | instid1(VALU_DEP_2)
	v_fma_f32 v69, 0x3f317218, v64, -v70
	v_sub_f32_e32 v66, v68, v66
	s_delay_alu instid0(VALU_DEP_1) | instskip(NEXT) | instid1(VALU_DEP_1)
	v_dual_fmamk_f32 v64, v64, 0xb102e308, v69 :: v_dual_add_f32 v65, v65, v66
	v_add_f32_e32 v66, v70, v64
	s_delay_alu instid0(VALU_DEP_1) | instskip(NEXT) | instid1(VALU_DEP_1)
	v_sub_f32_e32 v70, v66, v70
	v_sub_f32_e32 v64, v64, v70
	s_delay_alu instid0(VALU_DEP_4) | instskip(NEXT) | instid1(VALU_DEP_1)
	v_add_f32_e32 v68, v67, v65
	v_sub_f32_e32 v67, v68, v67
	s_delay_alu instid0(VALU_DEP_1) | instskip(SKIP_1) | instid1(VALU_DEP_1)
	v_sub_f32_e32 v65, v65, v67
	v_add_f32_e32 v69, v66, v68
	v_sub_f32_e32 v71, v69, v66
	s_delay_alu instid0(VALU_DEP_1) | instskip(NEXT) | instid1(VALU_DEP_4)
	v_sub_f32_e32 v67, v68, v71
	v_add_f32_e32 v68, v64, v65
	v_sub_f32_e32 v80, v69, v71
	s_delay_alu instid0(VALU_DEP_1) | instskip(NEXT) | instid1(VALU_DEP_1)
	v_sub_f32_e32 v66, v66, v80
	v_dual_add_f32 v66, v67, v66 :: v_dual_sub_f32 v67, v68, v64
	s_delay_alu instid0(VALU_DEP_1) | instskip(SKIP_1) | instid1(VALU_DEP_2)
	v_dual_add_f32 v66, v68, v66 :: v_dual_sub_f32 v65, v65, v67
	v_sub_f32_e32 v68, v68, v67
	v_add_f32_e32 v70, v69, v66
	s_delay_alu instid0(VALU_DEP_1) | instskip(NEXT) | instid1(VALU_DEP_1)
	v_dual_sub_f32 v64, v64, v68 :: v_dual_sub_f32 v67, v70, v69
	v_dual_add_f32 v64, v65, v64 :: v_dual_sub_f32 v65, v66, v67
	s_delay_alu instid0(VALU_DEP_1) | instskip(NEXT) | instid1(VALU_DEP_1)
	v_add_f32_e32 v64, v64, v65
	v_add_f32_e32 v64, v70, v64
	s_delay_alu instid0(VALU_DEP_1) | instskip(NEXT) | instid1(VALU_DEP_1)
	v_cndmask_b32_e64 v55, v64, v55, s25
	v_add_f32_e32 v54, v54, v55
	s_delay_alu instid0(VALU_DEP_1)
	v_cvt_f16_f32_e32 v64, v54
.LBB390_289:
	s_or_b32 exec_lo, exec_lo, s27
	v_mbcnt_lo_u32_b32 v54, -1, 0
	s_delay_alu instid0(VALU_DEP_2) | instskip(SKIP_1) | instid1(VALU_DEP_2)
	v_and_b32_e32 v65, 0xffff, v64
	s_mov_b32 s27, exec_lo
	v_and_b32_e32 v55, 15, v54
	s_delay_alu instid0(VALU_DEP_2) | instskip(NEXT) | instid1(VALU_DEP_2)
	v_mov_b32_dpp v66, v65 row_shr:1 row_mask:0xf bank_mask:0xf
	v_cmpx_ne_u32_e32 0, v55
	s_cbranch_execz .LBB390_293
; %bb.290:
	s_delay_alu instid0(VALU_DEP_2) | instskip(SKIP_2) | instid1(VALU_DEP_2)
	v_cvt_f32_f16_e32 v65, v66
	v_cvt_f32_f16_e32 v67, v64
	v_cmp_u_f16_e64 s25, v66, v66
	v_min_f32_e32 v68, v65, v67
	v_max_f32_e32 v69, v65, v67
	s_delay_alu instid0(VALU_DEP_2) | instskip(NEXT) | instid1(VALU_DEP_2)
	v_cndmask_b32_e64 v68, v68, v65, s25
	v_cndmask_b32_e64 v69, v69, v65, s25
	v_cmp_u_f16_e64 s25, v64, v64
	s_delay_alu instid0(VALU_DEP_1) | instskip(NEXT) | instid1(VALU_DEP_3)
	v_cndmask_b32_e64 v65, v68, v67, s25
	v_cndmask_b32_e64 v64, v69, v67, s25
	s_delay_alu instid0(VALU_DEP_2) | instskip(NEXT) | instid1(VALU_DEP_2)
	v_cmp_class_f32_e64 s28, v65, 0x1f8
	v_cmp_neq_f32_e64 s25, v65, v64
	s_delay_alu instid0(VALU_DEP_1) | instskip(NEXT) | instid1(SALU_CYCLE_1)
	s_or_b32 s25, s25, s28
	s_and_saveexec_b32 s28, s25
	s_cbranch_execz .LBB390_292
; %bb.291:
	v_sub_f32_e32 v65, v65, v64
	s_delay_alu instid0(VALU_DEP_1) | instskip(NEXT) | instid1(VALU_DEP_1)
	v_mul_f32_e32 v66, 0x3fb8aa3b, v65
	v_fma_f32 v67, 0x3fb8aa3b, v65, -v66
	v_rndne_f32_e32 v68, v66
	s_delay_alu instid0(VALU_DEP_1) | instskip(NEXT) | instid1(VALU_DEP_1)
	v_dual_fmamk_f32 v67, v65, 0x32a5705f, v67 :: v_dual_sub_f32 v66, v66, v68
	v_add_f32_e32 v66, v66, v67
	v_cvt_i32_f32_e32 v67, v68
	v_cmp_ngt_f32_e64 s25, 0xc2ce8ed0, v65
	s_delay_alu instid0(VALU_DEP_3) | instskip(SKIP_2) | instid1(VALU_DEP_1)
	v_exp_f32_e32 v66, v66
	s_waitcnt_depctr 0xfff
	v_ldexp_f32 v66, v66, v67
	v_cndmask_b32_e64 v66, 0, v66, s25
	v_cmp_nlt_f32_e64 s25, 0x42b17218, v65
	s_delay_alu instid0(VALU_DEP_1) | instskip(NEXT) | instid1(VALU_DEP_1)
	v_cndmask_b32_e64 v67, 0x7f800000, v66, s25
	v_add_f32_e32 v68, 1.0, v67
	v_cmp_gt_f32_e64 s29, 0x33800000, |v67|
	s_delay_alu instid0(VALU_DEP_2) | instskip(NEXT) | instid1(VALU_DEP_1)
	v_cvt_f64_f32_e32 v[65:66], v68
	v_frexp_exp_i32_f64_e32 v65, v[65:66]
	v_frexp_mant_f32_e32 v66, v68
	s_delay_alu instid0(VALU_DEP_1) | instskip(SKIP_1) | instid1(VALU_DEP_1)
	v_cmp_gt_f32_e64 s25, 0x3f2aaaab, v66
	v_add_f32_e32 v66, -1.0, v68
	v_sub_f32_e32 v70, v66, v68
	s_delay_alu instid0(VALU_DEP_3) | instskip(SKIP_1) | instid1(VALU_DEP_1)
	v_subrev_co_ci_u32_e64 v65, s25, 0, v65, s25
	s_mov_b32 s25, 0x3e9b6dac
	v_sub_nc_u32_e32 v69, 0, v65
	v_cvt_f32_i32_e32 v65, v65
	s_delay_alu instid0(VALU_DEP_2) | instskip(NEXT) | instid1(VALU_DEP_1)
	v_ldexp_f32 v68, v68, v69
	v_dual_sub_f32 v66, v67, v66 :: v_dual_add_f32 v71, 1.0, v68
	v_add_f32_e32 v70, 1.0, v70
	s_delay_alu instid0(VALU_DEP_1) | instskip(NEXT) | instid1(VALU_DEP_3)
	v_add_f32_e32 v66, v66, v70
	v_add_f32_e32 v70, -1.0, v71
	s_delay_alu instid0(VALU_DEP_2) | instskip(NEXT) | instid1(VALU_DEP_2)
	v_ldexp_f32 v66, v66, v69
	v_dual_add_f32 v69, -1.0, v68 :: v_dual_sub_f32 v70, v68, v70
	s_delay_alu instid0(VALU_DEP_1) | instskip(NEXT) | instid1(VALU_DEP_2)
	v_add_f32_e32 v80, 1.0, v69
	v_add_f32_e32 v70, v66, v70
	s_delay_alu instid0(VALU_DEP_2) | instskip(NEXT) | instid1(VALU_DEP_2)
	v_sub_f32_e32 v68, v68, v80
	v_add_f32_e32 v80, v71, v70
	s_delay_alu instid0(VALU_DEP_2) | instskip(NEXT) | instid1(VALU_DEP_2)
	v_add_f32_e32 v66, v66, v68
	v_rcp_f32_e32 v68, v80
	v_sub_f32_e32 v71, v71, v80
	s_delay_alu instid0(VALU_DEP_1) | instskip(NEXT) | instid1(VALU_DEP_1)
	v_dual_add_f32 v81, v69, v66 :: v_dual_add_f32 v70, v70, v71
	v_sub_f32_e32 v69, v69, v81
	s_waitcnt_depctr 0xfff
	v_mul_f32_e32 v82, v81, v68
	s_delay_alu instid0(VALU_DEP_1) | instskip(NEXT) | instid1(VALU_DEP_1)
	v_dual_add_f32 v66, v66, v69 :: v_dual_mul_f32 v83, v80, v82
	v_fma_f32 v71, v82, v80, -v83
	s_delay_alu instid0(VALU_DEP_1) | instskip(NEXT) | instid1(VALU_DEP_1)
	v_fmac_f32_e32 v71, v82, v70
	v_add_f32_e32 v84, v83, v71
	s_delay_alu instid0(VALU_DEP_1) | instskip(SKIP_1) | instid1(VALU_DEP_2)
	v_sub_f32_e32 v85, v81, v84
	v_sub_f32_e32 v69, v84, v83
	;; [unrolled: 1-line block ×3, first 2 shown]
	s_delay_alu instid0(VALU_DEP_2) | instskip(NEXT) | instid1(VALU_DEP_2)
	v_sub_f32_e32 v69, v69, v71
	v_sub_f32_e32 v81, v81, v84
	s_delay_alu instid0(VALU_DEP_1) | instskip(NEXT) | instid1(VALU_DEP_1)
	v_add_f32_e32 v66, v66, v81
	v_add_f32_e32 v66, v69, v66
	s_delay_alu instid0(VALU_DEP_1) | instskip(NEXT) | instid1(VALU_DEP_1)
	v_add_f32_e32 v69, v85, v66
	v_mul_f32_e32 v71, v68, v69
	s_delay_alu instid0(VALU_DEP_1) | instskip(NEXT) | instid1(VALU_DEP_1)
	v_dual_sub_f32 v84, v85, v69 :: v_dual_mul_f32 v81, v80, v71
	v_add_f32_e32 v66, v66, v84
	s_delay_alu instid0(VALU_DEP_2) | instskip(NEXT) | instid1(VALU_DEP_1)
	v_fma_f32 v80, v71, v80, -v81
	v_fmac_f32_e32 v80, v71, v70
	s_delay_alu instid0(VALU_DEP_1) | instskip(NEXT) | instid1(VALU_DEP_1)
	v_add_f32_e32 v70, v81, v80
	v_sub_f32_e32 v83, v69, v70
	v_sub_f32_e32 v81, v70, v81
	s_delay_alu instid0(VALU_DEP_2) | instskip(NEXT) | instid1(VALU_DEP_1)
	v_sub_f32_e32 v69, v69, v83
	v_sub_f32_e32 v69, v69, v70
	s_delay_alu instid0(VALU_DEP_3) | instskip(NEXT) | instid1(VALU_DEP_2)
	v_sub_f32_e32 v70, v81, v80
	v_add_f32_e32 v66, v66, v69
	v_add_f32_e32 v69, v82, v71
	s_delay_alu instid0(VALU_DEP_2) | instskip(NEXT) | instid1(VALU_DEP_2)
	v_add_f32_e32 v66, v70, v66
	v_sub_f32_e32 v70, v69, v82
	s_delay_alu instid0(VALU_DEP_2) | instskip(NEXT) | instid1(VALU_DEP_2)
	v_add_f32_e32 v66, v83, v66
	v_sub_f32_e32 v70, v71, v70
	s_delay_alu instid0(VALU_DEP_2) | instskip(NEXT) | instid1(VALU_DEP_1)
	v_mul_f32_e32 v66, v68, v66
	v_add_f32_e32 v66, v70, v66
	s_delay_alu instid0(VALU_DEP_1) | instskip(NEXT) | instid1(VALU_DEP_1)
	v_add_f32_e32 v68, v69, v66
	v_mul_f32_e32 v70, v68, v68
	s_delay_alu instid0(VALU_DEP_1) | instskip(SKIP_2) | instid1(VALU_DEP_3)
	v_fmaak_f32 v71, s25, v70, 0x3ecc95a3
	v_mul_f32_e32 v80, v68, v70
	v_cmp_eq_f32_e64 s25, 0x7f800000, v67
	v_fmaak_f32 v70, v70, v71, 0x3f2aaada
	v_ldexp_f32 v71, v68, 1
	v_sub_f32_e32 v68, v68, v69
	s_delay_alu instid0(VALU_DEP_4) | instskip(NEXT) | instid1(VALU_DEP_3)
	s_or_b32 s25, s25, s29
	v_mul_f32_e32 v70, v80, v70
	v_mul_f32_e32 v80, 0x3f317218, v65
	s_delay_alu instid0(VALU_DEP_2) | instskip(NEXT) | instid1(VALU_DEP_1)
	v_dual_sub_f32 v66, v66, v68 :: v_dual_add_f32 v69, v71, v70
	v_ldexp_f32 v66, v66, 1
	s_delay_alu instid0(VALU_DEP_2) | instskip(NEXT) | instid1(VALU_DEP_4)
	v_sub_f32_e32 v68, v69, v71
	v_fma_f32 v71, 0x3f317218, v65, -v80
	s_delay_alu instid0(VALU_DEP_1) | instskip(NEXT) | instid1(VALU_DEP_1)
	v_dual_sub_f32 v68, v70, v68 :: v_dual_fmamk_f32 v65, v65, 0xb102e308, v71
	v_add_f32_e32 v66, v66, v68
	s_delay_alu instid0(VALU_DEP_2) | instskip(NEXT) | instid1(VALU_DEP_2)
	v_add_f32_e32 v68, v80, v65
	v_add_f32_e32 v70, v69, v66
	s_delay_alu instid0(VALU_DEP_2) | instskip(NEXT) | instid1(VALU_DEP_2)
	v_sub_f32_e32 v80, v68, v80
	v_add_f32_e32 v71, v68, v70
	v_sub_f32_e32 v69, v70, v69
	s_delay_alu instid0(VALU_DEP_3) | instskip(NEXT) | instid1(VALU_DEP_2)
	v_sub_f32_e32 v65, v65, v80
	v_dual_sub_f32 v81, v71, v68 :: v_dual_sub_f32 v66, v66, v69
	s_delay_alu instid0(VALU_DEP_1) | instskip(NEXT) | instid1(VALU_DEP_2)
	v_sub_f32_e32 v82, v71, v81
	v_dual_sub_f32 v69, v70, v81 :: v_dual_add_f32 v70, v65, v66
	s_delay_alu instid0(VALU_DEP_2) | instskip(NEXT) | instid1(VALU_DEP_1)
	v_sub_f32_e32 v68, v68, v82
	v_dual_add_f32 v68, v69, v68 :: v_dual_sub_f32 v69, v70, v65
	s_delay_alu instid0(VALU_DEP_1) | instskip(NEXT) | instid1(VALU_DEP_2)
	v_add_f32_e32 v68, v70, v68
	v_sub_f32_e32 v70, v70, v69
	v_sub_f32_e32 v66, v66, v69
	s_delay_alu instid0(VALU_DEP_2) | instskip(NEXT) | instid1(VALU_DEP_1)
	v_dual_add_f32 v80, v71, v68 :: v_dual_sub_f32 v65, v65, v70
	v_sub_f32_e32 v69, v80, v71
	s_delay_alu instid0(VALU_DEP_2) | instskip(NEXT) | instid1(VALU_DEP_2)
	v_add_f32_e32 v65, v66, v65
	v_sub_f32_e32 v66, v68, v69
	s_delay_alu instid0(VALU_DEP_1) | instskip(NEXT) | instid1(VALU_DEP_1)
	v_add_f32_e32 v65, v65, v66
	v_add_f32_e32 v65, v80, v65
	s_delay_alu instid0(VALU_DEP_1) | instskip(NEXT) | instid1(VALU_DEP_1)
	v_cndmask_b32_e64 v65, v65, v67, s25
	v_add_f32_e32 v64, v64, v65
	s_delay_alu instid0(VALU_DEP_1)
	v_cvt_f16_f32_e32 v66, v64
.LBB390_292:
	s_or_b32 exec_lo, exec_lo, s28
	s_delay_alu instid0(VALU_DEP_1)
	v_dual_mov_b32 v64, v66 :: v_dual_and_b32 v65, 0xffff, v66
.LBB390_293:
	s_or_b32 exec_lo, exec_lo, s27
	s_delay_alu instid0(VALU_DEP_1)
	v_mov_b32_dpp v66, v65 row_shr:2 row_mask:0xf bank_mask:0xf
	s_mov_b32 s27, exec_lo
	v_cmpx_lt_u32_e32 1, v55
	s_cbranch_execz .LBB390_297
; %bb.294:
	s_delay_alu instid0(VALU_DEP_2) | instskip(SKIP_2) | instid1(VALU_DEP_2)
	v_cvt_f32_f16_e32 v65, v66
	v_cvt_f32_f16_e32 v67, v64
	v_cmp_u_f16_e64 s25, v66, v66
	v_min_f32_e32 v68, v65, v67
	v_max_f32_e32 v69, v65, v67
	s_delay_alu instid0(VALU_DEP_2) | instskip(NEXT) | instid1(VALU_DEP_2)
	v_cndmask_b32_e64 v68, v68, v65, s25
	v_cndmask_b32_e64 v69, v69, v65, s25
	v_cmp_u_f16_e64 s25, v64, v64
	s_delay_alu instid0(VALU_DEP_1) | instskip(NEXT) | instid1(VALU_DEP_3)
	v_cndmask_b32_e64 v65, v68, v67, s25
	v_cndmask_b32_e64 v64, v69, v67, s25
	s_delay_alu instid0(VALU_DEP_2) | instskip(NEXT) | instid1(VALU_DEP_2)
	v_cmp_class_f32_e64 s28, v65, 0x1f8
	v_cmp_neq_f32_e64 s25, v65, v64
	s_delay_alu instid0(VALU_DEP_1) | instskip(NEXT) | instid1(SALU_CYCLE_1)
	s_or_b32 s25, s25, s28
	s_and_saveexec_b32 s28, s25
	s_cbranch_execz .LBB390_296
; %bb.295:
	v_sub_f32_e32 v65, v65, v64
	s_delay_alu instid0(VALU_DEP_1) | instskip(NEXT) | instid1(VALU_DEP_1)
	v_mul_f32_e32 v66, 0x3fb8aa3b, v65
	v_fma_f32 v67, 0x3fb8aa3b, v65, -v66
	v_rndne_f32_e32 v68, v66
	s_delay_alu instid0(VALU_DEP_1) | instskip(NEXT) | instid1(VALU_DEP_1)
	v_dual_fmamk_f32 v67, v65, 0x32a5705f, v67 :: v_dual_sub_f32 v66, v66, v68
	v_add_f32_e32 v66, v66, v67
	v_cvt_i32_f32_e32 v67, v68
	v_cmp_ngt_f32_e64 s25, 0xc2ce8ed0, v65
	s_delay_alu instid0(VALU_DEP_3) | instskip(SKIP_2) | instid1(VALU_DEP_1)
	v_exp_f32_e32 v66, v66
	s_waitcnt_depctr 0xfff
	v_ldexp_f32 v66, v66, v67
	v_cndmask_b32_e64 v66, 0, v66, s25
	v_cmp_nlt_f32_e64 s25, 0x42b17218, v65
	s_delay_alu instid0(VALU_DEP_1) | instskip(NEXT) | instid1(VALU_DEP_1)
	v_cndmask_b32_e64 v67, 0x7f800000, v66, s25
	v_add_f32_e32 v68, 1.0, v67
	v_cmp_gt_f32_e64 s29, 0x33800000, |v67|
	s_delay_alu instid0(VALU_DEP_2) | instskip(NEXT) | instid1(VALU_DEP_1)
	v_cvt_f64_f32_e32 v[65:66], v68
	v_frexp_exp_i32_f64_e32 v65, v[65:66]
	v_frexp_mant_f32_e32 v66, v68
	s_delay_alu instid0(VALU_DEP_1) | instskip(SKIP_1) | instid1(VALU_DEP_1)
	v_cmp_gt_f32_e64 s25, 0x3f2aaaab, v66
	v_add_f32_e32 v66, -1.0, v68
	v_sub_f32_e32 v70, v66, v68
	s_delay_alu instid0(VALU_DEP_3) | instskip(SKIP_1) | instid1(VALU_DEP_1)
	v_subrev_co_ci_u32_e64 v65, s25, 0, v65, s25
	s_mov_b32 s25, 0x3e9b6dac
	v_sub_nc_u32_e32 v69, 0, v65
	v_cvt_f32_i32_e32 v65, v65
	s_delay_alu instid0(VALU_DEP_2) | instskip(NEXT) | instid1(VALU_DEP_1)
	v_ldexp_f32 v68, v68, v69
	v_dual_sub_f32 v66, v67, v66 :: v_dual_add_f32 v71, 1.0, v68
	v_add_f32_e32 v70, 1.0, v70
	s_delay_alu instid0(VALU_DEP_1) | instskip(NEXT) | instid1(VALU_DEP_3)
	v_add_f32_e32 v66, v66, v70
	v_add_f32_e32 v70, -1.0, v71
	s_delay_alu instid0(VALU_DEP_2) | instskip(NEXT) | instid1(VALU_DEP_2)
	v_ldexp_f32 v66, v66, v69
	v_dual_add_f32 v69, -1.0, v68 :: v_dual_sub_f32 v70, v68, v70
	s_delay_alu instid0(VALU_DEP_1) | instskip(NEXT) | instid1(VALU_DEP_2)
	v_add_f32_e32 v80, 1.0, v69
	v_add_f32_e32 v70, v66, v70
	s_delay_alu instid0(VALU_DEP_2) | instskip(NEXT) | instid1(VALU_DEP_2)
	v_sub_f32_e32 v68, v68, v80
	v_add_f32_e32 v80, v71, v70
	s_delay_alu instid0(VALU_DEP_2) | instskip(NEXT) | instid1(VALU_DEP_2)
	v_add_f32_e32 v66, v66, v68
	v_rcp_f32_e32 v68, v80
	v_sub_f32_e32 v71, v71, v80
	s_delay_alu instid0(VALU_DEP_1) | instskip(NEXT) | instid1(VALU_DEP_1)
	v_dual_add_f32 v81, v69, v66 :: v_dual_add_f32 v70, v70, v71
	v_sub_f32_e32 v69, v69, v81
	s_waitcnt_depctr 0xfff
	v_mul_f32_e32 v82, v81, v68
	s_delay_alu instid0(VALU_DEP_1) | instskip(NEXT) | instid1(VALU_DEP_1)
	v_dual_add_f32 v66, v66, v69 :: v_dual_mul_f32 v83, v80, v82
	v_fma_f32 v71, v82, v80, -v83
	s_delay_alu instid0(VALU_DEP_1) | instskip(NEXT) | instid1(VALU_DEP_1)
	v_fmac_f32_e32 v71, v82, v70
	v_add_f32_e32 v84, v83, v71
	s_delay_alu instid0(VALU_DEP_1) | instskip(SKIP_1) | instid1(VALU_DEP_2)
	v_sub_f32_e32 v85, v81, v84
	v_sub_f32_e32 v69, v84, v83
	;; [unrolled: 1-line block ×3, first 2 shown]
	s_delay_alu instid0(VALU_DEP_2) | instskip(NEXT) | instid1(VALU_DEP_2)
	v_sub_f32_e32 v69, v69, v71
	v_sub_f32_e32 v81, v81, v84
	s_delay_alu instid0(VALU_DEP_1) | instskip(NEXT) | instid1(VALU_DEP_1)
	v_add_f32_e32 v66, v66, v81
	v_add_f32_e32 v66, v69, v66
	s_delay_alu instid0(VALU_DEP_1) | instskip(NEXT) | instid1(VALU_DEP_1)
	v_add_f32_e32 v69, v85, v66
	v_mul_f32_e32 v71, v68, v69
	s_delay_alu instid0(VALU_DEP_1) | instskip(NEXT) | instid1(VALU_DEP_1)
	v_dual_sub_f32 v84, v85, v69 :: v_dual_mul_f32 v81, v80, v71
	v_add_f32_e32 v66, v66, v84
	s_delay_alu instid0(VALU_DEP_2) | instskip(NEXT) | instid1(VALU_DEP_1)
	v_fma_f32 v80, v71, v80, -v81
	v_fmac_f32_e32 v80, v71, v70
	s_delay_alu instid0(VALU_DEP_1) | instskip(NEXT) | instid1(VALU_DEP_1)
	v_add_f32_e32 v70, v81, v80
	v_sub_f32_e32 v83, v69, v70
	v_sub_f32_e32 v81, v70, v81
	s_delay_alu instid0(VALU_DEP_2) | instskip(NEXT) | instid1(VALU_DEP_1)
	v_sub_f32_e32 v69, v69, v83
	v_sub_f32_e32 v69, v69, v70
	s_delay_alu instid0(VALU_DEP_3) | instskip(NEXT) | instid1(VALU_DEP_2)
	v_sub_f32_e32 v70, v81, v80
	v_add_f32_e32 v66, v66, v69
	v_add_f32_e32 v69, v82, v71
	s_delay_alu instid0(VALU_DEP_2) | instskip(NEXT) | instid1(VALU_DEP_2)
	v_add_f32_e32 v66, v70, v66
	v_sub_f32_e32 v70, v69, v82
	s_delay_alu instid0(VALU_DEP_2) | instskip(NEXT) | instid1(VALU_DEP_2)
	v_add_f32_e32 v66, v83, v66
	v_sub_f32_e32 v70, v71, v70
	s_delay_alu instid0(VALU_DEP_2) | instskip(NEXT) | instid1(VALU_DEP_1)
	v_mul_f32_e32 v66, v68, v66
	v_add_f32_e32 v66, v70, v66
	s_delay_alu instid0(VALU_DEP_1) | instskip(NEXT) | instid1(VALU_DEP_1)
	v_add_f32_e32 v68, v69, v66
	v_mul_f32_e32 v70, v68, v68
	s_delay_alu instid0(VALU_DEP_1) | instskip(SKIP_2) | instid1(VALU_DEP_3)
	v_fmaak_f32 v71, s25, v70, 0x3ecc95a3
	v_mul_f32_e32 v80, v68, v70
	v_cmp_eq_f32_e64 s25, 0x7f800000, v67
	v_fmaak_f32 v70, v70, v71, 0x3f2aaada
	v_ldexp_f32 v71, v68, 1
	v_sub_f32_e32 v68, v68, v69
	s_delay_alu instid0(VALU_DEP_4) | instskip(NEXT) | instid1(VALU_DEP_3)
	s_or_b32 s25, s25, s29
	v_mul_f32_e32 v70, v80, v70
	v_mul_f32_e32 v80, 0x3f317218, v65
	s_delay_alu instid0(VALU_DEP_2) | instskip(NEXT) | instid1(VALU_DEP_1)
	v_dual_sub_f32 v66, v66, v68 :: v_dual_add_f32 v69, v71, v70
	v_ldexp_f32 v66, v66, 1
	s_delay_alu instid0(VALU_DEP_2) | instskip(NEXT) | instid1(VALU_DEP_4)
	v_sub_f32_e32 v68, v69, v71
	v_fma_f32 v71, 0x3f317218, v65, -v80
	s_delay_alu instid0(VALU_DEP_1) | instskip(NEXT) | instid1(VALU_DEP_1)
	v_dual_sub_f32 v68, v70, v68 :: v_dual_fmamk_f32 v65, v65, 0xb102e308, v71
	v_add_f32_e32 v66, v66, v68
	s_delay_alu instid0(VALU_DEP_2) | instskip(NEXT) | instid1(VALU_DEP_2)
	v_add_f32_e32 v68, v80, v65
	v_add_f32_e32 v70, v69, v66
	s_delay_alu instid0(VALU_DEP_2) | instskip(NEXT) | instid1(VALU_DEP_2)
	v_sub_f32_e32 v80, v68, v80
	v_add_f32_e32 v71, v68, v70
	v_sub_f32_e32 v69, v70, v69
	s_delay_alu instid0(VALU_DEP_3) | instskip(NEXT) | instid1(VALU_DEP_2)
	v_sub_f32_e32 v65, v65, v80
	v_dual_sub_f32 v81, v71, v68 :: v_dual_sub_f32 v66, v66, v69
	s_delay_alu instid0(VALU_DEP_1) | instskip(NEXT) | instid1(VALU_DEP_2)
	v_sub_f32_e32 v82, v71, v81
	v_dual_sub_f32 v69, v70, v81 :: v_dual_add_f32 v70, v65, v66
	s_delay_alu instid0(VALU_DEP_2) | instskip(NEXT) | instid1(VALU_DEP_1)
	v_sub_f32_e32 v68, v68, v82
	v_dual_add_f32 v68, v69, v68 :: v_dual_sub_f32 v69, v70, v65
	s_delay_alu instid0(VALU_DEP_1) | instskip(NEXT) | instid1(VALU_DEP_2)
	v_add_f32_e32 v68, v70, v68
	v_sub_f32_e32 v70, v70, v69
	v_sub_f32_e32 v66, v66, v69
	s_delay_alu instid0(VALU_DEP_2) | instskip(NEXT) | instid1(VALU_DEP_1)
	v_dual_add_f32 v80, v71, v68 :: v_dual_sub_f32 v65, v65, v70
	v_sub_f32_e32 v69, v80, v71
	s_delay_alu instid0(VALU_DEP_2) | instskip(NEXT) | instid1(VALU_DEP_2)
	v_add_f32_e32 v65, v66, v65
	v_sub_f32_e32 v66, v68, v69
	s_delay_alu instid0(VALU_DEP_1) | instskip(NEXT) | instid1(VALU_DEP_1)
	v_add_f32_e32 v65, v65, v66
	v_add_f32_e32 v65, v80, v65
	s_delay_alu instid0(VALU_DEP_1) | instskip(NEXT) | instid1(VALU_DEP_1)
	v_cndmask_b32_e64 v65, v65, v67, s25
	v_add_f32_e32 v64, v64, v65
	s_delay_alu instid0(VALU_DEP_1)
	v_cvt_f16_f32_e32 v66, v64
.LBB390_296:
	s_or_b32 exec_lo, exec_lo, s28
	s_delay_alu instid0(VALU_DEP_1)
	v_dual_mov_b32 v64, v66 :: v_dual_and_b32 v65, 0xffff, v66
.LBB390_297:
	s_or_b32 exec_lo, exec_lo, s27
	s_delay_alu instid0(VALU_DEP_1)
	v_mov_b32_dpp v66, v65 row_shr:4 row_mask:0xf bank_mask:0xf
	s_mov_b32 s27, exec_lo
	v_cmpx_lt_u32_e32 3, v55
	s_cbranch_execz .LBB390_301
; %bb.298:
	s_delay_alu instid0(VALU_DEP_2) | instskip(SKIP_2) | instid1(VALU_DEP_2)
	v_cvt_f32_f16_e32 v65, v66
	v_cvt_f32_f16_e32 v67, v64
	v_cmp_u_f16_e64 s25, v66, v66
	v_min_f32_e32 v68, v65, v67
	v_max_f32_e32 v69, v65, v67
	s_delay_alu instid0(VALU_DEP_2) | instskip(NEXT) | instid1(VALU_DEP_2)
	v_cndmask_b32_e64 v68, v68, v65, s25
	v_cndmask_b32_e64 v69, v69, v65, s25
	v_cmp_u_f16_e64 s25, v64, v64
	s_delay_alu instid0(VALU_DEP_1) | instskip(NEXT) | instid1(VALU_DEP_3)
	v_cndmask_b32_e64 v65, v68, v67, s25
	v_cndmask_b32_e64 v64, v69, v67, s25
	s_delay_alu instid0(VALU_DEP_2) | instskip(NEXT) | instid1(VALU_DEP_2)
	v_cmp_class_f32_e64 s28, v65, 0x1f8
	v_cmp_neq_f32_e64 s25, v65, v64
	s_delay_alu instid0(VALU_DEP_1) | instskip(NEXT) | instid1(SALU_CYCLE_1)
	s_or_b32 s25, s25, s28
	s_and_saveexec_b32 s28, s25
	s_cbranch_execz .LBB390_300
; %bb.299:
	v_sub_f32_e32 v65, v65, v64
	s_delay_alu instid0(VALU_DEP_1) | instskip(NEXT) | instid1(VALU_DEP_1)
	v_mul_f32_e32 v66, 0x3fb8aa3b, v65
	v_fma_f32 v67, 0x3fb8aa3b, v65, -v66
	v_rndne_f32_e32 v68, v66
	s_delay_alu instid0(VALU_DEP_1) | instskip(NEXT) | instid1(VALU_DEP_1)
	v_dual_fmamk_f32 v67, v65, 0x32a5705f, v67 :: v_dual_sub_f32 v66, v66, v68
	v_add_f32_e32 v66, v66, v67
	v_cvt_i32_f32_e32 v67, v68
	v_cmp_ngt_f32_e64 s25, 0xc2ce8ed0, v65
	s_delay_alu instid0(VALU_DEP_3) | instskip(SKIP_2) | instid1(VALU_DEP_1)
	v_exp_f32_e32 v66, v66
	s_waitcnt_depctr 0xfff
	v_ldexp_f32 v66, v66, v67
	v_cndmask_b32_e64 v66, 0, v66, s25
	v_cmp_nlt_f32_e64 s25, 0x42b17218, v65
	s_delay_alu instid0(VALU_DEP_1) | instskip(NEXT) | instid1(VALU_DEP_1)
	v_cndmask_b32_e64 v67, 0x7f800000, v66, s25
	v_add_f32_e32 v68, 1.0, v67
	v_cmp_gt_f32_e64 s29, 0x33800000, |v67|
	s_delay_alu instid0(VALU_DEP_2) | instskip(NEXT) | instid1(VALU_DEP_1)
	v_cvt_f64_f32_e32 v[65:66], v68
	v_frexp_exp_i32_f64_e32 v65, v[65:66]
	v_frexp_mant_f32_e32 v66, v68
	s_delay_alu instid0(VALU_DEP_1) | instskip(SKIP_1) | instid1(VALU_DEP_1)
	v_cmp_gt_f32_e64 s25, 0x3f2aaaab, v66
	v_add_f32_e32 v66, -1.0, v68
	v_sub_f32_e32 v70, v66, v68
	s_delay_alu instid0(VALU_DEP_3) | instskip(SKIP_1) | instid1(VALU_DEP_1)
	v_subrev_co_ci_u32_e64 v65, s25, 0, v65, s25
	s_mov_b32 s25, 0x3e9b6dac
	v_sub_nc_u32_e32 v69, 0, v65
	v_cvt_f32_i32_e32 v65, v65
	s_delay_alu instid0(VALU_DEP_2) | instskip(NEXT) | instid1(VALU_DEP_1)
	v_ldexp_f32 v68, v68, v69
	v_dual_sub_f32 v66, v67, v66 :: v_dual_add_f32 v71, 1.0, v68
	v_add_f32_e32 v70, 1.0, v70
	s_delay_alu instid0(VALU_DEP_1) | instskip(NEXT) | instid1(VALU_DEP_3)
	v_add_f32_e32 v66, v66, v70
	v_add_f32_e32 v70, -1.0, v71
	s_delay_alu instid0(VALU_DEP_2) | instskip(NEXT) | instid1(VALU_DEP_2)
	v_ldexp_f32 v66, v66, v69
	v_dual_add_f32 v69, -1.0, v68 :: v_dual_sub_f32 v70, v68, v70
	s_delay_alu instid0(VALU_DEP_1) | instskip(NEXT) | instid1(VALU_DEP_2)
	v_add_f32_e32 v80, 1.0, v69
	v_add_f32_e32 v70, v66, v70
	s_delay_alu instid0(VALU_DEP_2) | instskip(NEXT) | instid1(VALU_DEP_2)
	v_sub_f32_e32 v68, v68, v80
	v_add_f32_e32 v80, v71, v70
	s_delay_alu instid0(VALU_DEP_2) | instskip(NEXT) | instid1(VALU_DEP_2)
	v_add_f32_e32 v66, v66, v68
	v_rcp_f32_e32 v68, v80
	v_sub_f32_e32 v71, v71, v80
	s_delay_alu instid0(VALU_DEP_1) | instskip(NEXT) | instid1(VALU_DEP_1)
	v_dual_add_f32 v81, v69, v66 :: v_dual_add_f32 v70, v70, v71
	v_sub_f32_e32 v69, v69, v81
	s_waitcnt_depctr 0xfff
	v_mul_f32_e32 v82, v81, v68
	s_delay_alu instid0(VALU_DEP_1) | instskip(NEXT) | instid1(VALU_DEP_1)
	v_dual_add_f32 v66, v66, v69 :: v_dual_mul_f32 v83, v80, v82
	v_fma_f32 v71, v82, v80, -v83
	s_delay_alu instid0(VALU_DEP_1) | instskip(NEXT) | instid1(VALU_DEP_1)
	v_fmac_f32_e32 v71, v82, v70
	v_add_f32_e32 v84, v83, v71
	s_delay_alu instid0(VALU_DEP_1) | instskip(SKIP_1) | instid1(VALU_DEP_2)
	v_sub_f32_e32 v85, v81, v84
	v_sub_f32_e32 v69, v84, v83
	;; [unrolled: 1-line block ×3, first 2 shown]
	s_delay_alu instid0(VALU_DEP_2) | instskip(NEXT) | instid1(VALU_DEP_2)
	v_sub_f32_e32 v69, v69, v71
	v_sub_f32_e32 v81, v81, v84
	s_delay_alu instid0(VALU_DEP_1) | instskip(NEXT) | instid1(VALU_DEP_1)
	v_add_f32_e32 v66, v66, v81
	v_add_f32_e32 v66, v69, v66
	s_delay_alu instid0(VALU_DEP_1) | instskip(NEXT) | instid1(VALU_DEP_1)
	v_add_f32_e32 v69, v85, v66
	v_mul_f32_e32 v71, v68, v69
	s_delay_alu instid0(VALU_DEP_1) | instskip(NEXT) | instid1(VALU_DEP_1)
	v_dual_sub_f32 v84, v85, v69 :: v_dual_mul_f32 v81, v80, v71
	v_add_f32_e32 v66, v66, v84
	s_delay_alu instid0(VALU_DEP_2) | instskip(NEXT) | instid1(VALU_DEP_1)
	v_fma_f32 v80, v71, v80, -v81
	v_fmac_f32_e32 v80, v71, v70
	s_delay_alu instid0(VALU_DEP_1) | instskip(NEXT) | instid1(VALU_DEP_1)
	v_add_f32_e32 v70, v81, v80
	v_sub_f32_e32 v83, v69, v70
	v_sub_f32_e32 v81, v70, v81
	s_delay_alu instid0(VALU_DEP_2) | instskip(NEXT) | instid1(VALU_DEP_1)
	v_sub_f32_e32 v69, v69, v83
	v_sub_f32_e32 v69, v69, v70
	s_delay_alu instid0(VALU_DEP_3) | instskip(NEXT) | instid1(VALU_DEP_2)
	v_sub_f32_e32 v70, v81, v80
	v_add_f32_e32 v66, v66, v69
	v_add_f32_e32 v69, v82, v71
	s_delay_alu instid0(VALU_DEP_2) | instskip(NEXT) | instid1(VALU_DEP_2)
	v_add_f32_e32 v66, v70, v66
	v_sub_f32_e32 v70, v69, v82
	s_delay_alu instid0(VALU_DEP_2) | instskip(NEXT) | instid1(VALU_DEP_2)
	v_add_f32_e32 v66, v83, v66
	v_sub_f32_e32 v70, v71, v70
	s_delay_alu instid0(VALU_DEP_2) | instskip(NEXT) | instid1(VALU_DEP_1)
	v_mul_f32_e32 v66, v68, v66
	v_add_f32_e32 v66, v70, v66
	s_delay_alu instid0(VALU_DEP_1) | instskip(NEXT) | instid1(VALU_DEP_1)
	v_add_f32_e32 v68, v69, v66
	v_mul_f32_e32 v70, v68, v68
	s_delay_alu instid0(VALU_DEP_1) | instskip(SKIP_2) | instid1(VALU_DEP_3)
	v_fmaak_f32 v71, s25, v70, 0x3ecc95a3
	v_mul_f32_e32 v80, v68, v70
	v_cmp_eq_f32_e64 s25, 0x7f800000, v67
	v_fmaak_f32 v70, v70, v71, 0x3f2aaada
	v_ldexp_f32 v71, v68, 1
	v_sub_f32_e32 v68, v68, v69
	s_delay_alu instid0(VALU_DEP_4) | instskip(NEXT) | instid1(VALU_DEP_3)
	s_or_b32 s25, s25, s29
	v_mul_f32_e32 v70, v80, v70
	v_mul_f32_e32 v80, 0x3f317218, v65
	s_delay_alu instid0(VALU_DEP_2) | instskip(NEXT) | instid1(VALU_DEP_1)
	v_dual_sub_f32 v66, v66, v68 :: v_dual_add_f32 v69, v71, v70
	v_ldexp_f32 v66, v66, 1
	s_delay_alu instid0(VALU_DEP_2) | instskip(NEXT) | instid1(VALU_DEP_4)
	v_sub_f32_e32 v68, v69, v71
	v_fma_f32 v71, 0x3f317218, v65, -v80
	s_delay_alu instid0(VALU_DEP_1) | instskip(NEXT) | instid1(VALU_DEP_1)
	v_dual_sub_f32 v68, v70, v68 :: v_dual_fmamk_f32 v65, v65, 0xb102e308, v71
	v_add_f32_e32 v66, v66, v68
	s_delay_alu instid0(VALU_DEP_2) | instskip(NEXT) | instid1(VALU_DEP_2)
	v_add_f32_e32 v68, v80, v65
	v_add_f32_e32 v70, v69, v66
	s_delay_alu instid0(VALU_DEP_2) | instskip(NEXT) | instid1(VALU_DEP_2)
	v_sub_f32_e32 v80, v68, v80
	v_add_f32_e32 v71, v68, v70
	v_sub_f32_e32 v69, v70, v69
	s_delay_alu instid0(VALU_DEP_3) | instskip(NEXT) | instid1(VALU_DEP_2)
	v_sub_f32_e32 v65, v65, v80
	v_dual_sub_f32 v81, v71, v68 :: v_dual_sub_f32 v66, v66, v69
	s_delay_alu instid0(VALU_DEP_1) | instskip(NEXT) | instid1(VALU_DEP_2)
	v_sub_f32_e32 v82, v71, v81
	v_dual_sub_f32 v69, v70, v81 :: v_dual_add_f32 v70, v65, v66
	s_delay_alu instid0(VALU_DEP_2) | instskip(NEXT) | instid1(VALU_DEP_1)
	v_sub_f32_e32 v68, v68, v82
	v_dual_add_f32 v68, v69, v68 :: v_dual_sub_f32 v69, v70, v65
	s_delay_alu instid0(VALU_DEP_1) | instskip(NEXT) | instid1(VALU_DEP_2)
	v_add_f32_e32 v68, v70, v68
	v_sub_f32_e32 v70, v70, v69
	v_sub_f32_e32 v66, v66, v69
	s_delay_alu instid0(VALU_DEP_2) | instskip(NEXT) | instid1(VALU_DEP_1)
	v_dual_add_f32 v80, v71, v68 :: v_dual_sub_f32 v65, v65, v70
	v_sub_f32_e32 v69, v80, v71
	s_delay_alu instid0(VALU_DEP_2) | instskip(NEXT) | instid1(VALU_DEP_2)
	v_add_f32_e32 v65, v66, v65
	v_sub_f32_e32 v66, v68, v69
	s_delay_alu instid0(VALU_DEP_1) | instskip(NEXT) | instid1(VALU_DEP_1)
	v_add_f32_e32 v65, v65, v66
	v_add_f32_e32 v65, v80, v65
	s_delay_alu instid0(VALU_DEP_1) | instskip(NEXT) | instid1(VALU_DEP_1)
	v_cndmask_b32_e64 v65, v65, v67, s25
	v_add_f32_e32 v64, v64, v65
	s_delay_alu instid0(VALU_DEP_1)
	v_cvt_f16_f32_e32 v66, v64
.LBB390_300:
	s_or_b32 exec_lo, exec_lo, s28
	s_delay_alu instid0(VALU_DEP_1)
	v_dual_mov_b32 v64, v66 :: v_dual_and_b32 v65, 0xffff, v66
.LBB390_301:
	s_or_b32 exec_lo, exec_lo, s27
	s_delay_alu instid0(VALU_DEP_1)
	v_mov_b32_dpp v66, v65 row_shr:8 row_mask:0xf bank_mask:0xf
	s_mov_b32 s27, exec_lo
	v_cmpx_lt_u32_e32 7, v55
	s_cbranch_execz .LBB390_305
; %bb.302:
	s_delay_alu instid0(VALU_DEP_2) | instskip(SKIP_2) | instid1(VALU_DEP_2)
	v_cvt_f32_f16_e32 v55, v66
	v_cvt_f32_f16_e32 v65, v64
	v_cmp_u_f16_e64 s25, v66, v66
	v_min_f32_e32 v67, v55, v65
	v_max_f32_e32 v68, v55, v65
	s_delay_alu instid0(VALU_DEP_2) | instskip(NEXT) | instid1(VALU_DEP_2)
	v_cndmask_b32_e64 v67, v67, v55, s25
	v_cndmask_b32_e64 v55, v68, v55, s25
	v_cmp_u_f16_e64 s25, v64, v64
	s_delay_alu instid0(VALU_DEP_1) | instskip(NEXT) | instid1(VALU_DEP_3)
	v_cndmask_b32_e64 v64, v67, v65, s25
	v_cndmask_b32_e64 v55, v55, v65, s25
	s_delay_alu instid0(VALU_DEP_2) | instskip(NEXT) | instid1(VALU_DEP_2)
	v_cmp_class_f32_e64 s28, v64, 0x1f8
	v_cmp_neq_f32_e64 s25, v64, v55
	s_delay_alu instid0(VALU_DEP_1) | instskip(NEXT) | instid1(SALU_CYCLE_1)
	s_or_b32 s25, s25, s28
	s_and_saveexec_b32 s28, s25
	s_cbranch_execz .LBB390_304
; %bb.303:
	v_sub_f32_e32 v64, v64, v55
	s_delay_alu instid0(VALU_DEP_1) | instskip(NEXT) | instid1(VALU_DEP_1)
	v_mul_f32_e32 v65, 0x3fb8aa3b, v64
	v_fma_f32 v66, 0x3fb8aa3b, v64, -v65
	v_rndne_f32_e32 v67, v65
	s_delay_alu instid0(VALU_DEP_1) | instskip(NEXT) | instid1(VALU_DEP_1)
	v_dual_fmamk_f32 v66, v64, 0x32a5705f, v66 :: v_dual_sub_f32 v65, v65, v67
	v_add_f32_e32 v65, v65, v66
	v_cvt_i32_f32_e32 v66, v67
	v_cmp_ngt_f32_e64 s25, 0xc2ce8ed0, v64
	s_delay_alu instid0(VALU_DEP_3) | instskip(SKIP_2) | instid1(VALU_DEP_1)
	v_exp_f32_e32 v65, v65
	s_waitcnt_depctr 0xfff
	v_ldexp_f32 v65, v65, v66
	v_cndmask_b32_e64 v65, 0, v65, s25
	v_cmp_nlt_f32_e64 s25, 0x42b17218, v64
	s_delay_alu instid0(VALU_DEP_1) | instskip(NEXT) | instid1(VALU_DEP_1)
	v_cndmask_b32_e64 v66, 0x7f800000, v65, s25
	v_add_f32_e32 v67, 1.0, v66
	v_cmp_gt_f32_e64 s29, 0x33800000, |v66|
	s_delay_alu instid0(VALU_DEP_2) | instskip(NEXT) | instid1(VALU_DEP_1)
	v_cvt_f64_f32_e32 v[64:65], v67
	v_frexp_exp_i32_f64_e32 v64, v[64:65]
	v_frexp_mant_f32_e32 v65, v67
	s_delay_alu instid0(VALU_DEP_1) | instskip(SKIP_1) | instid1(VALU_DEP_1)
	v_cmp_gt_f32_e64 s25, 0x3f2aaaab, v65
	v_add_f32_e32 v65, -1.0, v67
	v_sub_f32_e32 v69, v65, v67
	s_delay_alu instid0(VALU_DEP_3) | instskip(SKIP_1) | instid1(VALU_DEP_1)
	v_subrev_co_ci_u32_e64 v64, s25, 0, v64, s25
	s_mov_b32 s25, 0x3e9b6dac
	v_sub_nc_u32_e32 v68, 0, v64
	v_cvt_f32_i32_e32 v64, v64
	s_delay_alu instid0(VALU_DEP_2) | instskip(NEXT) | instid1(VALU_DEP_1)
	v_ldexp_f32 v67, v67, v68
	v_dual_sub_f32 v65, v66, v65 :: v_dual_add_f32 v70, 1.0, v67
	v_add_f32_e32 v69, 1.0, v69
	s_delay_alu instid0(VALU_DEP_1) | instskip(NEXT) | instid1(VALU_DEP_3)
	v_add_f32_e32 v65, v65, v69
	v_add_f32_e32 v69, -1.0, v70
	s_delay_alu instid0(VALU_DEP_2) | instskip(NEXT) | instid1(VALU_DEP_2)
	v_ldexp_f32 v65, v65, v68
	v_dual_add_f32 v68, -1.0, v67 :: v_dual_sub_f32 v69, v67, v69
	s_delay_alu instid0(VALU_DEP_1) | instskip(NEXT) | instid1(VALU_DEP_2)
	v_add_f32_e32 v71, 1.0, v68
	v_add_f32_e32 v69, v65, v69
	s_delay_alu instid0(VALU_DEP_2) | instskip(NEXT) | instid1(VALU_DEP_2)
	v_sub_f32_e32 v67, v67, v71
	v_add_f32_e32 v71, v70, v69
	s_delay_alu instid0(VALU_DEP_2) | instskip(NEXT) | instid1(VALU_DEP_2)
	v_add_f32_e32 v65, v65, v67
	v_rcp_f32_e32 v67, v71
	v_sub_f32_e32 v70, v70, v71
	s_delay_alu instid0(VALU_DEP_1) | instskip(NEXT) | instid1(VALU_DEP_1)
	v_dual_add_f32 v80, v68, v65 :: v_dual_add_f32 v69, v69, v70
	v_sub_f32_e32 v68, v68, v80
	s_waitcnt_depctr 0xfff
	v_mul_f32_e32 v81, v80, v67
	s_delay_alu instid0(VALU_DEP_1) | instskip(NEXT) | instid1(VALU_DEP_1)
	v_dual_add_f32 v65, v65, v68 :: v_dual_mul_f32 v82, v71, v81
	v_fma_f32 v70, v81, v71, -v82
	s_delay_alu instid0(VALU_DEP_1) | instskip(NEXT) | instid1(VALU_DEP_1)
	v_fmac_f32_e32 v70, v81, v69
	v_add_f32_e32 v83, v82, v70
	s_delay_alu instid0(VALU_DEP_1) | instskip(SKIP_1) | instid1(VALU_DEP_2)
	v_sub_f32_e32 v84, v80, v83
	v_sub_f32_e32 v68, v83, v82
	;; [unrolled: 1-line block ×3, first 2 shown]
	s_delay_alu instid0(VALU_DEP_2) | instskip(NEXT) | instid1(VALU_DEP_2)
	v_sub_f32_e32 v68, v68, v70
	v_sub_f32_e32 v80, v80, v83
	s_delay_alu instid0(VALU_DEP_1) | instskip(NEXT) | instid1(VALU_DEP_1)
	v_add_f32_e32 v65, v65, v80
	v_add_f32_e32 v65, v68, v65
	s_delay_alu instid0(VALU_DEP_1) | instskip(NEXT) | instid1(VALU_DEP_1)
	v_add_f32_e32 v68, v84, v65
	v_mul_f32_e32 v70, v67, v68
	s_delay_alu instid0(VALU_DEP_1) | instskip(NEXT) | instid1(VALU_DEP_1)
	v_dual_sub_f32 v83, v84, v68 :: v_dual_mul_f32 v80, v71, v70
	v_add_f32_e32 v65, v65, v83
	s_delay_alu instid0(VALU_DEP_2) | instskip(NEXT) | instid1(VALU_DEP_1)
	v_fma_f32 v71, v70, v71, -v80
	v_fmac_f32_e32 v71, v70, v69
	s_delay_alu instid0(VALU_DEP_1) | instskip(NEXT) | instid1(VALU_DEP_1)
	v_add_f32_e32 v69, v80, v71
	v_sub_f32_e32 v82, v68, v69
	v_sub_f32_e32 v80, v69, v80
	s_delay_alu instid0(VALU_DEP_2) | instskip(NEXT) | instid1(VALU_DEP_1)
	v_sub_f32_e32 v68, v68, v82
	v_sub_f32_e32 v68, v68, v69
	s_delay_alu instid0(VALU_DEP_3) | instskip(NEXT) | instid1(VALU_DEP_2)
	v_sub_f32_e32 v69, v80, v71
	v_add_f32_e32 v65, v65, v68
	v_add_f32_e32 v68, v81, v70
	s_delay_alu instid0(VALU_DEP_2) | instskip(NEXT) | instid1(VALU_DEP_2)
	v_add_f32_e32 v65, v69, v65
	v_sub_f32_e32 v69, v68, v81
	s_delay_alu instid0(VALU_DEP_2) | instskip(NEXT) | instid1(VALU_DEP_2)
	v_add_f32_e32 v65, v82, v65
	v_sub_f32_e32 v69, v70, v69
	s_delay_alu instid0(VALU_DEP_2) | instskip(NEXT) | instid1(VALU_DEP_1)
	v_mul_f32_e32 v65, v67, v65
	v_add_f32_e32 v65, v69, v65
	s_delay_alu instid0(VALU_DEP_1) | instskip(NEXT) | instid1(VALU_DEP_1)
	v_add_f32_e32 v67, v68, v65
	v_mul_f32_e32 v69, v67, v67
	s_delay_alu instid0(VALU_DEP_1) | instskip(SKIP_2) | instid1(VALU_DEP_3)
	v_fmaak_f32 v70, s25, v69, 0x3ecc95a3
	v_mul_f32_e32 v71, v67, v69
	v_cmp_eq_f32_e64 s25, 0x7f800000, v66
	v_fmaak_f32 v69, v69, v70, 0x3f2aaada
	v_ldexp_f32 v70, v67, 1
	v_sub_f32_e32 v67, v67, v68
	s_delay_alu instid0(VALU_DEP_4) | instskip(NEXT) | instid1(VALU_DEP_3)
	s_or_b32 s25, s25, s29
	v_mul_f32_e32 v69, v71, v69
	v_mul_f32_e32 v71, 0x3f317218, v64
	s_delay_alu instid0(VALU_DEP_2) | instskip(NEXT) | instid1(VALU_DEP_1)
	v_dual_sub_f32 v65, v65, v67 :: v_dual_add_f32 v68, v70, v69
	v_ldexp_f32 v65, v65, 1
	s_delay_alu instid0(VALU_DEP_2) | instskip(NEXT) | instid1(VALU_DEP_4)
	v_sub_f32_e32 v67, v68, v70
	v_fma_f32 v70, 0x3f317218, v64, -v71
	s_delay_alu instid0(VALU_DEP_1) | instskip(NEXT) | instid1(VALU_DEP_1)
	v_dual_sub_f32 v67, v69, v67 :: v_dual_fmamk_f32 v64, v64, 0xb102e308, v70
	v_add_f32_e32 v65, v65, v67
	s_delay_alu instid0(VALU_DEP_2) | instskip(NEXT) | instid1(VALU_DEP_2)
	v_add_f32_e32 v67, v71, v64
	v_add_f32_e32 v69, v68, v65
	s_delay_alu instid0(VALU_DEP_2) | instskip(NEXT) | instid1(VALU_DEP_2)
	v_sub_f32_e32 v71, v67, v71
	v_add_f32_e32 v70, v67, v69
	v_sub_f32_e32 v68, v69, v68
	s_delay_alu instid0(VALU_DEP_3) | instskip(NEXT) | instid1(VALU_DEP_2)
	v_sub_f32_e32 v64, v64, v71
	v_dual_sub_f32 v80, v70, v67 :: v_dual_sub_f32 v65, v65, v68
	s_delay_alu instid0(VALU_DEP_1) | instskip(NEXT) | instid1(VALU_DEP_2)
	v_sub_f32_e32 v81, v70, v80
	v_dual_sub_f32 v68, v69, v80 :: v_dual_add_f32 v69, v64, v65
	s_delay_alu instid0(VALU_DEP_2) | instskip(NEXT) | instid1(VALU_DEP_1)
	v_sub_f32_e32 v67, v67, v81
	v_dual_add_f32 v67, v68, v67 :: v_dual_sub_f32 v68, v69, v64
	s_delay_alu instid0(VALU_DEP_1) | instskip(NEXT) | instid1(VALU_DEP_2)
	v_add_f32_e32 v67, v69, v67
	v_sub_f32_e32 v69, v69, v68
	v_sub_f32_e32 v65, v65, v68
	s_delay_alu instid0(VALU_DEP_2) | instskip(NEXT) | instid1(VALU_DEP_1)
	v_dual_add_f32 v71, v70, v67 :: v_dual_sub_f32 v64, v64, v69
	v_sub_f32_e32 v68, v71, v70
	s_delay_alu instid0(VALU_DEP_2) | instskip(NEXT) | instid1(VALU_DEP_2)
	v_add_f32_e32 v64, v65, v64
	v_sub_f32_e32 v65, v67, v68
	s_delay_alu instid0(VALU_DEP_1) | instskip(NEXT) | instid1(VALU_DEP_1)
	v_add_f32_e32 v64, v64, v65
	v_add_f32_e32 v64, v71, v64
	s_delay_alu instid0(VALU_DEP_1) | instskip(NEXT) | instid1(VALU_DEP_1)
	v_cndmask_b32_e64 v64, v64, v66, s25
	v_add_f32_e32 v55, v55, v64
	s_delay_alu instid0(VALU_DEP_1)
	v_cvt_f16_f32_e32 v66, v55
.LBB390_304:
	s_or_b32 exec_lo, exec_lo, s28
	s_delay_alu instid0(VALU_DEP_1)
	v_dual_mov_b32 v64, v66 :: v_dual_and_b32 v65, 0xffff, v66
.LBB390_305:
	s_or_b32 exec_lo, exec_lo, s27
	ds_swizzle_b32 v65, v65 offset:swizzle(BROADCAST,32,15)
	v_and_b32_e32 v55, 16, v54
	s_mov_b32 s27, exec_lo
	s_delay_alu instid0(VALU_DEP_1)
	v_cmpx_ne_u32_e32 0, v55
	s_cbranch_execz .LBB390_309
; %bb.306:
	s_waitcnt lgkmcnt(0)
	v_cvt_f32_f16_e32 v55, v65
	v_cvt_f32_f16_e32 v66, v64
	v_cmp_u_f16_e64 s25, v65, v65
	s_delay_alu instid0(VALU_DEP_2) | instskip(SKIP_1) | instid1(VALU_DEP_2)
	v_min_f32_e32 v67, v55, v66
	v_max_f32_e32 v68, v55, v66
	v_cndmask_b32_e64 v67, v67, v55, s25
	s_delay_alu instid0(VALU_DEP_2) | instskip(SKIP_1) | instid1(VALU_DEP_1)
	v_cndmask_b32_e64 v55, v68, v55, s25
	v_cmp_u_f16_e64 s25, v64, v64
	v_cndmask_b32_e64 v64, v67, v66, s25
	s_delay_alu instid0(VALU_DEP_3) | instskip(NEXT) | instid1(VALU_DEP_2)
	v_cndmask_b32_e64 v55, v55, v66, s25
	v_cmp_class_f32_e64 s28, v64, 0x1f8
	s_delay_alu instid0(VALU_DEP_2) | instskip(NEXT) | instid1(VALU_DEP_1)
	v_cmp_neq_f32_e64 s25, v64, v55
	s_or_b32 s25, s25, s28
	s_delay_alu instid0(SALU_CYCLE_1)
	s_and_saveexec_b32 s28, s25
	s_cbranch_execz .LBB390_308
; %bb.307:
	v_sub_f32_e32 v64, v64, v55
	s_delay_alu instid0(VALU_DEP_1) | instskip(NEXT) | instid1(VALU_DEP_1)
	v_mul_f32_e32 v65, 0x3fb8aa3b, v64
	v_fma_f32 v66, 0x3fb8aa3b, v64, -v65
	v_rndne_f32_e32 v67, v65
	s_delay_alu instid0(VALU_DEP_1) | instskip(NEXT) | instid1(VALU_DEP_1)
	v_dual_fmamk_f32 v66, v64, 0x32a5705f, v66 :: v_dual_sub_f32 v65, v65, v67
	v_add_f32_e32 v65, v65, v66
	v_cvt_i32_f32_e32 v66, v67
	v_cmp_ngt_f32_e64 s25, 0xc2ce8ed0, v64
	s_delay_alu instid0(VALU_DEP_3) | instskip(SKIP_2) | instid1(VALU_DEP_1)
	v_exp_f32_e32 v65, v65
	s_waitcnt_depctr 0xfff
	v_ldexp_f32 v65, v65, v66
	v_cndmask_b32_e64 v65, 0, v65, s25
	v_cmp_nlt_f32_e64 s25, 0x42b17218, v64
	s_delay_alu instid0(VALU_DEP_1) | instskip(NEXT) | instid1(VALU_DEP_1)
	v_cndmask_b32_e64 v66, 0x7f800000, v65, s25
	v_add_f32_e32 v67, 1.0, v66
	v_cmp_gt_f32_e64 s29, 0x33800000, |v66|
	s_delay_alu instid0(VALU_DEP_2) | instskip(NEXT) | instid1(VALU_DEP_1)
	v_cvt_f64_f32_e32 v[64:65], v67
	v_frexp_exp_i32_f64_e32 v64, v[64:65]
	v_frexp_mant_f32_e32 v65, v67
	s_delay_alu instid0(VALU_DEP_1) | instskip(SKIP_1) | instid1(VALU_DEP_1)
	v_cmp_gt_f32_e64 s25, 0x3f2aaaab, v65
	v_add_f32_e32 v65, -1.0, v67
	v_sub_f32_e32 v69, v65, v67
	s_delay_alu instid0(VALU_DEP_3) | instskip(SKIP_1) | instid1(VALU_DEP_1)
	v_subrev_co_ci_u32_e64 v64, s25, 0, v64, s25
	s_mov_b32 s25, 0x3e9b6dac
	v_sub_nc_u32_e32 v68, 0, v64
	v_cvt_f32_i32_e32 v64, v64
	s_delay_alu instid0(VALU_DEP_2) | instskip(NEXT) | instid1(VALU_DEP_1)
	v_ldexp_f32 v67, v67, v68
	v_dual_sub_f32 v65, v66, v65 :: v_dual_add_f32 v70, 1.0, v67
	v_add_f32_e32 v69, 1.0, v69
	s_delay_alu instid0(VALU_DEP_1) | instskip(NEXT) | instid1(VALU_DEP_3)
	v_add_f32_e32 v65, v65, v69
	v_add_f32_e32 v69, -1.0, v70
	s_delay_alu instid0(VALU_DEP_2) | instskip(NEXT) | instid1(VALU_DEP_2)
	v_ldexp_f32 v65, v65, v68
	v_dual_add_f32 v68, -1.0, v67 :: v_dual_sub_f32 v69, v67, v69
	s_delay_alu instid0(VALU_DEP_1) | instskip(NEXT) | instid1(VALU_DEP_2)
	v_add_f32_e32 v71, 1.0, v68
	v_add_f32_e32 v69, v65, v69
	s_delay_alu instid0(VALU_DEP_2) | instskip(NEXT) | instid1(VALU_DEP_2)
	v_sub_f32_e32 v67, v67, v71
	v_add_f32_e32 v71, v70, v69
	s_delay_alu instid0(VALU_DEP_2) | instskip(NEXT) | instid1(VALU_DEP_2)
	v_add_f32_e32 v65, v65, v67
	v_rcp_f32_e32 v67, v71
	v_sub_f32_e32 v70, v70, v71
	s_delay_alu instid0(VALU_DEP_1) | instskip(NEXT) | instid1(VALU_DEP_1)
	v_dual_add_f32 v80, v68, v65 :: v_dual_add_f32 v69, v69, v70
	v_sub_f32_e32 v68, v68, v80
	s_waitcnt_depctr 0xfff
	v_mul_f32_e32 v81, v80, v67
	s_delay_alu instid0(VALU_DEP_1) | instskip(NEXT) | instid1(VALU_DEP_1)
	v_dual_add_f32 v65, v65, v68 :: v_dual_mul_f32 v82, v71, v81
	v_fma_f32 v70, v81, v71, -v82
	s_delay_alu instid0(VALU_DEP_1) | instskip(NEXT) | instid1(VALU_DEP_1)
	v_fmac_f32_e32 v70, v81, v69
	v_add_f32_e32 v83, v82, v70
	s_delay_alu instid0(VALU_DEP_1) | instskip(SKIP_1) | instid1(VALU_DEP_2)
	v_sub_f32_e32 v84, v80, v83
	v_sub_f32_e32 v68, v83, v82
	;; [unrolled: 1-line block ×3, first 2 shown]
	s_delay_alu instid0(VALU_DEP_2) | instskip(NEXT) | instid1(VALU_DEP_2)
	v_sub_f32_e32 v68, v68, v70
	v_sub_f32_e32 v80, v80, v83
	s_delay_alu instid0(VALU_DEP_1) | instskip(NEXT) | instid1(VALU_DEP_1)
	v_add_f32_e32 v65, v65, v80
	v_add_f32_e32 v65, v68, v65
	s_delay_alu instid0(VALU_DEP_1) | instskip(NEXT) | instid1(VALU_DEP_1)
	v_add_f32_e32 v68, v84, v65
	v_mul_f32_e32 v70, v67, v68
	s_delay_alu instid0(VALU_DEP_1) | instskip(NEXT) | instid1(VALU_DEP_1)
	v_dual_sub_f32 v83, v84, v68 :: v_dual_mul_f32 v80, v71, v70
	v_add_f32_e32 v65, v65, v83
	s_delay_alu instid0(VALU_DEP_2) | instskip(NEXT) | instid1(VALU_DEP_1)
	v_fma_f32 v71, v70, v71, -v80
	v_fmac_f32_e32 v71, v70, v69
	s_delay_alu instid0(VALU_DEP_1) | instskip(NEXT) | instid1(VALU_DEP_1)
	v_add_f32_e32 v69, v80, v71
	v_sub_f32_e32 v82, v68, v69
	v_sub_f32_e32 v80, v69, v80
	s_delay_alu instid0(VALU_DEP_2) | instskip(NEXT) | instid1(VALU_DEP_1)
	v_sub_f32_e32 v68, v68, v82
	v_sub_f32_e32 v68, v68, v69
	s_delay_alu instid0(VALU_DEP_3) | instskip(NEXT) | instid1(VALU_DEP_2)
	v_sub_f32_e32 v69, v80, v71
	v_add_f32_e32 v65, v65, v68
	v_add_f32_e32 v68, v81, v70
	s_delay_alu instid0(VALU_DEP_2) | instskip(NEXT) | instid1(VALU_DEP_2)
	v_add_f32_e32 v65, v69, v65
	v_sub_f32_e32 v69, v68, v81
	s_delay_alu instid0(VALU_DEP_2) | instskip(NEXT) | instid1(VALU_DEP_2)
	v_add_f32_e32 v65, v82, v65
	v_sub_f32_e32 v69, v70, v69
	s_delay_alu instid0(VALU_DEP_2) | instskip(NEXT) | instid1(VALU_DEP_1)
	v_mul_f32_e32 v65, v67, v65
	v_add_f32_e32 v65, v69, v65
	s_delay_alu instid0(VALU_DEP_1) | instskip(NEXT) | instid1(VALU_DEP_1)
	v_add_f32_e32 v67, v68, v65
	v_mul_f32_e32 v69, v67, v67
	s_delay_alu instid0(VALU_DEP_1) | instskip(SKIP_2) | instid1(VALU_DEP_3)
	v_fmaak_f32 v70, s25, v69, 0x3ecc95a3
	v_mul_f32_e32 v71, v67, v69
	v_cmp_eq_f32_e64 s25, 0x7f800000, v66
	v_fmaak_f32 v69, v69, v70, 0x3f2aaada
	v_ldexp_f32 v70, v67, 1
	v_sub_f32_e32 v67, v67, v68
	s_delay_alu instid0(VALU_DEP_4) | instskip(NEXT) | instid1(VALU_DEP_3)
	s_or_b32 s25, s25, s29
	v_mul_f32_e32 v69, v71, v69
	v_mul_f32_e32 v71, 0x3f317218, v64
	s_delay_alu instid0(VALU_DEP_2) | instskip(NEXT) | instid1(VALU_DEP_1)
	v_dual_sub_f32 v65, v65, v67 :: v_dual_add_f32 v68, v70, v69
	v_ldexp_f32 v65, v65, 1
	s_delay_alu instid0(VALU_DEP_2) | instskip(NEXT) | instid1(VALU_DEP_4)
	v_sub_f32_e32 v67, v68, v70
	v_fma_f32 v70, 0x3f317218, v64, -v71
	s_delay_alu instid0(VALU_DEP_1) | instskip(NEXT) | instid1(VALU_DEP_1)
	v_dual_sub_f32 v67, v69, v67 :: v_dual_fmamk_f32 v64, v64, 0xb102e308, v70
	v_add_f32_e32 v65, v65, v67
	s_delay_alu instid0(VALU_DEP_2) | instskip(NEXT) | instid1(VALU_DEP_2)
	v_add_f32_e32 v67, v71, v64
	v_add_f32_e32 v69, v68, v65
	s_delay_alu instid0(VALU_DEP_2) | instskip(NEXT) | instid1(VALU_DEP_2)
	v_sub_f32_e32 v71, v67, v71
	v_add_f32_e32 v70, v67, v69
	v_sub_f32_e32 v68, v69, v68
	s_delay_alu instid0(VALU_DEP_3) | instskip(NEXT) | instid1(VALU_DEP_2)
	v_sub_f32_e32 v64, v64, v71
	v_dual_sub_f32 v80, v70, v67 :: v_dual_sub_f32 v65, v65, v68
	s_delay_alu instid0(VALU_DEP_1) | instskip(NEXT) | instid1(VALU_DEP_2)
	v_sub_f32_e32 v81, v70, v80
	v_dual_sub_f32 v68, v69, v80 :: v_dual_add_f32 v69, v64, v65
	s_delay_alu instid0(VALU_DEP_2) | instskip(NEXT) | instid1(VALU_DEP_1)
	v_sub_f32_e32 v67, v67, v81
	v_dual_add_f32 v67, v68, v67 :: v_dual_sub_f32 v68, v69, v64
	s_delay_alu instid0(VALU_DEP_1) | instskip(NEXT) | instid1(VALU_DEP_2)
	v_add_f32_e32 v67, v69, v67
	v_sub_f32_e32 v69, v69, v68
	v_sub_f32_e32 v65, v65, v68
	s_delay_alu instid0(VALU_DEP_2) | instskip(NEXT) | instid1(VALU_DEP_1)
	v_dual_add_f32 v71, v70, v67 :: v_dual_sub_f32 v64, v64, v69
	v_sub_f32_e32 v68, v71, v70
	s_delay_alu instid0(VALU_DEP_2) | instskip(NEXT) | instid1(VALU_DEP_2)
	v_add_f32_e32 v64, v65, v64
	v_sub_f32_e32 v65, v67, v68
	s_delay_alu instid0(VALU_DEP_1) | instskip(NEXT) | instid1(VALU_DEP_1)
	v_add_f32_e32 v64, v64, v65
	v_add_f32_e32 v64, v71, v64
	s_delay_alu instid0(VALU_DEP_1) | instskip(NEXT) | instid1(VALU_DEP_1)
	v_cndmask_b32_e64 v64, v64, v66, s25
	v_add_f32_e32 v55, v55, v64
	s_delay_alu instid0(VALU_DEP_1)
	v_cvt_f16_f32_e32 v65, v55
.LBB390_308:
	s_or_b32 exec_lo, exec_lo, s28
	s_delay_alu instid0(VALU_DEP_1)
	v_mov_b32_e32 v64, v65
.LBB390_309:
	s_or_b32 exec_lo, exec_lo, s27
	v_add_nc_u32_e32 v55, -1, v54
	s_delay_alu instid0(VALU_DEP_1) | instskip(NEXT) | instid1(VALU_DEP_1)
	v_cmp_gt_i32_e64 s25, 0, v55
	v_cndmask_b32_e64 v54, v55, v54, s25
	v_and_b32_e32 v55, 0xffff, v64
	s_delay_alu instid0(VALU_DEP_2)
	v_lshlrev_b32_e32 v54, 2, v54
	ds_bpermute_b32 v54, v54, v55
	v_max_f32_e32 v55, v37, v37
	s_waitcnt lgkmcnt(0)
	v_cvt_f32_f16_e32 v64, v54
	v_cmp_u_f16_e64 s25, v54, v54
	s_delay_alu instid0(VALU_DEP_2) | instskip(SKIP_1) | instid1(VALU_DEP_2)
	v_min_f32_e32 v65, v64, v55
	v_max_f32_e32 v55, v64, v55
	v_cndmask_b32_e64 v65, v65, v64, s25
	s_delay_alu instid0(VALU_DEP_2) | instskip(NEXT) | instid1(VALU_DEP_2)
	v_cndmask_b32_e64 v64, v55, v64, s25
	v_cndmask_b32_e64 v55, v65, v37, s24
	s_delay_alu instid0(VALU_DEP_2) | instskip(NEXT) | instid1(VALU_DEP_2)
	v_cndmask_b32_e64 v37, v64, v37, s24
	v_cmp_class_f32_e64 s25, v55, 0x1f8
	s_delay_alu instid0(VALU_DEP_2) | instskip(NEXT) | instid1(VALU_DEP_1)
	v_cmp_neq_f32_e64 s24, v55, v37
	s_or_b32 s24, s24, s25
	s_delay_alu instid0(SALU_CYCLE_1)
	s_and_saveexec_b32 s25, s24
	s_cbranch_execz .LBB390_311
; %bb.310:
	v_sub_f32_e32 v54, v55, v37
	s_delay_alu instid0(VALU_DEP_1) | instskip(SKIP_1) | instid1(VALU_DEP_2)
	v_mul_f32_e32 v55, 0x3fb8aa3b, v54
	v_cmp_ngt_f32_e64 s24, 0xc2ce8ed0, v54
	v_fma_f32 v64, 0x3fb8aa3b, v54, -v55
	v_rndne_f32_e32 v65, v55
	s_delay_alu instid0(VALU_DEP_1) | instskip(NEXT) | instid1(VALU_DEP_1)
	v_dual_fmamk_f32 v64, v54, 0x32a5705f, v64 :: v_dual_sub_f32 v55, v55, v65
	v_add_f32_e32 v55, v55, v64
	v_cvt_i32_f32_e32 v64, v65
	s_delay_alu instid0(VALU_DEP_2) | instskip(SKIP_2) | instid1(VALU_DEP_1)
	v_exp_f32_e32 v55, v55
	s_waitcnt_depctr 0xfff
	v_ldexp_f32 v55, v55, v64
	v_cndmask_b32_e64 v55, 0, v55, s24
	v_cmp_nlt_f32_e64 s24, 0x42b17218, v54
	s_delay_alu instid0(VALU_DEP_1) | instskip(NEXT) | instid1(VALU_DEP_1)
	v_cndmask_b32_e64 v64, 0x7f800000, v55, s24
	v_add_f32_e32 v65, 1.0, v64
	v_cmp_gt_f32_e64 s27, 0x33800000, |v64|
	s_delay_alu instid0(VALU_DEP_2) | instskip(NEXT) | instid1(VALU_DEP_1)
	v_cvt_f64_f32_e32 v[54:55], v65
	v_frexp_exp_i32_f64_e32 v54, v[54:55]
	v_frexp_mant_f32_e32 v55, v65
	s_delay_alu instid0(VALU_DEP_1) | instskip(SKIP_1) | instid1(VALU_DEP_1)
	v_cmp_gt_f32_e64 s24, 0x3f2aaaab, v55
	v_add_f32_e32 v55, -1.0, v65
	v_sub_f32_e32 v67, v55, v65
	v_sub_f32_e32 v55, v64, v55
	s_delay_alu instid0(VALU_DEP_4) | instskip(SKIP_1) | instid1(VALU_DEP_1)
	v_subrev_co_ci_u32_e64 v54, s24, 0, v54, s24
	s_mov_b32 s24, 0x3e9b6dac
	v_sub_nc_u32_e32 v66, 0, v54
	v_cvt_f32_i32_e32 v54, v54
	s_delay_alu instid0(VALU_DEP_2) | instskip(NEXT) | instid1(VALU_DEP_1)
	v_ldexp_f32 v65, v65, v66
	v_dual_add_f32 v68, 1.0, v65 :: v_dual_add_f32 v67, 1.0, v67
	s_delay_alu instid0(VALU_DEP_1) | instskip(NEXT) | instid1(VALU_DEP_2)
	v_add_f32_e32 v55, v55, v67
	v_add_f32_e32 v67, -1.0, v68
	s_delay_alu instid0(VALU_DEP_2) | instskip(NEXT) | instid1(VALU_DEP_2)
	v_ldexp_f32 v55, v55, v66
	v_dual_add_f32 v66, -1.0, v65 :: v_dual_sub_f32 v67, v65, v67
	s_delay_alu instid0(VALU_DEP_1) | instskip(NEXT) | instid1(VALU_DEP_2)
	v_add_f32_e32 v69, 1.0, v66
	v_add_f32_e32 v67, v55, v67
	s_delay_alu instid0(VALU_DEP_2) | instskip(NEXT) | instid1(VALU_DEP_2)
	v_sub_f32_e32 v65, v65, v69
	v_add_f32_e32 v69, v68, v67
	s_delay_alu instid0(VALU_DEP_2) | instskip(NEXT) | instid1(VALU_DEP_2)
	v_add_f32_e32 v55, v55, v65
	v_rcp_f32_e32 v65, v69
	v_sub_f32_e32 v68, v68, v69
	s_delay_alu instid0(VALU_DEP_1) | instskip(NEXT) | instid1(VALU_DEP_1)
	v_dual_add_f32 v70, v66, v55 :: v_dual_add_f32 v67, v67, v68
	v_sub_f32_e32 v66, v66, v70
	s_waitcnt_depctr 0xfff
	v_mul_f32_e32 v71, v70, v65
	s_delay_alu instid0(VALU_DEP_1) | instskip(NEXT) | instid1(VALU_DEP_1)
	v_dual_add_f32 v55, v55, v66 :: v_dual_mul_f32 v80, v69, v71
	v_fma_f32 v68, v71, v69, -v80
	s_delay_alu instid0(VALU_DEP_1) | instskip(NEXT) | instid1(VALU_DEP_1)
	v_fmac_f32_e32 v68, v71, v67
	v_add_f32_e32 v81, v80, v68
	s_delay_alu instid0(VALU_DEP_1) | instskip(SKIP_1) | instid1(VALU_DEP_2)
	v_sub_f32_e32 v82, v70, v81
	v_sub_f32_e32 v66, v81, v80
	;; [unrolled: 1-line block ×3, first 2 shown]
	s_delay_alu instid0(VALU_DEP_2) | instskip(NEXT) | instid1(VALU_DEP_2)
	v_sub_f32_e32 v66, v66, v68
	v_sub_f32_e32 v70, v70, v81
	s_delay_alu instid0(VALU_DEP_1) | instskip(NEXT) | instid1(VALU_DEP_1)
	v_add_f32_e32 v55, v55, v70
	v_add_f32_e32 v55, v66, v55
	s_delay_alu instid0(VALU_DEP_1) | instskip(NEXT) | instid1(VALU_DEP_1)
	v_add_f32_e32 v66, v82, v55
	v_mul_f32_e32 v68, v65, v66
	s_delay_alu instid0(VALU_DEP_1) | instskip(NEXT) | instid1(VALU_DEP_1)
	v_dual_sub_f32 v81, v82, v66 :: v_dual_mul_f32 v70, v69, v68
	v_add_f32_e32 v55, v55, v81
	s_delay_alu instid0(VALU_DEP_2) | instskip(NEXT) | instid1(VALU_DEP_1)
	v_fma_f32 v69, v68, v69, -v70
	v_fmac_f32_e32 v69, v68, v67
	s_delay_alu instid0(VALU_DEP_1) | instskip(NEXT) | instid1(VALU_DEP_1)
	v_add_f32_e32 v67, v70, v69
	v_sub_f32_e32 v80, v66, v67
	v_sub_f32_e32 v70, v67, v70
	s_delay_alu instid0(VALU_DEP_2) | instskip(NEXT) | instid1(VALU_DEP_1)
	v_sub_f32_e32 v66, v66, v80
	v_sub_f32_e32 v66, v66, v67
	s_delay_alu instid0(VALU_DEP_3) | instskip(NEXT) | instid1(VALU_DEP_2)
	v_sub_f32_e32 v67, v70, v69
	v_add_f32_e32 v55, v55, v66
	v_add_f32_e32 v66, v71, v68
	s_delay_alu instid0(VALU_DEP_2) | instskip(NEXT) | instid1(VALU_DEP_2)
	v_add_f32_e32 v55, v67, v55
	v_sub_f32_e32 v67, v66, v71
	s_delay_alu instid0(VALU_DEP_2) | instskip(NEXT) | instid1(VALU_DEP_2)
	v_add_f32_e32 v55, v80, v55
	v_sub_f32_e32 v67, v68, v67
	s_delay_alu instid0(VALU_DEP_2) | instskip(NEXT) | instid1(VALU_DEP_1)
	v_mul_f32_e32 v55, v65, v55
	v_add_f32_e32 v55, v67, v55
	s_delay_alu instid0(VALU_DEP_1) | instskip(NEXT) | instid1(VALU_DEP_1)
	v_add_f32_e32 v65, v66, v55
	v_mul_f32_e32 v67, v65, v65
	s_delay_alu instid0(VALU_DEP_1) | instskip(SKIP_2) | instid1(VALU_DEP_3)
	v_fmaak_f32 v68, s24, v67, 0x3ecc95a3
	v_mul_f32_e32 v69, v65, v67
	v_cmp_eq_f32_e64 s24, 0x7f800000, v64
	v_fmaak_f32 v67, v67, v68, 0x3f2aaada
	v_ldexp_f32 v68, v65, 1
	v_sub_f32_e32 v65, v65, v66
	s_delay_alu instid0(VALU_DEP_4) | instskip(NEXT) | instid1(VALU_DEP_3)
	s_or_b32 s24, s24, s27
	v_mul_f32_e32 v67, v69, v67
	v_mul_f32_e32 v69, 0x3f317218, v54
	s_delay_alu instid0(VALU_DEP_2) | instskip(NEXT) | instid1(VALU_DEP_1)
	v_dual_sub_f32 v55, v55, v65 :: v_dual_add_f32 v66, v68, v67
	v_ldexp_f32 v55, v55, 1
	s_delay_alu instid0(VALU_DEP_2) | instskip(NEXT) | instid1(VALU_DEP_4)
	v_sub_f32_e32 v65, v66, v68
	v_fma_f32 v68, 0x3f317218, v54, -v69
	s_delay_alu instid0(VALU_DEP_1) | instskip(NEXT) | instid1(VALU_DEP_1)
	v_dual_sub_f32 v65, v67, v65 :: v_dual_fmamk_f32 v54, v54, 0xb102e308, v68
	v_add_f32_e32 v55, v55, v65
	s_delay_alu instid0(VALU_DEP_2) | instskip(NEXT) | instid1(VALU_DEP_2)
	v_add_f32_e32 v65, v69, v54
	v_add_f32_e32 v67, v66, v55
	s_delay_alu instid0(VALU_DEP_2) | instskip(NEXT) | instid1(VALU_DEP_2)
	v_sub_f32_e32 v69, v65, v69
	v_add_f32_e32 v68, v65, v67
	v_sub_f32_e32 v66, v67, v66
	s_delay_alu instid0(VALU_DEP_3) | instskip(NEXT) | instid1(VALU_DEP_2)
	v_sub_f32_e32 v54, v54, v69
	v_dual_sub_f32 v70, v68, v65 :: v_dual_sub_f32 v55, v55, v66
	s_delay_alu instid0(VALU_DEP_1) | instskip(NEXT) | instid1(VALU_DEP_2)
	v_sub_f32_e32 v71, v68, v70
	v_dual_sub_f32 v66, v67, v70 :: v_dual_add_f32 v67, v54, v55
	s_delay_alu instid0(VALU_DEP_2) | instskip(NEXT) | instid1(VALU_DEP_1)
	v_sub_f32_e32 v65, v65, v71
	v_dual_add_f32 v65, v66, v65 :: v_dual_sub_f32 v66, v67, v54
	s_delay_alu instid0(VALU_DEP_1) | instskip(NEXT) | instid1(VALU_DEP_2)
	v_add_f32_e32 v65, v67, v65
	v_sub_f32_e32 v67, v67, v66
	v_sub_f32_e32 v55, v55, v66
	s_delay_alu instid0(VALU_DEP_2) | instskip(NEXT) | instid1(VALU_DEP_1)
	v_dual_add_f32 v69, v68, v65 :: v_dual_sub_f32 v54, v54, v67
	v_sub_f32_e32 v66, v69, v68
	s_delay_alu instid0(VALU_DEP_2) | instskip(NEXT) | instid1(VALU_DEP_2)
	v_add_f32_e32 v54, v55, v54
	v_sub_f32_e32 v55, v65, v66
	s_delay_alu instid0(VALU_DEP_1) | instskip(NEXT) | instid1(VALU_DEP_1)
	v_add_f32_e32 v54, v54, v55
	v_add_f32_e32 v54, v69, v54
	s_delay_alu instid0(VALU_DEP_1) | instskip(NEXT) | instid1(VALU_DEP_1)
	v_cndmask_b32_e64 v54, v54, v64, s24
	v_add_f32_e32 v37, v37, v54
	s_delay_alu instid0(VALU_DEP_1)
	v_cvt_f16_f32_e32 v54, v37
.LBB390_311:
	s_or_b32 exec_lo, exec_lo, s25
	s_delay_alu instid0(VALU_DEP_1)
	v_cndmask_b32_e64 v54, v54, v30, s2
	; wave barrier
	ds_store_b16 v31, v54
	; wave barrier
	ds_load_u16 v37, v31 offset:2
	v_cvt_f32_f16_e32 v55, v54
	v_cmp_u_f16_e64 s2, v54, v54
	s_waitcnt lgkmcnt(0)
	v_cvt_f32_f16_e32 v64, v37
	s_delay_alu instid0(VALU_DEP_1) | instskip(SKIP_1) | instid1(VALU_DEP_2)
	v_min_f32_e32 v65, v55, v64
	v_max_f32_e32 v66, v55, v64
	v_cndmask_b32_e64 v65, v65, v55, s2
	s_delay_alu instid0(VALU_DEP_2) | instskip(SKIP_1) | instid1(VALU_DEP_1)
	v_cndmask_b32_e64 v66, v66, v55, s2
	v_cmp_u_f16_e64 s2, v37, v37
	v_cndmask_b32_e64 v55, v65, v64, s2
	s_delay_alu instid0(VALU_DEP_3) | instskip(NEXT) | instid1(VALU_DEP_2)
	v_cndmask_b32_e64 v37, v66, v64, s2
	v_cmp_class_f32_e64 s24, v55, 0x1f8
	s_delay_alu instid0(VALU_DEP_2) | instskip(NEXT) | instid1(VALU_DEP_1)
	v_cmp_neq_f32_e64 s2, v55, v37
	s_or_b32 s2, s2, s24
	s_delay_alu instid0(SALU_CYCLE_1)
	s_and_saveexec_b32 s24, s2
	s_cbranch_execz .LBB390_313
; %bb.312:
	v_sub_f32_e32 v54, v55, v37
	s_delay_alu instid0(VALU_DEP_1) | instskip(SKIP_1) | instid1(VALU_DEP_2)
	v_mul_f32_e32 v55, 0x3fb8aa3b, v54
	v_cmp_ngt_f32_e64 s2, 0xc2ce8ed0, v54
	v_fma_f32 v64, 0x3fb8aa3b, v54, -v55
	v_rndne_f32_e32 v65, v55
	s_delay_alu instid0(VALU_DEP_1) | instskip(NEXT) | instid1(VALU_DEP_1)
	v_dual_fmamk_f32 v64, v54, 0x32a5705f, v64 :: v_dual_sub_f32 v55, v55, v65
	v_add_f32_e32 v55, v55, v64
	v_cvt_i32_f32_e32 v64, v65
	s_delay_alu instid0(VALU_DEP_2) | instskip(SKIP_2) | instid1(VALU_DEP_1)
	v_exp_f32_e32 v55, v55
	s_waitcnt_depctr 0xfff
	v_ldexp_f32 v55, v55, v64
	v_cndmask_b32_e64 v55, 0, v55, s2
	v_cmp_nlt_f32_e64 s2, 0x42b17218, v54
	s_delay_alu instid0(VALU_DEP_1) | instskip(NEXT) | instid1(VALU_DEP_1)
	v_cndmask_b32_e64 v64, 0x7f800000, v55, s2
	v_add_f32_e32 v65, 1.0, v64
	v_cmp_gt_f32_e64 s25, 0x33800000, |v64|
	s_delay_alu instid0(VALU_DEP_2) | instskip(NEXT) | instid1(VALU_DEP_1)
	v_cvt_f64_f32_e32 v[54:55], v65
	v_frexp_exp_i32_f64_e32 v54, v[54:55]
	v_frexp_mant_f32_e32 v55, v65
	s_delay_alu instid0(VALU_DEP_1) | instskip(SKIP_1) | instid1(VALU_DEP_1)
	v_cmp_gt_f32_e64 s2, 0x3f2aaaab, v55
	v_add_f32_e32 v55, -1.0, v65
	v_sub_f32_e32 v67, v55, v65
	v_sub_f32_e32 v55, v64, v55
	s_delay_alu instid0(VALU_DEP_4) | instskip(SKIP_1) | instid1(VALU_DEP_1)
	v_subrev_co_ci_u32_e64 v54, s2, 0, v54, s2
	s_mov_b32 s2, 0x3e9b6dac
	v_sub_nc_u32_e32 v66, 0, v54
	v_cvt_f32_i32_e32 v54, v54
	s_delay_alu instid0(VALU_DEP_2) | instskip(NEXT) | instid1(VALU_DEP_1)
	v_ldexp_f32 v65, v65, v66
	v_dual_add_f32 v68, 1.0, v65 :: v_dual_add_f32 v67, 1.0, v67
	s_delay_alu instid0(VALU_DEP_1) | instskip(NEXT) | instid1(VALU_DEP_2)
	v_add_f32_e32 v55, v55, v67
	v_add_f32_e32 v67, -1.0, v68
	s_delay_alu instid0(VALU_DEP_2) | instskip(NEXT) | instid1(VALU_DEP_2)
	v_ldexp_f32 v55, v55, v66
	v_dual_add_f32 v66, -1.0, v65 :: v_dual_sub_f32 v67, v65, v67
	s_delay_alu instid0(VALU_DEP_1) | instskip(NEXT) | instid1(VALU_DEP_2)
	v_add_f32_e32 v69, 1.0, v66
	v_add_f32_e32 v67, v55, v67
	s_delay_alu instid0(VALU_DEP_2) | instskip(NEXT) | instid1(VALU_DEP_2)
	v_sub_f32_e32 v65, v65, v69
	v_add_f32_e32 v69, v68, v67
	s_delay_alu instid0(VALU_DEP_2) | instskip(NEXT) | instid1(VALU_DEP_2)
	v_add_f32_e32 v55, v55, v65
	v_rcp_f32_e32 v65, v69
	v_sub_f32_e32 v68, v68, v69
	s_delay_alu instid0(VALU_DEP_1) | instskip(NEXT) | instid1(VALU_DEP_1)
	v_dual_add_f32 v70, v66, v55 :: v_dual_add_f32 v67, v67, v68
	v_sub_f32_e32 v66, v66, v70
	s_waitcnt_depctr 0xfff
	v_mul_f32_e32 v71, v70, v65
	s_delay_alu instid0(VALU_DEP_1) | instskip(NEXT) | instid1(VALU_DEP_1)
	v_dual_add_f32 v55, v55, v66 :: v_dual_mul_f32 v80, v69, v71
	v_fma_f32 v68, v71, v69, -v80
	s_delay_alu instid0(VALU_DEP_1) | instskip(NEXT) | instid1(VALU_DEP_1)
	v_fmac_f32_e32 v68, v71, v67
	v_add_f32_e32 v81, v80, v68
	s_delay_alu instid0(VALU_DEP_1) | instskip(SKIP_1) | instid1(VALU_DEP_2)
	v_sub_f32_e32 v82, v70, v81
	v_sub_f32_e32 v66, v81, v80
	;; [unrolled: 1-line block ×3, first 2 shown]
	s_delay_alu instid0(VALU_DEP_2) | instskip(NEXT) | instid1(VALU_DEP_2)
	v_sub_f32_e32 v66, v66, v68
	v_sub_f32_e32 v70, v70, v81
	s_delay_alu instid0(VALU_DEP_1) | instskip(NEXT) | instid1(VALU_DEP_1)
	v_add_f32_e32 v55, v55, v70
	v_add_f32_e32 v55, v66, v55
	s_delay_alu instid0(VALU_DEP_1) | instskip(NEXT) | instid1(VALU_DEP_1)
	v_add_f32_e32 v66, v82, v55
	v_mul_f32_e32 v68, v65, v66
	s_delay_alu instid0(VALU_DEP_1) | instskip(NEXT) | instid1(VALU_DEP_1)
	v_dual_sub_f32 v81, v82, v66 :: v_dual_mul_f32 v70, v69, v68
	v_add_f32_e32 v55, v55, v81
	s_delay_alu instid0(VALU_DEP_2) | instskip(NEXT) | instid1(VALU_DEP_1)
	v_fma_f32 v69, v68, v69, -v70
	v_fmac_f32_e32 v69, v68, v67
	s_delay_alu instid0(VALU_DEP_1) | instskip(NEXT) | instid1(VALU_DEP_1)
	v_add_f32_e32 v67, v70, v69
	v_sub_f32_e32 v80, v66, v67
	v_sub_f32_e32 v70, v67, v70
	s_delay_alu instid0(VALU_DEP_2) | instskip(NEXT) | instid1(VALU_DEP_1)
	v_sub_f32_e32 v66, v66, v80
	v_sub_f32_e32 v66, v66, v67
	s_delay_alu instid0(VALU_DEP_3) | instskip(NEXT) | instid1(VALU_DEP_2)
	v_sub_f32_e32 v67, v70, v69
	v_add_f32_e32 v55, v55, v66
	v_add_f32_e32 v66, v71, v68
	s_delay_alu instid0(VALU_DEP_2) | instskip(NEXT) | instid1(VALU_DEP_2)
	v_add_f32_e32 v55, v67, v55
	v_sub_f32_e32 v67, v66, v71
	s_delay_alu instid0(VALU_DEP_2) | instskip(NEXT) | instid1(VALU_DEP_2)
	v_add_f32_e32 v55, v80, v55
	v_sub_f32_e32 v67, v68, v67
	s_delay_alu instid0(VALU_DEP_2) | instskip(NEXT) | instid1(VALU_DEP_1)
	v_mul_f32_e32 v55, v65, v55
	v_add_f32_e32 v55, v67, v55
	s_delay_alu instid0(VALU_DEP_1) | instskip(NEXT) | instid1(VALU_DEP_1)
	v_add_f32_e32 v65, v66, v55
	v_mul_f32_e32 v67, v65, v65
	s_delay_alu instid0(VALU_DEP_1) | instskip(SKIP_2) | instid1(VALU_DEP_3)
	v_fmaak_f32 v68, s2, v67, 0x3ecc95a3
	v_mul_f32_e32 v69, v65, v67
	v_cmp_eq_f32_e64 s2, 0x7f800000, v64
	v_fmaak_f32 v67, v67, v68, 0x3f2aaada
	v_ldexp_f32 v68, v65, 1
	v_sub_f32_e32 v65, v65, v66
	s_delay_alu instid0(VALU_DEP_4) | instskip(NEXT) | instid1(VALU_DEP_3)
	s_or_b32 s2, s2, s25
	v_mul_f32_e32 v67, v69, v67
	v_mul_f32_e32 v69, 0x3f317218, v54
	s_delay_alu instid0(VALU_DEP_2) | instskip(NEXT) | instid1(VALU_DEP_1)
	v_dual_sub_f32 v55, v55, v65 :: v_dual_add_f32 v66, v68, v67
	v_ldexp_f32 v55, v55, 1
	s_delay_alu instid0(VALU_DEP_2) | instskip(NEXT) | instid1(VALU_DEP_4)
	v_sub_f32_e32 v65, v66, v68
	v_fma_f32 v68, 0x3f317218, v54, -v69
	s_delay_alu instid0(VALU_DEP_1) | instskip(NEXT) | instid1(VALU_DEP_1)
	v_dual_sub_f32 v65, v67, v65 :: v_dual_fmamk_f32 v54, v54, 0xb102e308, v68
	v_add_f32_e32 v55, v55, v65
	s_delay_alu instid0(VALU_DEP_2) | instskip(NEXT) | instid1(VALU_DEP_2)
	v_add_f32_e32 v65, v69, v54
	v_add_f32_e32 v67, v66, v55
	s_delay_alu instid0(VALU_DEP_2) | instskip(NEXT) | instid1(VALU_DEP_2)
	v_sub_f32_e32 v69, v65, v69
	v_add_f32_e32 v68, v65, v67
	v_sub_f32_e32 v66, v67, v66
	s_delay_alu instid0(VALU_DEP_3) | instskip(NEXT) | instid1(VALU_DEP_2)
	v_sub_f32_e32 v54, v54, v69
	v_dual_sub_f32 v70, v68, v65 :: v_dual_sub_f32 v55, v55, v66
	s_delay_alu instid0(VALU_DEP_1) | instskip(NEXT) | instid1(VALU_DEP_2)
	v_sub_f32_e32 v71, v68, v70
	v_dual_sub_f32 v66, v67, v70 :: v_dual_add_f32 v67, v54, v55
	s_delay_alu instid0(VALU_DEP_2) | instskip(NEXT) | instid1(VALU_DEP_1)
	v_sub_f32_e32 v65, v65, v71
	v_dual_add_f32 v65, v66, v65 :: v_dual_sub_f32 v66, v67, v54
	s_delay_alu instid0(VALU_DEP_1) | instskip(NEXT) | instid1(VALU_DEP_2)
	v_add_f32_e32 v65, v67, v65
	v_sub_f32_e32 v67, v67, v66
	v_sub_f32_e32 v55, v55, v66
	s_delay_alu instid0(VALU_DEP_2) | instskip(NEXT) | instid1(VALU_DEP_1)
	v_dual_add_f32 v69, v68, v65 :: v_dual_sub_f32 v54, v54, v67
	v_sub_f32_e32 v66, v69, v68
	s_delay_alu instid0(VALU_DEP_2) | instskip(NEXT) | instid1(VALU_DEP_2)
	v_add_f32_e32 v54, v55, v54
	v_sub_f32_e32 v55, v65, v66
	s_delay_alu instid0(VALU_DEP_1) | instskip(NEXT) | instid1(VALU_DEP_1)
	v_add_f32_e32 v54, v54, v55
	v_add_f32_e32 v54, v69, v54
	s_delay_alu instid0(VALU_DEP_1) | instskip(NEXT) | instid1(VALU_DEP_1)
	v_cndmask_b32_e64 v54, v54, v64, s2
	v_add_f32_e32 v37, v37, v54
	s_delay_alu instid0(VALU_DEP_1)
	v_cvt_f16_f32_e32 v54, v37
.LBB390_313:
	s_or_b32 exec_lo, exec_lo, s24
	ds_store_b16 v31, v54 offset:2
.LBB390_314:
	s_or_b32 exec_lo, exec_lo, s26
	s_waitcnt lgkmcnt(0)
	s_barrier
	buffer_gl0_inv
	s_and_saveexec_b32 s2, s1
	s_cbranch_execz .LBB390_316
; %bb.315:
	v_add_nc_u32_e32 v30, -1, v21
	s_delay_alu instid0(VALU_DEP_1) | instskip(NEXT) | instid1(VALU_DEP_1)
	v_lshrrev_b32_e32 v31, 5, v30
	v_add_lshl_u32 v30, v31, v30, 1
	ds_load_u16 v30, v30
.LBB390_316:
	s_or_b32 exec_lo, exec_lo, s2
	v_mov_b32_e32 v37, v12
	s_and_saveexec_b32 s2, s1
	s_cbranch_execz .LBB390_320
; %bb.317:
	s_waitcnt lgkmcnt(0)
	v_cvt_f32_f16_e32 v31, v30
	v_max_f32_e32 v12, v2, v2
	v_cmp_u_f16_e64 s1, v30, v30
	s_delay_alu instid0(VALU_DEP_2) | instskip(SKIP_1) | instid1(VALU_DEP_2)
	v_min_f32_e32 v28, v31, v12
	v_max_f32_e32 v12, v31, v12
	v_cndmask_b32_e64 v28, v28, v31, s1
	s_delay_alu instid0(VALU_DEP_2) | instskip(NEXT) | instid1(VALU_DEP_2)
	v_cndmask_b32_e64 v29, v12, v31, s1
	v_cndmask_b32_e64 v12, v28, v2, s23
	s_delay_alu instid0(VALU_DEP_2) | instskip(NEXT) | instid1(VALU_DEP_2)
	v_cndmask_b32_e64 v2, v29, v2, s23
	v_cmp_class_f32_e64 s23, v12, 0x1f8
	s_delay_alu instid0(VALU_DEP_2) | instskip(NEXT) | instid1(VALU_DEP_1)
	v_cmp_neq_f32_e64 s1, v12, v2
	s_or_b32 s1, s1, s23
	s_delay_alu instid0(SALU_CYCLE_1)
	s_and_saveexec_b32 s23, s1
	s_cbranch_execz .LBB390_319
; %bb.318:
	v_sub_f32_e32 v12, v12, v2
	s_delay_alu instid0(VALU_DEP_1) | instskip(SKIP_1) | instid1(VALU_DEP_2)
	v_mul_f32_e32 v28, 0x3fb8aa3b, v12
	v_cmp_ngt_f32_e64 s1, 0xc2ce8ed0, v12
	v_fma_f32 v29, 0x3fb8aa3b, v12, -v28
	v_rndne_f32_e32 v30, v28
	s_delay_alu instid0(VALU_DEP_2) | instskip(NEXT) | instid1(VALU_DEP_2)
	v_fmamk_f32 v29, v12, 0x32a5705f, v29
	v_sub_f32_e32 v28, v28, v30
	s_delay_alu instid0(VALU_DEP_1) | instskip(SKIP_1) | instid1(VALU_DEP_2)
	v_add_f32_e32 v28, v28, v29
	v_cvt_i32_f32_e32 v29, v30
	v_exp_f32_e32 v28, v28
	s_waitcnt_depctr 0xfff
	v_ldexp_f32 v28, v28, v29
	s_delay_alu instid0(VALU_DEP_1) | instskip(SKIP_1) | instid1(VALU_DEP_1)
	v_cndmask_b32_e64 v28, 0, v28, s1
	v_cmp_nlt_f32_e64 s1, 0x42b17218, v12
	v_cndmask_b32_e64 v12, 0x7f800000, v28, s1
	s_delay_alu instid0(VALU_DEP_1) | instskip(SKIP_1) | instid1(VALU_DEP_2)
	v_add_f32_e32 v30, 1.0, v12
	v_cmp_gt_f32_e64 s24, 0x33800000, |v12|
	v_cvt_f64_f32_e32 v[28:29], v30
	s_delay_alu instid0(VALU_DEP_1) | instskip(SKIP_1) | instid1(VALU_DEP_1)
	v_frexp_exp_i32_f64_e32 v28, v[28:29]
	v_frexp_mant_f32_e32 v29, v30
	v_cmp_gt_f32_e64 s1, 0x3f2aaaab, v29
	v_add_f32_e32 v29, -1.0, v30
	s_delay_alu instid0(VALU_DEP_1) | instskip(NEXT) | instid1(VALU_DEP_1)
	v_sub_f32_e32 v37, v29, v30
	v_add_f32_e32 v37, 1.0, v37
	s_delay_alu instid0(VALU_DEP_4) | instskip(SKIP_1) | instid1(VALU_DEP_1)
	v_subrev_co_ci_u32_e64 v28, s1, 0, v28, s1
	s_mov_b32 s1, 0x3e9b6dac
	v_sub_nc_u32_e32 v31, 0, v28
	v_cvt_f32_i32_e32 v28, v28
	s_delay_alu instid0(VALU_DEP_2) | instskip(NEXT) | instid1(VALU_DEP_1)
	v_ldexp_f32 v30, v30, v31
	v_dual_sub_f32 v29, v12, v29 :: v_dual_add_f32 v54, 1.0, v30
	s_delay_alu instid0(VALU_DEP_1) | instskip(NEXT) | instid1(VALU_DEP_1)
	v_add_f32_e32 v29, v29, v37
	v_ldexp_f32 v29, v29, v31
	v_add_f32_e32 v31, -1.0, v30
	s_delay_alu instid0(VALU_DEP_1) | instskip(SKIP_1) | instid1(VALU_DEP_1)
	v_add_f32_e32 v55, 1.0, v31
	v_add_f32_e32 v37, -1.0, v54
	v_sub_f32_e32 v37, v30, v37
	s_delay_alu instid0(VALU_DEP_1) | instskip(NEXT) | instid1(VALU_DEP_1)
	v_dual_sub_f32 v30, v30, v55 :: v_dual_add_f32 v37, v29, v37
	v_add_f32_e32 v55, v54, v37
	s_delay_alu instid0(VALU_DEP_2) | instskip(NEXT) | instid1(VALU_DEP_2)
	v_add_f32_e32 v29, v29, v30
	v_rcp_f32_e32 v30, v55
	v_sub_f32_e32 v54, v54, v55
	s_delay_alu instid0(VALU_DEP_1) | instskip(NEXT) | instid1(VALU_DEP_1)
	v_dual_add_f32 v64, v31, v29 :: v_dual_add_f32 v37, v37, v54
	v_sub_f32_e32 v31, v31, v64
	s_waitcnt_depctr 0xfff
	v_mul_f32_e32 v65, v64, v30
	s_delay_alu instid0(VALU_DEP_1) | instskip(NEXT) | instid1(VALU_DEP_1)
	v_dual_mul_f32 v66, v55, v65 :: v_dual_add_f32 v29, v29, v31
	v_fma_f32 v54, v65, v55, -v66
	s_delay_alu instid0(VALU_DEP_1) | instskip(NEXT) | instid1(VALU_DEP_1)
	v_fmac_f32_e32 v54, v65, v37
	v_add_f32_e32 v67, v66, v54
	s_delay_alu instid0(VALU_DEP_1) | instskip(NEXT) | instid1(VALU_DEP_1)
	v_dual_sub_f32 v68, v64, v67 :: v_dual_sub_f32 v31, v67, v66
	v_dual_sub_f32 v64, v64, v68 :: v_dual_sub_f32 v31, v31, v54
	s_delay_alu instid0(VALU_DEP_1) | instskip(NEXT) | instid1(VALU_DEP_1)
	v_sub_f32_e32 v64, v64, v67
	v_add_f32_e32 v29, v29, v64
	s_delay_alu instid0(VALU_DEP_1) | instskip(NEXT) | instid1(VALU_DEP_1)
	v_add_f32_e32 v29, v31, v29
	v_add_f32_e32 v31, v68, v29
	s_delay_alu instid0(VALU_DEP_1) | instskip(NEXT) | instid1(VALU_DEP_1)
	v_mul_f32_e32 v54, v30, v31
	v_dual_sub_f32 v67, v68, v31 :: v_dual_mul_f32 v64, v55, v54
	s_delay_alu instid0(VALU_DEP_1) | instskip(NEXT) | instid1(VALU_DEP_2)
	v_add_f32_e32 v29, v29, v67
	v_fma_f32 v55, v54, v55, -v64
	s_delay_alu instid0(VALU_DEP_1) | instskip(NEXT) | instid1(VALU_DEP_1)
	v_fmac_f32_e32 v55, v54, v37
	v_add_f32_e32 v37, v64, v55
	s_delay_alu instid0(VALU_DEP_1) | instskip(NEXT) | instid1(VALU_DEP_1)
	v_sub_f32_e32 v66, v31, v37
	v_dual_sub_f32 v64, v37, v64 :: v_dual_sub_f32 v31, v31, v66
	s_delay_alu instid0(VALU_DEP_1) | instskip(NEXT) | instid1(VALU_DEP_2)
	v_sub_f32_e32 v31, v31, v37
	v_sub_f32_e32 v37, v64, v55
	s_delay_alu instid0(VALU_DEP_2) | instskip(SKIP_1) | instid1(VALU_DEP_2)
	v_add_f32_e32 v29, v29, v31
	v_add_f32_e32 v31, v65, v54
	;; [unrolled: 1-line block ×3, first 2 shown]
	s_delay_alu instid0(VALU_DEP_2) | instskip(NEXT) | instid1(VALU_DEP_2)
	v_sub_f32_e32 v37, v31, v65
	v_add_f32_e32 v29, v66, v29
	s_delay_alu instid0(VALU_DEP_2) | instskip(NEXT) | instid1(VALU_DEP_2)
	v_sub_f32_e32 v37, v54, v37
	v_mul_f32_e32 v29, v30, v29
	s_delay_alu instid0(VALU_DEP_1) | instskip(NEXT) | instid1(VALU_DEP_1)
	v_add_f32_e32 v29, v37, v29
	v_add_f32_e32 v30, v31, v29
	s_delay_alu instid0(VALU_DEP_1) | instskip(NEXT) | instid1(VALU_DEP_1)
	v_mul_f32_e32 v37, v30, v30
	v_fmaak_f32 v54, s1, v37, 0x3ecc95a3
	v_mul_f32_e32 v55, v30, v37
	v_cmp_eq_f32_e64 s1, 0x7f800000, v12
	s_delay_alu instid0(VALU_DEP_3) | instskip(SKIP_2) | instid1(VALU_DEP_4)
	v_fmaak_f32 v37, v37, v54, 0x3f2aaada
	v_ldexp_f32 v54, v30, 1
	v_sub_f32_e32 v30, v30, v31
	s_or_b32 s1, s1, s24
	s_delay_alu instid0(VALU_DEP_3) | instskip(SKIP_1) | instid1(VALU_DEP_3)
	v_mul_f32_e32 v37, v55, v37
	v_mul_f32_e32 v55, 0x3f317218, v28
	v_sub_f32_e32 v29, v29, v30
	s_delay_alu instid0(VALU_DEP_3) | instskip(NEXT) | instid1(VALU_DEP_2)
	v_add_f32_e32 v31, v54, v37
	v_ldexp_f32 v29, v29, 1
	s_delay_alu instid0(VALU_DEP_2) | instskip(SKIP_1) | instid1(VALU_DEP_2)
	v_sub_f32_e32 v30, v31, v54
	v_fma_f32 v54, 0x3f317218, v28, -v55
	v_sub_f32_e32 v30, v37, v30
	s_delay_alu instid0(VALU_DEP_1) | instskip(NEXT) | instid1(VALU_DEP_1)
	v_dual_fmamk_f32 v28, v28, 0xb102e308, v54 :: v_dual_add_f32 v29, v29, v30
	v_add_f32_e32 v30, v55, v28
	s_delay_alu instid0(VALU_DEP_2) | instskip(NEXT) | instid1(VALU_DEP_2)
	v_add_f32_e32 v37, v31, v29
	v_sub_f32_e32 v55, v30, v55
	s_delay_alu instid0(VALU_DEP_2) | instskip(NEXT) | instid1(VALU_DEP_2)
	v_dual_add_f32 v54, v30, v37 :: v_dual_sub_f32 v31, v37, v31
	v_sub_f32_e32 v28, v28, v55
	s_delay_alu instid0(VALU_DEP_2) | instskip(NEXT) | instid1(VALU_DEP_1)
	v_dual_sub_f32 v64, v54, v30 :: v_dual_sub_f32 v29, v29, v31
	v_sub_f32_e32 v65, v54, v64
	v_sub_f32_e32 v31, v37, v64
	s_delay_alu instid0(VALU_DEP_3) | instskip(NEXT) | instid1(VALU_DEP_3)
	v_add_f32_e32 v37, v28, v29
	v_sub_f32_e32 v30, v30, v65
	s_delay_alu instid0(VALU_DEP_1) | instskip(NEXT) | instid1(VALU_DEP_1)
	v_dual_add_f32 v30, v31, v30 :: v_dual_sub_f32 v31, v37, v28
	v_add_f32_e32 v30, v37, v30
	s_delay_alu instid0(VALU_DEP_2) | instskip(SKIP_1) | instid1(VALU_DEP_2)
	v_sub_f32_e32 v37, v37, v31
	v_sub_f32_e32 v29, v29, v31
	v_dual_add_f32 v55, v54, v30 :: v_dual_sub_f32 v28, v28, v37
	s_delay_alu instid0(VALU_DEP_1) | instskip(NEXT) | instid1(VALU_DEP_1)
	v_dual_sub_f32 v31, v55, v54 :: v_dual_add_f32 v28, v29, v28
	v_sub_f32_e32 v29, v30, v31
	s_delay_alu instid0(VALU_DEP_1) | instskip(NEXT) | instid1(VALU_DEP_1)
	v_add_f32_e32 v28, v28, v29
	v_add_f32_e32 v28, v55, v28
	s_delay_alu instid0(VALU_DEP_1) | instskip(NEXT) | instid1(VALU_DEP_1)
	v_cndmask_b32_e64 v12, v28, v12, s1
	v_add_f32_e32 v2, v2, v12
	s_delay_alu instid0(VALU_DEP_1) | instskip(NEXT) | instid1(VALU_DEP_1)
	v_cvt_f16_f32_e32 v30, v2
	v_cvt_f32_f16_e32 v31, v30
.LBB390_319:
	s_or_b32 exec_lo, exec_lo, s23
	s_delay_alu instid0(VALU_DEP_1) | instskip(SKIP_3) | instid1(VALU_DEP_3)
	v_dual_max_f32 v2, v36, v36 :: v_dual_max_f32 v29, v31, v31
	v_mov_b32_e32 v12, v30
	v_mov_b32_e32 v37, v30
	;;#ASMSTART
	;;#ASMEND
	v_min_f32_e32 v28, v29, v2
	v_dual_max_f32 v29, v29, v2 :: v_dual_mov_b32 v2, v31
.LBB390_320:
	s_or_b32 exec_lo, exec_lo, s2
	s_delay_alu instid0(VALU_DEP_1) | instskip(NEXT) | instid1(VALU_DEP_1)
	v_cmp_u_f16_e64 s1, v37, v37
	v_cndmask_b32_e64 v28, v28, v2, s1
	s_delay_alu instid0(VALU_DEP_3) | instskip(SKIP_1) | instid1(VALU_DEP_2)
	v_cndmask_b32_e64 v29, v29, v2, s1
	s_waitcnt lgkmcnt(0)
	v_cndmask_b32_e32 v30, v28, v36, vcc_lo
	s_delay_alu instid0(VALU_DEP_2) | instskip(NEXT) | instid1(VALU_DEP_2)
	v_dual_cndmask_b32 v29, v29, v36 :: v_dual_mov_b32 v28, v12
	v_cmp_class_f32_e64 s1, v30, 0x1f8
	s_delay_alu instid0(VALU_DEP_2) | instskip(NEXT) | instid1(VALU_DEP_2)
	v_cmp_neq_f32_e32 vcc_lo, v30, v29
	s_or_b32 s2, vcc_lo, s1
	s_delay_alu instid0(SALU_CYCLE_1)
	s_and_saveexec_b32 s1, s2
	s_cbranch_execz .LBB390_322
; %bb.321:
	v_sub_f32_e32 v2, v30, v29
	s_mov_b32 s2, 0x3e9b6dac
	s_delay_alu instid0(VALU_DEP_1) | instskip(SKIP_1) | instid1(VALU_DEP_2)
	v_mul_f32_e32 v28, 0x3fb8aa3b, v2
	v_cmp_ngt_f32_e32 vcc_lo, 0xc2ce8ed0, v2
	v_fma_f32 v30, 0x3fb8aa3b, v2, -v28
	v_rndne_f32_e32 v31, v28
	s_delay_alu instid0(VALU_DEP_2) | instskip(NEXT) | instid1(VALU_DEP_2)
	v_fmamk_f32 v30, v2, 0x32a5705f, v30
	v_sub_f32_e32 v28, v28, v31
	s_delay_alu instid0(VALU_DEP_1) | instskip(SKIP_1) | instid1(VALU_DEP_2)
	v_add_f32_e32 v28, v28, v30
	v_cvt_i32_f32_e32 v30, v31
	v_exp_f32_e32 v28, v28
	s_waitcnt_depctr 0xfff
	v_ldexp_f32 v28, v28, v30
	s_delay_alu instid0(VALU_DEP_1) | instskip(SKIP_1) | instid1(VALU_DEP_2)
	v_cndmask_b32_e32 v28, 0, v28, vcc_lo
	v_cmp_nlt_f32_e32 vcc_lo, 0x42b17218, v2
	v_cndmask_b32_e32 v2, 0x7f800000, v28, vcc_lo
	s_delay_alu instid0(VALU_DEP_1) | instskip(NEXT) | instid1(VALU_DEP_1)
	v_add_f32_e32 v28, 1.0, v2
	v_cvt_f64_f32_e32 v[30:31], v28
	s_delay_alu instid0(VALU_DEP_1) | instskip(SKIP_1) | instid1(VALU_DEP_1)
	v_frexp_exp_i32_f64_e32 v30, v[30:31]
	v_frexp_mant_f32_e32 v31, v28
	v_cmp_gt_f32_e32 vcc_lo, 0x3f2aaaab, v31
	v_add_f32_e32 v31, -1.0, v28
	s_delay_alu instid0(VALU_DEP_1) | instskip(SKIP_1) | instid1(VALU_DEP_2)
	v_sub_f32_e32 v37, v31, v28
	v_sub_f32_e32 v31, v2, v31
	v_add_f32_e32 v37, 1.0, v37
	s_delay_alu instid0(VALU_DEP_1) | instskip(SKIP_1) | instid1(VALU_DEP_1)
	v_add_f32_e32 v31, v31, v37
	v_subrev_co_ci_u32_e32 v30, vcc_lo, 0, v30, vcc_lo
	v_sub_nc_u32_e32 v36, 0, v30
	v_cvt_f32_i32_e32 v30, v30
	s_delay_alu instid0(VALU_DEP_2) | instskip(SKIP_1) | instid1(VALU_DEP_2)
	v_ldexp_f32 v28, v28, v36
	v_ldexp_f32 v31, v31, v36
	v_add_f32_e32 v54, 1.0, v28
	s_delay_alu instid0(VALU_DEP_1) | instskip(NEXT) | instid1(VALU_DEP_1)
	v_add_f32_e32 v37, -1.0, v54
	v_sub_f32_e32 v37, v28, v37
	v_cmp_eq_f32_e32 vcc_lo, 0x7f800000, v2
	s_delay_alu instid0(VALU_DEP_2) | instskip(NEXT) | instid1(VALU_DEP_1)
	v_dual_add_f32 v37, v31, v37 :: v_dual_add_f32 v36, -1.0, v28
	v_add_f32_e32 v55, 1.0, v36
	s_delay_alu instid0(VALU_DEP_1) | instskip(NEXT) | instid1(VALU_DEP_1)
	v_dual_sub_f32 v28, v28, v55 :: v_dual_add_f32 v55, v54, v37
	v_sub_f32_e32 v54, v54, v55
	s_delay_alu instid0(VALU_DEP_1) | instskip(SKIP_1) | instid1(VALU_DEP_1)
	v_dual_add_f32 v37, v37, v54 :: v_dual_add_f32 v28, v31, v28
	v_rcp_f32_e32 v31, v55
	v_add_f32_e32 v64, v36, v28
	s_waitcnt_depctr 0xfff
	v_mul_f32_e32 v65, v64, v31
	s_delay_alu instid0(VALU_DEP_1) | instskip(NEXT) | instid1(VALU_DEP_1)
	v_mul_f32_e32 v66, v55, v65
	v_fma_f32 v54, v65, v55, -v66
	s_delay_alu instid0(VALU_DEP_1) | instskip(NEXT) | instid1(VALU_DEP_1)
	v_fmac_f32_e32 v54, v65, v37
	v_dual_add_f32 v67, v66, v54 :: v_dual_sub_f32 v36, v36, v64
	s_delay_alu instid0(VALU_DEP_1) | instskip(NEXT) | instid1(VALU_DEP_2)
	v_sub_f32_e32 v68, v64, v67
	v_add_f32_e32 v28, v28, v36
	v_sub_f32_e32 v36, v67, v66
	s_delay_alu instid0(VALU_DEP_3) | instskip(NEXT) | instid1(VALU_DEP_2)
	v_sub_f32_e32 v64, v64, v68
	v_sub_f32_e32 v36, v36, v54
	s_delay_alu instid0(VALU_DEP_2) | instskip(NEXT) | instid1(VALU_DEP_1)
	v_sub_f32_e32 v64, v64, v67
	v_add_f32_e32 v28, v28, v64
	s_delay_alu instid0(VALU_DEP_1) | instskip(NEXT) | instid1(VALU_DEP_1)
	v_add_f32_e32 v28, v36, v28
	v_add_f32_e32 v36, v68, v28
	s_delay_alu instid0(VALU_DEP_1) | instskip(NEXT) | instid1(VALU_DEP_1)
	v_mul_f32_e32 v54, v31, v36
	v_mul_f32_e32 v64, v55, v54
	s_delay_alu instid0(VALU_DEP_1) | instskip(NEXT) | instid1(VALU_DEP_1)
	v_fma_f32 v55, v54, v55, -v64
	v_fmac_f32_e32 v55, v54, v37
	v_sub_f32_e32 v67, v68, v36
	s_delay_alu instid0(VALU_DEP_2) | instskip(NEXT) | instid1(VALU_DEP_2)
	v_add_f32_e32 v37, v64, v55
	v_add_f32_e32 v28, v28, v67
	s_delay_alu instid0(VALU_DEP_2) | instskip(SKIP_1) | instid1(VALU_DEP_2)
	v_sub_f32_e32 v66, v36, v37
	v_sub_f32_e32 v64, v37, v64
	;; [unrolled: 1-line block ×3, first 2 shown]
	s_delay_alu instid0(VALU_DEP_1) | instskip(NEXT) | instid1(VALU_DEP_3)
	v_sub_f32_e32 v36, v36, v37
	v_sub_f32_e32 v37, v64, v55
	s_delay_alu instid0(VALU_DEP_2) | instskip(SKIP_1) | instid1(VALU_DEP_1)
	v_add_f32_e32 v28, v28, v36
	v_add_f32_e32 v36, v65, v54
	v_dual_add_f32 v28, v37, v28 :: v_dual_sub_f32 v37, v36, v65
	s_delay_alu instid0(VALU_DEP_1) | instskip(NEXT) | instid1(VALU_DEP_1)
	v_add_f32_e32 v28, v66, v28
	v_dual_sub_f32 v37, v54, v37 :: v_dual_mul_f32 v28, v31, v28
	s_delay_alu instid0(VALU_DEP_1) | instskip(NEXT) | instid1(VALU_DEP_1)
	v_add_f32_e32 v28, v37, v28
	v_add_f32_e32 v31, v36, v28
	s_delay_alu instid0(VALU_DEP_1) | instskip(NEXT) | instid1(VALU_DEP_1)
	v_mul_f32_e32 v37, v31, v31
	v_fmaak_f32 v54, s2, v37, 0x3ecc95a3
	v_mul_f32_e32 v55, v31, v37
	v_cmp_gt_f32_e64 s2, 0x33800000, |v2|
	s_delay_alu instid0(VALU_DEP_3) | instskip(SKIP_2) | instid1(VALU_DEP_4)
	v_fmaak_f32 v37, v37, v54, 0x3f2aaada
	v_ldexp_f32 v54, v31, 1
	v_sub_f32_e32 v31, v31, v36
	s_or_b32 vcc_lo, vcc_lo, s2
	s_delay_alu instid0(VALU_DEP_3) | instskip(NEXT) | instid1(VALU_DEP_2)
	v_mul_f32_e32 v37, v55, v37
	v_dual_mul_f32 v55, 0x3f317218, v30 :: v_dual_sub_f32 v28, v28, v31
	s_delay_alu instid0(VALU_DEP_2) | instskip(NEXT) | instid1(VALU_DEP_2)
	v_add_f32_e32 v36, v54, v37
	v_ldexp_f32 v28, v28, 1
	s_delay_alu instid0(VALU_DEP_2) | instskip(NEXT) | instid1(VALU_DEP_4)
	v_sub_f32_e32 v31, v36, v54
	v_fma_f32 v54, 0x3f317218, v30, -v55
	s_delay_alu instid0(VALU_DEP_1) | instskip(NEXT) | instid1(VALU_DEP_1)
	v_dual_sub_f32 v31, v37, v31 :: v_dual_fmamk_f32 v30, v30, 0xb102e308, v54
	v_dual_add_f32 v28, v28, v31 :: v_dual_add_f32 v31, v55, v30
	s_delay_alu instid0(VALU_DEP_1) | instskip(NEXT) | instid1(VALU_DEP_2)
	v_add_f32_e32 v37, v36, v28
	v_sub_f32_e32 v55, v31, v55
	s_delay_alu instid0(VALU_DEP_2) | instskip(SKIP_1) | instid1(VALU_DEP_3)
	v_add_f32_e32 v54, v31, v37
	v_sub_f32_e32 v36, v37, v36
	v_sub_f32_e32 v30, v30, v55
	s_delay_alu instid0(VALU_DEP_3) | instskip(NEXT) | instid1(VALU_DEP_3)
	v_sub_f32_e32 v64, v54, v31
	v_sub_f32_e32 v28, v28, v36
	s_delay_alu instid0(VALU_DEP_2) | instskip(SKIP_1) | instid1(VALU_DEP_3)
	v_sub_f32_e32 v65, v54, v64
	v_sub_f32_e32 v36, v37, v64
	v_add_f32_e32 v37, v30, v28
	s_delay_alu instid0(VALU_DEP_3) | instskip(NEXT) | instid1(VALU_DEP_1)
	v_sub_f32_e32 v31, v31, v65
	v_dual_add_f32 v31, v36, v31 :: v_dual_sub_f32 v36, v37, v30
	s_delay_alu instid0(VALU_DEP_1) | instskip(NEXT) | instid1(VALU_DEP_2)
	v_add_f32_e32 v31, v37, v31
	v_sub_f32_e32 v37, v37, v36
	s_delay_alu instid0(VALU_DEP_2) | instskip(NEXT) | instid1(VALU_DEP_2)
	v_dual_sub_f32 v28, v28, v36 :: v_dual_add_f32 v55, v54, v31
	v_sub_f32_e32 v30, v30, v37
	s_delay_alu instid0(VALU_DEP_2) | instskip(NEXT) | instid1(VALU_DEP_2)
	v_sub_f32_e32 v36, v55, v54
	v_add_f32_e32 v28, v28, v30
	s_delay_alu instid0(VALU_DEP_2) | instskip(NEXT) | instid1(VALU_DEP_1)
	v_sub_f32_e32 v30, v31, v36
	v_add_f32_e32 v28, v28, v30
	s_delay_alu instid0(VALU_DEP_1) | instskip(NEXT) | instid1(VALU_DEP_1)
	v_add_f32_e32 v28, v55, v28
	v_cndmask_b32_e32 v2, v28, v2, vcc_lo
	s_delay_alu instid0(VALU_DEP_1) | instskip(NEXT) | instid1(VALU_DEP_1)
	v_add_f32_e32 v2, v29, v2
	v_cvt_f16_f32_e32 v37, v2
	s_delay_alu instid0(VALU_DEP_1)
	v_cvt_f32_f16_e32 v2, v37
	v_mov_b32_e32 v28, v37
.LBB390_322:
	s_or_b32 exec_lo, exec_lo, s1
	s_delay_alu instid0(VALU_DEP_2) | instskip(SKIP_1) | instid1(VALU_DEP_2)
	v_dual_max_f32 v29, v3, v3 :: v_dual_max_f32 v30, v2, v2
	v_cmp_u_f16_e32 vcc_lo, v37, v37
	v_min_f32_e32 v31, v30, v29
	s_delay_alu instid0(VALU_DEP_1) | instskip(NEXT) | instid1(VALU_DEP_1)
	v_dual_max_f32 v29, v30, v29 :: v_dual_cndmask_b32 v30, v31, v2
	v_cndmask_b32_e32 v29, v29, v2, vcc_lo
	s_delay_alu instid0(VALU_DEP_2) | instskip(NEXT) | instid1(VALU_DEP_2)
	v_cndmask_b32_e64 v30, v30, v3, s3
	v_cndmask_b32_e64 v3, v29, v3, s3
	v_mov_b32_e32 v29, v28
	s_delay_alu instid0(VALU_DEP_3) | instskip(NEXT) | instid1(VALU_DEP_3)
	v_cmp_class_f32_e64 s1, v30, 0x1f8
	v_cmp_neq_f32_e32 vcc_lo, v30, v3
	s_delay_alu instid0(VALU_DEP_2) | instskip(NEXT) | instid1(SALU_CYCLE_1)
	s_or_b32 s2, vcc_lo, s1
	s_and_saveexec_b32 s1, s2
	s_cbranch_execz .LBB390_324
; %bb.323:
	v_sub_f32_e32 v2, v30, v3
	s_mov_b32 s2, 0x3e9b6dac
	s_delay_alu instid0(VALU_DEP_1) | instskip(NEXT) | instid1(VALU_DEP_1)
	v_mul_f32_e32 v29, 0x3fb8aa3b, v2
	v_fma_f32 v30, 0x3fb8aa3b, v2, -v29
	v_rndne_f32_e32 v31, v29
	s_delay_alu instid0(VALU_DEP_1) | instskip(NEXT) | instid1(VALU_DEP_1)
	v_dual_fmamk_f32 v30, v2, 0x32a5705f, v30 :: v_dual_sub_f32 v29, v29, v31
	v_add_f32_e32 v29, v29, v30
	v_cvt_i32_f32_e32 v30, v31
	v_cmp_ngt_f32_e32 vcc_lo, 0xc2ce8ed0, v2
	s_delay_alu instid0(VALU_DEP_3) | instskip(SKIP_2) | instid1(VALU_DEP_1)
	v_exp_f32_e32 v29, v29
	s_waitcnt_depctr 0xfff
	v_ldexp_f32 v29, v29, v30
	v_cndmask_b32_e32 v29, 0, v29, vcc_lo
	v_cmp_nlt_f32_e32 vcc_lo, 0x42b17218, v2
	s_delay_alu instid0(VALU_DEP_2) | instskip(NEXT) | instid1(VALU_DEP_1)
	v_cndmask_b32_e32 v2, 0x7f800000, v29, vcc_lo
	v_add_f32_e32 v31, 1.0, v2
	s_delay_alu instid0(VALU_DEP_1) | instskip(NEXT) | instid1(VALU_DEP_1)
	v_cvt_f64_f32_e32 v[29:30], v31
	v_frexp_exp_i32_f64_e32 v29, v[29:30]
	v_frexp_mant_f32_e32 v30, v31
	s_delay_alu instid0(VALU_DEP_1) | instskip(SKIP_1) | instid1(VALU_DEP_1)
	v_cmp_gt_f32_e32 vcc_lo, 0x3f2aaaab, v30
	v_add_f32_e32 v30, -1.0, v31
	v_sub_f32_e32 v37, v30, v31
	s_delay_alu instid0(VALU_DEP_1) | instskip(NEXT) | instid1(VALU_DEP_1)
	v_dual_sub_f32 v30, v2, v30 :: v_dual_add_f32 v37, 1.0, v37
	v_add_f32_e32 v30, v30, v37
	v_subrev_co_ci_u32_e32 v29, vcc_lo, 0, v29, vcc_lo
	v_cmp_eq_f32_e32 vcc_lo, 0x7f800000, v2
	s_delay_alu instid0(VALU_DEP_2) | instskip(SKIP_1) | instid1(VALU_DEP_2)
	v_sub_nc_u32_e32 v36, 0, v29
	v_cvt_f32_i32_e32 v29, v29
	v_ldexp_f32 v31, v31, v36
	v_ldexp_f32 v30, v30, v36
	s_delay_alu instid0(VALU_DEP_2) | instskip(NEXT) | instid1(VALU_DEP_1)
	v_add_f32_e32 v54, 1.0, v31
	v_dual_add_f32 v36, -1.0, v31 :: v_dual_add_f32 v37, -1.0, v54
	s_delay_alu instid0(VALU_DEP_1) | instskip(NEXT) | instid1(VALU_DEP_2)
	v_add_f32_e32 v55, 1.0, v36
	v_sub_f32_e32 v37, v31, v37
	s_delay_alu instid0(VALU_DEP_2) | instskip(NEXT) | instid1(VALU_DEP_2)
	v_sub_f32_e32 v31, v31, v55
	v_add_f32_e32 v37, v30, v37
	s_delay_alu instid0(VALU_DEP_2) | instskip(NEXT) | instid1(VALU_DEP_1)
	v_add_f32_e32 v30, v30, v31
	v_dual_add_f32 v64, v36, v30 :: v_dual_add_f32 v55, v54, v37
	s_delay_alu instid0(VALU_DEP_1) | instskip(NEXT) | instid1(VALU_DEP_2)
	v_sub_f32_e32 v36, v36, v64
	v_rcp_f32_e32 v31, v55
	v_sub_f32_e32 v54, v54, v55
	s_delay_alu instid0(VALU_DEP_1) | instskip(SKIP_2) | instid1(VALU_DEP_1)
	v_dual_add_f32 v30, v30, v36 :: v_dual_add_f32 v37, v37, v54
	s_waitcnt_depctr 0xfff
	v_mul_f32_e32 v65, v64, v31
	v_mul_f32_e32 v66, v55, v65
	s_delay_alu instid0(VALU_DEP_1) | instskip(NEXT) | instid1(VALU_DEP_1)
	v_fma_f32 v54, v65, v55, -v66
	v_fmac_f32_e32 v54, v65, v37
	s_delay_alu instid0(VALU_DEP_1) | instskip(NEXT) | instid1(VALU_DEP_1)
	v_add_f32_e32 v67, v66, v54
	v_sub_f32_e32 v68, v64, v67
	s_delay_alu instid0(VALU_DEP_1) | instskip(SKIP_1) | instid1(VALU_DEP_2)
	v_sub_f32_e32 v64, v64, v68
	v_sub_f32_e32 v36, v67, v66
	;; [unrolled: 1-line block ×3, first 2 shown]
	s_delay_alu instid0(VALU_DEP_2) | instskip(NEXT) | instid1(VALU_DEP_2)
	v_sub_f32_e32 v36, v36, v54
	v_add_f32_e32 v30, v30, v64
	s_delay_alu instid0(VALU_DEP_1) | instskip(NEXT) | instid1(VALU_DEP_1)
	v_add_f32_e32 v30, v36, v30
	v_add_f32_e32 v36, v68, v30
	s_delay_alu instid0(VALU_DEP_1) | instskip(NEXT) | instid1(VALU_DEP_1)
	v_mul_f32_e32 v54, v31, v36
	v_dual_sub_f32 v67, v68, v36 :: v_dual_mul_f32 v64, v55, v54
	s_delay_alu instid0(VALU_DEP_1) | instskip(NEXT) | instid1(VALU_DEP_2)
	v_add_f32_e32 v30, v30, v67
	v_fma_f32 v55, v54, v55, -v64
	s_delay_alu instid0(VALU_DEP_1) | instskip(NEXT) | instid1(VALU_DEP_1)
	v_fmac_f32_e32 v55, v54, v37
	v_add_f32_e32 v37, v64, v55
	s_delay_alu instid0(VALU_DEP_1) | instskip(SKIP_1) | instid1(VALU_DEP_2)
	v_sub_f32_e32 v66, v36, v37
	v_sub_f32_e32 v64, v37, v64
	;; [unrolled: 1-line block ×3, first 2 shown]
	s_delay_alu instid0(VALU_DEP_1) | instskip(NEXT) | instid1(VALU_DEP_1)
	v_sub_f32_e32 v36, v36, v37
	v_dual_sub_f32 v37, v64, v55 :: v_dual_add_f32 v30, v30, v36
	v_add_f32_e32 v36, v65, v54
	s_delay_alu instid0(VALU_DEP_1) | instskip(NEXT) | instid1(VALU_DEP_1)
	v_dual_add_f32 v30, v37, v30 :: v_dual_sub_f32 v37, v36, v65
	v_add_f32_e32 v30, v66, v30
	s_delay_alu instid0(VALU_DEP_1) | instskip(NEXT) | instid1(VALU_DEP_1)
	v_dual_sub_f32 v37, v54, v37 :: v_dual_mul_f32 v30, v31, v30
	v_add_f32_e32 v30, v37, v30
	s_delay_alu instid0(VALU_DEP_1) | instskip(NEXT) | instid1(VALU_DEP_1)
	v_add_f32_e32 v31, v36, v30
	v_mul_f32_e32 v37, v31, v31
	s_delay_alu instid0(VALU_DEP_1) | instskip(SKIP_2) | instid1(VALU_DEP_3)
	v_fmaak_f32 v54, s2, v37, 0x3ecc95a3
	v_mul_f32_e32 v55, v31, v37
	v_cmp_gt_f32_e64 s2, 0x33800000, |v2|
	v_fmaak_f32 v37, v37, v54, 0x3f2aaada
	v_ldexp_f32 v54, v31, 1
	v_sub_f32_e32 v31, v31, v36
	s_delay_alu instid0(VALU_DEP_4) | instskip(NEXT) | instid1(VALU_DEP_3)
	s_or_b32 vcc_lo, vcc_lo, s2
	v_mul_f32_e32 v37, v55, v37
	s_delay_alu instid0(VALU_DEP_2) | instskip(NEXT) | instid1(VALU_DEP_2)
	v_dual_mul_f32 v55, 0x3f317218, v29 :: v_dual_sub_f32 v30, v30, v31
	v_add_f32_e32 v36, v54, v37
	s_delay_alu instid0(VALU_DEP_2) | instskip(NEXT) | instid1(VALU_DEP_2)
	v_ldexp_f32 v30, v30, 1
	v_sub_f32_e32 v31, v36, v54
	s_delay_alu instid0(VALU_DEP_4) | instskip(NEXT) | instid1(VALU_DEP_2)
	v_fma_f32 v54, 0x3f317218, v29, -v55
	v_sub_f32_e32 v31, v37, v31
	s_delay_alu instid0(VALU_DEP_1) | instskip(NEXT) | instid1(VALU_DEP_1)
	v_dual_fmamk_f32 v29, v29, 0xb102e308, v54 :: v_dual_add_f32 v30, v30, v31
	v_add_f32_e32 v31, v55, v29
	s_delay_alu instid0(VALU_DEP_1) | instskip(NEXT) | instid1(VALU_DEP_1)
	v_sub_f32_e32 v55, v31, v55
	v_sub_f32_e32 v29, v29, v55
	s_delay_alu instid0(VALU_DEP_4) | instskip(NEXT) | instid1(VALU_DEP_1)
	v_add_f32_e32 v37, v36, v30
	v_sub_f32_e32 v36, v37, v36
	s_delay_alu instid0(VALU_DEP_1) | instskip(SKIP_1) | instid1(VALU_DEP_1)
	v_sub_f32_e32 v30, v30, v36
	v_add_f32_e32 v54, v31, v37
	v_sub_f32_e32 v64, v54, v31
	s_delay_alu instid0(VALU_DEP_1) | instskip(NEXT) | instid1(VALU_DEP_4)
	v_sub_f32_e32 v36, v37, v64
	v_add_f32_e32 v37, v29, v30
	v_sub_f32_e32 v65, v54, v64
	s_delay_alu instid0(VALU_DEP_1) | instskip(NEXT) | instid1(VALU_DEP_1)
	v_sub_f32_e32 v31, v31, v65
	v_dual_add_f32 v31, v36, v31 :: v_dual_sub_f32 v36, v37, v29
	s_delay_alu instid0(VALU_DEP_1) | instskip(SKIP_1) | instid1(VALU_DEP_2)
	v_dual_add_f32 v31, v37, v31 :: v_dual_sub_f32 v30, v30, v36
	v_sub_f32_e32 v37, v37, v36
	v_add_f32_e32 v55, v54, v31
	s_delay_alu instid0(VALU_DEP_1) | instskip(NEXT) | instid1(VALU_DEP_1)
	v_dual_sub_f32 v29, v29, v37 :: v_dual_sub_f32 v36, v55, v54
	v_dual_add_f32 v29, v30, v29 :: v_dual_sub_f32 v30, v31, v36
	s_delay_alu instid0(VALU_DEP_1) | instskip(NEXT) | instid1(VALU_DEP_1)
	v_add_f32_e32 v29, v29, v30
	v_add_f32_e32 v29, v55, v29
	s_delay_alu instid0(VALU_DEP_1) | instskip(NEXT) | instid1(VALU_DEP_1)
	v_cndmask_b32_e32 v2, v29, v2, vcc_lo
	v_add_f32_e32 v2, v3, v2
	s_delay_alu instid0(VALU_DEP_1) | instskip(NEXT) | instid1(VALU_DEP_1)
	v_cvt_f16_f32_e32 v37, v2
	v_mov_b32_e32 v29, v37
	v_cvt_f32_f16_e32 v2, v37
.LBB390_324:
	s_or_b32 exec_lo, exec_lo, s1
	v_max_f32_e32 v3, v6, v6
	s_delay_alu instid0(VALU_DEP_2) | instskip(SKIP_1) | instid1(VALU_DEP_2)
	v_max_f32_e32 v30, v2, v2
	v_cmp_u_f16_e32 vcc_lo, v37, v37
	v_min_f32_e32 v31, v30, v3
	s_delay_alu instid0(VALU_DEP_1) | instskip(NEXT) | instid1(VALU_DEP_1)
	v_dual_max_f32 v3, v30, v3 :: v_dual_cndmask_b32 v30, v31, v2
	v_cndmask_b32_e32 v3, v3, v2, vcc_lo
	s_delay_alu instid0(VALU_DEP_2) | instskip(NEXT) | instid1(VALU_DEP_2)
	v_cndmask_b32_e64 v31, v30, v6, s4
	v_cndmask_b32_e64 v3, v3, v6, s4
	v_mov_b32_e32 v30, v29
	s_delay_alu instid0(VALU_DEP_3) | instskip(NEXT) | instid1(VALU_DEP_3)
	v_cmp_class_f32_e64 s1, v31, 0x1f8
	v_cmp_neq_f32_e32 vcc_lo, v31, v3
	s_delay_alu instid0(VALU_DEP_2) | instskip(NEXT) | instid1(SALU_CYCLE_1)
	s_or_b32 s2, vcc_lo, s1
	s_and_saveexec_b32 s1, s2
	s_cbranch_execz .LBB390_326
; %bb.325:
	v_sub_f32_e32 v2, v31, v3
	s_mov_b32 s2, 0x3e9b6dac
	s_delay_alu instid0(VALU_DEP_1) | instskip(SKIP_1) | instid1(VALU_DEP_2)
	v_mul_f32_e32 v6, 0x3fb8aa3b, v2
	v_cmp_ngt_f32_e32 vcc_lo, 0xc2ce8ed0, v2
	v_fma_f32 v30, 0x3fb8aa3b, v2, -v6
	v_rndne_f32_e32 v31, v6
	s_delay_alu instid0(VALU_DEP_2) | instskip(NEXT) | instid1(VALU_DEP_2)
	v_fmamk_f32 v30, v2, 0x32a5705f, v30
	v_sub_f32_e32 v6, v6, v31
	s_delay_alu instid0(VALU_DEP_1) | instskip(SKIP_1) | instid1(VALU_DEP_2)
	v_add_f32_e32 v6, v6, v30
	v_cvt_i32_f32_e32 v30, v31
	v_exp_f32_e32 v6, v6
	s_waitcnt_depctr 0xfff
	v_ldexp_f32 v6, v6, v30
	s_delay_alu instid0(VALU_DEP_1) | instskip(SKIP_1) | instid1(VALU_DEP_2)
	v_cndmask_b32_e32 v6, 0, v6, vcc_lo
	v_cmp_nlt_f32_e32 vcc_lo, 0x42b17218, v2
	v_cndmask_b32_e32 v2, 0x7f800000, v6, vcc_lo
	s_delay_alu instid0(VALU_DEP_1) | instskip(NEXT) | instid1(VALU_DEP_1)
	v_add_f32_e32 v6, 1.0, v2
	v_cvt_f64_f32_e32 v[30:31], v6
	s_delay_alu instid0(VALU_DEP_1) | instskip(SKIP_1) | instid1(VALU_DEP_1)
	v_frexp_exp_i32_f64_e32 v30, v[30:31]
	v_frexp_mant_f32_e32 v31, v6
	v_cmp_gt_f32_e32 vcc_lo, 0x3f2aaaab, v31
	v_add_f32_e32 v31, -1.0, v6
	s_delay_alu instid0(VALU_DEP_1) | instskip(SKIP_1) | instid1(VALU_DEP_2)
	v_sub_f32_e32 v37, v31, v6
	v_sub_f32_e32 v31, v2, v31
	v_add_f32_e32 v37, 1.0, v37
	s_delay_alu instid0(VALU_DEP_1) | instskip(SKIP_1) | instid1(VALU_DEP_1)
	v_add_f32_e32 v31, v31, v37
	v_subrev_co_ci_u32_e32 v30, vcc_lo, 0, v30, vcc_lo
	v_sub_nc_u32_e32 v36, 0, v30
	v_cvt_f32_i32_e32 v30, v30
	s_delay_alu instid0(VALU_DEP_2) | instskip(SKIP_1) | instid1(VALU_DEP_2)
	v_ldexp_f32 v6, v6, v36
	v_ldexp_f32 v31, v31, v36
	v_add_f32_e32 v54, 1.0, v6
	v_add_f32_e32 v36, -1.0, v6
	s_delay_alu instid0(VALU_DEP_1) | instskip(NEXT) | instid1(VALU_DEP_3)
	v_add_f32_e32 v55, 1.0, v36
	v_add_f32_e32 v37, -1.0, v54
	s_delay_alu instid0(VALU_DEP_1) | instskip(NEXT) | instid1(VALU_DEP_3)
	v_sub_f32_e32 v37, v6, v37
	v_sub_f32_e32 v6, v6, v55
	v_cmp_eq_f32_e32 vcc_lo, 0x7f800000, v2
	s_delay_alu instid0(VALU_DEP_3) | instskip(NEXT) | instid1(VALU_DEP_1)
	v_add_f32_e32 v37, v31, v37
	v_dual_add_f32 v6, v31, v6 :: v_dual_add_f32 v55, v54, v37
	s_delay_alu instid0(VALU_DEP_1) | instskip(NEXT) | instid1(VALU_DEP_2)
	v_add_f32_e32 v64, v36, v6
	v_rcp_f32_e32 v31, v55
	s_delay_alu instid0(VALU_DEP_1) | instskip(SKIP_3) | instid1(VALU_DEP_1)
	v_sub_f32_e32 v36, v36, v64
	s_waitcnt_depctr 0xfff
	v_dual_add_f32 v6, v6, v36 :: v_dual_mul_f32 v65, v64, v31
	v_sub_f32_e32 v54, v54, v55
	v_dual_mul_f32 v66, v55, v65 :: v_dual_add_f32 v37, v37, v54
	s_delay_alu instid0(VALU_DEP_1) | instskip(NEXT) | instid1(VALU_DEP_1)
	v_fma_f32 v54, v65, v55, -v66
	v_fmac_f32_e32 v54, v65, v37
	s_delay_alu instid0(VALU_DEP_1) | instskip(NEXT) | instid1(VALU_DEP_1)
	v_add_f32_e32 v67, v66, v54
	v_sub_f32_e32 v68, v64, v67
	v_sub_f32_e32 v36, v67, v66
	s_delay_alu instid0(VALU_DEP_2) | instskip(NEXT) | instid1(VALU_DEP_2)
	v_sub_f32_e32 v64, v64, v68
	v_sub_f32_e32 v36, v36, v54
	s_delay_alu instid0(VALU_DEP_2) | instskip(NEXT) | instid1(VALU_DEP_1)
	v_sub_f32_e32 v64, v64, v67
	v_add_f32_e32 v6, v6, v64
	s_delay_alu instid0(VALU_DEP_1) | instskip(NEXT) | instid1(VALU_DEP_1)
	v_add_f32_e32 v6, v36, v6
	v_add_f32_e32 v36, v68, v6
	s_delay_alu instid0(VALU_DEP_1) | instskip(NEXT) | instid1(VALU_DEP_1)
	v_mul_f32_e32 v54, v31, v36
	v_dual_sub_f32 v67, v68, v36 :: v_dual_mul_f32 v64, v55, v54
	s_delay_alu instid0(VALU_DEP_1) | instskip(NEXT) | instid1(VALU_DEP_2)
	v_add_f32_e32 v6, v6, v67
	v_fma_f32 v55, v54, v55, -v64
	s_delay_alu instid0(VALU_DEP_1) | instskip(NEXT) | instid1(VALU_DEP_1)
	v_fmac_f32_e32 v55, v54, v37
	v_add_f32_e32 v37, v64, v55
	s_delay_alu instid0(VALU_DEP_1) | instskip(SKIP_1) | instid1(VALU_DEP_2)
	v_sub_f32_e32 v66, v36, v37
	v_sub_f32_e32 v64, v37, v64
	v_sub_f32_e32 v36, v36, v66
	s_delay_alu instid0(VALU_DEP_1) | instskip(NEXT) | instid1(VALU_DEP_1)
	v_sub_f32_e32 v36, v36, v37
	v_dual_sub_f32 v37, v64, v55 :: v_dual_add_f32 v6, v6, v36
	v_add_f32_e32 v36, v65, v54
	s_delay_alu instid0(VALU_DEP_1) | instskip(NEXT) | instid1(VALU_DEP_1)
	v_dual_add_f32 v6, v37, v6 :: v_dual_sub_f32 v37, v36, v65
	v_add_f32_e32 v6, v66, v6
	s_delay_alu instid0(VALU_DEP_1) | instskip(NEXT) | instid1(VALU_DEP_1)
	v_dual_sub_f32 v37, v54, v37 :: v_dual_mul_f32 v6, v31, v6
	v_add_f32_e32 v6, v37, v6
	s_delay_alu instid0(VALU_DEP_1) | instskip(NEXT) | instid1(VALU_DEP_1)
	v_add_f32_e32 v31, v36, v6
	v_mul_f32_e32 v37, v31, v31
	s_delay_alu instid0(VALU_DEP_1) | instskip(SKIP_2) | instid1(VALU_DEP_3)
	v_fmaak_f32 v54, s2, v37, 0x3ecc95a3
	v_mul_f32_e32 v55, v31, v37
	v_cmp_gt_f32_e64 s2, 0x33800000, |v2|
	v_fmaak_f32 v37, v37, v54, 0x3f2aaada
	v_ldexp_f32 v54, v31, 1
	v_sub_f32_e32 v31, v31, v36
	s_delay_alu instid0(VALU_DEP_4) | instskip(NEXT) | instid1(VALU_DEP_3)
	s_or_b32 vcc_lo, vcc_lo, s2
	v_mul_f32_e32 v37, v55, v37
	s_delay_alu instid0(VALU_DEP_2) | instskip(NEXT) | instid1(VALU_DEP_2)
	v_dual_mul_f32 v55, 0x3f317218, v30 :: v_dual_sub_f32 v6, v6, v31
	v_add_f32_e32 v36, v54, v37
	s_delay_alu instid0(VALU_DEP_2) | instskip(NEXT) | instid1(VALU_DEP_2)
	v_ldexp_f32 v6, v6, 1
	v_sub_f32_e32 v31, v36, v54
	s_delay_alu instid0(VALU_DEP_4) | instskip(NEXT) | instid1(VALU_DEP_1)
	v_fma_f32 v54, 0x3f317218, v30, -v55
	v_dual_sub_f32 v31, v37, v31 :: v_dual_fmamk_f32 v30, v30, 0xb102e308, v54
	s_delay_alu instid0(VALU_DEP_1) | instskip(NEXT) | instid1(VALU_DEP_1)
	v_dual_add_f32 v6, v6, v31 :: v_dual_add_f32 v31, v55, v30
	v_add_f32_e32 v37, v36, v6
	s_delay_alu instid0(VALU_DEP_2) | instskip(NEXT) | instid1(VALU_DEP_2)
	v_sub_f32_e32 v55, v31, v55
	v_add_f32_e32 v54, v31, v37
	v_sub_f32_e32 v36, v37, v36
	s_delay_alu instid0(VALU_DEP_3) | instskip(NEXT) | instid1(VALU_DEP_3)
	v_sub_f32_e32 v30, v30, v55
	v_sub_f32_e32 v64, v54, v31
	s_delay_alu instid0(VALU_DEP_3) | instskip(NEXT) | instid1(VALU_DEP_2)
	v_sub_f32_e32 v6, v6, v36
	v_sub_f32_e32 v65, v54, v64
	s_delay_alu instid0(VALU_DEP_2) | instskip(NEXT) | instid1(VALU_DEP_2)
	v_dual_sub_f32 v36, v37, v64 :: v_dual_add_f32 v37, v30, v6
	v_sub_f32_e32 v31, v31, v65
	s_delay_alu instid0(VALU_DEP_1) | instskip(NEXT) | instid1(VALU_DEP_1)
	v_dual_add_f32 v31, v36, v31 :: v_dual_sub_f32 v36, v37, v30
	v_add_f32_e32 v31, v37, v31
	s_delay_alu instid0(VALU_DEP_2) | instskip(SKIP_1) | instid1(VALU_DEP_3)
	v_sub_f32_e32 v37, v37, v36
	v_sub_f32_e32 v6, v6, v36
	v_add_f32_e32 v55, v54, v31
	s_delay_alu instid0(VALU_DEP_3) | instskip(NEXT) | instid1(VALU_DEP_2)
	v_sub_f32_e32 v30, v30, v37
	v_sub_f32_e32 v36, v55, v54
	s_delay_alu instid0(VALU_DEP_2) | instskip(NEXT) | instid1(VALU_DEP_2)
	v_add_f32_e32 v6, v6, v30
	v_sub_f32_e32 v30, v31, v36
	s_delay_alu instid0(VALU_DEP_1) | instskip(NEXT) | instid1(VALU_DEP_1)
	v_add_f32_e32 v6, v6, v30
	v_add_f32_e32 v6, v55, v6
	s_delay_alu instid0(VALU_DEP_1) | instskip(NEXT) | instid1(VALU_DEP_1)
	v_cndmask_b32_e32 v2, v6, v2, vcc_lo
	v_add_f32_e32 v2, v3, v2
	s_delay_alu instid0(VALU_DEP_1) | instskip(NEXT) | instid1(VALU_DEP_1)
	v_cvt_f16_f32_e32 v37, v2
	v_cvt_f32_f16_e32 v2, v37
	v_mov_b32_e32 v30, v37
.LBB390_326:
	s_or_b32 exec_lo, exec_lo, s1
	s_delay_alu instid0(VALU_DEP_2) | instskip(SKIP_1) | instid1(VALU_DEP_2)
	v_dual_max_f32 v3, v7, v7 :: v_dual_max_f32 v6, v2, v2
	v_cmp_u_f16_e32 vcc_lo, v37, v37
	v_min_f32_e32 v31, v6, v3
	s_delay_alu instid0(VALU_DEP_1) | instskip(NEXT) | instid1(VALU_DEP_1)
	v_dual_max_f32 v3, v6, v3 :: v_dual_cndmask_b32 v6, v31, v2
	v_cndmask_b32_e32 v3, v3, v2, vcc_lo
	v_mov_b32_e32 v31, v30
	s_delay_alu instid0(VALU_DEP_3) | instskip(NEXT) | instid1(VALU_DEP_3)
	v_cndmask_b32_e64 v6, v6, v7, s5
	v_cndmask_b32_e64 v3, v3, v7, s5
	s_delay_alu instid0(VALU_DEP_2) | instskip(NEXT) | instid1(VALU_DEP_2)
	v_cmp_class_f32_e64 s1, v6, 0x1f8
	v_cmp_neq_f32_e32 vcc_lo, v6, v3
	s_delay_alu instid0(VALU_DEP_2) | instskip(NEXT) | instid1(SALU_CYCLE_1)
	s_or_b32 s2, vcc_lo, s1
	s_and_saveexec_b32 s1, s2
	s_cbranch_execz .LBB390_328
; %bb.327:
	v_sub_f32_e32 v2, v6, v3
	s_mov_b32 s2, 0x3e9b6dac
	s_delay_alu instid0(VALU_DEP_1) | instskip(SKIP_1) | instid1(VALU_DEP_2)
	v_mul_f32_e32 v6, 0x3fb8aa3b, v2
	v_cmp_ngt_f32_e32 vcc_lo, 0xc2ce8ed0, v2
	v_fma_f32 v7, 0x3fb8aa3b, v2, -v6
	v_rndne_f32_e32 v31, v6
	s_delay_alu instid0(VALU_DEP_2) | instskip(NEXT) | instid1(VALU_DEP_2)
	v_fmamk_f32 v7, v2, 0x32a5705f, v7
	v_sub_f32_e32 v6, v6, v31
	s_delay_alu instid0(VALU_DEP_1) | instskip(SKIP_1) | instid1(VALU_DEP_2)
	v_add_f32_e32 v6, v6, v7
	v_cvt_i32_f32_e32 v7, v31
	v_exp_f32_e32 v6, v6
	s_waitcnt_depctr 0xfff
	v_ldexp_f32 v6, v6, v7
	s_delay_alu instid0(VALU_DEP_1) | instskip(SKIP_1) | instid1(VALU_DEP_2)
	v_cndmask_b32_e32 v6, 0, v6, vcc_lo
	v_cmp_nlt_f32_e32 vcc_lo, 0x42b17218, v2
	v_cndmask_b32_e32 v2, 0x7f800000, v6, vcc_lo
	s_delay_alu instid0(VALU_DEP_1) | instskip(NEXT) | instid1(VALU_DEP_1)
	v_add_f32_e32 v31, 1.0, v2
	v_cvt_f64_f32_e32 v[6:7], v31
	s_delay_alu instid0(VALU_DEP_1) | instskip(SKIP_1) | instid1(VALU_DEP_1)
	v_frexp_exp_i32_f64_e32 v6, v[6:7]
	v_frexp_mant_f32_e32 v7, v31
	v_cmp_gt_f32_e32 vcc_lo, 0x3f2aaaab, v7
	v_add_f32_e32 v7, -1.0, v31
	s_delay_alu instid0(VALU_DEP_1) | instskip(SKIP_1) | instid1(VALU_DEP_2)
	v_sub_f32_e32 v37, v7, v31
	v_sub_f32_e32 v7, v2, v7
	v_add_f32_e32 v37, 1.0, v37
	s_delay_alu instid0(VALU_DEP_1) | instskip(SKIP_2) | instid1(VALU_DEP_2)
	v_add_f32_e32 v7, v7, v37
	v_subrev_co_ci_u32_e32 v6, vcc_lo, 0, v6, vcc_lo
	v_cmp_eq_f32_e32 vcc_lo, 0x7f800000, v2
	v_sub_nc_u32_e32 v36, 0, v6
	v_cvt_f32_i32_e32 v6, v6
	s_delay_alu instid0(VALU_DEP_2) | instskip(SKIP_1) | instid1(VALU_DEP_2)
	v_ldexp_f32 v31, v31, v36
	v_ldexp_f32 v7, v7, v36
	v_add_f32_e32 v54, 1.0, v31
	s_delay_alu instid0(VALU_DEP_1) | instskip(NEXT) | instid1(VALU_DEP_1)
	v_dual_add_f32 v36, -1.0, v31 :: v_dual_add_f32 v37, -1.0, v54
	v_add_f32_e32 v55, 1.0, v36
	s_delay_alu instid0(VALU_DEP_2) | instskip(NEXT) | instid1(VALU_DEP_2)
	v_sub_f32_e32 v37, v31, v37
	v_sub_f32_e32 v31, v31, v55
	s_delay_alu instid0(VALU_DEP_2) | instskip(NEXT) | instid1(VALU_DEP_2)
	v_add_f32_e32 v37, v7, v37
	v_add_f32_e32 v7, v7, v31
	s_delay_alu instid0(VALU_DEP_1) | instskip(NEXT) | instid1(VALU_DEP_1)
	v_dual_add_f32 v64, v36, v7 :: v_dual_add_f32 v55, v54, v37
	v_sub_f32_e32 v36, v36, v64
	s_delay_alu instid0(VALU_DEP_2) | instskip(SKIP_1) | instid1(VALU_DEP_1)
	v_rcp_f32_e32 v31, v55
	v_sub_f32_e32 v54, v54, v55
	v_add_f32_e32 v37, v37, v54
	s_waitcnt_depctr 0xfff
	v_mul_f32_e32 v65, v64, v31
	s_delay_alu instid0(VALU_DEP_1) | instskip(NEXT) | instid1(VALU_DEP_1)
	v_mul_f32_e32 v66, v55, v65
	v_fma_f32 v54, v65, v55, -v66
	s_delay_alu instid0(VALU_DEP_1) | instskip(NEXT) | instid1(VALU_DEP_1)
	v_fmac_f32_e32 v54, v65, v37
	v_add_f32_e32 v67, v66, v54
	s_delay_alu instid0(VALU_DEP_1) | instskip(NEXT) | instid1(VALU_DEP_1)
	v_sub_f32_e32 v68, v64, v67
	v_sub_f32_e32 v64, v64, v68
	v_add_f32_e32 v7, v7, v36
	v_sub_f32_e32 v36, v67, v66
	s_delay_alu instid0(VALU_DEP_3) | instskip(NEXT) | instid1(VALU_DEP_1)
	v_sub_f32_e32 v64, v64, v67
	v_dual_sub_f32 v36, v36, v54 :: v_dual_add_f32 v7, v7, v64
	s_delay_alu instid0(VALU_DEP_1) | instskip(NEXT) | instid1(VALU_DEP_1)
	v_add_f32_e32 v7, v36, v7
	v_add_f32_e32 v36, v68, v7
	s_delay_alu instid0(VALU_DEP_1) | instskip(NEXT) | instid1(VALU_DEP_1)
	v_mul_f32_e32 v54, v31, v36
	v_dual_sub_f32 v67, v68, v36 :: v_dual_mul_f32 v64, v55, v54
	s_delay_alu instid0(VALU_DEP_1) | instskip(NEXT) | instid1(VALU_DEP_2)
	v_add_f32_e32 v7, v7, v67
	v_fma_f32 v55, v54, v55, -v64
	s_delay_alu instid0(VALU_DEP_1) | instskip(NEXT) | instid1(VALU_DEP_1)
	v_fmac_f32_e32 v55, v54, v37
	v_add_f32_e32 v37, v64, v55
	s_delay_alu instid0(VALU_DEP_1) | instskip(NEXT) | instid1(VALU_DEP_1)
	v_sub_f32_e32 v66, v36, v37
	v_sub_f32_e32 v36, v36, v66
	s_delay_alu instid0(VALU_DEP_1) | instskip(NEXT) | instid1(VALU_DEP_1)
	v_sub_f32_e32 v36, v36, v37
	v_dual_add_f32 v7, v7, v36 :: v_dual_add_f32 v36, v65, v54
	v_sub_f32_e32 v64, v37, v64
	s_delay_alu instid0(VALU_DEP_1) | instskip(NEXT) | instid1(VALU_DEP_1)
	v_sub_f32_e32 v37, v64, v55
	v_add_f32_e32 v7, v37, v7
	s_delay_alu instid0(VALU_DEP_4) | instskip(NEXT) | instid1(VALU_DEP_2)
	v_sub_f32_e32 v37, v36, v65
	v_add_f32_e32 v7, v66, v7
	s_delay_alu instid0(VALU_DEP_2) | instskip(NEXT) | instid1(VALU_DEP_2)
	v_sub_f32_e32 v37, v54, v37
	v_mul_f32_e32 v7, v31, v7
	s_delay_alu instid0(VALU_DEP_1) | instskip(NEXT) | instid1(VALU_DEP_1)
	v_add_f32_e32 v7, v37, v7
	v_add_f32_e32 v31, v36, v7
	s_delay_alu instid0(VALU_DEP_1) | instskip(NEXT) | instid1(VALU_DEP_1)
	v_mul_f32_e32 v37, v31, v31
	v_fmaak_f32 v54, s2, v37, 0x3ecc95a3
	v_mul_f32_e32 v55, v31, v37
	v_cmp_gt_f32_e64 s2, 0x33800000, |v2|
	s_delay_alu instid0(VALU_DEP_3) | instskip(SKIP_2) | instid1(VALU_DEP_4)
	v_fmaak_f32 v37, v37, v54, 0x3f2aaada
	v_ldexp_f32 v54, v31, 1
	v_sub_f32_e32 v31, v31, v36
	s_or_b32 vcc_lo, vcc_lo, s2
	s_delay_alu instid0(VALU_DEP_3) | instskip(SKIP_1) | instid1(VALU_DEP_2)
	v_mul_f32_e32 v37, v55, v37
	v_mul_f32_e32 v55, 0x3f317218, v6
	v_dual_sub_f32 v7, v7, v31 :: v_dual_add_f32 v36, v54, v37
	s_delay_alu instid0(VALU_DEP_1) | instskip(NEXT) | instid1(VALU_DEP_2)
	v_ldexp_f32 v7, v7, 1
	v_sub_f32_e32 v31, v36, v54
	s_delay_alu instid0(VALU_DEP_4) | instskip(NEXT) | instid1(VALU_DEP_1)
	v_fma_f32 v54, 0x3f317218, v6, -v55
	v_dual_sub_f32 v31, v37, v31 :: v_dual_fmamk_f32 v6, v6, 0xb102e308, v54
	s_delay_alu instid0(VALU_DEP_1) | instskip(NEXT) | instid1(VALU_DEP_2)
	v_add_f32_e32 v7, v7, v31
	v_add_f32_e32 v31, v55, v6
	s_delay_alu instid0(VALU_DEP_2) | instskip(NEXT) | instid1(VALU_DEP_2)
	v_add_f32_e32 v37, v36, v7
	v_sub_f32_e32 v55, v31, v55
	s_delay_alu instid0(VALU_DEP_2) | instskip(SKIP_1) | instid1(VALU_DEP_3)
	v_add_f32_e32 v54, v31, v37
	v_sub_f32_e32 v36, v37, v36
	v_sub_f32_e32 v6, v6, v55
	s_delay_alu instid0(VALU_DEP_2) | instskip(NEXT) | instid1(VALU_DEP_1)
	v_dual_sub_f32 v64, v54, v31 :: v_dual_sub_f32 v7, v7, v36
	v_sub_f32_e32 v65, v54, v64
	s_delay_alu instid0(VALU_DEP_2) | instskip(NEXT) | instid1(VALU_DEP_2)
	v_dual_sub_f32 v36, v37, v64 :: v_dual_add_f32 v37, v6, v7
	v_sub_f32_e32 v31, v31, v65
	s_delay_alu instid0(VALU_DEP_1) | instskip(NEXT) | instid1(VALU_DEP_1)
	v_dual_add_f32 v31, v36, v31 :: v_dual_sub_f32 v36, v37, v6
	v_add_f32_e32 v31, v37, v31
	s_delay_alu instid0(VALU_DEP_2) | instskip(SKIP_1) | instid1(VALU_DEP_3)
	v_sub_f32_e32 v37, v37, v36
	v_sub_f32_e32 v7, v7, v36
	v_add_f32_e32 v55, v54, v31
	s_delay_alu instid0(VALU_DEP_3) | instskip(NEXT) | instid1(VALU_DEP_2)
	v_sub_f32_e32 v6, v6, v37
	v_sub_f32_e32 v36, v55, v54
	s_delay_alu instid0(VALU_DEP_2) | instskip(NEXT) | instid1(VALU_DEP_2)
	v_add_f32_e32 v6, v7, v6
	v_sub_f32_e32 v7, v31, v36
	s_delay_alu instid0(VALU_DEP_1) | instskip(NEXT) | instid1(VALU_DEP_1)
	v_add_f32_e32 v6, v6, v7
	v_add_f32_e32 v6, v55, v6
	s_delay_alu instid0(VALU_DEP_1) | instskip(NEXT) | instid1(VALU_DEP_1)
	v_cndmask_b32_e32 v2, v6, v2, vcc_lo
	v_add_f32_e32 v2, v3, v2
	s_delay_alu instid0(VALU_DEP_1) | instskip(NEXT) | instid1(VALU_DEP_1)
	v_cvt_f16_f32_e32 v37, v2
	v_cvt_f32_f16_e32 v2, v37
	v_mov_b32_e32 v31, v37
.LBB390_328:
	s_or_b32 exec_lo, exec_lo, s1
	s_delay_alu instid0(VALU_DEP_2) | instskip(SKIP_1) | instid1(VALU_DEP_3)
	v_dual_max_f32 v3, v13, v13 :: v_dual_max_f32 v6, v2, v2
	v_cmp_u_f16_e32 vcc_lo, v37, v37
	v_mov_b32_e32 v65, v31
	s_delay_alu instid0(VALU_DEP_3) | instskip(NEXT) | instid1(VALU_DEP_1)
	v_min_f32_e32 v7, v6, v3
	v_dual_max_f32 v3, v6, v3 :: v_dual_cndmask_b32 v6, v7, v2
	s_delay_alu instid0(VALU_DEP_1) | instskip(NEXT) | instid1(VALU_DEP_2)
	v_cndmask_b32_e32 v3, v3, v2, vcc_lo
	v_cndmask_b32_e64 v6, v6, v13, s6
	s_delay_alu instid0(VALU_DEP_2) | instskip(NEXT) | instid1(VALU_DEP_2)
	v_cndmask_b32_e64 v3, v3, v13, s6
	v_cmp_class_f32_e64 s1, v6, 0x1f8
	s_delay_alu instid0(VALU_DEP_2) | instskip(NEXT) | instid1(VALU_DEP_2)
	v_cmp_neq_f32_e32 vcc_lo, v6, v3
	s_or_b32 s2, vcc_lo, s1
	s_delay_alu instid0(SALU_CYCLE_1)
	s_and_saveexec_b32 s1, s2
	s_cbranch_execz .LBB390_330
; %bb.329:
	v_sub_f32_e32 v2, v6, v3
	s_mov_b32 s2, 0x3e9b6dac
	s_delay_alu instid0(VALU_DEP_1) | instskip(SKIP_1) | instid1(VALU_DEP_2)
	v_mul_f32_e32 v6, 0x3fb8aa3b, v2
	v_cmp_ngt_f32_e32 vcc_lo, 0xc2ce8ed0, v2
	v_fma_f32 v7, 0x3fb8aa3b, v2, -v6
	v_rndne_f32_e32 v13, v6
	s_delay_alu instid0(VALU_DEP_2) | instskip(NEXT) | instid1(VALU_DEP_2)
	v_fmamk_f32 v7, v2, 0x32a5705f, v7
	v_sub_f32_e32 v6, v6, v13
	s_delay_alu instid0(VALU_DEP_1) | instskip(SKIP_1) | instid1(VALU_DEP_2)
	v_add_f32_e32 v6, v6, v7
	v_cvt_i32_f32_e32 v7, v13
	v_exp_f32_e32 v6, v6
	s_waitcnt_depctr 0xfff
	v_ldexp_f32 v6, v6, v7
	s_delay_alu instid0(VALU_DEP_1) | instskip(SKIP_1) | instid1(VALU_DEP_2)
	v_cndmask_b32_e32 v6, 0, v6, vcc_lo
	v_cmp_nlt_f32_e32 vcc_lo, 0x42b17218, v2
	v_cndmask_b32_e32 v2, 0x7f800000, v6, vcc_lo
	s_delay_alu instid0(VALU_DEP_1) | instskip(NEXT) | instid1(VALU_DEP_1)
	v_add_f32_e32 v13, 1.0, v2
	v_cvt_f64_f32_e32 v[6:7], v13
	s_delay_alu instid0(VALU_DEP_1) | instskip(SKIP_1) | instid1(VALU_DEP_1)
	v_frexp_exp_i32_f64_e32 v6, v[6:7]
	v_frexp_mant_f32_e32 v7, v13
	v_cmp_gt_f32_e32 vcc_lo, 0x3f2aaaab, v7
	v_add_f32_e32 v7, -1.0, v13
	s_delay_alu instid0(VALU_DEP_1) | instskip(NEXT) | instid1(VALU_DEP_1)
	v_sub_f32_e32 v37, v7, v13
	v_add_f32_e32 v37, 1.0, v37
	v_subrev_co_ci_u32_e32 v6, vcc_lo, 0, v6, vcc_lo
	s_delay_alu instid0(VALU_DEP_1) | instskip(SKIP_1) | instid1(VALU_DEP_2)
	v_sub_nc_u32_e32 v36, 0, v6
	v_cvt_f32_i32_e32 v6, v6
	v_ldexp_f32 v13, v13, v36
	s_delay_alu instid0(VALU_DEP_1) | instskip(NEXT) | instid1(VALU_DEP_1)
	v_dual_sub_f32 v7, v2, v7 :: v_dual_add_f32 v54, 1.0, v13
	v_add_f32_e32 v7, v7, v37
	v_cmp_eq_f32_e32 vcc_lo, 0x7f800000, v2
	s_delay_alu instid0(VALU_DEP_3) | instskip(NEXT) | instid1(VALU_DEP_3)
	v_add_f32_e32 v37, -1.0, v54
	v_ldexp_f32 v7, v7, v36
	v_add_f32_e32 v36, -1.0, v13
	s_delay_alu instid0(VALU_DEP_3) | instskip(NEXT) | instid1(VALU_DEP_2)
	v_sub_f32_e32 v37, v13, v37
	v_add_f32_e32 v55, 1.0, v36
	s_delay_alu instid0(VALU_DEP_2) | instskip(NEXT) | instid1(VALU_DEP_2)
	v_add_f32_e32 v37, v7, v37
	v_sub_f32_e32 v13, v13, v55
	s_delay_alu instid0(VALU_DEP_1) | instskip(NEXT) | instid1(VALU_DEP_1)
	v_add_f32_e32 v7, v7, v13
	v_dual_add_f32 v64, v36, v7 :: v_dual_add_f32 v55, v54, v37
	s_delay_alu instid0(VALU_DEP_1) | instskip(NEXT) | instid1(VALU_DEP_2)
	v_sub_f32_e32 v36, v36, v64
	v_rcp_f32_e32 v13, v55
	v_sub_f32_e32 v54, v54, v55
	s_delay_alu instid0(VALU_DEP_1) | instskip(SKIP_2) | instid1(VALU_DEP_1)
	v_add_f32_e32 v37, v37, v54
	s_waitcnt_depctr 0xfff
	v_mul_f32_e32 v65, v64, v13
	v_mul_f32_e32 v66, v55, v65
	s_delay_alu instid0(VALU_DEP_1) | instskip(NEXT) | instid1(VALU_DEP_1)
	v_fma_f32 v54, v65, v55, -v66
	v_fmac_f32_e32 v54, v65, v37
	s_delay_alu instid0(VALU_DEP_1) | instskip(NEXT) | instid1(VALU_DEP_1)
	v_add_f32_e32 v67, v66, v54
	v_sub_f32_e32 v68, v64, v67
	s_delay_alu instid0(VALU_DEP_1) | instskip(SKIP_2) | instid1(VALU_DEP_3)
	v_sub_f32_e32 v64, v64, v68
	v_add_f32_e32 v7, v7, v36
	v_sub_f32_e32 v36, v67, v66
	v_sub_f32_e32 v64, v64, v67
	s_delay_alu instid0(VALU_DEP_1) | instskip(NEXT) | instid1(VALU_DEP_1)
	v_dual_sub_f32 v36, v36, v54 :: v_dual_add_f32 v7, v7, v64
	v_add_f32_e32 v7, v36, v7
	s_delay_alu instid0(VALU_DEP_1) | instskip(NEXT) | instid1(VALU_DEP_1)
	v_add_f32_e32 v36, v68, v7
	v_mul_f32_e32 v54, v13, v36
	s_delay_alu instid0(VALU_DEP_1) | instskip(NEXT) | instid1(VALU_DEP_1)
	v_dual_sub_f32 v67, v68, v36 :: v_dual_mul_f32 v64, v55, v54
	v_add_f32_e32 v7, v7, v67
	s_delay_alu instid0(VALU_DEP_2) | instskip(NEXT) | instid1(VALU_DEP_1)
	v_fma_f32 v55, v54, v55, -v64
	v_fmac_f32_e32 v55, v54, v37
	s_delay_alu instid0(VALU_DEP_1) | instskip(NEXT) | instid1(VALU_DEP_1)
	v_add_f32_e32 v37, v64, v55
	v_sub_f32_e32 v66, v36, v37
	s_delay_alu instid0(VALU_DEP_1) | instskip(NEXT) | instid1(VALU_DEP_1)
	v_sub_f32_e32 v36, v36, v66
	v_sub_f32_e32 v36, v36, v37
	s_delay_alu instid0(VALU_DEP_1) | instskip(SKIP_1) | instid1(VALU_DEP_1)
	v_dual_add_f32 v7, v7, v36 :: v_dual_add_f32 v36, v65, v54
	v_sub_f32_e32 v64, v37, v64
	v_sub_f32_e32 v37, v64, v55
	s_delay_alu instid0(VALU_DEP_1) | instskip(NEXT) | instid1(VALU_DEP_4)
	v_add_f32_e32 v7, v37, v7
	v_sub_f32_e32 v37, v36, v65
	s_delay_alu instid0(VALU_DEP_2) | instskip(NEXT) | instid1(VALU_DEP_2)
	v_add_f32_e32 v7, v66, v7
	v_sub_f32_e32 v37, v54, v37
	s_delay_alu instid0(VALU_DEP_2) | instskip(NEXT) | instid1(VALU_DEP_1)
	v_mul_f32_e32 v7, v13, v7
	v_add_f32_e32 v7, v37, v7
	s_delay_alu instid0(VALU_DEP_1) | instskip(NEXT) | instid1(VALU_DEP_1)
	v_add_f32_e32 v13, v36, v7
	v_mul_f32_e32 v37, v13, v13
	s_delay_alu instid0(VALU_DEP_1) | instskip(SKIP_2) | instid1(VALU_DEP_3)
	v_fmaak_f32 v54, s2, v37, 0x3ecc95a3
	v_mul_f32_e32 v55, v13, v37
	v_cmp_gt_f32_e64 s2, 0x33800000, |v2|
	v_fmaak_f32 v37, v37, v54, 0x3f2aaada
	v_ldexp_f32 v54, v13, 1
	s_delay_alu instid0(VALU_DEP_3) | instskip(SKIP_1) | instid1(VALU_DEP_3)
	s_or_b32 vcc_lo, vcc_lo, s2
	v_sub_f32_e32 v13, v13, v36
	v_mul_f32_e32 v37, v55, v37
	s_delay_alu instid0(VALU_DEP_2) | instskip(NEXT) | instid1(VALU_DEP_2)
	v_sub_f32_e32 v7, v7, v13
	v_add_f32_e32 v36, v54, v37
	s_delay_alu instid0(VALU_DEP_2) | instskip(NEXT) | instid1(VALU_DEP_2)
	v_ldexp_f32 v7, v7, 1
	v_sub_f32_e32 v13, v36, v54
	s_delay_alu instid0(VALU_DEP_1) | instskip(NEXT) | instid1(VALU_DEP_1)
	v_sub_f32_e32 v13, v37, v13
	v_add_f32_e32 v7, v7, v13
	s_delay_alu instid0(VALU_DEP_1) | instskip(NEXT) | instid1(VALU_DEP_1)
	v_add_f32_e32 v37, v36, v7
	v_dual_mul_f32 v55, 0x3f317218, v6 :: v_dual_sub_f32 v36, v37, v36
	s_delay_alu instid0(VALU_DEP_1) | instskip(NEXT) | instid1(VALU_DEP_1)
	v_fma_f32 v54, 0x3f317218, v6, -v55
	v_dual_sub_f32 v7, v7, v36 :: v_dual_fmamk_f32 v6, v6, 0xb102e308, v54
	s_delay_alu instid0(VALU_DEP_1) | instskip(NEXT) | instid1(VALU_DEP_1)
	v_add_f32_e32 v13, v55, v6
	v_add_f32_e32 v54, v13, v37
	s_delay_alu instid0(VALU_DEP_1) | instskip(NEXT) | instid1(VALU_DEP_1)
	v_dual_sub_f32 v55, v13, v55 :: v_dual_sub_f32 v64, v54, v13
	v_sub_f32_e32 v6, v6, v55
	s_delay_alu instid0(VALU_DEP_2) | instskip(NEXT) | instid1(VALU_DEP_2)
	v_sub_f32_e32 v65, v54, v64
	v_dual_sub_f32 v36, v37, v64 :: v_dual_add_f32 v37, v6, v7
	s_delay_alu instid0(VALU_DEP_2) | instskip(NEXT) | instid1(VALU_DEP_1)
	v_sub_f32_e32 v13, v13, v65
	v_dual_add_f32 v13, v36, v13 :: v_dual_sub_f32 v36, v37, v6
	s_delay_alu instid0(VALU_DEP_1) | instskip(NEXT) | instid1(VALU_DEP_2)
	v_add_f32_e32 v13, v37, v13
	v_sub_f32_e32 v37, v37, v36
	v_sub_f32_e32 v7, v7, v36
	s_delay_alu instid0(VALU_DEP_3) | instskip(NEXT) | instid1(VALU_DEP_3)
	v_add_f32_e32 v55, v54, v13
	v_sub_f32_e32 v6, v6, v37
	s_delay_alu instid0(VALU_DEP_2) | instskip(NEXT) | instid1(VALU_DEP_1)
	v_sub_f32_e32 v36, v55, v54
	v_dual_add_f32 v6, v7, v6 :: v_dual_sub_f32 v7, v13, v36
	s_delay_alu instid0(VALU_DEP_1) | instskip(NEXT) | instid1(VALU_DEP_1)
	v_add_f32_e32 v6, v6, v7
	v_add_f32_e32 v6, v55, v6
	s_delay_alu instid0(VALU_DEP_1) | instskip(NEXT) | instid1(VALU_DEP_1)
	v_cndmask_b32_e32 v2, v6, v2, vcc_lo
	v_add_f32_e32 v2, v3, v2
	s_delay_alu instid0(VALU_DEP_1) | instskip(NEXT) | instid1(VALU_DEP_1)
	v_cvt_f16_f32_e32 v37, v2
	v_cvt_f32_f16_e32 v2, v37
	v_mov_b32_e32 v65, v37
.LBB390_330:
	s_or_b32 exec_lo, exec_lo, s1
	s_delay_alu instid0(VALU_DEP_1) | instskip(NEXT) | instid1(VALU_DEP_3)
	v_dual_max_f32 v3, v26, v26 :: v_dual_mov_b32 v66, v65
	v_max_f32_e32 v6, v2, v2
	v_cmp_u_f16_e32 vcc_lo, v37, v37
	s_delay_alu instid0(VALU_DEP_2) | instskip(NEXT) | instid1(VALU_DEP_1)
	v_min_f32_e32 v7, v6, v3
	v_dual_max_f32 v3, v6, v3 :: v_dual_cndmask_b32 v6, v7, v2
	s_delay_alu instid0(VALU_DEP_1) | instskip(NEXT) | instid1(VALU_DEP_2)
	v_cndmask_b32_e32 v3, v3, v2, vcc_lo
	v_cndmask_b32_e64 v6, v6, v26, s7
	s_delay_alu instid0(VALU_DEP_2) | instskip(NEXT) | instid1(VALU_DEP_2)
	v_cndmask_b32_e64 v3, v3, v26, s7
	v_cmp_class_f32_e64 s1, v6, 0x1f8
	s_delay_alu instid0(VALU_DEP_2) | instskip(NEXT) | instid1(VALU_DEP_2)
	v_cmp_neq_f32_e32 vcc_lo, v6, v3
	s_or_b32 s2, vcc_lo, s1
	s_delay_alu instid0(SALU_CYCLE_1)
	s_and_saveexec_b32 s1, s2
	s_cbranch_execz .LBB390_332
; %bb.331:
	v_sub_f32_e32 v2, v6, v3
	s_mov_b32 s2, 0x3e9b6dac
	s_delay_alu instid0(VALU_DEP_1) | instskip(SKIP_1) | instid1(VALU_DEP_2)
	v_mul_f32_e32 v6, 0x3fb8aa3b, v2
	v_cmp_ngt_f32_e32 vcc_lo, 0xc2ce8ed0, v2
	v_fma_f32 v7, 0x3fb8aa3b, v2, -v6
	v_rndne_f32_e32 v13, v6
	s_delay_alu instid0(VALU_DEP_2) | instskip(NEXT) | instid1(VALU_DEP_2)
	v_fmamk_f32 v7, v2, 0x32a5705f, v7
	v_sub_f32_e32 v6, v6, v13
	s_delay_alu instid0(VALU_DEP_1) | instskip(SKIP_1) | instid1(VALU_DEP_2)
	v_add_f32_e32 v6, v6, v7
	v_cvt_i32_f32_e32 v7, v13
	v_exp_f32_e32 v6, v6
	s_waitcnt_depctr 0xfff
	v_ldexp_f32 v6, v6, v7
	s_delay_alu instid0(VALU_DEP_1) | instskip(SKIP_1) | instid1(VALU_DEP_2)
	v_cndmask_b32_e32 v6, 0, v6, vcc_lo
	v_cmp_nlt_f32_e32 vcc_lo, 0x42b17218, v2
	v_cndmask_b32_e32 v2, 0x7f800000, v6, vcc_lo
	s_delay_alu instid0(VALU_DEP_1) | instskip(NEXT) | instid1(VALU_DEP_1)
	v_add_f32_e32 v13, 1.0, v2
	v_cvt_f64_f32_e32 v[6:7], v13
	s_delay_alu instid0(VALU_DEP_1) | instskip(SKIP_1) | instid1(VALU_DEP_1)
	v_frexp_exp_i32_f64_e32 v6, v[6:7]
	v_frexp_mant_f32_e32 v7, v13
	v_cmp_gt_f32_e32 vcc_lo, 0x3f2aaaab, v7
	v_add_f32_e32 v7, -1.0, v13
	s_delay_alu instid0(VALU_DEP_1) | instskip(NEXT) | instid1(VALU_DEP_1)
	v_dual_sub_f32 v36, v7, v13 :: v_dual_sub_f32 v7, v2, v7
	v_add_f32_e32 v36, 1.0, v36
	s_delay_alu instid0(VALU_DEP_1) | instskip(SKIP_2) | instid1(VALU_DEP_2)
	v_add_f32_e32 v7, v7, v36
	v_subrev_co_ci_u32_e32 v6, vcc_lo, 0, v6, vcc_lo
	v_cmp_eq_f32_e32 vcc_lo, 0x7f800000, v2
	v_sub_nc_u32_e32 v26, 0, v6
	v_cvt_f32_i32_e32 v6, v6
	s_delay_alu instid0(VALU_DEP_2) | instskip(SKIP_1) | instid1(VALU_DEP_2)
	v_ldexp_f32 v13, v13, v26
	v_ldexp_f32 v7, v7, v26
	v_add_f32_e32 v37, 1.0, v13
	v_add_f32_e32 v26, -1.0, v13
	s_delay_alu instid0(VALU_DEP_2) | instskip(NEXT) | instid1(VALU_DEP_2)
	v_add_f32_e32 v36, -1.0, v37
	v_add_f32_e32 v54, 1.0, v26
	s_delay_alu instid0(VALU_DEP_2) | instskip(NEXT) | instid1(VALU_DEP_1)
	v_sub_f32_e32 v36, v13, v36
	v_dual_sub_f32 v13, v13, v54 :: v_dual_add_f32 v36, v7, v36
	s_delay_alu instid0(VALU_DEP_1) | instskip(NEXT) | instid1(VALU_DEP_1)
	v_dual_add_f32 v7, v7, v13 :: v_dual_add_f32 v54, v37, v36
	v_sub_f32_e32 v37, v37, v54
	s_delay_alu instid0(VALU_DEP_1) | instskip(NEXT) | instid1(VALU_DEP_1)
	v_dual_add_f32 v55, v26, v7 :: v_dual_add_f32 v36, v36, v37
	v_sub_f32_e32 v26, v26, v55
	s_delay_alu instid0(VALU_DEP_1) | instskip(SKIP_3) | instid1(VALU_DEP_1)
	v_add_f32_e32 v7, v7, v26
	v_rcp_f32_e32 v13, v54
	s_waitcnt_depctr 0xfff
	v_mul_f32_e32 v64, v55, v13
	v_mul_f32_e32 v66, v54, v64
	s_delay_alu instid0(VALU_DEP_1) | instskip(NEXT) | instid1(VALU_DEP_1)
	v_fma_f32 v37, v64, v54, -v66
	v_fmac_f32_e32 v37, v64, v36
	s_delay_alu instid0(VALU_DEP_1) | instskip(NEXT) | instid1(VALU_DEP_1)
	v_add_f32_e32 v67, v66, v37
	v_sub_f32_e32 v68, v55, v67
	s_delay_alu instid0(VALU_DEP_1) | instskip(NEXT) | instid1(VALU_DEP_1)
	v_sub_f32_e32 v55, v55, v68
	v_sub_f32_e32 v55, v55, v67
	;; [unrolled: 1-line block ×3, first 2 shown]
	s_delay_alu instid0(VALU_DEP_1) | instskip(NEXT) | instid1(VALU_DEP_1)
	v_dual_add_f32 v7, v7, v55 :: v_dual_sub_f32 v26, v26, v37
	v_add_f32_e32 v7, v26, v7
	s_delay_alu instid0(VALU_DEP_1) | instskip(NEXT) | instid1(VALU_DEP_1)
	v_add_f32_e32 v26, v68, v7
	v_mul_f32_e32 v37, v13, v26
	s_delay_alu instid0(VALU_DEP_1) | instskip(SKIP_1) | instid1(VALU_DEP_2)
	v_mul_f32_e32 v55, v54, v37
	v_sub_f32_e32 v67, v68, v26
	v_fma_f32 v54, v37, v54, -v55
	s_delay_alu instid0(VALU_DEP_1) | instskip(NEXT) | instid1(VALU_DEP_1)
	v_dual_add_f32 v7, v7, v67 :: v_dual_fmac_f32 v54, v37, v36
	v_add_f32_e32 v36, v55, v54
	s_delay_alu instid0(VALU_DEP_1) | instskip(NEXT) | instid1(VALU_DEP_1)
	v_dual_sub_f32 v66, v26, v36 :: v_dual_sub_f32 v55, v36, v55
	v_sub_f32_e32 v26, v26, v66
	s_delay_alu instid0(VALU_DEP_1) | instskip(NEXT) | instid1(VALU_DEP_1)
	v_sub_f32_e32 v26, v26, v36
	v_dual_add_f32 v7, v7, v26 :: v_dual_add_f32 v26, v64, v37
	s_delay_alu instid0(VALU_DEP_4) | instskip(NEXT) | instid1(VALU_DEP_1)
	v_sub_f32_e32 v36, v55, v54
	v_dual_add_f32 v7, v36, v7 :: v_dual_sub_f32 v36, v26, v64
	s_delay_alu instid0(VALU_DEP_1) | instskip(NEXT) | instid1(VALU_DEP_1)
	v_dual_add_f32 v7, v66, v7 :: v_dual_sub_f32 v36, v37, v36
	v_mul_f32_e32 v7, v13, v7
	s_delay_alu instid0(VALU_DEP_1) | instskip(NEXT) | instid1(VALU_DEP_1)
	v_add_f32_e32 v7, v36, v7
	v_add_f32_e32 v13, v26, v7
	s_delay_alu instid0(VALU_DEP_1) | instskip(NEXT) | instid1(VALU_DEP_1)
	v_mul_f32_e32 v36, v13, v13
	v_fmaak_f32 v37, s2, v36, 0x3ecc95a3
	v_mul_f32_e32 v54, v13, v36
	v_cmp_gt_f32_e64 s2, 0x33800000, |v2|
	s_delay_alu instid0(VALU_DEP_3) | instskip(SKIP_2) | instid1(VALU_DEP_4)
	v_fmaak_f32 v36, v36, v37, 0x3f2aaada
	v_ldexp_f32 v37, v13, 1
	v_sub_f32_e32 v13, v13, v26
	s_or_b32 vcc_lo, vcc_lo, s2
	s_delay_alu instid0(VALU_DEP_1) | instskip(NEXT) | instid1(VALU_DEP_1)
	v_sub_f32_e32 v7, v7, v13
	v_ldexp_f32 v7, v7, 1
	v_mul_f32_e32 v36, v54, v36
	s_delay_alu instid0(VALU_DEP_1) | instskip(NEXT) | instid1(VALU_DEP_1)
	v_add_f32_e32 v26, v37, v36
	v_sub_f32_e32 v13, v26, v37
	s_delay_alu instid0(VALU_DEP_1) | instskip(NEXT) | instid1(VALU_DEP_1)
	v_sub_f32_e32 v13, v36, v13
	v_add_f32_e32 v7, v7, v13
	s_delay_alu instid0(VALU_DEP_1) | instskip(NEXT) | instid1(VALU_DEP_1)
	v_add_f32_e32 v36, v26, v7
	v_sub_f32_e32 v26, v36, v26
	s_delay_alu instid0(VALU_DEP_1) | instskip(SKIP_1) | instid1(VALU_DEP_1)
	v_sub_f32_e32 v7, v7, v26
	v_mul_f32_e32 v54, 0x3f317218, v6
	v_fma_f32 v37, 0x3f317218, v6, -v54
	s_delay_alu instid0(VALU_DEP_1) | instskip(NEXT) | instid1(VALU_DEP_1)
	v_fmamk_f32 v6, v6, 0xb102e308, v37
	v_add_f32_e32 v13, v54, v6
	s_delay_alu instid0(VALU_DEP_1) | instskip(NEXT) | instid1(VALU_DEP_1)
	v_add_f32_e32 v37, v13, v36
	v_sub_f32_e32 v55, v37, v13
	s_delay_alu instid0(VALU_DEP_1) | instskip(SKIP_2) | instid1(VALU_DEP_3)
	v_sub_f32_e32 v64, v37, v55
	v_sub_f32_e32 v26, v36, v55
	;; [unrolled: 1-line block ×4, first 2 shown]
	s_delay_alu instid0(VALU_DEP_1) | instskip(NEXT) | instid1(VALU_DEP_3)
	v_add_f32_e32 v13, v26, v13
	v_sub_f32_e32 v6, v6, v54
	s_delay_alu instid0(VALU_DEP_1) | instskip(NEXT) | instid1(VALU_DEP_1)
	v_add_f32_e32 v36, v6, v7
	v_sub_f32_e32 v26, v36, v6
	s_delay_alu instid0(VALU_DEP_4) | instskip(NEXT) | instid1(VALU_DEP_2)
	v_add_f32_e32 v13, v36, v13
	v_sub_f32_e32 v36, v36, v26
	s_delay_alu instid0(VALU_DEP_2) | instskip(NEXT) | instid1(VALU_DEP_2)
	v_dual_add_f32 v54, v37, v13 :: v_dual_sub_f32 v7, v7, v26
	v_sub_f32_e32 v6, v6, v36
	s_delay_alu instid0(VALU_DEP_2) | instskip(NEXT) | instid1(VALU_DEP_2)
	v_sub_f32_e32 v26, v54, v37
	v_add_f32_e32 v6, v7, v6
	s_delay_alu instid0(VALU_DEP_2) | instskip(NEXT) | instid1(VALU_DEP_1)
	v_sub_f32_e32 v7, v13, v26
	v_add_f32_e32 v6, v6, v7
	s_delay_alu instid0(VALU_DEP_1) | instskip(NEXT) | instid1(VALU_DEP_1)
	v_add_f32_e32 v6, v54, v6
	v_cndmask_b32_e32 v2, v6, v2, vcc_lo
	s_delay_alu instid0(VALU_DEP_1) | instskip(NEXT) | instid1(VALU_DEP_1)
	v_add_f32_e32 v2, v3, v2
	v_cvt_f16_f32_e32 v37, v2
	s_delay_alu instid0(VALU_DEP_1)
	v_cvt_f32_f16_e32 v2, v37
	v_mov_b32_e32 v66, v37
.LBB390_332:
	s_or_b32 exec_lo, exec_lo, s1
	s_delay_alu instid0(VALU_DEP_2) | instskip(SKIP_1) | instid1(VALU_DEP_3)
	v_dual_max_f32 v3, v27, v27 :: v_dual_max_f32 v6, v2, v2
	v_cmp_u_f16_e32 vcc_lo, v37, v37
	v_mov_b32_e32 v67, v66
	s_delay_alu instid0(VALU_DEP_3) | instskip(NEXT) | instid1(VALU_DEP_1)
	v_min_f32_e32 v7, v6, v3
	v_dual_max_f32 v3, v6, v3 :: v_dual_cndmask_b32 v6, v7, v2
	s_delay_alu instid0(VALU_DEP_1) | instskip(NEXT) | instid1(VALU_DEP_2)
	v_cndmask_b32_e32 v3, v3, v2, vcc_lo
	v_cndmask_b32_e64 v6, v6, v27, s8
	s_delay_alu instid0(VALU_DEP_2) | instskip(NEXT) | instid1(VALU_DEP_2)
	v_cndmask_b32_e64 v3, v3, v27, s8
	v_cmp_class_f32_e64 s1, v6, 0x1f8
	s_delay_alu instid0(VALU_DEP_2) | instskip(NEXT) | instid1(VALU_DEP_2)
	v_cmp_neq_f32_e32 vcc_lo, v6, v3
	s_or_b32 s2, vcc_lo, s1
	s_delay_alu instid0(SALU_CYCLE_1)
	s_and_saveexec_b32 s1, s2
	s_cbranch_execz .LBB390_334
; %bb.333:
	v_sub_f32_e32 v2, v6, v3
	s_mov_b32 s2, 0x3e9b6dac
	s_delay_alu instid0(VALU_DEP_1) | instskip(SKIP_1) | instid1(VALU_DEP_2)
	v_mul_f32_e32 v6, 0x3fb8aa3b, v2
	v_cmp_ngt_f32_e32 vcc_lo, 0xc2ce8ed0, v2
	v_fma_f32 v7, 0x3fb8aa3b, v2, -v6
	v_rndne_f32_e32 v13, v6
	s_delay_alu instid0(VALU_DEP_2) | instskip(NEXT) | instid1(VALU_DEP_2)
	v_fmamk_f32 v7, v2, 0x32a5705f, v7
	v_sub_f32_e32 v6, v6, v13
	s_delay_alu instid0(VALU_DEP_1) | instskip(SKIP_1) | instid1(VALU_DEP_2)
	v_add_f32_e32 v6, v6, v7
	v_cvt_i32_f32_e32 v7, v13
	v_exp_f32_e32 v6, v6
	s_waitcnt_depctr 0xfff
	v_ldexp_f32 v6, v6, v7
	s_delay_alu instid0(VALU_DEP_1) | instskip(SKIP_1) | instid1(VALU_DEP_2)
	v_cndmask_b32_e32 v6, 0, v6, vcc_lo
	v_cmp_nlt_f32_e32 vcc_lo, 0x42b17218, v2
	v_cndmask_b32_e32 v2, 0x7f800000, v6, vcc_lo
	s_delay_alu instid0(VALU_DEP_1) | instskip(NEXT) | instid1(VALU_DEP_1)
	v_add_f32_e32 v13, 1.0, v2
	v_cvt_f64_f32_e32 v[6:7], v13
	s_delay_alu instid0(VALU_DEP_1) | instskip(SKIP_1) | instid1(VALU_DEP_1)
	v_frexp_exp_i32_f64_e32 v6, v[6:7]
	v_frexp_mant_f32_e32 v7, v13
	v_cmp_gt_f32_e32 vcc_lo, 0x3f2aaaab, v7
	v_add_f32_e32 v7, -1.0, v13
	s_delay_alu instid0(VALU_DEP_1) | instskip(NEXT) | instid1(VALU_DEP_1)
	v_sub_f32_e32 v27, v7, v13
	v_add_f32_e32 v27, 1.0, v27
	v_subrev_co_ci_u32_e32 v6, vcc_lo, 0, v6, vcc_lo
	v_cmp_eq_f32_e32 vcc_lo, 0x7f800000, v2
	s_delay_alu instid0(VALU_DEP_2) | instskip(SKIP_1) | instid1(VALU_DEP_2)
	v_sub_nc_u32_e32 v26, 0, v6
	v_cvt_f32_i32_e32 v6, v6
	v_ldexp_f32 v13, v13, v26
	s_delay_alu instid0(VALU_DEP_1) | instskip(NEXT) | instid1(VALU_DEP_1)
	v_dual_sub_f32 v7, v2, v7 :: v_dual_add_f32 v36, 1.0, v13
	v_add_f32_e32 v7, v7, v27
	s_delay_alu instid0(VALU_DEP_2) | instskip(NEXT) | instid1(VALU_DEP_2)
	v_add_f32_e32 v27, -1.0, v36
	v_ldexp_f32 v7, v7, v26
	s_delay_alu instid0(VALU_DEP_2) | instskip(NEXT) | instid1(VALU_DEP_1)
	v_dual_add_f32 v26, -1.0, v13 :: v_dual_sub_f32 v27, v13, v27
	v_add_f32_e32 v37, 1.0, v26
	s_delay_alu instid0(VALU_DEP_2) | instskip(NEXT) | instid1(VALU_DEP_2)
	v_add_f32_e32 v27, v7, v27
	v_sub_f32_e32 v13, v13, v37
	s_delay_alu instid0(VALU_DEP_1) | instskip(NEXT) | instid1(VALU_DEP_1)
	v_add_f32_e32 v7, v7, v13
	v_add_f32_e32 v54, v26, v7
	s_delay_alu instid0(VALU_DEP_1) | instskip(NEXT) | instid1(VALU_DEP_1)
	v_dual_sub_f32 v26, v26, v54 :: v_dual_add_f32 v37, v36, v27
	v_rcp_f32_e32 v13, v37
	v_sub_f32_e32 v36, v36, v37
	s_delay_alu instid0(VALU_DEP_1) | instskip(SKIP_2) | instid1(VALU_DEP_1)
	v_add_f32_e32 v27, v27, v36
	s_waitcnt_depctr 0xfff
	v_mul_f32_e32 v55, v54, v13
	v_mul_f32_e32 v64, v37, v55
	s_delay_alu instid0(VALU_DEP_1) | instskip(NEXT) | instid1(VALU_DEP_1)
	v_fma_f32 v36, v55, v37, -v64
	v_fmac_f32_e32 v36, v55, v27
	s_delay_alu instid0(VALU_DEP_1) | instskip(NEXT) | instid1(VALU_DEP_1)
	v_add_f32_e32 v67, v64, v36
	v_sub_f32_e32 v68, v54, v67
	s_delay_alu instid0(VALU_DEP_1) | instskip(SKIP_1) | instid1(VALU_DEP_2)
	v_dual_sub_f32 v54, v54, v68 :: v_dual_add_f32 v7, v7, v26
	v_sub_f32_e32 v26, v67, v64
	v_sub_f32_e32 v54, v54, v67
	s_delay_alu instid0(VALU_DEP_1) | instskip(NEXT) | instid1(VALU_DEP_1)
	v_dual_sub_f32 v26, v26, v36 :: v_dual_add_f32 v7, v7, v54
	v_add_f32_e32 v7, v26, v7
	s_delay_alu instid0(VALU_DEP_1) | instskip(NEXT) | instid1(VALU_DEP_1)
	v_add_f32_e32 v26, v68, v7
	v_mul_f32_e32 v36, v13, v26
	s_delay_alu instid0(VALU_DEP_1) | instskip(NEXT) | instid1(VALU_DEP_1)
	v_mul_f32_e32 v54, v37, v36
	v_fma_f32 v37, v36, v37, -v54
	s_delay_alu instid0(VALU_DEP_1) | instskip(NEXT) | instid1(VALU_DEP_1)
	v_fmac_f32_e32 v37, v36, v27
	v_add_f32_e32 v27, v54, v37
	s_delay_alu instid0(VALU_DEP_1) | instskip(NEXT) | instid1(VALU_DEP_1)
	v_dual_sub_f32 v67, v68, v26 :: v_dual_sub_f32 v64, v26, v27
	v_dual_add_f32 v7, v7, v67 :: v_dual_sub_f32 v26, v26, v64
	s_delay_alu instid0(VALU_DEP_1) | instskip(NEXT) | instid1(VALU_DEP_1)
	v_sub_f32_e32 v26, v26, v27
	v_add_f32_e32 v7, v7, v26
	v_add_f32_e32 v26, v55, v36
	v_sub_f32_e32 v54, v27, v54
	s_delay_alu instid0(VALU_DEP_1) | instskip(NEXT) | instid1(VALU_DEP_1)
	v_sub_f32_e32 v27, v54, v37
	v_add_f32_e32 v7, v27, v7
	s_delay_alu instid0(VALU_DEP_1) | instskip(SKIP_1) | instid1(VALU_DEP_2)
	v_add_f32_e32 v7, v64, v7
	v_sub_f32_e32 v27, v26, v55
	v_mul_f32_e32 v7, v13, v7
	s_delay_alu instid0(VALU_DEP_2) | instskip(NEXT) | instid1(VALU_DEP_1)
	v_sub_f32_e32 v27, v36, v27
	v_add_f32_e32 v7, v27, v7
	s_delay_alu instid0(VALU_DEP_1) | instskip(NEXT) | instid1(VALU_DEP_1)
	v_add_f32_e32 v13, v26, v7
	v_mul_f32_e32 v27, v13, v13
	s_delay_alu instid0(VALU_DEP_1) | instskip(SKIP_2) | instid1(VALU_DEP_3)
	v_fmaak_f32 v36, s2, v27, 0x3ecc95a3
	v_mul_f32_e32 v37, v13, v27
	v_cmp_gt_f32_e64 s2, 0x33800000, |v2|
	v_fmaak_f32 v27, v27, v36, 0x3f2aaada
	v_ldexp_f32 v36, v13, 1
	s_delay_alu instid0(VALU_DEP_3) | instskip(NEXT) | instid1(VALU_DEP_2)
	s_or_b32 vcc_lo, vcc_lo, s2
	v_mul_f32_e32 v27, v37, v27
	s_delay_alu instid0(VALU_DEP_1) | instskip(NEXT) | instid1(VALU_DEP_1)
	v_dual_sub_f32 v13, v13, v26 :: v_dual_add_f32 v26, v36, v27
	v_sub_f32_e32 v7, v7, v13
	s_delay_alu instid0(VALU_DEP_2) | instskip(NEXT) | instid1(VALU_DEP_2)
	v_sub_f32_e32 v13, v26, v36
	v_ldexp_f32 v7, v7, 1
	s_delay_alu instid0(VALU_DEP_2) | instskip(NEXT) | instid1(VALU_DEP_1)
	v_sub_f32_e32 v13, v27, v13
	v_add_f32_e32 v7, v7, v13
	s_delay_alu instid0(VALU_DEP_1) | instskip(SKIP_1) | instid1(VALU_DEP_2)
	v_add_f32_e32 v27, v26, v7
	v_mul_f32_e32 v37, 0x3f317218, v6
	v_sub_f32_e32 v26, v27, v26
	s_delay_alu instid0(VALU_DEP_2) | instskip(NEXT) | instid1(VALU_DEP_1)
	v_fma_f32 v36, 0x3f317218, v6, -v37
	v_dual_sub_f32 v7, v7, v26 :: v_dual_fmamk_f32 v6, v6, 0xb102e308, v36
	s_delay_alu instid0(VALU_DEP_1) | instskip(NEXT) | instid1(VALU_DEP_1)
	v_add_f32_e32 v13, v37, v6
	v_add_f32_e32 v36, v13, v27
	v_sub_f32_e32 v37, v13, v37
	s_delay_alu instid0(VALU_DEP_2) | instskip(NEXT) | instid1(VALU_DEP_1)
	v_sub_f32_e32 v54, v36, v13
	v_dual_sub_f32 v6, v6, v37 :: v_dual_sub_f32 v55, v36, v54
	s_delay_alu instid0(VALU_DEP_1) | instskip(NEXT) | instid1(VALU_DEP_2)
	v_dual_sub_f32 v26, v27, v54 :: v_dual_add_f32 v27, v6, v7
	v_sub_f32_e32 v13, v13, v55
	s_delay_alu instid0(VALU_DEP_1) | instskip(NEXT) | instid1(VALU_DEP_1)
	v_dual_add_f32 v13, v26, v13 :: v_dual_sub_f32 v26, v27, v6
	v_add_f32_e32 v13, v27, v13
	s_delay_alu instid0(VALU_DEP_2) | instskip(SKIP_1) | instid1(VALU_DEP_2)
	v_sub_f32_e32 v27, v27, v26
	v_sub_f32_e32 v7, v7, v26
	v_dual_add_f32 v37, v36, v13 :: v_dual_sub_f32 v6, v6, v27
	s_delay_alu instid0(VALU_DEP_1) | instskip(NEXT) | instid1(VALU_DEP_2)
	v_sub_f32_e32 v26, v37, v36
	v_add_f32_e32 v6, v7, v6
	s_delay_alu instid0(VALU_DEP_2) | instskip(NEXT) | instid1(VALU_DEP_1)
	v_sub_f32_e32 v7, v13, v26
	v_add_f32_e32 v6, v6, v7
	s_delay_alu instid0(VALU_DEP_1) | instskip(NEXT) | instid1(VALU_DEP_1)
	v_add_f32_e32 v6, v37, v6
	v_cndmask_b32_e32 v2, v6, v2, vcc_lo
	s_delay_alu instid0(VALU_DEP_1) | instskip(NEXT) | instid1(VALU_DEP_1)
	v_add_f32_e32 v2, v3, v2
	v_cvt_f16_f32_e32 v37, v2
	s_delay_alu instid0(VALU_DEP_1)
	v_cvt_f32_f16_e32 v2, v37
	v_mov_b32_e32 v67, v37
.LBB390_334:
	s_or_b32 exec_lo, exec_lo, s1
	s_delay_alu instid0(VALU_DEP_2) | instskip(SKIP_1) | instid1(VALU_DEP_2)
	v_dual_max_f32 v3, v53, v53 :: v_dual_max_f32 v6, v2, v2
	v_cmp_u_f16_e32 vcc_lo, v37, v37
	v_dual_mov_b32 v68, v67 :: v_dual_min_f32 v7, v6, v3
	s_delay_alu instid0(VALU_DEP_1) | instskip(NEXT) | instid1(VALU_DEP_1)
	v_dual_max_f32 v3, v6, v3 :: v_dual_cndmask_b32 v6, v7, v2
	v_cndmask_b32_e32 v3, v3, v2, vcc_lo
	s_delay_alu instid0(VALU_DEP_2) | instskip(NEXT) | instid1(VALU_DEP_2)
	v_cndmask_b32_e64 v6, v6, v53, s9
	v_cndmask_b32_e64 v3, v3, v53, s9
	s_delay_alu instid0(VALU_DEP_2) | instskip(NEXT) | instid1(VALU_DEP_2)
	v_cmp_class_f32_e64 s1, v6, 0x1f8
	v_cmp_neq_f32_e32 vcc_lo, v6, v3
	s_delay_alu instid0(VALU_DEP_2) | instskip(NEXT) | instid1(SALU_CYCLE_1)
	s_or_b32 s2, vcc_lo, s1
	s_and_saveexec_b32 s1, s2
	s_cbranch_execz .LBB390_336
; %bb.335:
	v_sub_f32_e32 v2, v6, v3
	s_mov_b32 s2, 0x3e9b6dac
	s_delay_alu instid0(VALU_DEP_1) | instskip(SKIP_1) | instid1(VALU_DEP_2)
	v_mul_f32_e32 v6, 0x3fb8aa3b, v2
	v_cmp_ngt_f32_e32 vcc_lo, 0xc2ce8ed0, v2
	v_fma_f32 v7, 0x3fb8aa3b, v2, -v6
	v_rndne_f32_e32 v13, v6
	s_delay_alu instid0(VALU_DEP_2) | instskip(NEXT) | instid1(VALU_DEP_2)
	v_fmamk_f32 v7, v2, 0x32a5705f, v7
	v_sub_f32_e32 v6, v6, v13
	s_delay_alu instid0(VALU_DEP_1) | instskip(SKIP_1) | instid1(VALU_DEP_2)
	v_add_f32_e32 v6, v6, v7
	v_cvt_i32_f32_e32 v7, v13
	v_exp_f32_e32 v6, v6
	s_waitcnt_depctr 0xfff
	v_ldexp_f32 v6, v6, v7
	s_delay_alu instid0(VALU_DEP_1) | instskip(SKIP_1) | instid1(VALU_DEP_2)
	v_cndmask_b32_e32 v6, 0, v6, vcc_lo
	v_cmp_nlt_f32_e32 vcc_lo, 0x42b17218, v2
	v_cndmask_b32_e32 v2, 0x7f800000, v6, vcc_lo
	s_delay_alu instid0(VALU_DEP_1) | instskip(NEXT) | instid1(VALU_DEP_1)
	v_add_f32_e32 v13, 1.0, v2
	v_cvt_f64_f32_e32 v[6:7], v13
	s_delay_alu instid0(VALU_DEP_1) | instskip(SKIP_1) | instid1(VALU_DEP_1)
	v_frexp_exp_i32_f64_e32 v6, v[6:7]
	v_frexp_mant_f32_e32 v7, v13
	v_cmp_gt_f32_e32 vcc_lo, 0x3f2aaaab, v7
	v_add_f32_e32 v7, -1.0, v13
	s_delay_alu instid0(VALU_DEP_1) | instskip(NEXT) | instid1(VALU_DEP_1)
	v_sub_f32_e32 v27, v7, v13
	v_add_f32_e32 v27, 1.0, v27
	v_subrev_co_ci_u32_e32 v6, vcc_lo, 0, v6, vcc_lo
	v_cmp_eq_f32_e32 vcc_lo, 0x7f800000, v2
	s_delay_alu instid0(VALU_DEP_2) | instskip(SKIP_1) | instid1(VALU_DEP_2)
	v_sub_nc_u32_e32 v26, 0, v6
	v_cvt_f32_i32_e32 v6, v6
	v_ldexp_f32 v13, v13, v26
	s_delay_alu instid0(VALU_DEP_1) | instskip(NEXT) | instid1(VALU_DEP_1)
	v_dual_sub_f32 v7, v2, v7 :: v_dual_add_f32 v36, 1.0, v13
	v_add_f32_e32 v7, v7, v27
	s_delay_alu instid0(VALU_DEP_2) | instskip(NEXT) | instid1(VALU_DEP_2)
	v_add_f32_e32 v27, -1.0, v36
	v_ldexp_f32 v7, v7, v26
	s_delay_alu instid0(VALU_DEP_2) | instskip(NEXT) | instid1(VALU_DEP_1)
	v_dual_add_f32 v26, -1.0, v13 :: v_dual_sub_f32 v27, v13, v27
	v_add_f32_e32 v37, 1.0, v26
	s_delay_alu instid0(VALU_DEP_2) | instskip(NEXT) | instid1(VALU_DEP_2)
	v_add_f32_e32 v27, v7, v27
	v_sub_f32_e32 v13, v13, v37
	s_delay_alu instid0(VALU_DEP_2) | instskip(NEXT) | instid1(VALU_DEP_2)
	v_add_f32_e32 v37, v36, v27
	v_add_f32_e32 v7, v7, v13
	s_delay_alu instid0(VALU_DEP_2) | instskip(NEXT) | instid1(VALU_DEP_1)
	v_rcp_f32_e32 v13, v37
	v_dual_sub_f32 v36, v36, v37 :: v_dual_add_f32 v53, v26, v7
	s_delay_alu instid0(VALU_DEP_1) | instskip(SKIP_2) | instid1(VALU_DEP_1)
	v_dual_add_f32 v27, v27, v36 :: v_dual_sub_f32 v26, v26, v53
	s_waitcnt_depctr 0xfff
	v_mul_f32_e32 v54, v53, v13
	v_mul_f32_e32 v55, v37, v54
	s_delay_alu instid0(VALU_DEP_1) | instskip(NEXT) | instid1(VALU_DEP_1)
	v_fma_f32 v36, v54, v37, -v55
	v_dual_fmac_f32 v36, v54, v27 :: v_dual_add_f32 v7, v7, v26
	s_delay_alu instid0(VALU_DEP_1) | instskip(NEXT) | instid1(VALU_DEP_1)
	v_add_f32_e32 v64, v55, v36
	v_sub_f32_e32 v68, v53, v64
	s_delay_alu instid0(VALU_DEP_1) | instskip(NEXT) | instid1(VALU_DEP_1)
	v_dual_sub_f32 v26, v64, v55 :: v_dual_sub_f32 v53, v53, v68
	v_sub_f32_e32 v26, v26, v36
	s_delay_alu instid0(VALU_DEP_2) | instskip(NEXT) | instid1(VALU_DEP_1)
	v_sub_f32_e32 v53, v53, v64
	v_add_f32_e32 v7, v7, v53
	s_delay_alu instid0(VALU_DEP_1) | instskip(NEXT) | instid1(VALU_DEP_1)
	v_add_f32_e32 v7, v26, v7
	v_add_f32_e32 v26, v68, v7
	s_delay_alu instid0(VALU_DEP_1) | instskip(NEXT) | instid1(VALU_DEP_1)
	v_mul_f32_e32 v36, v13, v26
	v_dual_sub_f32 v64, v68, v26 :: v_dual_mul_f32 v53, v37, v36
	s_delay_alu instid0(VALU_DEP_1) | instskip(NEXT) | instid1(VALU_DEP_2)
	v_add_f32_e32 v7, v7, v64
	v_fma_f32 v37, v36, v37, -v53
	s_delay_alu instid0(VALU_DEP_1) | instskip(NEXT) | instid1(VALU_DEP_1)
	v_fmac_f32_e32 v37, v36, v27
	v_add_f32_e32 v27, v53, v37
	s_delay_alu instid0(VALU_DEP_1) | instskip(NEXT) | instid1(VALU_DEP_1)
	v_sub_f32_e32 v55, v26, v27
	v_dual_sub_f32 v53, v27, v53 :: v_dual_sub_f32 v26, v26, v55
	s_delay_alu instid0(VALU_DEP_1) | instskip(NEXT) | instid1(VALU_DEP_1)
	v_sub_f32_e32 v26, v26, v27
	v_dual_add_f32 v7, v7, v26 :: v_dual_add_f32 v26, v54, v36
	s_delay_alu instid0(VALU_DEP_3) | instskip(NEXT) | instid1(VALU_DEP_1)
	v_sub_f32_e32 v27, v53, v37
	v_add_f32_e32 v7, v27, v7
	s_delay_alu instid0(VALU_DEP_3) | instskip(NEXT) | instid1(VALU_DEP_2)
	v_sub_f32_e32 v27, v26, v54
	v_add_f32_e32 v7, v55, v7
	s_delay_alu instid0(VALU_DEP_2) | instskip(NEXT) | instid1(VALU_DEP_2)
	v_sub_f32_e32 v27, v36, v27
	v_mul_f32_e32 v7, v13, v7
	s_delay_alu instid0(VALU_DEP_1) | instskip(NEXT) | instid1(VALU_DEP_1)
	v_add_f32_e32 v7, v27, v7
	v_add_f32_e32 v13, v26, v7
	s_delay_alu instid0(VALU_DEP_1) | instskip(NEXT) | instid1(VALU_DEP_1)
	v_mul_f32_e32 v27, v13, v13
	v_fmaak_f32 v36, s2, v27, 0x3ecc95a3
	v_mul_f32_e32 v37, v13, v27
	v_cmp_gt_f32_e64 s2, 0x33800000, |v2|
	s_delay_alu instid0(VALU_DEP_3) | instskip(SKIP_2) | instid1(VALU_DEP_4)
	v_fmaak_f32 v27, v27, v36, 0x3f2aaada
	v_ldexp_f32 v36, v13, 1
	v_sub_f32_e32 v13, v13, v26
	s_or_b32 vcc_lo, vcc_lo, s2
	s_delay_alu instid0(VALU_DEP_3) | instskip(SKIP_1) | instid1(VALU_DEP_2)
	v_mul_f32_e32 v27, v37, v27
	v_mul_f32_e32 v37, 0x3f317218, v6
	v_dual_sub_f32 v7, v7, v13 :: v_dual_add_f32 v26, v36, v27
	s_delay_alu instid0(VALU_DEP_1) | instskip(NEXT) | instid1(VALU_DEP_2)
	v_ldexp_f32 v7, v7, 1
	v_sub_f32_e32 v13, v26, v36
	s_delay_alu instid0(VALU_DEP_4) | instskip(NEXT) | instid1(VALU_DEP_1)
	v_fma_f32 v36, 0x3f317218, v6, -v37
	v_dual_sub_f32 v13, v27, v13 :: v_dual_fmamk_f32 v6, v6, 0xb102e308, v36
	s_delay_alu instid0(VALU_DEP_1) | instskip(NEXT) | instid1(VALU_DEP_2)
	v_add_f32_e32 v7, v7, v13
	v_add_f32_e32 v13, v37, v6
	s_delay_alu instid0(VALU_DEP_2) | instskip(NEXT) | instid1(VALU_DEP_2)
	v_add_f32_e32 v27, v26, v7
	v_sub_f32_e32 v37, v13, v37
	s_delay_alu instid0(VALU_DEP_2) | instskip(SKIP_1) | instid1(VALU_DEP_3)
	v_add_f32_e32 v36, v13, v27
	v_sub_f32_e32 v26, v27, v26
	v_sub_f32_e32 v6, v6, v37
	s_delay_alu instid0(VALU_DEP_3) | instskip(NEXT) | instid1(VALU_DEP_1)
	v_sub_f32_e32 v53, v36, v13
	v_dual_sub_f32 v7, v7, v26 :: v_dual_sub_f32 v54, v36, v53
	s_delay_alu instid0(VALU_DEP_1) | instskip(NEXT) | instid1(VALU_DEP_2)
	v_dual_sub_f32 v26, v27, v53 :: v_dual_add_f32 v27, v6, v7
	v_sub_f32_e32 v13, v13, v54
	s_delay_alu instid0(VALU_DEP_1) | instskip(NEXT) | instid1(VALU_DEP_1)
	v_dual_add_f32 v13, v26, v13 :: v_dual_sub_f32 v26, v27, v6
	v_add_f32_e32 v13, v27, v13
	s_delay_alu instid0(VALU_DEP_2) | instskip(SKIP_1) | instid1(VALU_DEP_2)
	v_sub_f32_e32 v27, v27, v26
	v_sub_f32_e32 v7, v7, v26
	v_dual_add_f32 v37, v36, v13 :: v_dual_sub_f32 v6, v6, v27
	s_delay_alu instid0(VALU_DEP_1) | instskip(NEXT) | instid1(VALU_DEP_2)
	v_sub_f32_e32 v26, v37, v36
	v_add_f32_e32 v6, v7, v6
	s_delay_alu instid0(VALU_DEP_2) | instskip(NEXT) | instid1(VALU_DEP_1)
	v_sub_f32_e32 v7, v13, v26
	v_add_f32_e32 v6, v6, v7
	s_delay_alu instid0(VALU_DEP_1) | instskip(NEXT) | instid1(VALU_DEP_1)
	v_add_f32_e32 v6, v37, v6
	v_cndmask_b32_e32 v2, v6, v2, vcc_lo
	s_delay_alu instid0(VALU_DEP_1) | instskip(NEXT) | instid1(VALU_DEP_1)
	v_add_f32_e32 v2, v3, v2
	v_cvt_f16_f32_e32 v37, v2
	s_delay_alu instid0(VALU_DEP_1)
	v_cvt_f32_f16_e32 v2, v37
	v_mov_b32_e32 v68, v37
.LBB390_336:
	s_or_b32 exec_lo, exec_lo, s1
	s_delay_alu instid0(VALU_DEP_2) | instskip(SKIP_1) | instid1(VALU_DEP_3)
	v_dual_max_f32 v3, v24, v24 :: v_dual_max_f32 v6, v2, v2
	v_cmp_u_f16_e32 vcc_lo, v37, v37
	v_mov_b32_e32 v69, v68
	s_delay_alu instid0(VALU_DEP_3) | instskip(NEXT) | instid1(VALU_DEP_1)
	v_min_f32_e32 v7, v6, v3
	v_dual_max_f32 v3, v6, v3 :: v_dual_cndmask_b32 v6, v7, v2
	s_delay_alu instid0(VALU_DEP_1) | instskip(NEXT) | instid1(VALU_DEP_2)
	v_cndmask_b32_e32 v3, v3, v2, vcc_lo
	v_cndmask_b32_e64 v6, v6, v24, s10
	s_delay_alu instid0(VALU_DEP_2) | instskip(NEXT) | instid1(VALU_DEP_2)
	v_cndmask_b32_e64 v3, v3, v24, s10
	v_cmp_class_f32_e64 s1, v6, 0x1f8
	s_delay_alu instid0(VALU_DEP_2) | instskip(NEXT) | instid1(VALU_DEP_2)
	v_cmp_neq_f32_e32 vcc_lo, v6, v3
	s_or_b32 s2, vcc_lo, s1
	s_delay_alu instid0(SALU_CYCLE_1)
	s_and_saveexec_b32 s1, s2
	s_cbranch_execz .LBB390_338
; %bb.337:
	v_sub_f32_e32 v2, v6, v3
	s_mov_b32 s2, 0x3e9b6dac
	s_delay_alu instid0(VALU_DEP_1) | instskip(SKIP_1) | instid1(VALU_DEP_2)
	v_mul_f32_e32 v6, 0x3fb8aa3b, v2
	v_cmp_ngt_f32_e32 vcc_lo, 0xc2ce8ed0, v2
	v_fma_f32 v7, 0x3fb8aa3b, v2, -v6
	v_rndne_f32_e32 v13, v6
	s_delay_alu instid0(VALU_DEP_2) | instskip(NEXT) | instid1(VALU_DEP_2)
	v_fmamk_f32 v7, v2, 0x32a5705f, v7
	v_sub_f32_e32 v6, v6, v13
	s_delay_alu instid0(VALU_DEP_1) | instskip(SKIP_1) | instid1(VALU_DEP_2)
	v_add_f32_e32 v6, v6, v7
	v_cvt_i32_f32_e32 v7, v13
	v_exp_f32_e32 v6, v6
	s_waitcnt_depctr 0xfff
	v_ldexp_f32 v6, v6, v7
	s_delay_alu instid0(VALU_DEP_1) | instskip(SKIP_1) | instid1(VALU_DEP_2)
	v_cndmask_b32_e32 v6, 0, v6, vcc_lo
	v_cmp_nlt_f32_e32 vcc_lo, 0x42b17218, v2
	v_cndmask_b32_e32 v2, 0x7f800000, v6, vcc_lo
	s_delay_alu instid0(VALU_DEP_1) | instskip(NEXT) | instid1(VALU_DEP_1)
	v_add_f32_e32 v13, 1.0, v2
	v_cvt_f64_f32_e32 v[6:7], v13
	s_delay_alu instid0(VALU_DEP_1) | instskip(SKIP_1) | instid1(VALU_DEP_1)
	v_frexp_exp_i32_f64_e32 v6, v[6:7]
	v_frexp_mant_f32_e32 v7, v13
	v_cmp_gt_f32_e32 vcc_lo, 0x3f2aaaab, v7
	v_add_f32_e32 v7, -1.0, v13
	s_delay_alu instid0(VALU_DEP_1) | instskip(NEXT) | instid1(VALU_DEP_1)
	v_dual_sub_f32 v26, v7, v13 :: v_dual_sub_f32 v7, v2, v7
	v_add_f32_e32 v26, 1.0, v26
	v_subrev_co_ci_u32_e32 v6, vcc_lo, 0, v6, vcc_lo
	s_delay_alu instid0(VALU_DEP_1) | instskip(SKIP_1) | instid1(VALU_DEP_2)
	v_sub_nc_u32_e32 v24, 0, v6
	v_cvt_f32_i32_e32 v6, v6
	v_ldexp_f32 v13, v13, v24
	s_delay_alu instid0(VALU_DEP_1) | instskip(NEXT) | instid1(VALU_DEP_1)
	v_add_f32_e32 v27, 1.0, v13
	v_dual_add_f32 v7, v7, v26 :: v_dual_add_f32 v26, -1.0, v27
	s_delay_alu instid0(VALU_DEP_1) | instskip(SKIP_1) | instid1(VALU_DEP_3)
	v_ldexp_f32 v7, v7, v24
	v_add_f32_e32 v24, -1.0, v13
	v_sub_f32_e32 v26, v13, v26
	s_delay_alu instid0(VALU_DEP_2) | instskip(NEXT) | instid1(VALU_DEP_1)
	v_add_f32_e32 v36, 1.0, v24
	v_dual_add_f32 v26, v7, v26 :: v_dual_sub_f32 v13, v13, v36
	v_cmp_eq_f32_e32 vcc_lo, 0x7f800000, v2
	s_delay_alu instid0(VALU_DEP_2) | instskip(NEXT) | instid1(VALU_DEP_3)
	v_add_f32_e32 v36, v27, v26
	v_add_f32_e32 v7, v7, v13
	s_delay_alu instid0(VALU_DEP_2) | instskip(SKIP_1) | instid1(VALU_DEP_2)
	v_rcp_f32_e32 v13, v36
	v_sub_f32_e32 v27, v27, v36
	v_add_f32_e32 v37, v24, v7
	s_delay_alu instid0(VALU_DEP_1) | instskip(SKIP_2) | instid1(VALU_DEP_1)
	v_sub_f32_e32 v24, v24, v37
	s_waitcnt_depctr 0xfff
	v_dual_add_f32 v26, v26, v27 :: v_dual_mul_f32 v53, v37, v13
	v_dual_add_f32 v7, v7, v24 :: v_dual_mul_f32 v54, v36, v53
	s_delay_alu instid0(VALU_DEP_1) | instskip(NEXT) | instid1(VALU_DEP_1)
	v_fma_f32 v27, v53, v36, -v54
	v_fmac_f32_e32 v27, v53, v26
	s_delay_alu instid0(VALU_DEP_1) | instskip(NEXT) | instid1(VALU_DEP_1)
	v_add_f32_e32 v55, v54, v27
	v_sub_f32_e32 v64, v37, v55
	s_delay_alu instid0(VALU_DEP_1) | instskip(NEXT) | instid1(VALU_DEP_1)
	v_dual_sub_f32 v24, v55, v54 :: v_dual_sub_f32 v37, v37, v64
	v_sub_f32_e32 v24, v24, v27
	s_delay_alu instid0(VALU_DEP_2) | instskip(NEXT) | instid1(VALU_DEP_1)
	v_sub_f32_e32 v37, v37, v55
	v_add_f32_e32 v7, v7, v37
	s_delay_alu instid0(VALU_DEP_1) | instskip(NEXT) | instid1(VALU_DEP_1)
	v_add_f32_e32 v7, v24, v7
	v_add_f32_e32 v24, v64, v7
	s_delay_alu instid0(VALU_DEP_1) | instskip(NEXT) | instid1(VALU_DEP_1)
	v_mul_f32_e32 v27, v13, v24
	v_mul_f32_e32 v37, v36, v27
	s_delay_alu instid0(VALU_DEP_1) | instskip(NEXT) | instid1(VALU_DEP_1)
	v_fma_f32 v36, v27, v36, -v37
	v_fmac_f32_e32 v36, v27, v26
	s_delay_alu instid0(VALU_DEP_1) | instskip(NEXT) | instid1(VALU_DEP_1)
	v_add_f32_e32 v26, v37, v36
	v_sub_f32_e32 v54, v24, v26
	v_sub_f32_e32 v55, v64, v24
	s_delay_alu instid0(VALU_DEP_2) | instskip(NEXT) | instid1(VALU_DEP_1)
	v_dual_sub_f32 v37, v26, v37 :: v_dual_sub_f32 v24, v24, v54
	v_dual_add_f32 v7, v7, v55 :: v_dual_sub_f32 v24, v24, v26
	s_delay_alu instid0(VALU_DEP_1) | instskip(NEXT) | instid1(VALU_DEP_3)
	v_dual_add_f32 v7, v7, v24 :: v_dual_add_f32 v24, v53, v27
	v_sub_f32_e32 v26, v37, v36
	s_delay_alu instid0(VALU_DEP_1) | instskip(NEXT) | instid1(VALU_DEP_1)
	v_dual_add_f32 v7, v26, v7 :: v_dual_sub_f32 v26, v24, v53
	v_dual_add_f32 v7, v54, v7 :: v_dual_sub_f32 v26, v27, v26
	s_delay_alu instid0(VALU_DEP_1) | instskip(NEXT) | instid1(VALU_DEP_1)
	v_mul_f32_e32 v7, v13, v7
	v_add_f32_e32 v7, v26, v7
	s_delay_alu instid0(VALU_DEP_1) | instskip(NEXT) | instid1(VALU_DEP_1)
	v_add_f32_e32 v13, v24, v7
	v_mul_f32_e32 v26, v13, v13
	s_delay_alu instid0(VALU_DEP_1) | instskip(SKIP_2) | instid1(VALU_DEP_3)
	v_fmaak_f32 v27, s2, v26, 0x3ecc95a3
	v_mul_f32_e32 v36, v13, v26
	v_cmp_gt_f32_e64 s2, 0x33800000, |v2|
	v_fmaak_f32 v26, v26, v27, 0x3f2aaada
	v_ldexp_f32 v27, v13, 1
	v_sub_f32_e32 v13, v13, v24
	s_delay_alu instid0(VALU_DEP_4) | instskip(NEXT) | instid1(VALU_DEP_1)
	s_or_b32 vcc_lo, vcc_lo, s2
	v_dual_sub_f32 v7, v7, v13 :: v_dual_mul_f32 v26, v36, v26
	s_delay_alu instid0(VALU_DEP_1) | instskip(NEXT) | instid1(VALU_DEP_2)
	v_ldexp_f32 v7, v7, 1
	v_add_f32_e32 v24, v27, v26
	s_delay_alu instid0(VALU_DEP_1) | instskip(NEXT) | instid1(VALU_DEP_1)
	v_dual_mul_f32 v36, 0x3f317218, v6 :: v_dual_sub_f32 v13, v24, v27
	v_fma_f32 v27, 0x3f317218, v6, -v36
	s_delay_alu instid0(VALU_DEP_2) | instskip(NEXT) | instid1(VALU_DEP_1)
	v_sub_f32_e32 v13, v26, v13
	v_add_f32_e32 v7, v7, v13
	s_delay_alu instid0(VALU_DEP_1) | instskip(NEXT) | instid1(VALU_DEP_4)
	v_add_f32_e32 v26, v24, v7
	v_fmamk_f32 v6, v6, 0xb102e308, v27
	s_delay_alu instid0(VALU_DEP_1) | instskip(NEXT) | instid1(VALU_DEP_1)
	v_dual_sub_f32 v24, v26, v24 :: v_dual_add_f32 v13, v36, v6
	v_add_f32_e32 v27, v13, v26
	s_delay_alu instid0(VALU_DEP_1) | instskip(NEXT) | instid1(VALU_DEP_1)
	v_sub_f32_e32 v37, v27, v13
	v_sub_f32_e32 v53, v27, v37
	s_delay_alu instid0(VALU_DEP_4) | instskip(SKIP_1) | instid1(VALU_DEP_3)
	v_dual_sub_f32 v7, v7, v24 :: v_dual_sub_f32 v24, v26, v37
	v_sub_f32_e32 v36, v13, v36
	v_sub_f32_e32 v13, v13, v53
	s_delay_alu instid0(VALU_DEP_1) | instskip(NEXT) | instid1(VALU_DEP_1)
	v_dual_add_f32 v13, v24, v13 :: v_dual_sub_f32 v6, v6, v36
	v_add_f32_e32 v26, v6, v7
	s_delay_alu instid0(VALU_DEP_1) | instskip(NEXT) | instid1(VALU_DEP_3)
	v_sub_f32_e32 v24, v26, v6
	v_add_f32_e32 v13, v26, v13
	s_delay_alu instid0(VALU_DEP_2) | instskip(NEXT) | instid1(VALU_DEP_2)
	v_sub_f32_e32 v26, v26, v24
	v_add_f32_e32 v36, v27, v13
	s_delay_alu instid0(VALU_DEP_2) | instskip(NEXT) | instid1(VALU_DEP_2)
	v_dual_sub_f32 v7, v7, v24 :: v_dual_sub_f32 v6, v6, v26
	v_sub_f32_e32 v24, v36, v27
	s_delay_alu instid0(VALU_DEP_1) | instskip(NEXT) | instid1(VALU_DEP_1)
	v_dual_add_f32 v6, v7, v6 :: v_dual_sub_f32 v7, v13, v24
	v_add_f32_e32 v6, v6, v7
	s_delay_alu instid0(VALU_DEP_1) | instskip(NEXT) | instid1(VALU_DEP_1)
	v_add_f32_e32 v6, v36, v6
	v_cndmask_b32_e32 v2, v6, v2, vcc_lo
	s_delay_alu instid0(VALU_DEP_1) | instskip(NEXT) | instid1(VALU_DEP_1)
	v_add_f32_e32 v2, v3, v2
	v_cvt_f16_f32_e32 v37, v2
	s_delay_alu instid0(VALU_DEP_1)
	v_cvt_f32_f16_e32 v2, v37
	v_mov_b32_e32 v69, v37
.LBB390_338:
	s_or_b32 exec_lo, exec_lo, s1
	s_delay_alu instid0(VALU_DEP_2) | instskip(SKIP_1) | instid1(VALU_DEP_2)
	v_dual_max_f32 v3, v52, v52 :: v_dual_max_f32 v6, v2, v2
	v_cmp_u_f16_e32 vcc_lo, v37, v37
	v_dual_mov_b32 v70, v69 :: v_dual_min_f32 v7, v6, v3
	s_delay_alu instid0(VALU_DEP_1) | instskip(NEXT) | instid1(VALU_DEP_1)
	v_dual_max_f32 v3, v6, v3 :: v_dual_cndmask_b32 v6, v7, v2
	v_cndmask_b32_e32 v3, v3, v2, vcc_lo
	s_delay_alu instid0(VALU_DEP_2) | instskip(NEXT) | instid1(VALU_DEP_2)
	v_cndmask_b32_e64 v6, v6, v52, s11
	v_cndmask_b32_e64 v3, v3, v52, s11
	s_delay_alu instid0(VALU_DEP_2) | instskip(NEXT) | instid1(VALU_DEP_2)
	v_cmp_class_f32_e64 s1, v6, 0x1f8
	v_cmp_neq_f32_e32 vcc_lo, v6, v3
	s_delay_alu instid0(VALU_DEP_2) | instskip(NEXT) | instid1(SALU_CYCLE_1)
	s_or_b32 s2, vcc_lo, s1
	s_and_saveexec_b32 s1, s2
	s_cbranch_execz .LBB390_340
; %bb.339:
	v_sub_f32_e32 v2, v6, v3
	s_mov_b32 s2, 0x3e9b6dac
	s_delay_alu instid0(VALU_DEP_1) | instskip(SKIP_1) | instid1(VALU_DEP_2)
	v_mul_f32_e32 v6, 0x3fb8aa3b, v2
	v_cmp_ngt_f32_e32 vcc_lo, 0xc2ce8ed0, v2
	v_fma_f32 v7, 0x3fb8aa3b, v2, -v6
	v_rndne_f32_e32 v13, v6
	s_delay_alu instid0(VALU_DEP_2) | instskip(NEXT) | instid1(VALU_DEP_2)
	v_fmamk_f32 v7, v2, 0x32a5705f, v7
	v_sub_f32_e32 v6, v6, v13
	s_delay_alu instid0(VALU_DEP_1) | instskip(SKIP_1) | instid1(VALU_DEP_2)
	v_add_f32_e32 v6, v6, v7
	v_cvt_i32_f32_e32 v7, v13
	v_exp_f32_e32 v6, v6
	s_waitcnt_depctr 0xfff
	v_ldexp_f32 v6, v6, v7
	s_delay_alu instid0(VALU_DEP_1) | instskip(SKIP_1) | instid1(VALU_DEP_2)
	v_cndmask_b32_e32 v6, 0, v6, vcc_lo
	v_cmp_nlt_f32_e32 vcc_lo, 0x42b17218, v2
	v_cndmask_b32_e32 v2, 0x7f800000, v6, vcc_lo
	s_delay_alu instid0(VALU_DEP_1) | instskip(NEXT) | instid1(VALU_DEP_1)
	v_add_f32_e32 v13, 1.0, v2
	v_cvt_f64_f32_e32 v[6:7], v13
	s_delay_alu instid0(VALU_DEP_1) | instskip(SKIP_1) | instid1(VALU_DEP_1)
	v_frexp_exp_i32_f64_e32 v6, v[6:7]
	v_frexp_mant_f32_e32 v7, v13
	v_cmp_gt_f32_e32 vcc_lo, 0x3f2aaaab, v7
	v_add_f32_e32 v7, -1.0, v13
	s_delay_alu instid0(VALU_DEP_1) | instskip(NEXT) | instid1(VALU_DEP_1)
	v_dual_sub_f32 v26, v7, v13 :: v_dual_sub_f32 v7, v2, v7
	v_add_f32_e32 v26, 1.0, v26
	v_subrev_co_ci_u32_e32 v6, vcc_lo, 0, v6, vcc_lo
	s_delay_alu instid0(VALU_DEP_1) | instskip(SKIP_1) | instid1(VALU_DEP_2)
	v_sub_nc_u32_e32 v24, 0, v6
	v_cvt_f32_i32_e32 v6, v6
	v_ldexp_f32 v13, v13, v24
	s_delay_alu instid0(VALU_DEP_1) | instskip(NEXT) | instid1(VALU_DEP_1)
	v_add_f32_e32 v27, 1.0, v13
	v_dual_add_f32 v7, v7, v26 :: v_dual_add_f32 v26, -1.0, v27
	s_delay_alu instid0(VALU_DEP_1) | instskip(SKIP_1) | instid1(VALU_DEP_3)
	v_ldexp_f32 v7, v7, v24
	v_add_f32_e32 v24, -1.0, v13
	v_sub_f32_e32 v26, v13, v26
	s_delay_alu instid0(VALU_DEP_2) | instskip(NEXT) | instid1(VALU_DEP_1)
	v_add_f32_e32 v36, 1.0, v24
	v_dual_add_f32 v26, v7, v26 :: v_dual_sub_f32 v13, v13, v36
	v_cmp_eq_f32_e32 vcc_lo, 0x7f800000, v2
	s_delay_alu instid0(VALU_DEP_2) | instskip(NEXT) | instid1(VALU_DEP_3)
	v_add_f32_e32 v36, v27, v26
	v_add_f32_e32 v7, v7, v13
	s_delay_alu instid0(VALU_DEP_2) | instskip(SKIP_1) | instid1(VALU_DEP_2)
	v_rcp_f32_e32 v13, v36
	v_sub_f32_e32 v27, v27, v36
	v_add_f32_e32 v37, v24, v7
	s_delay_alu instid0(VALU_DEP_2) | instskip(NEXT) | instid1(VALU_DEP_2)
	v_add_f32_e32 v26, v26, v27
	v_sub_f32_e32 v24, v24, v37
	s_waitcnt_depctr 0xfff
	v_dual_mul_f32 v52, v37, v13 :: v_dual_add_f32 v7, v7, v24
	s_delay_alu instid0(VALU_DEP_1) | instskip(NEXT) | instid1(VALU_DEP_1)
	v_mul_f32_e32 v53, v36, v52
	v_fma_f32 v27, v52, v36, -v53
	s_delay_alu instid0(VALU_DEP_1) | instskip(NEXT) | instid1(VALU_DEP_1)
	v_fmac_f32_e32 v27, v52, v26
	v_add_f32_e32 v54, v53, v27
	s_delay_alu instid0(VALU_DEP_1) | instskip(NEXT) | instid1(VALU_DEP_1)
	v_sub_f32_e32 v55, v37, v54
	v_sub_f32_e32 v37, v37, v55
	s_delay_alu instid0(VALU_DEP_1) | instskip(NEXT) | instid1(VALU_DEP_1)
	v_sub_f32_e32 v37, v37, v54
	v_add_f32_e32 v7, v7, v37
	v_sub_f32_e32 v24, v54, v53
	s_delay_alu instid0(VALU_DEP_1) | instskip(NEXT) | instid1(VALU_DEP_1)
	v_sub_f32_e32 v24, v24, v27
	v_add_f32_e32 v7, v24, v7
	s_delay_alu instid0(VALU_DEP_1) | instskip(NEXT) | instid1(VALU_DEP_1)
	v_add_f32_e32 v24, v55, v7
	v_mul_f32_e32 v27, v13, v24
	s_delay_alu instid0(VALU_DEP_1) | instskip(NEXT) | instid1(VALU_DEP_1)
	v_mul_f32_e32 v37, v36, v27
	v_fma_f32 v36, v27, v36, -v37
	s_delay_alu instid0(VALU_DEP_1) | instskip(NEXT) | instid1(VALU_DEP_1)
	v_fmac_f32_e32 v36, v27, v26
	v_add_f32_e32 v26, v37, v36
	s_delay_alu instid0(VALU_DEP_1) | instskip(SKIP_1) | instid1(VALU_DEP_1)
	v_sub_f32_e32 v37, v26, v37
	v_dual_sub_f32 v53, v24, v26 :: v_dual_sub_f32 v54, v55, v24
	v_dual_sub_f32 v24, v24, v53 :: v_dual_add_f32 v7, v7, v54
	s_delay_alu instid0(VALU_DEP_1) | instskip(NEXT) | instid1(VALU_DEP_4)
	v_sub_f32_e32 v24, v24, v26
	v_sub_f32_e32 v26, v37, v36
	s_delay_alu instid0(VALU_DEP_2) | instskip(NEXT) | instid1(VALU_DEP_1)
	v_dual_add_f32 v7, v7, v24 :: v_dual_add_f32 v24, v52, v27
	v_add_f32_e32 v7, v26, v7
	s_delay_alu instid0(VALU_DEP_1) | instskip(NEXT) | instid1(VALU_DEP_1)
	v_dual_add_f32 v7, v53, v7 :: v_dual_sub_f32 v26, v24, v52
	v_dual_mul_f32 v7, v13, v7 :: v_dual_sub_f32 v26, v27, v26
	s_delay_alu instid0(VALU_DEP_1) | instskip(NEXT) | instid1(VALU_DEP_1)
	v_add_f32_e32 v7, v26, v7
	v_add_f32_e32 v13, v24, v7
	s_delay_alu instid0(VALU_DEP_1) | instskip(NEXT) | instid1(VALU_DEP_1)
	v_mul_f32_e32 v26, v13, v13
	v_fmaak_f32 v27, s2, v26, 0x3ecc95a3
	v_mul_f32_e32 v36, v13, v26
	v_cmp_gt_f32_e64 s2, 0x33800000, |v2|
	s_delay_alu instid0(VALU_DEP_3) | instskip(SKIP_2) | instid1(VALU_DEP_4)
	v_fmaak_f32 v26, v26, v27, 0x3f2aaada
	v_ldexp_f32 v27, v13, 1
	v_sub_f32_e32 v13, v13, v24
	s_or_b32 vcc_lo, vcc_lo, s2
	s_delay_alu instid0(VALU_DEP_1) | instskip(NEXT) | instid1(VALU_DEP_1)
	v_dual_mul_f32 v26, v36, v26 :: v_dual_sub_f32 v7, v7, v13
	v_add_f32_e32 v24, v27, v26
	s_delay_alu instid0(VALU_DEP_2) | instskip(NEXT) | instid1(VALU_DEP_2)
	v_ldexp_f32 v7, v7, 1
	v_sub_f32_e32 v13, v24, v27
	s_delay_alu instid0(VALU_DEP_1) | instskip(NEXT) | instid1(VALU_DEP_1)
	v_sub_f32_e32 v13, v26, v13
	v_add_f32_e32 v7, v7, v13
	s_delay_alu instid0(VALU_DEP_1) | instskip(NEXT) | instid1(VALU_DEP_1)
	v_add_f32_e32 v26, v24, v7
	v_sub_f32_e32 v24, v26, v24
	s_delay_alu instid0(VALU_DEP_1) | instskip(NEXT) | instid1(VALU_DEP_1)
	v_dual_mul_f32 v36, 0x3f317218, v6 :: v_dual_sub_f32 v7, v7, v24
	v_fma_f32 v27, 0x3f317218, v6, -v36
	s_delay_alu instid0(VALU_DEP_1) | instskip(NEXT) | instid1(VALU_DEP_1)
	v_fmamk_f32 v6, v6, 0xb102e308, v27
	v_add_f32_e32 v13, v36, v6
	s_delay_alu instid0(VALU_DEP_1) | instskip(NEXT) | instid1(VALU_DEP_1)
	v_add_f32_e32 v27, v13, v26
	v_sub_f32_e32 v37, v27, v13
	s_delay_alu instid0(VALU_DEP_1) | instskip(SKIP_2) | instid1(VALU_DEP_3)
	v_sub_f32_e32 v52, v27, v37
	v_sub_f32_e32 v24, v26, v37
	;; [unrolled: 1-line block ×4, first 2 shown]
	s_delay_alu instid0(VALU_DEP_1) | instskip(NEXT) | instid1(VALU_DEP_1)
	v_dual_add_f32 v13, v24, v13 :: v_dual_sub_f32 v6, v6, v36
	v_add_f32_e32 v26, v6, v7
	s_delay_alu instid0(VALU_DEP_1) | instskip(NEXT) | instid1(VALU_DEP_1)
	v_sub_f32_e32 v24, v26, v6
	v_sub_f32_e32 v7, v7, v24
	s_delay_alu instid0(VALU_DEP_4) | instskip(SKIP_1) | instid1(VALU_DEP_2)
	v_add_f32_e32 v13, v26, v13
	v_sub_f32_e32 v26, v26, v24
	v_add_f32_e32 v36, v27, v13
	s_delay_alu instid0(VALU_DEP_2) | instskip(NEXT) | instid1(VALU_DEP_2)
	v_sub_f32_e32 v6, v6, v26
	v_sub_f32_e32 v24, v36, v27
	s_delay_alu instid0(VALU_DEP_1) | instskip(NEXT) | instid1(VALU_DEP_1)
	v_dual_add_f32 v6, v7, v6 :: v_dual_sub_f32 v7, v13, v24
	v_add_f32_e32 v6, v6, v7
	s_delay_alu instid0(VALU_DEP_1) | instskip(NEXT) | instid1(VALU_DEP_1)
	v_add_f32_e32 v6, v36, v6
	v_cndmask_b32_e32 v2, v6, v2, vcc_lo
	s_delay_alu instid0(VALU_DEP_1) | instskip(NEXT) | instid1(VALU_DEP_1)
	v_add_f32_e32 v2, v3, v2
	v_cvt_f16_f32_e32 v37, v2
	s_delay_alu instid0(VALU_DEP_1)
	v_cvt_f32_f16_e32 v2, v37
	v_mov_b32_e32 v70, v37
.LBB390_340:
	s_or_b32 exec_lo, exec_lo, s1
	s_delay_alu instid0(VALU_DEP_2) | instskip(SKIP_1) | instid1(VALU_DEP_3)
	v_dual_max_f32 v3, v25, v25 :: v_dual_max_f32 v6, v2, v2
	v_cmp_u_f16_e32 vcc_lo, v37, v37
	v_mov_b32_e32 v71, v70
	s_delay_alu instid0(VALU_DEP_3) | instskip(NEXT) | instid1(VALU_DEP_1)
	v_min_f32_e32 v7, v6, v3
	v_dual_max_f32 v3, v6, v3 :: v_dual_cndmask_b32 v6, v7, v2
	s_delay_alu instid0(VALU_DEP_1) | instskip(NEXT) | instid1(VALU_DEP_2)
	v_cndmask_b32_e32 v3, v3, v2, vcc_lo
	v_cndmask_b32_e64 v6, v6, v25, s12
	s_delay_alu instid0(VALU_DEP_2) | instskip(NEXT) | instid1(VALU_DEP_2)
	v_cndmask_b32_e64 v3, v3, v25, s12
	v_cmp_class_f32_e64 s1, v6, 0x1f8
	s_delay_alu instid0(VALU_DEP_2) | instskip(NEXT) | instid1(VALU_DEP_2)
	v_cmp_neq_f32_e32 vcc_lo, v6, v3
	s_or_b32 s2, vcc_lo, s1
	s_delay_alu instid0(SALU_CYCLE_1)
	s_and_saveexec_b32 s1, s2
	s_cbranch_execz .LBB390_342
; %bb.341:
	v_sub_f32_e32 v2, v6, v3
	s_mov_b32 s2, 0x3e9b6dac
	s_delay_alu instid0(VALU_DEP_1) | instskip(SKIP_1) | instid1(VALU_DEP_2)
	v_mul_f32_e32 v6, 0x3fb8aa3b, v2
	v_cmp_ngt_f32_e32 vcc_lo, 0xc2ce8ed0, v2
	v_fma_f32 v7, 0x3fb8aa3b, v2, -v6
	v_rndne_f32_e32 v13, v6
	s_delay_alu instid0(VALU_DEP_2) | instskip(NEXT) | instid1(VALU_DEP_2)
	v_fmamk_f32 v7, v2, 0x32a5705f, v7
	v_sub_f32_e32 v6, v6, v13
	s_delay_alu instid0(VALU_DEP_1) | instskip(SKIP_1) | instid1(VALU_DEP_2)
	v_add_f32_e32 v6, v6, v7
	v_cvt_i32_f32_e32 v7, v13
	v_exp_f32_e32 v6, v6
	s_waitcnt_depctr 0xfff
	v_ldexp_f32 v6, v6, v7
	s_delay_alu instid0(VALU_DEP_1) | instskip(SKIP_1) | instid1(VALU_DEP_2)
	v_cndmask_b32_e32 v6, 0, v6, vcc_lo
	v_cmp_nlt_f32_e32 vcc_lo, 0x42b17218, v2
	v_cndmask_b32_e32 v2, 0x7f800000, v6, vcc_lo
	s_delay_alu instid0(VALU_DEP_1) | instskip(NEXT) | instid1(VALU_DEP_1)
	v_add_f32_e32 v13, 1.0, v2
	v_cvt_f64_f32_e32 v[6:7], v13
	s_delay_alu instid0(VALU_DEP_1) | instskip(SKIP_1) | instid1(VALU_DEP_1)
	v_frexp_exp_i32_f64_e32 v6, v[6:7]
	v_frexp_mant_f32_e32 v7, v13
	v_cmp_gt_f32_e32 vcc_lo, 0x3f2aaaab, v7
	v_add_f32_e32 v7, -1.0, v13
	s_delay_alu instid0(VALU_DEP_1) | instskip(NEXT) | instid1(VALU_DEP_1)
	v_sub_f32_e32 v25, v7, v13
	v_add_f32_e32 v25, 1.0, v25
	v_subrev_co_ci_u32_e32 v6, vcc_lo, 0, v6, vcc_lo
	s_delay_alu instid0(VALU_DEP_1) | instskip(SKIP_1) | instid1(VALU_DEP_2)
	v_sub_nc_u32_e32 v24, 0, v6
	v_cvt_f32_i32_e32 v6, v6
	v_ldexp_f32 v13, v13, v24
	s_delay_alu instid0(VALU_DEP_1) | instskip(NEXT) | instid1(VALU_DEP_1)
	v_dual_sub_f32 v7, v2, v7 :: v_dual_add_f32 v26, 1.0, v13
	v_add_f32_e32 v7, v7, v25
	v_cmp_eq_f32_e32 vcc_lo, 0x7f800000, v2
	s_delay_alu instid0(VALU_DEP_3) | instskip(NEXT) | instid1(VALU_DEP_3)
	v_add_f32_e32 v25, -1.0, v26
	v_ldexp_f32 v7, v7, v24
	v_add_f32_e32 v24, -1.0, v13
	s_delay_alu instid0(VALU_DEP_3) | instskip(NEXT) | instid1(VALU_DEP_2)
	v_sub_f32_e32 v25, v13, v25
	v_add_f32_e32 v27, 1.0, v24
	s_delay_alu instid0(VALU_DEP_2) | instskip(NEXT) | instid1(VALU_DEP_2)
	v_add_f32_e32 v25, v7, v25
	v_sub_f32_e32 v13, v13, v27
	s_delay_alu instid0(VALU_DEP_1) | instskip(NEXT) | instid1(VALU_DEP_1)
	v_add_f32_e32 v7, v7, v13
	v_dual_add_f32 v36, v24, v7 :: v_dual_add_f32 v27, v26, v25
	s_delay_alu instid0(VALU_DEP_1) | instskip(NEXT) | instid1(VALU_DEP_2)
	v_sub_f32_e32 v24, v24, v36
	v_rcp_f32_e32 v13, v27
	v_sub_f32_e32 v26, v26, v27
	s_delay_alu instid0(VALU_DEP_1) | instskip(SKIP_2) | instid1(VALU_DEP_1)
	v_add_f32_e32 v25, v25, v26
	s_waitcnt_depctr 0xfff
	v_mul_f32_e32 v37, v36, v13
	v_mul_f32_e32 v52, v27, v37
	s_delay_alu instid0(VALU_DEP_1) | instskip(NEXT) | instid1(VALU_DEP_1)
	v_fma_f32 v26, v37, v27, -v52
	v_fmac_f32_e32 v26, v37, v25
	s_delay_alu instid0(VALU_DEP_1) | instskip(NEXT) | instid1(VALU_DEP_1)
	v_add_f32_e32 v53, v52, v26
	v_sub_f32_e32 v54, v36, v53
	s_delay_alu instid0(VALU_DEP_1) | instskip(SKIP_1) | instid1(VALU_DEP_2)
	v_dual_sub_f32 v36, v36, v54 :: v_dual_add_f32 v7, v7, v24
	v_sub_f32_e32 v24, v53, v52
	v_sub_f32_e32 v36, v36, v53
	s_delay_alu instid0(VALU_DEP_1) | instskip(NEXT) | instid1(VALU_DEP_1)
	v_dual_sub_f32 v24, v24, v26 :: v_dual_add_f32 v7, v7, v36
	v_add_f32_e32 v7, v24, v7
	s_delay_alu instid0(VALU_DEP_1) | instskip(NEXT) | instid1(VALU_DEP_1)
	v_add_f32_e32 v24, v54, v7
	v_mul_f32_e32 v26, v13, v24
	s_delay_alu instid0(VALU_DEP_1) | instskip(NEXT) | instid1(VALU_DEP_1)
	v_dual_sub_f32 v53, v54, v24 :: v_dual_mul_f32 v36, v27, v26
	v_add_f32_e32 v7, v7, v53
	s_delay_alu instid0(VALU_DEP_2) | instskip(NEXT) | instid1(VALU_DEP_1)
	v_fma_f32 v27, v26, v27, -v36
	v_fmac_f32_e32 v27, v26, v25
	s_delay_alu instid0(VALU_DEP_1) | instskip(NEXT) | instid1(VALU_DEP_1)
	v_add_f32_e32 v25, v36, v27
	v_sub_f32_e32 v52, v24, v25
	s_delay_alu instid0(VALU_DEP_1) | instskip(NEXT) | instid1(VALU_DEP_1)
	v_sub_f32_e32 v24, v24, v52
	v_sub_f32_e32 v24, v24, v25
	s_delay_alu instid0(VALU_DEP_1) | instskip(SKIP_1) | instid1(VALU_DEP_1)
	v_dual_add_f32 v7, v7, v24 :: v_dual_add_f32 v24, v37, v26
	v_sub_f32_e32 v36, v25, v36
	v_sub_f32_e32 v25, v36, v27
	s_delay_alu instid0(VALU_DEP_1) | instskip(NEXT) | instid1(VALU_DEP_4)
	v_add_f32_e32 v7, v25, v7
	v_sub_f32_e32 v25, v24, v37
	s_delay_alu instid0(VALU_DEP_2) | instskip(NEXT) | instid1(VALU_DEP_2)
	v_add_f32_e32 v7, v52, v7
	v_sub_f32_e32 v25, v26, v25
	s_delay_alu instid0(VALU_DEP_2) | instskip(NEXT) | instid1(VALU_DEP_1)
	v_mul_f32_e32 v7, v13, v7
	v_add_f32_e32 v7, v25, v7
	s_delay_alu instid0(VALU_DEP_1) | instskip(NEXT) | instid1(VALU_DEP_1)
	v_add_f32_e32 v13, v24, v7
	v_mul_f32_e32 v25, v13, v13
	s_delay_alu instid0(VALU_DEP_1) | instskip(SKIP_2) | instid1(VALU_DEP_3)
	v_fmaak_f32 v26, s2, v25, 0x3ecc95a3
	v_mul_f32_e32 v27, v13, v25
	v_cmp_gt_f32_e64 s2, 0x33800000, |v2|
	v_fmaak_f32 v25, v25, v26, 0x3f2aaada
	v_ldexp_f32 v26, v13, 1
	s_delay_alu instid0(VALU_DEP_3) | instskip(SKIP_1) | instid1(VALU_DEP_3)
	s_or_b32 vcc_lo, vcc_lo, s2
	v_sub_f32_e32 v13, v13, v24
	v_mul_f32_e32 v25, v27, v25
	s_delay_alu instid0(VALU_DEP_2) | instskip(NEXT) | instid1(VALU_DEP_2)
	v_sub_f32_e32 v7, v7, v13
	v_add_f32_e32 v24, v26, v25
	s_delay_alu instid0(VALU_DEP_2) | instskip(NEXT) | instid1(VALU_DEP_2)
	v_ldexp_f32 v7, v7, 1
	v_sub_f32_e32 v13, v24, v26
	s_delay_alu instid0(VALU_DEP_1) | instskip(NEXT) | instid1(VALU_DEP_1)
	v_sub_f32_e32 v13, v25, v13
	v_add_f32_e32 v7, v7, v13
	s_delay_alu instid0(VALU_DEP_1) | instskip(NEXT) | instid1(VALU_DEP_1)
	v_add_f32_e32 v25, v24, v7
	v_dual_mul_f32 v27, 0x3f317218, v6 :: v_dual_sub_f32 v24, v25, v24
	s_delay_alu instid0(VALU_DEP_1) | instskip(NEXT) | instid1(VALU_DEP_1)
	v_fma_f32 v26, 0x3f317218, v6, -v27
	v_dual_sub_f32 v7, v7, v24 :: v_dual_fmamk_f32 v6, v6, 0xb102e308, v26
	s_delay_alu instid0(VALU_DEP_1) | instskip(NEXT) | instid1(VALU_DEP_1)
	v_add_f32_e32 v13, v27, v6
	v_add_f32_e32 v26, v13, v25
	s_delay_alu instid0(VALU_DEP_1) | instskip(NEXT) | instid1(VALU_DEP_1)
	v_dual_sub_f32 v27, v13, v27 :: v_dual_sub_f32 v36, v26, v13
	v_sub_f32_e32 v6, v6, v27
	s_delay_alu instid0(VALU_DEP_2) | instskip(NEXT) | instid1(VALU_DEP_2)
	v_sub_f32_e32 v37, v26, v36
	v_dual_sub_f32 v24, v25, v36 :: v_dual_add_f32 v25, v6, v7
	s_delay_alu instid0(VALU_DEP_2) | instskip(NEXT) | instid1(VALU_DEP_1)
	v_sub_f32_e32 v13, v13, v37
	v_dual_add_f32 v13, v24, v13 :: v_dual_sub_f32 v24, v25, v6
	s_delay_alu instid0(VALU_DEP_1) | instskip(NEXT) | instid1(VALU_DEP_2)
	v_add_f32_e32 v13, v25, v13
	v_sub_f32_e32 v25, v25, v24
	v_sub_f32_e32 v7, v7, v24
	s_delay_alu instid0(VALU_DEP_3) | instskip(NEXT) | instid1(VALU_DEP_3)
	v_add_f32_e32 v27, v26, v13
	v_sub_f32_e32 v6, v6, v25
	s_delay_alu instid0(VALU_DEP_2) | instskip(NEXT) | instid1(VALU_DEP_1)
	v_sub_f32_e32 v24, v27, v26
	v_dual_add_f32 v6, v7, v6 :: v_dual_sub_f32 v7, v13, v24
	s_delay_alu instid0(VALU_DEP_1) | instskip(NEXT) | instid1(VALU_DEP_1)
	v_add_f32_e32 v6, v6, v7
	v_add_f32_e32 v6, v27, v6
	s_delay_alu instid0(VALU_DEP_1) | instskip(NEXT) | instid1(VALU_DEP_1)
	v_cndmask_b32_e32 v2, v6, v2, vcc_lo
	v_add_f32_e32 v2, v3, v2
	s_delay_alu instid0(VALU_DEP_1) | instskip(NEXT) | instid1(VALU_DEP_1)
	v_cvt_f16_f32_e32 v37, v2
	v_cvt_f32_f16_e32 v2, v37
	v_mov_b32_e32 v71, v37
.LBB390_342:
	s_or_b32 exec_lo, exec_lo, s1
	s_delay_alu instid0(VALU_DEP_2) | instskip(SKIP_1) | instid1(VALU_DEP_2)
	v_dual_max_f32 v3, v51, v51 :: v_dual_max_f32 v6, v2, v2
	v_cmp_u_f16_e32 vcc_lo, v37, v37
	v_dual_mov_b32 v80, v71 :: v_dual_min_f32 v7, v6, v3
	s_delay_alu instid0(VALU_DEP_1) | instskip(NEXT) | instid1(VALU_DEP_1)
	v_dual_max_f32 v3, v6, v3 :: v_dual_cndmask_b32 v6, v7, v2
	v_cndmask_b32_e32 v3, v3, v2, vcc_lo
	s_delay_alu instid0(VALU_DEP_2) | instskip(NEXT) | instid1(VALU_DEP_2)
	v_cndmask_b32_e64 v6, v6, v51, s13
	v_cndmask_b32_e64 v3, v3, v51, s13
	s_delay_alu instid0(VALU_DEP_2) | instskip(NEXT) | instid1(VALU_DEP_2)
	v_cmp_class_f32_e64 s1, v6, 0x1f8
	v_cmp_neq_f32_e32 vcc_lo, v6, v3
	s_delay_alu instid0(VALU_DEP_2) | instskip(NEXT) | instid1(SALU_CYCLE_1)
	s_or_b32 s2, vcc_lo, s1
	s_and_saveexec_b32 s1, s2
	s_cbranch_execz .LBB390_344
; %bb.343:
	v_sub_f32_e32 v2, v6, v3
	s_mov_b32 s2, 0x3e9b6dac
	s_delay_alu instid0(VALU_DEP_1) | instskip(SKIP_1) | instid1(VALU_DEP_2)
	v_mul_f32_e32 v6, 0x3fb8aa3b, v2
	v_cmp_ngt_f32_e32 vcc_lo, 0xc2ce8ed0, v2
	v_fma_f32 v7, 0x3fb8aa3b, v2, -v6
	v_rndne_f32_e32 v13, v6
	s_delay_alu instid0(VALU_DEP_2) | instskip(NEXT) | instid1(VALU_DEP_2)
	v_fmamk_f32 v7, v2, 0x32a5705f, v7
	v_sub_f32_e32 v6, v6, v13
	s_delay_alu instid0(VALU_DEP_1) | instskip(SKIP_1) | instid1(VALU_DEP_2)
	v_add_f32_e32 v6, v6, v7
	v_cvt_i32_f32_e32 v7, v13
	v_exp_f32_e32 v6, v6
	s_waitcnt_depctr 0xfff
	v_ldexp_f32 v6, v6, v7
	s_delay_alu instid0(VALU_DEP_1) | instskip(SKIP_1) | instid1(VALU_DEP_2)
	v_cndmask_b32_e32 v6, 0, v6, vcc_lo
	v_cmp_nlt_f32_e32 vcc_lo, 0x42b17218, v2
	v_cndmask_b32_e32 v2, 0x7f800000, v6, vcc_lo
	s_delay_alu instid0(VALU_DEP_1) | instskip(NEXT) | instid1(VALU_DEP_1)
	v_add_f32_e32 v13, 1.0, v2
	v_cvt_f64_f32_e32 v[6:7], v13
	s_delay_alu instid0(VALU_DEP_1) | instskip(SKIP_1) | instid1(VALU_DEP_1)
	v_frexp_exp_i32_f64_e32 v6, v[6:7]
	v_frexp_mant_f32_e32 v7, v13
	v_cmp_gt_f32_e32 vcc_lo, 0x3f2aaaab, v7
	v_add_f32_e32 v7, -1.0, v13
	s_delay_alu instid0(VALU_DEP_1) | instskip(NEXT) | instid1(VALU_DEP_1)
	v_sub_f32_e32 v25, v7, v13
	v_add_f32_e32 v25, 1.0, v25
	v_subrev_co_ci_u32_e32 v6, vcc_lo, 0, v6, vcc_lo
	s_delay_alu instid0(VALU_DEP_1) | instskip(SKIP_1) | instid1(VALU_DEP_2)
	v_sub_nc_u32_e32 v24, 0, v6
	v_cvt_f32_i32_e32 v6, v6
	v_ldexp_f32 v13, v13, v24
	s_delay_alu instid0(VALU_DEP_1) | instskip(NEXT) | instid1(VALU_DEP_1)
	v_dual_sub_f32 v7, v2, v7 :: v_dual_add_f32 v26, 1.0, v13
	v_add_f32_e32 v7, v7, v25
	v_cmp_eq_f32_e32 vcc_lo, 0x7f800000, v2
	s_delay_alu instid0(VALU_DEP_3) | instskip(NEXT) | instid1(VALU_DEP_3)
	v_add_f32_e32 v25, -1.0, v26
	v_ldexp_f32 v7, v7, v24
	v_add_f32_e32 v24, -1.0, v13
	s_delay_alu instid0(VALU_DEP_3) | instskip(NEXT) | instid1(VALU_DEP_2)
	v_sub_f32_e32 v25, v13, v25
	v_add_f32_e32 v27, 1.0, v24
	s_delay_alu instid0(VALU_DEP_2) | instskip(NEXT) | instid1(VALU_DEP_2)
	v_add_f32_e32 v25, v7, v25
	v_sub_f32_e32 v13, v13, v27
	s_delay_alu instid0(VALU_DEP_1) | instskip(NEXT) | instid1(VALU_DEP_1)
	v_add_f32_e32 v7, v7, v13
	v_dual_add_f32 v36, v24, v7 :: v_dual_add_f32 v27, v26, v25
	s_delay_alu instid0(VALU_DEP_1) | instskip(NEXT) | instid1(VALU_DEP_2)
	v_sub_f32_e32 v24, v24, v36
	v_rcp_f32_e32 v13, v27
	v_sub_f32_e32 v26, v26, v27
	s_delay_alu instid0(VALU_DEP_1) | instskip(SKIP_2) | instid1(VALU_DEP_1)
	v_add_f32_e32 v25, v25, v26
	s_waitcnt_depctr 0xfff
	v_mul_f32_e32 v37, v36, v13
	v_mul_f32_e32 v51, v27, v37
	s_delay_alu instid0(VALU_DEP_1) | instskip(NEXT) | instid1(VALU_DEP_1)
	v_fma_f32 v26, v37, v27, -v51
	v_dual_fmac_f32 v26, v37, v25 :: v_dual_add_f32 v7, v7, v24
	s_delay_alu instid0(VALU_DEP_1) | instskip(NEXT) | instid1(VALU_DEP_1)
	v_add_f32_e32 v52, v51, v26
	v_sub_f32_e32 v53, v36, v52
	s_delay_alu instid0(VALU_DEP_1) | instskip(NEXT) | instid1(VALU_DEP_1)
	v_sub_f32_e32 v36, v36, v53
	v_sub_f32_e32 v36, v36, v52
	;; [unrolled: 1-line block ×3, first 2 shown]
	s_delay_alu instid0(VALU_DEP_1) | instskip(NEXT) | instid1(VALU_DEP_1)
	v_dual_sub_f32 v24, v24, v26 :: v_dual_add_f32 v7, v7, v36
	v_add_f32_e32 v7, v24, v7
	s_delay_alu instid0(VALU_DEP_1) | instskip(NEXT) | instid1(VALU_DEP_1)
	v_add_f32_e32 v24, v53, v7
	v_mul_f32_e32 v26, v13, v24
	s_delay_alu instid0(VALU_DEP_1) | instskip(SKIP_1) | instid1(VALU_DEP_2)
	v_mul_f32_e32 v36, v27, v26
	v_sub_f32_e32 v52, v53, v24
	v_fma_f32 v27, v26, v27, -v36
	s_delay_alu instid0(VALU_DEP_1) | instskip(NEXT) | instid1(VALU_DEP_1)
	v_fmac_f32_e32 v27, v26, v25
	v_add_f32_e32 v25, v36, v27
	s_delay_alu instid0(VALU_DEP_1) | instskip(NEXT) | instid1(VALU_DEP_1)
	v_sub_f32_e32 v51, v24, v25
	v_dual_sub_f32 v24, v24, v51 :: v_dual_add_f32 v7, v7, v52
	s_delay_alu instid0(VALU_DEP_1) | instskip(NEXT) | instid1(VALU_DEP_1)
	v_sub_f32_e32 v24, v24, v25
	v_dual_add_f32 v7, v7, v24 :: v_dual_add_f32 v24, v37, v26
	v_sub_f32_e32 v36, v25, v36
	s_delay_alu instid0(VALU_DEP_1) | instskip(NEXT) | instid1(VALU_DEP_1)
	v_sub_f32_e32 v25, v36, v27
	v_add_f32_e32 v7, v25, v7
	s_delay_alu instid0(VALU_DEP_4) | instskip(NEXT) | instid1(VALU_DEP_2)
	v_sub_f32_e32 v25, v24, v37
	v_add_f32_e32 v7, v51, v7
	s_delay_alu instid0(VALU_DEP_2) | instskip(NEXT) | instid1(VALU_DEP_2)
	v_sub_f32_e32 v25, v26, v25
	v_mul_f32_e32 v7, v13, v7
	s_delay_alu instid0(VALU_DEP_1) | instskip(NEXT) | instid1(VALU_DEP_1)
	v_add_f32_e32 v7, v25, v7
	v_add_f32_e32 v13, v24, v7
	s_delay_alu instid0(VALU_DEP_1) | instskip(NEXT) | instid1(VALU_DEP_1)
	v_mul_f32_e32 v25, v13, v13
	v_fmaak_f32 v26, s2, v25, 0x3ecc95a3
	v_mul_f32_e32 v27, v13, v25
	v_cmp_gt_f32_e64 s2, 0x33800000, |v2|
	s_delay_alu instid0(VALU_DEP_3) | instskip(SKIP_1) | instid1(VALU_DEP_3)
	v_fmaak_f32 v25, v25, v26, 0x3f2aaada
	v_ldexp_f32 v26, v13, 1
	s_or_b32 vcc_lo, vcc_lo, s2
	v_sub_f32_e32 v13, v13, v24
	s_delay_alu instid0(VALU_DEP_3) | instskip(NEXT) | instid1(VALU_DEP_2)
	v_mul_f32_e32 v25, v27, v25
	v_sub_f32_e32 v7, v7, v13
	s_delay_alu instid0(VALU_DEP_2) | instskip(NEXT) | instid1(VALU_DEP_2)
	v_add_f32_e32 v24, v26, v25
	v_ldexp_f32 v7, v7, 1
	s_delay_alu instid0(VALU_DEP_2) | instskip(NEXT) | instid1(VALU_DEP_1)
	v_sub_f32_e32 v13, v24, v26
	v_sub_f32_e32 v13, v25, v13
	s_delay_alu instid0(VALU_DEP_1) | instskip(NEXT) | instid1(VALU_DEP_1)
	v_add_f32_e32 v7, v7, v13
	v_add_f32_e32 v25, v24, v7
	s_delay_alu instid0(VALU_DEP_1) | instskip(NEXT) | instid1(VALU_DEP_1)
	v_dual_mul_f32 v27, 0x3f317218, v6 :: v_dual_sub_f32 v24, v25, v24
	v_fma_f32 v26, 0x3f317218, v6, -v27
	s_delay_alu instid0(VALU_DEP_1) | instskip(NEXT) | instid1(VALU_DEP_1)
	v_dual_sub_f32 v7, v7, v24 :: v_dual_fmamk_f32 v6, v6, 0xb102e308, v26
	v_add_f32_e32 v13, v27, v6
	s_delay_alu instid0(VALU_DEP_1) | instskip(NEXT) | instid1(VALU_DEP_1)
	v_add_f32_e32 v26, v13, v25
	v_sub_f32_e32 v36, v26, v13
	s_delay_alu instid0(VALU_DEP_1) | instskip(SKIP_2) | instid1(VALU_DEP_1)
	v_sub_f32_e32 v24, v25, v36
	v_sub_f32_e32 v27, v13, v27
	;; [unrolled: 1-line block ×3, first 2 shown]
	v_dual_sub_f32 v6, v6, v27 :: v_dual_sub_f32 v13, v13, v37
	s_delay_alu instid0(VALU_DEP_1) | instskip(NEXT) | instid1(VALU_DEP_1)
	v_add_f32_e32 v25, v6, v7
	v_dual_add_f32 v13, v24, v13 :: v_dual_sub_f32 v24, v25, v6
	s_delay_alu instid0(VALU_DEP_1) | instskip(NEXT) | instid1(VALU_DEP_2)
	v_add_f32_e32 v13, v25, v13
	v_sub_f32_e32 v25, v25, v24
	s_delay_alu instid0(VALU_DEP_2) | instskip(NEXT) | instid1(VALU_DEP_2)
	v_add_f32_e32 v27, v26, v13
	v_dual_sub_f32 v7, v7, v24 :: v_dual_sub_f32 v6, v6, v25
	s_delay_alu instid0(VALU_DEP_2) | instskip(NEXT) | instid1(VALU_DEP_1)
	v_sub_f32_e32 v24, v27, v26
	v_dual_add_f32 v6, v7, v6 :: v_dual_sub_f32 v7, v13, v24
	s_delay_alu instid0(VALU_DEP_1) | instskip(NEXT) | instid1(VALU_DEP_1)
	v_add_f32_e32 v6, v6, v7
	v_add_f32_e32 v6, v27, v6
	s_delay_alu instid0(VALU_DEP_1) | instskip(NEXT) | instid1(VALU_DEP_1)
	v_cndmask_b32_e32 v2, v6, v2, vcc_lo
	v_add_f32_e32 v2, v3, v2
	s_delay_alu instid0(VALU_DEP_1) | instskip(NEXT) | instid1(VALU_DEP_1)
	v_cvt_f16_f32_e32 v37, v2
	v_cvt_f32_f16_e32 v2, v37
	v_mov_b32_e32 v80, v37
.LBB390_344:
	s_or_b32 exec_lo, exec_lo, s1
	v_max_f32_e32 v3, v22, v22
	s_delay_alu instid0(VALU_DEP_2) | instskip(SKIP_1) | instid1(VALU_DEP_2)
	v_dual_max_f32 v6, v2, v2 :: v_dual_mov_b32 v81, v80
	v_cmp_u_f16_e32 vcc_lo, v37, v37
	v_min_f32_e32 v7, v6, v3
	s_delay_alu instid0(VALU_DEP_1) | instskip(NEXT) | instid1(VALU_DEP_1)
	v_dual_max_f32 v3, v6, v3 :: v_dual_cndmask_b32 v6, v7, v2
	v_cndmask_b32_e32 v3, v3, v2, vcc_lo
	s_delay_alu instid0(VALU_DEP_2) | instskip(NEXT) | instid1(VALU_DEP_2)
	v_cndmask_b32_e64 v6, v6, v22, s14
	v_cndmask_b32_e64 v3, v3, v22, s14
	s_delay_alu instid0(VALU_DEP_2) | instskip(NEXT) | instid1(VALU_DEP_2)
	v_cmp_class_f32_e64 s1, v6, 0x1f8
	v_cmp_neq_f32_e32 vcc_lo, v6, v3
	s_delay_alu instid0(VALU_DEP_2) | instskip(NEXT) | instid1(SALU_CYCLE_1)
	s_or_b32 s2, vcc_lo, s1
	s_and_saveexec_b32 s1, s2
	s_cbranch_execz .LBB390_346
; %bb.345:
	v_sub_f32_e32 v2, v6, v3
	s_mov_b32 s2, 0x3e9b6dac
	s_delay_alu instid0(VALU_DEP_1) | instskip(SKIP_1) | instid1(VALU_DEP_2)
	v_mul_f32_e32 v6, 0x3fb8aa3b, v2
	v_cmp_ngt_f32_e32 vcc_lo, 0xc2ce8ed0, v2
	v_fma_f32 v7, 0x3fb8aa3b, v2, -v6
	v_rndne_f32_e32 v13, v6
	s_delay_alu instid0(VALU_DEP_2) | instskip(NEXT) | instid1(VALU_DEP_2)
	v_fmamk_f32 v7, v2, 0x32a5705f, v7
	v_sub_f32_e32 v6, v6, v13
	s_delay_alu instid0(VALU_DEP_1) | instskip(SKIP_1) | instid1(VALU_DEP_2)
	v_add_f32_e32 v6, v6, v7
	v_cvt_i32_f32_e32 v7, v13
	v_exp_f32_e32 v6, v6
	s_waitcnt_depctr 0xfff
	v_ldexp_f32 v6, v6, v7
	s_delay_alu instid0(VALU_DEP_1) | instskip(SKIP_1) | instid1(VALU_DEP_2)
	v_cndmask_b32_e32 v6, 0, v6, vcc_lo
	v_cmp_nlt_f32_e32 vcc_lo, 0x42b17218, v2
	v_cndmask_b32_e32 v2, 0x7f800000, v6, vcc_lo
	s_delay_alu instid0(VALU_DEP_1) | instskip(NEXT) | instid1(VALU_DEP_1)
	v_add_f32_e32 v13, 1.0, v2
	v_cvt_f64_f32_e32 v[6:7], v13
	s_delay_alu instid0(VALU_DEP_1) | instskip(SKIP_1) | instid1(VALU_DEP_1)
	v_frexp_exp_i32_f64_e32 v6, v[6:7]
	v_frexp_mant_f32_e32 v7, v13
	v_cmp_gt_f32_e32 vcc_lo, 0x3f2aaaab, v7
	v_add_f32_e32 v7, -1.0, v13
	s_delay_alu instid0(VALU_DEP_1) | instskip(NEXT) | instid1(VALU_DEP_1)
	v_dual_sub_f32 v24, v7, v13 :: v_dual_sub_f32 v7, v2, v7
	v_add_f32_e32 v24, 1.0, v24
	s_delay_alu instid0(VALU_DEP_1) | instskip(SKIP_2) | instid1(VALU_DEP_2)
	v_add_f32_e32 v7, v7, v24
	v_subrev_co_ci_u32_e32 v6, vcc_lo, 0, v6, vcc_lo
	v_cmp_eq_f32_e32 vcc_lo, 0x7f800000, v2
	v_sub_nc_u32_e32 v22, 0, v6
	v_cvt_f32_i32_e32 v6, v6
	s_delay_alu instid0(VALU_DEP_2) | instskip(SKIP_1) | instid1(VALU_DEP_2)
	v_ldexp_f32 v13, v13, v22
	v_ldexp_f32 v7, v7, v22
	v_add_f32_e32 v25, 1.0, v13
	v_add_f32_e32 v22, -1.0, v13
	s_delay_alu instid0(VALU_DEP_2) | instskip(NEXT) | instid1(VALU_DEP_2)
	v_add_f32_e32 v24, -1.0, v25
	v_add_f32_e32 v26, 1.0, v22
	s_delay_alu instid0(VALU_DEP_2) | instskip(NEXT) | instid1(VALU_DEP_1)
	v_sub_f32_e32 v24, v13, v24
	v_dual_sub_f32 v13, v13, v26 :: v_dual_add_f32 v24, v7, v24
	s_delay_alu instid0(VALU_DEP_1) | instskip(NEXT) | instid1(VALU_DEP_1)
	v_dual_add_f32 v7, v7, v13 :: v_dual_add_f32 v26, v25, v24
	v_rcp_f32_e32 v13, v26
	v_sub_f32_e32 v25, v25, v26
	s_delay_alu instid0(VALU_DEP_1) | instskip(SKIP_2) | instid1(VALU_DEP_1)
	v_dual_add_f32 v27, v22, v7 :: v_dual_add_f32 v24, v24, v25
	s_waitcnt_depctr 0xfff
	v_mul_f32_e32 v36, v27, v13
	v_mul_f32_e32 v37, v26, v36
	s_delay_alu instid0(VALU_DEP_1) | instskip(NEXT) | instid1(VALU_DEP_1)
	v_fma_f32 v25, v36, v26, -v37
	v_fmac_f32_e32 v25, v36, v24
	s_delay_alu instid0(VALU_DEP_1) | instskip(NEXT) | instid1(VALU_DEP_1)
	v_add_f32_e32 v51, v37, v25
	v_sub_f32_e32 v52, v27, v51
	s_delay_alu instid0(VALU_DEP_1) | instskip(NEXT) | instid1(VALU_DEP_1)
	v_dual_sub_f32 v22, v22, v27 :: v_dual_sub_f32 v27, v27, v52
	v_add_f32_e32 v7, v7, v22
	v_sub_f32_e32 v22, v51, v37
	s_delay_alu instid0(VALU_DEP_1) | instskip(NEXT) | instid1(VALU_DEP_1)
	v_dual_sub_f32 v27, v27, v51 :: v_dual_sub_f32 v22, v22, v25
	v_add_f32_e32 v7, v7, v27
	s_delay_alu instid0(VALU_DEP_1) | instskip(NEXT) | instid1(VALU_DEP_1)
	v_add_f32_e32 v7, v22, v7
	v_add_f32_e32 v22, v52, v7
	s_delay_alu instid0(VALU_DEP_1) | instskip(NEXT) | instid1(VALU_DEP_1)
	v_mul_f32_e32 v25, v13, v22
	v_mul_f32_e32 v27, v26, v25
	v_sub_f32_e32 v51, v52, v22
	s_delay_alu instid0(VALU_DEP_2) | instskip(NEXT) | instid1(VALU_DEP_1)
	v_fma_f32 v26, v25, v26, -v27
	v_dual_add_f32 v7, v7, v51 :: v_dual_fmac_f32 v26, v25, v24
	s_delay_alu instid0(VALU_DEP_1) | instskip(NEXT) | instid1(VALU_DEP_1)
	v_add_f32_e32 v24, v27, v26
	v_sub_f32_e32 v27, v24, v27
	v_sub_f32_e32 v37, v22, v24
	s_delay_alu instid0(VALU_DEP_1) | instskip(NEXT) | instid1(VALU_DEP_1)
	v_sub_f32_e32 v22, v22, v37
	v_sub_f32_e32 v22, v22, v24
	s_delay_alu instid0(VALU_DEP_4) | instskip(NEXT) | instid1(VALU_DEP_2)
	v_sub_f32_e32 v24, v27, v26
	v_dual_add_f32 v7, v7, v22 :: v_dual_add_f32 v22, v36, v25
	s_delay_alu instid0(VALU_DEP_1) | instskip(NEXT) | instid1(VALU_DEP_1)
	v_add_f32_e32 v7, v24, v7
	v_dual_add_f32 v7, v37, v7 :: v_dual_sub_f32 v24, v22, v36
	s_delay_alu instid0(VALU_DEP_1) | instskip(NEXT) | instid1(VALU_DEP_2)
	v_mul_f32_e32 v7, v13, v7
	v_sub_f32_e32 v24, v25, v24
	s_delay_alu instid0(VALU_DEP_1) | instskip(NEXT) | instid1(VALU_DEP_1)
	v_add_f32_e32 v7, v24, v7
	v_add_f32_e32 v13, v22, v7
	s_delay_alu instid0(VALU_DEP_1) | instskip(NEXT) | instid1(VALU_DEP_1)
	v_mul_f32_e32 v24, v13, v13
	v_fmaak_f32 v25, s2, v24, 0x3ecc95a3
	v_mul_f32_e32 v26, v13, v24
	v_cmp_gt_f32_e64 s2, 0x33800000, |v2|
	s_delay_alu instid0(VALU_DEP_3) | instskip(SKIP_2) | instid1(VALU_DEP_4)
	v_fmaak_f32 v24, v24, v25, 0x3f2aaada
	v_ldexp_f32 v25, v13, 1
	v_sub_f32_e32 v13, v13, v22
	s_or_b32 vcc_lo, vcc_lo, s2
	s_delay_alu instid0(VALU_DEP_1) | instskip(NEXT) | instid1(VALU_DEP_1)
	v_sub_f32_e32 v7, v7, v13
	v_ldexp_f32 v7, v7, 1
	v_mul_f32_e32 v24, v26, v24
	s_delay_alu instid0(VALU_DEP_1) | instskip(NEXT) | instid1(VALU_DEP_1)
	v_add_f32_e32 v22, v25, v24
	v_dual_mul_f32 v26, 0x3f317218, v6 :: v_dual_sub_f32 v13, v22, v25
	s_delay_alu instid0(VALU_DEP_1) | instskip(NEXT) | instid1(VALU_DEP_2)
	v_fma_f32 v25, 0x3f317218, v6, -v26
	v_sub_f32_e32 v13, v24, v13
	s_delay_alu instid0(VALU_DEP_1) | instskip(NEXT) | instid1(VALU_DEP_1)
	v_add_f32_e32 v7, v7, v13
	v_add_f32_e32 v24, v22, v7
	s_delay_alu instid0(VALU_DEP_4) | instskip(NEXT) | instid1(VALU_DEP_2)
	v_fmamk_f32 v6, v6, 0xb102e308, v25
	v_sub_f32_e32 v22, v24, v22
	s_delay_alu instid0(VALU_DEP_2) | instskip(NEXT) | instid1(VALU_DEP_1)
	v_add_f32_e32 v13, v26, v6
	v_add_f32_e32 v25, v13, v24
	s_delay_alu instid0(VALU_DEP_1) | instskip(NEXT) | instid1(VALU_DEP_1)
	v_sub_f32_e32 v27, v25, v13
	v_dual_sub_f32 v7, v7, v22 :: v_dual_sub_f32 v22, v24, v27
	v_sub_f32_e32 v36, v25, v27
	v_sub_f32_e32 v26, v13, v26
	s_delay_alu instid0(VALU_DEP_2) | instskip(NEXT) | instid1(VALU_DEP_1)
	v_sub_f32_e32 v13, v13, v36
	v_add_f32_e32 v13, v22, v13
	s_delay_alu instid0(VALU_DEP_3) | instskip(NEXT) | instid1(VALU_DEP_1)
	v_sub_f32_e32 v6, v6, v26
	v_add_f32_e32 v24, v6, v7
	s_delay_alu instid0(VALU_DEP_1) | instskip(SKIP_1) | instid1(VALU_DEP_1)
	v_add_f32_e32 v13, v24, v13
	v_sub_f32_e32 v22, v24, v6
	v_dual_add_f32 v26, v25, v13 :: v_dual_sub_f32 v7, v7, v22
	v_sub_f32_e32 v24, v24, v22
	s_delay_alu instid0(VALU_DEP_2) | instskip(NEXT) | instid1(VALU_DEP_2)
	v_sub_f32_e32 v22, v26, v25
	v_sub_f32_e32 v6, v6, v24
	s_delay_alu instid0(VALU_DEP_1) | instskip(NEXT) | instid1(VALU_DEP_3)
	v_add_f32_e32 v6, v7, v6
	v_sub_f32_e32 v7, v13, v22
	s_delay_alu instid0(VALU_DEP_1) | instskip(NEXT) | instid1(VALU_DEP_1)
	v_add_f32_e32 v6, v6, v7
	v_add_f32_e32 v6, v26, v6
	s_delay_alu instid0(VALU_DEP_1) | instskip(NEXT) | instid1(VALU_DEP_1)
	v_cndmask_b32_e32 v2, v6, v2, vcc_lo
	v_add_f32_e32 v2, v3, v2
	s_delay_alu instid0(VALU_DEP_1) | instskip(NEXT) | instid1(VALU_DEP_1)
	v_cvt_f16_f32_e32 v37, v2
	v_cvt_f32_f16_e32 v2, v37
	v_mov_b32_e32 v81, v37
.LBB390_346:
	s_or_b32 exec_lo, exec_lo, s1
	s_delay_alu instid0(VALU_DEP_1) | instskip(NEXT) | instid1(VALU_DEP_3)
	v_dual_max_f32 v3, v50, v50 :: v_dual_mov_b32 v82, v81
	v_max_f32_e32 v6, v2, v2
	v_cmp_u_f16_e32 vcc_lo, v37, v37
	s_delay_alu instid0(VALU_DEP_2) | instskip(NEXT) | instid1(VALU_DEP_1)
	v_min_f32_e32 v7, v6, v3
	v_dual_max_f32 v3, v6, v3 :: v_dual_cndmask_b32 v6, v7, v2
	s_delay_alu instid0(VALU_DEP_1) | instskip(NEXT) | instid1(VALU_DEP_2)
	v_cndmask_b32_e32 v3, v3, v2, vcc_lo
	v_cndmask_b32_e64 v6, v6, v50, s15
	s_delay_alu instid0(VALU_DEP_2) | instskip(NEXT) | instid1(VALU_DEP_2)
	v_cndmask_b32_e64 v3, v3, v50, s15
	v_cmp_class_f32_e64 s1, v6, 0x1f8
	s_delay_alu instid0(VALU_DEP_2) | instskip(NEXT) | instid1(VALU_DEP_2)
	v_cmp_neq_f32_e32 vcc_lo, v6, v3
	s_or_b32 s2, vcc_lo, s1
	s_delay_alu instid0(SALU_CYCLE_1)
	s_and_saveexec_b32 s1, s2
	s_cbranch_execz .LBB390_348
; %bb.347:
	v_sub_f32_e32 v2, v6, v3
	s_mov_b32 s2, 0x3e9b6dac
	s_delay_alu instid0(VALU_DEP_1) | instskip(SKIP_1) | instid1(VALU_DEP_2)
	v_mul_f32_e32 v6, 0x3fb8aa3b, v2
	v_cmp_ngt_f32_e32 vcc_lo, 0xc2ce8ed0, v2
	v_fma_f32 v7, 0x3fb8aa3b, v2, -v6
	v_rndne_f32_e32 v13, v6
	s_delay_alu instid0(VALU_DEP_2) | instskip(NEXT) | instid1(VALU_DEP_2)
	v_fmamk_f32 v7, v2, 0x32a5705f, v7
	v_sub_f32_e32 v6, v6, v13
	s_delay_alu instid0(VALU_DEP_1) | instskip(SKIP_1) | instid1(VALU_DEP_2)
	v_add_f32_e32 v6, v6, v7
	v_cvt_i32_f32_e32 v7, v13
	v_exp_f32_e32 v6, v6
	s_waitcnt_depctr 0xfff
	v_ldexp_f32 v6, v6, v7
	s_delay_alu instid0(VALU_DEP_1) | instskip(SKIP_1) | instid1(VALU_DEP_2)
	v_cndmask_b32_e32 v6, 0, v6, vcc_lo
	v_cmp_nlt_f32_e32 vcc_lo, 0x42b17218, v2
	v_cndmask_b32_e32 v2, 0x7f800000, v6, vcc_lo
	s_delay_alu instid0(VALU_DEP_1) | instskip(NEXT) | instid1(VALU_DEP_1)
	v_add_f32_e32 v13, 1.0, v2
	v_cvt_f64_f32_e32 v[6:7], v13
	s_delay_alu instid0(VALU_DEP_1) | instskip(SKIP_1) | instid1(VALU_DEP_1)
	v_frexp_exp_i32_f64_e32 v6, v[6:7]
	v_frexp_mant_f32_e32 v7, v13
	v_cmp_gt_f32_e32 vcc_lo, 0x3f2aaaab, v7
	v_add_f32_e32 v7, -1.0, v13
	s_delay_alu instid0(VALU_DEP_1) | instskip(NEXT) | instid1(VALU_DEP_1)
	v_dual_sub_f32 v24, v7, v13 :: v_dual_sub_f32 v7, v2, v7
	v_add_f32_e32 v24, 1.0, v24
	s_delay_alu instid0(VALU_DEP_1) | instskip(SKIP_2) | instid1(VALU_DEP_2)
	v_add_f32_e32 v7, v7, v24
	v_subrev_co_ci_u32_e32 v6, vcc_lo, 0, v6, vcc_lo
	v_cmp_eq_f32_e32 vcc_lo, 0x7f800000, v2
	v_sub_nc_u32_e32 v22, 0, v6
	v_cvt_f32_i32_e32 v6, v6
	s_delay_alu instid0(VALU_DEP_2) | instskip(SKIP_1) | instid1(VALU_DEP_2)
	v_ldexp_f32 v13, v13, v22
	v_ldexp_f32 v7, v7, v22
	v_add_f32_e32 v25, 1.0, v13
	v_add_f32_e32 v22, -1.0, v13
	s_delay_alu instid0(VALU_DEP_2) | instskip(NEXT) | instid1(VALU_DEP_2)
	v_add_f32_e32 v24, -1.0, v25
	v_add_f32_e32 v26, 1.0, v22
	s_delay_alu instid0(VALU_DEP_2) | instskip(NEXT) | instid1(VALU_DEP_1)
	v_sub_f32_e32 v24, v13, v24
	v_dual_sub_f32 v13, v13, v26 :: v_dual_add_f32 v24, v7, v24
	s_delay_alu instid0(VALU_DEP_1) | instskip(NEXT) | instid1(VALU_DEP_1)
	v_dual_add_f32 v7, v7, v13 :: v_dual_add_f32 v26, v25, v24
	v_rcp_f32_e32 v13, v26
	v_sub_f32_e32 v25, v25, v26
	s_delay_alu instid0(VALU_DEP_1) | instskip(NEXT) | instid1(VALU_DEP_1)
	v_dual_add_f32 v27, v22, v7 :: v_dual_add_f32 v24, v24, v25
	v_sub_f32_e32 v22, v22, v27
	s_waitcnt_depctr 0xfff
	v_mul_f32_e32 v36, v27, v13
	v_add_f32_e32 v7, v7, v22
	s_delay_alu instid0(VALU_DEP_2) | instskip(NEXT) | instid1(VALU_DEP_1)
	v_mul_f32_e32 v37, v26, v36
	v_fma_f32 v25, v36, v26, -v37
	s_delay_alu instid0(VALU_DEP_1) | instskip(NEXT) | instid1(VALU_DEP_1)
	v_fmac_f32_e32 v25, v36, v24
	v_add_f32_e32 v50, v37, v25
	s_delay_alu instid0(VALU_DEP_1) | instskip(NEXT) | instid1(VALU_DEP_1)
	v_sub_f32_e32 v51, v27, v50
	v_sub_f32_e32 v27, v27, v51
	s_delay_alu instid0(VALU_DEP_1) | instskip(NEXT) | instid1(VALU_DEP_1)
	v_dual_sub_f32 v27, v27, v50 :: v_dual_sub_f32 v22, v50, v37
	v_dual_add_f32 v7, v7, v27 :: v_dual_sub_f32 v22, v22, v25
	s_delay_alu instid0(VALU_DEP_1) | instskip(NEXT) | instid1(VALU_DEP_1)
	v_add_f32_e32 v7, v22, v7
	v_add_f32_e32 v22, v51, v7
	s_delay_alu instid0(VALU_DEP_1) | instskip(NEXT) | instid1(VALU_DEP_1)
	v_mul_f32_e32 v25, v13, v22
	v_dual_mul_f32 v27, v26, v25 :: v_dual_sub_f32 v50, v51, v22
	s_delay_alu instid0(VALU_DEP_1) | instskip(NEXT) | instid1(VALU_DEP_1)
	v_fma_f32 v26, v25, v26, -v27
	v_dual_add_f32 v7, v7, v50 :: v_dual_fmac_f32 v26, v25, v24
	s_delay_alu instid0(VALU_DEP_1) | instskip(NEXT) | instid1(VALU_DEP_1)
	v_add_f32_e32 v24, v27, v26
	v_sub_f32_e32 v37, v22, v24
	s_delay_alu instid0(VALU_DEP_1) | instskip(NEXT) | instid1(VALU_DEP_1)
	v_dual_sub_f32 v27, v24, v27 :: v_dual_sub_f32 v22, v22, v37
	v_sub_f32_e32 v22, v22, v24
	s_delay_alu instid0(VALU_DEP_1) | instskip(NEXT) | instid1(VALU_DEP_3)
	v_dual_add_f32 v7, v7, v22 :: v_dual_add_f32 v22, v36, v25
	v_sub_f32_e32 v24, v27, v26
	s_delay_alu instid0(VALU_DEP_1) | instskip(NEXT) | instid1(VALU_DEP_1)
	v_dual_add_f32 v7, v24, v7 :: v_dual_sub_f32 v24, v22, v36
	v_add_f32_e32 v7, v37, v7
	s_delay_alu instid0(VALU_DEP_2) | instskip(NEXT) | instid1(VALU_DEP_2)
	v_sub_f32_e32 v24, v25, v24
	v_mul_f32_e32 v7, v13, v7
	s_delay_alu instid0(VALU_DEP_1) | instskip(NEXT) | instid1(VALU_DEP_1)
	v_add_f32_e32 v7, v24, v7
	v_add_f32_e32 v13, v22, v7
	s_delay_alu instid0(VALU_DEP_1) | instskip(NEXT) | instid1(VALU_DEP_1)
	v_mul_f32_e32 v24, v13, v13
	v_fmaak_f32 v25, s2, v24, 0x3ecc95a3
	v_mul_f32_e32 v26, v13, v24
	v_cmp_gt_f32_e64 s2, 0x33800000, |v2|
	s_delay_alu instid0(VALU_DEP_3) | instskip(SKIP_2) | instid1(VALU_DEP_4)
	v_fmaak_f32 v24, v24, v25, 0x3f2aaada
	v_ldexp_f32 v25, v13, 1
	v_sub_f32_e32 v13, v13, v22
	s_or_b32 vcc_lo, vcc_lo, s2
	s_delay_alu instid0(VALU_DEP_1) | instskip(NEXT) | instid1(VALU_DEP_1)
	v_sub_f32_e32 v7, v7, v13
	v_ldexp_f32 v7, v7, 1
	v_mul_f32_e32 v24, v26, v24
	s_delay_alu instid0(VALU_DEP_1) | instskip(NEXT) | instid1(VALU_DEP_1)
	v_add_f32_e32 v22, v25, v24
	v_sub_f32_e32 v13, v22, v25
	s_delay_alu instid0(VALU_DEP_1) | instskip(NEXT) | instid1(VALU_DEP_1)
	v_sub_f32_e32 v13, v24, v13
	v_add_f32_e32 v7, v7, v13
	s_delay_alu instid0(VALU_DEP_1) | instskip(SKIP_1) | instid1(VALU_DEP_1)
	v_add_f32_e32 v24, v22, v7
	v_mul_f32_e32 v26, 0x3f317218, v6
	v_fma_f32 v25, 0x3f317218, v6, -v26
	s_delay_alu instid0(VALU_DEP_1) | instskip(NEXT) | instid1(VALU_DEP_1)
	v_fmamk_f32 v6, v6, 0xb102e308, v25
	v_add_f32_e32 v13, v26, v6
	s_delay_alu instid0(VALU_DEP_1) | instskip(NEXT) | instid1(VALU_DEP_1)
	v_add_f32_e32 v25, v13, v24
	v_sub_f32_e32 v27, v25, v13
	s_delay_alu instid0(VALU_DEP_1) | instskip(SKIP_1) | instid1(VALU_DEP_1)
	v_sub_f32_e32 v36, v25, v27
	v_sub_f32_e32 v22, v24, v22
	v_dual_sub_f32 v7, v7, v22 :: v_dual_sub_f32 v22, v24, v27
	v_sub_f32_e32 v26, v13, v26
	s_delay_alu instid0(VALU_DEP_4) | instskip(NEXT) | instid1(VALU_DEP_1)
	v_sub_f32_e32 v13, v13, v36
	v_add_f32_e32 v13, v22, v13
	s_delay_alu instid0(VALU_DEP_3) | instskip(NEXT) | instid1(VALU_DEP_1)
	v_sub_f32_e32 v6, v6, v26
	v_add_f32_e32 v24, v6, v7
	s_delay_alu instid0(VALU_DEP_1) | instskip(SKIP_1) | instid1(VALU_DEP_1)
	v_add_f32_e32 v13, v24, v13
	v_sub_f32_e32 v22, v24, v6
	v_dual_add_f32 v26, v25, v13 :: v_dual_sub_f32 v7, v7, v22
	v_sub_f32_e32 v24, v24, v22
	s_delay_alu instid0(VALU_DEP_2) | instskip(NEXT) | instid1(VALU_DEP_2)
	v_sub_f32_e32 v22, v26, v25
	v_sub_f32_e32 v6, v6, v24
	s_delay_alu instid0(VALU_DEP_1) | instskip(NEXT) | instid1(VALU_DEP_3)
	v_add_f32_e32 v6, v7, v6
	v_sub_f32_e32 v7, v13, v22
	s_delay_alu instid0(VALU_DEP_1) | instskip(NEXT) | instid1(VALU_DEP_1)
	v_add_f32_e32 v6, v6, v7
	v_add_f32_e32 v6, v26, v6
	s_delay_alu instid0(VALU_DEP_1) | instskip(NEXT) | instid1(VALU_DEP_1)
	v_cndmask_b32_e32 v2, v6, v2, vcc_lo
	v_add_f32_e32 v2, v3, v2
	s_delay_alu instid0(VALU_DEP_1) | instskip(NEXT) | instid1(VALU_DEP_1)
	v_cvt_f16_f32_e32 v37, v2
	v_cvt_f32_f16_e32 v2, v37
	v_mov_b32_e32 v82, v37
.LBB390_348:
	s_or_b32 exec_lo, exec_lo, s1
	s_delay_alu instid0(VALU_DEP_2) | instskip(SKIP_1) | instid1(VALU_DEP_3)
	v_dual_max_f32 v3, v23, v23 :: v_dual_max_f32 v6, v2, v2
	v_cmp_u_f16_e32 vcc_lo, v37, v37
	v_mov_b32_e32 v83, v82
	s_delay_alu instid0(VALU_DEP_3) | instskip(NEXT) | instid1(VALU_DEP_1)
	v_min_f32_e32 v7, v6, v3
	v_dual_max_f32 v3, v6, v3 :: v_dual_cndmask_b32 v6, v7, v2
	s_delay_alu instid0(VALU_DEP_1) | instskip(NEXT) | instid1(VALU_DEP_2)
	v_cndmask_b32_e32 v3, v3, v2, vcc_lo
	v_cndmask_b32_e64 v6, v6, v23, s16
	s_delay_alu instid0(VALU_DEP_2) | instskip(NEXT) | instid1(VALU_DEP_2)
	v_cndmask_b32_e64 v3, v3, v23, s16
	v_cmp_class_f32_e64 s1, v6, 0x1f8
	s_delay_alu instid0(VALU_DEP_2) | instskip(NEXT) | instid1(VALU_DEP_2)
	v_cmp_neq_f32_e32 vcc_lo, v6, v3
	s_or_b32 s2, vcc_lo, s1
	s_delay_alu instid0(SALU_CYCLE_1)
	s_and_saveexec_b32 s1, s2
	s_cbranch_execz .LBB390_350
; %bb.349:
	v_sub_f32_e32 v2, v6, v3
	s_mov_b32 s2, 0x3e9b6dac
	s_delay_alu instid0(VALU_DEP_1) | instskip(SKIP_1) | instid1(VALU_DEP_2)
	v_mul_f32_e32 v6, 0x3fb8aa3b, v2
	v_cmp_ngt_f32_e32 vcc_lo, 0xc2ce8ed0, v2
	v_fma_f32 v7, 0x3fb8aa3b, v2, -v6
	v_rndne_f32_e32 v13, v6
	s_delay_alu instid0(VALU_DEP_2) | instskip(NEXT) | instid1(VALU_DEP_2)
	v_fmamk_f32 v7, v2, 0x32a5705f, v7
	v_sub_f32_e32 v6, v6, v13
	s_delay_alu instid0(VALU_DEP_1) | instskip(SKIP_1) | instid1(VALU_DEP_2)
	v_add_f32_e32 v6, v6, v7
	v_cvt_i32_f32_e32 v7, v13
	v_exp_f32_e32 v6, v6
	s_waitcnt_depctr 0xfff
	v_ldexp_f32 v6, v6, v7
	s_delay_alu instid0(VALU_DEP_1) | instskip(SKIP_1) | instid1(VALU_DEP_2)
	v_cndmask_b32_e32 v6, 0, v6, vcc_lo
	v_cmp_nlt_f32_e32 vcc_lo, 0x42b17218, v2
	v_cndmask_b32_e32 v2, 0x7f800000, v6, vcc_lo
	s_delay_alu instid0(VALU_DEP_1) | instskip(NEXT) | instid1(VALU_DEP_1)
	v_add_f32_e32 v13, 1.0, v2
	v_cvt_f64_f32_e32 v[6:7], v13
	s_delay_alu instid0(VALU_DEP_1) | instskip(SKIP_1) | instid1(VALU_DEP_1)
	v_frexp_exp_i32_f64_e32 v6, v[6:7]
	v_frexp_mant_f32_e32 v7, v13
	v_cmp_gt_f32_e32 vcc_lo, 0x3f2aaaab, v7
	v_add_f32_e32 v7, -1.0, v13
	s_delay_alu instid0(VALU_DEP_1) | instskip(NEXT) | instid1(VALU_DEP_1)
	v_sub_f32_e32 v23, v7, v13
	v_add_f32_e32 v23, 1.0, v23
	v_subrev_co_ci_u32_e32 v6, vcc_lo, 0, v6, vcc_lo
	v_cmp_eq_f32_e32 vcc_lo, 0x7f800000, v2
	s_delay_alu instid0(VALU_DEP_2) | instskip(SKIP_1) | instid1(VALU_DEP_2)
	v_sub_nc_u32_e32 v22, 0, v6
	v_cvt_f32_i32_e32 v6, v6
	v_ldexp_f32 v13, v13, v22
	s_delay_alu instid0(VALU_DEP_1) | instskip(NEXT) | instid1(VALU_DEP_1)
	v_dual_sub_f32 v7, v2, v7 :: v_dual_add_f32 v24, 1.0, v13
	v_add_f32_e32 v7, v7, v23
	s_delay_alu instid0(VALU_DEP_2) | instskip(NEXT) | instid1(VALU_DEP_2)
	v_add_f32_e32 v23, -1.0, v24
	v_ldexp_f32 v7, v7, v22
	s_delay_alu instid0(VALU_DEP_2) | instskip(NEXT) | instid1(VALU_DEP_1)
	v_dual_add_f32 v22, -1.0, v13 :: v_dual_sub_f32 v23, v13, v23
	v_add_f32_e32 v25, 1.0, v22
	s_delay_alu instid0(VALU_DEP_2) | instskip(NEXT) | instid1(VALU_DEP_2)
	v_add_f32_e32 v23, v7, v23
	v_sub_f32_e32 v13, v13, v25
	s_delay_alu instid0(VALU_DEP_1) | instskip(NEXT) | instid1(VALU_DEP_1)
	v_add_f32_e32 v7, v7, v13
	v_add_f32_e32 v26, v22, v7
	s_delay_alu instid0(VALU_DEP_1) | instskip(NEXT) | instid1(VALU_DEP_1)
	v_dual_add_f32 v25, v24, v23 :: v_dual_sub_f32 v22, v22, v26
	v_rcp_f32_e32 v13, v25
	v_sub_f32_e32 v24, v24, v25
	s_delay_alu instid0(VALU_DEP_1) | instskip(SKIP_2) | instid1(VALU_DEP_1)
	v_add_f32_e32 v23, v23, v24
	s_waitcnt_depctr 0xfff
	v_mul_f32_e32 v27, v26, v13
	v_mul_f32_e32 v36, v25, v27
	s_delay_alu instid0(VALU_DEP_1) | instskip(NEXT) | instid1(VALU_DEP_1)
	v_fma_f32 v24, v27, v25, -v36
	v_fmac_f32_e32 v24, v27, v23
	s_delay_alu instid0(VALU_DEP_1) | instskip(NEXT) | instid1(VALU_DEP_1)
	v_add_f32_e32 v37, v36, v24
	v_sub_f32_e32 v50, v26, v37
	s_delay_alu instid0(VALU_DEP_1) | instskip(SKIP_1) | instid1(VALU_DEP_2)
	v_sub_f32_e32 v26, v26, v50
	v_dual_add_f32 v7, v7, v22 :: v_dual_sub_f32 v22, v37, v36
	v_sub_f32_e32 v26, v26, v37
	s_delay_alu instid0(VALU_DEP_1) | instskip(NEXT) | instid1(VALU_DEP_1)
	v_dual_sub_f32 v22, v22, v24 :: v_dual_add_f32 v7, v7, v26
	v_add_f32_e32 v7, v22, v7
	s_delay_alu instid0(VALU_DEP_1) | instskip(NEXT) | instid1(VALU_DEP_1)
	v_add_f32_e32 v22, v50, v7
	v_mul_f32_e32 v24, v13, v22
	s_delay_alu instid0(VALU_DEP_1) | instskip(NEXT) | instid1(VALU_DEP_1)
	v_dual_sub_f32 v37, v50, v22 :: v_dual_mul_f32 v26, v25, v24
	v_add_f32_e32 v7, v7, v37
	s_delay_alu instid0(VALU_DEP_2) | instskip(NEXT) | instid1(VALU_DEP_1)
	v_fma_f32 v25, v24, v25, -v26
	v_fmac_f32_e32 v25, v24, v23
	s_delay_alu instid0(VALU_DEP_1) | instskip(NEXT) | instid1(VALU_DEP_1)
	v_add_f32_e32 v23, v26, v25
	v_sub_f32_e32 v36, v22, v23
	s_delay_alu instid0(VALU_DEP_1) | instskip(NEXT) | instid1(VALU_DEP_1)
	v_sub_f32_e32 v22, v22, v36
	v_sub_f32_e32 v22, v22, v23
	s_delay_alu instid0(VALU_DEP_1) | instskip(SKIP_2) | instid1(VALU_DEP_1)
	v_add_f32_e32 v7, v7, v22
	v_add_f32_e32 v22, v27, v24
	v_sub_f32_e32 v26, v23, v26
	v_sub_f32_e32 v23, v26, v25
	s_delay_alu instid0(VALU_DEP_1) | instskip(NEXT) | instid1(VALU_DEP_4)
	v_add_f32_e32 v7, v23, v7
	v_sub_f32_e32 v23, v22, v27
	s_delay_alu instid0(VALU_DEP_2) | instskip(NEXT) | instid1(VALU_DEP_2)
	v_add_f32_e32 v7, v36, v7
	v_sub_f32_e32 v23, v24, v23
	s_delay_alu instid0(VALU_DEP_2) | instskip(NEXT) | instid1(VALU_DEP_1)
	v_mul_f32_e32 v7, v13, v7
	v_add_f32_e32 v7, v23, v7
	s_delay_alu instid0(VALU_DEP_1) | instskip(NEXT) | instid1(VALU_DEP_1)
	v_add_f32_e32 v13, v22, v7
	v_mul_f32_e32 v23, v13, v13
	s_delay_alu instid0(VALU_DEP_1) | instskip(SKIP_2) | instid1(VALU_DEP_3)
	v_fmaak_f32 v24, s2, v23, 0x3ecc95a3
	v_mul_f32_e32 v25, v13, v23
	v_cmp_gt_f32_e64 s2, 0x33800000, |v2|
	v_fmaak_f32 v23, v23, v24, 0x3f2aaada
	v_ldexp_f32 v24, v13, 1
	v_sub_f32_e32 v13, v13, v22
	s_delay_alu instid0(VALU_DEP_4) | instskip(NEXT) | instid1(VALU_DEP_3)
	s_or_b32 vcc_lo, vcc_lo, s2
	v_mul_f32_e32 v23, v25, v23
	s_delay_alu instid0(VALU_DEP_1) | instskip(NEXT) | instid1(VALU_DEP_1)
	v_dual_sub_f32 v7, v7, v13 :: v_dual_add_f32 v22, v24, v23
	v_ldexp_f32 v7, v7, 1
	s_delay_alu instid0(VALU_DEP_2) | instskip(NEXT) | instid1(VALU_DEP_1)
	v_sub_f32_e32 v13, v22, v24
	v_sub_f32_e32 v13, v23, v13
	s_delay_alu instid0(VALU_DEP_1) | instskip(NEXT) | instid1(VALU_DEP_1)
	v_add_f32_e32 v7, v7, v13
	v_add_f32_e32 v23, v22, v7
	v_mul_f32_e32 v25, 0x3f317218, v6
	s_delay_alu instid0(VALU_DEP_2) | instskip(NEXT) | instid1(VALU_DEP_2)
	v_sub_f32_e32 v22, v23, v22
	v_fma_f32 v24, 0x3f317218, v6, -v25
	s_delay_alu instid0(VALU_DEP_1) | instskip(NEXT) | instid1(VALU_DEP_1)
	v_dual_sub_f32 v7, v7, v22 :: v_dual_fmamk_f32 v6, v6, 0xb102e308, v24
	v_add_f32_e32 v13, v25, v6
	s_delay_alu instid0(VALU_DEP_1) | instskip(SKIP_1) | instid1(VALU_DEP_2)
	v_add_f32_e32 v24, v13, v23
	v_sub_f32_e32 v25, v13, v25
	v_sub_f32_e32 v26, v24, v13
	s_delay_alu instid0(VALU_DEP_1) | instskip(NEXT) | instid1(VALU_DEP_1)
	v_dual_sub_f32 v6, v6, v25 :: v_dual_sub_f32 v27, v24, v26
	v_dual_sub_f32 v22, v23, v26 :: v_dual_add_f32 v23, v6, v7
	s_delay_alu instid0(VALU_DEP_2) | instskip(NEXT) | instid1(VALU_DEP_1)
	v_sub_f32_e32 v13, v13, v27
	v_dual_add_f32 v13, v22, v13 :: v_dual_sub_f32 v22, v23, v6
	s_delay_alu instid0(VALU_DEP_1) | instskip(NEXT) | instid1(VALU_DEP_2)
	v_add_f32_e32 v13, v23, v13
	v_sub_f32_e32 v23, v23, v22
	v_sub_f32_e32 v7, v7, v22
	s_delay_alu instid0(VALU_DEP_2) | instskip(NEXT) | instid1(VALU_DEP_1)
	v_dual_add_f32 v25, v24, v13 :: v_dual_sub_f32 v6, v6, v23
	v_sub_f32_e32 v22, v25, v24
	s_delay_alu instid0(VALU_DEP_2) | instskip(NEXT) | instid1(VALU_DEP_2)
	v_add_f32_e32 v6, v7, v6
	v_sub_f32_e32 v7, v13, v22
	s_delay_alu instid0(VALU_DEP_1) | instskip(NEXT) | instid1(VALU_DEP_1)
	v_add_f32_e32 v6, v6, v7
	v_add_f32_e32 v6, v25, v6
	s_delay_alu instid0(VALU_DEP_1) | instskip(NEXT) | instid1(VALU_DEP_1)
	v_cndmask_b32_e32 v2, v6, v2, vcc_lo
	v_add_f32_e32 v2, v3, v2
	s_delay_alu instid0(VALU_DEP_1) | instskip(NEXT) | instid1(VALU_DEP_1)
	v_cvt_f16_f32_e32 v37, v2
	v_cvt_f32_f16_e32 v2, v37
	v_mov_b32_e32 v83, v37
.LBB390_350:
	s_or_b32 exec_lo, exec_lo, s1
	s_delay_alu instid0(VALU_DEP_2) | instskip(SKIP_1) | instid1(VALU_DEP_2)
	v_dual_max_f32 v3, v49, v49 :: v_dual_max_f32 v6, v2, v2
	v_cmp_u_f16_e32 vcc_lo, v37, v37
	v_dual_mov_b32 v84, v83 :: v_dual_min_f32 v7, v6, v3
	s_delay_alu instid0(VALU_DEP_1) | instskip(NEXT) | instid1(VALU_DEP_1)
	v_dual_max_f32 v3, v6, v3 :: v_dual_cndmask_b32 v6, v7, v2
	v_cndmask_b32_e32 v3, v3, v2, vcc_lo
	s_delay_alu instid0(VALU_DEP_2) | instskip(NEXT) | instid1(VALU_DEP_2)
	v_cndmask_b32_e64 v6, v6, v49, s17
	v_cndmask_b32_e64 v3, v3, v49, s17
	s_delay_alu instid0(VALU_DEP_2) | instskip(NEXT) | instid1(VALU_DEP_2)
	v_cmp_class_f32_e64 s1, v6, 0x1f8
	v_cmp_neq_f32_e32 vcc_lo, v6, v3
	s_delay_alu instid0(VALU_DEP_2) | instskip(NEXT) | instid1(SALU_CYCLE_1)
	s_or_b32 s2, vcc_lo, s1
	s_and_saveexec_b32 s1, s2
	s_cbranch_execz .LBB390_352
; %bb.351:
	v_sub_f32_e32 v2, v6, v3
	s_mov_b32 s2, 0x3e9b6dac
	s_delay_alu instid0(VALU_DEP_1) | instskip(SKIP_1) | instid1(VALU_DEP_2)
	v_mul_f32_e32 v6, 0x3fb8aa3b, v2
	v_cmp_ngt_f32_e32 vcc_lo, 0xc2ce8ed0, v2
	v_fma_f32 v7, 0x3fb8aa3b, v2, -v6
	v_rndne_f32_e32 v13, v6
	s_delay_alu instid0(VALU_DEP_2) | instskip(NEXT) | instid1(VALU_DEP_2)
	v_fmamk_f32 v7, v2, 0x32a5705f, v7
	v_sub_f32_e32 v6, v6, v13
	s_delay_alu instid0(VALU_DEP_1) | instskip(SKIP_1) | instid1(VALU_DEP_2)
	v_add_f32_e32 v6, v6, v7
	v_cvt_i32_f32_e32 v7, v13
	v_exp_f32_e32 v6, v6
	s_waitcnt_depctr 0xfff
	v_ldexp_f32 v6, v6, v7
	s_delay_alu instid0(VALU_DEP_1) | instskip(SKIP_1) | instid1(VALU_DEP_2)
	v_cndmask_b32_e32 v6, 0, v6, vcc_lo
	v_cmp_nlt_f32_e32 vcc_lo, 0x42b17218, v2
	v_cndmask_b32_e32 v2, 0x7f800000, v6, vcc_lo
	s_delay_alu instid0(VALU_DEP_1) | instskip(NEXT) | instid1(VALU_DEP_1)
	v_add_f32_e32 v13, 1.0, v2
	v_cvt_f64_f32_e32 v[6:7], v13
	s_delay_alu instid0(VALU_DEP_1) | instskip(SKIP_1) | instid1(VALU_DEP_1)
	v_frexp_exp_i32_f64_e32 v6, v[6:7]
	v_frexp_mant_f32_e32 v7, v13
	v_cmp_gt_f32_e32 vcc_lo, 0x3f2aaaab, v7
	v_add_f32_e32 v7, -1.0, v13
	s_delay_alu instid0(VALU_DEP_1) | instskip(NEXT) | instid1(VALU_DEP_1)
	v_sub_f32_e32 v23, v7, v13
	v_add_f32_e32 v23, 1.0, v23
	v_subrev_co_ci_u32_e32 v6, vcc_lo, 0, v6, vcc_lo
	v_cmp_eq_f32_e32 vcc_lo, 0x7f800000, v2
	s_delay_alu instid0(VALU_DEP_2) | instskip(SKIP_1) | instid1(VALU_DEP_2)
	v_sub_nc_u32_e32 v22, 0, v6
	v_cvt_f32_i32_e32 v6, v6
	v_ldexp_f32 v13, v13, v22
	s_delay_alu instid0(VALU_DEP_1) | instskip(NEXT) | instid1(VALU_DEP_1)
	v_dual_sub_f32 v7, v2, v7 :: v_dual_add_f32 v24, 1.0, v13
	v_add_f32_e32 v7, v7, v23
	s_delay_alu instid0(VALU_DEP_2) | instskip(NEXT) | instid1(VALU_DEP_2)
	v_add_f32_e32 v23, -1.0, v24
	v_ldexp_f32 v7, v7, v22
	s_delay_alu instid0(VALU_DEP_2) | instskip(NEXT) | instid1(VALU_DEP_1)
	v_dual_add_f32 v22, -1.0, v13 :: v_dual_sub_f32 v23, v13, v23
	v_add_f32_e32 v25, 1.0, v22
	s_delay_alu instid0(VALU_DEP_2) | instskip(NEXT) | instid1(VALU_DEP_2)
	v_add_f32_e32 v23, v7, v23
	v_sub_f32_e32 v13, v13, v25
	s_delay_alu instid0(VALU_DEP_1) | instskip(NEXT) | instid1(VALU_DEP_1)
	v_add_f32_e32 v7, v7, v13
	v_add_f32_e32 v26, v22, v7
	s_delay_alu instid0(VALU_DEP_1) | instskip(NEXT) | instid1(VALU_DEP_1)
	v_dual_sub_f32 v22, v22, v26 :: v_dual_add_f32 v25, v24, v23
	v_rcp_f32_e32 v13, v25
	v_sub_f32_e32 v24, v24, v25
	s_delay_alu instid0(VALU_DEP_1) | instskip(SKIP_2) | instid1(VALU_DEP_1)
	v_add_f32_e32 v23, v23, v24
	s_waitcnt_depctr 0xfff
	v_mul_f32_e32 v27, v26, v13
	v_mul_f32_e32 v36, v25, v27
	s_delay_alu instid0(VALU_DEP_1) | instskip(NEXT) | instid1(VALU_DEP_1)
	v_fma_f32 v24, v27, v25, -v36
	v_fmac_f32_e32 v24, v27, v23
	v_add_f32_e32 v7, v7, v22
	s_delay_alu instid0(VALU_DEP_2) | instskip(NEXT) | instid1(VALU_DEP_1)
	v_add_f32_e32 v37, v36, v24
	v_dual_sub_f32 v49, v26, v37 :: v_dual_sub_f32 v22, v37, v36
	s_delay_alu instid0(VALU_DEP_1) | instskip(NEXT) | instid1(VALU_DEP_2)
	v_sub_f32_e32 v26, v26, v49
	v_sub_f32_e32 v22, v22, v24
	s_delay_alu instid0(VALU_DEP_2) | instskip(NEXT) | instid1(VALU_DEP_1)
	v_sub_f32_e32 v26, v26, v37
	v_add_f32_e32 v7, v7, v26
	s_delay_alu instid0(VALU_DEP_1) | instskip(NEXT) | instid1(VALU_DEP_1)
	v_add_f32_e32 v7, v22, v7
	v_add_f32_e32 v22, v49, v7
	s_delay_alu instid0(VALU_DEP_1) | instskip(SKIP_1) | instid1(VALU_DEP_2)
	v_mul_f32_e32 v24, v13, v22
	v_sub_f32_e32 v37, v49, v22
	v_mul_f32_e32 v26, v25, v24
	s_delay_alu instid0(VALU_DEP_1) | instskip(NEXT) | instid1(VALU_DEP_1)
	v_fma_f32 v25, v24, v25, -v26
	v_fmac_f32_e32 v25, v24, v23
	s_delay_alu instid0(VALU_DEP_1) | instskip(NEXT) | instid1(VALU_DEP_1)
	v_add_f32_e32 v23, v26, v25
	v_sub_f32_e32 v36, v22, v23
	v_sub_f32_e32 v26, v23, v26
	s_delay_alu instid0(VALU_DEP_2) | instskip(NEXT) | instid1(VALU_DEP_1)
	v_dual_sub_f32 v22, v22, v36 :: v_dual_add_f32 v7, v7, v37
	v_sub_f32_e32 v22, v22, v23
	s_delay_alu instid0(VALU_DEP_3) | instskip(NEXT) | instid1(VALU_DEP_2)
	v_sub_f32_e32 v23, v26, v25
	v_add_f32_e32 v7, v7, v22
	v_add_f32_e32 v22, v27, v24
	s_delay_alu instid0(VALU_DEP_2) | instskip(NEXT) | instid1(VALU_DEP_2)
	v_add_f32_e32 v7, v23, v7
	v_sub_f32_e32 v23, v22, v27
	s_delay_alu instid0(VALU_DEP_2) | instskip(NEXT) | instid1(VALU_DEP_2)
	v_add_f32_e32 v7, v36, v7
	v_sub_f32_e32 v23, v24, v23
	s_delay_alu instid0(VALU_DEP_2) | instskip(NEXT) | instid1(VALU_DEP_1)
	v_mul_f32_e32 v7, v13, v7
	v_add_f32_e32 v7, v23, v7
	s_delay_alu instid0(VALU_DEP_1) | instskip(NEXT) | instid1(VALU_DEP_1)
	v_add_f32_e32 v13, v22, v7
	v_mul_f32_e32 v23, v13, v13
	s_delay_alu instid0(VALU_DEP_1) | instskip(SKIP_1) | instid1(VALU_DEP_1)
	v_fmaak_f32 v24, s2, v23, 0x3ecc95a3
	v_cmp_gt_f32_e64 s2, 0x33800000, |v2|
	s_or_b32 vcc_lo, vcc_lo, s2
	v_mul_f32_e32 v25, v13, v23
	s_delay_alu instid0(VALU_DEP_3) | instskip(SKIP_1) | instid1(VALU_DEP_2)
	v_fmaak_f32 v23, v23, v24, 0x3f2aaada
	v_ldexp_f32 v24, v13, 1
	v_mul_f32_e32 v23, v25, v23
	s_delay_alu instid0(VALU_DEP_1) | instskip(NEXT) | instid1(VALU_DEP_1)
	v_dual_sub_f32 v13, v13, v22 :: v_dual_add_f32 v22, v24, v23
	v_sub_f32_e32 v7, v7, v13
	s_delay_alu instid0(VALU_DEP_2) | instskip(NEXT) | instid1(VALU_DEP_2)
	v_sub_f32_e32 v13, v22, v24
	v_ldexp_f32 v7, v7, 1
	s_delay_alu instid0(VALU_DEP_2) | instskip(NEXT) | instid1(VALU_DEP_1)
	v_sub_f32_e32 v13, v23, v13
	v_add_f32_e32 v7, v7, v13
	s_delay_alu instid0(VALU_DEP_1) | instskip(SKIP_1) | instid1(VALU_DEP_2)
	v_add_f32_e32 v23, v22, v7
	v_mul_f32_e32 v25, 0x3f317218, v6
	v_sub_f32_e32 v22, v23, v22
	s_delay_alu instid0(VALU_DEP_2) | instskip(NEXT) | instid1(VALU_DEP_1)
	v_fma_f32 v24, 0x3f317218, v6, -v25
	v_dual_sub_f32 v7, v7, v22 :: v_dual_fmamk_f32 v6, v6, 0xb102e308, v24
	s_delay_alu instid0(VALU_DEP_1) | instskip(NEXT) | instid1(VALU_DEP_1)
	v_add_f32_e32 v13, v25, v6
	v_add_f32_e32 v24, v13, v23
	v_sub_f32_e32 v25, v13, v25
	s_delay_alu instid0(VALU_DEP_2) | instskip(NEXT) | instid1(VALU_DEP_1)
	v_sub_f32_e32 v26, v24, v13
	v_dual_sub_f32 v6, v6, v25 :: v_dual_sub_f32 v27, v24, v26
	s_delay_alu instid0(VALU_DEP_1) | instskip(NEXT) | instid1(VALU_DEP_2)
	v_dual_sub_f32 v22, v23, v26 :: v_dual_add_f32 v23, v6, v7
	v_sub_f32_e32 v13, v13, v27
	s_delay_alu instid0(VALU_DEP_1) | instskip(NEXT) | instid1(VALU_DEP_1)
	v_dual_add_f32 v13, v22, v13 :: v_dual_sub_f32 v22, v23, v6
	v_add_f32_e32 v13, v23, v13
	s_delay_alu instid0(VALU_DEP_2) | instskip(SKIP_1) | instid1(VALU_DEP_2)
	v_sub_f32_e32 v23, v23, v22
	v_sub_f32_e32 v7, v7, v22
	v_dual_add_f32 v25, v24, v13 :: v_dual_sub_f32 v6, v6, v23
	s_delay_alu instid0(VALU_DEP_1) | instskip(NEXT) | instid1(VALU_DEP_2)
	v_sub_f32_e32 v22, v25, v24
	v_add_f32_e32 v6, v7, v6
	s_delay_alu instid0(VALU_DEP_2) | instskip(NEXT) | instid1(VALU_DEP_1)
	v_sub_f32_e32 v7, v13, v22
	v_add_f32_e32 v6, v6, v7
	s_delay_alu instid0(VALU_DEP_1) | instskip(NEXT) | instid1(VALU_DEP_1)
	v_add_f32_e32 v6, v25, v6
	v_cndmask_b32_e32 v2, v6, v2, vcc_lo
	s_delay_alu instid0(VALU_DEP_1) | instskip(NEXT) | instid1(VALU_DEP_1)
	v_add_f32_e32 v2, v3, v2
	v_cvt_f16_f32_e32 v37, v2
	s_delay_alu instid0(VALU_DEP_1)
	v_cvt_f32_f16_e32 v2, v37
	v_mov_b32_e32 v84, v37
.LBB390_352:
	s_or_b32 exec_lo, exec_lo, s1
	s_delay_alu instid0(VALU_DEP_2) | instskip(SKIP_1) | instid1(VALU_DEP_3)
	v_dual_max_f32 v3, v16, v16 :: v_dual_max_f32 v6, v2, v2
	v_cmp_u_f16_e32 vcc_lo, v37, v37
	v_mov_b32_e32 v85, v84
	s_delay_alu instid0(VALU_DEP_3) | instskip(NEXT) | instid1(VALU_DEP_1)
	v_min_f32_e32 v7, v6, v3
	v_dual_max_f32 v3, v6, v3 :: v_dual_cndmask_b32 v6, v7, v2
	s_delay_alu instid0(VALU_DEP_1) | instskip(NEXT) | instid1(VALU_DEP_2)
	v_cndmask_b32_e32 v3, v3, v2, vcc_lo
	v_cndmask_b32_e64 v6, v6, v16, s18
	s_delay_alu instid0(VALU_DEP_2) | instskip(NEXT) | instid1(VALU_DEP_2)
	v_cndmask_b32_e64 v3, v3, v16, s18
	v_cmp_class_f32_e64 s1, v6, 0x1f8
	s_delay_alu instid0(VALU_DEP_2) | instskip(NEXT) | instid1(VALU_DEP_2)
	v_cmp_neq_f32_e32 vcc_lo, v6, v3
	s_or_b32 s2, vcc_lo, s1
	s_delay_alu instid0(SALU_CYCLE_1)
	s_and_saveexec_b32 s1, s2
	s_cbranch_execz .LBB390_354
; %bb.353:
	v_sub_f32_e32 v2, v6, v3
	s_mov_b32 s2, 0x3e9b6dac
	s_delay_alu instid0(VALU_DEP_1) | instskip(SKIP_1) | instid1(VALU_DEP_2)
	v_mul_f32_e32 v6, 0x3fb8aa3b, v2
	v_cmp_ngt_f32_e32 vcc_lo, 0xc2ce8ed0, v2
	v_fma_f32 v7, 0x3fb8aa3b, v2, -v6
	v_rndne_f32_e32 v13, v6
	s_delay_alu instid0(VALU_DEP_2) | instskip(NEXT) | instid1(VALU_DEP_2)
	v_fmamk_f32 v7, v2, 0x32a5705f, v7
	v_sub_f32_e32 v6, v6, v13
	s_delay_alu instid0(VALU_DEP_1) | instskip(SKIP_1) | instid1(VALU_DEP_2)
	v_add_f32_e32 v6, v6, v7
	v_cvt_i32_f32_e32 v7, v13
	v_exp_f32_e32 v6, v6
	s_waitcnt_depctr 0xfff
	v_ldexp_f32 v6, v6, v7
	s_delay_alu instid0(VALU_DEP_1) | instskip(SKIP_1) | instid1(VALU_DEP_2)
	v_cndmask_b32_e32 v6, 0, v6, vcc_lo
	v_cmp_nlt_f32_e32 vcc_lo, 0x42b17218, v2
	v_cndmask_b32_e32 v2, 0x7f800000, v6, vcc_lo
	s_delay_alu instid0(VALU_DEP_1) | instskip(NEXT) | instid1(VALU_DEP_1)
	v_add_f32_e32 v13, 1.0, v2
	v_cvt_f64_f32_e32 v[6:7], v13
	s_delay_alu instid0(VALU_DEP_1) | instskip(SKIP_1) | instid1(VALU_DEP_1)
	v_frexp_exp_i32_f64_e32 v6, v[6:7]
	v_frexp_mant_f32_e32 v7, v13
	v_cmp_gt_f32_e32 vcc_lo, 0x3f2aaaab, v7
	v_add_f32_e32 v7, -1.0, v13
	s_delay_alu instid0(VALU_DEP_1) | instskip(NEXT) | instid1(VALU_DEP_1)
	v_dual_sub_f32 v22, v7, v13 :: v_dual_sub_f32 v7, v2, v7
	v_add_f32_e32 v22, 1.0, v22
	v_subrev_co_ci_u32_e32 v6, vcc_lo, 0, v6, vcc_lo
	s_delay_alu instid0(VALU_DEP_1) | instskip(SKIP_1) | instid1(VALU_DEP_2)
	v_sub_nc_u32_e32 v16, 0, v6
	v_cvt_f32_i32_e32 v6, v6
	v_ldexp_f32 v13, v13, v16
	s_delay_alu instid0(VALU_DEP_1) | instskip(NEXT) | instid1(VALU_DEP_1)
	v_add_f32_e32 v23, 1.0, v13
	v_dual_add_f32 v7, v7, v22 :: v_dual_add_f32 v22, -1.0, v23
	s_delay_alu instid0(VALU_DEP_1) | instskip(SKIP_1) | instid1(VALU_DEP_3)
	v_ldexp_f32 v7, v7, v16
	v_add_f32_e32 v16, -1.0, v13
	v_sub_f32_e32 v22, v13, v22
	s_delay_alu instid0(VALU_DEP_2) | instskip(NEXT) | instid1(VALU_DEP_1)
	v_add_f32_e32 v24, 1.0, v16
	v_dual_add_f32 v22, v7, v22 :: v_dual_sub_f32 v13, v13, v24
	v_cmp_eq_f32_e32 vcc_lo, 0x7f800000, v2
	s_delay_alu instid0(VALU_DEP_2) | instskip(NEXT) | instid1(VALU_DEP_3)
	v_add_f32_e32 v24, v23, v22
	v_add_f32_e32 v7, v7, v13
	s_delay_alu instid0(VALU_DEP_2) | instskip(SKIP_1) | instid1(VALU_DEP_2)
	v_rcp_f32_e32 v13, v24
	v_sub_f32_e32 v23, v23, v24
	v_add_f32_e32 v25, v16, v7
	s_delay_alu instid0(VALU_DEP_2) | instskip(SKIP_2) | instid1(VALU_DEP_1)
	v_add_f32_e32 v22, v22, v23
	s_waitcnt_depctr 0xfff
	v_mul_f32_e32 v26, v25, v13
	v_mul_f32_e32 v27, v24, v26
	s_delay_alu instid0(VALU_DEP_1) | instskip(NEXT) | instid1(VALU_DEP_1)
	v_fma_f32 v23, v26, v24, -v27
	v_fmac_f32_e32 v23, v26, v22
	s_delay_alu instid0(VALU_DEP_1) | instskip(NEXT) | instid1(VALU_DEP_1)
	v_add_f32_e32 v36, v27, v23
	v_dual_sub_f32 v16, v16, v25 :: v_dual_sub_f32 v37, v25, v36
	s_delay_alu instid0(VALU_DEP_1) | instskip(NEXT) | instid1(VALU_DEP_1)
	v_sub_f32_e32 v25, v25, v37
	v_sub_f32_e32 v25, v25, v36
	s_delay_alu instid0(VALU_DEP_3) | instskip(NEXT) | instid1(VALU_DEP_1)
	v_dual_add_f32 v7, v7, v16 :: v_dual_sub_f32 v16, v36, v27
	v_dual_add_f32 v7, v7, v25 :: v_dual_sub_f32 v16, v16, v23
	s_delay_alu instid0(VALU_DEP_1) | instskip(NEXT) | instid1(VALU_DEP_1)
	v_add_f32_e32 v7, v16, v7
	v_add_f32_e32 v16, v37, v7
	s_delay_alu instid0(VALU_DEP_1) | instskip(NEXT) | instid1(VALU_DEP_1)
	v_mul_f32_e32 v23, v13, v16
	v_mul_f32_e32 v25, v24, v23
	s_delay_alu instid0(VALU_DEP_1) | instskip(NEXT) | instid1(VALU_DEP_1)
	v_fma_f32 v24, v23, v24, -v25
	v_fmac_f32_e32 v24, v23, v22
	s_delay_alu instid0(VALU_DEP_1) | instskip(NEXT) | instid1(VALU_DEP_1)
	v_add_f32_e32 v22, v25, v24
	v_sub_f32_e32 v25, v22, v25
	v_dual_sub_f32 v27, v16, v22 :: v_dual_sub_f32 v36, v37, v16
	s_delay_alu instid0(VALU_DEP_1) | instskip(NEXT) | instid1(VALU_DEP_1)
	v_dual_sub_f32 v16, v16, v27 :: v_dual_add_f32 v7, v7, v36
	v_sub_f32_e32 v16, v16, v22
	s_delay_alu instid0(VALU_DEP_1) | instskip(SKIP_1) | instid1(VALU_DEP_1)
	v_dual_add_f32 v7, v7, v16 :: v_dual_add_f32 v16, v26, v23
	v_sub_f32_e32 v22, v25, v24
	v_add_f32_e32 v7, v22, v7
	s_delay_alu instid0(VALU_DEP_1) | instskip(NEXT) | instid1(VALU_DEP_1)
	v_dual_add_f32 v7, v27, v7 :: v_dual_sub_f32 v22, v16, v26
	v_dual_mul_f32 v7, v13, v7 :: v_dual_sub_f32 v22, v23, v22
	s_delay_alu instid0(VALU_DEP_1) | instskip(NEXT) | instid1(VALU_DEP_1)
	v_add_f32_e32 v7, v22, v7
	v_add_f32_e32 v13, v16, v7
	s_delay_alu instid0(VALU_DEP_1) | instskip(NEXT) | instid1(VALU_DEP_1)
	v_mul_f32_e32 v22, v13, v13
	v_fmaak_f32 v23, s2, v22, 0x3ecc95a3
	v_mul_f32_e32 v24, v13, v22
	v_cmp_gt_f32_e64 s2, 0x33800000, |v2|
	s_delay_alu instid0(VALU_DEP_3) | instskip(SKIP_2) | instid1(VALU_DEP_4)
	v_fmaak_f32 v22, v22, v23, 0x3f2aaada
	v_ldexp_f32 v23, v13, 1
	v_sub_f32_e32 v13, v13, v16
	s_or_b32 vcc_lo, vcc_lo, s2
	s_delay_alu instid0(VALU_DEP_1) | instskip(NEXT) | instid1(VALU_DEP_1)
	v_dual_sub_f32 v7, v7, v13 :: v_dual_mul_f32 v22, v24, v22
	v_ldexp_f32 v7, v7, 1
	s_delay_alu instid0(VALU_DEP_2) | instskip(NEXT) | instid1(VALU_DEP_1)
	v_add_f32_e32 v16, v23, v22
	v_dual_mul_f32 v24, 0x3f317218, v6 :: v_dual_sub_f32 v13, v16, v23
	s_delay_alu instid0(VALU_DEP_1) | instskip(NEXT) | instid1(VALU_DEP_2)
	v_fma_f32 v23, 0x3f317218, v6, -v24
	v_sub_f32_e32 v13, v22, v13
	s_delay_alu instid0(VALU_DEP_1) | instskip(NEXT) | instid1(VALU_DEP_1)
	v_add_f32_e32 v7, v7, v13
	v_add_f32_e32 v22, v16, v7
	s_delay_alu instid0(VALU_DEP_4) | instskip(NEXT) | instid1(VALU_DEP_1)
	v_fmamk_f32 v6, v6, 0xb102e308, v23
	v_dual_sub_f32 v16, v22, v16 :: v_dual_add_f32 v13, v24, v6
	s_delay_alu instid0(VALU_DEP_1) | instskip(NEXT) | instid1(VALU_DEP_2)
	v_sub_f32_e32 v7, v7, v16
	v_add_f32_e32 v23, v13, v22
	s_delay_alu instid0(VALU_DEP_1) | instskip(NEXT) | instid1(VALU_DEP_1)
	v_sub_f32_e32 v25, v23, v13
	v_sub_f32_e32 v26, v23, v25
	;; [unrolled: 1-line block ×4, first 2 shown]
	s_delay_alu instid0(VALU_DEP_3) | instskip(NEXT) | instid1(VALU_DEP_1)
	v_sub_f32_e32 v13, v13, v26
	v_dual_add_f32 v13, v16, v13 :: v_dual_sub_f32 v6, v6, v24
	s_delay_alu instid0(VALU_DEP_1) | instskip(NEXT) | instid1(VALU_DEP_1)
	v_add_f32_e32 v22, v6, v7
	v_sub_f32_e32 v16, v22, v6
	s_delay_alu instid0(VALU_DEP_1) | instskip(NEXT) | instid1(VALU_DEP_4)
	v_sub_f32_e32 v7, v7, v16
	v_add_f32_e32 v13, v22, v13
	v_sub_f32_e32 v22, v22, v16
	s_delay_alu instid0(VALU_DEP_2) | instskip(NEXT) | instid1(VALU_DEP_2)
	v_add_f32_e32 v24, v23, v13
	v_sub_f32_e32 v6, v6, v22
	s_delay_alu instid0(VALU_DEP_2) | instskip(NEXT) | instid1(VALU_DEP_1)
	v_sub_f32_e32 v16, v24, v23
	v_dual_add_f32 v6, v7, v6 :: v_dual_sub_f32 v7, v13, v16
	s_delay_alu instid0(VALU_DEP_1) | instskip(NEXT) | instid1(VALU_DEP_1)
	v_add_f32_e32 v6, v6, v7
	v_add_f32_e32 v6, v24, v6
	s_delay_alu instid0(VALU_DEP_1) | instskip(NEXT) | instid1(VALU_DEP_1)
	v_cndmask_b32_e32 v2, v6, v2, vcc_lo
	v_add_f32_e32 v2, v3, v2
	s_delay_alu instid0(VALU_DEP_1) | instskip(NEXT) | instid1(VALU_DEP_1)
	v_cvt_f16_f32_e32 v37, v2
	v_cvt_f32_f16_e32 v2, v37
	v_mov_b32_e32 v85, v37
.LBB390_354:
	s_or_b32 exec_lo, exec_lo, s1
	s_delay_alu instid0(VALU_DEP_2) | instskip(SKIP_1) | instid1(VALU_DEP_2)
	v_dual_max_f32 v3, v48, v48 :: v_dual_max_f32 v6, v2, v2
	v_cmp_u_f16_e32 vcc_lo, v37, v37
	v_dual_mov_b32 v86, v85 :: v_dual_min_f32 v7, v6, v3
	s_delay_alu instid0(VALU_DEP_1) | instskip(NEXT) | instid1(VALU_DEP_1)
	v_dual_max_f32 v3, v6, v3 :: v_dual_cndmask_b32 v6, v7, v2
	v_cndmask_b32_e32 v3, v3, v2, vcc_lo
	s_delay_alu instid0(VALU_DEP_2) | instskip(NEXT) | instid1(VALU_DEP_2)
	v_cndmask_b32_e64 v6, v6, v48, s19
	v_cndmask_b32_e64 v3, v3, v48, s19
	s_delay_alu instid0(VALU_DEP_2) | instskip(NEXT) | instid1(VALU_DEP_2)
	v_cmp_class_f32_e64 s1, v6, 0x1f8
	v_cmp_neq_f32_e32 vcc_lo, v6, v3
	s_delay_alu instid0(VALU_DEP_2) | instskip(NEXT) | instid1(SALU_CYCLE_1)
	s_or_b32 s2, vcc_lo, s1
	s_and_saveexec_b32 s1, s2
	s_cbranch_execz .LBB390_356
; %bb.355:
	v_sub_f32_e32 v2, v6, v3
	s_mov_b32 s2, 0x3e9b6dac
	s_delay_alu instid0(VALU_DEP_1) | instskip(SKIP_1) | instid1(VALU_DEP_2)
	v_mul_f32_e32 v6, 0x3fb8aa3b, v2
	v_cmp_ngt_f32_e32 vcc_lo, 0xc2ce8ed0, v2
	v_fma_f32 v7, 0x3fb8aa3b, v2, -v6
	v_rndne_f32_e32 v13, v6
	s_delay_alu instid0(VALU_DEP_2) | instskip(NEXT) | instid1(VALU_DEP_2)
	v_fmamk_f32 v7, v2, 0x32a5705f, v7
	v_sub_f32_e32 v6, v6, v13
	s_delay_alu instid0(VALU_DEP_1) | instskip(SKIP_1) | instid1(VALU_DEP_2)
	v_add_f32_e32 v6, v6, v7
	v_cvt_i32_f32_e32 v7, v13
	v_exp_f32_e32 v6, v6
	s_waitcnt_depctr 0xfff
	v_ldexp_f32 v6, v6, v7
	s_delay_alu instid0(VALU_DEP_1) | instskip(SKIP_1) | instid1(VALU_DEP_2)
	v_cndmask_b32_e32 v6, 0, v6, vcc_lo
	v_cmp_nlt_f32_e32 vcc_lo, 0x42b17218, v2
	v_cndmask_b32_e32 v2, 0x7f800000, v6, vcc_lo
	s_delay_alu instid0(VALU_DEP_1) | instskip(NEXT) | instid1(VALU_DEP_1)
	v_add_f32_e32 v13, 1.0, v2
	v_cvt_f64_f32_e32 v[6:7], v13
	s_delay_alu instid0(VALU_DEP_1) | instskip(SKIP_1) | instid1(VALU_DEP_1)
	v_frexp_exp_i32_f64_e32 v6, v[6:7]
	v_frexp_mant_f32_e32 v7, v13
	v_cmp_gt_f32_e32 vcc_lo, 0x3f2aaaab, v7
	v_add_f32_e32 v7, -1.0, v13
	s_delay_alu instid0(VALU_DEP_1) | instskip(NEXT) | instid1(VALU_DEP_1)
	v_dual_sub_f32 v22, v7, v13 :: v_dual_sub_f32 v7, v2, v7
	v_add_f32_e32 v22, 1.0, v22
	v_subrev_co_ci_u32_e32 v6, vcc_lo, 0, v6, vcc_lo
	s_delay_alu instid0(VALU_DEP_1) | instskip(SKIP_1) | instid1(VALU_DEP_2)
	v_sub_nc_u32_e32 v16, 0, v6
	v_cvt_f32_i32_e32 v6, v6
	v_ldexp_f32 v13, v13, v16
	s_delay_alu instid0(VALU_DEP_1) | instskip(NEXT) | instid1(VALU_DEP_1)
	v_add_f32_e32 v23, 1.0, v13
	v_dual_add_f32 v7, v7, v22 :: v_dual_add_f32 v22, -1.0, v23
	s_delay_alu instid0(VALU_DEP_1) | instskip(SKIP_1) | instid1(VALU_DEP_3)
	v_ldexp_f32 v7, v7, v16
	v_add_f32_e32 v16, -1.0, v13
	v_sub_f32_e32 v22, v13, v22
	s_delay_alu instid0(VALU_DEP_2) | instskip(NEXT) | instid1(VALU_DEP_1)
	v_add_f32_e32 v24, 1.0, v16
	v_dual_add_f32 v22, v7, v22 :: v_dual_sub_f32 v13, v13, v24
	v_cmp_eq_f32_e32 vcc_lo, 0x7f800000, v2
	s_delay_alu instid0(VALU_DEP_2) | instskip(NEXT) | instid1(VALU_DEP_3)
	v_add_f32_e32 v24, v23, v22
	v_add_f32_e32 v7, v7, v13
	s_delay_alu instid0(VALU_DEP_2) | instskip(SKIP_1) | instid1(VALU_DEP_2)
	v_rcp_f32_e32 v13, v24
	v_sub_f32_e32 v23, v23, v24
	v_add_f32_e32 v25, v16, v7
	s_delay_alu instid0(VALU_DEP_2) | instskip(SKIP_2) | instid1(VALU_DEP_1)
	v_add_f32_e32 v22, v22, v23
	s_waitcnt_depctr 0xfff
	v_mul_f32_e32 v26, v25, v13
	v_mul_f32_e32 v27, v24, v26
	s_delay_alu instid0(VALU_DEP_1) | instskip(NEXT) | instid1(VALU_DEP_1)
	v_fma_f32 v23, v26, v24, -v27
	v_fmac_f32_e32 v23, v26, v22
	s_delay_alu instid0(VALU_DEP_1) | instskip(NEXT) | instid1(VALU_DEP_1)
	v_add_f32_e32 v36, v27, v23
	v_dual_sub_f32 v16, v16, v25 :: v_dual_sub_f32 v37, v25, v36
	s_delay_alu instid0(VALU_DEP_1) | instskip(NEXT) | instid1(VALU_DEP_1)
	v_sub_f32_e32 v25, v25, v37
	v_sub_f32_e32 v25, v25, v36
	s_delay_alu instid0(VALU_DEP_3) | instskip(NEXT) | instid1(VALU_DEP_1)
	v_dual_add_f32 v7, v7, v16 :: v_dual_sub_f32 v16, v36, v27
	v_dual_add_f32 v7, v7, v25 :: v_dual_sub_f32 v16, v16, v23
	s_delay_alu instid0(VALU_DEP_1) | instskip(NEXT) | instid1(VALU_DEP_1)
	v_add_f32_e32 v7, v16, v7
	v_add_f32_e32 v16, v37, v7
	s_delay_alu instid0(VALU_DEP_1) | instskip(NEXT) | instid1(VALU_DEP_1)
	v_mul_f32_e32 v23, v13, v16
	v_mul_f32_e32 v25, v24, v23
	s_delay_alu instid0(VALU_DEP_1) | instskip(NEXT) | instid1(VALU_DEP_1)
	v_fma_f32 v24, v23, v24, -v25
	v_fmac_f32_e32 v24, v23, v22
	s_delay_alu instid0(VALU_DEP_1) | instskip(NEXT) | instid1(VALU_DEP_1)
	v_add_f32_e32 v22, v25, v24
	v_sub_f32_e32 v25, v22, v25
	v_dual_sub_f32 v27, v16, v22 :: v_dual_sub_f32 v36, v37, v16
	s_delay_alu instid0(VALU_DEP_1) | instskip(NEXT) | instid1(VALU_DEP_1)
	v_dual_sub_f32 v16, v16, v27 :: v_dual_add_f32 v7, v7, v36
	v_sub_f32_e32 v16, v16, v22
	s_delay_alu instid0(VALU_DEP_1) | instskip(SKIP_1) | instid1(VALU_DEP_1)
	v_dual_add_f32 v7, v7, v16 :: v_dual_add_f32 v16, v26, v23
	v_sub_f32_e32 v22, v25, v24
	v_add_f32_e32 v7, v22, v7
	s_delay_alu instid0(VALU_DEP_1) | instskip(NEXT) | instid1(VALU_DEP_1)
	v_dual_add_f32 v7, v27, v7 :: v_dual_sub_f32 v22, v16, v26
	v_dual_mul_f32 v7, v13, v7 :: v_dual_sub_f32 v22, v23, v22
	s_delay_alu instid0(VALU_DEP_1) | instskip(NEXT) | instid1(VALU_DEP_1)
	v_add_f32_e32 v7, v22, v7
	v_add_f32_e32 v13, v16, v7
	s_delay_alu instid0(VALU_DEP_1) | instskip(NEXT) | instid1(VALU_DEP_1)
	v_mul_f32_e32 v22, v13, v13
	v_fmaak_f32 v23, s2, v22, 0x3ecc95a3
	v_mul_f32_e32 v24, v13, v22
	v_cmp_gt_f32_e64 s2, 0x33800000, |v2|
	s_delay_alu instid0(VALU_DEP_3) | instskip(SKIP_2) | instid1(VALU_DEP_4)
	v_fmaak_f32 v22, v22, v23, 0x3f2aaada
	v_ldexp_f32 v23, v13, 1
	v_sub_f32_e32 v13, v13, v16
	s_or_b32 vcc_lo, vcc_lo, s2
	s_delay_alu instid0(VALU_DEP_1) | instskip(NEXT) | instid1(VALU_DEP_1)
	v_dual_sub_f32 v7, v7, v13 :: v_dual_mul_f32 v22, v24, v22
	v_ldexp_f32 v7, v7, 1
	s_delay_alu instid0(VALU_DEP_2) | instskip(NEXT) | instid1(VALU_DEP_1)
	v_add_f32_e32 v16, v23, v22
	v_dual_mul_f32 v24, 0x3f317218, v6 :: v_dual_sub_f32 v13, v16, v23
	s_delay_alu instid0(VALU_DEP_1) | instskip(NEXT) | instid1(VALU_DEP_2)
	v_fma_f32 v23, 0x3f317218, v6, -v24
	v_sub_f32_e32 v13, v22, v13
	s_delay_alu instid0(VALU_DEP_1) | instskip(NEXT) | instid1(VALU_DEP_1)
	v_add_f32_e32 v7, v7, v13
	v_add_f32_e32 v22, v16, v7
	s_delay_alu instid0(VALU_DEP_4) | instskip(NEXT) | instid1(VALU_DEP_1)
	v_fmamk_f32 v6, v6, 0xb102e308, v23
	v_dual_sub_f32 v16, v22, v16 :: v_dual_add_f32 v13, v24, v6
	s_delay_alu instid0(VALU_DEP_1) | instskip(NEXT) | instid1(VALU_DEP_2)
	v_sub_f32_e32 v7, v7, v16
	v_add_f32_e32 v23, v13, v22
	s_delay_alu instid0(VALU_DEP_1) | instskip(NEXT) | instid1(VALU_DEP_1)
	v_sub_f32_e32 v25, v23, v13
	v_sub_f32_e32 v26, v23, v25
	;; [unrolled: 1-line block ×4, first 2 shown]
	s_delay_alu instid0(VALU_DEP_3) | instskip(NEXT) | instid1(VALU_DEP_1)
	v_sub_f32_e32 v13, v13, v26
	v_dual_add_f32 v13, v16, v13 :: v_dual_sub_f32 v6, v6, v24
	s_delay_alu instid0(VALU_DEP_1) | instskip(NEXT) | instid1(VALU_DEP_1)
	v_add_f32_e32 v22, v6, v7
	v_sub_f32_e32 v16, v22, v6
	s_delay_alu instid0(VALU_DEP_1) | instskip(NEXT) | instid1(VALU_DEP_4)
	v_sub_f32_e32 v7, v7, v16
	v_add_f32_e32 v13, v22, v13
	v_sub_f32_e32 v22, v22, v16
	s_delay_alu instid0(VALU_DEP_2) | instskip(NEXT) | instid1(VALU_DEP_2)
	v_add_f32_e32 v24, v23, v13
	v_sub_f32_e32 v6, v6, v22
	s_delay_alu instid0(VALU_DEP_2) | instskip(NEXT) | instid1(VALU_DEP_1)
	v_sub_f32_e32 v16, v24, v23
	v_dual_add_f32 v6, v7, v6 :: v_dual_sub_f32 v7, v13, v16
	s_delay_alu instid0(VALU_DEP_1) | instskip(NEXT) | instid1(VALU_DEP_1)
	v_add_f32_e32 v6, v6, v7
	v_add_f32_e32 v6, v24, v6
	s_delay_alu instid0(VALU_DEP_1) | instskip(NEXT) | instid1(VALU_DEP_1)
	v_cndmask_b32_e32 v2, v6, v2, vcc_lo
	v_add_f32_e32 v2, v3, v2
	s_delay_alu instid0(VALU_DEP_1) | instskip(NEXT) | instid1(VALU_DEP_1)
	v_cvt_f16_f32_e32 v37, v2
	v_cvt_f32_f16_e32 v2, v37
	v_mov_b32_e32 v86, v37
.LBB390_356:
	s_or_b32 exec_lo, exec_lo, s1
	s_delay_alu instid0(VALU_DEP_2) | instskip(SKIP_1) | instid1(VALU_DEP_3)
	v_dual_max_f32 v3, v17, v17 :: v_dual_max_f32 v6, v2, v2
	v_cmp_u_f16_e32 vcc_lo, v37, v37
	v_mov_b32_e32 v87, v86
	s_delay_alu instid0(VALU_DEP_3) | instskip(NEXT) | instid1(VALU_DEP_1)
	v_min_f32_e32 v7, v6, v3
	v_dual_max_f32 v3, v6, v3 :: v_dual_cndmask_b32 v6, v7, v2
	s_delay_alu instid0(VALU_DEP_1) | instskip(NEXT) | instid1(VALU_DEP_2)
	v_cndmask_b32_e32 v3, v3, v2, vcc_lo
	v_cndmask_b32_e64 v6, v6, v17, s20
	s_delay_alu instid0(VALU_DEP_2) | instskip(NEXT) | instid1(VALU_DEP_2)
	v_cndmask_b32_e64 v3, v3, v17, s20
	v_cmp_class_f32_e64 s1, v6, 0x1f8
	s_delay_alu instid0(VALU_DEP_2) | instskip(NEXT) | instid1(VALU_DEP_2)
	v_cmp_neq_f32_e32 vcc_lo, v6, v3
	s_or_b32 s2, vcc_lo, s1
	s_delay_alu instid0(SALU_CYCLE_1)
	s_and_saveexec_b32 s1, s2
	s_cbranch_execz .LBB390_358
; %bb.357:
	v_sub_f32_e32 v2, v6, v3
	s_mov_b32 s2, 0x3e9b6dac
	s_delay_alu instid0(VALU_DEP_1) | instskip(SKIP_1) | instid1(VALU_DEP_2)
	v_mul_f32_e32 v6, 0x3fb8aa3b, v2
	v_cmp_ngt_f32_e32 vcc_lo, 0xc2ce8ed0, v2
	v_fma_f32 v7, 0x3fb8aa3b, v2, -v6
	v_rndne_f32_e32 v13, v6
	s_delay_alu instid0(VALU_DEP_2) | instskip(NEXT) | instid1(VALU_DEP_2)
	v_fmamk_f32 v7, v2, 0x32a5705f, v7
	v_sub_f32_e32 v6, v6, v13
	s_delay_alu instid0(VALU_DEP_1) | instskip(SKIP_1) | instid1(VALU_DEP_2)
	v_add_f32_e32 v6, v6, v7
	v_cvt_i32_f32_e32 v7, v13
	v_exp_f32_e32 v6, v6
	s_waitcnt_depctr 0xfff
	v_ldexp_f32 v6, v6, v7
	s_delay_alu instid0(VALU_DEP_1) | instskip(SKIP_1) | instid1(VALU_DEP_2)
	v_cndmask_b32_e32 v6, 0, v6, vcc_lo
	v_cmp_nlt_f32_e32 vcc_lo, 0x42b17218, v2
	v_cndmask_b32_e32 v2, 0x7f800000, v6, vcc_lo
	s_delay_alu instid0(VALU_DEP_1) | instskip(NEXT) | instid1(VALU_DEP_1)
	v_add_f32_e32 v13, 1.0, v2
	v_cvt_f64_f32_e32 v[6:7], v13
	s_delay_alu instid0(VALU_DEP_1) | instskip(SKIP_1) | instid1(VALU_DEP_1)
	v_frexp_exp_i32_f64_e32 v6, v[6:7]
	v_frexp_mant_f32_e32 v7, v13
	v_cmp_gt_f32_e32 vcc_lo, 0x3f2aaaab, v7
	v_add_f32_e32 v7, -1.0, v13
	s_delay_alu instid0(VALU_DEP_1) | instskip(NEXT) | instid1(VALU_DEP_1)
	v_sub_f32_e32 v17, v7, v13
	v_add_f32_e32 v17, 1.0, v17
	v_subrev_co_ci_u32_e32 v6, vcc_lo, 0, v6, vcc_lo
	s_delay_alu instid0(VALU_DEP_1) | instskip(SKIP_1) | instid1(VALU_DEP_2)
	v_sub_nc_u32_e32 v16, 0, v6
	v_cvt_f32_i32_e32 v6, v6
	v_ldexp_f32 v13, v13, v16
	s_delay_alu instid0(VALU_DEP_1) | instskip(NEXT) | instid1(VALU_DEP_1)
	v_dual_sub_f32 v7, v2, v7 :: v_dual_add_f32 v22, 1.0, v13
	v_add_f32_e32 v7, v7, v17
	v_cmp_eq_f32_e32 vcc_lo, 0x7f800000, v2
	s_delay_alu instid0(VALU_DEP_3) | instskip(NEXT) | instid1(VALU_DEP_3)
	v_add_f32_e32 v17, -1.0, v22
	v_ldexp_f32 v7, v7, v16
	v_add_f32_e32 v16, -1.0, v13
	s_delay_alu instid0(VALU_DEP_3) | instskip(NEXT) | instid1(VALU_DEP_2)
	v_sub_f32_e32 v17, v13, v17
	v_add_f32_e32 v23, 1.0, v16
	s_delay_alu instid0(VALU_DEP_2) | instskip(NEXT) | instid1(VALU_DEP_2)
	v_add_f32_e32 v17, v7, v17
	v_sub_f32_e32 v13, v13, v23
	s_delay_alu instid0(VALU_DEP_1) | instskip(NEXT) | instid1(VALU_DEP_1)
	v_add_f32_e32 v7, v7, v13
	v_dual_add_f32 v24, v16, v7 :: v_dual_add_f32 v23, v22, v17
	s_delay_alu instid0(VALU_DEP_1) | instskip(NEXT) | instid1(VALU_DEP_2)
	v_sub_f32_e32 v16, v16, v24
	v_rcp_f32_e32 v13, v23
	v_sub_f32_e32 v22, v22, v23
	s_delay_alu instid0(VALU_DEP_1) | instskip(SKIP_2) | instid1(VALU_DEP_1)
	v_add_f32_e32 v17, v17, v22
	s_waitcnt_depctr 0xfff
	v_mul_f32_e32 v25, v24, v13
	v_mul_f32_e32 v26, v23, v25
	s_delay_alu instid0(VALU_DEP_1) | instskip(NEXT) | instid1(VALU_DEP_1)
	v_fma_f32 v22, v25, v23, -v26
	v_fmac_f32_e32 v22, v25, v17
	s_delay_alu instid0(VALU_DEP_1) | instskip(NEXT) | instid1(VALU_DEP_1)
	v_add_f32_e32 v27, v26, v22
	v_sub_f32_e32 v36, v24, v27
	s_delay_alu instid0(VALU_DEP_1) | instskip(SKIP_2) | instid1(VALU_DEP_3)
	v_sub_f32_e32 v24, v24, v36
	v_add_f32_e32 v7, v7, v16
	v_sub_f32_e32 v16, v27, v26
	v_sub_f32_e32 v24, v24, v27
	s_delay_alu instid0(VALU_DEP_1) | instskip(NEXT) | instid1(VALU_DEP_1)
	v_dual_sub_f32 v16, v16, v22 :: v_dual_add_f32 v7, v7, v24
	v_add_f32_e32 v7, v16, v7
	s_delay_alu instid0(VALU_DEP_1) | instskip(NEXT) | instid1(VALU_DEP_1)
	v_add_f32_e32 v16, v36, v7
	v_mul_f32_e32 v22, v13, v16
	s_delay_alu instid0(VALU_DEP_1) | instskip(NEXT) | instid1(VALU_DEP_1)
	v_dual_sub_f32 v27, v36, v16 :: v_dual_mul_f32 v24, v23, v22
	v_add_f32_e32 v7, v7, v27
	s_delay_alu instid0(VALU_DEP_2) | instskip(NEXT) | instid1(VALU_DEP_1)
	v_fma_f32 v23, v22, v23, -v24
	v_fmac_f32_e32 v23, v22, v17
	s_delay_alu instid0(VALU_DEP_1) | instskip(NEXT) | instid1(VALU_DEP_1)
	v_add_f32_e32 v17, v24, v23
	v_sub_f32_e32 v26, v16, v17
	s_delay_alu instid0(VALU_DEP_1) | instskip(NEXT) | instid1(VALU_DEP_1)
	v_sub_f32_e32 v16, v16, v26
	v_sub_f32_e32 v16, v16, v17
	s_delay_alu instid0(VALU_DEP_1) | instskip(SKIP_1) | instid1(VALU_DEP_1)
	v_dual_add_f32 v7, v7, v16 :: v_dual_add_f32 v16, v25, v22
	v_sub_f32_e32 v24, v17, v24
	v_sub_f32_e32 v17, v24, v23
	s_delay_alu instid0(VALU_DEP_1) | instskip(NEXT) | instid1(VALU_DEP_4)
	v_add_f32_e32 v7, v17, v7
	v_sub_f32_e32 v17, v16, v25
	s_delay_alu instid0(VALU_DEP_2) | instskip(NEXT) | instid1(VALU_DEP_2)
	v_add_f32_e32 v7, v26, v7
	v_sub_f32_e32 v17, v22, v17
	s_delay_alu instid0(VALU_DEP_2) | instskip(NEXT) | instid1(VALU_DEP_1)
	v_mul_f32_e32 v7, v13, v7
	v_add_f32_e32 v7, v17, v7
	s_delay_alu instid0(VALU_DEP_1) | instskip(NEXT) | instid1(VALU_DEP_1)
	v_add_f32_e32 v13, v16, v7
	v_mul_f32_e32 v17, v13, v13
	s_delay_alu instid0(VALU_DEP_1) | instskip(SKIP_2) | instid1(VALU_DEP_3)
	v_fmaak_f32 v22, s2, v17, 0x3ecc95a3
	v_mul_f32_e32 v23, v13, v17
	v_cmp_gt_f32_e64 s2, 0x33800000, |v2|
	v_fmaak_f32 v17, v17, v22, 0x3f2aaada
	v_ldexp_f32 v22, v13, 1
	s_delay_alu instid0(VALU_DEP_3) | instskip(SKIP_1) | instid1(VALU_DEP_3)
	s_or_b32 vcc_lo, vcc_lo, s2
	v_sub_f32_e32 v13, v13, v16
	v_mul_f32_e32 v17, v23, v17
	s_delay_alu instid0(VALU_DEP_2) | instskip(NEXT) | instid1(VALU_DEP_2)
	v_sub_f32_e32 v7, v7, v13
	v_add_f32_e32 v16, v22, v17
	s_delay_alu instid0(VALU_DEP_2) | instskip(NEXT) | instid1(VALU_DEP_2)
	v_ldexp_f32 v7, v7, 1
	v_sub_f32_e32 v13, v16, v22
	s_delay_alu instid0(VALU_DEP_1) | instskip(NEXT) | instid1(VALU_DEP_1)
	v_sub_f32_e32 v13, v17, v13
	v_add_f32_e32 v7, v7, v13
	s_delay_alu instid0(VALU_DEP_1) | instskip(NEXT) | instid1(VALU_DEP_1)
	v_add_f32_e32 v17, v16, v7
	v_dual_mul_f32 v23, 0x3f317218, v6 :: v_dual_sub_f32 v16, v17, v16
	s_delay_alu instid0(VALU_DEP_1) | instskip(NEXT) | instid1(VALU_DEP_1)
	v_fma_f32 v22, 0x3f317218, v6, -v23
	v_dual_sub_f32 v7, v7, v16 :: v_dual_fmamk_f32 v6, v6, 0xb102e308, v22
	s_delay_alu instid0(VALU_DEP_1) | instskip(NEXT) | instid1(VALU_DEP_1)
	v_add_f32_e32 v13, v23, v6
	v_add_f32_e32 v22, v13, v17
	s_delay_alu instid0(VALU_DEP_1) | instskip(NEXT) | instid1(VALU_DEP_1)
	v_dual_sub_f32 v23, v13, v23 :: v_dual_sub_f32 v24, v22, v13
	v_sub_f32_e32 v6, v6, v23
	s_delay_alu instid0(VALU_DEP_2) | instskip(NEXT) | instid1(VALU_DEP_2)
	v_sub_f32_e32 v25, v22, v24
	v_dual_sub_f32 v16, v17, v24 :: v_dual_add_f32 v17, v6, v7
	s_delay_alu instid0(VALU_DEP_2) | instskip(NEXT) | instid1(VALU_DEP_1)
	v_sub_f32_e32 v13, v13, v25
	v_dual_add_f32 v13, v16, v13 :: v_dual_sub_f32 v16, v17, v6
	s_delay_alu instid0(VALU_DEP_1) | instskip(NEXT) | instid1(VALU_DEP_2)
	v_add_f32_e32 v13, v17, v13
	v_sub_f32_e32 v17, v17, v16
	v_sub_f32_e32 v7, v7, v16
	s_delay_alu instid0(VALU_DEP_3) | instskip(NEXT) | instid1(VALU_DEP_3)
	v_add_f32_e32 v23, v22, v13
	v_sub_f32_e32 v6, v6, v17
	s_delay_alu instid0(VALU_DEP_2) | instskip(NEXT) | instid1(VALU_DEP_1)
	v_sub_f32_e32 v16, v23, v22
	v_dual_add_f32 v6, v7, v6 :: v_dual_sub_f32 v7, v13, v16
	s_delay_alu instid0(VALU_DEP_1) | instskip(NEXT) | instid1(VALU_DEP_1)
	v_add_f32_e32 v6, v6, v7
	v_add_f32_e32 v6, v23, v6
	s_delay_alu instid0(VALU_DEP_1) | instskip(NEXT) | instid1(VALU_DEP_1)
	v_cndmask_b32_e32 v2, v6, v2, vcc_lo
	v_add_f32_e32 v2, v3, v2
	s_delay_alu instid0(VALU_DEP_1) | instskip(NEXT) | instid1(VALU_DEP_1)
	v_cvt_f16_f32_e32 v37, v2
	v_cvt_f32_f16_e32 v2, v37
	v_mov_b32_e32 v87, v37
.LBB390_358:
	s_or_b32 exec_lo, exec_lo, s1
	s_delay_alu instid0(VALU_DEP_2) | instskip(SKIP_1) | instid1(VALU_DEP_2)
	v_dual_max_f32 v3, v39, v39 :: v_dual_max_f32 v6, v2, v2
	v_cmp_u_f16_e32 vcc_lo, v37, v37
	v_dual_mov_b32 v96, v87 :: v_dual_min_f32 v7, v6, v3
	s_delay_alu instid0(VALU_DEP_1) | instskip(NEXT) | instid1(VALU_DEP_1)
	v_dual_max_f32 v3, v6, v3 :: v_dual_cndmask_b32 v6, v7, v2
	v_cndmask_b32_e32 v3, v3, v2, vcc_lo
	s_delay_alu instid0(VALU_DEP_2) | instskip(NEXT) | instid1(VALU_DEP_2)
	v_cndmask_b32_e64 v6, v6, v39, s21
	v_cndmask_b32_e64 v3, v3, v39, s21
	s_delay_alu instid0(VALU_DEP_2) | instskip(NEXT) | instid1(VALU_DEP_2)
	v_cmp_class_f32_e64 s1, v6, 0x1f8
	v_cmp_neq_f32_e32 vcc_lo, v6, v3
	s_delay_alu instid0(VALU_DEP_2) | instskip(NEXT) | instid1(SALU_CYCLE_1)
	s_or_b32 s2, vcc_lo, s1
	s_and_saveexec_b32 s1, s2
	s_cbranch_execz .LBB390_360
; %bb.359:
	v_sub_f32_e32 v2, v6, v3
	s_mov_b32 s2, 0x3e9b6dac
	s_delay_alu instid0(VALU_DEP_1) | instskip(SKIP_1) | instid1(VALU_DEP_2)
	v_mul_f32_e32 v6, 0x3fb8aa3b, v2
	v_cmp_ngt_f32_e32 vcc_lo, 0xc2ce8ed0, v2
	v_fma_f32 v7, 0x3fb8aa3b, v2, -v6
	v_rndne_f32_e32 v13, v6
	s_delay_alu instid0(VALU_DEP_2) | instskip(NEXT) | instid1(VALU_DEP_2)
	v_fmamk_f32 v7, v2, 0x32a5705f, v7
	v_sub_f32_e32 v6, v6, v13
	s_delay_alu instid0(VALU_DEP_1) | instskip(SKIP_1) | instid1(VALU_DEP_2)
	v_add_f32_e32 v6, v6, v7
	v_cvt_i32_f32_e32 v7, v13
	v_exp_f32_e32 v6, v6
	s_waitcnt_depctr 0xfff
	v_ldexp_f32 v6, v6, v7
	s_delay_alu instid0(VALU_DEP_1) | instskip(SKIP_1) | instid1(VALU_DEP_2)
	v_cndmask_b32_e32 v6, 0, v6, vcc_lo
	v_cmp_nlt_f32_e32 vcc_lo, 0x42b17218, v2
	v_cndmask_b32_e32 v2, 0x7f800000, v6, vcc_lo
	s_delay_alu instid0(VALU_DEP_1) | instskip(NEXT) | instid1(VALU_DEP_1)
	v_add_f32_e32 v13, 1.0, v2
	v_cvt_f64_f32_e32 v[6:7], v13
	s_delay_alu instid0(VALU_DEP_1) | instskip(SKIP_1) | instid1(VALU_DEP_1)
	v_frexp_exp_i32_f64_e32 v6, v[6:7]
	v_frexp_mant_f32_e32 v7, v13
	v_cmp_gt_f32_e32 vcc_lo, 0x3f2aaaab, v7
	v_add_f32_e32 v7, -1.0, v13
	s_delay_alu instid0(VALU_DEP_1) | instskip(NEXT) | instid1(VALU_DEP_1)
	v_sub_f32_e32 v17, v7, v13
	v_add_f32_e32 v17, 1.0, v17
	v_subrev_co_ci_u32_e32 v6, vcc_lo, 0, v6, vcc_lo
	s_delay_alu instid0(VALU_DEP_1) | instskip(SKIP_1) | instid1(VALU_DEP_2)
	v_sub_nc_u32_e32 v16, 0, v6
	v_cvt_f32_i32_e32 v6, v6
	v_ldexp_f32 v13, v13, v16
	s_delay_alu instid0(VALU_DEP_1) | instskip(NEXT) | instid1(VALU_DEP_1)
	v_dual_sub_f32 v7, v2, v7 :: v_dual_add_f32 v22, 1.0, v13
	v_add_f32_e32 v7, v7, v17
	v_cmp_eq_f32_e32 vcc_lo, 0x7f800000, v2
	s_delay_alu instid0(VALU_DEP_3) | instskip(NEXT) | instid1(VALU_DEP_3)
	v_add_f32_e32 v17, -1.0, v22
	v_ldexp_f32 v7, v7, v16
	v_add_f32_e32 v16, -1.0, v13
	s_delay_alu instid0(VALU_DEP_3) | instskip(NEXT) | instid1(VALU_DEP_2)
	v_sub_f32_e32 v17, v13, v17
	v_add_f32_e32 v23, 1.0, v16
	s_delay_alu instid0(VALU_DEP_2) | instskip(NEXT) | instid1(VALU_DEP_2)
	v_add_f32_e32 v17, v7, v17
	v_sub_f32_e32 v13, v13, v23
	s_delay_alu instid0(VALU_DEP_1) | instskip(NEXT) | instid1(VALU_DEP_1)
	v_add_f32_e32 v7, v7, v13
	v_dual_add_f32 v24, v16, v7 :: v_dual_add_f32 v23, v22, v17
	s_delay_alu instid0(VALU_DEP_1) | instskip(NEXT) | instid1(VALU_DEP_2)
	v_sub_f32_e32 v16, v16, v24
	v_rcp_f32_e32 v13, v23
	v_sub_f32_e32 v22, v22, v23
	s_delay_alu instid0(VALU_DEP_1) | instskip(SKIP_2) | instid1(VALU_DEP_1)
	v_add_f32_e32 v17, v17, v22
	s_waitcnt_depctr 0xfff
	v_mul_f32_e32 v25, v24, v13
	v_mul_f32_e32 v26, v23, v25
	s_delay_alu instid0(VALU_DEP_1) | instskip(NEXT) | instid1(VALU_DEP_1)
	v_fma_f32 v22, v25, v23, -v26
	v_fmac_f32_e32 v22, v25, v17
	s_delay_alu instid0(VALU_DEP_1) | instskip(NEXT) | instid1(VALU_DEP_1)
	v_add_f32_e32 v27, v26, v22
	v_sub_f32_e32 v36, v24, v27
	s_delay_alu instid0(VALU_DEP_1) | instskip(SKIP_2) | instid1(VALU_DEP_3)
	v_sub_f32_e32 v24, v24, v36
	v_add_f32_e32 v7, v7, v16
	v_sub_f32_e32 v16, v27, v26
	v_sub_f32_e32 v24, v24, v27
	s_delay_alu instid0(VALU_DEP_1) | instskip(NEXT) | instid1(VALU_DEP_1)
	v_dual_sub_f32 v16, v16, v22 :: v_dual_add_f32 v7, v7, v24
	v_add_f32_e32 v7, v16, v7
	s_delay_alu instid0(VALU_DEP_1) | instskip(NEXT) | instid1(VALU_DEP_1)
	v_add_f32_e32 v16, v36, v7
	v_mul_f32_e32 v22, v13, v16
	s_delay_alu instid0(VALU_DEP_1) | instskip(NEXT) | instid1(VALU_DEP_1)
	v_dual_sub_f32 v27, v36, v16 :: v_dual_mul_f32 v24, v23, v22
	v_add_f32_e32 v7, v7, v27
	s_delay_alu instid0(VALU_DEP_2) | instskip(NEXT) | instid1(VALU_DEP_1)
	v_fma_f32 v23, v22, v23, -v24
	v_fmac_f32_e32 v23, v22, v17
	s_delay_alu instid0(VALU_DEP_1) | instskip(NEXT) | instid1(VALU_DEP_1)
	v_add_f32_e32 v17, v24, v23
	v_sub_f32_e32 v26, v16, v17
	s_delay_alu instid0(VALU_DEP_1) | instskip(NEXT) | instid1(VALU_DEP_1)
	v_sub_f32_e32 v16, v16, v26
	v_sub_f32_e32 v16, v16, v17
	s_delay_alu instid0(VALU_DEP_1) | instskip(SKIP_1) | instid1(VALU_DEP_1)
	v_dual_add_f32 v7, v7, v16 :: v_dual_add_f32 v16, v25, v22
	v_sub_f32_e32 v24, v17, v24
	v_sub_f32_e32 v17, v24, v23
	s_delay_alu instid0(VALU_DEP_1) | instskip(NEXT) | instid1(VALU_DEP_4)
	v_add_f32_e32 v7, v17, v7
	v_sub_f32_e32 v17, v16, v25
	s_delay_alu instid0(VALU_DEP_2) | instskip(NEXT) | instid1(VALU_DEP_2)
	v_add_f32_e32 v7, v26, v7
	v_sub_f32_e32 v17, v22, v17
	s_delay_alu instid0(VALU_DEP_2) | instskip(NEXT) | instid1(VALU_DEP_1)
	v_mul_f32_e32 v7, v13, v7
	v_add_f32_e32 v7, v17, v7
	s_delay_alu instid0(VALU_DEP_1) | instskip(NEXT) | instid1(VALU_DEP_1)
	v_add_f32_e32 v13, v16, v7
	v_mul_f32_e32 v17, v13, v13
	s_delay_alu instid0(VALU_DEP_1) | instskip(SKIP_2) | instid1(VALU_DEP_3)
	v_fmaak_f32 v22, s2, v17, 0x3ecc95a3
	v_mul_f32_e32 v23, v13, v17
	v_cmp_gt_f32_e64 s2, 0x33800000, |v2|
	v_fmaak_f32 v17, v17, v22, 0x3f2aaada
	v_ldexp_f32 v22, v13, 1
	s_delay_alu instid0(VALU_DEP_3) | instskip(SKIP_1) | instid1(VALU_DEP_3)
	s_or_b32 vcc_lo, vcc_lo, s2
	v_sub_f32_e32 v13, v13, v16
	v_mul_f32_e32 v17, v23, v17
	s_delay_alu instid0(VALU_DEP_2) | instskip(NEXT) | instid1(VALU_DEP_2)
	v_sub_f32_e32 v7, v7, v13
	v_add_f32_e32 v16, v22, v17
	s_delay_alu instid0(VALU_DEP_2) | instskip(NEXT) | instid1(VALU_DEP_2)
	v_ldexp_f32 v7, v7, 1
	v_sub_f32_e32 v13, v16, v22
	s_delay_alu instid0(VALU_DEP_1) | instskip(NEXT) | instid1(VALU_DEP_1)
	v_sub_f32_e32 v13, v17, v13
	v_add_f32_e32 v7, v7, v13
	s_delay_alu instid0(VALU_DEP_1) | instskip(NEXT) | instid1(VALU_DEP_1)
	v_add_f32_e32 v17, v16, v7
	v_dual_mul_f32 v23, 0x3f317218, v6 :: v_dual_sub_f32 v16, v17, v16
	s_delay_alu instid0(VALU_DEP_1) | instskip(NEXT) | instid1(VALU_DEP_1)
	v_fma_f32 v22, 0x3f317218, v6, -v23
	v_dual_sub_f32 v7, v7, v16 :: v_dual_fmamk_f32 v6, v6, 0xb102e308, v22
	s_delay_alu instid0(VALU_DEP_1) | instskip(NEXT) | instid1(VALU_DEP_1)
	v_add_f32_e32 v13, v23, v6
	v_add_f32_e32 v22, v13, v17
	s_delay_alu instid0(VALU_DEP_1) | instskip(NEXT) | instid1(VALU_DEP_1)
	v_dual_sub_f32 v23, v13, v23 :: v_dual_sub_f32 v24, v22, v13
	v_sub_f32_e32 v6, v6, v23
	s_delay_alu instid0(VALU_DEP_2) | instskip(NEXT) | instid1(VALU_DEP_2)
	v_sub_f32_e32 v25, v22, v24
	v_dual_sub_f32 v16, v17, v24 :: v_dual_add_f32 v17, v6, v7
	s_delay_alu instid0(VALU_DEP_2) | instskip(NEXT) | instid1(VALU_DEP_1)
	v_sub_f32_e32 v13, v13, v25
	v_dual_add_f32 v13, v16, v13 :: v_dual_sub_f32 v16, v17, v6
	s_delay_alu instid0(VALU_DEP_1) | instskip(NEXT) | instid1(VALU_DEP_2)
	v_add_f32_e32 v13, v17, v13
	v_sub_f32_e32 v17, v17, v16
	v_sub_f32_e32 v7, v7, v16
	s_delay_alu instid0(VALU_DEP_3) | instskip(NEXT) | instid1(VALU_DEP_3)
	v_add_f32_e32 v23, v22, v13
	v_sub_f32_e32 v6, v6, v17
	s_delay_alu instid0(VALU_DEP_2) | instskip(NEXT) | instid1(VALU_DEP_1)
	v_sub_f32_e32 v16, v23, v22
	v_dual_add_f32 v6, v7, v6 :: v_dual_sub_f32 v7, v13, v16
	s_delay_alu instid0(VALU_DEP_1) | instskip(NEXT) | instid1(VALU_DEP_1)
	v_add_f32_e32 v6, v6, v7
	v_add_f32_e32 v6, v23, v6
	s_delay_alu instid0(VALU_DEP_1) | instskip(NEXT) | instid1(VALU_DEP_1)
	v_cndmask_b32_e32 v2, v6, v2, vcc_lo
	v_add_f32_e32 v2, v3, v2
	s_delay_alu instid0(VALU_DEP_1) | instskip(NEXT) | instid1(VALU_DEP_1)
	v_cvt_f16_f32_e32 v37, v2
	v_cvt_f32_f16_e32 v2, v37
	v_mov_b32_e32 v96, v37
.LBB390_360:
	s_or_b32 exec_lo, exec_lo, s1
	s_delay_alu instid0(VALU_DEP_1) | instskip(NEXT) | instid1(VALU_DEP_3)
	v_dual_max_f32 v3, v38, v38 :: v_dual_mov_b32 v98, v96
	v_max_f32_e32 v6, v2, v2
	v_cmp_u_f16_e32 vcc_lo, v37, v37
	s_delay_alu instid0(VALU_DEP_2) | instskip(NEXT) | instid1(VALU_DEP_1)
	v_min_f32_e32 v7, v6, v3
	v_dual_max_f32 v3, v6, v3 :: v_dual_cndmask_b32 v6, v7, v2
	s_delay_alu instid0(VALU_DEP_1) | instskip(NEXT) | instid1(VALU_DEP_2)
	v_cndmask_b32_e32 v2, v3, v2, vcc_lo
	v_cndmask_b32_e64 v3, v6, v38, s22
	s_delay_alu instid0(VALU_DEP_2) | instskip(NEXT) | instid1(VALU_DEP_2)
	v_cndmask_b32_e64 v2, v2, v38, s22
	v_cmp_class_f32_e64 s1, v3, 0x1f8
	s_delay_alu instid0(VALU_DEP_2) | instskip(NEXT) | instid1(VALU_DEP_2)
	v_cmp_neq_f32_e32 vcc_lo, v3, v2
	s_or_b32 s2, vcc_lo, s1
	s_delay_alu instid0(SALU_CYCLE_1)
	s_and_saveexec_b32 s1, s2
	s_cbranch_execz .LBB390_362
; %bb.361:
	v_sub_f32_e32 v3, v3, v2
	s_mov_b32 s2, 0x3e9b6dac
	s_delay_alu instid0(VALU_DEP_1) | instskip(NEXT) | instid1(VALU_DEP_1)
	v_mul_f32_e32 v6, 0x3fb8aa3b, v3
	v_fma_f32 v7, 0x3fb8aa3b, v3, -v6
	v_rndne_f32_e32 v13, v6
	s_delay_alu instid0(VALU_DEP_1) | instskip(SKIP_1) | instid1(VALU_DEP_4)
	v_sub_f32_e32 v6, v6, v13
	v_cmp_ngt_f32_e32 vcc_lo, 0xc2ce8ed0, v3
	v_fmamk_f32 v7, v3, 0x32a5705f, v7
	s_delay_alu instid0(VALU_DEP_1) | instskip(SKIP_1) | instid1(VALU_DEP_2)
	v_add_f32_e32 v6, v6, v7
	v_cvt_i32_f32_e32 v7, v13
	v_exp_f32_e32 v6, v6
	s_waitcnt_depctr 0xfff
	v_ldexp_f32 v6, v6, v7
	s_delay_alu instid0(VALU_DEP_1) | instskip(SKIP_1) | instid1(VALU_DEP_2)
	v_cndmask_b32_e32 v6, 0, v6, vcc_lo
	v_cmp_nlt_f32_e32 vcc_lo, 0x42b17218, v3
	v_cndmask_b32_e32 v3, 0x7f800000, v6, vcc_lo
	s_delay_alu instid0(VALU_DEP_1) | instskip(NEXT) | instid1(VALU_DEP_1)
	v_add_f32_e32 v13, 1.0, v3
	v_cvt_f64_f32_e32 v[6:7], v13
	s_delay_alu instid0(VALU_DEP_1) | instskip(SKIP_1) | instid1(VALU_DEP_1)
	v_frexp_exp_i32_f64_e32 v6, v[6:7]
	v_frexp_mant_f32_e32 v7, v13
	v_cmp_gt_f32_e32 vcc_lo, 0x3f2aaaab, v7
	v_add_f32_e32 v7, -1.0, v13
	s_delay_alu instid0(VALU_DEP_1) | instskip(NEXT) | instid1(VALU_DEP_1)
	v_sub_f32_e32 v17, v7, v13
	v_add_f32_e32 v17, 1.0, v17
	v_subrev_co_ci_u32_e32 v6, vcc_lo, 0, v6, vcc_lo
	s_delay_alu instid0(VALU_DEP_1) | instskip(SKIP_1) | instid1(VALU_DEP_2)
	v_sub_nc_u32_e32 v16, 0, v6
	v_cvt_f32_i32_e32 v6, v6
	v_ldexp_f32 v13, v13, v16
	s_delay_alu instid0(VALU_DEP_1) | instskip(SKIP_1) | instid1(VALU_DEP_2)
	v_dual_add_f32 v22, 1.0, v13 :: v_dual_sub_f32 v7, v3, v7
	v_cmp_eq_f32_e32 vcc_lo, 0x7f800000, v3
	v_add_f32_e32 v7, v7, v17
	s_delay_alu instid0(VALU_DEP_3) | instskip(NEXT) | instid1(VALU_DEP_2)
	v_add_f32_e32 v17, -1.0, v22
	v_ldexp_f32 v7, v7, v16
	v_add_f32_e32 v16, -1.0, v13
	s_delay_alu instid0(VALU_DEP_3) | instskip(NEXT) | instid1(VALU_DEP_2)
	v_sub_f32_e32 v17, v13, v17
	v_add_f32_e32 v23, 1.0, v16
	s_delay_alu instid0(VALU_DEP_2) | instskip(NEXT) | instid1(VALU_DEP_2)
	v_add_f32_e32 v17, v7, v17
	v_sub_f32_e32 v13, v13, v23
	s_delay_alu instid0(VALU_DEP_2) | instskip(NEXT) | instid1(VALU_DEP_2)
	v_add_f32_e32 v23, v22, v17
	v_add_f32_e32 v7, v7, v13
	s_delay_alu instid0(VALU_DEP_2) | instskip(SKIP_1) | instid1(VALU_DEP_1)
	v_rcp_f32_e32 v13, v23
	v_sub_f32_e32 v22, v22, v23
	v_dual_add_f32 v24, v16, v7 :: v_dual_add_f32 v17, v17, v22
	s_delay_alu instid0(VALU_DEP_1) | instskip(SKIP_3) | instid1(VALU_DEP_2)
	v_sub_f32_e32 v16, v16, v24
	s_waitcnt_depctr 0xfff
	v_mul_f32_e32 v25, v24, v13
	v_add_f32_e32 v7, v7, v16
	v_mul_f32_e32 v26, v23, v25
	s_delay_alu instid0(VALU_DEP_1) | instskip(NEXT) | instid1(VALU_DEP_1)
	v_fma_f32 v22, v25, v23, -v26
	v_fmac_f32_e32 v22, v25, v17
	s_delay_alu instid0(VALU_DEP_1) | instskip(NEXT) | instid1(VALU_DEP_1)
	v_add_f32_e32 v27, v26, v22
	v_sub_f32_e32 v36, v24, v27
	v_sub_f32_e32 v16, v27, v26
	s_delay_alu instid0(VALU_DEP_2) | instskip(NEXT) | instid1(VALU_DEP_2)
	v_sub_f32_e32 v24, v24, v36
	v_sub_f32_e32 v16, v16, v22
	s_delay_alu instid0(VALU_DEP_2) | instskip(NEXT) | instid1(VALU_DEP_1)
	v_sub_f32_e32 v24, v24, v27
	v_add_f32_e32 v7, v7, v24
	s_delay_alu instid0(VALU_DEP_1) | instskip(NEXT) | instid1(VALU_DEP_1)
	v_add_f32_e32 v7, v16, v7
	v_add_f32_e32 v16, v36, v7
	s_delay_alu instid0(VALU_DEP_1) | instskip(NEXT) | instid1(VALU_DEP_1)
	v_mul_f32_e32 v22, v13, v16
	v_dual_sub_f32 v27, v36, v16 :: v_dual_mul_f32 v24, v23, v22
	s_delay_alu instid0(VALU_DEP_1) | instskip(NEXT) | instid1(VALU_DEP_2)
	v_add_f32_e32 v7, v7, v27
	v_fma_f32 v23, v22, v23, -v24
	s_delay_alu instid0(VALU_DEP_1) | instskip(NEXT) | instid1(VALU_DEP_1)
	v_fmac_f32_e32 v23, v22, v17
	v_add_f32_e32 v17, v24, v23
	s_delay_alu instid0(VALU_DEP_1) | instskip(NEXT) | instid1(VALU_DEP_1)
	v_sub_f32_e32 v26, v16, v17
	v_sub_f32_e32 v16, v16, v26
	s_delay_alu instid0(VALU_DEP_1) | instskip(NEXT) | instid1(VALU_DEP_1)
	v_sub_f32_e32 v16, v16, v17
	v_dual_add_f32 v7, v7, v16 :: v_dual_add_f32 v16, v25, v22
	v_sub_f32_e32 v24, v17, v24
	s_delay_alu instid0(VALU_DEP_1) | instskip(NEXT) | instid1(VALU_DEP_1)
	v_sub_f32_e32 v17, v24, v23
	v_add_f32_e32 v7, v17, v7
	s_delay_alu instid0(VALU_DEP_4) | instskip(NEXT) | instid1(VALU_DEP_2)
	v_sub_f32_e32 v17, v16, v25
	v_add_f32_e32 v7, v26, v7
	s_delay_alu instid0(VALU_DEP_2) | instskip(NEXT) | instid1(VALU_DEP_2)
	v_sub_f32_e32 v17, v22, v17
	v_mul_f32_e32 v7, v13, v7
	s_delay_alu instid0(VALU_DEP_1) | instskip(NEXT) | instid1(VALU_DEP_1)
	v_add_f32_e32 v7, v17, v7
	v_add_f32_e32 v13, v16, v7
	s_delay_alu instid0(VALU_DEP_1) | instskip(NEXT) | instid1(VALU_DEP_1)
	v_mul_f32_e32 v17, v13, v13
	v_fmaak_f32 v22, s2, v17, 0x3ecc95a3
	v_mul_f32_e32 v23, v13, v17
	v_cmp_gt_f32_e64 s2, 0x33800000, |v3|
	s_delay_alu instid0(VALU_DEP_3) | instskip(SKIP_2) | instid1(VALU_DEP_4)
	v_fmaak_f32 v17, v17, v22, 0x3f2aaada
	v_ldexp_f32 v22, v13, 1
	v_sub_f32_e32 v13, v13, v16
	s_or_b32 vcc_lo, vcc_lo, s2
	s_delay_alu instid0(VALU_DEP_3) | instskip(SKIP_1) | instid1(VALU_DEP_3)
	v_mul_f32_e32 v17, v23, v17
	v_mul_f32_e32 v23, 0x3f317218, v6
	v_sub_f32_e32 v7, v7, v13
	s_delay_alu instid0(VALU_DEP_3) | instskip(NEXT) | instid1(VALU_DEP_2)
	v_add_f32_e32 v16, v22, v17
	v_ldexp_f32 v7, v7, 1
	s_delay_alu instid0(VALU_DEP_2) | instskip(SKIP_1) | instid1(VALU_DEP_1)
	v_sub_f32_e32 v13, v16, v22
	v_fma_f32 v22, 0x3f317218, v6, -v23
	v_dual_sub_f32 v13, v17, v13 :: v_dual_fmamk_f32 v6, v6, 0xb102e308, v22
	s_delay_alu instid0(VALU_DEP_1) | instskip(NEXT) | instid1(VALU_DEP_2)
	v_add_f32_e32 v7, v7, v13
	v_add_f32_e32 v13, v23, v6
	s_delay_alu instid0(VALU_DEP_2) | instskip(NEXT) | instid1(VALU_DEP_2)
	v_add_f32_e32 v17, v16, v7
	v_sub_f32_e32 v23, v13, v23
	s_delay_alu instid0(VALU_DEP_2) | instskip(SKIP_1) | instid1(VALU_DEP_3)
	v_add_f32_e32 v22, v13, v17
	v_sub_f32_e32 v16, v17, v16
	v_sub_f32_e32 v6, v6, v23
	s_delay_alu instid0(VALU_DEP_2) | instskip(NEXT) | instid1(VALU_DEP_1)
	v_dual_sub_f32 v24, v22, v13 :: v_dual_sub_f32 v7, v7, v16
	v_sub_f32_e32 v25, v22, v24
	s_delay_alu instid0(VALU_DEP_2) | instskip(NEXT) | instid1(VALU_DEP_2)
	v_dual_sub_f32 v16, v17, v24 :: v_dual_add_f32 v17, v6, v7
	v_sub_f32_e32 v13, v13, v25
	s_delay_alu instid0(VALU_DEP_1) | instskip(NEXT) | instid1(VALU_DEP_1)
	v_dual_add_f32 v13, v16, v13 :: v_dual_sub_f32 v16, v17, v6
	v_add_f32_e32 v13, v17, v13
	s_delay_alu instid0(VALU_DEP_2) | instskip(SKIP_1) | instid1(VALU_DEP_3)
	v_sub_f32_e32 v17, v17, v16
	v_sub_f32_e32 v7, v7, v16
	v_add_f32_e32 v23, v22, v13
	s_delay_alu instid0(VALU_DEP_3) | instskip(NEXT) | instid1(VALU_DEP_2)
	v_sub_f32_e32 v6, v6, v17
	v_sub_f32_e32 v16, v23, v22
	s_delay_alu instid0(VALU_DEP_1) | instskip(NEXT) | instid1(VALU_DEP_1)
	v_dual_add_f32 v6, v7, v6 :: v_dual_sub_f32 v7, v13, v16
	v_add_f32_e32 v6, v6, v7
	s_delay_alu instid0(VALU_DEP_1) | instskip(NEXT) | instid1(VALU_DEP_1)
	v_add_f32_e32 v6, v23, v6
	v_cndmask_b32_e32 v3, v6, v3, vcc_lo
	s_delay_alu instid0(VALU_DEP_1) | instskip(NEXT) | instid1(VALU_DEP_1)
	v_add_f32_e32 v2, v2, v3
	v_cvt_f16_f32_e32 v98, v2
.LBB390_362:
	s_or_b32 exec_lo, exec_lo, s1
	s_delay_alu instid0(SALU_CYCLE_1)
	s_mov_b32 s1, exec_lo
	v_cmpx_eq_u32_e32 63, v21
	s_cbranch_execz .LBB390_364
; %bb.363:
	v_and_b32_e32 v2, 0xffff, v98
	s_delay_alu instid0(VALU_DEP_1)
	v_or_b32_e32 v2, 0x20000, v2
	flat_store_b32 v[18:19], v2 offset:128
.LBB390_364:
	s_or_b32 exec_lo, exec_lo, s1
	v_mov_b32_e32 v103, v12
.LBB390_365:
	v_add_co_u32 v0, vcc_lo, v10, v0
	v_add_co_ci_u32_e32 v1, vcc_lo, v11, v1, vcc_lo
	v_perm_b32 v2, v30, v29, 0x5040100
	s_delay_alu instid0(VALU_DEP_3) | instskip(NEXT) | instid1(VALU_DEP_3)
	v_add_co_u32 v0, vcc_lo, v0, v14
	v_add_co_ci_u32_e32 v1, vcc_lo, v1, v15, vcc_lo
	v_perm_b32 v3, v28, v103, 0x5040100
	v_perm_b32 v6, v67, v66, 0x5040100
	;; [unrolled: 1-line block ×10, first 2 shown]
	s_waitcnt lgkmcnt(0)
	s_waitcnt_vscnt null, 0x0
	s_barrier
	buffer_gl0_inv
	s_and_saveexec_b32 s1, s0
	s_delay_alu instid0(SALU_CYCLE_1)
	s_xor_b32 s0, exec_lo, s1
	s_cbranch_execz .LBB390_367
; %bb.366:
	ds_store_2addr_b32 v35, v3, v2 offset1:1
	ds_store_2addr_b32 v35, v7, v6 offset0:2 offset1:3
	ds_store_2addr_b32 v35, v11, v10 offset0:4 offset1:5
	;; [unrolled: 1-line block ×4, first 2 shown]
	ds_store_b32 v35, v16 offset:40
	s_waitcnt lgkmcnt(0)
	s_barrier
	buffer_gl0_inv
	ds_load_u16 v2, v33
	ds_load_u16 v3, v33 offset:128
	ds_load_u16 v4, v33 offset:256
	;; [unrolled: 1-line block ×21, first 2 shown]
	v_add_co_u32 v0, vcc_lo, v0, v33
	v_add_co_ci_u32_e32 v1, vcc_lo, 0, v1, vcc_lo
                                        ; implicit-def: $vgpr35
                                        ; implicit-def: $vgpr34
                                        ; implicit-def: $vgpr32
                                        ; implicit-def: $vgpr33
	s_waitcnt lgkmcnt(21)
	flat_store_b16 v[0:1], v2
	s_waitcnt lgkmcnt(21)
	flat_store_b16 v[0:1], v3 offset:128
	s_waitcnt lgkmcnt(21)
	flat_store_b16 v[0:1], v4 offset:256
	;; [unrolled: 2-line block ×21, first 2 shown]
                                        ; implicit-def: $vgpr2_vgpr3_vgpr4_vgpr5
                                        ; implicit-def: $vgpr6_vgpr7_vgpr8_vgpr9
                                        ; implicit-def: $vgpr21
                                        ; implicit-def: $vgpr20
                                        ; implicit-def: $vgpr0
                                        ; implicit-def: $vgpr1
                                        ; implicit-def: $vgpr2
                                        ; implicit-def: $vgpr3
                                        ; implicit-def: $vgpr6
                                        ; implicit-def: $vgpr7
                                        ; implicit-def: $vgpr10
                                        ; implicit-def: $vgpr11
                                        ; implicit-def: $vgpr12
                                        ; implicit-def: $vgpr13
                                        ; implicit-def: $vgpr14
                                        ; implicit-def: $vgpr15
                                        ; implicit-def: $vgpr16
.LBB390_367:
	s_and_not1_saveexec_b32 s1, s0
	s_cbranch_execz .LBB390_495
; %bb.368:
	ds_store_2addr_b32 v35, v3, v2 offset1:1
	ds_store_2addr_b32 v35, v7, v6 offset0:2 offset1:3
	ds_store_2addr_b32 v35, v11, v10 offset0:4 offset1:5
	;; [unrolled: 1-line block ×4, first 2 shown]
	ds_store_b32 v35, v16 offset:40
	s_waitcnt lgkmcnt(0)
	s_waitcnt_vscnt null, 0x0
	s_barrier
	buffer_gl0_inv
	ds_load_u16 v3, v33
	ds_load_u16 v2, v33 offset:128
	ds_load_u16 v7, v33 offset:256
	ds_load_u16 v10, v33 offset:384
	ds_load_u16 v6, v33 offset:512
	ds_load_u16 v11, v33 offset:640
	ds_load_u16 v12, v33 offset:768
	ds_load_u16 v13, v33 offset:896
	ds_load_u16 v16, v33 offset:1024
	ds_load_u16 v17, v33 offset:1152
	ds_load_u16 v15, v33 offset:1280
	ds_load_u16 v14, v33 offset:1408
	ds_load_u16 v23, v33 offset:1536
	ds_load_u16 v25, v33 offset:1664
	ds_load_u16 v18, v33 offset:1792
	ds_load_u16 v27, v33 offset:1920
	ds_load_u16 v26, v33 offset:2048
	ds_load_u16 v24, v33 offset:2176
	ds_load_u16 v28, v33 offset:2304
	ds_load_u16 v29, v33 offset:2432
	ds_load_u16 v19, v33 offset:2560
	ds_load_u16 v30, v33 offset:2688
	v_add_co_u32 v0, vcc_lo, v0, v33
	v_mov_b32_e32 v22, 0
	v_add_co_ci_u32_e32 v1, vcc_lo, 0, v1, vcc_lo
	s_mov_b32 s0, exec_lo
	v_cmpx_lt_u32_e64 v21, v20
	s_cbranch_execz .LBB390_370
; %bb.369:
	s_waitcnt lgkmcnt(21)
	flat_store_b16 v[0:1], v3
.LBB390_370:
	s_or_b32 exec_lo, exec_lo, s0
	v_add_nc_u32_e32 v31, 64, v21
	s_mov_b32 s0, exec_lo
	s_delay_alu instid0(VALU_DEP_1)
	v_cmpx_lt_u32_e64 v31, v20
	s_cbranch_execz .LBB390_372
; %bb.371:
	s_waitcnt lgkmcnt(20)
	flat_store_b16 v[0:1], v2 offset:128
.LBB390_372:
	s_or_b32 exec_lo, exec_lo, s0
	v_add_nc_u32_e32 v31, 0x80, v21
	s_mov_b32 s0, exec_lo
	s_delay_alu instid0(VALU_DEP_1)
	v_cmpx_lt_u32_e64 v31, v20
	s_cbranch_execz .LBB390_374
; %bb.373:
	s_waitcnt lgkmcnt(19)
	flat_store_b16 v[0:1], v7 offset:256
.LBB390_374:
	;; [unrolled: 10-line block ×15, first 2 shown]
	s_or_b32 exec_lo, exec_lo, s0
	v_or_b32_e32 v31, 0x400, v21
	s_mov_b32 s0, exec_lo
	s_delay_alu instid0(VALU_DEP_1)
	v_cmpx_lt_u32_e64 v31, v20
	s_cbranch_execz .LBB390_402
; %bb.401:
	s_waitcnt lgkmcnt(5)
	flat_store_b16 v[0:1], v26 offset:2048
.LBB390_402:
	s_or_b32 exec_lo, exec_lo, s0
	v_add_nc_u32_e32 v31, 0x440, v21
	s_mov_b32 s0, exec_lo
	s_delay_alu instid0(VALU_DEP_1)
	v_cmpx_lt_u32_e64 v31, v20
	s_cbranch_execz .LBB390_404
; %bb.403:
	s_waitcnt lgkmcnt(4)
	flat_store_b16 v[0:1], v24 offset:2176
.LBB390_404:
	s_or_b32 exec_lo, exec_lo, s0
	v_add_nc_u32_e32 v31, 0x480, v21
	;; [unrolled: 10-line block ×5, first 2 shown]
	s_mov_b32 s0, exec_lo
	s_delay_alu instid0(VALU_DEP_1)
	v_cmpx_lt_u32_e64 v31, v20
	s_cbranch_execz .LBB390_412
; %bb.411:
	s_waitcnt lgkmcnt(0)
	flat_store_b16 v[0:1], v30 offset:2688
.LBB390_412:
	s_or_b32 exec_lo, exec_lo, s0
	s_delay_alu instid0(SALU_CYCLE_1)
	s_mov_b32 s2, exec_lo
	v_cmpx_lt_u64_e32 1, v[8:9]
	s_cbranch_execz .LBB390_494
; %bb.413:
	s_add_u32 s0, 0, 0x2e8b0a00
	s_addc_u32 s3, 0, 42
	s_mul_hi_u32 s5, s0, 0xffffffea
	s_add_i32 s3, s3, 0xba2e890
	s_sub_i32 s5, s5, s0
	s_mul_i32 s6, s3, 0xffffffea
	s_mul_i32 s4, s0, 0xffffffea
	s_add_i32 s5, s5, s6
	s_mul_hi_u32 s7, s3, s4
	s_mul_i32 s6, s3, s4
	s_mul_i32 s8, s0, s5
	s_mul_hi_u32 s4, s0, s4
	s_mul_hi_u32 s9, s0, s5
	s_add_u32 s4, s4, s8
	s_addc_u32 s8, 0, s9
	s_mul_hi_u32 s9, s3, s5
	s_add_u32 s4, s4, s6
	s_addc_u32 s4, s8, s7
	s_mul_i32 s5, s3, s5
	s_addc_u32 s6, s9, 0
	s_add_u32 s4, s4, s5
	v_add_co_u32 v0, vcc_lo, v20, -1
	v_add_co_u32 v33, s0, s0, s4
	s_addc_u32 s4, 0, s6
	s_cmp_lg_u32 s0, 0
	v_add_co_ci_u32_e32 v1, vcc_lo, -1, v32, vcc_lo
	s_addc_u32 s0, s3, s4
	v_mul_hi_u32 v20, v0, v33
	v_mad_u64_u32 v[8:9], null, v0, s0, 0
	s_delay_alu instid0(VALU_DEP_3) | instskip(NEXT) | instid1(VALU_DEP_2)
	v_mad_u64_u32 v[31:32], null, v1, v33, 0
	v_add_co_u32 v20, vcc_lo, v20, v8
	s_delay_alu instid0(VALU_DEP_3) | instskip(SKIP_1) | instid1(VALU_DEP_3)
	v_add_co_ci_u32_e32 v33, vcc_lo, 0, v9, vcc_lo
	v_mad_u64_u32 v[8:9], null, v1, s0, 0
	v_add_co_u32 v20, vcc_lo, v20, v31
	s_delay_alu instid0(VALU_DEP_3) | instskip(NEXT) | instid1(VALU_DEP_3)
	v_add_co_ci_u32_e32 v20, vcc_lo, v33, v32, vcc_lo
	v_add_co_ci_u32_e32 v9, vcc_lo, 0, v9, vcc_lo
	s_delay_alu instid0(VALU_DEP_2) | instskip(NEXT) | instid1(VALU_DEP_2)
	v_add_co_u32 v20, vcc_lo, v20, v8
	v_add_co_ci_u32_e32 v33, vcc_lo, 0, v9, vcc_lo
	s_delay_alu instid0(VALU_DEP_2) | instskip(SKIP_1) | instid1(VALU_DEP_1)
	v_mad_u64_u32 v[8:9], null, v20, 22, 0
	s_waitcnt lgkmcnt(18)
	v_mad_u64_u32 v[31:32], null, v33, 22, v[9:10]
	s_delay_alu instid0(VALU_DEP_2) | instskip(NEXT) | instid1(VALU_DEP_2)
	v_sub_co_u32 v8, vcc_lo, v0, v8
	v_sub_co_ci_u32_e32 v9, vcc_lo, v1, v31, vcc_lo
	s_delay_alu instid0(VALU_DEP_2) | instskip(NEXT) | instid1(VALU_DEP_2)
	v_sub_co_u32 v31, vcc_lo, v8, 22
	v_subrev_co_ci_u32_e32 v32, vcc_lo, 0, v9, vcc_lo
	s_delay_alu instid0(VALU_DEP_2)
	v_cmp_lt_u32_e32 vcc_lo, 21, v31
	v_cmp_eq_u32_e64 s0, 0, v9
	v_cndmask_b32_e64 v31, 0, -1, vcc_lo
	v_add_co_u32 v35, vcc_lo, v20, 2
	v_add_co_ci_u32_e32 v36, vcc_lo, 0, v33, vcc_lo
	v_cmp_lt_u32_e32 vcc_lo, 21, v8
	v_cndmask_b32_e64 v8, 0, -1, vcc_lo
	v_cmp_eq_u32_e32 vcc_lo, 0, v32
	s_delay_alu instid0(VALU_DEP_2) | instskip(SKIP_3) | instid1(VALU_DEP_3)
	v_cndmask_b32_e64 v8, -1, v8, s0
	v_cndmask_b32_e32 v31, -1, v31, vcc_lo
	v_add_co_u32 v32, vcc_lo, v20, 1
	v_add_co_ci_u32_e32 v37, vcc_lo, 0, v33, vcc_lo
	v_cmp_ne_u32_e32 vcc_lo, 0, v31
	s_delay_alu instid0(VALU_DEP_3) | instskip(NEXT) | instid1(VALU_DEP_3)
	v_cndmask_b32_e32 v31, v32, v35, vcc_lo
	v_cndmask_b32_e32 v9, v37, v36, vcc_lo
	v_cmp_ne_u32_e32 vcc_lo, 0, v8
	s_delay_alu instid0(VALU_DEP_2) | instskip(NEXT) | instid1(VALU_DEP_1)
	v_dual_cndmask_b32 v8, v20, v31 :: v_dual_cndmask_b32 v9, v33, v9
	v_cmp_eq_u64_e32 vcc_lo, v[8:9], v[21:22]
	s_and_b32 exec_lo, exec_lo, vcc_lo
	s_cbranch_execz .LBB390_494
; %bb.414:
	v_mul_hi_u32_u24_e32 v8, 22, v21
	v_sub_co_u32 v0, vcc_lo, v0, v34
	s_mov_b32 s0, 0
	s_mov_b32 s4, 0
	s_delay_alu instid0(VALU_DEP_2) | instskip(SKIP_1) | instid1(VALU_DEP_1)
	v_sub_co_ci_u32_e32 v1, vcc_lo, v1, v8, vcc_lo
	s_mov_b32 s3, exec_lo
	v_cmpx_lt_i64_e32 10, v[0:1]
	s_xor_b32 s3, exec_lo, s3
	s_cbranch_execnz .LBB390_418
; %bb.415:
	s_or_saveexec_b32 s3, s3
	s_mov_b32 s5, 0
	s_xor_b32 exec_lo, exec_lo, s3
	s_cbranch_execnz .LBB390_459
.LBB390_416:
	s_or_b32 exec_lo, exec_lo, s3
	s_and_saveexec_b32 s3, s4
	s_cbranch_execnz .LBB390_470
.LBB390_417:
	s_or_b32 exec_lo, exec_lo, s3
	s_and_saveexec_b32 s3, s0
	s_cbranch_execnz .LBB390_471
	s_branch .LBB390_475
.LBB390_418:
	s_mov_b32 s5, 0
	s_mov_b32 s4, exec_lo
	v_cmpx_lt_i64_e32 15, v[0:1]
	s_xor_b32 s4, exec_lo, s4
	s_cbranch_execz .LBB390_440
; %bb.419:
	s_mov_b32 s6, exec_lo
                                        ; implicit-def: $vgpr14
	v_cmpx_lt_i64_e32 18, v[0:1]
	s_xor_b32 s6, exec_lo, s6
	s_cbranch_execz .LBB390_429
; %bb.420:
	s_mov_b32 s7, 0
	s_mov_b32 s5, exec_lo
                                        ; implicit-def: $vgpr14
	v_cmpx_lt_i64_e32 19, v[0:1]
	s_xor_b32 s5, exec_lo, s5
	s_cbranch_execz .LBB390_426
; %bb.421:
	s_mov_b32 s7, exec_lo
	v_cmpx_lt_i64_e32 20, v[0:1]
	s_xor_b32 s7, exec_lo, s7
	s_cbranch_execz .LBB390_423
; %bb.422:
	s_waitcnt lgkmcnt(0)
	flat_store_b16 v[4:5], v30
                                        ; implicit-def: $vgpr19
.LBB390_423:
	s_or_saveexec_b32 s7, s7
	s_mov_b32 s8, 0
	s_xor_b32 exec_lo, exec_lo, s7
; %bb.424:
	s_delay_alu instid0(SALU_CYCLE_1)
	s_mov_b32 s8, exec_lo
; %bb.425:
	s_or_b32 exec_lo, exec_lo, s7
	s_waitcnt lgkmcnt(1)
	v_mov_b32_e32 v14, v19
	s_and_b32 s7, s8, exec_lo
                                        ; implicit-def: $vgpr29
.LBB390_426:
	s_and_not1_saveexec_b32 s5, s5
	s_cbranch_execz .LBB390_428
; %bb.427:
	s_waitcnt lgkmcnt(2)
	flat_store_b16 v[4:5], v29
                                        ; implicit-def: $vgpr14
.LBB390_428:
	s_or_b32 exec_lo, exec_lo, s5
	s_delay_alu instid0(SALU_CYCLE_1)
	s_and_b32 s5, s7, exec_lo
                                        ; implicit-def: $vgpr26
                                        ; implicit-def: $vgpr24
                                        ; implicit-def: $vgpr28
.LBB390_429:
	s_and_not1_saveexec_b32 s6, s6
	s_cbranch_execz .LBB390_439
; %bb.430:
	s_mov_b32 s7, exec_lo
	v_cmpx_lt_i64_e32 16, v[0:1]
	s_xor_b32 s7, exec_lo, s7
	s_cbranch_execz .LBB390_436
; %bb.431:
	s_mov_b32 s8, exec_lo
	v_cmpx_lt_i64_e32 17, v[0:1]
	s_xor_b32 s8, exec_lo, s8
	s_cbranch_execz .LBB390_433
; %bb.432:
	s_waitcnt lgkmcnt(3)
	flat_store_b16 v[4:5], v28
                                        ; implicit-def: $vgpr24
.LBB390_433:
	s_and_not1_saveexec_b32 s8, s8
	s_cbranch_execz .LBB390_435
; %bb.434:
	s_waitcnt lgkmcnt(4)
	flat_store_b16 v[4:5], v24
.LBB390_435:
	s_or_b32 exec_lo, exec_lo, s8
                                        ; implicit-def: $vgpr26
.LBB390_436:
	s_and_not1_saveexec_b32 s7, s7
	s_cbranch_execz .LBB390_438
; %bb.437:
	s_waitcnt lgkmcnt(5)
	flat_store_b16 v[4:5], v26
.LBB390_438:
	s_or_b32 exec_lo, exec_lo, s7
                                        ; implicit-def: $vgpr14
.LBB390_439:
	s_delay_alu instid0(SALU_CYCLE_1) | instskip(NEXT) | instid1(SALU_CYCLE_1)
	s_or_b32 exec_lo, exec_lo, s6
	s_and_b32 s5, s5, exec_lo
                                        ; implicit-def: $vgpr25
                                        ; implicit-def: $vgpr23
                                        ; implicit-def: $vgpr18
                                        ; implicit-def: $vgpr27
.LBB390_440:
	s_and_not1_saveexec_b32 s4, s4
	s_cbranch_execz .LBB390_458
; %bb.441:
	s_mov_b32 s6, exec_lo
	v_cmpx_lt_i64_e32 12, v[0:1]
	s_xor_b32 s6, exec_lo, s6
	s_cbranch_execz .LBB390_451
; %bb.442:
	s_mov_b32 s7, exec_lo
	v_cmpx_lt_i64_e32 13, v[0:1]
	s_xor_b32 s7, exec_lo, s7
	s_cbranch_execz .LBB390_448
; %bb.443:
	s_mov_b32 s8, exec_lo
	v_cmpx_lt_i64_e32 14, v[0:1]
	s_xor_b32 s8, exec_lo, s8
	s_cbranch_execz .LBB390_445
; %bb.444:
	s_waitcnt lgkmcnt(6)
	flat_store_b16 v[4:5], v27
                                        ; implicit-def: $vgpr18
.LBB390_445:
	s_and_not1_saveexec_b32 s8, s8
	s_cbranch_execz .LBB390_447
; %bb.446:
	s_waitcnt lgkmcnt(7)
	flat_store_b16 v[4:5], v18
.LBB390_447:
	s_or_b32 exec_lo, exec_lo, s8
                                        ; implicit-def: $vgpr25
.LBB390_448:
	s_and_not1_saveexec_b32 s7, s7
	s_cbranch_execz .LBB390_450
; %bb.449:
	s_waitcnt lgkmcnt(8)
	flat_store_b16 v[4:5], v25
.LBB390_450:
	s_or_b32 exec_lo, exec_lo, s7
                                        ; implicit-def: $vgpr14
                                        ; implicit-def: $vgpr23
.LBB390_451:
	s_or_saveexec_b32 s6, s6
	s_mov_b32 s7, s5
	s_xor_b32 exec_lo, exec_lo, s6
	s_cbranch_execz .LBB390_457
; %bb.452:
	s_mov_b32 s7, exec_lo
	v_cmpx_lt_i64_e32 11, v[0:1]
	s_xor_b32 s7, exec_lo, s7
	s_cbranch_execz .LBB390_454
; %bb.453:
	s_waitcnt lgkmcnt(9)
	flat_store_b16 v[4:5], v23
                                        ; implicit-def: $vgpr14
.LBB390_454:
	s_or_saveexec_b32 s7, s7
	s_mov_b32 s8, s5
	s_xor_b32 exec_lo, exec_lo, s7
; %bb.455:
	s_delay_alu instid0(SALU_CYCLE_1)
	s_or_b32 s8, s5, exec_lo
; %bb.456:
	s_or_b32 exec_lo, exec_lo, s7
	s_delay_alu instid0(SALU_CYCLE_1) | instskip(SKIP_1) | instid1(SALU_CYCLE_1)
	s_and_not1_b32 s7, s5, exec_lo
	s_and_b32 s8, s8, exec_lo
	s_or_b32 s7, s7, s8
.LBB390_457:
	s_or_b32 exec_lo, exec_lo, s6
	s_delay_alu instid0(SALU_CYCLE_1) | instskip(SKIP_1) | instid1(SALU_CYCLE_1)
	s_and_not1_b32 s5, s5, exec_lo
	s_and_b32 s6, s7, exec_lo
	s_or_b32 s5, s5, s6
.LBB390_458:
	s_or_b32 exec_lo, exec_lo, s4
	s_delay_alu instid0(SALU_CYCLE_1)
	s_and_b32 s4, s5, exec_lo
                                        ; implicit-def: $vgpr16
                                        ; implicit-def: $vgpr17
                                        ; implicit-def: $vgpr15
	s_or_saveexec_b32 s3, s3
	s_mov_b32 s5, 0
	s_xor_b32 exec_lo, exec_lo, s3
	s_cbranch_execz .LBB390_416
.LBB390_459:
	s_mov_b32 s6, 0
	s_mov_b32 s5, -1
	s_mov_b32 s7, s4
	s_mov_b32 s0, exec_lo
                                        ; implicit-def: $vgpr14
	v_cmpx_lt_i64_e32 5, v[0:1]
	s_cbranch_execz .LBB390_469
; %bb.460:
	s_mov_b32 s6, -1
	s_mov_b32 s7, s4
	s_mov_b32 s5, exec_lo
	v_cmpx_lt_i64_e32 7, v[0:1]
	s_cbranch_execz .LBB390_468
; %bb.461:
	s_mov_b32 s6, exec_lo
	v_cmpx_lt_i64_e32 8, v[0:1]
	s_cbranch_execz .LBB390_467
; %bb.462:
	s_mov_b32 s7, exec_lo
	v_cmpx_lt_i64_e32 9, v[0:1]
	s_xor_b32 s7, exec_lo, s7
; %bb.463:
                                        ; implicit-def: $vgpr17
; %bb.464:
	s_delay_alu instid0(SALU_CYCLE_1)
	s_and_not1_saveexec_b32 s7, s7
	s_cbranch_execz .LBB390_466
; %bb.465:
	s_waitcnt lgkmcnt(11)
	v_mov_b32_e32 v15, v17
.LBB390_466:
	s_or_b32 exec_lo, exec_lo, s7
	s_waitcnt lgkmcnt(11)
	s_delay_alu instid0(VALU_DEP_1)
	v_mov_b32_e32 v16, v15
.LBB390_467:
	s_or_b32 exec_lo, exec_lo, s6
	s_delay_alu instid0(SALU_CYCLE_1)
	s_xor_b32 s6, exec_lo, -1
	s_or_b32 s7, s4, exec_lo
.LBB390_468:
	s_or_b32 exec_lo, exec_lo, s5
	s_waitcnt lgkmcnt(10)
	v_mov_b32_e32 v14, v16
	s_and_not1_b32 s8, s4, exec_lo
	s_and_b32 s7, s7, exec_lo
	s_xor_b32 s5, exec_lo, -1
	s_and_b32 s6, s6, exec_lo
	s_or_b32 s7, s8, s7
.LBB390_469:
	s_or_b32 exec_lo, exec_lo, s0
	s_delay_alu instid0(SALU_CYCLE_1)
	s_and_not1_b32 s4, s4, exec_lo
	s_and_b32 s7, s7, exec_lo
	s_and_b32 s5, s5, exec_lo
	;; [unrolled: 1-line block ×3, first 2 shown]
	s_or_b32 s4, s4, s7
	s_or_b32 exec_lo, exec_lo, s3
	s_and_saveexec_b32 s3, s4
	s_cbranch_execz .LBB390_417
.LBB390_470:
	s_waitcnt lgkmcnt(10)
	flat_store_b16 v[4:5], v14
	s_or_b32 exec_lo, exec_lo, s3
	s_and_saveexec_b32 s3, s0
	s_cbranch_execz .LBB390_475
.LBB390_471:
	s_mov_b32 s0, exec_lo
	v_cmpx_lt_i64_e32 6, v[0:1]
	s_xor_b32 s0, exec_lo, s0
	s_cbranch_execz .LBB390_473
; %bb.472:
	s_waitcnt lgkmcnt(14)
	flat_store_b16 v[4:5], v13
                                        ; implicit-def: $vgpr12
.LBB390_473:
	s_and_not1_saveexec_b32 s0, s0
	s_cbranch_execz .LBB390_475
; %bb.474:
	s_waitcnt lgkmcnt(15)
	flat_store_b16 v[4:5], v12
.LBB390_475:
	s_or_b32 exec_lo, exec_lo, s3
	s_delay_alu instid0(SALU_CYCLE_1)
	s_and_b32 exec_lo, exec_lo, s5
	s_cbranch_execz .LBB390_494
; %bb.476:
	s_mov_b32 s0, exec_lo
	v_cmpx_lt_i64_e32 2, v[0:1]
	s_xor_b32 s0, exec_lo, s0
	s_cbranch_execz .LBB390_486
; %bb.477:
	s_mov_b32 s3, exec_lo
	v_cmpx_lt_i64_e32 3, v[0:1]
	s_xor_b32 s3, exec_lo, s3
	;; [unrolled: 5-line block ×3, first 2 shown]
	s_cbranch_execz .LBB390_480
; %bb.479:
	s_waitcnt lgkmcnt(16)
	flat_store_b16 v[4:5], v11
                                        ; implicit-def: $vgpr4_vgpr5
                                        ; implicit-def: $vgpr6
.LBB390_480:
	s_and_not1_saveexec_b32 s4, s4
	s_cbranch_execz .LBB390_482
; %bb.481:
	s_waitcnt lgkmcnt(17)
	flat_store_b16 v[4:5], v6
.LBB390_482:
	s_or_b32 exec_lo, exec_lo, s4
                                        ; implicit-def: $vgpr4_vgpr5
                                        ; implicit-def: $vgpr10
.LBB390_483:
	s_and_not1_saveexec_b32 s3, s3
	s_cbranch_execz .LBB390_485
; %bb.484:
	flat_store_b16 v[4:5], v10
.LBB390_485:
	s_or_b32 exec_lo, exec_lo, s3
                                        ; implicit-def: $vgpr0_vgpr1
                                        ; implicit-def: $vgpr4_vgpr5
                                        ; implicit-def: $vgpr7
                                        ; implicit-def: $vgpr2
                                        ; implicit-def: $vgpr3
.LBB390_486:
	s_and_not1_saveexec_b32 s0, s0
	s_cbranch_execz .LBB390_494
; %bb.487:
	s_mov_b32 s0, exec_lo
	v_cmpx_lt_i64_e32 1, v[0:1]
	s_xor_b32 s0, exec_lo, s0
	s_cbranch_execz .LBB390_489
; %bb.488:
	flat_store_b16 v[4:5], v7
                                        ; implicit-def: $vgpr4_vgpr5
                                        ; implicit-def: $vgpr2
                                        ; implicit-def: $vgpr0_vgpr1
                                        ; implicit-def: $vgpr3
.LBB390_489:
	s_and_not1_saveexec_b32 s0, s0
	s_cbranch_execz .LBB390_494
; %bb.490:
	s_mov_b32 s0, exec_lo
	v_cmpx_ne_u64_e32 1, v[0:1]
	s_xor_b32 s0, exec_lo, s0
	s_cbranch_execz .LBB390_492
; %bb.491:
	flat_store_b16 v[4:5], v3
                                        ; implicit-def: $vgpr4_vgpr5
                                        ; implicit-def: $vgpr2
.LBB390_492:
	s_and_not1_saveexec_b32 s0, s0
	s_cbranch_execz .LBB390_494
; %bb.493:
	flat_store_b16 v[4:5], v2
.LBB390_494:
	s_or_b32 exec_lo, exec_lo, s2
.LBB390_495:
	s_delay_alu instid0(SALU_CYCLE_1)
	s_or_b32 exec_lo, exec_lo, s1
	v_readlane_b32 s30, v40, 0
	v_readlane_b32 s31, v40, 1
	s_or_saveexec_b32 s0, -1
	scratch_load_b32 v40, off, s32          ; 4-byte Folded Reload
	s_mov_b32 exec_lo, s0
	s_waitcnt vmcnt(0) lgkmcnt(0)
	s_setpc_b64 s[30:31]
.Lfunc_end390:
	.size	_ZZZN7rocprim17ROCPRIM_400000_NS6detail9scan_implILNS1_25lookback_scan_determinismE0ELb0ELb0ENS0_14default_configEPKN3c104HalfEPS6_S6_ZZZN2at6native31launch_logcumsumexp_cuda_kernelERKNSA_10TensorBaseESE_lENKUlvE_clEvENKUlvE3_clEvEUlS6_S6_E_S6_EEDaPvRmT3_T4_T5_mT6_P12ihipStream_tbENKUlT_T0_E_clISt17integral_constantIbLb1EESV_EEDaSQ_SR_ENKUlSQ_E_clINS1_13target_configIS4_NS1_20scan_config_selectorIS6_EENS1_11comp_targetILNS1_3genE9ELNS1_11target_archE1100ELNS1_3gpuE3ELNS1_3repE0EEELNS0_4arch9wavefront6targetE0EEEEEDaSQ_, .Lfunc_end390-_ZZZN7rocprim17ROCPRIM_400000_NS6detail9scan_implILNS1_25lookback_scan_determinismE0ELb0ELb0ENS0_14default_configEPKN3c104HalfEPS6_S6_ZZZN2at6native31launch_logcumsumexp_cuda_kernelERKNSA_10TensorBaseESE_lENKUlvE_clEvENKUlvE3_clEvEUlS6_S6_E_S6_EEDaPvRmT3_T4_T5_mT6_P12ihipStream_tbENKUlT_T0_E_clISt17integral_constantIbLb1EESV_EEDaSQ_SR_ENKUlSQ_E_clINS1_13target_configIS4_NS1_20scan_config_selectorIS6_EENS1_11comp_targetILNS1_3genE9ELNS1_11target_archE1100ELNS1_3gpuE3ELNS1_3repE0EEELNS0_4arch9wavefront6targetE0EEEEEDaSQ_
                                        ; -- End function
	.section	.AMDGPU.csdata,"",@progbits
; Function info:
; codeLenInByte = 113856
; NumSgprs: 35
; NumVgprs: 162
; ScratchSize: 8
; MemoryBound: 0
	.section	.text._ZN7rocprim17ROCPRIM_400000_NS6detail17trampoline_kernelINS0_14default_configENS1_20scan_config_selectorIN3c104HalfEEEZZNS1_9scan_implILNS1_25lookback_scan_determinismE0ELb0ELb0ES3_PKS6_PS6_S6_ZZZN2at6native31launch_logcumsumexp_cuda_kernelERKNSD_10TensorBaseESH_lENKUlvE_clEvENKUlvE3_clEvEUlS6_S6_E_S6_EEDaPvRmT3_T4_T5_mT6_P12ihipStream_tbENKUlT_T0_E_clISt17integral_constantIbLb1EESY_EEDaST_SU_EUlST_E_NS1_11comp_targetILNS1_3genE9ELNS1_11target_archE1100ELNS1_3gpuE3ELNS1_3repE0EEENS1_30default_config_static_selectorELNS0_4arch9wavefront6targetE0EEEvT1_,"axG",@progbits,_ZN7rocprim17ROCPRIM_400000_NS6detail17trampoline_kernelINS0_14default_configENS1_20scan_config_selectorIN3c104HalfEEEZZNS1_9scan_implILNS1_25lookback_scan_determinismE0ELb0ELb0ES3_PKS6_PS6_S6_ZZZN2at6native31launch_logcumsumexp_cuda_kernelERKNSD_10TensorBaseESH_lENKUlvE_clEvENKUlvE3_clEvEUlS6_S6_E_S6_EEDaPvRmT3_T4_T5_mT6_P12ihipStream_tbENKUlT_T0_E_clISt17integral_constantIbLb1EESY_EEDaST_SU_EUlST_E_NS1_11comp_targetILNS1_3genE9ELNS1_11target_archE1100ELNS1_3gpuE3ELNS1_3repE0EEENS1_30default_config_static_selectorELNS0_4arch9wavefront6targetE0EEEvT1_,comdat
	.globl	_ZN7rocprim17ROCPRIM_400000_NS6detail17trampoline_kernelINS0_14default_configENS1_20scan_config_selectorIN3c104HalfEEEZZNS1_9scan_implILNS1_25lookback_scan_determinismE0ELb0ELb0ES3_PKS6_PS6_S6_ZZZN2at6native31launch_logcumsumexp_cuda_kernelERKNSD_10TensorBaseESH_lENKUlvE_clEvENKUlvE3_clEvEUlS6_S6_E_S6_EEDaPvRmT3_T4_T5_mT6_P12ihipStream_tbENKUlT_T0_E_clISt17integral_constantIbLb1EESY_EEDaST_SU_EUlST_E_NS1_11comp_targetILNS1_3genE9ELNS1_11target_archE1100ELNS1_3gpuE3ELNS1_3repE0EEENS1_30default_config_static_selectorELNS0_4arch9wavefront6targetE0EEEvT1_ ; -- Begin function _ZN7rocprim17ROCPRIM_400000_NS6detail17trampoline_kernelINS0_14default_configENS1_20scan_config_selectorIN3c104HalfEEEZZNS1_9scan_implILNS1_25lookback_scan_determinismE0ELb0ELb0ES3_PKS6_PS6_S6_ZZZN2at6native31launch_logcumsumexp_cuda_kernelERKNSD_10TensorBaseESH_lENKUlvE_clEvENKUlvE3_clEvEUlS6_S6_E_S6_EEDaPvRmT3_T4_T5_mT6_P12ihipStream_tbENKUlT_T0_E_clISt17integral_constantIbLb1EESY_EEDaST_SU_EUlST_E_NS1_11comp_targetILNS1_3genE9ELNS1_11target_archE1100ELNS1_3gpuE3ELNS1_3repE0EEENS1_30default_config_static_selectorELNS0_4arch9wavefront6targetE0EEEvT1_
	.p2align	8
	.type	_ZN7rocprim17ROCPRIM_400000_NS6detail17trampoline_kernelINS0_14default_configENS1_20scan_config_selectorIN3c104HalfEEEZZNS1_9scan_implILNS1_25lookback_scan_determinismE0ELb0ELb0ES3_PKS6_PS6_S6_ZZZN2at6native31launch_logcumsumexp_cuda_kernelERKNSD_10TensorBaseESH_lENKUlvE_clEvENKUlvE3_clEvEUlS6_S6_E_S6_EEDaPvRmT3_T4_T5_mT6_P12ihipStream_tbENKUlT_T0_E_clISt17integral_constantIbLb1EESY_EEDaST_SU_EUlST_E_NS1_11comp_targetILNS1_3genE9ELNS1_11target_archE1100ELNS1_3gpuE3ELNS1_3repE0EEENS1_30default_config_static_selectorELNS0_4arch9wavefront6targetE0EEEvT1_,@function
_ZN7rocprim17ROCPRIM_400000_NS6detail17trampoline_kernelINS0_14default_configENS1_20scan_config_selectorIN3c104HalfEEEZZNS1_9scan_implILNS1_25lookback_scan_determinismE0ELb0ELb0ES3_PKS6_PS6_S6_ZZZN2at6native31launch_logcumsumexp_cuda_kernelERKNSD_10TensorBaseESH_lENKUlvE_clEvENKUlvE3_clEvEUlS6_S6_E_S6_EEDaPvRmT3_T4_T5_mT6_P12ihipStream_tbENKUlT_T0_E_clISt17integral_constantIbLb1EESY_EEDaST_SU_EUlST_E_NS1_11comp_targetILNS1_3genE9ELNS1_11target_archE1100ELNS1_3gpuE3ELNS1_3repE0EEENS1_30default_config_static_selectorELNS0_4arch9wavefront6targetE0EEEvT1_: ; @_ZN7rocprim17ROCPRIM_400000_NS6detail17trampoline_kernelINS0_14default_configENS1_20scan_config_selectorIN3c104HalfEEEZZNS1_9scan_implILNS1_25lookback_scan_determinismE0ELb0ELb0ES3_PKS6_PS6_S6_ZZZN2at6native31launch_logcumsumexp_cuda_kernelERKNSD_10TensorBaseESH_lENKUlvE_clEvENKUlvE3_clEvEUlS6_S6_E_S6_EEDaPvRmT3_T4_T5_mT6_P12ihipStream_tbENKUlT_T0_E_clISt17integral_constantIbLb1EESY_EEDaST_SU_EUlST_E_NS1_11comp_targetILNS1_3genE9ELNS1_11target_archE1100ELNS1_3gpuE3ELNS1_3repE0EEENS1_30default_config_static_selectorELNS0_4arch9wavefront6targetE0EEEvT1_
; %bb.0:
	s_clause 0x2
	s_load_b256 s[12:19], s[0:1], 0x0
	s_load_b256 s[20:27], s[0:1], 0x20
	;; [unrolled: 1-line block ×3, first 2 shown]
	v_mov_b32_e32 v31, v0
	s_mov_b64 s[2:3], src_private_base
	s_add_u32 s8, s0, 0x60
	s_addc_u32 s9, s1, 0
	s_movk_i32 s32, 0x70
	s_getpc_b64 s[0:1]
	s_add_u32 s0, s0, _ZZZN7rocprim17ROCPRIM_400000_NS6detail9scan_implILNS1_25lookback_scan_determinismE0ELb0ELb0ENS0_14default_configEPKN3c104HalfEPS6_S6_ZZZN2at6native31launch_logcumsumexp_cuda_kernelERKNSA_10TensorBaseESE_lENKUlvE_clEvENKUlvE3_clEvEUlS6_S6_E_S6_EEDaPvRmT3_T4_T5_mT6_P12ihipStream_tbENKUlT_T0_E_clISt17integral_constantIbLb1EESV_EEDaSQ_SR_ENKUlSQ_E_clINS1_13target_configIS4_NS1_20scan_config_selectorIS6_EENS1_11comp_targetILNS1_3genE9ELNS1_11target_archE1100ELNS1_3gpuE3ELNS1_3repE0EEELNS0_4arch9wavefront6targetE0EEEEEDaSQ_@rel32@lo+4
	s_addc_u32 s1, s1, _ZZZN7rocprim17ROCPRIM_400000_NS6detail9scan_implILNS1_25lookback_scan_determinismE0ELb0ELb0ENS0_14default_configEPKN3c104HalfEPS6_S6_ZZZN2at6native31launch_logcumsumexp_cuda_kernelERKNSA_10TensorBaseESE_lENKUlvE_clEvENKUlvE3_clEvEUlS6_S6_E_S6_EEDaPvRmT3_T4_T5_mT6_P12ihipStream_tbENKUlT_T0_E_clISt17integral_constantIbLb1EESV_EEDaSQ_SR_ENKUlSQ_E_clINS1_13target_configIS4_NS1_20scan_config_selectorIS6_EENS1_11comp_targetILNS1_3genE9ELNS1_11target_archE1100ELNS1_3gpuE3ELNS1_3repE0EEELNS0_4arch9wavefront6targetE0EEEEEDaSQ_@rel32@hi+12
	s_waitcnt lgkmcnt(0)
	v_dual_mov_b32 v0, s12 :: v_dual_mov_b32 v1, s13
	v_dual_mov_b32 v2, s14 :: v_dual_mov_b32 v3, s15
	;; [unrolled: 1-line block ×12, first 2 shown]
	s_clause 0x5
	scratch_store_b128 off, v[0:3], off
	scratch_store_b128 off, v[4:7], off offset:16
	scratch_store_b128 off, v[8:11], off offset:32
	;; [unrolled: 1-line block ×5, first 2 shown]
	v_dual_mov_b32 v0, 0 :: v_dual_mov_b32 v1, s3
	s_swappc_b64 s[30:31], s[0:1]
	s_endpgm
	.section	.rodata,"a",@progbits
	.p2align	6, 0x0
	.amdhsa_kernel _ZN7rocprim17ROCPRIM_400000_NS6detail17trampoline_kernelINS0_14default_configENS1_20scan_config_selectorIN3c104HalfEEEZZNS1_9scan_implILNS1_25lookback_scan_determinismE0ELb0ELb0ES3_PKS6_PS6_S6_ZZZN2at6native31launch_logcumsumexp_cuda_kernelERKNSD_10TensorBaseESH_lENKUlvE_clEvENKUlvE3_clEvEUlS6_S6_E_S6_EEDaPvRmT3_T4_T5_mT6_P12ihipStream_tbENKUlT_T0_E_clISt17integral_constantIbLb1EESY_EEDaST_SU_EUlST_E_NS1_11comp_targetILNS1_3genE9ELNS1_11target_archE1100ELNS1_3gpuE3ELNS1_3repE0EEENS1_30default_config_static_selectorELNS0_4arch9wavefront6targetE0EEEvT1_
		.amdhsa_group_segment_fixed_size 2816
		.amdhsa_private_segment_fixed_size 120
		.amdhsa_kernarg_size 352
		.amdhsa_user_sgpr_count 15
		.amdhsa_user_sgpr_dispatch_ptr 0
		.amdhsa_user_sgpr_queue_ptr 0
		.amdhsa_user_sgpr_kernarg_segment_ptr 1
		.amdhsa_user_sgpr_dispatch_id 0
		.amdhsa_user_sgpr_private_segment_size 0
		.amdhsa_wavefront_size32 1
		.amdhsa_uses_dynamic_stack 0
		.amdhsa_enable_private_segment 1
		.amdhsa_system_sgpr_workgroup_id_x 1
		.amdhsa_system_sgpr_workgroup_id_y 0
		.amdhsa_system_sgpr_workgroup_id_z 0
		.amdhsa_system_sgpr_workgroup_info 0
		.amdhsa_system_vgpr_workitem_id 0
		.amdhsa_next_free_vgpr 162
		.amdhsa_next_free_sgpr 44
		.amdhsa_reserve_vcc 1
		.amdhsa_float_round_mode_32 0
		.amdhsa_float_round_mode_16_64 0
		.amdhsa_float_denorm_mode_32 3
		.amdhsa_float_denorm_mode_16_64 3
		.amdhsa_dx10_clamp 1
		.amdhsa_ieee_mode 1
		.amdhsa_fp16_overflow 0
		.amdhsa_workgroup_processor_mode 1
		.amdhsa_memory_ordered 1
		.amdhsa_forward_progress 0
		.amdhsa_shared_vgpr_count 0
		.amdhsa_exception_fp_ieee_invalid_op 0
		.amdhsa_exception_fp_denorm_src 0
		.amdhsa_exception_fp_ieee_div_zero 0
		.amdhsa_exception_fp_ieee_overflow 0
		.amdhsa_exception_fp_ieee_underflow 0
		.amdhsa_exception_fp_ieee_inexact 0
		.amdhsa_exception_int_div_zero 0
	.end_amdhsa_kernel
	.section	.text._ZN7rocprim17ROCPRIM_400000_NS6detail17trampoline_kernelINS0_14default_configENS1_20scan_config_selectorIN3c104HalfEEEZZNS1_9scan_implILNS1_25lookback_scan_determinismE0ELb0ELb0ES3_PKS6_PS6_S6_ZZZN2at6native31launch_logcumsumexp_cuda_kernelERKNSD_10TensorBaseESH_lENKUlvE_clEvENKUlvE3_clEvEUlS6_S6_E_S6_EEDaPvRmT3_T4_T5_mT6_P12ihipStream_tbENKUlT_T0_E_clISt17integral_constantIbLb1EESY_EEDaST_SU_EUlST_E_NS1_11comp_targetILNS1_3genE9ELNS1_11target_archE1100ELNS1_3gpuE3ELNS1_3repE0EEENS1_30default_config_static_selectorELNS0_4arch9wavefront6targetE0EEEvT1_,"axG",@progbits,_ZN7rocprim17ROCPRIM_400000_NS6detail17trampoline_kernelINS0_14default_configENS1_20scan_config_selectorIN3c104HalfEEEZZNS1_9scan_implILNS1_25lookback_scan_determinismE0ELb0ELb0ES3_PKS6_PS6_S6_ZZZN2at6native31launch_logcumsumexp_cuda_kernelERKNSD_10TensorBaseESH_lENKUlvE_clEvENKUlvE3_clEvEUlS6_S6_E_S6_EEDaPvRmT3_T4_T5_mT6_P12ihipStream_tbENKUlT_T0_E_clISt17integral_constantIbLb1EESY_EEDaST_SU_EUlST_E_NS1_11comp_targetILNS1_3genE9ELNS1_11target_archE1100ELNS1_3gpuE3ELNS1_3repE0EEENS1_30default_config_static_selectorELNS0_4arch9wavefront6targetE0EEEvT1_,comdat
.Lfunc_end391:
	.size	_ZN7rocprim17ROCPRIM_400000_NS6detail17trampoline_kernelINS0_14default_configENS1_20scan_config_selectorIN3c104HalfEEEZZNS1_9scan_implILNS1_25lookback_scan_determinismE0ELb0ELb0ES3_PKS6_PS6_S6_ZZZN2at6native31launch_logcumsumexp_cuda_kernelERKNSD_10TensorBaseESH_lENKUlvE_clEvENKUlvE3_clEvEUlS6_S6_E_S6_EEDaPvRmT3_T4_T5_mT6_P12ihipStream_tbENKUlT_T0_E_clISt17integral_constantIbLb1EESY_EEDaST_SU_EUlST_E_NS1_11comp_targetILNS1_3genE9ELNS1_11target_archE1100ELNS1_3gpuE3ELNS1_3repE0EEENS1_30default_config_static_selectorELNS0_4arch9wavefront6targetE0EEEvT1_, .Lfunc_end391-_ZN7rocprim17ROCPRIM_400000_NS6detail17trampoline_kernelINS0_14default_configENS1_20scan_config_selectorIN3c104HalfEEEZZNS1_9scan_implILNS1_25lookback_scan_determinismE0ELb0ELb0ES3_PKS6_PS6_S6_ZZZN2at6native31launch_logcumsumexp_cuda_kernelERKNSD_10TensorBaseESH_lENKUlvE_clEvENKUlvE3_clEvEUlS6_S6_E_S6_EEDaPvRmT3_T4_T5_mT6_P12ihipStream_tbENKUlT_T0_E_clISt17integral_constantIbLb1EESY_EEDaST_SU_EUlST_E_NS1_11comp_targetILNS1_3genE9ELNS1_11target_archE1100ELNS1_3gpuE3ELNS1_3repE0EEENS1_30default_config_static_selectorELNS0_4arch9wavefront6targetE0EEEvT1_
                                        ; -- End function
	.section	.AMDGPU.csdata,"",@progbits
; Kernel info:
; codeLenInByte = 240
; NumSgprs: 46
; NumVgprs: 162
; ScratchSize: 120
; MemoryBound: 0
; FloatMode: 240
; IeeeMode: 1
; LDSByteSize: 2816 bytes/workgroup (compile time only)
; SGPRBlocks: 5
; VGPRBlocks: 20
; NumSGPRsForWavesPerEU: 46
; NumVGPRsForWavesPerEU: 162
; Occupancy: 9
; WaveLimiterHint : 1
; COMPUTE_PGM_RSRC2:SCRATCH_EN: 1
; COMPUTE_PGM_RSRC2:USER_SGPR: 15
; COMPUTE_PGM_RSRC2:TRAP_HANDLER: 0
; COMPUTE_PGM_RSRC2:TGID_X_EN: 1
; COMPUTE_PGM_RSRC2:TGID_Y_EN: 0
; COMPUTE_PGM_RSRC2:TGID_Z_EN: 0
; COMPUTE_PGM_RSRC2:TIDIG_COMP_CNT: 0
	.section	.text._ZN7rocprim17ROCPRIM_400000_NS6detail17trampoline_kernelINS0_14default_configENS1_20scan_config_selectorIN3c104HalfEEEZZNS1_9scan_implILNS1_25lookback_scan_determinismE0ELb0ELb0ES3_PKS6_PS6_S6_ZZZN2at6native31launch_logcumsumexp_cuda_kernelERKNSD_10TensorBaseESH_lENKUlvE_clEvENKUlvE3_clEvEUlS6_S6_E_S6_EEDaPvRmT3_T4_T5_mT6_P12ihipStream_tbENKUlT_T0_E_clISt17integral_constantIbLb1EESY_EEDaST_SU_EUlST_E_NS1_11comp_targetILNS1_3genE8ELNS1_11target_archE1030ELNS1_3gpuE2ELNS1_3repE0EEENS1_30default_config_static_selectorELNS0_4arch9wavefront6targetE0EEEvT1_,"axG",@progbits,_ZN7rocprim17ROCPRIM_400000_NS6detail17trampoline_kernelINS0_14default_configENS1_20scan_config_selectorIN3c104HalfEEEZZNS1_9scan_implILNS1_25lookback_scan_determinismE0ELb0ELb0ES3_PKS6_PS6_S6_ZZZN2at6native31launch_logcumsumexp_cuda_kernelERKNSD_10TensorBaseESH_lENKUlvE_clEvENKUlvE3_clEvEUlS6_S6_E_S6_EEDaPvRmT3_T4_T5_mT6_P12ihipStream_tbENKUlT_T0_E_clISt17integral_constantIbLb1EESY_EEDaST_SU_EUlST_E_NS1_11comp_targetILNS1_3genE8ELNS1_11target_archE1030ELNS1_3gpuE2ELNS1_3repE0EEENS1_30default_config_static_selectorELNS0_4arch9wavefront6targetE0EEEvT1_,comdat
	.globl	_ZN7rocprim17ROCPRIM_400000_NS6detail17trampoline_kernelINS0_14default_configENS1_20scan_config_selectorIN3c104HalfEEEZZNS1_9scan_implILNS1_25lookback_scan_determinismE0ELb0ELb0ES3_PKS6_PS6_S6_ZZZN2at6native31launch_logcumsumexp_cuda_kernelERKNSD_10TensorBaseESH_lENKUlvE_clEvENKUlvE3_clEvEUlS6_S6_E_S6_EEDaPvRmT3_T4_T5_mT6_P12ihipStream_tbENKUlT_T0_E_clISt17integral_constantIbLb1EESY_EEDaST_SU_EUlST_E_NS1_11comp_targetILNS1_3genE8ELNS1_11target_archE1030ELNS1_3gpuE2ELNS1_3repE0EEENS1_30default_config_static_selectorELNS0_4arch9wavefront6targetE0EEEvT1_ ; -- Begin function _ZN7rocprim17ROCPRIM_400000_NS6detail17trampoline_kernelINS0_14default_configENS1_20scan_config_selectorIN3c104HalfEEEZZNS1_9scan_implILNS1_25lookback_scan_determinismE0ELb0ELb0ES3_PKS6_PS6_S6_ZZZN2at6native31launch_logcumsumexp_cuda_kernelERKNSD_10TensorBaseESH_lENKUlvE_clEvENKUlvE3_clEvEUlS6_S6_E_S6_EEDaPvRmT3_T4_T5_mT6_P12ihipStream_tbENKUlT_T0_E_clISt17integral_constantIbLb1EESY_EEDaST_SU_EUlST_E_NS1_11comp_targetILNS1_3genE8ELNS1_11target_archE1030ELNS1_3gpuE2ELNS1_3repE0EEENS1_30default_config_static_selectorELNS0_4arch9wavefront6targetE0EEEvT1_
	.p2align	8
	.type	_ZN7rocprim17ROCPRIM_400000_NS6detail17trampoline_kernelINS0_14default_configENS1_20scan_config_selectorIN3c104HalfEEEZZNS1_9scan_implILNS1_25lookback_scan_determinismE0ELb0ELb0ES3_PKS6_PS6_S6_ZZZN2at6native31launch_logcumsumexp_cuda_kernelERKNSD_10TensorBaseESH_lENKUlvE_clEvENKUlvE3_clEvEUlS6_S6_E_S6_EEDaPvRmT3_T4_T5_mT6_P12ihipStream_tbENKUlT_T0_E_clISt17integral_constantIbLb1EESY_EEDaST_SU_EUlST_E_NS1_11comp_targetILNS1_3genE8ELNS1_11target_archE1030ELNS1_3gpuE2ELNS1_3repE0EEENS1_30default_config_static_selectorELNS0_4arch9wavefront6targetE0EEEvT1_,@function
_ZN7rocprim17ROCPRIM_400000_NS6detail17trampoline_kernelINS0_14default_configENS1_20scan_config_selectorIN3c104HalfEEEZZNS1_9scan_implILNS1_25lookback_scan_determinismE0ELb0ELb0ES3_PKS6_PS6_S6_ZZZN2at6native31launch_logcumsumexp_cuda_kernelERKNSD_10TensorBaseESH_lENKUlvE_clEvENKUlvE3_clEvEUlS6_S6_E_S6_EEDaPvRmT3_T4_T5_mT6_P12ihipStream_tbENKUlT_T0_E_clISt17integral_constantIbLb1EESY_EEDaST_SU_EUlST_E_NS1_11comp_targetILNS1_3genE8ELNS1_11target_archE1030ELNS1_3gpuE2ELNS1_3repE0EEENS1_30default_config_static_selectorELNS0_4arch9wavefront6targetE0EEEvT1_: ; @_ZN7rocprim17ROCPRIM_400000_NS6detail17trampoline_kernelINS0_14default_configENS1_20scan_config_selectorIN3c104HalfEEEZZNS1_9scan_implILNS1_25lookback_scan_determinismE0ELb0ELb0ES3_PKS6_PS6_S6_ZZZN2at6native31launch_logcumsumexp_cuda_kernelERKNSD_10TensorBaseESH_lENKUlvE_clEvENKUlvE3_clEvEUlS6_S6_E_S6_EEDaPvRmT3_T4_T5_mT6_P12ihipStream_tbENKUlT_T0_E_clISt17integral_constantIbLb1EESY_EEDaST_SU_EUlST_E_NS1_11comp_targetILNS1_3genE8ELNS1_11target_archE1030ELNS1_3gpuE2ELNS1_3repE0EEENS1_30default_config_static_selectorELNS0_4arch9wavefront6targetE0EEEvT1_
; %bb.0:
	.section	.rodata,"a",@progbits
	.p2align	6, 0x0
	.amdhsa_kernel _ZN7rocprim17ROCPRIM_400000_NS6detail17trampoline_kernelINS0_14default_configENS1_20scan_config_selectorIN3c104HalfEEEZZNS1_9scan_implILNS1_25lookback_scan_determinismE0ELb0ELb0ES3_PKS6_PS6_S6_ZZZN2at6native31launch_logcumsumexp_cuda_kernelERKNSD_10TensorBaseESH_lENKUlvE_clEvENKUlvE3_clEvEUlS6_S6_E_S6_EEDaPvRmT3_T4_T5_mT6_P12ihipStream_tbENKUlT_T0_E_clISt17integral_constantIbLb1EESY_EEDaST_SU_EUlST_E_NS1_11comp_targetILNS1_3genE8ELNS1_11target_archE1030ELNS1_3gpuE2ELNS1_3repE0EEENS1_30default_config_static_selectorELNS0_4arch9wavefront6targetE0EEEvT1_
		.amdhsa_group_segment_fixed_size 0
		.amdhsa_private_segment_fixed_size 0
		.amdhsa_kernarg_size 96
		.amdhsa_user_sgpr_count 15
		.amdhsa_user_sgpr_dispatch_ptr 0
		.amdhsa_user_sgpr_queue_ptr 0
		.amdhsa_user_sgpr_kernarg_segment_ptr 1
		.amdhsa_user_sgpr_dispatch_id 0
		.amdhsa_user_sgpr_private_segment_size 0
		.amdhsa_wavefront_size32 1
		.amdhsa_uses_dynamic_stack 0
		.amdhsa_enable_private_segment 0
		.amdhsa_system_sgpr_workgroup_id_x 1
		.amdhsa_system_sgpr_workgroup_id_y 0
		.amdhsa_system_sgpr_workgroup_id_z 0
		.amdhsa_system_sgpr_workgroup_info 0
		.amdhsa_system_vgpr_workitem_id 0
		.amdhsa_next_free_vgpr 1
		.amdhsa_next_free_sgpr 1
		.amdhsa_reserve_vcc 0
		.amdhsa_float_round_mode_32 0
		.amdhsa_float_round_mode_16_64 0
		.amdhsa_float_denorm_mode_32 3
		.amdhsa_float_denorm_mode_16_64 3
		.amdhsa_dx10_clamp 1
		.amdhsa_ieee_mode 1
		.amdhsa_fp16_overflow 0
		.amdhsa_workgroup_processor_mode 1
		.amdhsa_memory_ordered 1
		.amdhsa_forward_progress 0
		.amdhsa_shared_vgpr_count 0
		.amdhsa_exception_fp_ieee_invalid_op 0
		.amdhsa_exception_fp_denorm_src 0
		.amdhsa_exception_fp_ieee_div_zero 0
		.amdhsa_exception_fp_ieee_overflow 0
		.amdhsa_exception_fp_ieee_underflow 0
		.amdhsa_exception_fp_ieee_inexact 0
		.amdhsa_exception_int_div_zero 0
	.end_amdhsa_kernel
	.section	.text._ZN7rocprim17ROCPRIM_400000_NS6detail17trampoline_kernelINS0_14default_configENS1_20scan_config_selectorIN3c104HalfEEEZZNS1_9scan_implILNS1_25lookback_scan_determinismE0ELb0ELb0ES3_PKS6_PS6_S6_ZZZN2at6native31launch_logcumsumexp_cuda_kernelERKNSD_10TensorBaseESH_lENKUlvE_clEvENKUlvE3_clEvEUlS6_S6_E_S6_EEDaPvRmT3_T4_T5_mT6_P12ihipStream_tbENKUlT_T0_E_clISt17integral_constantIbLb1EESY_EEDaST_SU_EUlST_E_NS1_11comp_targetILNS1_3genE8ELNS1_11target_archE1030ELNS1_3gpuE2ELNS1_3repE0EEENS1_30default_config_static_selectorELNS0_4arch9wavefront6targetE0EEEvT1_,"axG",@progbits,_ZN7rocprim17ROCPRIM_400000_NS6detail17trampoline_kernelINS0_14default_configENS1_20scan_config_selectorIN3c104HalfEEEZZNS1_9scan_implILNS1_25lookback_scan_determinismE0ELb0ELb0ES3_PKS6_PS6_S6_ZZZN2at6native31launch_logcumsumexp_cuda_kernelERKNSD_10TensorBaseESH_lENKUlvE_clEvENKUlvE3_clEvEUlS6_S6_E_S6_EEDaPvRmT3_T4_T5_mT6_P12ihipStream_tbENKUlT_T0_E_clISt17integral_constantIbLb1EESY_EEDaST_SU_EUlST_E_NS1_11comp_targetILNS1_3genE8ELNS1_11target_archE1030ELNS1_3gpuE2ELNS1_3repE0EEENS1_30default_config_static_selectorELNS0_4arch9wavefront6targetE0EEEvT1_,comdat
.Lfunc_end392:
	.size	_ZN7rocprim17ROCPRIM_400000_NS6detail17trampoline_kernelINS0_14default_configENS1_20scan_config_selectorIN3c104HalfEEEZZNS1_9scan_implILNS1_25lookback_scan_determinismE0ELb0ELb0ES3_PKS6_PS6_S6_ZZZN2at6native31launch_logcumsumexp_cuda_kernelERKNSD_10TensorBaseESH_lENKUlvE_clEvENKUlvE3_clEvEUlS6_S6_E_S6_EEDaPvRmT3_T4_T5_mT6_P12ihipStream_tbENKUlT_T0_E_clISt17integral_constantIbLb1EESY_EEDaST_SU_EUlST_E_NS1_11comp_targetILNS1_3genE8ELNS1_11target_archE1030ELNS1_3gpuE2ELNS1_3repE0EEENS1_30default_config_static_selectorELNS0_4arch9wavefront6targetE0EEEvT1_, .Lfunc_end392-_ZN7rocprim17ROCPRIM_400000_NS6detail17trampoline_kernelINS0_14default_configENS1_20scan_config_selectorIN3c104HalfEEEZZNS1_9scan_implILNS1_25lookback_scan_determinismE0ELb0ELb0ES3_PKS6_PS6_S6_ZZZN2at6native31launch_logcumsumexp_cuda_kernelERKNSD_10TensorBaseESH_lENKUlvE_clEvENKUlvE3_clEvEUlS6_S6_E_S6_EEDaPvRmT3_T4_T5_mT6_P12ihipStream_tbENKUlT_T0_E_clISt17integral_constantIbLb1EESY_EEDaST_SU_EUlST_E_NS1_11comp_targetILNS1_3genE8ELNS1_11target_archE1030ELNS1_3gpuE2ELNS1_3repE0EEENS1_30default_config_static_selectorELNS0_4arch9wavefront6targetE0EEEvT1_
                                        ; -- End function
	.section	.AMDGPU.csdata,"",@progbits
; Kernel info:
; codeLenInByte = 0
; NumSgprs: 0
; NumVgprs: 0
; ScratchSize: 0
; MemoryBound: 0
; FloatMode: 240
; IeeeMode: 1
; LDSByteSize: 0 bytes/workgroup (compile time only)
; SGPRBlocks: 0
; VGPRBlocks: 0
; NumSGPRsForWavesPerEU: 1
; NumVGPRsForWavesPerEU: 1
; Occupancy: 16
; WaveLimiterHint : 0
; COMPUTE_PGM_RSRC2:SCRATCH_EN: 0
; COMPUTE_PGM_RSRC2:USER_SGPR: 15
; COMPUTE_PGM_RSRC2:TRAP_HANDLER: 0
; COMPUTE_PGM_RSRC2:TGID_X_EN: 1
; COMPUTE_PGM_RSRC2:TGID_Y_EN: 0
; COMPUTE_PGM_RSRC2:TGID_Z_EN: 0
; COMPUTE_PGM_RSRC2:TIDIG_COMP_CNT: 0
	.section	.text._ZN7rocprim17ROCPRIM_400000_NS6detail17trampoline_kernelINS0_14default_configENS1_20scan_config_selectorIN3c104HalfEEEZZNS1_9scan_implILNS1_25lookback_scan_determinismE0ELb0ELb0ES3_PKS6_PS6_S6_ZZZN2at6native31launch_logcumsumexp_cuda_kernelERKNSD_10TensorBaseESH_lENKUlvE_clEvENKUlvE3_clEvEUlS6_S6_E_S6_EEDaPvRmT3_T4_T5_mT6_P12ihipStream_tbENKUlT_T0_E_clISt17integral_constantIbLb1EESY_EEDaST_SU_EUlST_E0_NS1_11comp_targetILNS1_3genE0ELNS1_11target_archE4294967295ELNS1_3gpuE0ELNS1_3repE0EEENS1_30default_config_static_selectorELNS0_4arch9wavefront6targetE0EEEvT1_,"axG",@progbits,_ZN7rocprim17ROCPRIM_400000_NS6detail17trampoline_kernelINS0_14default_configENS1_20scan_config_selectorIN3c104HalfEEEZZNS1_9scan_implILNS1_25lookback_scan_determinismE0ELb0ELb0ES3_PKS6_PS6_S6_ZZZN2at6native31launch_logcumsumexp_cuda_kernelERKNSD_10TensorBaseESH_lENKUlvE_clEvENKUlvE3_clEvEUlS6_S6_E_S6_EEDaPvRmT3_T4_T5_mT6_P12ihipStream_tbENKUlT_T0_E_clISt17integral_constantIbLb1EESY_EEDaST_SU_EUlST_E0_NS1_11comp_targetILNS1_3genE0ELNS1_11target_archE4294967295ELNS1_3gpuE0ELNS1_3repE0EEENS1_30default_config_static_selectorELNS0_4arch9wavefront6targetE0EEEvT1_,comdat
	.globl	_ZN7rocprim17ROCPRIM_400000_NS6detail17trampoline_kernelINS0_14default_configENS1_20scan_config_selectorIN3c104HalfEEEZZNS1_9scan_implILNS1_25lookback_scan_determinismE0ELb0ELb0ES3_PKS6_PS6_S6_ZZZN2at6native31launch_logcumsumexp_cuda_kernelERKNSD_10TensorBaseESH_lENKUlvE_clEvENKUlvE3_clEvEUlS6_S6_E_S6_EEDaPvRmT3_T4_T5_mT6_P12ihipStream_tbENKUlT_T0_E_clISt17integral_constantIbLb1EESY_EEDaST_SU_EUlST_E0_NS1_11comp_targetILNS1_3genE0ELNS1_11target_archE4294967295ELNS1_3gpuE0ELNS1_3repE0EEENS1_30default_config_static_selectorELNS0_4arch9wavefront6targetE0EEEvT1_ ; -- Begin function _ZN7rocprim17ROCPRIM_400000_NS6detail17trampoline_kernelINS0_14default_configENS1_20scan_config_selectorIN3c104HalfEEEZZNS1_9scan_implILNS1_25lookback_scan_determinismE0ELb0ELb0ES3_PKS6_PS6_S6_ZZZN2at6native31launch_logcumsumexp_cuda_kernelERKNSD_10TensorBaseESH_lENKUlvE_clEvENKUlvE3_clEvEUlS6_S6_E_S6_EEDaPvRmT3_T4_T5_mT6_P12ihipStream_tbENKUlT_T0_E_clISt17integral_constantIbLb1EESY_EEDaST_SU_EUlST_E0_NS1_11comp_targetILNS1_3genE0ELNS1_11target_archE4294967295ELNS1_3gpuE0ELNS1_3repE0EEENS1_30default_config_static_selectorELNS0_4arch9wavefront6targetE0EEEvT1_
	.p2align	8
	.type	_ZN7rocprim17ROCPRIM_400000_NS6detail17trampoline_kernelINS0_14default_configENS1_20scan_config_selectorIN3c104HalfEEEZZNS1_9scan_implILNS1_25lookback_scan_determinismE0ELb0ELb0ES3_PKS6_PS6_S6_ZZZN2at6native31launch_logcumsumexp_cuda_kernelERKNSD_10TensorBaseESH_lENKUlvE_clEvENKUlvE3_clEvEUlS6_S6_E_S6_EEDaPvRmT3_T4_T5_mT6_P12ihipStream_tbENKUlT_T0_E_clISt17integral_constantIbLb1EESY_EEDaST_SU_EUlST_E0_NS1_11comp_targetILNS1_3genE0ELNS1_11target_archE4294967295ELNS1_3gpuE0ELNS1_3repE0EEENS1_30default_config_static_selectorELNS0_4arch9wavefront6targetE0EEEvT1_,@function
_ZN7rocprim17ROCPRIM_400000_NS6detail17trampoline_kernelINS0_14default_configENS1_20scan_config_selectorIN3c104HalfEEEZZNS1_9scan_implILNS1_25lookback_scan_determinismE0ELb0ELb0ES3_PKS6_PS6_S6_ZZZN2at6native31launch_logcumsumexp_cuda_kernelERKNSD_10TensorBaseESH_lENKUlvE_clEvENKUlvE3_clEvEUlS6_S6_E_S6_EEDaPvRmT3_T4_T5_mT6_P12ihipStream_tbENKUlT_T0_E_clISt17integral_constantIbLb1EESY_EEDaST_SU_EUlST_E0_NS1_11comp_targetILNS1_3genE0ELNS1_11target_archE4294967295ELNS1_3gpuE0ELNS1_3repE0EEENS1_30default_config_static_selectorELNS0_4arch9wavefront6targetE0EEEvT1_: ; @_ZN7rocprim17ROCPRIM_400000_NS6detail17trampoline_kernelINS0_14default_configENS1_20scan_config_selectorIN3c104HalfEEEZZNS1_9scan_implILNS1_25lookback_scan_determinismE0ELb0ELb0ES3_PKS6_PS6_S6_ZZZN2at6native31launch_logcumsumexp_cuda_kernelERKNSD_10TensorBaseESH_lENKUlvE_clEvENKUlvE3_clEvEUlS6_S6_E_S6_EEDaPvRmT3_T4_T5_mT6_P12ihipStream_tbENKUlT_T0_E_clISt17integral_constantIbLb1EESY_EEDaST_SU_EUlST_E0_NS1_11comp_targetILNS1_3genE0ELNS1_11target_archE4294967295ELNS1_3gpuE0ELNS1_3repE0EEENS1_30default_config_static_selectorELNS0_4arch9wavefront6targetE0EEEvT1_
; %bb.0:
	.section	.rodata,"a",@progbits
	.p2align	6, 0x0
	.amdhsa_kernel _ZN7rocprim17ROCPRIM_400000_NS6detail17trampoline_kernelINS0_14default_configENS1_20scan_config_selectorIN3c104HalfEEEZZNS1_9scan_implILNS1_25lookback_scan_determinismE0ELb0ELb0ES3_PKS6_PS6_S6_ZZZN2at6native31launch_logcumsumexp_cuda_kernelERKNSD_10TensorBaseESH_lENKUlvE_clEvENKUlvE3_clEvEUlS6_S6_E_S6_EEDaPvRmT3_T4_T5_mT6_P12ihipStream_tbENKUlT_T0_E_clISt17integral_constantIbLb1EESY_EEDaST_SU_EUlST_E0_NS1_11comp_targetILNS1_3genE0ELNS1_11target_archE4294967295ELNS1_3gpuE0ELNS1_3repE0EEENS1_30default_config_static_selectorELNS0_4arch9wavefront6targetE0EEEvT1_
		.amdhsa_group_segment_fixed_size 0
		.amdhsa_private_segment_fixed_size 0
		.amdhsa_kernarg_size 32
		.amdhsa_user_sgpr_count 15
		.amdhsa_user_sgpr_dispatch_ptr 0
		.amdhsa_user_sgpr_queue_ptr 0
		.amdhsa_user_sgpr_kernarg_segment_ptr 1
		.amdhsa_user_sgpr_dispatch_id 0
		.amdhsa_user_sgpr_private_segment_size 0
		.amdhsa_wavefront_size32 1
		.amdhsa_uses_dynamic_stack 0
		.amdhsa_enable_private_segment 0
		.amdhsa_system_sgpr_workgroup_id_x 1
		.amdhsa_system_sgpr_workgroup_id_y 0
		.amdhsa_system_sgpr_workgroup_id_z 0
		.amdhsa_system_sgpr_workgroup_info 0
		.amdhsa_system_vgpr_workitem_id 0
		.amdhsa_next_free_vgpr 1
		.amdhsa_next_free_sgpr 1
		.amdhsa_reserve_vcc 0
		.amdhsa_float_round_mode_32 0
		.amdhsa_float_round_mode_16_64 0
		.amdhsa_float_denorm_mode_32 3
		.amdhsa_float_denorm_mode_16_64 3
		.amdhsa_dx10_clamp 1
		.amdhsa_ieee_mode 1
		.amdhsa_fp16_overflow 0
		.amdhsa_workgroup_processor_mode 1
		.amdhsa_memory_ordered 1
		.amdhsa_forward_progress 0
		.amdhsa_shared_vgpr_count 0
		.amdhsa_exception_fp_ieee_invalid_op 0
		.amdhsa_exception_fp_denorm_src 0
		.amdhsa_exception_fp_ieee_div_zero 0
		.amdhsa_exception_fp_ieee_overflow 0
		.amdhsa_exception_fp_ieee_underflow 0
		.amdhsa_exception_fp_ieee_inexact 0
		.amdhsa_exception_int_div_zero 0
	.end_amdhsa_kernel
	.section	.text._ZN7rocprim17ROCPRIM_400000_NS6detail17trampoline_kernelINS0_14default_configENS1_20scan_config_selectorIN3c104HalfEEEZZNS1_9scan_implILNS1_25lookback_scan_determinismE0ELb0ELb0ES3_PKS6_PS6_S6_ZZZN2at6native31launch_logcumsumexp_cuda_kernelERKNSD_10TensorBaseESH_lENKUlvE_clEvENKUlvE3_clEvEUlS6_S6_E_S6_EEDaPvRmT3_T4_T5_mT6_P12ihipStream_tbENKUlT_T0_E_clISt17integral_constantIbLb1EESY_EEDaST_SU_EUlST_E0_NS1_11comp_targetILNS1_3genE0ELNS1_11target_archE4294967295ELNS1_3gpuE0ELNS1_3repE0EEENS1_30default_config_static_selectorELNS0_4arch9wavefront6targetE0EEEvT1_,"axG",@progbits,_ZN7rocprim17ROCPRIM_400000_NS6detail17trampoline_kernelINS0_14default_configENS1_20scan_config_selectorIN3c104HalfEEEZZNS1_9scan_implILNS1_25lookback_scan_determinismE0ELb0ELb0ES3_PKS6_PS6_S6_ZZZN2at6native31launch_logcumsumexp_cuda_kernelERKNSD_10TensorBaseESH_lENKUlvE_clEvENKUlvE3_clEvEUlS6_S6_E_S6_EEDaPvRmT3_T4_T5_mT6_P12ihipStream_tbENKUlT_T0_E_clISt17integral_constantIbLb1EESY_EEDaST_SU_EUlST_E0_NS1_11comp_targetILNS1_3genE0ELNS1_11target_archE4294967295ELNS1_3gpuE0ELNS1_3repE0EEENS1_30default_config_static_selectorELNS0_4arch9wavefront6targetE0EEEvT1_,comdat
.Lfunc_end393:
	.size	_ZN7rocprim17ROCPRIM_400000_NS6detail17trampoline_kernelINS0_14default_configENS1_20scan_config_selectorIN3c104HalfEEEZZNS1_9scan_implILNS1_25lookback_scan_determinismE0ELb0ELb0ES3_PKS6_PS6_S6_ZZZN2at6native31launch_logcumsumexp_cuda_kernelERKNSD_10TensorBaseESH_lENKUlvE_clEvENKUlvE3_clEvEUlS6_S6_E_S6_EEDaPvRmT3_T4_T5_mT6_P12ihipStream_tbENKUlT_T0_E_clISt17integral_constantIbLb1EESY_EEDaST_SU_EUlST_E0_NS1_11comp_targetILNS1_3genE0ELNS1_11target_archE4294967295ELNS1_3gpuE0ELNS1_3repE0EEENS1_30default_config_static_selectorELNS0_4arch9wavefront6targetE0EEEvT1_, .Lfunc_end393-_ZN7rocprim17ROCPRIM_400000_NS6detail17trampoline_kernelINS0_14default_configENS1_20scan_config_selectorIN3c104HalfEEEZZNS1_9scan_implILNS1_25lookback_scan_determinismE0ELb0ELb0ES3_PKS6_PS6_S6_ZZZN2at6native31launch_logcumsumexp_cuda_kernelERKNSD_10TensorBaseESH_lENKUlvE_clEvENKUlvE3_clEvEUlS6_S6_E_S6_EEDaPvRmT3_T4_T5_mT6_P12ihipStream_tbENKUlT_T0_E_clISt17integral_constantIbLb1EESY_EEDaST_SU_EUlST_E0_NS1_11comp_targetILNS1_3genE0ELNS1_11target_archE4294967295ELNS1_3gpuE0ELNS1_3repE0EEENS1_30default_config_static_selectorELNS0_4arch9wavefront6targetE0EEEvT1_
                                        ; -- End function
	.section	.AMDGPU.csdata,"",@progbits
; Kernel info:
; codeLenInByte = 0
; NumSgprs: 0
; NumVgprs: 0
; ScratchSize: 0
; MemoryBound: 0
; FloatMode: 240
; IeeeMode: 1
; LDSByteSize: 0 bytes/workgroup (compile time only)
; SGPRBlocks: 0
; VGPRBlocks: 0
; NumSGPRsForWavesPerEU: 1
; NumVGPRsForWavesPerEU: 1
; Occupancy: 16
; WaveLimiterHint : 0
; COMPUTE_PGM_RSRC2:SCRATCH_EN: 0
; COMPUTE_PGM_RSRC2:USER_SGPR: 15
; COMPUTE_PGM_RSRC2:TRAP_HANDLER: 0
; COMPUTE_PGM_RSRC2:TGID_X_EN: 1
; COMPUTE_PGM_RSRC2:TGID_Y_EN: 0
; COMPUTE_PGM_RSRC2:TGID_Z_EN: 0
; COMPUTE_PGM_RSRC2:TIDIG_COMP_CNT: 0
	.section	.text._ZN7rocprim17ROCPRIM_400000_NS6detail17trampoline_kernelINS0_14default_configENS1_20scan_config_selectorIN3c104HalfEEEZZNS1_9scan_implILNS1_25lookback_scan_determinismE0ELb0ELb0ES3_PKS6_PS6_S6_ZZZN2at6native31launch_logcumsumexp_cuda_kernelERKNSD_10TensorBaseESH_lENKUlvE_clEvENKUlvE3_clEvEUlS6_S6_E_S6_EEDaPvRmT3_T4_T5_mT6_P12ihipStream_tbENKUlT_T0_E_clISt17integral_constantIbLb1EESY_EEDaST_SU_EUlST_E0_NS1_11comp_targetILNS1_3genE5ELNS1_11target_archE942ELNS1_3gpuE9ELNS1_3repE0EEENS1_30default_config_static_selectorELNS0_4arch9wavefront6targetE0EEEvT1_,"axG",@progbits,_ZN7rocprim17ROCPRIM_400000_NS6detail17trampoline_kernelINS0_14default_configENS1_20scan_config_selectorIN3c104HalfEEEZZNS1_9scan_implILNS1_25lookback_scan_determinismE0ELb0ELb0ES3_PKS6_PS6_S6_ZZZN2at6native31launch_logcumsumexp_cuda_kernelERKNSD_10TensorBaseESH_lENKUlvE_clEvENKUlvE3_clEvEUlS6_S6_E_S6_EEDaPvRmT3_T4_T5_mT6_P12ihipStream_tbENKUlT_T0_E_clISt17integral_constantIbLb1EESY_EEDaST_SU_EUlST_E0_NS1_11comp_targetILNS1_3genE5ELNS1_11target_archE942ELNS1_3gpuE9ELNS1_3repE0EEENS1_30default_config_static_selectorELNS0_4arch9wavefront6targetE0EEEvT1_,comdat
	.globl	_ZN7rocprim17ROCPRIM_400000_NS6detail17trampoline_kernelINS0_14default_configENS1_20scan_config_selectorIN3c104HalfEEEZZNS1_9scan_implILNS1_25lookback_scan_determinismE0ELb0ELb0ES3_PKS6_PS6_S6_ZZZN2at6native31launch_logcumsumexp_cuda_kernelERKNSD_10TensorBaseESH_lENKUlvE_clEvENKUlvE3_clEvEUlS6_S6_E_S6_EEDaPvRmT3_T4_T5_mT6_P12ihipStream_tbENKUlT_T0_E_clISt17integral_constantIbLb1EESY_EEDaST_SU_EUlST_E0_NS1_11comp_targetILNS1_3genE5ELNS1_11target_archE942ELNS1_3gpuE9ELNS1_3repE0EEENS1_30default_config_static_selectorELNS0_4arch9wavefront6targetE0EEEvT1_ ; -- Begin function _ZN7rocprim17ROCPRIM_400000_NS6detail17trampoline_kernelINS0_14default_configENS1_20scan_config_selectorIN3c104HalfEEEZZNS1_9scan_implILNS1_25lookback_scan_determinismE0ELb0ELb0ES3_PKS6_PS6_S6_ZZZN2at6native31launch_logcumsumexp_cuda_kernelERKNSD_10TensorBaseESH_lENKUlvE_clEvENKUlvE3_clEvEUlS6_S6_E_S6_EEDaPvRmT3_T4_T5_mT6_P12ihipStream_tbENKUlT_T0_E_clISt17integral_constantIbLb1EESY_EEDaST_SU_EUlST_E0_NS1_11comp_targetILNS1_3genE5ELNS1_11target_archE942ELNS1_3gpuE9ELNS1_3repE0EEENS1_30default_config_static_selectorELNS0_4arch9wavefront6targetE0EEEvT1_
	.p2align	8
	.type	_ZN7rocprim17ROCPRIM_400000_NS6detail17trampoline_kernelINS0_14default_configENS1_20scan_config_selectorIN3c104HalfEEEZZNS1_9scan_implILNS1_25lookback_scan_determinismE0ELb0ELb0ES3_PKS6_PS6_S6_ZZZN2at6native31launch_logcumsumexp_cuda_kernelERKNSD_10TensorBaseESH_lENKUlvE_clEvENKUlvE3_clEvEUlS6_S6_E_S6_EEDaPvRmT3_T4_T5_mT6_P12ihipStream_tbENKUlT_T0_E_clISt17integral_constantIbLb1EESY_EEDaST_SU_EUlST_E0_NS1_11comp_targetILNS1_3genE5ELNS1_11target_archE942ELNS1_3gpuE9ELNS1_3repE0EEENS1_30default_config_static_selectorELNS0_4arch9wavefront6targetE0EEEvT1_,@function
_ZN7rocprim17ROCPRIM_400000_NS6detail17trampoline_kernelINS0_14default_configENS1_20scan_config_selectorIN3c104HalfEEEZZNS1_9scan_implILNS1_25lookback_scan_determinismE0ELb0ELb0ES3_PKS6_PS6_S6_ZZZN2at6native31launch_logcumsumexp_cuda_kernelERKNSD_10TensorBaseESH_lENKUlvE_clEvENKUlvE3_clEvEUlS6_S6_E_S6_EEDaPvRmT3_T4_T5_mT6_P12ihipStream_tbENKUlT_T0_E_clISt17integral_constantIbLb1EESY_EEDaST_SU_EUlST_E0_NS1_11comp_targetILNS1_3genE5ELNS1_11target_archE942ELNS1_3gpuE9ELNS1_3repE0EEENS1_30default_config_static_selectorELNS0_4arch9wavefront6targetE0EEEvT1_: ; @_ZN7rocprim17ROCPRIM_400000_NS6detail17trampoline_kernelINS0_14default_configENS1_20scan_config_selectorIN3c104HalfEEEZZNS1_9scan_implILNS1_25lookback_scan_determinismE0ELb0ELb0ES3_PKS6_PS6_S6_ZZZN2at6native31launch_logcumsumexp_cuda_kernelERKNSD_10TensorBaseESH_lENKUlvE_clEvENKUlvE3_clEvEUlS6_S6_E_S6_EEDaPvRmT3_T4_T5_mT6_P12ihipStream_tbENKUlT_T0_E_clISt17integral_constantIbLb1EESY_EEDaST_SU_EUlST_E0_NS1_11comp_targetILNS1_3genE5ELNS1_11target_archE942ELNS1_3gpuE9ELNS1_3repE0EEENS1_30default_config_static_selectorELNS0_4arch9wavefront6targetE0EEEvT1_
; %bb.0:
	.section	.rodata,"a",@progbits
	.p2align	6, 0x0
	.amdhsa_kernel _ZN7rocprim17ROCPRIM_400000_NS6detail17trampoline_kernelINS0_14default_configENS1_20scan_config_selectorIN3c104HalfEEEZZNS1_9scan_implILNS1_25lookback_scan_determinismE0ELb0ELb0ES3_PKS6_PS6_S6_ZZZN2at6native31launch_logcumsumexp_cuda_kernelERKNSD_10TensorBaseESH_lENKUlvE_clEvENKUlvE3_clEvEUlS6_S6_E_S6_EEDaPvRmT3_T4_T5_mT6_P12ihipStream_tbENKUlT_T0_E_clISt17integral_constantIbLb1EESY_EEDaST_SU_EUlST_E0_NS1_11comp_targetILNS1_3genE5ELNS1_11target_archE942ELNS1_3gpuE9ELNS1_3repE0EEENS1_30default_config_static_selectorELNS0_4arch9wavefront6targetE0EEEvT1_
		.amdhsa_group_segment_fixed_size 0
		.amdhsa_private_segment_fixed_size 0
		.amdhsa_kernarg_size 32
		.amdhsa_user_sgpr_count 15
		.amdhsa_user_sgpr_dispatch_ptr 0
		.amdhsa_user_sgpr_queue_ptr 0
		.amdhsa_user_sgpr_kernarg_segment_ptr 1
		.amdhsa_user_sgpr_dispatch_id 0
		.amdhsa_user_sgpr_private_segment_size 0
		.amdhsa_wavefront_size32 1
		.amdhsa_uses_dynamic_stack 0
		.amdhsa_enable_private_segment 0
		.amdhsa_system_sgpr_workgroup_id_x 1
		.amdhsa_system_sgpr_workgroup_id_y 0
		.amdhsa_system_sgpr_workgroup_id_z 0
		.amdhsa_system_sgpr_workgroup_info 0
		.amdhsa_system_vgpr_workitem_id 0
		.amdhsa_next_free_vgpr 1
		.amdhsa_next_free_sgpr 1
		.amdhsa_reserve_vcc 0
		.amdhsa_float_round_mode_32 0
		.amdhsa_float_round_mode_16_64 0
		.amdhsa_float_denorm_mode_32 3
		.amdhsa_float_denorm_mode_16_64 3
		.amdhsa_dx10_clamp 1
		.amdhsa_ieee_mode 1
		.amdhsa_fp16_overflow 0
		.amdhsa_workgroup_processor_mode 1
		.amdhsa_memory_ordered 1
		.amdhsa_forward_progress 0
		.amdhsa_shared_vgpr_count 0
		.amdhsa_exception_fp_ieee_invalid_op 0
		.amdhsa_exception_fp_denorm_src 0
		.amdhsa_exception_fp_ieee_div_zero 0
		.amdhsa_exception_fp_ieee_overflow 0
		.amdhsa_exception_fp_ieee_underflow 0
		.amdhsa_exception_fp_ieee_inexact 0
		.amdhsa_exception_int_div_zero 0
	.end_amdhsa_kernel
	.section	.text._ZN7rocprim17ROCPRIM_400000_NS6detail17trampoline_kernelINS0_14default_configENS1_20scan_config_selectorIN3c104HalfEEEZZNS1_9scan_implILNS1_25lookback_scan_determinismE0ELb0ELb0ES3_PKS6_PS6_S6_ZZZN2at6native31launch_logcumsumexp_cuda_kernelERKNSD_10TensorBaseESH_lENKUlvE_clEvENKUlvE3_clEvEUlS6_S6_E_S6_EEDaPvRmT3_T4_T5_mT6_P12ihipStream_tbENKUlT_T0_E_clISt17integral_constantIbLb1EESY_EEDaST_SU_EUlST_E0_NS1_11comp_targetILNS1_3genE5ELNS1_11target_archE942ELNS1_3gpuE9ELNS1_3repE0EEENS1_30default_config_static_selectorELNS0_4arch9wavefront6targetE0EEEvT1_,"axG",@progbits,_ZN7rocprim17ROCPRIM_400000_NS6detail17trampoline_kernelINS0_14default_configENS1_20scan_config_selectorIN3c104HalfEEEZZNS1_9scan_implILNS1_25lookback_scan_determinismE0ELb0ELb0ES3_PKS6_PS6_S6_ZZZN2at6native31launch_logcumsumexp_cuda_kernelERKNSD_10TensorBaseESH_lENKUlvE_clEvENKUlvE3_clEvEUlS6_S6_E_S6_EEDaPvRmT3_T4_T5_mT6_P12ihipStream_tbENKUlT_T0_E_clISt17integral_constantIbLb1EESY_EEDaST_SU_EUlST_E0_NS1_11comp_targetILNS1_3genE5ELNS1_11target_archE942ELNS1_3gpuE9ELNS1_3repE0EEENS1_30default_config_static_selectorELNS0_4arch9wavefront6targetE0EEEvT1_,comdat
.Lfunc_end394:
	.size	_ZN7rocprim17ROCPRIM_400000_NS6detail17trampoline_kernelINS0_14default_configENS1_20scan_config_selectorIN3c104HalfEEEZZNS1_9scan_implILNS1_25lookback_scan_determinismE0ELb0ELb0ES3_PKS6_PS6_S6_ZZZN2at6native31launch_logcumsumexp_cuda_kernelERKNSD_10TensorBaseESH_lENKUlvE_clEvENKUlvE3_clEvEUlS6_S6_E_S6_EEDaPvRmT3_T4_T5_mT6_P12ihipStream_tbENKUlT_T0_E_clISt17integral_constantIbLb1EESY_EEDaST_SU_EUlST_E0_NS1_11comp_targetILNS1_3genE5ELNS1_11target_archE942ELNS1_3gpuE9ELNS1_3repE0EEENS1_30default_config_static_selectorELNS0_4arch9wavefront6targetE0EEEvT1_, .Lfunc_end394-_ZN7rocprim17ROCPRIM_400000_NS6detail17trampoline_kernelINS0_14default_configENS1_20scan_config_selectorIN3c104HalfEEEZZNS1_9scan_implILNS1_25lookback_scan_determinismE0ELb0ELb0ES3_PKS6_PS6_S6_ZZZN2at6native31launch_logcumsumexp_cuda_kernelERKNSD_10TensorBaseESH_lENKUlvE_clEvENKUlvE3_clEvEUlS6_S6_E_S6_EEDaPvRmT3_T4_T5_mT6_P12ihipStream_tbENKUlT_T0_E_clISt17integral_constantIbLb1EESY_EEDaST_SU_EUlST_E0_NS1_11comp_targetILNS1_3genE5ELNS1_11target_archE942ELNS1_3gpuE9ELNS1_3repE0EEENS1_30default_config_static_selectorELNS0_4arch9wavefront6targetE0EEEvT1_
                                        ; -- End function
	.section	.AMDGPU.csdata,"",@progbits
; Kernel info:
; codeLenInByte = 0
; NumSgprs: 0
; NumVgprs: 0
; ScratchSize: 0
; MemoryBound: 0
; FloatMode: 240
; IeeeMode: 1
; LDSByteSize: 0 bytes/workgroup (compile time only)
; SGPRBlocks: 0
; VGPRBlocks: 0
; NumSGPRsForWavesPerEU: 1
; NumVGPRsForWavesPerEU: 1
; Occupancy: 16
; WaveLimiterHint : 0
; COMPUTE_PGM_RSRC2:SCRATCH_EN: 0
; COMPUTE_PGM_RSRC2:USER_SGPR: 15
; COMPUTE_PGM_RSRC2:TRAP_HANDLER: 0
; COMPUTE_PGM_RSRC2:TGID_X_EN: 1
; COMPUTE_PGM_RSRC2:TGID_Y_EN: 0
; COMPUTE_PGM_RSRC2:TGID_Z_EN: 0
; COMPUTE_PGM_RSRC2:TIDIG_COMP_CNT: 0
	.section	.text._ZN7rocprim17ROCPRIM_400000_NS6detail17trampoline_kernelINS0_14default_configENS1_20scan_config_selectorIN3c104HalfEEEZZNS1_9scan_implILNS1_25lookback_scan_determinismE0ELb0ELb0ES3_PKS6_PS6_S6_ZZZN2at6native31launch_logcumsumexp_cuda_kernelERKNSD_10TensorBaseESH_lENKUlvE_clEvENKUlvE3_clEvEUlS6_S6_E_S6_EEDaPvRmT3_T4_T5_mT6_P12ihipStream_tbENKUlT_T0_E_clISt17integral_constantIbLb1EESY_EEDaST_SU_EUlST_E0_NS1_11comp_targetILNS1_3genE4ELNS1_11target_archE910ELNS1_3gpuE8ELNS1_3repE0EEENS1_30default_config_static_selectorELNS0_4arch9wavefront6targetE0EEEvT1_,"axG",@progbits,_ZN7rocprim17ROCPRIM_400000_NS6detail17trampoline_kernelINS0_14default_configENS1_20scan_config_selectorIN3c104HalfEEEZZNS1_9scan_implILNS1_25lookback_scan_determinismE0ELb0ELb0ES3_PKS6_PS6_S6_ZZZN2at6native31launch_logcumsumexp_cuda_kernelERKNSD_10TensorBaseESH_lENKUlvE_clEvENKUlvE3_clEvEUlS6_S6_E_S6_EEDaPvRmT3_T4_T5_mT6_P12ihipStream_tbENKUlT_T0_E_clISt17integral_constantIbLb1EESY_EEDaST_SU_EUlST_E0_NS1_11comp_targetILNS1_3genE4ELNS1_11target_archE910ELNS1_3gpuE8ELNS1_3repE0EEENS1_30default_config_static_selectorELNS0_4arch9wavefront6targetE0EEEvT1_,comdat
	.globl	_ZN7rocprim17ROCPRIM_400000_NS6detail17trampoline_kernelINS0_14default_configENS1_20scan_config_selectorIN3c104HalfEEEZZNS1_9scan_implILNS1_25lookback_scan_determinismE0ELb0ELb0ES3_PKS6_PS6_S6_ZZZN2at6native31launch_logcumsumexp_cuda_kernelERKNSD_10TensorBaseESH_lENKUlvE_clEvENKUlvE3_clEvEUlS6_S6_E_S6_EEDaPvRmT3_T4_T5_mT6_P12ihipStream_tbENKUlT_T0_E_clISt17integral_constantIbLb1EESY_EEDaST_SU_EUlST_E0_NS1_11comp_targetILNS1_3genE4ELNS1_11target_archE910ELNS1_3gpuE8ELNS1_3repE0EEENS1_30default_config_static_selectorELNS0_4arch9wavefront6targetE0EEEvT1_ ; -- Begin function _ZN7rocprim17ROCPRIM_400000_NS6detail17trampoline_kernelINS0_14default_configENS1_20scan_config_selectorIN3c104HalfEEEZZNS1_9scan_implILNS1_25lookback_scan_determinismE0ELb0ELb0ES3_PKS6_PS6_S6_ZZZN2at6native31launch_logcumsumexp_cuda_kernelERKNSD_10TensorBaseESH_lENKUlvE_clEvENKUlvE3_clEvEUlS6_S6_E_S6_EEDaPvRmT3_T4_T5_mT6_P12ihipStream_tbENKUlT_T0_E_clISt17integral_constantIbLb1EESY_EEDaST_SU_EUlST_E0_NS1_11comp_targetILNS1_3genE4ELNS1_11target_archE910ELNS1_3gpuE8ELNS1_3repE0EEENS1_30default_config_static_selectorELNS0_4arch9wavefront6targetE0EEEvT1_
	.p2align	8
	.type	_ZN7rocprim17ROCPRIM_400000_NS6detail17trampoline_kernelINS0_14default_configENS1_20scan_config_selectorIN3c104HalfEEEZZNS1_9scan_implILNS1_25lookback_scan_determinismE0ELb0ELb0ES3_PKS6_PS6_S6_ZZZN2at6native31launch_logcumsumexp_cuda_kernelERKNSD_10TensorBaseESH_lENKUlvE_clEvENKUlvE3_clEvEUlS6_S6_E_S6_EEDaPvRmT3_T4_T5_mT6_P12ihipStream_tbENKUlT_T0_E_clISt17integral_constantIbLb1EESY_EEDaST_SU_EUlST_E0_NS1_11comp_targetILNS1_3genE4ELNS1_11target_archE910ELNS1_3gpuE8ELNS1_3repE0EEENS1_30default_config_static_selectorELNS0_4arch9wavefront6targetE0EEEvT1_,@function
_ZN7rocprim17ROCPRIM_400000_NS6detail17trampoline_kernelINS0_14default_configENS1_20scan_config_selectorIN3c104HalfEEEZZNS1_9scan_implILNS1_25lookback_scan_determinismE0ELb0ELb0ES3_PKS6_PS6_S6_ZZZN2at6native31launch_logcumsumexp_cuda_kernelERKNSD_10TensorBaseESH_lENKUlvE_clEvENKUlvE3_clEvEUlS6_S6_E_S6_EEDaPvRmT3_T4_T5_mT6_P12ihipStream_tbENKUlT_T0_E_clISt17integral_constantIbLb1EESY_EEDaST_SU_EUlST_E0_NS1_11comp_targetILNS1_3genE4ELNS1_11target_archE910ELNS1_3gpuE8ELNS1_3repE0EEENS1_30default_config_static_selectorELNS0_4arch9wavefront6targetE0EEEvT1_: ; @_ZN7rocprim17ROCPRIM_400000_NS6detail17trampoline_kernelINS0_14default_configENS1_20scan_config_selectorIN3c104HalfEEEZZNS1_9scan_implILNS1_25lookback_scan_determinismE0ELb0ELb0ES3_PKS6_PS6_S6_ZZZN2at6native31launch_logcumsumexp_cuda_kernelERKNSD_10TensorBaseESH_lENKUlvE_clEvENKUlvE3_clEvEUlS6_S6_E_S6_EEDaPvRmT3_T4_T5_mT6_P12ihipStream_tbENKUlT_T0_E_clISt17integral_constantIbLb1EESY_EEDaST_SU_EUlST_E0_NS1_11comp_targetILNS1_3genE4ELNS1_11target_archE910ELNS1_3gpuE8ELNS1_3repE0EEENS1_30default_config_static_selectorELNS0_4arch9wavefront6targetE0EEEvT1_
; %bb.0:
	.section	.rodata,"a",@progbits
	.p2align	6, 0x0
	.amdhsa_kernel _ZN7rocprim17ROCPRIM_400000_NS6detail17trampoline_kernelINS0_14default_configENS1_20scan_config_selectorIN3c104HalfEEEZZNS1_9scan_implILNS1_25lookback_scan_determinismE0ELb0ELb0ES3_PKS6_PS6_S6_ZZZN2at6native31launch_logcumsumexp_cuda_kernelERKNSD_10TensorBaseESH_lENKUlvE_clEvENKUlvE3_clEvEUlS6_S6_E_S6_EEDaPvRmT3_T4_T5_mT6_P12ihipStream_tbENKUlT_T0_E_clISt17integral_constantIbLb1EESY_EEDaST_SU_EUlST_E0_NS1_11comp_targetILNS1_3genE4ELNS1_11target_archE910ELNS1_3gpuE8ELNS1_3repE0EEENS1_30default_config_static_selectorELNS0_4arch9wavefront6targetE0EEEvT1_
		.amdhsa_group_segment_fixed_size 0
		.amdhsa_private_segment_fixed_size 0
		.amdhsa_kernarg_size 32
		.amdhsa_user_sgpr_count 15
		.amdhsa_user_sgpr_dispatch_ptr 0
		.amdhsa_user_sgpr_queue_ptr 0
		.amdhsa_user_sgpr_kernarg_segment_ptr 1
		.amdhsa_user_sgpr_dispatch_id 0
		.amdhsa_user_sgpr_private_segment_size 0
		.amdhsa_wavefront_size32 1
		.amdhsa_uses_dynamic_stack 0
		.amdhsa_enable_private_segment 0
		.amdhsa_system_sgpr_workgroup_id_x 1
		.amdhsa_system_sgpr_workgroup_id_y 0
		.amdhsa_system_sgpr_workgroup_id_z 0
		.amdhsa_system_sgpr_workgroup_info 0
		.amdhsa_system_vgpr_workitem_id 0
		.amdhsa_next_free_vgpr 1
		.amdhsa_next_free_sgpr 1
		.amdhsa_reserve_vcc 0
		.amdhsa_float_round_mode_32 0
		.amdhsa_float_round_mode_16_64 0
		.amdhsa_float_denorm_mode_32 3
		.amdhsa_float_denorm_mode_16_64 3
		.amdhsa_dx10_clamp 1
		.amdhsa_ieee_mode 1
		.amdhsa_fp16_overflow 0
		.amdhsa_workgroup_processor_mode 1
		.amdhsa_memory_ordered 1
		.amdhsa_forward_progress 0
		.amdhsa_shared_vgpr_count 0
		.amdhsa_exception_fp_ieee_invalid_op 0
		.amdhsa_exception_fp_denorm_src 0
		.amdhsa_exception_fp_ieee_div_zero 0
		.amdhsa_exception_fp_ieee_overflow 0
		.amdhsa_exception_fp_ieee_underflow 0
		.amdhsa_exception_fp_ieee_inexact 0
		.amdhsa_exception_int_div_zero 0
	.end_amdhsa_kernel
	.section	.text._ZN7rocprim17ROCPRIM_400000_NS6detail17trampoline_kernelINS0_14default_configENS1_20scan_config_selectorIN3c104HalfEEEZZNS1_9scan_implILNS1_25lookback_scan_determinismE0ELb0ELb0ES3_PKS6_PS6_S6_ZZZN2at6native31launch_logcumsumexp_cuda_kernelERKNSD_10TensorBaseESH_lENKUlvE_clEvENKUlvE3_clEvEUlS6_S6_E_S6_EEDaPvRmT3_T4_T5_mT6_P12ihipStream_tbENKUlT_T0_E_clISt17integral_constantIbLb1EESY_EEDaST_SU_EUlST_E0_NS1_11comp_targetILNS1_3genE4ELNS1_11target_archE910ELNS1_3gpuE8ELNS1_3repE0EEENS1_30default_config_static_selectorELNS0_4arch9wavefront6targetE0EEEvT1_,"axG",@progbits,_ZN7rocprim17ROCPRIM_400000_NS6detail17trampoline_kernelINS0_14default_configENS1_20scan_config_selectorIN3c104HalfEEEZZNS1_9scan_implILNS1_25lookback_scan_determinismE0ELb0ELb0ES3_PKS6_PS6_S6_ZZZN2at6native31launch_logcumsumexp_cuda_kernelERKNSD_10TensorBaseESH_lENKUlvE_clEvENKUlvE3_clEvEUlS6_S6_E_S6_EEDaPvRmT3_T4_T5_mT6_P12ihipStream_tbENKUlT_T0_E_clISt17integral_constantIbLb1EESY_EEDaST_SU_EUlST_E0_NS1_11comp_targetILNS1_3genE4ELNS1_11target_archE910ELNS1_3gpuE8ELNS1_3repE0EEENS1_30default_config_static_selectorELNS0_4arch9wavefront6targetE0EEEvT1_,comdat
.Lfunc_end395:
	.size	_ZN7rocprim17ROCPRIM_400000_NS6detail17trampoline_kernelINS0_14default_configENS1_20scan_config_selectorIN3c104HalfEEEZZNS1_9scan_implILNS1_25lookback_scan_determinismE0ELb0ELb0ES3_PKS6_PS6_S6_ZZZN2at6native31launch_logcumsumexp_cuda_kernelERKNSD_10TensorBaseESH_lENKUlvE_clEvENKUlvE3_clEvEUlS6_S6_E_S6_EEDaPvRmT3_T4_T5_mT6_P12ihipStream_tbENKUlT_T0_E_clISt17integral_constantIbLb1EESY_EEDaST_SU_EUlST_E0_NS1_11comp_targetILNS1_3genE4ELNS1_11target_archE910ELNS1_3gpuE8ELNS1_3repE0EEENS1_30default_config_static_selectorELNS0_4arch9wavefront6targetE0EEEvT1_, .Lfunc_end395-_ZN7rocprim17ROCPRIM_400000_NS6detail17trampoline_kernelINS0_14default_configENS1_20scan_config_selectorIN3c104HalfEEEZZNS1_9scan_implILNS1_25lookback_scan_determinismE0ELb0ELb0ES3_PKS6_PS6_S6_ZZZN2at6native31launch_logcumsumexp_cuda_kernelERKNSD_10TensorBaseESH_lENKUlvE_clEvENKUlvE3_clEvEUlS6_S6_E_S6_EEDaPvRmT3_T4_T5_mT6_P12ihipStream_tbENKUlT_T0_E_clISt17integral_constantIbLb1EESY_EEDaST_SU_EUlST_E0_NS1_11comp_targetILNS1_3genE4ELNS1_11target_archE910ELNS1_3gpuE8ELNS1_3repE0EEENS1_30default_config_static_selectorELNS0_4arch9wavefront6targetE0EEEvT1_
                                        ; -- End function
	.section	.AMDGPU.csdata,"",@progbits
; Kernel info:
; codeLenInByte = 0
; NumSgprs: 0
; NumVgprs: 0
; ScratchSize: 0
; MemoryBound: 0
; FloatMode: 240
; IeeeMode: 1
; LDSByteSize: 0 bytes/workgroup (compile time only)
; SGPRBlocks: 0
; VGPRBlocks: 0
; NumSGPRsForWavesPerEU: 1
; NumVGPRsForWavesPerEU: 1
; Occupancy: 16
; WaveLimiterHint : 0
; COMPUTE_PGM_RSRC2:SCRATCH_EN: 0
; COMPUTE_PGM_RSRC2:USER_SGPR: 15
; COMPUTE_PGM_RSRC2:TRAP_HANDLER: 0
; COMPUTE_PGM_RSRC2:TGID_X_EN: 1
; COMPUTE_PGM_RSRC2:TGID_Y_EN: 0
; COMPUTE_PGM_RSRC2:TGID_Z_EN: 0
; COMPUTE_PGM_RSRC2:TIDIG_COMP_CNT: 0
	.section	.text._ZN7rocprim17ROCPRIM_400000_NS6detail17trampoline_kernelINS0_14default_configENS1_20scan_config_selectorIN3c104HalfEEEZZNS1_9scan_implILNS1_25lookback_scan_determinismE0ELb0ELb0ES3_PKS6_PS6_S6_ZZZN2at6native31launch_logcumsumexp_cuda_kernelERKNSD_10TensorBaseESH_lENKUlvE_clEvENKUlvE3_clEvEUlS6_S6_E_S6_EEDaPvRmT3_T4_T5_mT6_P12ihipStream_tbENKUlT_T0_E_clISt17integral_constantIbLb1EESY_EEDaST_SU_EUlST_E0_NS1_11comp_targetILNS1_3genE3ELNS1_11target_archE908ELNS1_3gpuE7ELNS1_3repE0EEENS1_30default_config_static_selectorELNS0_4arch9wavefront6targetE0EEEvT1_,"axG",@progbits,_ZN7rocprim17ROCPRIM_400000_NS6detail17trampoline_kernelINS0_14default_configENS1_20scan_config_selectorIN3c104HalfEEEZZNS1_9scan_implILNS1_25lookback_scan_determinismE0ELb0ELb0ES3_PKS6_PS6_S6_ZZZN2at6native31launch_logcumsumexp_cuda_kernelERKNSD_10TensorBaseESH_lENKUlvE_clEvENKUlvE3_clEvEUlS6_S6_E_S6_EEDaPvRmT3_T4_T5_mT6_P12ihipStream_tbENKUlT_T0_E_clISt17integral_constantIbLb1EESY_EEDaST_SU_EUlST_E0_NS1_11comp_targetILNS1_3genE3ELNS1_11target_archE908ELNS1_3gpuE7ELNS1_3repE0EEENS1_30default_config_static_selectorELNS0_4arch9wavefront6targetE0EEEvT1_,comdat
	.globl	_ZN7rocprim17ROCPRIM_400000_NS6detail17trampoline_kernelINS0_14default_configENS1_20scan_config_selectorIN3c104HalfEEEZZNS1_9scan_implILNS1_25lookback_scan_determinismE0ELb0ELb0ES3_PKS6_PS6_S6_ZZZN2at6native31launch_logcumsumexp_cuda_kernelERKNSD_10TensorBaseESH_lENKUlvE_clEvENKUlvE3_clEvEUlS6_S6_E_S6_EEDaPvRmT3_T4_T5_mT6_P12ihipStream_tbENKUlT_T0_E_clISt17integral_constantIbLb1EESY_EEDaST_SU_EUlST_E0_NS1_11comp_targetILNS1_3genE3ELNS1_11target_archE908ELNS1_3gpuE7ELNS1_3repE0EEENS1_30default_config_static_selectorELNS0_4arch9wavefront6targetE0EEEvT1_ ; -- Begin function _ZN7rocprim17ROCPRIM_400000_NS6detail17trampoline_kernelINS0_14default_configENS1_20scan_config_selectorIN3c104HalfEEEZZNS1_9scan_implILNS1_25lookback_scan_determinismE0ELb0ELb0ES3_PKS6_PS6_S6_ZZZN2at6native31launch_logcumsumexp_cuda_kernelERKNSD_10TensorBaseESH_lENKUlvE_clEvENKUlvE3_clEvEUlS6_S6_E_S6_EEDaPvRmT3_T4_T5_mT6_P12ihipStream_tbENKUlT_T0_E_clISt17integral_constantIbLb1EESY_EEDaST_SU_EUlST_E0_NS1_11comp_targetILNS1_3genE3ELNS1_11target_archE908ELNS1_3gpuE7ELNS1_3repE0EEENS1_30default_config_static_selectorELNS0_4arch9wavefront6targetE0EEEvT1_
	.p2align	8
	.type	_ZN7rocprim17ROCPRIM_400000_NS6detail17trampoline_kernelINS0_14default_configENS1_20scan_config_selectorIN3c104HalfEEEZZNS1_9scan_implILNS1_25lookback_scan_determinismE0ELb0ELb0ES3_PKS6_PS6_S6_ZZZN2at6native31launch_logcumsumexp_cuda_kernelERKNSD_10TensorBaseESH_lENKUlvE_clEvENKUlvE3_clEvEUlS6_S6_E_S6_EEDaPvRmT3_T4_T5_mT6_P12ihipStream_tbENKUlT_T0_E_clISt17integral_constantIbLb1EESY_EEDaST_SU_EUlST_E0_NS1_11comp_targetILNS1_3genE3ELNS1_11target_archE908ELNS1_3gpuE7ELNS1_3repE0EEENS1_30default_config_static_selectorELNS0_4arch9wavefront6targetE0EEEvT1_,@function
_ZN7rocprim17ROCPRIM_400000_NS6detail17trampoline_kernelINS0_14default_configENS1_20scan_config_selectorIN3c104HalfEEEZZNS1_9scan_implILNS1_25lookback_scan_determinismE0ELb0ELb0ES3_PKS6_PS6_S6_ZZZN2at6native31launch_logcumsumexp_cuda_kernelERKNSD_10TensorBaseESH_lENKUlvE_clEvENKUlvE3_clEvEUlS6_S6_E_S6_EEDaPvRmT3_T4_T5_mT6_P12ihipStream_tbENKUlT_T0_E_clISt17integral_constantIbLb1EESY_EEDaST_SU_EUlST_E0_NS1_11comp_targetILNS1_3genE3ELNS1_11target_archE908ELNS1_3gpuE7ELNS1_3repE0EEENS1_30default_config_static_selectorELNS0_4arch9wavefront6targetE0EEEvT1_: ; @_ZN7rocprim17ROCPRIM_400000_NS6detail17trampoline_kernelINS0_14default_configENS1_20scan_config_selectorIN3c104HalfEEEZZNS1_9scan_implILNS1_25lookback_scan_determinismE0ELb0ELb0ES3_PKS6_PS6_S6_ZZZN2at6native31launch_logcumsumexp_cuda_kernelERKNSD_10TensorBaseESH_lENKUlvE_clEvENKUlvE3_clEvEUlS6_S6_E_S6_EEDaPvRmT3_T4_T5_mT6_P12ihipStream_tbENKUlT_T0_E_clISt17integral_constantIbLb1EESY_EEDaST_SU_EUlST_E0_NS1_11comp_targetILNS1_3genE3ELNS1_11target_archE908ELNS1_3gpuE7ELNS1_3repE0EEENS1_30default_config_static_selectorELNS0_4arch9wavefront6targetE0EEEvT1_
; %bb.0:
	.section	.rodata,"a",@progbits
	.p2align	6, 0x0
	.amdhsa_kernel _ZN7rocprim17ROCPRIM_400000_NS6detail17trampoline_kernelINS0_14default_configENS1_20scan_config_selectorIN3c104HalfEEEZZNS1_9scan_implILNS1_25lookback_scan_determinismE0ELb0ELb0ES3_PKS6_PS6_S6_ZZZN2at6native31launch_logcumsumexp_cuda_kernelERKNSD_10TensorBaseESH_lENKUlvE_clEvENKUlvE3_clEvEUlS6_S6_E_S6_EEDaPvRmT3_T4_T5_mT6_P12ihipStream_tbENKUlT_T0_E_clISt17integral_constantIbLb1EESY_EEDaST_SU_EUlST_E0_NS1_11comp_targetILNS1_3genE3ELNS1_11target_archE908ELNS1_3gpuE7ELNS1_3repE0EEENS1_30default_config_static_selectorELNS0_4arch9wavefront6targetE0EEEvT1_
		.amdhsa_group_segment_fixed_size 0
		.amdhsa_private_segment_fixed_size 0
		.amdhsa_kernarg_size 32
		.amdhsa_user_sgpr_count 15
		.amdhsa_user_sgpr_dispatch_ptr 0
		.amdhsa_user_sgpr_queue_ptr 0
		.amdhsa_user_sgpr_kernarg_segment_ptr 1
		.amdhsa_user_sgpr_dispatch_id 0
		.amdhsa_user_sgpr_private_segment_size 0
		.amdhsa_wavefront_size32 1
		.amdhsa_uses_dynamic_stack 0
		.amdhsa_enable_private_segment 0
		.amdhsa_system_sgpr_workgroup_id_x 1
		.amdhsa_system_sgpr_workgroup_id_y 0
		.amdhsa_system_sgpr_workgroup_id_z 0
		.amdhsa_system_sgpr_workgroup_info 0
		.amdhsa_system_vgpr_workitem_id 0
		.amdhsa_next_free_vgpr 1
		.amdhsa_next_free_sgpr 1
		.amdhsa_reserve_vcc 0
		.amdhsa_float_round_mode_32 0
		.amdhsa_float_round_mode_16_64 0
		.amdhsa_float_denorm_mode_32 3
		.amdhsa_float_denorm_mode_16_64 3
		.amdhsa_dx10_clamp 1
		.amdhsa_ieee_mode 1
		.amdhsa_fp16_overflow 0
		.amdhsa_workgroup_processor_mode 1
		.amdhsa_memory_ordered 1
		.amdhsa_forward_progress 0
		.amdhsa_shared_vgpr_count 0
		.amdhsa_exception_fp_ieee_invalid_op 0
		.amdhsa_exception_fp_denorm_src 0
		.amdhsa_exception_fp_ieee_div_zero 0
		.amdhsa_exception_fp_ieee_overflow 0
		.amdhsa_exception_fp_ieee_underflow 0
		.amdhsa_exception_fp_ieee_inexact 0
		.amdhsa_exception_int_div_zero 0
	.end_amdhsa_kernel
	.section	.text._ZN7rocprim17ROCPRIM_400000_NS6detail17trampoline_kernelINS0_14default_configENS1_20scan_config_selectorIN3c104HalfEEEZZNS1_9scan_implILNS1_25lookback_scan_determinismE0ELb0ELb0ES3_PKS6_PS6_S6_ZZZN2at6native31launch_logcumsumexp_cuda_kernelERKNSD_10TensorBaseESH_lENKUlvE_clEvENKUlvE3_clEvEUlS6_S6_E_S6_EEDaPvRmT3_T4_T5_mT6_P12ihipStream_tbENKUlT_T0_E_clISt17integral_constantIbLb1EESY_EEDaST_SU_EUlST_E0_NS1_11comp_targetILNS1_3genE3ELNS1_11target_archE908ELNS1_3gpuE7ELNS1_3repE0EEENS1_30default_config_static_selectorELNS0_4arch9wavefront6targetE0EEEvT1_,"axG",@progbits,_ZN7rocprim17ROCPRIM_400000_NS6detail17trampoline_kernelINS0_14default_configENS1_20scan_config_selectorIN3c104HalfEEEZZNS1_9scan_implILNS1_25lookback_scan_determinismE0ELb0ELb0ES3_PKS6_PS6_S6_ZZZN2at6native31launch_logcumsumexp_cuda_kernelERKNSD_10TensorBaseESH_lENKUlvE_clEvENKUlvE3_clEvEUlS6_S6_E_S6_EEDaPvRmT3_T4_T5_mT6_P12ihipStream_tbENKUlT_T0_E_clISt17integral_constantIbLb1EESY_EEDaST_SU_EUlST_E0_NS1_11comp_targetILNS1_3genE3ELNS1_11target_archE908ELNS1_3gpuE7ELNS1_3repE0EEENS1_30default_config_static_selectorELNS0_4arch9wavefront6targetE0EEEvT1_,comdat
.Lfunc_end396:
	.size	_ZN7rocprim17ROCPRIM_400000_NS6detail17trampoline_kernelINS0_14default_configENS1_20scan_config_selectorIN3c104HalfEEEZZNS1_9scan_implILNS1_25lookback_scan_determinismE0ELb0ELb0ES3_PKS6_PS6_S6_ZZZN2at6native31launch_logcumsumexp_cuda_kernelERKNSD_10TensorBaseESH_lENKUlvE_clEvENKUlvE3_clEvEUlS6_S6_E_S6_EEDaPvRmT3_T4_T5_mT6_P12ihipStream_tbENKUlT_T0_E_clISt17integral_constantIbLb1EESY_EEDaST_SU_EUlST_E0_NS1_11comp_targetILNS1_3genE3ELNS1_11target_archE908ELNS1_3gpuE7ELNS1_3repE0EEENS1_30default_config_static_selectorELNS0_4arch9wavefront6targetE0EEEvT1_, .Lfunc_end396-_ZN7rocprim17ROCPRIM_400000_NS6detail17trampoline_kernelINS0_14default_configENS1_20scan_config_selectorIN3c104HalfEEEZZNS1_9scan_implILNS1_25lookback_scan_determinismE0ELb0ELb0ES3_PKS6_PS6_S6_ZZZN2at6native31launch_logcumsumexp_cuda_kernelERKNSD_10TensorBaseESH_lENKUlvE_clEvENKUlvE3_clEvEUlS6_S6_E_S6_EEDaPvRmT3_T4_T5_mT6_P12ihipStream_tbENKUlT_T0_E_clISt17integral_constantIbLb1EESY_EEDaST_SU_EUlST_E0_NS1_11comp_targetILNS1_3genE3ELNS1_11target_archE908ELNS1_3gpuE7ELNS1_3repE0EEENS1_30default_config_static_selectorELNS0_4arch9wavefront6targetE0EEEvT1_
                                        ; -- End function
	.section	.AMDGPU.csdata,"",@progbits
; Kernel info:
; codeLenInByte = 0
; NumSgprs: 0
; NumVgprs: 0
; ScratchSize: 0
; MemoryBound: 0
; FloatMode: 240
; IeeeMode: 1
; LDSByteSize: 0 bytes/workgroup (compile time only)
; SGPRBlocks: 0
; VGPRBlocks: 0
; NumSGPRsForWavesPerEU: 1
; NumVGPRsForWavesPerEU: 1
; Occupancy: 16
; WaveLimiterHint : 0
; COMPUTE_PGM_RSRC2:SCRATCH_EN: 0
; COMPUTE_PGM_RSRC2:USER_SGPR: 15
; COMPUTE_PGM_RSRC2:TRAP_HANDLER: 0
; COMPUTE_PGM_RSRC2:TGID_X_EN: 1
; COMPUTE_PGM_RSRC2:TGID_Y_EN: 0
; COMPUTE_PGM_RSRC2:TGID_Z_EN: 0
; COMPUTE_PGM_RSRC2:TIDIG_COMP_CNT: 0
	.section	.text._ZN7rocprim17ROCPRIM_400000_NS6detail17trampoline_kernelINS0_14default_configENS1_20scan_config_selectorIN3c104HalfEEEZZNS1_9scan_implILNS1_25lookback_scan_determinismE0ELb0ELb0ES3_PKS6_PS6_S6_ZZZN2at6native31launch_logcumsumexp_cuda_kernelERKNSD_10TensorBaseESH_lENKUlvE_clEvENKUlvE3_clEvEUlS6_S6_E_S6_EEDaPvRmT3_T4_T5_mT6_P12ihipStream_tbENKUlT_T0_E_clISt17integral_constantIbLb1EESY_EEDaST_SU_EUlST_E0_NS1_11comp_targetILNS1_3genE2ELNS1_11target_archE906ELNS1_3gpuE6ELNS1_3repE0EEENS1_30default_config_static_selectorELNS0_4arch9wavefront6targetE0EEEvT1_,"axG",@progbits,_ZN7rocprim17ROCPRIM_400000_NS6detail17trampoline_kernelINS0_14default_configENS1_20scan_config_selectorIN3c104HalfEEEZZNS1_9scan_implILNS1_25lookback_scan_determinismE0ELb0ELb0ES3_PKS6_PS6_S6_ZZZN2at6native31launch_logcumsumexp_cuda_kernelERKNSD_10TensorBaseESH_lENKUlvE_clEvENKUlvE3_clEvEUlS6_S6_E_S6_EEDaPvRmT3_T4_T5_mT6_P12ihipStream_tbENKUlT_T0_E_clISt17integral_constantIbLb1EESY_EEDaST_SU_EUlST_E0_NS1_11comp_targetILNS1_3genE2ELNS1_11target_archE906ELNS1_3gpuE6ELNS1_3repE0EEENS1_30default_config_static_selectorELNS0_4arch9wavefront6targetE0EEEvT1_,comdat
	.globl	_ZN7rocprim17ROCPRIM_400000_NS6detail17trampoline_kernelINS0_14default_configENS1_20scan_config_selectorIN3c104HalfEEEZZNS1_9scan_implILNS1_25lookback_scan_determinismE0ELb0ELb0ES3_PKS6_PS6_S6_ZZZN2at6native31launch_logcumsumexp_cuda_kernelERKNSD_10TensorBaseESH_lENKUlvE_clEvENKUlvE3_clEvEUlS6_S6_E_S6_EEDaPvRmT3_T4_T5_mT6_P12ihipStream_tbENKUlT_T0_E_clISt17integral_constantIbLb1EESY_EEDaST_SU_EUlST_E0_NS1_11comp_targetILNS1_3genE2ELNS1_11target_archE906ELNS1_3gpuE6ELNS1_3repE0EEENS1_30default_config_static_selectorELNS0_4arch9wavefront6targetE0EEEvT1_ ; -- Begin function _ZN7rocprim17ROCPRIM_400000_NS6detail17trampoline_kernelINS0_14default_configENS1_20scan_config_selectorIN3c104HalfEEEZZNS1_9scan_implILNS1_25lookback_scan_determinismE0ELb0ELb0ES3_PKS6_PS6_S6_ZZZN2at6native31launch_logcumsumexp_cuda_kernelERKNSD_10TensorBaseESH_lENKUlvE_clEvENKUlvE3_clEvEUlS6_S6_E_S6_EEDaPvRmT3_T4_T5_mT6_P12ihipStream_tbENKUlT_T0_E_clISt17integral_constantIbLb1EESY_EEDaST_SU_EUlST_E0_NS1_11comp_targetILNS1_3genE2ELNS1_11target_archE906ELNS1_3gpuE6ELNS1_3repE0EEENS1_30default_config_static_selectorELNS0_4arch9wavefront6targetE0EEEvT1_
	.p2align	8
	.type	_ZN7rocprim17ROCPRIM_400000_NS6detail17trampoline_kernelINS0_14default_configENS1_20scan_config_selectorIN3c104HalfEEEZZNS1_9scan_implILNS1_25lookback_scan_determinismE0ELb0ELb0ES3_PKS6_PS6_S6_ZZZN2at6native31launch_logcumsumexp_cuda_kernelERKNSD_10TensorBaseESH_lENKUlvE_clEvENKUlvE3_clEvEUlS6_S6_E_S6_EEDaPvRmT3_T4_T5_mT6_P12ihipStream_tbENKUlT_T0_E_clISt17integral_constantIbLb1EESY_EEDaST_SU_EUlST_E0_NS1_11comp_targetILNS1_3genE2ELNS1_11target_archE906ELNS1_3gpuE6ELNS1_3repE0EEENS1_30default_config_static_selectorELNS0_4arch9wavefront6targetE0EEEvT1_,@function
_ZN7rocprim17ROCPRIM_400000_NS6detail17trampoline_kernelINS0_14default_configENS1_20scan_config_selectorIN3c104HalfEEEZZNS1_9scan_implILNS1_25lookback_scan_determinismE0ELb0ELb0ES3_PKS6_PS6_S6_ZZZN2at6native31launch_logcumsumexp_cuda_kernelERKNSD_10TensorBaseESH_lENKUlvE_clEvENKUlvE3_clEvEUlS6_S6_E_S6_EEDaPvRmT3_T4_T5_mT6_P12ihipStream_tbENKUlT_T0_E_clISt17integral_constantIbLb1EESY_EEDaST_SU_EUlST_E0_NS1_11comp_targetILNS1_3genE2ELNS1_11target_archE906ELNS1_3gpuE6ELNS1_3repE0EEENS1_30default_config_static_selectorELNS0_4arch9wavefront6targetE0EEEvT1_: ; @_ZN7rocprim17ROCPRIM_400000_NS6detail17trampoline_kernelINS0_14default_configENS1_20scan_config_selectorIN3c104HalfEEEZZNS1_9scan_implILNS1_25lookback_scan_determinismE0ELb0ELb0ES3_PKS6_PS6_S6_ZZZN2at6native31launch_logcumsumexp_cuda_kernelERKNSD_10TensorBaseESH_lENKUlvE_clEvENKUlvE3_clEvEUlS6_S6_E_S6_EEDaPvRmT3_T4_T5_mT6_P12ihipStream_tbENKUlT_T0_E_clISt17integral_constantIbLb1EESY_EEDaST_SU_EUlST_E0_NS1_11comp_targetILNS1_3genE2ELNS1_11target_archE906ELNS1_3gpuE6ELNS1_3repE0EEENS1_30default_config_static_selectorELNS0_4arch9wavefront6targetE0EEEvT1_
; %bb.0:
	.section	.rodata,"a",@progbits
	.p2align	6, 0x0
	.amdhsa_kernel _ZN7rocprim17ROCPRIM_400000_NS6detail17trampoline_kernelINS0_14default_configENS1_20scan_config_selectorIN3c104HalfEEEZZNS1_9scan_implILNS1_25lookback_scan_determinismE0ELb0ELb0ES3_PKS6_PS6_S6_ZZZN2at6native31launch_logcumsumexp_cuda_kernelERKNSD_10TensorBaseESH_lENKUlvE_clEvENKUlvE3_clEvEUlS6_S6_E_S6_EEDaPvRmT3_T4_T5_mT6_P12ihipStream_tbENKUlT_T0_E_clISt17integral_constantIbLb1EESY_EEDaST_SU_EUlST_E0_NS1_11comp_targetILNS1_3genE2ELNS1_11target_archE906ELNS1_3gpuE6ELNS1_3repE0EEENS1_30default_config_static_selectorELNS0_4arch9wavefront6targetE0EEEvT1_
		.amdhsa_group_segment_fixed_size 0
		.amdhsa_private_segment_fixed_size 0
		.amdhsa_kernarg_size 32
		.amdhsa_user_sgpr_count 15
		.amdhsa_user_sgpr_dispatch_ptr 0
		.amdhsa_user_sgpr_queue_ptr 0
		.amdhsa_user_sgpr_kernarg_segment_ptr 1
		.amdhsa_user_sgpr_dispatch_id 0
		.amdhsa_user_sgpr_private_segment_size 0
		.amdhsa_wavefront_size32 1
		.amdhsa_uses_dynamic_stack 0
		.amdhsa_enable_private_segment 0
		.amdhsa_system_sgpr_workgroup_id_x 1
		.amdhsa_system_sgpr_workgroup_id_y 0
		.amdhsa_system_sgpr_workgroup_id_z 0
		.amdhsa_system_sgpr_workgroup_info 0
		.amdhsa_system_vgpr_workitem_id 0
		.amdhsa_next_free_vgpr 1
		.amdhsa_next_free_sgpr 1
		.amdhsa_reserve_vcc 0
		.amdhsa_float_round_mode_32 0
		.amdhsa_float_round_mode_16_64 0
		.amdhsa_float_denorm_mode_32 3
		.amdhsa_float_denorm_mode_16_64 3
		.amdhsa_dx10_clamp 1
		.amdhsa_ieee_mode 1
		.amdhsa_fp16_overflow 0
		.amdhsa_workgroup_processor_mode 1
		.amdhsa_memory_ordered 1
		.amdhsa_forward_progress 0
		.amdhsa_shared_vgpr_count 0
		.amdhsa_exception_fp_ieee_invalid_op 0
		.amdhsa_exception_fp_denorm_src 0
		.amdhsa_exception_fp_ieee_div_zero 0
		.amdhsa_exception_fp_ieee_overflow 0
		.amdhsa_exception_fp_ieee_underflow 0
		.amdhsa_exception_fp_ieee_inexact 0
		.amdhsa_exception_int_div_zero 0
	.end_amdhsa_kernel
	.section	.text._ZN7rocprim17ROCPRIM_400000_NS6detail17trampoline_kernelINS0_14default_configENS1_20scan_config_selectorIN3c104HalfEEEZZNS1_9scan_implILNS1_25lookback_scan_determinismE0ELb0ELb0ES3_PKS6_PS6_S6_ZZZN2at6native31launch_logcumsumexp_cuda_kernelERKNSD_10TensorBaseESH_lENKUlvE_clEvENKUlvE3_clEvEUlS6_S6_E_S6_EEDaPvRmT3_T4_T5_mT6_P12ihipStream_tbENKUlT_T0_E_clISt17integral_constantIbLb1EESY_EEDaST_SU_EUlST_E0_NS1_11comp_targetILNS1_3genE2ELNS1_11target_archE906ELNS1_3gpuE6ELNS1_3repE0EEENS1_30default_config_static_selectorELNS0_4arch9wavefront6targetE0EEEvT1_,"axG",@progbits,_ZN7rocprim17ROCPRIM_400000_NS6detail17trampoline_kernelINS0_14default_configENS1_20scan_config_selectorIN3c104HalfEEEZZNS1_9scan_implILNS1_25lookback_scan_determinismE0ELb0ELb0ES3_PKS6_PS6_S6_ZZZN2at6native31launch_logcumsumexp_cuda_kernelERKNSD_10TensorBaseESH_lENKUlvE_clEvENKUlvE3_clEvEUlS6_S6_E_S6_EEDaPvRmT3_T4_T5_mT6_P12ihipStream_tbENKUlT_T0_E_clISt17integral_constantIbLb1EESY_EEDaST_SU_EUlST_E0_NS1_11comp_targetILNS1_3genE2ELNS1_11target_archE906ELNS1_3gpuE6ELNS1_3repE0EEENS1_30default_config_static_selectorELNS0_4arch9wavefront6targetE0EEEvT1_,comdat
.Lfunc_end397:
	.size	_ZN7rocprim17ROCPRIM_400000_NS6detail17trampoline_kernelINS0_14default_configENS1_20scan_config_selectorIN3c104HalfEEEZZNS1_9scan_implILNS1_25lookback_scan_determinismE0ELb0ELb0ES3_PKS6_PS6_S6_ZZZN2at6native31launch_logcumsumexp_cuda_kernelERKNSD_10TensorBaseESH_lENKUlvE_clEvENKUlvE3_clEvEUlS6_S6_E_S6_EEDaPvRmT3_T4_T5_mT6_P12ihipStream_tbENKUlT_T0_E_clISt17integral_constantIbLb1EESY_EEDaST_SU_EUlST_E0_NS1_11comp_targetILNS1_3genE2ELNS1_11target_archE906ELNS1_3gpuE6ELNS1_3repE0EEENS1_30default_config_static_selectorELNS0_4arch9wavefront6targetE0EEEvT1_, .Lfunc_end397-_ZN7rocprim17ROCPRIM_400000_NS6detail17trampoline_kernelINS0_14default_configENS1_20scan_config_selectorIN3c104HalfEEEZZNS1_9scan_implILNS1_25lookback_scan_determinismE0ELb0ELb0ES3_PKS6_PS6_S6_ZZZN2at6native31launch_logcumsumexp_cuda_kernelERKNSD_10TensorBaseESH_lENKUlvE_clEvENKUlvE3_clEvEUlS6_S6_E_S6_EEDaPvRmT3_T4_T5_mT6_P12ihipStream_tbENKUlT_T0_E_clISt17integral_constantIbLb1EESY_EEDaST_SU_EUlST_E0_NS1_11comp_targetILNS1_3genE2ELNS1_11target_archE906ELNS1_3gpuE6ELNS1_3repE0EEENS1_30default_config_static_selectorELNS0_4arch9wavefront6targetE0EEEvT1_
                                        ; -- End function
	.section	.AMDGPU.csdata,"",@progbits
; Kernel info:
; codeLenInByte = 0
; NumSgprs: 0
; NumVgprs: 0
; ScratchSize: 0
; MemoryBound: 0
; FloatMode: 240
; IeeeMode: 1
; LDSByteSize: 0 bytes/workgroup (compile time only)
; SGPRBlocks: 0
; VGPRBlocks: 0
; NumSGPRsForWavesPerEU: 1
; NumVGPRsForWavesPerEU: 1
; Occupancy: 16
; WaveLimiterHint : 0
; COMPUTE_PGM_RSRC2:SCRATCH_EN: 0
; COMPUTE_PGM_RSRC2:USER_SGPR: 15
; COMPUTE_PGM_RSRC2:TRAP_HANDLER: 0
; COMPUTE_PGM_RSRC2:TGID_X_EN: 1
; COMPUTE_PGM_RSRC2:TGID_Y_EN: 0
; COMPUTE_PGM_RSRC2:TGID_Z_EN: 0
; COMPUTE_PGM_RSRC2:TIDIG_COMP_CNT: 0
	.section	.text._ZN7rocprim17ROCPRIM_400000_NS6detail17trampoline_kernelINS0_14default_configENS1_20scan_config_selectorIN3c104HalfEEEZZNS1_9scan_implILNS1_25lookback_scan_determinismE0ELb0ELb0ES3_PKS6_PS6_S6_ZZZN2at6native31launch_logcumsumexp_cuda_kernelERKNSD_10TensorBaseESH_lENKUlvE_clEvENKUlvE3_clEvEUlS6_S6_E_S6_EEDaPvRmT3_T4_T5_mT6_P12ihipStream_tbENKUlT_T0_E_clISt17integral_constantIbLb1EESY_EEDaST_SU_EUlST_E0_NS1_11comp_targetILNS1_3genE10ELNS1_11target_archE1201ELNS1_3gpuE5ELNS1_3repE0EEENS1_30default_config_static_selectorELNS0_4arch9wavefront6targetE0EEEvT1_,"axG",@progbits,_ZN7rocprim17ROCPRIM_400000_NS6detail17trampoline_kernelINS0_14default_configENS1_20scan_config_selectorIN3c104HalfEEEZZNS1_9scan_implILNS1_25lookback_scan_determinismE0ELb0ELb0ES3_PKS6_PS6_S6_ZZZN2at6native31launch_logcumsumexp_cuda_kernelERKNSD_10TensorBaseESH_lENKUlvE_clEvENKUlvE3_clEvEUlS6_S6_E_S6_EEDaPvRmT3_T4_T5_mT6_P12ihipStream_tbENKUlT_T0_E_clISt17integral_constantIbLb1EESY_EEDaST_SU_EUlST_E0_NS1_11comp_targetILNS1_3genE10ELNS1_11target_archE1201ELNS1_3gpuE5ELNS1_3repE0EEENS1_30default_config_static_selectorELNS0_4arch9wavefront6targetE0EEEvT1_,comdat
	.globl	_ZN7rocprim17ROCPRIM_400000_NS6detail17trampoline_kernelINS0_14default_configENS1_20scan_config_selectorIN3c104HalfEEEZZNS1_9scan_implILNS1_25lookback_scan_determinismE0ELb0ELb0ES3_PKS6_PS6_S6_ZZZN2at6native31launch_logcumsumexp_cuda_kernelERKNSD_10TensorBaseESH_lENKUlvE_clEvENKUlvE3_clEvEUlS6_S6_E_S6_EEDaPvRmT3_T4_T5_mT6_P12ihipStream_tbENKUlT_T0_E_clISt17integral_constantIbLb1EESY_EEDaST_SU_EUlST_E0_NS1_11comp_targetILNS1_3genE10ELNS1_11target_archE1201ELNS1_3gpuE5ELNS1_3repE0EEENS1_30default_config_static_selectorELNS0_4arch9wavefront6targetE0EEEvT1_ ; -- Begin function _ZN7rocprim17ROCPRIM_400000_NS6detail17trampoline_kernelINS0_14default_configENS1_20scan_config_selectorIN3c104HalfEEEZZNS1_9scan_implILNS1_25lookback_scan_determinismE0ELb0ELb0ES3_PKS6_PS6_S6_ZZZN2at6native31launch_logcumsumexp_cuda_kernelERKNSD_10TensorBaseESH_lENKUlvE_clEvENKUlvE3_clEvEUlS6_S6_E_S6_EEDaPvRmT3_T4_T5_mT6_P12ihipStream_tbENKUlT_T0_E_clISt17integral_constantIbLb1EESY_EEDaST_SU_EUlST_E0_NS1_11comp_targetILNS1_3genE10ELNS1_11target_archE1201ELNS1_3gpuE5ELNS1_3repE0EEENS1_30default_config_static_selectorELNS0_4arch9wavefront6targetE0EEEvT1_
	.p2align	8
	.type	_ZN7rocprim17ROCPRIM_400000_NS6detail17trampoline_kernelINS0_14default_configENS1_20scan_config_selectorIN3c104HalfEEEZZNS1_9scan_implILNS1_25lookback_scan_determinismE0ELb0ELb0ES3_PKS6_PS6_S6_ZZZN2at6native31launch_logcumsumexp_cuda_kernelERKNSD_10TensorBaseESH_lENKUlvE_clEvENKUlvE3_clEvEUlS6_S6_E_S6_EEDaPvRmT3_T4_T5_mT6_P12ihipStream_tbENKUlT_T0_E_clISt17integral_constantIbLb1EESY_EEDaST_SU_EUlST_E0_NS1_11comp_targetILNS1_3genE10ELNS1_11target_archE1201ELNS1_3gpuE5ELNS1_3repE0EEENS1_30default_config_static_selectorELNS0_4arch9wavefront6targetE0EEEvT1_,@function
_ZN7rocprim17ROCPRIM_400000_NS6detail17trampoline_kernelINS0_14default_configENS1_20scan_config_selectorIN3c104HalfEEEZZNS1_9scan_implILNS1_25lookback_scan_determinismE0ELb0ELb0ES3_PKS6_PS6_S6_ZZZN2at6native31launch_logcumsumexp_cuda_kernelERKNSD_10TensorBaseESH_lENKUlvE_clEvENKUlvE3_clEvEUlS6_S6_E_S6_EEDaPvRmT3_T4_T5_mT6_P12ihipStream_tbENKUlT_T0_E_clISt17integral_constantIbLb1EESY_EEDaST_SU_EUlST_E0_NS1_11comp_targetILNS1_3genE10ELNS1_11target_archE1201ELNS1_3gpuE5ELNS1_3repE0EEENS1_30default_config_static_selectorELNS0_4arch9wavefront6targetE0EEEvT1_: ; @_ZN7rocprim17ROCPRIM_400000_NS6detail17trampoline_kernelINS0_14default_configENS1_20scan_config_selectorIN3c104HalfEEEZZNS1_9scan_implILNS1_25lookback_scan_determinismE0ELb0ELb0ES3_PKS6_PS6_S6_ZZZN2at6native31launch_logcumsumexp_cuda_kernelERKNSD_10TensorBaseESH_lENKUlvE_clEvENKUlvE3_clEvEUlS6_S6_E_S6_EEDaPvRmT3_T4_T5_mT6_P12ihipStream_tbENKUlT_T0_E_clISt17integral_constantIbLb1EESY_EEDaST_SU_EUlST_E0_NS1_11comp_targetILNS1_3genE10ELNS1_11target_archE1201ELNS1_3gpuE5ELNS1_3repE0EEENS1_30default_config_static_selectorELNS0_4arch9wavefront6targetE0EEEvT1_
; %bb.0:
	.section	.rodata,"a",@progbits
	.p2align	6, 0x0
	.amdhsa_kernel _ZN7rocprim17ROCPRIM_400000_NS6detail17trampoline_kernelINS0_14default_configENS1_20scan_config_selectorIN3c104HalfEEEZZNS1_9scan_implILNS1_25lookback_scan_determinismE0ELb0ELb0ES3_PKS6_PS6_S6_ZZZN2at6native31launch_logcumsumexp_cuda_kernelERKNSD_10TensorBaseESH_lENKUlvE_clEvENKUlvE3_clEvEUlS6_S6_E_S6_EEDaPvRmT3_T4_T5_mT6_P12ihipStream_tbENKUlT_T0_E_clISt17integral_constantIbLb1EESY_EEDaST_SU_EUlST_E0_NS1_11comp_targetILNS1_3genE10ELNS1_11target_archE1201ELNS1_3gpuE5ELNS1_3repE0EEENS1_30default_config_static_selectorELNS0_4arch9wavefront6targetE0EEEvT1_
		.amdhsa_group_segment_fixed_size 0
		.amdhsa_private_segment_fixed_size 0
		.amdhsa_kernarg_size 32
		.amdhsa_user_sgpr_count 15
		.amdhsa_user_sgpr_dispatch_ptr 0
		.amdhsa_user_sgpr_queue_ptr 0
		.amdhsa_user_sgpr_kernarg_segment_ptr 1
		.amdhsa_user_sgpr_dispatch_id 0
		.amdhsa_user_sgpr_private_segment_size 0
		.amdhsa_wavefront_size32 1
		.amdhsa_uses_dynamic_stack 0
		.amdhsa_enable_private_segment 0
		.amdhsa_system_sgpr_workgroup_id_x 1
		.amdhsa_system_sgpr_workgroup_id_y 0
		.amdhsa_system_sgpr_workgroup_id_z 0
		.amdhsa_system_sgpr_workgroup_info 0
		.amdhsa_system_vgpr_workitem_id 0
		.amdhsa_next_free_vgpr 1
		.amdhsa_next_free_sgpr 1
		.amdhsa_reserve_vcc 0
		.amdhsa_float_round_mode_32 0
		.amdhsa_float_round_mode_16_64 0
		.amdhsa_float_denorm_mode_32 3
		.amdhsa_float_denorm_mode_16_64 3
		.amdhsa_dx10_clamp 1
		.amdhsa_ieee_mode 1
		.amdhsa_fp16_overflow 0
		.amdhsa_workgroup_processor_mode 1
		.amdhsa_memory_ordered 1
		.amdhsa_forward_progress 0
		.amdhsa_shared_vgpr_count 0
		.amdhsa_exception_fp_ieee_invalid_op 0
		.amdhsa_exception_fp_denorm_src 0
		.amdhsa_exception_fp_ieee_div_zero 0
		.amdhsa_exception_fp_ieee_overflow 0
		.amdhsa_exception_fp_ieee_underflow 0
		.amdhsa_exception_fp_ieee_inexact 0
		.amdhsa_exception_int_div_zero 0
	.end_amdhsa_kernel
	.section	.text._ZN7rocprim17ROCPRIM_400000_NS6detail17trampoline_kernelINS0_14default_configENS1_20scan_config_selectorIN3c104HalfEEEZZNS1_9scan_implILNS1_25lookback_scan_determinismE0ELb0ELb0ES3_PKS6_PS6_S6_ZZZN2at6native31launch_logcumsumexp_cuda_kernelERKNSD_10TensorBaseESH_lENKUlvE_clEvENKUlvE3_clEvEUlS6_S6_E_S6_EEDaPvRmT3_T4_T5_mT6_P12ihipStream_tbENKUlT_T0_E_clISt17integral_constantIbLb1EESY_EEDaST_SU_EUlST_E0_NS1_11comp_targetILNS1_3genE10ELNS1_11target_archE1201ELNS1_3gpuE5ELNS1_3repE0EEENS1_30default_config_static_selectorELNS0_4arch9wavefront6targetE0EEEvT1_,"axG",@progbits,_ZN7rocprim17ROCPRIM_400000_NS6detail17trampoline_kernelINS0_14default_configENS1_20scan_config_selectorIN3c104HalfEEEZZNS1_9scan_implILNS1_25lookback_scan_determinismE0ELb0ELb0ES3_PKS6_PS6_S6_ZZZN2at6native31launch_logcumsumexp_cuda_kernelERKNSD_10TensorBaseESH_lENKUlvE_clEvENKUlvE3_clEvEUlS6_S6_E_S6_EEDaPvRmT3_T4_T5_mT6_P12ihipStream_tbENKUlT_T0_E_clISt17integral_constantIbLb1EESY_EEDaST_SU_EUlST_E0_NS1_11comp_targetILNS1_3genE10ELNS1_11target_archE1201ELNS1_3gpuE5ELNS1_3repE0EEENS1_30default_config_static_selectorELNS0_4arch9wavefront6targetE0EEEvT1_,comdat
.Lfunc_end398:
	.size	_ZN7rocprim17ROCPRIM_400000_NS6detail17trampoline_kernelINS0_14default_configENS1_20scan_config_selectorIN3c104HalfEEEZZNS1_9scan_implILNS1_25lookback_scan_determinismE0ELb0ELb0ES3_PKS6_PS6_S6_ZZZN2at6native31launch_logcumsumexp_cuda_kernelERKNSD_10TensorBaseESH_lENKUlvE_clEvENKUlvE3_clEvEUlS6_S6_E_S6_EEDaPvRmT3_T4_T5_mT6_P12ihipStream_tbENKUlT_T0_E_clISt17integral_constantIbLb1EESY_EEDaST_SU_EUlST_E0_NS1_11comp_targetILNS1_3genE10ELNS1_11target_archE1201ELNS1_3gpuE5ELNS1_3repE0EEENS1_30default_config_static_selectorELNS0_4arch9wavefront6targetE0EEEvT1_, .Lfunc_end398-_ZN7rocprim17ROCPRIM_400000_NS6detail17trampoline_kernelINS0_14default_configENS1_20scan_config_selectorIN3c104HalfEEEZZNS1_9scan_implILNS1_25lookback_scan_determinismE0ELb0ELb0ES3_PKS6_PS6_S6_ZZZN2at6native31launch_logcumsumexp_cuda_kernelERKNSD_10TensorBaseESH_lENKUlvE_clEvENKUlvE3_clEvEUlS6_S6_E_S6_EEDaPvRmT3_T4_T5_mT6_P12ihipStream_tbENKUlT_T0_E_clISt17integral_constantIbLb1EESY_EEDaST_SU_EUlST_E0_NS1_11comp_targetILNS1_3genE10ELNS1_11target_archE1201ELNS1_3gpuE5ELNS1_3repE0EEENS1_30default_config_static_selectorELNS0_4arch9wavefront6targetE0EEEvT1_
                                        ; -- End function
	.section	.AMDGPU.csdata,"",@progbits
; Kernel info:
; codeLenInByte = 0
; NumSgprs: 0
; NumVgprs: 0
; ScratchSize: 0
; MemoryBound: 0
; FloatMode: 240
; IeeeMode: 1
; LDSByteSize: 0 bytes/workgroup (compile time only)
; SGPRBlocks: 0
; VGPRBlocks: 0
; NumSGPRsForWavesPerEU: 1
; NumVGPRsForWavesPerEU: 1
; Occupancy: 16
; WaveLimiterHint : 0
; COMPUTE_PGM_RSRC2:SCRATCH_EN: 0
; COMPUTE_PGM_RSRC2:USER_SGPR: 15
; COMPUTE_PGM_RSRC2:TRAP_HANDLER: 0
; COMPUTE_PGM_RSRC2:TGID_X_EN: 1
; COMPUTE_PGM_RSRC2:TGID_Y_EN: 0
; COMPUTE_PGM_RSRC2:TGID_Z_EN: 0
; COMPUTE_PGM_RSRC2:TIDIG_COMP_CNT: 0
	.section	.text._ZN7rocprim17ROCPRIM_400000_NS6detail17trampoline_kernelINS0_14default_configENS1_20scan_config_selectorIN3c104HalfEEEZZNS1_9scan_implILNS1_25lookback_scan_determinismE0ELb0ELb0ES3_PKS6_PS6_S6_ZZZN2at6native31launch_logcumsumexp_cuda_kernelERKNSD_10TensorBaseESH_lENKUlvE_clEvENKUlvE3_clEvEUlS6_S6_E_S6_EEDaPvRmT3_T4_T5_mT6_P12ihipStream_tbENKUlT_T0_E_clISt17integral_constantIbLb1EESY_EEDaST_SU_EUlST_E0_NS1_11comp_targetILNS1_3genE10ELNS1_11target_archE1200ELNS1_3gpuE4ELNS1_3repE0EEENS1_30default_config_static_selectorELNS0_4arch9wavefront6targetE0EEEvT1_,"axG",@progbits,_ZN7rocprim17ROCPRIM_400000_NS6detail17trampoline_kernelINS0_14default_configENS1_20scan_config_selectorIN3c104HalfEEEZZNS1_9scan_implILNS1_25lookback_scan_determinismE0ELb0ELb0ES3_PKS6_PS6_S6_ZZZN2at6native31launch_logcumsumexp_cuda_kernelERKNSD_10TensorBaseESH_lENKUlvE_clEvENKUlvE3_clEvEUlS6_S6_E_S6_EEDaPvRmT3_T4_T5_mT6_P12ihipStream_tbENKUlT_T0_E_clISt17integral_constantIbLb1EESY_EEDaST_SU_EUlST_E0_NS1_11comp_targetILNS1_3genE10ELNS1_11target_archE1200ELNS1_3gpuE4ELNS1_3repE0EEENS1_30default_config_static_selectorELNS0_4arch9wavefront6targetE0EEEvT1_,comdat
	.globl	_ZN7rocprim17ROCPRIM_400000_NS6detail17trampoline_kernelINS0_14default_configENS1_20scan_config_selectorIN3c104HalfEEEZZNS1_9scan_implILNS1_25lookback_scan_determinismE0ELb0ELb0ES3_PKS6_PS6_S6_ZZZN2at6native31launch_logcumsumexp_cuda_kernelERKNSD_10TensorBaseESH_lENKUlvE_clEvENKUlvE3_clEvEUlS6_S6_E_S6_EEDaPvRmT3_T4_T5_mT6_P12ihipStream_tbENKUlT_T0_E_clISt17integral_constantIbLb1EESY_EEDaST_SU_EUlST_E0_NS1_11comp_targetILNS1_3genE10ELNS1_11target_archE1200ELNS1_3gpuE4ELNS1_3repE0EEENS1_30default_config_static_selectorELNS0_4arch9wavefront6targetE0EEEvT1_ ; -- Begin function _ZN7rocprim17ROCPRIM_400000_NS6detail17trampoline_kernelINS0_14default_configENS1_20scan_config_selectorIN3c104HalfEEEZZNS1_9scan_implILNS1_25lookback_scan_determinismE0ELb0ELb0ES3_PKS6_PS6_S6_ZZZN2at6native31launch_logcumsumexp_cuda_kernelERKNSD_10TensorBaseESH_lENKUlvE_clEvENKUlvE3_clEvEUlS6_S6_E_S6_EEDaPvRmT3_T4_T5_mT6_P12ihipStream_tbENKUlT_T0_E_clISt17integral_constantIbLb1EESY_EEDaST_SU_EUlST_E0_NS1_11comp_targetILNS1_3genE10ELNS1_11target_archE1200ELNS1_3gpuE4ELNS1_3repE0EEENS1_30default_config_static_selectorELNS0_4arch9wavefront6targetE0EEEvT1_
	.p2align	8
	.type	_ZN7rocprim17ROCPRIM_400000_NS6detail17trampoline_kernelINS0_14default_configENS1_20scan_config_selectorIN3c104HalfEEEZZNS1_9scan_implILNS1_25lookback_scan_determinismE0ELb0ELb0ES3_PKS6_PS6_S6_ZZZN2at6native31launch_logcumsumexp_cuda_kernelERKNSD_10TensorBaseESH_lENKUlvE_clEvENKUlvE3_clEvEUlS6_S6_E_S6_EEDaPvRmT3_T4_T5_mT6_P12ihipStream_tbENKUlT_T0_E_clISt17integral_constantIbLb1EESY_EEDaST_SU_EUlST_E0_NS1_11comp_targetILNS1_3genE10ELNS1_11target_archE1200ELNS1_3gpuE4ELNS1_3repE0EEENS1_30default_config_static_selectorELNS0_4arch9wavefront6targetE0EEEvT1_,@function
_ZN7rocprim17ROCPRIM_400000_NS6detail17trampoline_kernelINS0_14default_configENS1_20scan_config_selectorIN3c104HalfEEEZZNS1_9scan_implILNS1_25lookback_scan_determinismE0ELb0ELb0ES3_PKS6_PS6_S6_ZZZN2at6native31launch_logcumsumexp_cuda_kernelERKNSD_10TensorBaseESH_lENKUlvE_clEvENKUlvE3_clEvEUlS6_S6_E_S6_EEDaPvRmT3_T4_T5_mT6_P12ihipStream_tbENKUlT_T0_E_clISt17integral_constantIbLb1EESY_EEDaST_SU_EUlST_E0_NS1_11comp_targetILNS1_3genE10ELNS1_11target_archE1200ELNS1_3gpuE4ELNS1_3repE0EEENS1_30default_config_static_selectorELNS0_4arch9wavefront6targetE0EEEvT1_: ; @_ZN7rocprim17ROCPRIM_400000_NS6detail17trampoline_kernelINS0_14default_configENS1_20scan_config_selectorIN3c104HalfEEEZZNS1_9scan_implILNS1_25lookback_scan_determinismE0ELb0ELb0ES3_PKS6_PS6_S6_ZZZN2at6native31launch_logcumsumexp_cuda_kernelERKNSD_10TensorBaseESH_lENKUlvE_clEvENKUlvE3_clEvEUlS6_S6_E_S6_EEDaPvRmT3_T4_T5_mT6_P12ihipStream_tbENKUlT_T0_E_clISt17integral_constantIbLb1EESY_EEDaST_SU_EUlST_E0_NS1_11comp_targetILNS1_3genE10ELNS1_11target_archE1200ELNS1_3gpuE4ELNS1_3repE0EEENS1_30default_config_static_selectorELNS0_4arch9wavefront6targetE0EEEvT1_
; %bb.0:
	.section	.rodata,"a",@progbits
	.p2align	6, 0x0
	.amdhsa_kernel _ZN7rocprim17ROCPRIM_400000_NS6detail17trampoline_kernelINS0_14default_configENS1_20scan_config_selectorIN3c104HalfEEEZZNS1_9scan_implILNS1_25lookback_scan_determinismE0ELb0ELb0ES3_PKS6_PS6_S6_ZZZN2at6native31launch_logcumsumexp_cuda_kernelERKNSD_10TensorBaseESH_lENKUlvE_clEvENKUlvE3_clEvEUlS6_S6_E_S6_EEDaPvRmT3_T4_T5_mT6_P12ihipStream_tbENKUlT_T0_E_clISt17integral_constantIbLb1EESY_EEDaST_SU_EUlST_E0_NS1_11comp_targetILNS1_3genE10ELNS1_11target_archE1200ELNS1_3gpuE4ELNS1_3repE0EEENS1_30default_config_static_selectorELNS0_4arch9wavefront6targetE0EEEvT1_
		.amdhsa_group_segment_fixed_size 0
		.amdhsa_private_segment_fixed_size 0
		.amdhsa_kernarg_size 32
		.amdhsa_user_sgpr_count 15
		.amdhsa_user_sgpr_dispatch_ptr 0
		.amdhsa_user_sgpr_queue_ptr 0
		.amdhsa_user_sgpr_kernarg_segment_ptr 1
		.amdhsa_user_sgpr_dispatch_id 0
		.amdhsa_user_sgpr_private_segment_size 0
		.amdhsa_wavefront_size32 1
		.amdhsa_uses_dynamic_stack 0
		.amdhsa_enable_private_segment 0
		.amdhsa_system_sgpr_workgroup_id_x 1
		.amdhsa_system_sgpr_workgroup_id_y 0
		.amdhsa_system_sgpr_workgroup_id_z 0
		.amdhsa_system_sgpr_workgroup_info 0
		.amdhsa_system_vgpr_workitem_id 0
		.amdhsa_next_free_vgpr 1
		.amdhsa_next_free_sgpr 1
		.amdhsa_reserve_vcc 0
		.amdhsa_float_round_mode_32 0
		.amdhsa_float_round_mode_16_64 0
		.amdhsa_float_denorm_mode_32 3
		.amdhsa_float_denorm_mode_16_64 3
		.amdhsa_dx10_clamp 1
		.amdhsa_ieee_mode 1
		.amdhsa_fp16_overflow 0
		.amdhsa_workgroup_processor_mode 1
		.amdhsa_memory_ordered 1
		.amdhsa_forward_progress 0
		.amdhsa_shared_vgpr_count 0
		.amdhsa_exception_fp_ieee_invalid_op 0
		.amdhsa_exception_fp_denorm_src 0
		.amdhsa_exception_fp_ieee_div_zero 0
		.amdhsa_exception_fp_ieee_overflow 0
		.amdhsa_exception_fp_ieee_underflow 0
		.amdhsa_exception_fp_ieee_inexact 0
		.amdhsa_exception_int_div_zero 0
	.end_amdhsa_kernel
	.section	.text._ZN7rocprim17ROCPRIM_400000_NS6detail17trampoline_kernelINS0_14default_configENS1_20scan_config_selectorIN3c104HalfEEEZZNS1_9scan_implILNS1_25lookback_scan_determinismE0ELb0ELb0ES3_PKS6_PS6_S6_ZZZN2at6native31launch_logcumsumexp_cuda_kernelERKNSD_10TensorBaseESH_lENKUlvE_clEvENKUlvE3_clEvEUlS6_S6_E_S6_EEDaPvRmT3_T4_T5_mT6_P12ihipStream_tbENKUlT_T0_E_clISt17integral_constantIbLb1EESY_EEDaST_SU_EUlST_E0_NS1_11comp_targetILNS1_3genE10ELNS1_11target_archE1200ELNS1_3gpuE4ELNS1_3repE0EEENS1_30default_config_static_selectorELNS0_4arch9wavefront6targetE0EEEvT1_,"axG",@progbits,_ZN7rocprim17ROCPRIM_400000_NS6detail17trampoline_kernelINS0_14default_configENS1_20scan_config_selectorIN3c104HalfEEEZZNS1_9scan_implILNS1_25lookback_scan_determinismE0ELb0ELb0ES3_PKS6_PS6_S6_ZZZN2at6native31launch_logcumsumexp_cuda_kernelERKNSD_10TensorBaseESH_lENKUlvE_clEvENKUlvE3_clEvEUlS6_S6_E_S6_EEDaPvRmT3_T4_T5_mT6_P12ihipStream_tbENKUlT_T0_E_clISt17integral_constantIbLb1EESY_EEDaST_SU_EUlST_E0_NS1_11comp_targetILNS1_3genE10ELNS1_11target_archE1200ELNS1_3gpuE4ELNS1_3repE0EEENS1_30default_config_static_selectorELNS0_4arch9wavefront6targetE0EEEvT1_,comdat
.Lfunc_end399:
	.size	_ZN7rocprim17ROCPRIM_400000_NS6detail17trampoline_kernelINS0_14default_configENS1_20scan_config_selectorIN3c104HalfEEEZZNS1_9scan_implILNS1_25lookback_scan_determinismE0ELb0ELb0ES3_PKS6_PS6_S6_ZZZN2at6native31launch_logcumsumexp_cuda_kernelERKNSD_10TensorBaseESH_lENKUlvE_clEvENKUlvE3_clEvEUlS6_S6_E_S6_EEDaPvRmT3_T4_T5_mT6_P12ihipStream_tbENKUlT_T0_E_clISt17integral_constantIbLb1EESY_EEDaST_SU_EUlST_E0_NS1_11comp_targetILNS1_3genE10ELNS1_11target_archE1200ELNS1_3gpuE4ELNS1_3repE0EEENS1_30default_config_static_selectorELNS0_4arch9wavefront6targetE0EEEvT1_, .Lfunc_end399-_ZN7rocprim17ROCPRIM_400000_NS6detail17trampoline_kernelINS0_14default_configENS1_20scan_config_selectorIN3c104HalfEEEZZNS1_9scan_implILNS1_25lookback_scan_determinismE0ELb0ELb0ES3_PKS6_PS6_S6_ZZZN2at6native31launch_logcumsumexp_cuda_kernelERKNSD_10TensorBaseESH_lENKUlvE_clEvENKUlvE3_clEvEUlS6_S6_E_S6_EEDaPvRmT3_T4_T5_mT6_P12ihipStream_tbENKUlT_T0_E_clISt17integral_constantIbLb1EESY_EEDaST_SU_EUlST_E0_NS1_11comp_targetILNS1_3genE10ELNS1_11target_archE1200ELNS1_3gpuE4ELNS1_3repE0EEENS1_30default_config_static_selectorELNS0_4arch9wavefront6targetE0EEEvT1_
                                        ; -- End function
	.section	.AMDGPU.csdata,"",@progbits
; Kernel info:
; codeLenInByte = 0
; NumSgprs: 0
; NumVgprs: 0
; ScratchSize: 0
; MemoryBound: 0
; FloatMode: 240
; IeeeMode: 1
; LDSByteSize: 0 bytes/workgroup (compile time only)
; SGPRBlocks: 0
; VGPRBlocks: 0
; NumSGPRsForWavesPerEU: 1
; NumVGPRsForWavesPerEU: 1
; Occupancy: 16
; WaveLimiterHint : 0
; COMPUTE_PGM_RSRC2:SCRATCH_EN: 0
; COMPUTE_PGM_RSRC2:USER_SGPR: 15
; COMPUTE_PGM_RSRC2:TRAP_HANDLER: 0
; COMPUTE_PGM_RSRC2:TGID_X_EN: 1
; COMPUTE_PGM_RSRC2:TGID_Y_EN: 0
; COMPUTE_PGM_RSRC2:TGID_Z_EN: 0
; COMPUTE_PGM_RSRC2:TIDIG_COMP_CNT: 0
	.section	.text._ZN7rocprim17ROCPRIM_400000_NS6detail17trampoline_kernelINS0_14default_configENS1_20scan_config_selectorIN3c104HalfEEEZZNS1_9scan_implILNS1_25lookback_scan_determinismE0ELb0ELb0ES3_PKS6_PS6_S6_ZZZN2at6native31launch_logcumsumexp_cuda_kernelERKNSD_10TensorBaseESH_lENKUlvE_clEvENKUlvE3_clEvEUlS6_S6_E_S6_EEDaPvRmT3_T4_T5_mT6_P12ihipStream_tbENKUlT_T0_E_clISt17integral_constantIbLb1EESY_EEDaST_SU_EUlST_E0_NS1_11comp_targetILNS1_3genE9ELNS1_11target_archE1100ELNS1_3gpuE3ELNS1_3repE0EEENS1_30default_config_static_selectorELNS0_4arch9wavefront6targetE0EEEvT1_,"axG",@progbits,_ZN7rocprim17ROCPRIM_400000_NS6detail17trampoline_kernelINS0_14default_configENS1_20scan_config_selectorIN3c104HalfEEEZZNS1_9scan_implILNS1_25lookback_scan_determinismE0ELb0ELb0ES3_PKS6_PS6_S6_ZZZN2at6native31launch_logcumsumexp_cuda_kernelERKNSD_10TensorBaseESH_lENKUlvE_clEvENKUlvE3_clEvEUlS6_S6_E_S6_EEDaPvRmT3_T4_T5_mT6_P12ihipStream_tbENKUlT_T0_E_clISt17integral_constantIbLb1EESY_EEDaST_SU_EUlST_E0_NS1_11comp_targetILNS1_3genE9ELNS1_11target_archE1100ELNS1_3gpuE3ELNS1_3repE0EEENS1_30default_config_static_selectorELNS0_4arch9wavefront6targetE0EEEvT1_,comdat
	.globl	_ZN7rocprim17ROCPRIM_400000_NS6detail17trampoline_kernelINS0_14default_configENS1_20scan_config_selectorIN3c104HalfEEEZZNS1_9scan_implILNS1_25lookback_scan_determinismE0ELb0ELb0ES3_PKS6_PS6_S6_ZZZN2at6native31launch_logcumsumexp_cuda_kernelERKNSD_10TensorBaseESH_lENKUlvE_clEvENKUlvE3_clEvEUlS6_S6_E_S6_EEDaPvRmT3_T4_T5_mT6_P12ihipStream_tbENKUlT_T0_E_clISt17integral_constantIbLb1EESY_EEDaST_SU_EUlST_E0_NS1_11comp_targetILNS1_3genE9ELNS1_11target_archE1100ELNS1_3gpuE3ELNS1_3repE0EEENS1_30default_config_static_selectorELNS0_4arch9wavefront6targetE0EEEvT1_ ; -- Begin function _ZN7rocprim17ROCPRIM_400000_NS6detail17trampoline_kernelINS0_14default_configENS1_20scan_config_selectorIN3c104HalfEEEZZNS1_9scan_implILNS1_25lookback_scan_determinismE0ELb0ELb0ES3_PKS6_PS6_S6_ZZZN2at6native31launch_logcumsumexp_cuda_kernelERKNSD_10TensorBaseESH_lENKUlvE_clEvENKUlvE3_clEvEUlS6_S6_E_S6_EEDaPvRmT3_T4_T5_mT6_P12ihipStream_tbENKUlT_T0_E_clISt17integral_constantIbLb1EESY_EEDaST_SU_EUlST_E0_NS1_11comp_targetILNS1_3genE9ELNS1_11target_archE1100ELNS1_3gpuE3ELNS1_3repE0EEENS1_30default_config_static_selectorELNS0_4arch9wavefront6targetE0EEEvT1_
	.p2align	8
	.type	_ZN7rocprim17ROCPRIM_400000_NS6detail17trampoline_kernelINS0_14default_configENS1_20scan_config_selectorIN3c104HalfEEEZZNS1_9scan_implILNS1_25lookback_scan_determinismE0ELb0ELb0ES3_PKS6_PS6_S6_ZZZN2at6native31launch_logcumsumexp_cuda_kernelERKNSD_10TensorBaseESH_lENKUlvE_clEvENKUlvE3_clEvEUlS6_S6_E_S6_EEDaPvRmT3_T4_T5_mT6_P12ihipStream_tbENKUlT_T0_E_clISt17integral_constantIbLb1EESY_EEDaST_SU_EUlST_E0_NS1_11comp_targetILNS1_3genE9ELNS1_11target_archE1100ELNS1_3gpuE3ELNS1_3repE0EEENS1_30default_config_static_selectorELNS0_4arch9wavefront6targetE0EEEvT1_,@function
_ZN7rocprim17ROCPRIM_400000_NS6detail17trampoline_kernelINS0_14default_configENS1_20scan_config_selectorIN3c104HalfEEEZZNS1_9scan_implILNS1_25lookback_scan_determinismE0ELb0ELb0ES3_PKS6_PS6_S6_ZZZN2at6native31launch_logcumsumexp_cuda_kernelERKNSD_10TensorBaseESH_lENKUlvE_clEvENKUlvE3_clEvEUlS6_S6_E_S6_EEDaPvRmT3_T4_T5_mT6_P12ihipStream_tbENKUlT_T0_E_clISt17integral_constantIbLb1EESY_EEDaST_SU_EUlST_E0_NS1_11comp_targetILNS1_3genE9ELNS1_11target_archE1100ELNS1_3gpuE3ELNS1_3repE0EEENS1_30default_config_static_selectorELNS0_4arch9wavefront6targetE0EEEvT1_: ; @_ZN7rocprim17ROCPRIM_400000_NS6detail17trampoline_kernelINS0_14default_configENS1_20scan_config_selectorIN3c104HalfEEEZZNS1_9scan_implILNS1_25lookback_scan_determinismE0ELb0ELb0ES3_PKS6_PS6_S6_ZZZN2at6native31launch_logcumsumexp_cuda_kernelERKNSD_10TensorBaseESH_lENKUlvE_clEvENKUlvE3_clEvEUlS6_S6_E_S6_EEDaPvRmT3_T4_T5_mT6_P12ihipStream_tbENKUlT_T0_E_clISt17integral_constantIbLb1EESY_EEDaST_SU_EUlST_E0_NS1_11comp_targetILNS1_3genE9ELNS1_11target_archE1100ELNS1_3gpuE3ELNS1_3repE0EEENS1_30default_config_static_selectorELNS0_4arch9wavefront6targetE0EEEvT1_
; %bb.0:
	s_load_b128 s[24:27], s[0:1], 0x0
	v_dual_mov_b32 v1, 0 :: v_dual_lshlrev_b32 v12, 1, v0
	s_waitcnt lgkmcnt(0)
	global_load_u16 v2, v1, s[24:25]
	v_cmp_gt_u32_e32 vcc_lo, s26, v0
	s_waitcnt vmcnt(0)
	v_mov_b32_e32 v3, v2
	s_and_saveexec_b32 s2, vcc_lo
	s_cbranch_execz .LBB400_2
; %bb.1:
	global_load_u16 v3, v12, s[24:25]
.LBB400_2:
	s_or_b32 exec_lo, exec_lo, s2
	v_or_b32_e32 v1, 64, v0
	v_mov_b32_e32 v4, v2
	s_delay_alu instid0(VALU_DEP_2) | instskip(NEXT) | instid1(VALU_DEP_1)
	v_cmp_gt_u32_e64 s2, s26, v1
	s_and_saveexec_b32 s3, s2
	s_cbranch_execz .LBB400_4
; %bb.3:
	global_load_u16 v4, v12, s[24:25] offset:128
.LBB400_4:
	s_or_b32 exec_lo, exec_lo, s3
	v_or_b32_e32 v1, 0x80, v0
	v_mov_b32_e32 v5, v2
	s_delay_alu instid0(VALU_DEP_2) | instskip(NEXT) | instid1(VALU_DEP_1)
	v_cmp_gt_u32_e64 s3, s26, v1
	s_and_saveexec_b32 s4, s3
	s_cbranch_execz .LBB400_6
; %bb.5:
	global_load_u16 v5, v12, s[24:25] offset:256
.LBB400_6:
	;; [unrolled: 10-line block ×20, first 2 shown]
	s_or_b32 exec_lo, exec_lo, s22
	v_or_b32_e32 v1, 0x540, v0
	s_delay_alu instid0(VALU_DEP_1) | instskip(SKIP_1) | instid1(VALU_DEP_1)
	v_cmp_gt_u32_e64 s22, s26, v1
	v_cmp_le_u32_e64 s23, s26, v1
	s_and_saveexec_b32 s26, s23
	s_delay_alu instid0(SALU_CYCLE_1)
	s_xor_b32 s23, exec_lo, s26
; %bb.43:
	v_mov_b32_e32 v1, 0
; %bb.44:
	s_and_not1_saveexec_b32 s23, s23
	s_cbranch_execz .LBB400_46
; %bb.45:
	global_load_u16 v2, v12, s[24:25] offset:2688
	v_mov_b32_e32 v1, 0
.LBB400_46:
	s_or_b32 exec_lo, exec_lo, s23
	s_waitcnt vmcnt(0)
	ds_store_b16 v12, v3
	ds_store_b16 v12, v4 offset:128
	ds_store_b16 v12, v5 offset:256
	;; [unrolled: 1-line block ×15, first 2 shown]
	v_mad_u32_u24 v15, v0, 42, v12
	ds_store_b16 v12, v20 offset:2048
	ds_store_b16 v12, v21 offset:2176
	;; [unrolled: 1-line block ×6, first 2 shown]
	s_waitcnt lgkmcnt(0)
	s_barrier
	buffer_gl0_inv
	ds_load_2addr_b32 v[2:3], v15 offset1:1
	ds_load_2addr_b32 v[10:11], v15 offset0:2 offset1:3
	ds_load_2addr_b32 v[8:9], v15 offset0:4 offset1:5
	;; [unrolled: 1-line block ×4, first 2 shown]
	ds_load_b32 v25, v15 offset:40
	s_waitcnt lgkmcnt(0)
	s_barrier
	buffer_gl0_inv
	v_lshrrev_b32_e32 v16, 16, v2
	v_cvt_f32_f16_e32 v13, v2
	v_cmp_u_f16_e64 s45, v2, v2
	v_mov_b32_e32 v28, v2
	v_mov_b32_e32 v29, v2
	v_cvt_f32_f16_e32 v14, v16
	v_cmp_u_f16_e64 s23, v16, v16
	v_mov_b32_e32 v30, v13
	s_delay_alu instid0(VALU_DEP_3) | instskip(SKIP_1) | instid1(VALU_DEP_2)
	v_min_f32_e32 v26, v13, v14
	v_max_f32_e32 v27, v13, v14
	v_cndmask_b32_e64 v15, v26, v13, s45
	s_delay_alu instid0(VALU_DEP_2) | instskip(NEXT) | instid1(VALU_DEP_2)
	v_cndmask_b32_e64 v17, v27, v13, s45
	v_cndmask_b32_e64 v16, v15, v14, s23
	s_delay_alu instid0(VALU_DEP_2) | instskip(NEXT) | instid1(VALU_DEP_2)
	v_cndmask_b32_e64 v15, v17, v14, s23
	v_cmp_class_f32_e64 s25, v16, 0x1f8
	s_delay_alu instid0(VALU_DEP_2) | instskip(NEXT) | instid1(VALU_DEP_1)
	v_cmp_neq_f32_e64 s24, v16, v15
	s_or_b32 s24, s24, s25
	s_delay_alu instid0(SALU_CYCLE_1)
	s_and_saveexec_b32 s25, s24
	s_cbranch_execz .LBB400_48
; %bb.47:
	v_sub_f32_e32 v16, v16, v15
	s_delay_alu instid0(VALU_DEP_1) | instskip(NEXT) | instid1(VALU_DEP_1)
	v_mul_f32_e32 v17, 0x3fb8aa3b, v16
	v_fma_f32 v18, 0x3fb8aa3b, v16, -v17
	v_rndne_f32_e32 v19, v17
	s_delay_alu instid0(VALU_DEP_1) | instskip(NEXT) | instid1(VALU_DEP_1)
	v_dual_fmamk_f32 v18, v16, 0x32a5705f, v18 :: v_dual_sub_f32 v17, v17, v19
	v_add_f32_e32 v17, v17, v18
	v_cvt_i32_f32_e32 v18, v19
	v_cmp_ngt_f32_e64 s24, 0xc2ce8ed0, v16
	s_delay_alu instid0(VALU_DEP_3) | instskip(SKIP_2) | instid1(VALU_DEP_1)
	v_exp_f32_e32 v17, v17
	s_waitcnt_depctr 0xfff
	v_ldexp_f32 v17, v17, v18
	v_cndmask_b32_e64 v17, 0, v17, s24
	v_cmp_nlt_f32_e64 s24, 0x42b17218, v16
	s_delay_alu instid0(VALU_DEP_1) | instskip(NEXT) | instid1(VALU_DEP_1)
	v_cndmask_b32_e64 v18, 0x7f800000, v17, s24
	v_add_f32_e32 v19, 1.0, v18
	v_cmp_gt_f32_e64 s26, 0x33800000, |v18|
	s_delay_alu instid0(VALU_DEP_2) | instskip(NEXT) | instid1(VALU_DEP_1)
	v_cvt_f64_f32_e32 v[16:17], v19
	v_frexp_exp_i32_f64_e32 v16, v[16:17]
	v_frexp_mant_f32_e32 v17, v19
	s_delay_alu instid0(VALU_DEP_1) | instskip(SKIP_1) | instid1(VALU_DEP_1)
	v_cmp_gt_f32_e64 s24, 0x3f2aaaab, v17
	v_add_f32_e32 v17, -1.0, v19
	v_sub_f32_e32 v21, v17, v19
	s_delay_alu instid0(VALU_DEP_1) | instskip(NEXT) | instid1(VALU_DEP_4)
	v_add_f32_e32 v21, 1.0, v21
	v_subrev_co_ci_u32_e64 v16, s24, 0, v16, s24
	s_mov_b32 s24, 0x3e9b6dac
	s_delay_alu instid0(VALU_DEP_1) | instskip(SKIP_1) | instid1(VALU_DEP_2)
	v_sub_nc_u32_e32 v20, 0, v16
	v_cvt_f32_i32_e32 v16, v16
	v_ldexp_f32 v19, v19, v20
	s_delay_alu instid0(VALU_DEP_1) | instskip(NEXT) | instid1(VALU_DEP_1)
	v_dual_sub_f32 v17, v18, v17 :: v_dual_add_f32 v22, 1.0, v19
	v_add_f32_e32 v17, v17, v21
	s_delay_alu instid0(VALU_DEP_2) | instskip(NEXT) | instid1(VALU_DEP_2)
	v_add_f32_e32 v21, -1.0, v22
	v_ldexp_f32 v17, v17, v20
	s_delay_alu instid0(VALU_DEP_2) | instskip(NEXT) | instid1(VALU_DEP_1)
	v_dual_add_f32 v20, -1.0, v19 :: v_dual_sub_f32 v21, v19, v21
	v_add_f32_e32 v23, 1.0, v20
	s_delay_alu instid0(VALU_DEP_2) | instskip(NEXT) | instid1(VALU_DEP_2)
	v_add_f32_e32 v21, v17, v21
	v_sub_f32_e32 v19, v19, v23
	s_delay_alu instid0(VALU_DEP_2) | instskip(NEXT) | instid1(VALU_DEP_2)
	v_add_f32_e32 v23, v22, v21
	v_add_f32_e32 v17, v17, v19
	s_delay_alu instid0(VALU_DEP_2) | instskip(SKIP_1) | instid1(VALU_DEP_1)
	v_rcp_f32_e32 v19, v23
	v_sub_f32_e32 v22, v22, v23
	v_dual_add_f32 v24, v20, v17 :: v_dual_add_f32 v21, v21, v22
	s_delay_alu instid0(VALU_DEP_1) | instskip(SKIP_2) | instid1(VALU_DEP_1)
	v_sub_f32_e32 v20, v20, v24
	s_waitcnt_depctr 0xfff
	v_dual_mul_f32 v28, v24, v19 :: v_dual_add_f32 v17, v17, v20
	v_mul_f32_e32 v29, v23, v28
	s_delay_alu instid0(VALU_DEP_1) | instskip(NEXT) | instid1(VALU_DEP_1)
	v_fma_f32 v22, v28, v23, -v29
	v_fmac_f32_e32 v22, v28, v21
	s_delay_alu instid0(VALU_DEP_1) | instskip(NEXT) | instid1(VALU_DEP_1)
	v_add_f32_e32 v30, v29, v22
	v_dual_sub_f32 v31, v24, v30 :: v_dual_sub_f32 v20, v30, v29
	s_delay_alu instid0(VALU_DEP_1) | instskip(NEXT) | instid1(VALU_DEP_2)
	v_sub_f32_e32 v24, v24, v31
	v_sub_f32_e32 v20, v20, v22
	s_delay_alu instid0(VALU_DEP_2) | instskip(NEXT) | instid1(VALU_DEP_1)
	v_sub_f32_e32 v24, v24, v30
	v_add_f32_e32 v17, v17, v24
	s_delay_alu instid0(VALU_DEP_1) | instskip(NEXT) | instid1(VALU_DEP_1)
	v_add_f32_e32 v17, v20, v17
	v_add_f32_e32 v20, v31, v17
	s_delay_alu instid0(VALU_DEP_1) | instskip(NEXT) | instid1(VALU_DEP_1)
	v_mul_f32_e32 v22, v19, v20
	v_mul_f32_e32 v24, v23, v22
	s_delay_alu instid0(VALU_DEP_1) | instskip(NEXT) | instid1(VALU_DEP_1)
	v_fma_f32 v23, v22, v23, -v24
	v_fmac_f32_e32 v23, v22, v21
	s_delay_alu instid0(VALU_DEP_1) | instskip(NEXT) | instid1(VALU_DEP_1)
	v_add_f32_e32 v21, v24, v23
	v_dual_sub_f32 v29, v20, v21 :: v_dual_sub_f32 v24, v21, v24
	v_sub_f32_e32 v30, v31, v20
	s_delay_alu instid0(VALU_DEP_1) | instskip(NEXT) | instid1(VALU_DEP_1)
	v_dual_sub_f32 v20, v20, v29 :: v_dual_add_f32 v17, v17, v30
	v_sub_f32_e32 v20, v20, v21
	s_delay_alu instid0(VALU_DEP_4) | instskip(NEXT) | instid1(VALU_DEP_2)
	v_sub_f32_e32 v21, v24, v23
	v_dual_add_f32 v17, v17, v20 :: v_dual_add_f32 v20, v28, v22
	s_delay_alu instid0(VALU_DEP_1) | instskip(NEXT) | instid1(VALU_DEP_2)
	v_add_f32_e32 v17, v21, v17
	v_sub_f32_e32 v21, v20, v28
	s_delay_alu instid0(VALU_DEP_2) | instskip(NEXT) | instid1(VALU_DEP_2)
	v_add_f32_e32 v17, v29, v17
	v_sub_f32_e32 v21, v22, v21
	s_delay_alu instid0(VALU_DEP_2) | instskip(NEXT) | instid1(VALU_DEP_1)
	v_mul_f32_e32 v17, v19, v17
	v_add_f32_e32 v17, v21, v17
	s_delay_alu instid0(VALU_DEP_1) | instskip(NEXT) | instid1(VALU_DEP_1)
	v_add_f32_e32 v19, v20, v17
	v_mul_f32_e32 v21, v19, v19
	s_delay_alu instid0(VALU_DEP_1) | instskip(SKIP_2) | instid1(VALU_DEP_3)
	v_fmaak_f32 v22, s24, v21, 0x3ecc95a3
	v_mul_f32_e32 v23, v19, v21
	v_cmp_eq_f32_e64 s24, 0x7f800000, v18
	v_fmaak_f32 v21, v21, v22, 0x3f2aaada
	v_ldexp_f32 v22, v19, 1
	v_sub_f32_e32 v19, v19, v20
	s_delay_alu instid0(VALU_DEP_4) | instskip(NEXT) | instid1(VALU_DEP_3)
	s_or_b32 s24, s24, s26
	v_mul_f32_e32 v21, v23, v21
	s_delay_alu instid0(VALU_DEP_1) | instskip(NEXT) | instid1(VALU_DEP_1)
	v_dual_sub_f32 v17, v17, v19 :: v_dual_add_f32 v20, v22, v21
	v_ldexp_f32 v17, v17, 1
	s_delay_alu instid0(VALU_DEP_2) | instskip(NEXT) | instid1(VALU_DEP_1)
	v_sub_f32_e32 v19, v20, v22
	v_sub_f32_e32 v19, v21, v19
	s_delay_alu instid0(VALU_DEP_1) | instskip(NEXT) | instid1(VALU_DEP_1)
	v_add_f32_e32 v17, v17, v19
	v_add_f32_e32 v21, v20, v17
	v_mul_f32_e32 v23, 0x3f317218, v16
	s_delay_alu instid0(VALU_DEP_2) | instskip(NEXT) | instid1(VALU_DEP_2)
	v_sub_f32_e32 v20, v21, v20
	v_fma_f32 v22, 0x3f317218, v16, -v23
	s_delay_alu instid0(VALU_DEP_1) | instskip(NEXT) | instid1(VALU_DEP_1)
	v_dual_sub_f32 v17, v17, v20 :: v_dual_fmamk_f32 v16, v16, 0xb102e308, v22
	v_add_f32_e32 v19, v23, v16
	s_delay_alu instid0(VALU_DEP_1) | instskip(SKIP_1) | instid1(VALU_DEP_2)
	v_add_f32_e32 v22, v19, v21
	v_sub_f32_e32 v23, v19, v23
	v_sub_f32_e32 v24, v22, v19
	s_delay_alu instid0(VALU_DEP_2) | instskip(NEXT) | instid1(VALU_DEP_2)
	v_sub_f32_e32 v16, v16, v23
	v_sub_f32_e32 v28, v22, v24
	s_delay_alu instid0(VALU_DEP_2) | instskip(NEXT) | instid1(VALU_DEP_2)
	v_dual_sub_f32 v20, v21, v24 :: v_dual_add_f32 v21, v16, v17
	v_sub_f32_e32 v19, v19, v28
	s_delay_alu instid0(VALU_DEP_1) | instskip(NEXT) | instid1(VALU_DEP_1)
	v_dual_add_f32 v19, v20, v19 :: v_dual_sub_f32 v20, v21, v16
	v_add_f32_e32 v19, v21, v19
	s_delay_alu instid0(VALU_DEP_2) | instskip(SKIP_1) | instid1(VALU_DEP_2)
	v_sub_f32_e32 v21, v21, v20
	v_sub_f32_e32 v17, v17, v20
	v_dual_add_f32 v23, v22, v19 :: v_dual_sub_f32 v16, v16, v21
	s_delay_alu instid0(VALU_DEP_1) | instskip(NEXT) | instid1(VALU_DEP_2)
	v_sub_f32_e32 v20, v23, v22
	v_add_f32_e32 v16, v17, v16
	s_delay_alu instid0(VALU_DEP_2) | instskip(NEXT) | instid1(VALU_DEP_1)
	v_sub_f32_e32 v17, v19, v20
	v_add_f32_e32 v16, v16, v17
	s_delay_alu instid0(VALU_DEP_1) | instskip(NEXT) | instid1(VALU_DEP_1)
	v_add_f32_e32 v16, v23, v16
	v_cndmask_b32_e64 v16, v16, v18, s24
	s_delay_alu instid0(VALU_DEP_1) | instskip(NEXT) | instid1(VALU_DEP_1)
	v_add_f32_e32 v15, v15, v16
	v_cvt_f16_f32_e32 v28, v15
	s_delay_alu instid0(VALU_DEP_1)
	v_cvt_f32_f16_e32 v30, v28
	v_mov_b32_e32 v29, v28
.LBB400_48:
	s_or_b32 exec_lo, exec_lo, s25
	v_cvt_f32_f16_e32 v15, v3
	s_delay_alu instid0(VALU_DEP_3) | instskip(SKIP_1) | instid1(VALU_DEP_2)
	v_max_f32_e32 v16, v30, v30
	v_cmp_u_f16_e64 s24, v28, v28
	v_min_f32_e32 v17, v16, v15
	v_max_f32_e32 v16, v16, v15
	s_delay_alu instid0(VALU_DEP_2) | instskip(NEXT) | instid1(VALU_DEP_2)
	v_cndmask_b32_e64 v17, v17, v30, s24
	v_cndmask_b32_e64 v16, v16, v30, s24
	v_cmp_u_f16_e64 s24, v3, v3
	s_delay_alu instid0(VALU_DEP_1) | instskip(NEXT) | instid1(VALU_DEP_3)
	v_cndmask_b32_e64 v17, v17, v15, s24
	v_cndmask_b32_e64 v16, v16, v15, s24
	s_delay_alu instid0(VALU_DEP_2) | instskip(NEXT) | instid1(VALU_DEP_2)
	v_cmp_class_f32_e64 s26, v17, 0x1f8
	v_cmp_neq_f32_e64 s25, v17, v16
	s_delay_alu instid0(VALU_DEP_1) | instskip(NEXT) | instid1(SALU_CYCLE_1)
	s_or_b32 s25, s25, s26
	s_and_saveexec_b32 s26, s25
	s_cbranch_execz .LBB400_50
; %bb.49:
	v_sub_f32_e32 v17, v17, v16
	s_delay_alu instid0(VALU_DEP_1) | instskip(NEXT) | instid1(VALU_DEP_1)
	v_mul_f32_e32 v18, 0x3fb8aa3b, v17
	v_fma_f32 v19, 0x3fb8aa3b, v17, -v18
	v_rndne_f32_e32 v20, v18
	s_delay_alu instid0(VALU_DEP_1) | instskip(NEXT) | instid1(VALU_DEP_1)
	v_dual_fmamk_f32 v19, v17, 0x32a5705f, v19 :: v_dual_sub_f32 v18, v18, v20
	v_add_f32_e32 v18, v18, v19
	v_cvt_i32_f32_e32 v19, v20
	v_cmp_ngt_f32_e64 s25, 0xc2ce8ed0, v17
	s_delay_alu instid0(VALU_DEP_3) | instskip(SKIP_2) | instid1(VALU_DEP_1)
	v_exp_f32_e32 v18, v18
	s_waitcnt_depctr 0xfff
	v_ldexp_f32 v18, v18, v19
	v_cndmask_b32_e64 v18, 0, v18, s25
	v_cmp_nlt_f32_e64 s25, 0x42b17218, v17
	s_delay_alu instid0(VALU_DEP_1) | instskip(NEXT) | instid1(VALU_DEP_1)
	v_cndmask_b32_e64 v19, 0x7f800000, v18, s25
	v_add_f32_e32 v20, 1.0, v19
	v_cmp_gt_f32_e64 s27, 0x33800000, |v19|
	s_delay_alu instid0(VALU_DEP_2) | instskip(NEXT) | instid1(VALU_DEP_1)
	v_cvt_f64_f32_e32 v[17:18], v20
	v_frexp_exp_i32_f64_e32 v17, v[17:18]
	v_frexp_mant_f32_e32 v18, v20
	s_delay_alu instid0(VALU_DEP_1) | instskip(SKIP_1) | instid1(VALU_DEP_1)
	v_cmp_gt_f32_e64 s25, 0x3f2aaaab, v18
	v_add_f32_e32 v18, -1.0, v20
	v_sub_f32_e32 v22, v18, v20
	s_delay_alu instid0(VALU_DEP_1) | instskip(NEXT) | instid1(VALU_DEP_4)
	v_add_f32_e32 v22, 1.0, v22
	v_subrev_co_ci_u32_e64 v17, s25, 0, v17, s25
	s_mov_b32 s25, 0x3e9b6dac
	s_delay_alu instid0(VALU_DEP_1) | instskip(SKIP_1) | instid1(VALU_DEP_2)
	v_sub_nc_u32_e32 v21, 0, v17
	v_cvt_f32_i32_e32 v17, v17
	v_ldexp_f32 v20, v20, v21
	s_delay_alu instid0(VALU_DEP_1) | instskip(NEXT) | instid1(VALU_DEP_1)
	v_dual_sub_f32 v18, v19, v18 :: v_dual_add_f32 v23, 1.0, v20
	v_add_f32_e32 v18, v18, v22
	s_delay_alu instid0(VALU_DEP_2) | instskip(NEXT) | instid1(VALU_DEP_2)
	v_add_f32_e32 v22, -1.0, v23
	v_ldexp_f32 v18, v18, v21
	s_delay_alu instid0(VALU_DEP_2) | instskip(NEXT) | instid1(VALU_DEP_1)
	v_dual_add_f32 v21, -1.0, v20 :: v_dual_sub_f32 v22, v20, v22
	v_add_f32_e32 v24, 1.0, v21
	s_delay_alu instid0(VALU_DEP_2) | instskip(NEXT) | instid1(VALU_DEP_2)
	v_add_f32_e32 v22, v18, v22
	v_sub_f32_e32 v20, v20, v24
	s_delay_alu instid0(VALU_DEP_2) | instskip(NEXT) | instid1(VALU_DEP_2)
	v_add_f32_e32 v24, v23, v22
	v_add_f32_e32 v18, v18, v20
	s_delay_alu instid0(VALU_DEP_2) | instskip(NEXT) | instid1(VALU_DEP_1)
	v_rcp_f32_e32 v20, v24
	v_dual_sub_f32 v23, v23, v24 :: v_dual_add_f32 v28, v21, v18
	s_delay_alu instid0(VALU_DEP_1) | instskip(SKIP_2) | instid1(VALU_DEP_1)
	v_dual_add_f32 v22, v22, v23 :: v_dual_sub_f32 v21, v21, v28
	s_waitcnt_depctr 0xfff
	v_dual_mul_f32 v29, v28, v20 :: v_dual_add_f32 v18, v18, v21
	v_mul_f32_e32 v30, v24, v29
	s_delay_alu instid0(VALU_DEP_1) | instskip(NEXT) | instid1(VALU_DEP_1)
	v_fma_f32 v23, v29, v24, -v30
	v_fmac_f32_e32 v23, v29, v22
	s_delay_alu instid0(VALU_DEP_1) | instskip(NEXT) | instid1(VALU_DEP_1)
	v_add_f32_e32 v31, v30, v23
	v_dual_sub_f32 v32, v28, v31 :: v_dual_sub_f32 v21, v31, v30
	s_delay_alu instid0(VALU_DEP_1) | instskip(NEXT) | instid1(VALU_DEP_1)
	v_dual_sub_f32 v28, v28, v32 :: v_dual_sub_f32 v21, v21, v23
	v_sub_f32_e32 v28, v28, v31
	s_delay_alu instid0(VALU_DEP_1) | instskip(NEXT) | instid1(VALU_DEP_1)
	v_add_f32_e32 v18, v18, v28
	v_add_f32_e32 v18, v21, v18
	s_delay_alu instid0(VALU_DEP_1) | instskip(NEXT) | instid1(VALU_DEP_1)
	v_add_f32_e32 v21, v32, v18
	v_mul_f32_e32 v23, v20, v21
	v_sub_f32_e32 v31, v32, v21
	s_delay_alu instid0(VALU_DEP_2) | instskip(NEXT) | instid1(VALU_DEP_2)
	v_mul_f32_e32 v28, v24, v23
	v_add_f32_e32 v18, v18, v31
	s_delay_alu instid0(VALU_DEP_2) | instskip(NEXT) | instid1(VALU_DEP_1)
	v_fma_f32 v24, v23, v24, -v28
	v_fmac_f32_e32 v24, v23, v22
	s_delay_alu instid0(VALU_DEP_1) | instskip(NEXT) | instid1(VALU_DEP_1)
	v_add_f32_e32 v22, v28, v24
	v_sub_f32_e32 v30, v21, v22
	s_delay_alu instid0(VALU_DEP_1) | instskip(NEXT) | instid1(VALU_DEP_1)
	v_dual_sub_f32 v28, v22, v28 :: v_dual_sub_f32 v21, v21, v30
	v_dual_sub_f32 v21, v21, v22 :: v_dual_sub_f32 v22, v28, v24
	s_delay_alu instid0(VALU_DEP_1) | instskip(NEXT) | instid1(VALU_DEP_1)
	v_dual_add_f32 v18, v18, v21 :: v_dual_add_f32 v21, v29, v23
	v_add_f32_e32 v18, v22, v18
	s_delay_alu instid0(VALU_DEP_2) | instskip(NEXT) | instid1(VALU_DEP_2)
	v_sub_f32_e32 v22, v21, v29
	v_add_f32_e32 v18, v30, v18
	s_delay_alu instid0(VALU_DEP_2) | instskip(NEXT) | instid1(VALU_DEP_2)
	v_sub_f32_e32 v22, v23, v22
	v_mul_f32_e32 v18, v20, v18
	s_delay_alu instid0(VALU_DEP_1) | instskip(NEXT) | instid1(VALU_DEP_1)
	v_add_f32_e32 v18, v22, v18
	v_add_f32_e32 v20, v21, v18
	s_delay_alu instid0(VALU_DEP_1) | instskip(NEXT) | instid1(VALU_DEP_1)
	v_mul_f32_e32 v22, v20, v20
	v_fmaak_f32 v23, s25, v22, 0x3ecc95a3
	v_mul_f32_e32 v24, v20, v22
	v_cmp_eq_f32_e64 s25, 0x7f800000, v19
	s_delay_alu instid0(VALU_DEP_3) | instskip(SKIP_2) | instid1(VALU_DEP_4)
	v_fmaak_f32 v22, v22, v23, 0x3f2aaada
	v_ldexp_f32 v23, v20, 1
	v_sub_f32_e32 v20, v20, v21
	s_or_b32 s25, s25, s27
	s_delay_alu instid0(VALU_DEP_3) | instskip(SKIP_1) | instid1(VALU_DEP_2)
	v_mul_f32_e32 v22, v24, v22
	v_mul_f32_e32 v24, 0x3f317218, v17
	v_dual_sub_f32 v18, v18, v20 :: v_dual_add_f32 v21, v23, v22
	s_delay_alu instid0(VALU_DEP_1) | instskip(NEXT) | instid1(VALU_DEP_2)
	v_ldexp_f32 v18, v18, 1
	v_sub_f32_e32 v20, v21, v23
	s_delay_alu instid0(VALU_DEP_4) | instskip(NEXT) | instid1(VALU_DEP_1)
	v_fma_f32 v23, 0x3f317218, v17, -v24
	v_dual_sub_f32 v20, v22, v20 :: v_dual_fmamk_f32 v17, v17, 0xb102e308, v23
	s_delay_alu instid0(VALU_DEP_1) | instskip(NEXT) | instid1(VALU_DEP_2)
	v_add_f32_e32 v18, v18, v20
	v_add_f32_e32 v20, v24, v17
	s_delay_alu instid0(VALU_DEP_2) | instskip(NEXT) | instid1(VALU_DEP_2)
	v_add_f32_e32 v22, v21, v18
	v_sub_f32_e32 v24, v20, v24
	s_delay_alu instid0(VALU_DEP_2) | instskip(SKIP_1) | instid1(VALU_DEP_3)
	v_add_f32_e32 v23, v20, v22
	v_sub_f32_e32 v21, v22, v21
	v_sub_f32_e32 v17, v17, v24
	s_delay_alu instid0(VALU_DEP_3) | instskip(NEXT) | instid1(VALU_DEP_1)
	v_sub_f32_e32 v28, v23, v20
	v_dual_sub_f32 v18, v18, v21 :: v_dual_sub_f32 v29, v23, v28
	s_delay_alu instid0(VALU_DEP_1) | instskip(NEXT) | instid1(VALU_DEP_2)
	v_dual_sub_f32 v21, v22, v28 :: v_dual_add_f32 v22, v17, v18
	v_sub_f32_e32 v20, v20, v29
	s_delay_alu instid0(VALU_DEP_1) | instskip(NEXT) | instid1(VALU_DEP_1)
	v_dual_add_f32 v20, v21, v20 :: v_dual_sub_f32 v21, v22, v17
	v_add_f32_e32 v20, v22, v20
	s_delay_alu instid0(VALU_DEP_2) | instskip(SKIP_1) | instid1(VALU_DEP_2)
	v_sub_f32_e32 v22, v22, v21
	v_sub_f32_e32 v18, v18, v21
	v_dual_add_f32 v24, v23, v20 :: v_dual_sub_f32 v17, v17, v22
	s_delay_alu instid0(VALU_DEP_1) | instskip(NEXT) | instid1(VALU_DEP_2)
	v_sub_f32_e32 v21, v24, v23
	v_add_f32_e32 v17, v18, v17
	s_delay_alu instid0(VALU_DEP_2) | instskip(NEXT) | instid1(VALU_DEP_1)
	v_sub_f32_e32 v18, v20, v21
	v_add_f32_e32 v17, v17, v18
	s_delay_alu instid0(VALU_DEP_1) | instskip(NEXT) | instid1(VALU_DEP_1)
	v_add_f32_e32 v17, v24, v17
	v_cndmask_b32_e64 v17, v17, v19, s25
	s_delay_alu instid0(VALU_DEP_1) | instskip(NEXT) | instid1(VALU_DEP_1)
	v_add_f32_e32 v16, v16, v17
	v_cvt_f16_f32_e32 v28, v16
	s_delay_alu instid0(VALU_DEP_1)
	v_mov_b32_e32 v29, v28
	v_cvt_f32_f16_e32 v30, v28
.LBB400_50:
	s_or_b32 exec_lo, exec_lo, s26
	v_lshrrev_b32_e32 v3, 16, v3
	s_delay_alu instid0(VALU_DEP_2) | instskip(SKIP_1) | instid1(VALU_DEP_3)
	v_max_f32_e32 v17, v30, v30
	v_cmp_u_f16_e64 s25, v28, v28
	v_cvt_f32_f16_e32 v16, v3
	s_delay_alu instid0(VALU_DEP_1) | instskip(SKIP_1) | instid1(VALU_DEP_2)
	v_min_f32_e32 v18, v17, v16
	v_max_f32_e32 v17, v17, v16
	v_cndmask_b32_e64 v18, v18, v30, s25
	s_delay_alu instid0(VALU_DEP_2) | instskip(SKIP_1) | instid1(VALU_DEP_1)
	v_cndmask_b32_e64 v19, v17, v30, s25
	v_cmp_u_f16_e64 s25, v3, v3
	v_cndmask_b32_e64 v17, v18, v16, s25
	s_delay_alu instid0(VALU_DEP_3) | instskip(NEXT) | instid1(VALU_DEP_2)
	v_cndmask_b32_e64 v3, v19, v16, s25
	v_cmp_class_f32_e64 s27, v17, 0x1f8
	s_delay_alu instid0(VALU_DEP_2) | instskip(NEXT) | instid1(VALU_DEP_1)
	v_cmp_neq_f32_e64 s26, v17, v3
	s_or_b32 s26, s26, s27
	s_delay_alu instid0(SALU_CYCLE_1)
	s_and_saveexec_b32 s27, s26
	s_cbranch_execz .LBB400_52
; %bb.51:
	v_sub_f32_e32 v17, v17, v3
	s_delay_alu instid0(VALU_DEP_1) | instskip(NEXT) | instid1(VALU_DEP_1)
	v_mul_f32_e32 v18, 0x3fb8aa3b, v17
	v_fma_f32 v19, 0x3fb8aa3b, v17, -v18
	v_rndne_f32_e32 v20, v18
	s_delay_alu instid0(VALU_DEP_1) | instskip(SKIP_1) | instid1(VALU_DEP_2)
	v_dual_sub_f32 v18, v18, v20 :: v_dual_fmamk_f32 v19, v17, 0x32a5705f, v19
	v_cmp_ngt_f32_e64 s26, 0xc2ce8ed0, v17
	v_add_f32_e32 v18, v18, v19
	v_cvt_i32_f32_e32 v19, v20
	s_delay_alu instid0(VALU_DEP_2) | instskip(SKIP_2) | instid1(VALU_DEP_1)
	v_exp_f32_e32 v18, v18
	s_waitcnt_depctr 0xfff
	v_ldexp_f32 v18, v18, v19
	v_cndmask_b32_e64 v18, 0, v18, s26
	v_cmp_nlt_f32_e64 s26, 0x42b17218, v17
	s_delay_alu instid0(VALU_DEP_1) | instskip(NEXT) | instid1(VALU_DEP_1)
	v_cndmask_b32_e64 v19, 0x7f800000, v18, s26
	v_add_f32_e32 v20, 1.0, v19
	v_cmp_gt_f32_e64 s28, 0x33800000, |v19|
	s_delay_alu instid0(VALU_DEP_2) | instskip(NEXT) | instid1(VALU_DEP_1)
	v_cvt_f64_f32_e32 v[17:18], v20
	v_frexp_exp_i32_f64_e32 v17, v[17:18]
	v_frexp_mant_f32_e32 v18, v20
	s_delay_alu instid0(VALU_DEP_1) | instskip(SKIP_1) | instid1(VALU_DEP_1)
	v_cmp_gt_f32_e64 s26, 0x3f2aaaab, v18
	v_add_f32_e32 v18, -1.0, v20
	v_sub_f32_e32 v22, v18, v20
	v_sub_f32_e32 v18, v19, v18
	s_delay_alu instid0(VALU_DEP_2) | instskip(NEXT) | instid1(VALU_DEP_1)
	v_add_f32_e32 v22, 1.0, v22
	v_add_f32_e32 v18, v18, v22
	v_subrev_co_ci_u32_e64 v17, s26, 0, v17, s26
	s_mov_b32 s26, 0x3e9b6dac
	s_delay_alu instid0(VALU_DEP_1) | instskip(SKIP_1) | instid1(VALU_DEP_2)
	v_sub_nc_u32_e32 v21, 0, v17
	v_cvt_f32_i32_e32 v17, v17
	v_ldexp_f32 v20, v20, v21
	v_ldexp_f32 v18, v18, v21
	s_delay_alu instid0(VALU_DEP_2) | instskip(NEXT) | instid1(VALU_DEP_1)
	v_add_f32_e32 v23, 1.0, v20
	v_dual_add_f32 v21, -1.0, v20 :: v_dual_add_f32 v22, -1.0, v23
	s_delay_alu instid0(VALU_DEP_1) | instskip(NEXT) | instid1(VALU_DEP_2)
	v_add_f32_e32 v24, 1.0, v21
	v_sub_f32_e32 v22, v20, v22
	s_delay_alu instid0(VALU_DEP_2) | instskip(NEXT) | instid1(VALU_DEP_2)
	v_sub_f32_e32 v20, v20, v24
	v_add_f32_e32 v22, v18, v22
	s_delay_alu instid0(VALU_DEP_2) | instskip(NEXT) | instid1(VALU_DEP_2)
	v_add_f32_e32 v18, v18, v20
	v_add_f32_e32 v24, v23, v22
	s_delay_alu instid0(VALU_DEP_2) | instskip(NEXT) | instid1(VALU_DEP_2)
	v_add_f32_e32 v28, v21, v18
	v_rcp_f32_e32 v20, v24
	v_sub_f32_e32 v23, v23, v24
	s_delay_alu instid0(VALU_DEP_1) | instskip(SKIP_2) | instid1(VALU_DEP_1)
	v_dual_sub_f32 v21, v21, v28 :: v_dual_add_f32 v22, v22, v23
	s_waitcnt_depctr 0xfff
	v_dual_add_f32 v18, v18, v21 :: v_dual_mul_f32 v29, v28, v20
	v_mul_f32_e32 v30, v24, v29
	s_delay_alu instid0(VALU_DEP_1) | instskip(NEXT) | instid1(VALU_DEP_1)
	v_fma_f32 v23, v29, v24, -v30
	v_fmac_f32_e32 v23, v29, v22
	s_delay_alu instid0(VALU_DEP_1) | instskip(NEXT) | instid1(VALU_DEP_1)
	v_add_f32_e32 v31, v30, v23
	v_dual_sub_f32 v32, v28, v31 :: v_dual_sub_f32 v21, v31, v30
	s_delay_alu instid0(VALU_DEP_1) | instskip(NEXT) | instid1(VALU_DEP_1)
	v_dual_sub_f32 v28, v28, v32 :: v_dual_sub_f32 v21, v21, v23
	v_sub_f32_e32 v28, v28, v31
	s_delay_alu instid0(VALU_DEP_1) | instskip(NEXT) | instid1(VALU_DEP_1)
	v_add_f32_e32 v18, v18, v28
	v_add_f32_e32 v18, v21, v18
	s_delay_alu instid0(VALU_DEP_1) | instskip(NEXT) | instid1(VALU_DEP_1)
	v_add_f32_e32 v21, v32, v18
	v_mul_f32_e32 v23, v20, v21
	v_sub_f32_e32 v31, v32, v21
	s_delay_alu instid0(VALU_DEP_2) | instskip(NEXT) | instid1(VALU_DEP_2)
	v_mul_f32_e32 v28, v24, v23
	v_add_f32_e32 v18, v18, v31
	s_delay_alu instid0(VALU_DEP_2) | instskip(NEXT) | instid1(VALU_DEP_1)
	v_fma_f32 v24, v23, v24, -v28
	v_fmac_f32_e32 v24, v23, v22
	s_delay_alu instid0(VALU_DEP_1) | instskip(NEXT) | instid1(VALU_DEP_1)
	v_add_f32_e32 v22, v28, v24
	v_sub_f32_e32 v30, v21, v22
	s_delay_alu instid0(VALU_DEP_1) | instskip(NEXT) | instid1(VALU_DEP_1)
	v_dual_sub_f32 v28, v22, v28 :: v_dual_sub_f32 v21, v21, v30
	v_dual_sub_f32 v21, v21, v22 :: v_dual_sub_f32 v22, v28, v24
	s_delay_alu instid0(VALU_DEP_1) | instskip(NEXT) | instid1(VALU_DEP_1)
	v_dual_add_f32 v18, v18, v21 :: v_dual_add_f32 v21, v29, v23
	v_add_f32_e32 v18, v22, v18
	s_delay_alu instid0(VALU_DEP_2) | instskip(NEXT) | instid1(VALU_DEP_2)
	v_sub_f32_e32 v22, v21, v29
	v_add_f32_e32 v18, v30, v18
	s_delay_alu instid0(VALU_DEP_2) | instskip(NEXT) | instid1(VALU_DEP_2)
	v_sub_f32_e32 v22, v23, v22
	v_mul_f32_e32 v18, v20, v18
	s_delay_alu instid0(VALU_DEP_1) | instskip(NEXT) | instid1(VALU_DEP_1)
	v_add_f32_e32 v18, v22, v18
	v_add_f32_e32 v20, v21, v18
	s_delay_alu instid0(VALU_DEP_1) | instskip(NEXT) | instid1(VALU_DEP_1)
	v_mul_f32_e32 v22, v20, v20
	v_fmaak_f32 v23, s26, v22, 0x3ecc95a3
	v_mul_f32_e32 v24, v20, v22
	v_cmp_eq_f32_e64 s26, 0x7f800000, v19
	s_delay_alu instid0(VALU_DEP_3) | instskip(SKIP_2) | instid1(VALU_DEP_4)
	v_fmaak_f32 v22, v22, v23, 0x3f2aaada
	v_ldexp_f32 v23, v20, 1
	v_sub_f32_e32 v20, v20, v21
	s_or_b32 s26, s26, s28
	s_delay_alu instid0(VALU_DEP_3) | instskip(SKIP_1) | instid1(VALU_DEP_2)
	v_mul_f32_e32 v22, v24, v22
	v_mul_f32_e32 v24, 0x3f317218, v17
	v_dual_sub_f32 v18, v18, v20 :: v_dual_add_f32 v21, v23, v22
	s_delay_alu instid0(VALU_DEP_1) | instskip(NEXT) | instid1(VALU_DEP_2)
	v_ldexp_f32 v18, v18, 1
	v_sub_f32_e32 v20, v21, v23
	s_delay_alu instid0(VALU_DEP_4) | instskip(NEXT) | instid1(VALU_DEP_1)
	v_fma_f32 v23, 0x3f317218, v17, -v24
	v_dual_sub_f32 v20, v22, v20 :: v_dual_fmamk_f32 v17, v17, 0xb102e308, v23
	s_delay_alu instid0(VALU_DEP_1) | instskip(NEXT) | instid1(VALU_DEP_2)
	v_add_f32_e32 v18, v18, v20
	v_add_f32_e32 v20, v24, v17
	s_delay_alu instid0(VALU_DEP_2) | instskip(NEXT) | instid1(VALU_DEP_2)
	v_add_f32_e32 v22, v21, v18
	v_sub_f32_e32 v24, v20, v24
	s_delay_alu instid0(VALU_DEP_2) | instskip(SKIP_1) | instid1(VALU_DEP_3)
	v_add_f32_e32 v23, v20, v22
	v_sub_f32_e32 v21, v22, v21
	v_sub_f32_e32 v17, v17, v24
	s_delay_alu instid0(VALU_DEP_3) | instskip(NEXT) | instid1(VALU_DEP_1)
	v_sub_f32_e32 v28, v23, v20
	v_dual_sub_f32 v18, v18, v21 :: v_dual_sub_f32 v29, v23, v28
	s_delay_alu instid0(VALU_DEP_1) | instskip(NEXT) | instid1(VALU_DEP_2)
	v_dual_sub_f32 v21, v22, v28 :: v_dual_add_f32 v22, v17, v18
	v_sub_f32_e32 v20, v20, v29
	s_delay_alu instid0(VALU_DEP_1) | instskip(NEXT) | instid1(VALU_DEP_1)
	v_dual_add_f32 v20, v21, v20 :: v_dual_sub_f32 v21, v22, v17
	v_add_f32_e32 v20, v22, v20
	s_delay_alu instid0(VALU_DEP_2) | instskip(SKIP_1) | instid1(VALU_DEP_2)
	v_sub_f32_e32 v22, v22, v21
	v_sub_f32_e32 v18, v18, v21
	v_dual_add_f32 v24, v23, v20 :: v_dual_sub_f32 v17, v17, v22
	s_delay_alu instid0(VALU_DEP_1) | instskip(NEXT) | instid1(VALU_DEP_2)
	v_sub_f32_e32 v21, v24, v23
	v_add_f32_e32 v17, v18, v17
	s_delay_alu instid0(VALU_DEP_2) | instskip(NEXT) | instid1(VALU_DEP_1)
	v_sub_f32_e32 v18, v20, v21
	v_add_f32_e32 v17, v17, v18
	s_delay_alu instid0(VALU_DEP_1) | instskip(NEXT) | instid1(VALU_DEP_1)
	v_add_f32_e32 v17, v24, v17
	v_cndmask_b32_e64 v17, v17, v19, s26
	s_delay_alu instid0(VALU_DEP_1) | instskip(NEXT) | instid1(VALU_DEP_1)
	v_add_f32_e32 v3, v3, v17
	v_cvt_f16_f32_e32 v28, v3
	s_delay_alu instid0(VALU_DEP_1)
	v_mov_b32_e32 v29, v28
	v_cvt_f32_f16_e32 v30, v28
.LBB400_52:
	s_or_b32 exec_lo, exec_lo, s27
	v_cvt_f32_f16_e32 v3, v10
	s_delay_alu instid0(VALU_DEP_2) | instskip(SKIP_1) | instid1(VALU_DEP_2)
	v_max_f32_e32 v17, v30, v30
	v_cmp_u_f16_e64 s26, v28, v28
	v_min_f32_e32 v18, v17, v3
	v_max_f32_e32 v17, v17, v3
	s_delay_alu instid0(VALU_DEP_2) | instskip(NEXT) | instid1(VALU_DEP_2)
	v_cndmask_b32_e64 v18, v18, v30, s26
	v_cndmask_b32_e64 v17, v17, v30, s26
	v_cmp_u_f16_e64 s26, v10, v10
	s_delay_alu instid0(VALU_DEP_1) | instskip(NEXT) | instid1(VALU_DEP_3)
	v_cndmask_b32_e64 v18, v18, v3, s26
	v_cndmask_b32_e64 v17, v17, v3, s26
	s_delay_alu instid0(VALU_DEP_2) | instskip(NEXT) | instid1(VALU_DEP_2)
	v_cmp_class_f32_e64 s28, v18, 0x1f8
	v_cmp_neq_f32_e64 s27, v18, v17
	s_delay_alu instid0(VALU_DEP_1) | instskip(NEXT) | instid1(SALU_CYCLE_1)
	s_or_b32 s27, s27, s28
	s_and_saveexec_b32 s28, s27
	s_cbranch_execz .LBB400_54
; %bb.53:
	v_sub_f32_e32 v18, v18, v17
	s_delay_alu instid0(VALU_DEP_1) | instskip(NEXT) | instid1(VALU_DEP_1)
	v_mul_f32_e32 v19, 0x3fb8aa3b, v18
	v_fma_f32 v20, 0x3fb8aa3b, v18, -v19
	v_rndne_f32_e32 v21, v19
	s_delay_alu instid0(VALU_DEP_1) | instskip(NEXT) | instid1(VALU_DEP_1)
	v_dual_fmamk_f32 v20, v18, 0x32a5705f, v20 :: v_dual_sub_f32 v19, v19, v21
	v_add_f32_e32 v19, v19, v20
	v_cvt_i32_f32_e32 v20, v21
	v_cmp_ngt_f32_e64 s27, 0xc2ce8ed0, v18
	s_delay_alu instid0(VALU_DEP_3) | instskip(SKIP_2) | instid1(VALU_DEP_1)
	v_exp_f32_e32 v19, v19
	s_waitcnt_depctr 0xfff
	v_ldexp_f32 v19, v19, v20
	v_cndmask_b32_e64 v19, 0, v19, s27
	v_cmp_nlt_f32_e64 s27, 0x42b17218, v18
	s_delay_alu instid0(VALU_DEP_1) | instskip(NEXT) | instid1(VALU_DEP_1)
	v_cndmask_b32_e64 v20, 0x7f800000, v19, s27
	v_add_f32_e32 v21, 1.0, v20
	v_cmp_gt_f32_e64 s29, 0x33800000, |v20|
	s_delay_alu instid0(VALU_DEP_2) | instskip(NEXT) | instid1(VALU_DEP_1)
	v_cvt_f64_f32_e32 v[18:19], v21
	v_frexp_exp_i32_f64_e32 v18, v[18:19]
	v_frexp_mant_f32_e32 v19, v21
	s_delay_alu instid0(VALU_DEP_1) | instskip(SKIP_1) | instid1(VALU_DEP_1)
	v_cmp_gt_f32_e64 s27, 0x3f2aaaab, v19
	v_add_f32_e32 v19, -1.0, v21
	v_sub_f32_e32 v23, v19, v21
	s_delay_alu instid0(VALU_DEP_1) | instskip(NEXT) | instid1(VALU_DEP_4)
	v_add_f32_e32 v23, 1.0, v23
	v_subrev_co_ci_u32_e64 v18, s27, 0, v18, s27
	s_mov_b32 s27, 0x3e9b6dac
	s_delay_alu instid0(VALU_DEP_1) | instskip(SKIP_1) | instid1(VALU_DEP_2)
	v_sub_nc_u32_e32 v22, 0, v18
	v_cvt_f32_i32_e32 v18, v18
	v_ldexp_f32 v21, v21, v22
	s_delay_alu instid0(VALU_DEP_1) | instskip(NEXT) | instid1(VALU_DEP_1)
	v_dual_sub_f32 v19, v20, v19 :: v_dual_add_f32 v24, 1.0, v21
	v_add_f32_e32 v19, v19, v23
	s_delay_alu instid0(VALU_DEP_2) | instskip(NEXT) | instid1(VALU_DEP_2)
	v_add_f32_e32 v23, -1.0, v24
	v_ldexp_f32 v19, v19, v22
	s_delay_alu instid0(VALU_DEP_2) | instskip(NEXT) | instid1(VALU_DEP_1)
	v_dual_add_f32 v22, -1.0, v21 :: v_dual_sub_f32 v23, v21, v23
	v_dual_add_f32 v28, 1.0, v22 :: v_dual_add_f32 v23, v19, v23
	s_delay_alu instid0(VALU_DEP_1) | instskip(NEXT) | instid1(VALU_DEP_1)
	v_dual_sub_f32 v21, v21, v28 :: v_dual_add_f32 v28, v24, v23
	v_add_f32_e32 v19, v19, v21
	s_delay_alu instid0(VALU_DEP_2) | instskip(NEXT) | instid1(VALU_DEP_1)
	v_rcp_f32_e32 v21, v28
	v_dual_sub_f32 v24, v24, v28 :: v_dual_add_f32 v29, v22, v19
	s_delay_alu instid0(VALU_DEP_1) | instskip(SKIP_2) | instid1(VALU_DEP_1)
	v_dual_add_f32 v23, v23, v24 :: v_dual_sub_f32 v22, v22, v29
	s_waitcnt_depctr 0xfff
	v_dual_mul_f32 v30, v29, v21 :: v_dual_add_f32 v19, v19, v22
	v_mul_f32_e32 v31, v28, v30
	s_delay_alu instid0(VALU_DEP_1) | instskip(NEXT) | instid1(VALU_DEP_1)
	v_fma_f32 v24, v30, v28, -v31
	v_fmac_f32_e32 v24, v30, v23
	s_delay_alu instid0(VALU_DEP_1) | instskip(NEXT) | instid1(VALU_DEP_1)
	v_add_f32_e32 v32, v31, v24
	v_dual_sub_f32 v33, v29, v32 :: v_dual_sub_f32 v22, v32, v31
	s_delay_alu instid0(VALU_DEP_1) | instskip(NEXT) | instid1(VALU_DEP_1)
	v_dual_sub_f32 v29, v29, v33 :: v_dual_sub_f32 v22, v22, v24
	v_sub_f32_e32 v29, v29, v32
	s_delay_alu instid0(VALU_DEP_1) | instskip(NEXT) | instid1(VALU_DEP_1)
	v_add_f32_e32 v19, v19, v29
	v_add_f32_e32 v19, v22, v19
	s_delay_alu instid0(VALU_DEP_1) | instskip(NEXT) | instid1(VALU_DEP_1)
	v_add_f32_e32 v22, v33, v19
	v_mul_f32_e32 v24, v21, v22
	s_delay_alu instid0(VALU_DEP_1) | instskip(NEXT) | instid1(VALU_DEP_1)
	v_mul_f32_e32 v29, v28, v24
	v_fma_f32 v28, v24, v28, -v29
	s_delay_alu instid0(VALU_DEP_1) | instskip(SKIP_1) | instid1(VALU_DEP_2)
	v_fmac_f32_e32 v28, v24, v23
	v_sub_f32_e32 v32, v33, v22
	v_add_f32_e32 v23, v29, v28
	s_delay_alu instid0(VALU_DEP_2) | instskip(NEXT) | instid1(VALU_DEP_2)
	v_add_f32_e32 v19, v19, v32
	v_sub_f32_e32 v31, v22, v23
	s_delay_alu instid0(VALU_DEP_1) | instskip(NEXT) | instid1(VALU_DEP_1)
	v_dual_sub_f32 v29, v23, v29 :: v_dual_sub_f32 v22, v22, v31
	v_dual_sub_f32 v22, v22, v23 :: v_dual_sub_f32 v23, v29, v28
	s_delay_alu instid0(VALU_DEP_1) | instskip(NEXT) | instid1(VALU_DEP_1)
	v_dual_add_f32 v19, v19, v22 :: v_dual_add_f32 v22, v30, v24
	v_add_f32_e32 v19, v23, v19
	s_delay_alu instid0(VALU_DEP_2) | instskip(NEXT) | instid1(VALU_DEP_2)
	v_sub_f32_e32 v23, v22, v30
	v_add_f32_e32 v19, v31, v19
	s_delay_alu instid0(VALU_DEP_2) | instskip(NEXT) | instid1(VALU_DEP_2)
	v_sub_f32_e32 v23, v24, v23
	v_mul_f32_e32 v19, v21, v19
	s_delay_alu instid0(VALU_DEP_1) | instskip(NEXT) | instid1(VALU_DEP_1)
	v_add_f32_e32 v19, v23, v19
	v_add_f32_e32 v21, v22, v19
	s_delay_alu instid0(VALU_DEP_1) | instskip(NEXT) | instid1(VALU_DEP_1)
	v_mul_f32_e32 v23, v21, v21
	v_fmaak_f32 v24, s27, v23, 0x3ecc95a3
	v_mul_f32_e32 v28, v21, v23
	v_cmp_eq_f32_e64 s27, 0x7f800000, v20
	s_delay_alu instid0(VALU_DEP_3) | instskip(SKIP_2) | instid1(VALU_DEP_4)
	v_fmaak_f32 v23, v23, v24, 0x3f2aaada
	v_ldexp_f32 v24, v21, 1
	v_sub_f32_e32 v21, v21, v22
	s_or_b32 s27, s27, s29
	s_delay_alu instid0(VALU_DEP_3) | instskip(NEXT) | instid1(VALU_DEP_1)
	v_dual_mul_f32 v23, v28, v23 :: v_dual_mul_f32 v28, 0x3f317218, v18
	v_dual_sub_f32 v19, v19, v21 :: v_dual_add_f32 v22, v24, v23
	s_delay_alu instid0(VALU_DEP_1) | instskip(NEXT) | instid1(VALU_DEP_2)
	v_ldexp_f32 v19, v19, 1
	v_sub_f32_e32 v21, v22, v24
	s_delay_alu instid0(VALU_DEP_4) | instskip(NEXT) | instid1(VALU_DEP_1)
	v_fma_f32 v24, 0x3f317218, v18, -v28
	v_dual_sub_f32 v21, v23, v21 :: v_dual_fmamk_f32 v18, v18, 0xb102e308, v24
	s_delay_alu instid0(VALU_DEP_1) | instskip(NEXT) | instid1(VALU_DEP_2)
	v_add_f32_e32 v19, v19, v21
	v_add_f32_e32 v21, v28, v18
	s_delay_alu instid0(VALU_DEP_1) | instskip(NEXT) | instid1(VALU_DEP_1)
	v_dual_add_f32 v23, v22, v19 :: v_dual_sub_f32 v28, v21, v28
	v_add_f32_e32 v24, v21, v23
	v_sub_f32_e32 v22, v23, v22
	s_delay_alu instid0(VALU_DEP_2) | instskip(NEXT) | instid1(VALU_DEP_1)
	v_dual_sub_f32 v18, v18, v28 :: v_dual_sub_f32 v29, v24, v21
	v_dual_sub_f32 v19, v19, v22 :: v_dual_sub_f32 v30, v24, v29
	s_delay_alu instid0(VALU_DEP_1) | instskip(NEXT) | instid1(VALU_DEP_2)
	v_dual_sub_f32 v22, v23, v29 :: v_dual_add_f32 v23, v18, v19
	v_sub_f32_e32 v21, v21, v30
	s_delay_alu instid0(VALU_DEP_1) | instskip(NEXT) | instid1(VALU_DEP_1)
	v_dual_add_f32 v21, v22, v21 :: v_dual_sub_f32 v22, v23, v18
	v_add_f32_e32 v21, v23, v21
	s_delay_alu instid0(VALU_DEP_2) | instskip(NEXT) | instid1(VALU_DEP_2)
	v_sub_f32_e32 v23, v23, v22
	v_dual_sub_f32 v19, v19, v22 :: v_dual_add_f32 v28, v24, v21
	s_delay_alu instid0(VALU_DEP_2) | instskip(NEXT) | instid1(VALU_DEP_2)
	v_sub_f32_e32 v18, v18, v23
	v_sub_f32_e32 v22, v28, v24
	s_delay_alu instid0(VALU_DEP_2) | instskip(NEXT) | instid1(VALU_DEP_2)
	v_add_f32_e32 v18, v19, v18
	v_sub_f32_e32 v19, v21, v22
	s_delay_alu instid0(VALU_DEP_1) | instskip(NEXT) | instid1(VALU_DEP_1)
	v_add_f32_e32 v18, v18, v19
	v_add_f32_e32 v18, v28, v18
	s_delay_alu instid0(VALU_DEP_1) | instskip(NEXT) | instid1(VALU_DEP_1)
	v_cndmask_b32_e64 v18, v18, v20, s27
	v_add_f32_e32 v17, v17, v18
	s_delay_alu instid0(VALU_DEP_1) | instskip(NEXT) | instid1(VALU_DEP_1)
	v_cvt_f16_f32_e32 v28, v17
	v_cvt_f32_f16_e32 v30, v28
	v_mov_b32_e32 v29, v28
.LBB400_54:
	s_or_b32 exec_lo, exec_lo, s28
	v_lshrrev_b32_e32 v10, 16, v10
	s_delay_alu instid0(VALU_DEP_3) | instskip(SKIP_1) | instid1(VALU_DEP_3)
	v_max_f32_e32 v18, v30, v30
	v_cmp_u_f16_e64 s27, v28, v28
	v_cvt_f32_f16_e32 v17, v10
	s_delay_alu instid0(VALU_DEP_1) | instskip(SKIP_1) | instid1(VALU_DEP_2)
	v_min_f32_e32 v19, v18, v17
	v_max_f32_e32 v18, v18, v17
	v_cndmask_b32_e64 v19, v19, v30, s27
	s_delay_alu instid0(VALU_DEP_2) | instskip(SKIP_1) | instid1(VALU_DEP_1)
	v_cndmask_b32_e64 v20, v18, v30, s27
	v_cmp_u_f16_e64 s27, v10, v10
	v_cndmask_b32_e64 v18, v19, v17, s27
	s_delay_alu instid0(VALU_DEP_3) | instskip(NEXT) | instid1(VALU_DEP_2)
	v_cndmask_b32_e64 v10, v20, v17, s27
	v_cmp_class_f32_e64 s29, v18, 0x1f8
	s_delay_alu instid0(VALU_DEP_2) | instskip(NEXT) | instid1(VALU_DEP_1)
	v_cmp_neq_f32_e64 s28, v18, v10
	s_or_b32 s28, s28, s29
	s_delay_alu instid0(SALU_CYCLE_1)
	s_and_saveexec_b32 s29, s28
	s_cbranch_execz .LBB400_56
; %bb.55:
	v_sub_f32_e32 v18, v18, v10
	s_delay_alu instid0(VALU_DEP_1) | instskip(NEXT) | instid1(VALU_DEP_1)
	v_mul_f32_e32 v19, 0x3fb8aa3b, v18
	v_fma_f32 v20, 0x3fb8aa3b, v18, -v19
	v_rndne_f32_e32 v21, v19
	s_delay_alu instid0(VALU_DEP_1) | instskip(SKIP_1) | instid1(VALU_DEP_2)
	v_dual_sub_f32 v19, v19, v21 :: v_dual_fmamk_f32 v20, v18, 0x32a5705f, v20
	v_cmp_ngt_f32_e64 s28, 0xc2ce8ed0, v18
	v_add_f32_e32 v19, v19, v20
	v_cvt_i32_f32_e32 v20, v21
	s_delay_alu instid0(VALU_DEP_2) | instskip(SKIP_2) | instid1(VALU_DEP_1)
	v_exp_f32_e32 v19, v19
	s_waitcnt_depctr 0xfff
	v_ldexp_f32 v19, v19, v20
	v_cndmask_b32_e64 v19, 0, v19, s28
	v_cmp_nlt_f32_e64 s28, 0x42b17218, v18
	s_delay_alu instid0(VALU_DEP_1) | instskip(NEXT) | instid1(VALU_DEP_1)
	v_cndmask_b32_e64 v20, 0x7f800000, v19, s28
	v_add_f32_e32 v21, 1.0, v20
	v_cmp_gt_f32_e64 s30, 0x33800000, |v20|
	s_delay_alu instid0(VALU_DEP_2) | instskip(NEXT) | instid1(VALU_DEP_1)
	v_cvt_f64_f32_e32 v[18:19], v21
	v_frexp_exp_i32_f64_e32 v18, v[18:19]
	v_frexp_mant_f32_e32 v19, v21
	s_delay_alu instid0(VALU_DEP_1) | instskip(SKIP_1) | instid1(VALU_DEP_1)
	v_cmp_gt_f32_e64 s28, 0x3f2aaaab, v19
	v_add_f32_e32 v19, -1.0, v21
	v_sub_f32_e32 v23, v19, v21
	v_sub_f32_e32 v19, v20, v19
	s_delay_alu instid0(VALU_DEP_2) | instskip(NEXT) | instid1(VALU_DEP_1)
	v_add_f32_e32 v23, 1.0, v23
	v_add_f32_e32 v19, v19, v23
	v_subrev_co_ci_u32_e64 v18, s28, 0, v18, s28
	s_mov_b32 s28, 0x3e9b6dac
	s_delay_alu instid0(VALU_DEP_1) | instskip(SKIP_1) | instid1(VALU_DEP_2)
	v_sub_nc_u32_e32 v22, 0, v18
	v_cvt_f32_i32_e32 v18, v18
	v_ldexp_f32 v21, v21, v22
	v_ldexp_f32 v19, v19, v22
	s_delay_alu instid0(VALU_DEP_2) | instskip(NEXT) | instid1(VALU_DEP_1)
	v_add_f32_e32 v24, 1.0, v21
	v_dual_add_f32 v22, -1.0, v21 :: v_dual_add_f32 v23, -1.0, v24
	s_delay_alu instid0(VALU_DEP_1) | instskip(NEXT) | instid1(VALU_DEP_1)
	v_dual_add_f32 v28, 1.0, v22 :: v_dual_sub_f32 v23, v21, v23
	v_add_f32_e32 v23, v19, v23
	s_delay_alu instid0(VALU_DEP_1) | instskip(NEXT) | instid1(VALU_DEP_1)
	v_dual_sub_f32 v21, v21, v28 :: v_dual_add_f32 v28, v24, v23
	v_sub_f32_e32 v24, v24, v28
	s_delay_alu instid0(VALU_DEP_1) | instskip(NEXT) | instid1(VALU_DEP_3)
	v_add_f32_e32 v23, v23, v24
	v_add_f32_e32 v19, v19, v21
	v_rcp_f32_e32 v21, v28
	s_delay_alu instid0(VALU_DEP_1) | instskip(NEXT) | instid1(VALU_DEP_1)
	v_add_f32_e32 v29, v22, v19
	v_sub_f32_e32 v22, v22, v29
	s_waitcnt_depctr 0xfff
	v_mul_f32_e32 v30, v29, v21
	s_delay_alu instid0(VALU_DEP_1) | instskip(NEXT) | instid1(VALU_DEP_1)
	v_mul_f32_e32 v31, v28, v30
	v_fma_f32 v24, v30, v28, -v31
	s_delay_alu instid0(VALU_DEP_1) | instskip(NEXT) | instid1(VALU_DEP_1)
	v_dual_fmac_f32 v24, v30, v23 :: v_dual_add_f32 v19, v19, v22
	v_add_f32_e32 v32, v31, v24
	s_delay_alu instid0(VALU_DEP_1) | instskip(NEXT) | instid1(VALU_DEP_1)
	v_dual_sub_f32 v33, v29, v32 :: v_dual_sub_f32 v22, v32, v31
	v_dual_sub_f32 v29, v29, v33 :: v_dual_sub_f32 v22, v22, v24
	s_delay_alu instid0(VALU_DEP_1) | instskip(NEXT) | instid1(VALU_DEP_1)
	v_sub_f32_e32 v29, v29, v32
	v_add_f32_e32 v19, v19, v29
	s_delay_alu instid0(VALU_DEP_1) | instskip(NEXT) | instid1(VALU_DEP_1)
	v_add_f32_e32 v19, v22, v19
	v_add_f32_e32 v22, v33, v19
	s_delay_alu instid0(VALU_DEP_1) | instskip(NEXT) | instid1(VALU_DEP_1)
	v_mul_f32_e32 v24, v21, v22
	v_mul_f32_e32 v29, v28, v24
	s_delay_alu instid0(VALU_DEP_1) | instskip(NEXT) | instid1(VALU_DEP_1)
	v_fma_f32 v28, v24, v28, -v29
	v_fmac_f32_e32 v28, v24, v23
	v_sub_f32_e32 v32, v33, v22
	s_delay_alu instid0(VALU_DEP_2) | instskip(NEXT) | instid1(VALU_DEP_2)
	v_add_f32_e32 v23, v29, v28
	v_add_f32_e32 v19, v19, v32
	s_delay_alu instid0(VALU_DEP_2) | instskip(NEXT) | instid1(VALU_DEP_1)
	v_sub_f32_e32 v31, v22, v23
	v_dual_sub_f32 v29, v23, v29 :: v_dual_sub_f32 v22, v22, v31
	s_delay_alu instid0(VALU_DEP_1) | instskip(NEXT) | instid1(VALU_DEP_1)
	v_dual_sub_f32 v22, v22, v23 :: v_dual_sub_f32 v23, v29, v28
	v_dual_add_f32 v19, v19, v22 :: v_dual_add_f32 v22, v30, v24
	s_delay_alu instid0(VALU_DEP_1) | instskip(NEXT) | instid1(VALU_DEP_2)
	v_add_f32_e32 v19, v23, v19
	v_sub_f32_e32 v23, v22, v30
	s_delay_alu instid0(VALU_DEP_2) | instskip(NEXT) | instid1(VALU_DEP_2)
	v_add_f32_e32 v19, v31, v19
	v_sub_f32_e32 v23, v24, v23
	s_delay_alu instid0(VALU_DEP_2) | instskip(NEXT) | instid1(VALU_DEP_1)
	v_mul_f32_e32 v19, v21, v19
	v_add_f32_e32 v19, v23, v19
	s_delay_alu instid0(VALU_DEP_1) | instskip(NEXT) | instid1(VALU_DEP_1)
	v_add_f32_e32 v21, v22, v19
	v_mul_f32_e32 v23, v21, v21
	s_delay_alu instid0(VALU_DEP_1) | instskip(SKIP_2) | instid1(VALU_DEP_3)
	v_fmaak_f32 v24, s28, v23, 0x3ecc95a3
	v_mul_f32_e32 v28, v21, v23
	v_cmp_eq_f32_e64 s28, 0x7f800000, v20
	v_fmaak_f32 v23, v23, v24, 0x3f2aaada
	v_ldexp_f32 v24, v21, 1
	v_sub_f32_e32 v21, v21, v22
	s_delay_alu instid0(VALU_DEP_4) | instskip(NEXT) | instid1(VALU_DEP_3)
	s_or_b32 s28, s28, s30
	v_dual_mul_f32 v23, v28, v23 :: v_dual_mul_f32 v28, 0x3f317218, v18
	s_delay_alu instid0(VALU_DEP_1) | instskip(NEXT) | instid1(VALU_DEP_1)
	v_dual_sub_f32 v19, v19, v21 :: v_dual_add_f32 v22, v24, v23
	v_ldexp_f32 v19, v19, 1
	s_delay_alu instid0(VALU_DEP_2) | instskip(NEXT) | instid1(VALU_DEP_4)
	v_sub_f32_e32 v21, v22, v24
	v_fma_f32 v24, 0x3f317218, v18, -v28
	s_delay_alu instid0(VALU_DEP_1) | instskip(NEXT) | instid1(VALU_DEP_1)
	v_dual_sub_f32 v21, v23, v21 :: v_dual_fmamk_f32 v18, v18, 0xb102e308, v24
	v_add_f32_e32 v19, v19, v21
	s_delay_alu instid0(VALU_DEP_2) | instskip(NEXT) | instid1(VALU_DEP_1)
	v_add_f32_e32 v21, v28, v18
	v_dual_add_f32 v23, v22, v19 :: v_dual_sub_f32 v28, v21, v28
	s_delay_alu instid0(VALU_DEP_1) | instskip(SKIP_1) | instid1(VALU_DEP_2)
	v_add_f32_e32 v24, v21, v23
	v_sub_f32_e32 v22, v23, v22
	v_dual_sub_f32 v18, v18, v28 :: v_dual_sub_f32 v29, v24, v21
	s_delay_alu instid0(VALU_DEP_1) | instskip(NEXT) | instid1(VALU_DEP_1)
	v_dual_sub_f32 v19, v19, v22 :: v_dual_sub_f32 v30, v24, v29
	v_dual_sub_f32 v22, v23, v29 :: v_dual_add_f32 v23, v18, v19
	s_delay_alu instid0(VALU_DEP_2) | instskip(NEXT) | instid1(VALU_DEP_1)
	v_sub_f32_e32 v21, v21, v30
	v_dual_add_f32 v21, v22, v21 :: v_dual_sub_f32 v22, v23, v18
	s_delay_alu instid0(VALU_DEP_1) | instskip(NEXT) | instid1(VALU_DEP_2)
	v_add_f32_e32 v21, v23, v21
	v_sub_f32_e32 v23, v23, v22
	s_delay_alu instid0(VALU_DEP_2) | instskip(NEXT) | instid1(VALU_DEP_2)
	v_dual_sub_f32 v19, v19, v22 :: v_dual_add_f32 v28, v24, v21
	v_sub_f32_e32 v18, v18, v23
	s_delay_alu instid0(VALU_DEP_2) | instskip(NEXT) | instid1(VALU_DEP_2)
	v_sub_f32_e32 v22, v28, v24
	v_add_f32_e32 v18, v19, v18
	s_delay_alu instid0(VALU_DEP_2) | instskip(NEXT) | instid1(VALU_DEP_1)
	v_sub_f32_e32 v19, v21, v22
	v_add_f32_e32 v18, v18, v19
	s_delay_alu instid0(VALU_DEP_1) | instskip(NEXT) | instid1(VALU_DEP_1)
	v_add_f32_e32 v18, v28, v18
	v_cndmask_b32_e64 v18, v18, v20, s28
	s_delay_alu instid0(VALU_DEP_1) | instskip(NEXT) | instid1(VALU_DEP_1)
	v_add_f32_e32 v10, v10, v18
	v_cvt_f16_f32_e32 v28, v10
	s_delay_alu instid0(VALU_DEP_1)
	v_cvt_f32_f16_e32 v30, v28
	v_mov_b32_e32 v29, v28
.LBB400_56:
	s_or_b32 exec_lo, exec_lo, s29
	v_cvt_f32_f16_e32 v10, v11
	s_delay_alu instid0(VALU_DEP_3) | instskip(SKIP_1) | instid1(VALU_DEP_2)
	v_max_f32_e32 v18, v30, v30
	v_cmp_u_f16_e64 s28, v28, v28
	v_min_f32_e32 v19, v18, v10
	v_max_f32_e32 v18, v18, v10
	s_delay_alu instid0(VALU_DEP_2) | instskip(NEXT) | instid1(VALU_DEP_2)
	v_cndmask_b32_e64 v19, v19, v30, s28
	v_cndmask_b32_e64 v18, v18, v30, s28
	v_cmp_u_f16_e64 s28, v11, v11
	s_delay_alu instid0(VALU_DEP_1) | instskip(NEXT) | instid1(VALU_DEP_3)
	v_cndmask_b32_e64 v19, v19, v10, s28
	v_cndmask_b32_e64 v18, v18, v10, s28
	s_delay_alu instid0(VALU_DEP_2) | instskip(NEXT) | instid1(VALU_DEP_2)
	v_cmp_class_f32_e64 s30, v19, 0x1f8
	v_cmp_neq_f32_e64 s29, v19, v18
	s_delay_alu instid0(VALU_DEP_1) | instskip(NEXT) | instid1(SALU_CYCLE_1)
	s_or_b32 s29, s29, s30
	s_and_saveexec_b32 s30, s29
	s_cbranch_execz .LBB400_58
; %bb.57:
	v_sub_f32_e32 v19, v19, v18
	s_delay_alu instid0(VALU_DEP_1) | instskip(NEXT) | instid1(VALU_DEP_1)
	v_mul_f32_e32 v20, 0x3fb8aa3b, v19
	v_fma_f32 v21, 0x3fb8aa3b, v19, -v20
	v_rndne_f32_e32 v22, v20
	s_delay_alu instid0(VALU_DEP_1) | instskip(NEXT) | instid1(VALU_DEP_1)
	v_dual_fmamk_f32 v21, v19, 0x32a5705f, v21 :: v_dual_sub_f32 v20, v20, v22
	v_add_f32_e32 v20, v20, v21
	v_cvt_i32_f32_e32 v21, v22
	v_cmp_ngt_f32_e64 s29, 0xc2ce8ed0, v19
	s_delay_alu instid0(VALU_DEP_3) | instskip(SKIP_2) | instid1(VALU_DEP_1)
	v_exp_f32_e32 v20, v20
	s_waitcnt_depctr 0xfff
	v_ldexp_f32 v20, v20, v21
	v_cndmask_b32_e64 v20, 0, v20, s29
	v_cmp_nlt_f32_e64 s29, 0x42b17218, v19
	s_delay_alu instid0(VALU_DEP_1) | instskip(NEXT) | instid1(VALU_DEP_1)
	v_cndmask_b32_e64 v21, 0x7f800000, v20, s29
	v_add_f32_e32 v22, 1.0, v21
	v_cmp_gt_f32_e64 s31, 0x33800000, |v21|
	s_delay_alu instid0(VALU_DEP_2) | instskip(NEXT) | instid1(VALU_DEP_1)
	v_cvt_f64_f32_e32 v[19:20], v22
	v_frexp_exp_i32_f64_e32 v19, v[19:20]
	v_frexp_mant_f32_e32 v20, v22
	s_delay_alu instid0(VALU_DEP_1) | instskip(SKIP_1) | instid1(VALU_DEP_1)
	v_cmp_gt_f32_e64 s29, 0x3f2aaaab, v20
	v_add_f32_e32 v20, -1.0, v22
	v_sub_f32_e32 v24, v20, v22
	v_sub_f32_e32 v20, v21, v20
	s_delay_alu instid0(VALU_DEP_2) | instskip(NEXT) | instid1(VALU_DEP_1)
	v_add_f32_e32 v24, 1.0, v24
	v_add_f32_e32 v20, v20, v24
	v_subrev_co_ci_u32_e64 v19, s29, 0, v19, s29
	s_mov_b32 s29, 0x3e9b6dac
	s_delay_alu instid0(VALU_DEP_1) | instskip(SKIP_1) | instid1(VALU_DEP_2)
	v_sub_nc_u32_e32 v23, 0, v19
	v_cvt_f32_i32_e32 v19, v19
	v_ldexp_f32 v22, v22, v23
	v_ldexp_f32 v20, v20, v23
	s_delay_alu instid0(VALU_DEP_2) | instskip(NEXT) | instid1(VALU_DEP_1)
	v_add_f32_e32 v28, 1.0, v22
	v_dual_add_f32 v23, -1.0, v22 :: v_dual_add_f32 v24, -1.0, v28
	s_delay_alu instid0(VALU_DEP_1) | instskip(NEXT) | instid1(VALU_DEP_1)
	v_dual_add_f32 v29, 1.0, v23 :: v_dual_sub_f32 v24, v22, v24
	v_sub_f32_e32 v22, v22, v29
	s_delay_alu instid0(VALU_DEP_2) | instskip(NEXT) | instid1(VALU_DEP_2)
	v_add_f32_e32 v24, v20, v24
	v_add_f32_e32 v20, v20, v22
	s_delay_alu instid0(VALU_DEP_2) | instskip(NEXT) | instid1(VALU_DEP_2)
	v_add_f32_e32 v29, v28, v24
	v_add_f32_e32 v30, v23, v20
	s_delay_alu instid0(VALU_DEP_2) | instskip(NEXT) | instid1(VALU_DEP_1)
	v_rcp_f32_e32 v22, v29
	v_dual_sub_f32 v28, v28, v29 :: v_dual_sub_f32 v23, v23, v30
	s_delay_alu instid0(VALU_DEP_1) | instskip(SKIP_2) | instid1(VALU_DEP_1)
	v_add_f32_e32 v24, v24, v28
	s_waitcnt_depctr 0xfff
	v_dual_add_f32 v20, v20, v23 :: v_dual_mul_f32 v31, v30, v22
	v_mul_f32_e32 v32, v29, v31
	s_delay_alu instid0(VALU_DEP_1) | instskip(NEXT) | instid1(VALU_DEP_1)
	v_fma_f32 v28, v31, v29, -v32
	v_fmac_f32_e32 v28, v31, v24
	s_delay_alu instid0(VALU_DEP_1) | instskip(NEXT) | instid1(VALU_DEP_1)
	v_add_f32_e32 v33, v32, v28
	v_dual_sub_f32 v34, v30, v33 :: v_dual_sub_f32 v23, v33, v32
	s_delay_alu instid0(VALU_DEP_1) | instskip(NEXT) | instid1(VALU_DEP_1)
	v_dual_sub_f32 v30, v30, v34 :: v_dual_sub_f32 v23, v23, v28
	v_sub_f32_e32 v30, v30, v33
	s_delay_alu instid0(VALU_DEP_1) | instskip(NEXT) | instid1(VALU_DEP_1)
	v_add_f32_e32 v20, v20, v30
	v_add_f32_e32 v20, v23, v20
	s_delay_alu instid0(VALU_DEP_1) | instskip(NEXT) | instid1(VALU_DEP_1)
	v_add_f32_e32 v23, v34, v20
	v_mul_f32_e32 v28, v22, v23
	s_delay_alu instid0(VALU_DEP_1) | instskip(NEXT) | instid1(VALU_DEP_1)
	v_dual_sub_f32 v33, v34, v23 :: v_dual_mul_f32 v30, v29, v28
	v_add_f32_e32 v20, v20, v33
	s_delay_alu instid0(VALU_DEP_2) | instskip(NEXT) | instid1(VALU_DEP_1)
	v_fma_f32 v29, v28, v29, -v30
	v_fmac_f32_e32 v29, v28, v24
	s_delay_alu instid0(VALU_DEP_1) | instskip(NEXT) | instid1(VALU_DEP_1)
	v_add_f32_e32 v24, v30, v29
	v_sub_f32_e32 v32, v23, v24
	s_delay_alu instid0(VALU_DEP_1) | instskip(NEXT) | instid1(VALU_DEP_1)
	v_dual_sub_f32 v30, v24, v30 :: v_dual_sub_f32 v23, v23, v32
	v_dual_sub_f32 v23, v23, v24 :: v_dual_sub_f32 v24, v30, v29
	s_delay_alu instid0(VALU_DEP_1) | instskip(NEXT) | instid1(VALU_DEP_1)
	v_dual_add_f32 v20, v20, v23 :: v_dual_add_f32 v23, v31, v28
	v_add_f32_e32 v20, v24, v20
	s_delay_alu instid0(VALU_DEP_2) | instskip(NEXT) | instid1(VALU_DEP_2)
	v_sub_f32_e32 v24, v23, v31
	v_add_f32_e32 v20, v32, v20
	s_delay_alu instid0(VALU_DEP_2) | instskip(NEXT) | instid1(VALU_DEP_2)
	v_sub_f32_e32 v24, v28, v24
	v_mul_f32_e32 v20, v22, v20
	s_delay_alu instid0(VALU_DEP_1) | instskip(NEXT) | instid1(VALU_DEP_1)
	v_add_f32_e32 v20, v24, v20
	v_add_f32_e32 v22, v23, v20
	s_delay_alu instid0(VALU_DEP_1) | instskip(NEXT) | instid1(VALU_DEP_1)
	v_mul_f32_e32 v24, v22, v22
	v_fmaak_f32 v28, s29, v24, 0x3ecc95a3
	v_mul_f32_e32 v29, v22, v24
	v_cmp_eq_f32_e64 s29, 0x7f800000, v21
	s_delay_alu instid0(VALU_DEP_3) | instskip(SKIP_2) | instid1(VALU_DEP_4)
	v_fmaak_f32 v24, v24, v28, 0x3f2aaada
	v_ldexp_f32 v28, v22, 1
	v_sub_f32_e32 v22, v22, v23
	s_or_b32 s29, s29, s31
	s_delay_alu instid0(VALU_DEP_3) | instskip(NEXT) | instid1(VALU_DEP_2)
	v_dual_mul_f32 v24, v29, v24 :: v_dual_mul_f32 v29, 0x3f317218, v19
	v_sub_f32_e32 v20, v20, v22
	s_delay_alu instid0(VALU_DEP_2) | instskip(NEXT) | instid1(VALU_DEP_2)
	v_add_f32_e32 v23, v28, v24
	v_ldexp_f32 v20, v20, 1
	s_delay_alu instid0(VALU_DEP_2) | instskip(SKIP_1) | instid1(VALU_DEP_1)
	v_sub_f32_e32 v22, v23, v28
	v_fma_f32 v28, 0x3f317218, v19, -v29
	v_dual_sub_f32 v22, v24, v22 :: v_dual_fmamk_f32 v19, v19, 0xb102e308, v28
	s_delay_alu instid0(VALU_DEP_1) | instskip(NEXT) | instid1(VALU_DEP_2)
	v_add_f32_e32 v20, v20, v22
	v_add_f32_e32 v22, v29, v19
	s_delay_alu instid0(VALU_DEP_1) | instskip(NEXT) | instid1(VALU_DEP_1)
	v_dual_add_f32 v24, v23, v20 :: v_dual_sub_f32 v29, v22, v29
	v_dual_add_f32 v28, v22, v24 :: v_dual_sub_f32 v23, v24, v23
	s_delay_alu instid0(VALU_DEP_1) | instskip(NEXT) | instid1(VALU_DEP_2)
	v_dual_sub_f32 v19, v19, v29 :: v_dual_sub_f32 v30, v28, v22
	v_sub_f32_e32 v20, v20, v23
	s_delay_alu instid0(VALU_DEP_2) | instskip(NEXT) | instid1(VALU_DEP_2)
	v_sub_f32_e32 v31, v28, v30
	v_dual_sub_f32 v23, v24, v30 :: v_dual_add_f32 v24, v19, v20
	s_delay_alu instid0(VALU_DEP_2) | instskip(NEXT) | instid1(VALU_DEP_1)
	v_sub_f32_e32 v22, v22, v31
	v_dual_add_f32 v22, v23, v22 :: v_dual_sub_f32 v23, v24, v19
	s_delay_alu instid0(VALU_DEP_1) | instskip(NEXT) | instid1(VALU_DEP_2)
	v_add_f32_e32 v22, v24, v22
	v_sub_f32_e32 v24, v24, v23
	v_sub_f32_e32 v20, v20, v23
	s_delay_alu instid0(VALU_DEP_3) | instskip(NEXT) | instid1(VALU_DEP_3)
	v_add_f32_e32 v29, v28, v22
	v_sub_f32_e32 v19, v19, v24
	s_delay_alu instid0(VALU_DEP_2) | instskip(NEXT) | instid1(VALU_DEP_2)
	v_sub_f32_e32 v23, v29, v28
	v_add_f32_e32 v19, v20, v19
	s_delay_alu instid0(VALU_DEP_2) | instskip(NEXT) | instid1(VALU_DEP_1)
	v_sub_f32_e32 v20, v22, v23
	v_add_f32_e32 v19, v19, v20
	s_delay_alu instid0(VALU_DEP_1) | instskip(NEXT) | instid1(VALU_DEP_1)
	v_add_f32_e32 v19, v29, v19
	v_cndmask_b32_e64 v19, v19, v21, s29
	s_delay_alu instid0(VALU_DEP_1) | instskip(NEXT) | instid1(VALU_DEP_1)
	v_add_f32_e32 v18, v18, v19
	v_cvt_f16_f32_e32 v28, v18
	s_delay_alu instid0(VALU_DEP_1)
	v_mov_b32_e32 v29, v28
	v_cvt_f32_f16_e32 v30, v28
.LBB400_58:
	s_or_b32 exec_lo, exec_lo, s30
	v_lshrrev_b32_e32 v11, 16, v11
	s_delay_alu instid0(VALU_DEP_2) | instskip(SKIP_1) | instid1(VALU_DEP_3)
	v_max_f32_e32 v19, v30, v30
	v_cmp_u_f16_e64 s29, v28, v28
	v_cvt_f32_f16_e32 v18, v11
	s_delay_alu instid0(VALU_DEP_1) | instskip(SKIP_1) | instid1(VALU_DEP_2)
	v_min_f32_e32 v20, v19, v18
	v_max_f32_e32 v19, v19, v18
	v_cndmask_b32_e64 v20, v20, v30, s29
	s_delay_alu instid0(VALU_DEP_2) | instskip(SKIP_1) | instid1(VALU_DEP_1)
	v_cndmask_b32_e64 v21, v19, v30, s29
	v_cmp_u_f16_e64 s29, v11, v11
	v_cndmask_b32_e64 v19, v20, v18, s29
	s_delay_alu instid0(VALU_DEP_3) | instskip(NEXT) | instid1(VALU_DEP_2)
	v_cndmask_b32_e64 v11, v21, v18, s29
	v_cmp_class_f32_e64 s31, v19, 0x1f8
	s_delay_alu instid0(VALU_DEP_2) | instskip(NEXT) | instid1(VALU_DEP_1)
	v_cmp_neq_f32_e64 s30, v19, v11
	s_or_b32 s30, s30, s31
	s_delay_alu instid0(SALU_CYCLE_1)
	s_and_saveexec_b32 s31, s30
	s_cbranch_execz .LBB400_60
; %bb.59:
	v_sub_f32_e32 v19, v19, v11
	s_delay_alu instid0(VALU_DEP_1) | instskip(NEXT) | instid1(VALU_DEP_1)
	v_mul_f32_e32 v20, 0x3fb8aa3b, v19
	v_fma_f32 v21, 0x3fb8aa3b, v19, -v20
	v_rndne_f32_e32 v22, v20
	s_delay_alu instid0(VALU_DEP_1) | instskip(SKIP_1) | instid1(VALU_DEP_2)
	v_dual_sub_f32 v20, v20, v22 :: v_dual_fmamk_f32 v21, v19, 0x32a5705f, v21
	v_cmp_ngt_f32_e64 s30, 0xc2ce8ed0, v19
	v_add_f32_e32 v20, v20, v21
	v_cvt_i32_f32_e32 v21, v22
	s_delay_alu instid0(VALU_DEP_2) | instskip(SKIP_2) | instid1(VALU_DEP_1)
	v_exp_f32_e32 v20, v20
	s_waitcnt_depctr 0xfff
	v_ldexp_f32 v20, v20, v21
	v_cndmask_b32_e64 v20, 0, v20, s30
	v_cmp_nlt_f32_e64 s30, 0x42b17218, v19
	s_delay_alu instid0(VALU_DEP_1) | instskip(NEXT) | instid1(VALU_DEP_1)
	v_cndmask_b32_e64 v21, 0x7f800000, v20, s30
	v_add_f32_e32 v22, 1.0, v21
	v_cmp_gt_f32_e64 s33, 0x33800000, |v21|
	s_delay_alu instid0(VALU_DEP_2) | instskip(NEXT) | instid1(VALU_DEP_1)
	v_cvt_f64_f32_e32 v[19:20], v22
	v_frexp_exp_i32_f64_e32 v19, v[19:20]
	v_frexp_mant_f32_e32 v20, v22
	s_delay_alu instid0(VALU_DEP_1) | instskip(SKIP_1) | instid1(VALU_DEP_1)
	v_cmp_gt_f32_e64 s30, 0x3f2aaaab, v20
	v_add_f32_e32 v20, -1.0, v22
	v_sub_f32_e32 v24, v20, v22
	v_sub_f32_e32 v20, v21, v20
	s_delay_alu instid0(VALU_DEP_2) | instskip(NEXT) | instid1(VALU_DEP_1)
	v_add_f32_e32 v24, 1.0, v24
	v_add_f32_e32 v20, v20, v24
	v_subrev_co_ci_u32_e64 v19, s30, 0, v19, s30
	s_mov_b32 s30, 0x3e9b6dac
	s_delay_alu instid0(VALU_DEP_1) | instskip(SKIP_1) | instid1(VALU_DEP_2)
	v_sub_nc_u32_e32 v23, 0, v19
	v_cvt_f32_i32_e32 v19, v19
	v_ldexp_f32 v22, v22, v23
	v_ldexp_f32 v20, v20, v23
	s_delay_alu instid0(VALU_DEP_2) | instskip(NEXT) | instid1(VALU_DEP_1)
	v_add_f32_e32 v28, 1.0, v22
	v_dual_add_f32 v23, -1.0, v22 :: v_dual_add_f32 v24, -1.0, v28
	s_delay_alu instid0(VALU_DEP_1) | instskip(NEXT) | instid1(VALU_DEP_1)
	v_dual_add_f32 v29, 1.0, v23 :: v_dual_sub_f32 v24, v22, v24
	v_sub_f32_e32 v22, v22, v29
	s_delay_alu instid0(VALU_DEP_2) | instskip(NEXT) | instid1(VALU_DEP_2)
	v_add_f32_e32 v24, v20, v24
	v_add_f32_e32 v20, v20, v22
	s_delay_alu instid0(VALU_DEP_2) | instskip(NEXT) | instid1(VALU_DEP_2)
	v_add_f32_e32 v29, v28, v24
	v_add_f32_e32 v30, v23, v20
	s_delay_alu instid0(VALU_DEP_2) | instskip(NEXT) | instid1(VALU_DEP_1)
	v_rcp_f32_e32 v22, v29
	v_dual_sub_f32 v28, v28, v29 :: v_dual_sub_f32 v23, v23, v30
	s_delay_alu instid0(VALU_DEP_1) | instskip(SKIP_2) | instid1(VALU_DEP_1)
	v_add_f32_e32 v24, v24, v28
	s_waitcnt_depctr 0xfff
	v_dual_add_f32 v20, v20, v23 :: v_dual_mul_f32 v31, v30, v22
	v_mul_f32_e32 v32, v29, v31
	s_delay_alu instid0(VALU_DEP_1) | instskip(NEXT) | instid1(VALU_DEP_1)
	v_fma_f32 v28, v31, v29, -v32
	v_fmac_f32_e32 v28, v31, v24
	s_delay_alu instid0(VALU_DEP_1) | instskip(NEXT) | instid1(VALU_DEP_1)
	v_add_f32_e32 v33, v32, v28
	v_dual_sub_f32 v34, v30, v33 :: v_dual_sub_f32 v23, v33, v32
	s_delay_alu instid0(VALU_DEP_1) | instskip(NEXT) | instid1(VALU_DEP_1)
	v_dual_sub_f32 v30, v30, v34 :: v_dual_sub_f32 v23, v23, v28
	v_sub_f32_e32 v30, v30, v33
	s_delay_alu instid0(VALU_DEP_1) | instskip(NEXT) | instid1(VALU_DEP_1)
	v_add_f32_e32 v20, v20, v30
	v_add_f32_e32 v20, v23, v20
	s_delay_alu instid0(VALU_DEP_1) | instskip(NEXT) | instid1(VALU_DEP_1)
	v_add_f32_e32 v23, v34, v20
	v_mul_f32_e32 v28, v22, v23
	s_delay_alu instid0(VALU_DEP_1) | instskip(NEXT) | instid1(VALU_DEP_1)
	v_dual_sub_f32 v33, v34, v23 :: v_dual_mul_f32 v30, v29, v28
	v_add_f32_e32 v20, v20, v33
	s_delay_alu instid0(VALU_DEP_2) | instskip(NEXT) | instid1(VALU_DEP_1)
	v_fma_f32 v29, v28, v29, -v30
	v_fmac_f32_e32 v29, v28, v24
	s_delay_alu instid0(VALU_DEP_1) | instskip(NEXT) | instid1(VALU_DEP_1)
	v_add_f32_e32 v24, v30, v29
	v_sub_f32_e32 v32, v23, v24
	s_delay_alu instid0(VALU_DEP_1) | instskip(NEXT) | instid1(VALU_DEP_1)
	v_dual_sub_f32 v30, v24, v30 :: v_dual_sub_f32 v23, v23, v32
	v_dual_sub_f32 v23, v23, v24 :: v_dual_sub_f32 v24, v30, v29
	s_delay_alu instid0(VALU_DEP_1) | instskip(NEXT) | instid1(VALU_DEP_1)
	v_dual_add_f32 v20, v20, v23 :: v_dual_add_f32 v23, v31, v28
	v_add_f32_e32 v20, v24, v20
	s_delay_alu instid0(VALU_DEP_2) | instskip(NEXT) | instid1(VALU_DEP_2)
	v_sub_f32_e32 v24, v23, v31
	v_add_f32_e32 v20, v32, v20
	s_delay_alu instid0(VALU_DEP_2) | instskip(NEXT) | instid1(VALU_DEP_2)
	v_sub_f32_e32 v24, v28, v24
	v_mul_f32_e32 v20, v22, v20
	s_delay_alu instid0(VALU_DEP_1) | instskip(NEXT) | instid1(VALU_DEP_1)
	v_add_f32_e32 v20, v24, v20
	v_add_f32_e32 v22, v23, v20
	s_delay_alu instid0(VALU_DEP_1) | instskip(NEXT) | instid1(VALU_DEP_1)
	v_mul_f32_e32 v24, v22, v22
	v_fmaak_f32 v28, s30, v24, 0x3ecc95a3
	v_mul_f32_e32 v29, v22, v24
	v_cmp_eq_f32_e64 s30, 0x7f800000, v21
	s_delay_alu instid0(VALU_DEP_3) | instskip(SKIP_2) | instid1(VALU_DEP_4)
	v_fmaak_f32 v24, v24, v28, 0x3f2aaada
	v_ldexp_f32 v28, v22, 1
	v_sub_f32_e32 v22, v22, v23
	s_or_b32 s30, s30, s33
	s_delay_alu instid0(VALU_DEP_3) | instskip(NEXT) | instid1(VALU_DEP_2)
	v_dual_mul_f32 v24, v29, v24 :: v_dual_mul_f32 v29, 0x3f317218, v19
	v_sub_f32_e32 v20, v20, v22
	s_delay_alu instid0(VALU_DEP_2) | instskip(NEXT) | instid1(VALU_DEP_2)
	v_add_f32_e32 v23, v28, v24
	v_ldexp_f32 v20, v20, 1
	s_delay_alu instid0(VALU_DEP_2) | instskip(SKIP_1) | instid1(VALU_DEP_1)
	v_sub_f32_e32 v22, v23, v28
	v_fma_f32 v28, 0x3f317218, v19, -v29
	v_dual_sub_f32 v22, v24, v22 :: v_dual_fmamk_f32 v19, v19, 0xb102e308, v28
	s_delay_alu instid0(VALU_DEP_1) | instskip(NEXT) | instid1(VALU_DEP_2)
	v_add_f32_e32 v20, v20, v22
	v_add_f32_e32 v22, v29, v19
	s_delay_alu instid0(VALU_DEP_1) | instskip(NEXT) | instid1(VALU_DEP_1)
	v_dual_add_f32 v24, v23, v20 :: v_dual_sub_f32 v29, v22, v29
	v_dual_add_f32 v28, v22, v24 :: v_dual_sub_f32 v23, v24, v23
	s_delay_alu instid0(VALU_DEP_1) | instskip(NEXT) | instid1(VALU_DEP_2)
	v_dual_sub_f32 v19, v19, v29 :: v_dual_sub_f32 v30, v28, v22
	v_sub_f32_e32 v20, v20, v23
	s_delay_alu instid0(VALU_DEP_2) | instskip(NEXT) | instid1(VALU_DEP_2)
	v_sub_f32_e32 v31, v28, v30
	v_dual_sub_f32 v23, v24, v30 :: v_dual_add_f32 v24, v19, v20
	s_delay_alu instid0(VALU_DEP_2) | instskip(NEXT) | instid1(VALU_DEP_1)
	v_sub_f32_e32 v22, v22, v31
	v_dual_add_f32 v22, v23, v22 :: v_dual_sub_f32 v23, v24, v19
	s_delay_alu instid0(VALU_DEP_1) | instskip(NEXT) | instid1(VALU_DEP_2)
	v_add_f32_e32 v22, v24, v22
	v_sub_f32_e32 v24, v24, v23
	v_sub_f32_e32 v20, v20, v23
	s_delay_alu instid0(VALU_DEP_3) | instskip(NEXT) | instid1(VALU_DEP_3)
	v_add_f32_e32 v29, v28, v22
	v_sub_f32_e32 v19, v19, v24
	s_delay_alu instid0(VALU_DEP_2) | instskip(NEXT) | instid1(VALU_DEP_2)
	v_sub_f32_e32 v23, v29, v28
	v_add_f32_e32 v19, v20, v19
	s_delay_alu instid0(VALU_DEP_2) | instskip(NEXT) | instid1(VALU_DEP_1)
	v_sub_f32_e32 v20, v22, v23
	v_add_f32_e32 v19, v19, v20
	s_delay_alu instid0(VALU_DEP_1) | instskip(NEXT) | instid1(VALU_DEP_1)
	v_add_f32_e32 v19, v29, v19
	v_cndmask_b32_e64 v19, v19, v21, s30
	s_delay_alu instid0(VALU_DEP_1) | instskip(NEXT) | instid1(VALU_DEP_1)
	v_add_f32_e32 v11, v11, v19
	v_cvt_f16_f32_e32 v28, v11
	s_delay_alu instid0(VALU_DEP_1)
	v_mov_b32_e32 v29, v28
	v_cvt_f32_f16_e32 v30, v28
.LBB400_60:
	s_or_b32 exec_lo, exec_lo, s31
	v_cvt_f32_f16_e32 v11, v8
	s_delay_alu instid0(VALU_DEP_2) | instskip(SKIP_1) | instid1(VALU_DEP_2)
	v_max_f32_e32 v19, v30, v30
	v_cmp_u_f16_e64 s30, v28, v28
	v_min_f32_e32 v20, v19, v11
	v_max_f32_e32 v19, v19, v11
	s_delay_alu instid0(VALU_DEP_2) | instskip(NEXT) | instid1(VALU_DEP_2)
	v_cndmask_b32_e64 v20, v20, v30, s30
	v_cndmask_b32_e64 v19, v19, v30, s30
	v_cmp_u_f16_e64 s30, v8, v8
	s_delay_alu instid0(VALU_DEP_1) | instskip(NEXT) | instid1(VALU_DEP_3)
	v_cndmask_b32_e64 v20, v20, v11, s30
	v_cndmask_b32_e64 v19, v19, v11, s30
	s_delay_alu instid0(VALU_DEP_2) | instskip(NEXT) | instid1(VALU_DEP_2)
	v_cmp_class_f32_e64 s33, v20, 0x1f8
	v_cmp_neq_f32_e64 s31, v20, v19
	s_delay_alu instid0(VALU_DEP_1) | instskip(NEXT) | instid1(SALU_CYCLE_1)
	s_or_b32 s31, s31, s33
	s_and_saveexec_b32 s33, s31
	s_cbranch_execz .LBB400_62
; %bb.61:
	v_sub_f32_e32 v20, v20, v19
	s_delay_alu instid0(VALU_DEP_1) | instskip(NEXT) | instid1(VALU_DEP_1)
	v_mul_f32_e32 v21, 0x3fb8aa3b, v20
	v_fma_f32 v22, 0x3fb8aa3b, v20, -v21
	v_rndne_f32_e32 v23, v21
	s_delay_alu instid0(VALU_DEP_1) | instskip(NEXT) | instid1(VALU_DEP_1)
	v_dual_fmamk_f32 v22, v20, 0x32a5705f, v22 :: v_dual_sub_f32 v21, v21, v23
	v_add_f32_e32 v21, v21, v22
	v_cvt_i32_f32_e32 v22, v23
	v_cmp_ngt_f32_e64 s31, 0xc2ce8ed0, v20
	s_delay_alu instid0(VALU_DEP_3) | instskip(SKIP_2) | instid1(VALU_DEP_1)
	v_exp_f32_e32 v21, v21
	s_waitcnt_depctr 0xfff
	v_ldexp_f32 v21, v21, v22
	v_cndmask_b32_e64 v21, 0, v21, s31
	v_cmp_nlt_f32_e64 s31, 0x42b17218, v20
	s_delay_alu instid0(VALU_DEP_1) | instskip(NEXT) | instid1(VALU_DEP_1)
	v_cndmask_b32_e64 v22, 0x7f800000, v21, s31
	v_add_f32_e32 v23, 1.0, v22
	v_cmp_gt_f32_e64 s34, 0x33800000, |v22|
	s_delay_alu instid0(VALU_DEP_2) | instskip(NEXT) | instid1(VALU_DEP_1)
	v_cvt_f64_f32_e32 v[20:21], v23
	v_frexp_exp_i32_f64_e32 v20, v[20:21]
	v_frexp_mant_f32_e32 v21, v23
	s_delay_alu instid0(VALU_DEP_1) | instskip(SKIP_1) | instid1(VALU_DEP_1)
	v_cmp_gt_f32_e64 s31, 0x3f2aaaab, v21
	v_add_f32_e32 v21, -1.0, v23
	v_dual_sub_f32 v28, v21, v23 :: v_dual_sub_f32 v21, v22, v21
	s_delay_alu instid0(VALU_DEP_1) | instskip(NEXT) | instid1(VALU_DEP_4)
	v_add_f32_e32 v28, 1.0, v28
	v_subrev_co_ci_u32_e64 v20, s31, 0, v20, s31
	s_mov_b32 s31, 0x3e9b6dac
	s_delay_alu instid0(VALU_DEP_1) | instskip(SKIP_1) | instid1(VALU_DEP_2)
	v_sub_nc_u32_e32 v24, 0, v20
	v_cvt_f32_i32_e32 v20, v20
	v_ldexp_f32 v23, v23, v24
	v_add_f32_e32 v21, v21, v28
	s_delay_alu instid0(VALU_DEP_1) | instskip(NEXT) | instid1(VALU_DEP_3)
	v_ldexp_f32 v21, v21, v24
	v_add_f32_e32 v24, -1.0, v23
	s_delay_alu instid0(VALU_DEP_1) | instskip(NEXT) | instid1(VALU_DEP_1)
	v_dual_add_f32 v29, 1.0, v23 :: v_dual_add_f32 v30, 1.0, v24
	v_add_f32_e32 v28, -1.0, v29
	s_delay_alu instid0(VALU_DEP_1) | instskip(NEXT) | instid1(VALU_DEP_1)
	v_sub_f32_e32 v28, v23, v28
	v_dual_sub_f32 v23, v23, v30 :: v_dual_add_f32 v28, v21, v28
	s_delay_alu instid0(VALU_DEP_1) | instskip(NEXT) | instid1(VALU_DEP_1)
	v_add_f32_e32 v21, v21, v23
	v_dual_add_f32 v30, v29, v28 :: v_dual_add_f32 v31, v24, v21
	s_delay_alu instid0(VALU_DEP_1) | instskip(NEXT) | instid1(VALU_DEP_1)
	v_rcp_f32_e32 v23, v30
	v_dual_sub_f32 v29, v29, v30 :: v_dual_sub_f32 v24, v24, v31
	s_delay_alu instid0(VALU_DEP_1) | instskip(SKIP_2) | instid1(VALU_DEP_1)
	v_dual_add_f32 v28, v28, v29 :: v_dual_add_f32 v21, v21, v24
	s_waitcnt_depctr 0xfff
	v_mul_f32_e32 v32, v31, v23
	v_mul_f32_e32 v33, v30, v32
	s_delay_alu instid0(VALU_DEP_1) | instskip(NEXT) | instid1(VALU_DEP_1)
	v_fma_f32 v29, v32, v30, -v33
	v_fmac_f32_e32 v29, v32, v28
	s_delay_alu instid0(VALU_DEP_1) | instskip(NEXT) | instid1(VALU_DEP_1)
	v_add_f32_e32 v34, v33, v29
	v_sub_f32_e32 v35, v31, v34
	s_delay_alu instid0(VALU_DEP_1) | instskip(NEXT) | instid1(VALU_DEP_1)
	v_dual_sub_f32 v31, v31, v35 :: v_dual_sub_f32 v24, v34, v33
	v_dual_sub_f32 v31, v31, v34 :: v_dual_sub_f32 v24, v24, v29
	s_delay_alu instid0(VALU_DEP_1) | instskip(NEXT) | instid1(VALU_DEP_1)
	v_add_f32_e32 v21, v21, v31
	v_add_f32_e32 v21, v24, v21
	s_delay_alu instid0(VALU_DEP_1) | instskip(NEXT) | instid1(VALU_DEP_1)
	v_add_f32_e32 v24, v35, v21
	v_mul_f32_e32 v29, v23, v24
	s_delay_alu instid0(VALU_DEP_1) | instskip(NEXT) | instid1(VALU_DEP_1)
	v_dual_sub_f32 v34, v35, v24 :: v_dual_mul_f32 v31, v30, v29
	v_fma_f32 v30, v29, v30, -v31
	s_delay_alu instid0(VALU_DEP_1) | instskip(NEXT) | instid1(VALU_DEP_1)
	v_fmac_f32_e32 v30, v29, v28
	v_add_f32_e32 v28, v31, v30
	s_delay_alu instid0(VALU_DEP_1) | instskip(NEXT) | instid1(VALU_DEP_1)
	v_sub_f32_e32 v33, v24, v28
	v_sub_f32_e32 v24, v24, v33
	s_delay_alu instid0(VALU_DEP_1) | instskip(SKIP_1) | instid1(VALU_DEP_1)
	v_sub_f32_e32 v24, v24, v28
	v_sub_f32_e32 v31, v28, v31
	;; [unrolled: 1-line block ×3, first 2 shown]
	v_add_f32_e32 v21, v21, v34
	s_delay_alu instid0(VALU_DEP_1) | instskip(NEXT) | instid1(VALU_DEP_1)
	v_dual_add_f32 v21, v21, v24 :: v_dual_add_f32 v24, v32, v29
	v_add_f32_e32 v21, v28, v21
	s_delay_alu instid0(VALU_DEP_1) | instskip(NEXT) | instid1(VALU_DEP_1)
	v_dual_sub_f32 v28, v24, v32 :: v_dual_add_f32 v21, v33, v21
	v_dual_sub_f32 v28, v29, v28 :: v_dual_mul_f32 v21, v23, v21
	s_delay_alu instid0(VALU_DEP_1) | instskip(NEXT) | instid1(VALU_DEP_1)
	v_add_f32_e32 v21, v28, v21
	v_add_f32_e32 v23, v24, v21
	s_delay_alu instid0(VALU_DEP_1) | instskip(NEXT) | instid1(VALU_DEP_1)
	v_mul_f32_e32 v28, v23, v23
	v_fmaak_f32 v29, s31, v28, 0x3ecc95a3
	v_mul_f32_e32 v30, v23, v28
	v_cmp_eq_f32_e64 s31, 0x7f800000, v22
	s_delay_alu instid0(VALU_DEP_3) | instskip(NEXT) | instid1(VALU_DEP_2)
	v_fmaak_f32 v28, v28, v29, 0x3f2aaada
	s_or_b32 s31, s31, s34
	s_delay_alu instid0(VALU_DEP_1) | instskip(SKIP_3) | instid1(VALU_DEP_2)
	v_mul_f32_e32 v28, v30, v28
	v_mul_f32_e32 v30, 0x3f317218, v20
	v_ldexp_f32 v29, v23, 1
	v_sub_f32_e32 v23, v23, v24
	v_add_f32_e32 v24, v29, v28
	s_delay_alu instid0(VALU_DEP_2) | instskip(NEXT) | instid1(VALU_DEP_2)
	v_sub_f32_e32 v21, v21, v23
	v_sub_f32_e32 v23, v24, v29
	v_fma_f32 v29, 0x3f317218, v20, -v30
	s_delay_alu instid0(VALU_DEP_2) | instskip(NEXT) | instid1(VALU_DEP_2)
	v_sub_f32_e32 v23, v28, v23
	v_fmamk_f32 v20, v20, 0xb102e308, v29
	v_ldexp_f32 v21, v21, 1
	s_delay_alu instid0(VALU_DEP_1) | instskip(NEXT) | instid1(VALU_DEP_3)
	v_add_f32_e32 v21, v21, v23
	v_add_f32_e32 v23, v30, v20
	s_delay_alu instid0(VALU_DEP_1) | instskip(NEXT) | instid1(VALU_DEP_3)
	v_sub_f32_e32 v30, v23, v30
	v_add_f32_e32 v28, v24, v21
	s_delay_alu instid0(VALU_DEP_1) | instskip(NEXT) | instid1(VALU_DEP_1)
	v_dual_sub_f32 v20, v20, v30 :: v_dual_add_f32 v29, v23, v28
	v_dual_sub_f32 v24, v28, v24 :: v_dual_sub_f32 v31, v29, v23
	s_delay_alu instid0(VALU_DEP_1) | instskip(SKIP_1) | instid1(VALU_DEP_1)
	v_dual_sub_f32 v21, v21, v24 :: v_dual_sub_f32 v24, v28, v31
	v_sub_f32_e32 v32, v29, v31
	v_dual_add_f32 v28, v20, v21 :: v_dual_sub_f32 v23, v23, v32
	s_delay_alu instid0(VALU_DEP_1) | instskip(NEXT) | instid1(VALU_DEP_2)
	v_add_f32_e32 v23, v24, v23
	v_sub_f32_e32 v24, v28, v20
	s_delay_alu instid0(VALU_DEP_2) | instskip(NEXT) | instid1(VALU_DEP_2)
	v_add_f32_e32 v23, v28, v23
	v_sub_f32_e32 v28, v28, v24
	v_sub_f32_e32 v21, v21, v24
	s_delay_alu instid0(VALU_DEP_3) | instskip(NEXT) | instid1(VALU_DEP_3)
	v_add_f32_e32 v30, v29, v23
	v_sub_f32_e32 v20, v20, v28
	s_delay_alu instid0(VALU_DEP_2) | instskip(NEXT) | instid1(VALU_DEP_2)
	v_sub_f32_e32 v24, v30, v29
	v_add_f32_e32 v20, v21, v20
	s_delay_alu instid0(VALU_DEP_2) | instskip(NEXT) | instid1(VALU_DEP_1)
	v_sub_f32_e32 v21, v23, v24
	v_add_f32_e32 v20, v20, v21
	s_delay_alu instid0(VALU_DEP_1) | instskip(NEXT) | instid1(VALU_DEP_1)
	v_add_f32_e32 v20, v30, v20
	v_cndmask_b32_e64 v20, v20, v22, s31
	s_delay_alu instid0(VALU_DEP_1) | instskip(NEXT) | instid1(VALU_DEP_1)
	v_add_f32_e32 v19, v19, v20
	v_cvt_f16_f32_e32 v28, v19
	s_delay_alu instid0(VALU_DEP_1)
	v_cvt_f32_f16_e32 v30, v28
	v_mov_b32_e32 v29, v28
.LBB400_62:
	s_or_b32 exec_lo, exec_lo, s33
	v_lshrrev_b32_e32 v8, 16, v8
	s_delay_alu instid0(VALU_DEP_3) | instskip(SKIP_1) | instid1(VALU_DEP_3)
	v_max_f32_e32 v20, v30, v30
	v_cmp_u_f16_e64 s31, v28, v28
	v_cvt_f32_f16_e32 v19, v8
	s_delay_alu instid0(VALU_DEP_1) | instskip(SKIP_1) | instid1(VALU_DEP_2)
	v_min_f32_e32 v21, v20, v19
	v_max_f32_e32 v20, v20, v19
	v_cndmask_b32_e64 v21, v21, v30, s31
	s_delay_alu instid0(VALU_DEP_2) | instskip(SKIP_1) | instid1(VALU_DEP_1)
	v_cndmask_b32_e64 v22, v20, v30, s31
	v_cmp_u_f16_e64 s31, v8, v8
	v_cndmask_b32_e64 v20, v21, v19, s31
	s_delay_alu instid0(VALU_DEP_3) | instskip(NEXT) | instid1(VALU_DEP_2)
	v_cndmask_b32_e64 v8, v22, v19, s31
	v_cmp_class_f32_e64 s34, v20, 0x1f8
	s_delay_alu instid0(VALU_DEP_2) | instskip(NEXT) | instid1(VALU_DEP_1)
	v_cmp_neq_f32_e64 s33, v20, v8
	s_or_b32 s33, s33, s34
	s_delay_alu instid0(SALU_CYCLE_1)
	s_and_saveexec_b32 s34, s33
	s_cbranch_execz .LBB400_64
; %bb.63:
	v_sub_f32_e32 v20, v20, v8
	s_delay_alu instid0(VALU_DEP_1) | instskip(NEXT) | instid1(VALU_DEP_1)
	v_mul_f32_e32 v21, 0x3fb8aa3b, v20
	v_fma_f32 v22, 0x3fb8aa3b, v20, -v21
	v_rndne_f32_e32 v23, v21
	s_delay_alu instid0(VALU_DEP_1) | instskip(SKIP_1) | instid1(VALU_DEP_2)
	v_dual_sub_f32 v21, v21, v23 :: v_dual_fmamk_f32 v22, v20, 0x32a5705f, v22
	v_cmp_ngt_f32_e64 s33, 0xc2ce8ed0, v20
	v_add_f32_e32 v21, v21, v22
	v_cvt_i32_f32_e32 v22, v23
	s_delay_alu instid0(VALU_DEP_2) | instskip(SKIP_2) | instid1(VALU_DEP_1)
	v_exp_f32_e32 v21, v21
	s_waitcnt_depctr 0xfff
	v_ldexp_f32 v21, v21, v22
	v_cndmask_b32_e64 v21, 0, v21, s33
	v_cmp_nlt_f32_e64 s33, 0x42b17218, v20
	s_delay_alu instid0(VALU_DEP_1) | instskip(NEXT) | instid1(VALU_DEP_1)
	v_cndmask_b32_e64 v22, 0x7f800000, v21, s33
	v_add_f32_e32 v23, 1.0, v22
	v_cmp_gt_f32_e64 s35, 0x33800000, |v22|
	s_delay_alu instid0(VALU_DEP_2) | instskip(NEXT) | instid1(VALU_DEP_1)
	v_cvt_f64_f32_e32 v[20:21], v23
	v_frexp_exp_i32_f64_e32 v20, v[20:21]
	v_frexp_mant_f32_e32 v21, v23
	s_delay_alu instid0(VALU_DEP_1) | instskip(SKIP_1) | instid1(VALU_DEP_1)
	v_cmp_gt_f32_e64 s33, 0x3f2aaaab, v21
	v_add_f32_e32 v21, -1.0, v23
	v_dual_sub_f32 v28, v21, v23 :: v_dual_sub_f32 v21, v22, v21
	s_delay_alu instid0(VALU_DEP_1) | instskip(NEXT) | instid1(VALU_DEP_4)
	v_add_f32_e32 v28, 1.0, v28
	v_subrev_co_ci_u32_e64 v20, s33, 0, v20, s33
	s_mov_b32 s33, 0x3e9b6dac
	s_delay_alu instid0(VALU_DEP_1) | instskip(SKIP_1) | instid1(VALU_DEP_2)
	v_sub_nc_u32_e32 v24, 0, v20
	v_cvt_f32_i32_e32 v20, v20
	v_ldexp_f32 v23, v23, v24
	v_add_f32_e32 v21, v21, v28
	s_delay_alu instid0(VALU_DEP_2) | instskip(NEXT) | instid1(VALU_DEP_2)
	v_add_f32_e32 v29, 1.0, v23
	v_ldexp_f32 v21, v21, v24
	v_add_f32_e32 v24, -1.0, v23
	s_delay_alu instid0(VALU_DEP_3) | instskip(NEXT) | instid1(VALU_DEP_2)
	v_add_f32_e32 v28, -1.0, v29
	v_add_f32_e32 v30, 1.0, v24
	s_delay_alu instid0(VALU_DEP_2) | instskip(NEXT) | instid1(VALU_DEP_1)
	v_sub_f32_e32 v28, v23, v28
	v_dual_sub_f32 v23, v23, v30 :: v_dual_add_f32 v28, v21, v28
	s_delay_alu instid0(VALU_DEP_1) | instskip(NEXT) | instid1(VALU_DEP_1)
	v_add_f32_e32 v21, v21, v23
	v_dual_add_f32 v30, v29, v28 :: v_dual_add_f32 v31, v24, v21
	s_delay_alu instid0(VALU_DEP_1) | instskip(NEXT) | instid1(VALU_DEP_1)
	v_rcp_f32_e32 v23, v30
	v_dual_sub_f32 v29, v29, v30 :: v_dual_sub_f32 v24, v24, v31
	s_delay_alu instid0(VALU_DEP_1) | instskip(SKIP_2) | instid1(VALU_DEP_1)
	v_dual_add_f32 v28, v28, v29 :: v_dual_add_f32 v21, v21, v24
	s_waitcnt_depctr 0xfff
	v_mul_f32_e32 v32, v31, v23
	v_mul_f32_e32 v33, v30, v32
	s_delay_alu instid0(VALU_DEP_1) | instskip(NEXT) | instid1(VALU_DEP_1)
	v_fma_f32 v29, v32, v30, -v33
	v_fmac_f32_e32 v29, v32, v28
	s_delay_alu instid0(VALU_DEP_1) | instskip(NEXT) | instid1(VALU_DEP_1)
	v_add_f32_e32 v34, v33, v29
	v_sub_f32_e32 v35, v31, v34
	s_delay_alu instid0(VALU_DEP_1) | instskip(NEXT) | instid1(VALU_DEP_1)
	v_dual_sub_f32 v31, v31, v35 :: v_dual_sub_f32 v24, v34, v33
	v_dual_sub_f32 v31, v31, v34 :: v_dual_sub_f32 v24, v24, v29
	s_delay_alu instid0(VALU_DEP_1) | instskip(NEXT) | instid1(VALU_DEP_1)
	v_add_f32_e32 v21, v21, v31
	v_add_f32_e32 v21, v24, v21
	s_delay_alu instid0(VALU_DEP_1) | instskip(NEXT) | instid1(VALU_DEP_1)
	v_add_f32_e32 v24, v35, v21
	v_mul_f32_e32 v29, v23, v24
	s_delay_alu instid0(VALU_DEP_1) | instskip(NEXT) | instid1(VALU_DEP_1)
	v_dual_sub_f32 v34, v35, v24 :: v_dual_mul_f32 v31, v30, v29
	v_fma_f32 v30, v29, v30, -v31
	s_delay_alu instid0(VALU_DEP_1) | instskip(NEXT) | instid1(VALU_DEP_1)
	v_fmac_f32_e32 v30, v29, v28
	v_add_f32_e32 v28, v31, v30
	s_delay_alu instid0(VALU_DEP_1) | instskip(NEXT) | instid1(VALU_DEP_1)
	v_sub_f32_e32 v33, v24, v28
	v_sub_f32_e32 v24, v24, v33
	s_delay_alu instid0(VALU_DEP_1) | instskip(SKIP_1) | instid1(VALU_DEP_1)
	v_sub_f32_e32 v24, v24, v28
	v_sub_f32_e32 v31, v28, v31
	;; [unrolled: 1-line block ×3, first 2 shown]
	v_add_f32_e32 v21, v21, v34
	s_delay_alu instid0(VALU_DEP_1) | instskip(NEXT) | instid1(VALU_DEP_1)
	v_dual_add_f32 v21, v21, v24 :: v_dual_add_f32 v24, v32, v29
	v_add_f32_e32 v21, v28, v21
	s_delay_alu instid0(VALU_DEP_1) | instskip(NEXT) | instid1(VALU_DEP_1)
	v_dual_sub_f32 v28, v24, v32 :: v_dual_add_f32 v21, v33, v21
	v_dual_sub_f32 v28, v29, v28 :: v_dual_mul_f32 v21, v23, v21
	s_delay_alu instid0(VALU_DEP_1) | instskip(NEXT) | instid1(VALU_DEP_1)
	v_add_f32_e32 v21, v28, v21
	v_add_f32_e32 v23, v24, v21
	s_delay_alu instid0(VALU_DEP_1) | instskip(NEXT) | instid1(VALU_DEP_1)
	v_mul_f32_e32 v28, v23, v23
	v_fmaak_f32 v29, s33, v28, 0x3ecc95a3
	v_mul_f32_e32 v30, v23, v28
	v_cmp_eq_f32_e64 s33, 0x7f800000, v22
	s_delay_alu instid0(VALU_DEP_3) | instskip(NEXT) | instid1(VALU_DEP_2)
	v_fmaak_f32 v28, v28, v29, 0x3f2aaada
	s_or_b32 s33, s33, s35
	s_delay_alu instid0(VALU_DEP_1) | instskip(SKIP_3) | instid1(VALU_DEP_2)
	v_mul_f32_e32 v28, v30, v28
	v_mul_f32_e32 v30, 0x3f317218, v20
	v_ldexp_f32 v29, v23, 1
	v_sub_f32_e32 v23, v23, v24
	v_add_f32_e32 v24, v29, v28
	s_delay_alu instid0(VALU_DEP_2) | instskip(NEXT) | instid1(VALU_DEP_2)
	v_sub_f32_e32 v21, v21, v23
	v_sub_f32_e32 v23, v24, v29
	v_fma_f32 v29, 0x3f317218, v20, -v30
	s_delay_alu instid0(VALU_DEP_2) | instskip(NEXT) | instid1(VALU_DEP_2)
	v_sub_f32_e32 v23, v28, v23
	v_fmamk_f32 v20, v20, 0xb102e308, v29
	v_ldexp_f32 v21, v21, 1
	s_delay_alu instid0(VALU_DEP_1) | instskip(NEXT) | instid1(VALU_DEP_3)
	v_add_f32_e32 v21, v21, v23
	v_add_f32_e32 v23, v30, v20
	s_delay_alu instid0(VALU_DEP_1) | instskip(NEXT) | instid1(VALU_DEP_3)
	v_sub_f32_e32 v30, v23, v30
	v_add_f32_e32 v28, v24, v21
	s_delay_alu instid0(VALU_DEP_1) | instskip(NEXT) | instid1(VALU_DEP_1)
	v_dual_sub_f32 v20, v20, v30 :: v_dual_add_f32 v29, v23, v28
	v_dual_sub_f32 v24, v28, v24 :: v_dual_sub_f32 v31, v29, v23
	s_delay_alu instid0(VALU_DEP_1) | instskip(SKIP_1) | instid1(VALU_DEP_1)
	v_dual_sub_f32 v21, v21, v24 :: v_dual_sub_f32 v24, v28, v31
	v_sub_f32_e32 v32, v29, v31
	v_dual_add_f32 v28, v20, v21 :: v_dual_sub_f32 v23, v23, v32
	s_delay_alu instid0(VALU_DEP_1) | instskip(NEXT) | instid1(VALU_DEP_2)
	v_add_f32_e32 v23, v24, v23
	v_sub_f32_e32 v24, v28, v20
	s_delay_alu instid0(VALU_DEP_2) | instskip(NEXT) | instid1(VALU_DEP_2)
	v_add_f32_e32 v23, v28, v23
	v_sub_f32_e32 v28, v28, v24
	v_sub_f32_e32 v21, v21, v24
	s_delay_alu instid0(VALU_DEP_3) | instskip(NEXT) | instid1(VALU_DEP_3)
	v_add_f32_e32 v30, v29, v23
	v_sub_f32_e32 v20, v20, v28
	s_delay_alu instid0(VALU_DEP_2) | instskip(NEXT) | instid1(VALU_DEP_2)
	v_sub_f32_e32 v24, v30, v29
	v_add_f32_e32 v20, v21, v20
	s_delay_alu instid0(VALU_DEP_2) | instskip(NEXT) | instid1(VALU_DEP_1)
	v_sub_f32_e32 v21, v23, v24
	v_add_f32_e32 v20, v20, v21
	s_delay_alu instid0(VALU_DEP_1) | instskip(NEXT) | instid1(VALU_DEP_1)
	v_add_f32_e32 v20, v30, v20
	v_cndmask_b32_e64 v20, v20, v22, s33
	s_delay_alu instid0(VALU_DEP_1) | instskip(NEXT) | instid1(VALU_DEP_1)
	v_add_f32_e32 v8, v8, v20
	v_cvt_f16_f32_e32 v28, v8
	s_delay_alu instid0(VALU_DEP_1)
	v_cvt_f32_f16_e32 v30, v28
	v_mov_b32_e32 v29, v28
.LBB400_64:
	s_or_b32 exec_lo, exec_lo, s34
	v_cvt_f32_f16_e32 v8, v9
	s_delay_alu instid0(VALU_DEP_3) | instskip(SKIP_1) | instid1(VALU_DEP_2)
	v_max_f32_e32 v20, v30, v30
	v_cmp_u_f16_e64 s33, v28, v28
	v_min_f32_e32 v21, v20, v8
	v_max_f32_e32 v20, v20, v8
	s_delay_alu instid0(VALU_DEP_2) | instskip(NEXT) | instid1(VALU_DEP_2)
	v_cndmask_b32_e64 v21, v21, v30, s33
	v_cndmask_b32_e64 v20, v20, v30, s33
	v_cmp_u_f16_e64 s33, v9, v9
	s_delay_alu instid0(VALU_DEP_1) | instskip(NEXT) | instid1(VALU_DEP_3)
	v_cndmask_b32_e64 v21, v21, v8, s33
	v_cndmask_b32_e64 v20, v20, v8, s33
	s_delay_alu instid0(VALU_DEP_2) | instskip(NEXT) | instid1(VALU_DEP_2)
	v_cmp_class_f32_e64 s35, v21, 0x1f8
	v_cmp_neq_f32_e64 s34, v21, v20
	s_delay_alu instid0(VALU_DEP_1) | instskip(NEXT) | instid1(SALU_CYCLE_1)
	s_or_b32 s34, s34, s35
	s_and_saveexec_b32 s35, s34
	s_cbranch_execz .LBB400_66
; %bb.65:
	v_sub_f32_e32 v21, v21, v20
	s_delay_alu instid0(VALU_DEP_1) | instskip(NEXT) | instid1(VALU_DEP_1)
	v_mul_f32_e32 v22, 0x3fb8aa3b, v21
	v_fma_f32 v23, 0x3fb8aa3b, v21, -v22
	v_rndne_f32_e32 v24, v22
	s_delay_alu instid0(VALU_DEP_1) | instskip(NEXT) | instid1(VALU_DEP_1)
	v_dual_fmamk_f32 v23, v21, 0x32a5705f, v23 :: v_dual_sub_f32 v22, v22, v24
	v_add_f32_e32 v22, v22, v23
	v_cvt_i32_f32_e32 v23, v24
	v_cmp_ngt_f32_e64 s34, 0xc2ce8ed0, v21
	s_delay_alu instid0(VALU_DEP_3) | instskip(SKIP_2) | instid1(VALU_DEP_1)
	v_exp_f32_e32 v22, v22
	s_waitcnt_depctr 0xfff
	v_ldexp_f32 v22, v22, v23
	v_cndmask_b32_e64 v22, 0, v22, s34
	v_cmp_nlt_f32_e64 s34, 0x42b17218, v21
	s_delay_alu instid0(VALU_DEP_1) | instskip(NEXT) | instid1(VALU_DEP_1)
	v_cndmask_b32_e64 v23, 0x7f800000, v22, s34
	v_add_f32_e32 v24, 1.0, v23
	v_cmp_gt_f32_e64 s36, 0x33800000, |v23|
	s_delay_alu instid0(VALU_DEP_2) | instskip(NEXT) | instid1(VALU_DEP_1)
	v_cvt_f64_f32_e32 v[21:22], v24
	v_frexp_exp_i32_f64_e32 v21, v[21:22]
	v_frexp_mant_f32_e32 v22, v24
	s_delay_alu instid0(VALU_DEP_1) | instskip(SKIP_1) | instid1(VALU_DEP_1)
	v_cmp_gt_f32_e64 s34, 0x3f2aaaab, v22
	v_add_f32_e32 v22, -1.0, v24
	v_dual_sub_f32 v29, v22, v24 :: v_dual_sub_f32 v22, v23, v22
	s_delay_alu instid0(VALU_DEP_1) | instskip(NEXT) | instid1(VALU_DEP_1)
	v_add_f32_e32 v29, 1.0, v29
	v_add_f32_e32 v22, v22, v29
	v_subrev_co_ci_u32_e64 v21, s34, 0, v21, s34
	s_mov_b32 s34, 0x3e9b6dac
	s_delay_alu instid0(VALU_DEP_1) | instskip(SKIP_1) | instid1(VALU_DEP_2)
	v_sub_nc_u32_e32 v28, 0, v21
	v_cvt_f32_i32_e32 v21, v21
	v_ldexp_f32 v24, v24, v28
	v_ldexp_f32 v22, v22, v28
	s_delay_alu instid0(VALU_DEP_2) | instskip(NEXT) | instid1(VALU_DEP_1)
	v_add_f32_e32 v30, 1.0, v24
	v_add_f32_e32 v29, -1.0, v30
	s_delay_alu instid0(VALU_DEP_1) | instskip(NEXT) | instid1(VALU_DEP_1)
	v_sub_f32_e32 v29, v24, v29
	v_dual_add_f32 v29, v22, v29 :: v_dual_add_f32 v28, -1.0, v24
	s_delay_alu instid0(VALU_DEP_1) | instskip(NEXT) | instid1(VALU_DEP_1)
	v_add_f32_e32 v31, 1.0, v28
	v_dual_sub_f32 v24, v24, v31 :: v_dual_add_f32 v31, v30, v29
	s_delay_alu instid0(VALU_DEP_1) | instskip(NEXT) | instid1(VALU_DEP_1)
	v_sub_f32_e32 v30, v30, v31
	v_dual_add_f32 v29, v29, v30 :: v_dual_add_f32 v22, v22, v24
	v_rcp_f32_e32 v24, v31
	s_delay_alu instid0(VALU_DEP_1) | instskip(NEXT) | instid1(VALU_DEP_1)
	v_add_f32_e32 v32, v28, v22
	v_sub_f32_e32 v28, v28, v32
	s_waitcnt_depctr 0xfff
	v_mul_f32_e32 v33, v32, v24
	v_add_f32_e32 v22, v22, v28
	s_delay_alu instid0(VALU_DEP_2) | instskip(NEXT) | instid1(VALU_DEP_1)
	v_mul_f32_e32 v34, v31, v33
	v_fma_f32 v30, v33, v31, -v34
	s_delay_alu instid0(VALU_DEP_1) | instskip(NEXT) | instid1(VALU_DEP_1)
	v_fmac_f32_e32 v30, v33, v29
	v_add_f32_e32 v35, v34, v30
	s_delay_alu instid0(VALU_DEP_1) | instskip(SKIP_1) | instid1(VALU_DEP_2)
	v_sub_f32_e32 v36, v32, v35
	v_sub_f32_e32 v28, v35, v34
	;; [unrolled: 1-line block ×3, first 2 shown]
	s_delay_alu instid0(VALU_DEP_2) | instskip(NEXT) | instid1(VALU_DEP_2)
	v_sub_f32_e32 v28, v28, v30
	v_sub_f32_e32 v32, v32, v35
	s_delay_alu instid0(VALU_DEP_1) | instskip(NEXT) | instid1(VALU_DEP_1)
	v_add_f32_e32 v22, v22, v32
	v_add_f32_e32 v22, v28, v22
	s_delay_alu instid0(VALU_DEP_1) | instskip(NEXT) | instid1(VALU_DEP_1)
	v_add_f32_e32 v28, v36, v22
	v_mul_f32_e32 v30, v24, v28
	s_delay_alu instid0(VALU_DEP_1) | instskip(NEXT) | instid1(VALU_DEP_1)
	v_dual_sub_f32 v35, v36, v28 :: v_dual_mul_f32 v32, v31, v30
	v_add_f32_e32 v22, v22, v35
	s_delay_alu instid0(VALU_DEP_2) | instskip(NEXT) | instid1(VALU_DEP_1)
	v_fma_f32 v31, v30, v31, -v32
	v_fmac_f32_e32 v31, v30, v29
	s_delay_alu instid0(VALU_DEP_1) | instskip(NEXT) | instid1(VALU_DEP_1)
	v_add_f32_e32 v29, v32, v31
	v_sub_f32_e32 v34, v28, v29
	v_sub_f32_e32 v32, v29, v32
	s_delay_alu instid0(VALU_DEP_2) | instskip(NEXT) | instid1(VALU_DEP_1)
	v_sub_f32_e32 v28, v28, v34
	v_sub_f32_e32 v28, v28, v29
	s_delay_alu instid0(VALU_DEP_1) | instskip(SKIP_1) | instid1(VALU_DEP_1)
	v_dual_sub_f32 v29, v32, v31 :: v_dual_add_f32 v22, v22, v28
	v_add_f32_e32 v28, v33, v30
	v_dual_add_f32 v22, v29, v22 :: v_dual_sub_f32 v29, v28, v33
	s_delay_alu instid0(VALU_DEP_1) | instskip(NEXT) | instid1(VALU_DEP_1)
	v_add_f32_e32 v22, v34, v22
	v_dual_sub_f32 v29, v30, v29 :: v_dual_mul_f32 v22, v24, v22
	s_delay_alu instid0(VALU_DEP_1) | instskip(NEXT) | instid1(VALU_DEP_1)
	v_add_f32_e32 v22, v29, v22
	v_add_f32_e32 v24, v28, v22
	s_delay_alu instid0(VALU_DEP_1) | instskip(NEXT) | instid1(VALU_DEP_1)
	v_mul_f32_e32 v29, v24, v24
	v_fmaak_f32 v30, s34, v29, 0x3ecc95a3
	v_mul_f32_e32 v31, v24, v29
	v_cmp_eq_f32_e64 s34, 0x7f800000, v23
	s_delay_alu instid0(VALU_DEP_3) | instskip(SKIP_2) | instid1(VALU_DEP_4)
	v_fmaak_f32 v29, v29, v30, 0x3f2aaada
	v_ldexp_f32 v30, v24, 1
	v_sub_f32_e32 v24, v24, v28
	s_or_b32 s34, s34, s36
	s_delay_alu instid0(VALU_DEP_3) | instskip(NEXT) | instid1(VALU_DEP_2)
	v_mul_f32_e32 v29, v31, v29
	v_dual_mul_f32 v31, 0x3f317218, v21 :: v_dual_sub_f32 v22, v22, v24
	s_delay_alu instid0(VALU_DEP_2) | instskip(NEXT) | instid1(VALU_DEP_2)
	v_add_f32_e32 v28, v30, v29
	v_ldexp_f32 v22, v22, 1
	s_delay_alu instid0(VALU_DEP_2) | instskip(NEXT) | instid1(VALU_DEP_4)
	v_sub_f32_e32 v24, v28, v30
	v_fma_f32 v30, 0x3f317218, v21, -v31
	s_delay_alu instid0(VALU_DEP_2) | instskip(NEXT) | instid1(VALU_DEP_1)
	v_sub_f32_e32 v24, v29, v24
	v_dual_fmamk_f32 v21, v21, 0xb102e308, v30 :: v_dual_add_f32 v22, v22, v24
	s_delay_alu instid0(VALU_DEP_1) | instskip(NEXT) | instid1(VALU_DEP_1)
	v_dual_add_f32 v24, v31, v21 :: v_dual_add_f32 v29, v28, v22
	v_sub_f32_e32 v31, v24, v31
	s_delay_alu instid0(VALU_DEP_2) | instskip(SKIP_1) | instid1(VALU_DEP_2)
	v_add_f32_e32 v30, v24, v29
	v_sub_f32_e32 v28, v29, v28
	v_dual_sub_f32 v21, v21, v31 :: v_dual_sub_f32 v32, v30, v24
	s_delay_alu instid0(VALU_DEP_2) | instskip(NEXT) | instid1(VALU_DEP_2)
	v_sub_f32_e32 v22, v22, v28
	v_sub_f32_e32 v33, v30, v32
	;; [unrolled: 1-line block ×3, first 2 shown]
	s_delay_alu instid0(VALU_DEP_2) | instskip(NEXT) | instid1(VALU_DEP_1)
	v_dual_add_f32 v29, v21, v22 :: v_dual_sub_f32 v24, v24, v33
	v_add_f32_e32 v24, v28, v24
	s_delay_alu instid0(VALU_DEP_2) | instskip(NEXT) | instid1(VALU_DEP_2)
	v_sub_f32_e32 v28, v29, v21
	v_add_f32_e32 v24, v29, v24
	s_delay_alu instid0(VALU_DEP_2) | instskip(SKIP_1) | instid1(VALU_DEP_3)
	v_sub_f32_e32 v29, v29, v28
	v_sub_f32_e32 v22, v22, v28
	v_add_f32_e32 v31, v30, v24
	s_delay_alu instid0(VALU_DEP_1) | instskip(NEXT) | instid1(VALU_DEP_1)
	v_dual_sub_f32 v21, v21, v29 :: v_dual_sub_f32 v28, v31, v30
	v_dual_add_f32 v21, v22, v21 :: v_dual_sub_f32 v22, v24, v28
	s_delay_alu instid0(VALU_DEP_1) | instskip(NEXT) | instid1(VALU_DEP_1)
	v_add_f32_e32 v21, v21, v22
	v_add_f32_e32 v21, v31, v21
	s_delay_alu instid0(VALU_DEP_1) | instskip(NEXT) | instid1(VALU_DEP_1)
	v_cndmask_b32_e64 v21, v21, v23, s34
	v_add_f32_e32 v20, v20, v21
	s_delay_alu instid0(VALU_DEP_1) | instskip(NEXT) | instid1(VALU_DEP_1)
	v_cvt_f16_f32_e32 v28, v20
	v_mov_b32_e32 v29, v28
	v_cvt_f32_f16_e32 v30, v28
.LBB400_66:
	s_or_b32 exec_lo, exec_lo, s35
	v_lshrrev_b32_e32 v9, 16, v9
	s_delay_alu instid0(VALU_DEP_2) | instskip(SKIP_1) | instid1(VALU_DEP_3)
	v_max_f32_e32 v21, v30, v30
	v_cmp_u_f16_e64 s34, v28, v28
	v_cvt_f32_f16_e32 v20, v9
	s_delay_alu instid0(VALU_DEP_1) | instskip(SKIP_1) | instid1(VALU_DEP_2)
	v_min_f32_e32 v22, v21, v20
	v_max_f32_e32 v21, v21, v20
	v_cndmask_b32_e64 v22, v22, v30, s34
	s_delay_alu instid0(VALU_DEP_2) | instskip(SKIP_1) | instid1(VALU_DEP_1)
	v_cndmask_b32_e64 v23, v21, v30, s34
	v_cmp_u_f16_e64 s34, v9, v9
	v_cndmask_b32_e64 v21, v22, v20, s34
	s_delay_alu instid0(VALU_DEP_3) | instskip(NEXT) | instid1(VALU_DEP_2)
	v_cndmask_b32_e64 v9, v23, v20, s34
	v_cmp_class_f32_e64 s36, v21, 0x1f8
	s_delay_alu instid0(VALU_DEP_2) | instskip(NEXT) | instid1(VALU_DEP_1)
	v_cmp_neq_f32_e64 s35, v21, v9
	s_or_b32 s35, s35, s36
	s_delay_alu instid0(SALU_CYCLE_1)
	s_and_saveexec_b32 s36, s35
	s_cbranch_execz .LBB400_68
; %bb.67:
	v_sub_f32_e32 v21, v21, v9
	s_delay_alu instid0(VALU_DEP_1) | instskip(NEXT) | instid1(VALU_DEP_1)
	v_mul_f32_e32 v22, 0x3fb8aa3b, v21
	v_fma_f32 v23, 0x3fb8aa3b, v21, -v22
	v_rndne_f32_e32 v24, v22
	s_delay_alu instid0(VALU_DEP_1) | instskip(SKIP_1) | instid1(VALU_DEP_2)
	v_dual_sub_f32 v22, v22, v24 :: v_dual_fmamk_f32 v23, v21, 0x32a5705f, v23
	v_cmp_ngt_f32_e64 s35, 0xc2ce8ed0, v21
	v_add_f32_e32 v22, v22, v23
	v_cvt_i32_f32_e32 v23, v24
	s_delay_alu instid0(VALU_DEP_2) | instskip(SKIP_2) | instid1(VALU_DEP_1)
	v_exp_f32_e32 v22, v22
	s_waitcnt_depctr 0xfff
	v_ldexp_f32 v22, v22, v23
	v_cndmask_b32_e64 v22, 0, v22, s35
	v_cmp_nlt_f32_e64 s35, 0x42b17218, v21
	s_delay_alu instid0(VALU_DEP_1) | instskip(NEXT) | instid1(VALU_DEP_1)
	v_cndmask_b32_e64 v23, 0x7f800000, v22, s35
	v_add_f32_e32 v24, 1.0, v23
	v_cmp_gt_f32_e64 s37, 0x33800000, |v23|
	s_delay_alu instid0(VALU_DEP_2) | instskip(NEXT) | instid1(VALU_DEP_1)
	v_cvt_f64_f32_e32 v[21:22], v24
	v_frexp_exp_i32_f64_e32 v21, v[21:22]
	v_frexp_mant_f32_e32 v22, v24
	s_delay_alu instid0(VALU_DEP_1) | instskip(SKIP_1) | instid1(VALU_DEP_1)
	v_cmp_gt_f32_e64 s35, 0x3f2aaaab, v22
	v_add_f32_e32 v22, -1.0, v24
	v_dual_sub_f32 v29, v22, v24 :: v_dual_sub_f32 v22, v23, v22
	s_delay_alu instid0(VALU_DEP_1) | instskip(NEXT) | instid1(VALU_DEP_1)
	v_add_f32_e32 v29, 1.0, v29
	v_add_f32_e32 v22, v22, v29
	v_subrev_co_ci_u32_e64 v21, s35, 0, v21, s35
	s_mov_b32 s35, 0x3e9b6dac
	s_delay_alu instid0(VALU_DEP_1) | instskip(SKIP_1) | instid1(VALU_DEP_2)
	v_sub_nc_u32_e32 v28, 0, v21
	v_cvt_f32_i32_e32 v21, v21
	v_ldexp_f32 v24, v24, v28
	v_ldexp_f32 v22, v22, v28
	s_delay_alu instid0(VALU_DEP_2) | instskip(NEXT) | instid1(VALU_DEP_1)
	v_add_f32_e32 v30, 1.0, v24
	v_add_f32_e32 v29, -1.0, v30
	s_delay_alu instid0(VALU_DEP_1) | instskip(NEXT) | instid1(VALU_DEP_1)
	v_dual_sub_f32 v29, v24, v29 :: v_dual_add_f32 v28, -1.0, v24
	v_add_f32_e32 v29, v22, v29
	s_delay_alu instid0(VALU_DEP_2) | instskip(NEXT) | instid1(VALU_DEP_1)
	v_add_f32_e32 v31, 1.0, v28
	v_dual_sub_f32 v24, v24, v31 :: v_dual_add_f32 v31, v30, v29
	s_delay_alu instid0(VALU_DEP_1) | instskip(NEXT) | instid1(VALU_DEP_2)
	v_sub_f32_e32 v30, v30, v31
	v_add_f32_e32 v22, v22, v24
	v_rcp_f32_e32 v24, v31
	s_delay_alu instid0(VALU_DEP_2) | instskip(NEXT) | instid1(VALU_DEP_2)
	v_add_f32_e32 v29, v29, v30
	v_add_f32_e32 v32, v28, v22
	s_delay_alu instid0(VALU_DEP_1) | instskip(SKIP_3) | instid1(VALU_DEP_2)
	v_sub_f32_e32 v28, v28, v32
	s_waitcnt_depctr 0xfff
	v_mul_f32_e32 v33, v32, v24
	v_add_f32_e32 v22, v22, v28
	v_mul_f32_e32 v34, v31, v33
	s_delay_alu instid0(VALU_DEP_1) | instskip(NEXT) | instid1(VALU_DEP_1)
	v_fma_f32 v30, v33, v31, -v34
	v_fmac_f32_e32 v30, v33, v29
	s_delay_alu instid0(VALU_DEP_1) | instskip(NEXT) | instid1(VALU_DEP_1)
	v_add_f32_e32 v35, v34, v30
	v_sub_f32_e32 v36, v32, v35
	v_sub_f32_e32 v28, v35, v34
	s_delay_alu instid0(VALU_DEP_2) | instskip(NEXT) | instid1(VALU_DEP_2)
	v_sub_f32_e32 v32, v32, v36
	v_sub_f32_e32 v28, v28, v30
	s_delay_alu instid0(VALU_DEP_2) | instskip(NEXT) | instid1(VALU_DEP_1)
	v_sub_f32_e32 v32, v32, v35
	v_add_f32_e32 v22, v22, v32
	s_delay_alu instid0(VALU_DEP_1) | instskip(NEXT) | instid1(VALU_DEP_1)
	v_add_f32_e32 v22, v28, v22
	v_add_f32_e32 v28, v36, v22
	s_delay_alu instid0(VALU_DEP_1) | instskip(NEXT) | instid1(VALU_DEP_1)
	v_mul_f32_e32 v30, v24, v28
	v_dual_sub_f32 v35, v36, v28 :: v_dual_mul_f32 v32, v31, v30
	s_delay_alu instid0(VALU_DEP_1) | instskip(NEXT) | instid1(VALU_DEP_2)
	v_add_f32_e32 v22, v22, v35
	v_fma_f32 v31, v30, v31, -v32
	s_delay_alu instid0(VALU_DEP_1) | instskip(NEXT) | instid1(VALU_DEP_1)
	v_fmac_f32_e32 v31, v30, v29
	v_add_f32_e32 v29, v32, v31
	s_delay_alu instid0(VALU_DEP_1) | instskip(SKIP_1) | instid1(VALU_DEP_2)
	v_sub_f32_e32 v34, v28, v29
	v_sub_f32_e32 v32, v29, v32
	;; [unrolled: 1-line block ×3, first 2 shown]
	s_delay_alu instid0(VALU_DEP_1) | instskip(NEXT) | instid1(VALU_DEP_1)
	v_sub_f32_e32 v28, v28, v29
	v_dual_sub_f32 v29, v32, v31 :: v_dual_add_f32 v22, v22, v28
	v_add_f32_e32 v28, v33, v30
	s_delay_alu instid0(VALU_DEP_1) | instskip(NEXT) | instid1(VALU_DEP_1)
	v_dual_add_f32 v22, v29, v22 :: v_dual_sub_f32 v29, v28, v33
	v_add_f32_e32 v22, v34, v22
	s_delay_alu instid0(VALU_DEP_1) | instskip(NEXT) | instid1(VALU_DEP_1)
	v_dual_sub_f32 v29, v30, v29 :: v_dual_mul_f32 v22, v24, v22
	v_add_f32_e32 v22, v29, v22
	s_delay_alu instid0(VALU_DEP_1) | instskip(NEXT) | instid1(VALU_DEP_1)
	v_add_f32_e32 v24, v28, v22
	v_mul_f32_e32 v29, v24, v24
	s_delay_alu instid0(VALU_DEP_1) | instskip(SKIP_2) | instid1(VALU_DEP_3)
	v_fmaak_f32 v30, s35, v29, 0x3ecc95a3
	v_mul_f32_e32 v31, v24, v29
	v_cmp_eq_f32_e64 s35, 0x7f800000, v23
	v_fmaak_f32 v29, v29, v30, 0x3f2aaada
	v_ldexp_f32 v30, v24, 1
	v_sub_f32_e32 v24, v24, v28
	s_delay_alu instid0(VALU_DEP_4) | instskip(NEXT) | instid1(VALU_DEP_3)
	s_or_b32 s35, s35, s37
	v_mul_f32_e32 v29, v31, v29
	s_delay_alu instid0(VALU_DEP_2) | instskip(NEXT) | instid1(VALU_DEP_2)
	v_dual_mul_f32 v31, 0x3f317218, v21 :: v_dual_sub_f32 v22, v22, v24
	v_add_f32_e32 v28, v30, v29
	s_delay_alu instid0(VALU_DEP_2) | instskip(NEXT) | instid1(VALU_DEP_2)
	v_ldexp_f32 v22, v22, 1
	v_sub_f32_e32 v24, v28, v30
	s_delay_alu instid0(VALU_DEP_4) | instskip(NEXT) | instid1(VALU_DEP_2)
	v_fma_f32 v30, 0x3f317218, v21, -v31
	v_sub_f32_e32 v24, v29, v24
	s_delay_alu instid0(VALU_DEP_1) | instskip(NEXT) | instid1(VALU_DEP_1)
	v_dual_fmamk_f32 v21, v21, 0xb102e308, v30 :: v_dual_add_f32 v22, v22, v24
	v_dual_add_f32 v24, v31, v21 :: v_dual_add_f32 v29, v28, v22
	s_delay_alu instid0(VALU_DEP_1) | instskip(NEXT) | instid1(VALU_DEP_2)
	v_sub_f32_e32 v31, v24, v31
	v_add_f32_e32 v30, v24, v29
	v_sub_f32_e32 v28, v29, v28
	s_delay_alu instid0(VALU_DEP_2) | instskip(NEXT) | instid1(VALU_DEP_2)
	v_dual_sub_f32 v21, v21, v31 :: v_dual_sub_f32 v32, v30, v24
	v_sub_f32_e32 v22, v22, v28
	s_delay_alu instid0(VALU_DEP_2) | instskip(SKIP_1) | instid1(VALU_DEP_2)
	v_sub_f32_e32 v33, v30, v32
	v_sub_f32_e32 v28, v29, v32
	v_dual_add_f32 v29, v21, v22 :: v_dual_sub_f32 v24, v24, v33
	s_delay_alu instid0(VALU_DEP_1) | instskip(NEXT) | instid1(VALU_DEP_2)
	v_add_f32_e32 v24, v28, v24
	v_sub_f32_e32 v28, v29, v21
	s_delay_alu instid0(VALU_DEP_2) | instskip(NEXT) | instid1(VALU_DEP_2)
	v_add_f32_e32 v24, v29, v24
	v_sub_f32_e32 v29, v29, v28
	v_sub_f32_e32 v22, v22, v28
	s_delay_alu instid0(VALU_DEP_3) | instskip(NEXT) | instid1(VALU_DEP_1)
	v_add_f32_e32 v31, v30, v24
	v_dual_sub_f32 v21, v21, v29 :: v_dual_sub_f32 v28, v31, v30
	s_delay_alu instid0(VALU_DEP_1) | instskip(NEXT) | instid1(VALU_DEP_1)
	v_dual_add_f32 v21, v22, v21 :: v_dual_sub_f32 v22, v24, v28
	v_add_f32_e32 v21, v21, v22
	s_delay_alu instid0(VALU_DEP_1) | instskip(NEXT) | instid1(VALU_DEP_1)
	v_add_f32_e32 v21, v31, v21
	v_cndmask_b32_e64 v21, v21, v23, s35
	s_delay_alu instid0(VALU_DEP_1) | instskip(NEXT) | instid1(VALU_DEP_1)
	v_add_f32_e32 v9, v9, v21
	v_cvt_f16_f32_e32 v28, v9
	s_delay_alu instid0(VALU_DEP_1)
	v_mov_b32_e32 v29, v28
	v_cvt_f32_f16_e32 v30, v28
.LBB400_68:
	s_or_b32 exec_lo, exec_lo, s36
	v_cvt_f32_f16_e32 v9, v6
	s_delay_alu instid0(VALU_DEP_2) | instskip(SKIP_1) | instid1(VALU_DEP_2)
	v_max_f32_e32 v21, v30, v30
	v_cmp_u_f16_e64 s35, v28, v28
	v_min_f32_e32 v22, v21, v9
	v_max_f32_e32 v21, v21, v9
	s_delay_alu instid0(VALU_DEP_2) | instskip(NEXT) | instid1(VALU_DEP_2)
	v_cndmask_b32_e64 v22, v22, v30, s35
	v_cndmask_b32_e64 v21, v21, v30, s35
	v_cmp_u_f16_e64 s35, v6, v6
	s_delay_alu instid0(VALU_DEP_1) | instskip(NEXT) | instid1(VALU_DEP_3)
	v_cndmask_b32_e64 v22, v22, v9, s35
	v_cndmask_b32_e64 v21, v21, v9, s35
	s_delay_alu instid0(VALU_DEP_2) | instskip(NEXT) | instid1(VALU_DEP_2)
	v_cmp_class_f32_e64 s37, v22, 0x1f8
	v_cmp_neq_f32_e64 s36, v22, v21
	s_delay_alu instid0(VALU_DEP_1) | instskip(NEXT) | instid1(SALU_CYCLE_1)
	s_or_b32 s36, s36, s37
	s_and_saveexec_b32 s37, s36
	s_cbranch_execz .LBB400_70
; %bb.69:
	v_sub_f32_e32 v22, v22, v21
	s_delay_alu instid0(VALU_DEP_1) | instskip(NEXT) | instid1(VALU_DEP_1)
	v_mul_f32_e32 v23, 0x3fb8aa3b, v22
	v_fma_f32 v24, 0x3fb8aa3b, v22, -v23
	v_rndne_f32_e32 v28, v23
	s_delay_alu instid0(VALU_DEP_1) | instskip(SKIP_1) | instid1(VALU_DEP_2)
	v_dual_sub_f32 v23, v23, v28 :: v_dual_fmamk_f32 v24, v22, 0x32a5705f, v24
	v_cmp_ngt_f32_e64 s36, 0xc2ce8ed0, v22
	v_add_f32_e32 v23, v23, v24
	v_cvt_i32_f32_e32 v24, v28
	s_delay_alu instid0(VALU_DEP_2) | instskip(SKIP_2) | instid1(VALU_DEP_1)
	v_exp_f32_e32 v23, v23
	s_waitcnt_depctr 0xfff
	v_ldexp_f32 v23, v23, v24
	v_cndmask_b32_e64 v23, 0, v23, s36
	v_cmp_nlt_f32_e64 s36, 0x42b17218, v22
	s_delay_alu instid0(VALU_DEP_1) | instskip(NEXT) | instid1(VALU_DEP_1)
	v_cndmask_b32_e64 v24, 0x7f800000, v23, s36
	v_add_f32_e32 v28, 1.0, v24
	v_cmp_gt_f32_e64 s38, 0x33800000, |v24|
	s_delay_alu instid0(VALU_DEP_2) | instskip(NEXT) | instid1(VALU_DEP_1)
	v_cvt_f64_f32_e32 v[22:23], v28
	v_frexp_exp_i32_f64_e32 v22, v[22:23]
	v_frexp_mant_f32_e32 v23, v28
	s_delay_alu instid0(VALU_DEP_1) | instskip(SKIP_1) | instid1(VALU_DEP_1)
	v_cmp_gt_f32_e64 s36, 0x3f2aaaab, v23
	v_add_f32_e32 v23, -1.0, v28
	v_dual_sub_f32 v30, v23, v28 :: v_dual_sub_f32 v23, v24, v23
	s_delay_alu instid0(VALU_DEP_1) | instskip(NEXT) | instid1(VALU_DEP_4)
	v_add_f32_e32 v30, 1.0, v30
	v_subrev_co_ci_u32_e64 v22, s36, 0, v22, s36
	s_mov_b32 s36, 0x3e9b6dac
	s_delay_alu instid0(VALU_DEP_1) | instskip(SKIP_1) | instid1(VALU_DEP_2)
	v_sub_nc_u32_e32 v29, 0, v22
	v_cvt_f32_i32_e32 v22, v22
	v_ldexp_f32 v28, v28, v29
	s_delay_alu instid0(VALU_DEP_1) | instskip(NEXT) | instid1(VALU_DEP_1)
	v_add_f32_e32 v31, 1.0, v28
	v_dual_add_f32 v23, v23, v30 :: v_dual_add_f32 v30, -1.0, v31
	s_delay_alu instid0(VALU_DEP_1) | instskip(NEXT) | instid1(VALU_DEP_2)
	v_ldexp_f32 v23, v23, v29
	v_dual_sub_f32 v30, v28, v30 :: v_dual_add_f32 v29, -1.0, v28
	s_delay_alu instid0(VALU_DEP_1) | instskip(NEXT) | instid1(VALU_DEP_2)
	v_add_f32_e32 v30, v23, v30
	v_add_f32_e32 v32, 1.0, v29
	s_delay_alu instid0(VALU_DEP_1) | instskip(NEXT) | instid1(VALU_DEP_1)
	v_sub_f32_e32 v28, v28, v32
	v_add_f32_e32 v23, v23, v28
	s_delay_alu instid0(VALU_DEP_1) | instskip(NEXT) | instid1(VALU_DEP_1)
	v_dual_add_f32 v33, v29, v23 :: v_dual_add_f32 v32, v31, v30
	v_sub_f32_e32 v29, v29, v33
	s_delay_alu instid0(VALU_DEP_2) | instskip(SKIP_1) | instid1(VALU_DEP_1)
	v_rcp_f32_e32 v28, v32
	v_sub_f32_e32 v31, v31, v32
	v_dual_add_f32 v23, v23, v29 :: v_dual_add_f32 v30, v30, v31
	s_waitcnt_depctr 0xfff
	v_mul_f32_e32 v34, v33, v28
	s_delay_alu instid0(VALU_DEP_1) | instskip(NEXT) | instid1(VALU_DEP_1)
	v_mul_f32_e32 v35, v32, v34
	v_fma_f32 v31, v34, v32, -v35
	s_delay_alu instid0(VALU_DEP_1) | instskip(NEXT) | instid1(VALU_DEP_1)
	v_fmac_f32_e32 v31, v34, v30
	v_add_f32_e32 v36, v35, v31
	s_delay_alu instid0(VALU_DEP_1) | instskip(NEXT) | instid1(VALU_DEP_1)
	v_sub_f32_e32 v37, v33, v36
	v_sub_f32_e32 v33, v33, v37
	;; [unrolled: 1-line block ×3, first 2 shown]
	s_delay_alu instid0(VALU_DEP_2) | instskip(NEXT) | instid1(VALU_DEP_2)
	v_sub_f32_e32 v33, v33, v36
	v_sub_f32_e32 v29, v29, v31
	s_delay_alu instid0(VALU_DEP_2) | instskip(NEXT) | instid1(VALU_DEP_1)
	v_add_f32_e32 v23, v23, v33
	v_add_f32_e32 v23, v29, v23
	s_delay_alu instid0(VALU_DEP_1) | instskip(NEXT) | instid1(VALU_DEP_1)
	v_add_f32_e32 v29, v37, v23
	v_mul_f32_e32 v31, v28, v29
	s_delay_alu instid0(VALU_DEP_1) | instskip(NEXT) | instid1(VALU_DEP_1)
	v_dual_sub_f32 v36, v37, v29 :: v_dual_mul_f32 v33, v32, v31
	v_add_f32_e32 v23, v23, v36
	s_delay_alu instid0(VALU_DEP_2) | instskip(NEXT) | instid1(VALU_DEP_1)
	v_fma_f32 v32, v31, v32, -v33
	v_fmac_f32_e32 v32, v31, v30
	s_delay_alu instid0(VALU_DEP_1) | instskip(NEXT) | instid1(VALU_DEP_1)
	v_add_f32_e32 v30, v33, v32
	v_sub_f32_e32 v35, v29, v30
	v_sub_f32_e32 v33, v30, v33
	s_delay_alu instid0(VALU_DEP_2) | instskip(NEXT) | instid1(VALU_DEP_1)
	v_sub_f32_e32 v29, v29, v35
	v_sub_f32_e32 v29, v29, v30
	s_delay_alu instid0(VALU_DEP_1) | instskip(SKIP_1) | instid1(VALU_DEP_1)
	v_dual_sub_f32 v30, v33, v32 :: v_dual_add_f32 v23, v23, v29
	v_add_f32_e32 v29, v34, v31
	v_dual_add_f32 v23, v30, v23 :: v_dual_sub_f32 v30, v29, v34
	s_delay_alu instid0(VALU_DEP_1) | instskip(NEXT) | instid1(VALU_DEP_1)
	v_add_f32_e32 v23, v35, v23
	v_dual_sub_f32 v30, v31, v30 :: v_dual_mul_f32 v23, v28, v23
	s_delay_alu instid0(VALU_DEP_1) | instskip(NEXT) | instid1(VALU_DEP_1)
	v_add_f32_e32 v23, v30, v23
	v_add_f32_e32 v28, v29, v23
	s_delay_alu instid0(VALU_DEP_1) | instskip(NEXT) | instid1(VALU_DEP_1)
	v_mul_f32_e32 v30, v28, v28
	v_fmaak_f32 v31, s36, v30, 0x3ecc95a3
	v_mul_f32_e32 v32, v28, v30
	v_cmp_eq_f32_e64 s36, 0x7f800000, v24
	s_delay_alu instid0(VALU_DEP_3) | instskip(SKIP_2) | instid1(VALU_DEP_4)
	v_fmaak_f32 v30, v30, v31, 0x3f2aaada
	v_ldexp_f32 v31, v28, 1
	v_sub_f32_e32 v28, v28, v29
	s_or_b32 s36, s36, s38
	s_delay_alu instid0(VALU_DEP_3) | instskip(NEXT) | instid1(VALU_DEP_2)
	v_mul_f32_e32 v30, v32, v30
	v_dual_mul_f32 v32, 0x3f317218, v22 :: v_dual_sub_f32 v23, v23, v28
	s_delay_alu instid0(VALU_DEP_2) | instskip(NEXT) | instid1(VALU_DEP_2)
	v_add_f32_e32 v29, v31, v30
	v_ldexp_f32 v23, v23, 1
	s_delay_alu instid0(VALU_DEP_2) | instskip(NEXT) | instid1(VALU_DEP_4)
	v_sub_f32_e32 v28, v29, v31
	v_fma_f32 v31, 0x3f317218, v22, -v32
	s_delay_alu instid0(VALU_DEP_2) | instskip(NEXT) | instid1(VALU_DEP_1)
	v_sub_f32_e32 v28, v30, v28
	v_dual_fmamk_f32 v22, v22, 0xb102e308, v31 :: v_dual_add_f32 v23, v23, v28
	s_delay_alu instid0(VALU_DEP_1) | instskip(NEXT) | instid1(VALU_DEP_2)
	v_add_f32_e32 v28, v32, v22
	v_add_f32_e32 v30, v29, v23
	s_delay_alu instid0(VALU_DEP_2) | instskip(NEXT) | instid1(VALU_DEP_2)
	v_sub_f32_e32 v32, v28, v32
	v_add_f32_e32 v31, v28, v30
	v_sub_f32_e32 v29, v30, v29
	s_delay_alu instid0(VALU_DEP_3) | instskip(NEXT) | instid1(VALU_DEP_3)
	v_sub_f32_e32 v22, v22, v32
	v_sub_f32_e32 v33, v31, v28
	s_delay_alu instid0(VALU_DEP_3) | instskip(NEXT) | instid1(VALU_DEP_2)
	v_sub_f32_e32 v23, v23, v29
	v_sub_f32_e32 v34, v31, v33
	;; [unrolled: 1-line block ×3, first 2 shown]
	s_delay_alu instid0(VALU_DEP_3) | instskip(NEXT) | instid1(VALU_DEP_3)
	v_add_f32_e32 v30, v22, v23
	v_sub_f32_e32 v28, v28, v34
	s_delay_alu instid0(VALU_DEP_1) | instskip(NEXT) | instid1(VALU_DEP_1)
	v_dual_add_f32 v28, v29, v28 :: v_dual_sub_f32 v29, v30, v22
	v_add_f32_e32 v28, v30, v28
	s_delay_alu instid0(VALU_DEP_2) | instskip(SKIP_1) | instid1(VALU_DEP_3)
	v_sub_f32_e32 v30, v30, v29
	v_sub_f32_e32 v23, v23, v29
	v_add_f32_e32 v32, v31, v28
	s_delay_alu instid0(VALU_DEP_1) | instskip(NEXT) | instid1(VALU_DEP_1)
	v_dual_sub_f32 v22, v22, v30 :: v_dual_sub_f32 v29, v32, v31
	v_dual_add_f32 v22, v23, v22 :: v_dual_sub_f32 v23, v28, v29
	s_delay_alu instid0(VALU_DEP_1) | instskip(NEXT) | instid1(VALU_DEP_1)
	v_add_f32_e32 v22, v22, v23
	v_add_f32_e32 v22, v32, v22
	s_delay_alu instid0(VALU_DEP_1) | instskip(NEXT) | instid1(VALU_DEP_1)
	v_cndmask_b32_e64 v22, v22, v24, s36
	v_add_f32_e32 v21, v21, v22
	s_delay_alu instid0(VALU_DEP_1) | instskip(NEXT) | instid1(VALU_DEP_1)
	v_cvt_f16_f32_e32 v28, v21
	v_cvt_f32_f16_e32 v30, v28
	v_mov_b32_e32 v29, v28
.LBB400_70:
	s_or_b32 exec_lo, exec_lo, s37
	v_lshrrev_b32_e32 v6, 16, v6
	s_delay_alu instid0(VALU_DEP_3) | instskip(SKIP_1) | instid1(VALU_DEP_3)
	v_max_f32_e32 v22, v30, v30
	v_cmp_u_f16_e64 s36, v28, v28
	v_cvt_f32_f16_e32 v21, v6
	s_delay_alu instid0(VALU_DEP_1) | instskip(SKIP_1) | instid1(VALU_DEP_2)
	v_min_f32_e32 v23, v22, v21
	v_max_f32_e32 v22, v22, v21
	v_cndmask_b32_e64 v23, v23, v30, s36
	s_delay_alu instid0(VALU_DEP_2) | instskip(SKIP_1) | instid1(VALU_DEP_1)
	v_cndmask_b32_e64 v24, v22, v30, s36
	v_cmp_u_f16_e64 s36, v6, v6
	v_cndmask_b32_e64 v22, v23, v21, s36
	s_delay_alu instid0(VALU_DEP_3) | instskip(NEXT) | instid1(VALU_DEP_2)
	v_cndmask_b32_e64 v6, v24, v21, s36
	v_cmp_class_f32_e64 s38, v22, 0x1f8
	s_delay_alu instid0(VALU_DEP_2) | instskip(NEXT) | instid1(VALU_DEP_1)
	v_cmp_neq_f32_e64 s37, v22, v6
	s_or_b32 s37, s37, s38
	s_delay_alu instid0(SALU_CYCLE_1)
	s_and_saveexec_b32 s38, s37
	s_cbranch_execz .LBB400_72
; %bb.71:
	v_sub_f32_e32 v22, v22, v6
	s_delay_alu instid0(VALU_DEP_1) | instskip(NEXT) | instid1(VALU_DEP_1)
	v_mul_f32_e32 v23, 0x3fb8aa3b, v22
	v_fma_f32 v24, 0x3fb8aa3b, v22, -v23
	v_rndne_f32_e32 v28, v23
	s_delay_alu instid0(VALU_DEP_1) | instskip(SKIP_1) | instid1(VALU_DEP_2)
	v_dual_sub_f32 v23, v23, v28 :: v_dual_fmamk_f32 v24, v22, 0x32a5705f, v24
	v_cmp_ngt_f32_e64 s37, 0xc2ce8ed0, v22
	v_add_f32_e32 v23, v23, v24
	v_cvt_i32_f32_e32 v24, v28
	s_delay_alu instid0(VALU_DEP_2) | instskip(SKIP_2) | instid1(VALU_DEP_1)
	v_exp_f32_e32 v23, v23
	s_waitcnt_depctr 0xfff
	v_ldexp_f32 v23, v23, v24
	v_cndmask_b32_e64 v23, 0, v23, s37
	v_cmp_nlt_f32_e64 s37, 0x42b17218, v22
	s_delay_alu instid0(VALU_DEP_1) | instskip(NEXT) | instid1(VALU_DEP_1)
	v_cndmask_b32_e64 v24, 0x7f800000, v23, s37
	v_add_f32_e32 v28, 1.0, v24
	v_cmp_gt_f32_e64 s39, 0x33800000, |v24|
	s_delay_alu instid0(VALU_DEP_2) | instskip(NEXT) | instid1(VALU_DEP_1)
	v_cvt_f64_f32_e32 v[22:23], v28
	v_frexp_exp_i32_f64_e32 v22, v[22:23]
	v_frexp_mant_f32_e32 v23, v28
	s_delay_alu instid0(VALU_DEP_1) | instskip(SKIP_1) | instid1(VALU_DEP_1)
	v_cmp_gt_f32_e64 s37, 0x3f2aaaab, v23
	v_add_f32_e32 v23, -1.0, v28
	v_dual_sub_f32 v30, v23, v28 :: v_dual_sub_f32 v23, v24, v23
	s_delay_alu instid0(VALU_DEP_1) | instskip(NEXT) | instid1(VALU_DEP_4)
	v_add_f32_e32 v30, 1.0, v30
	v_subrev_co_ci_u32_e64 v22, s37, 0, v22, s37
	s_mov_b32 s37, 0x3e9b6dac
	s_delay_alu instid0(VALU_DEP_1) | instskip(SKIP_1) | instid1(VALU_DEP_2)
	v_sub_nc_u32_e32 v29, 0, v22
	v_cvt_f32_i32_e32 v22, v22
	v_ldexp_f32 v28, v28, v29
	s_delay_alu instid0(VALU_DEP_1) | instskip(NEXT) | instid1(VALU_DEP_1)
	v_add_f32_e32 v31, 1.0, v28
	v_dual_add_f32 v23, v23, v30 :: v_dual_add_f32 v30, -1.0, v31
	s_delay_alu instid0(VALU_DEP_1) | instskip(NEXT) | instid1(VALU_DEP_2)
	v_ldexp_f32 v23, v23, v29
	v_dual_sub_f32 v30, v28, v30 :: v_dual_add_f32 v29, -1.0, v28
	s_delay_alu instid0(VALU_DEP_1) | instskip(NEXT) | instid1(VALU_DEP_2)
	v_add_f32_e32 v30, v23, v30
	v_add_f32_e32 v32, 1.0, v29
	s_delay_alu instid0(VALU_DEP_1) | instskip(NEXT) | instid1(VALU_DEP_1)
	v_sub_f32_e32 v28, v28, v32
	v_add_f32_e32 v23, v23, v28
	s_delay_alu instid0(VALU_DEP_1) | instskip(NEXT) | instid1(VALU_DEP_1)
	v_dual_add_f32 v33, v29, v23 :: v_dual_add_f32 v32, v31, v30
	v_sub_f32_e32 v29, v29, v33
	s_delay_alu instid0(VALU_DEP_2) | instskip(SKIP_1) | instid1(VALU_DEP_1)
	v_rcp_f32_e32 v28, v32
	v_sub_f32_e32 v31, v31, v32
	v_dual_add_f32 v23, v23, v29 :: v_dual_add_f32 v30, v30, v31
	s_waitcnt_depctr 0xfff
	v_mul_f32_e32 v34, v33, v28
	s_delay_alu instid0(VALU_DEP_1) | instskip(NEXT) | instid1(VALU_DEP_1)
	v_mul_f32_e32 v35, v32, v34
	v_fma_f32 v31, v34, v32, -v35
	s_delay_alu instid0(VALU_DEP_1) | instskip(NEXT) | instid1(VALU_DEP_1)
	v_fmac_f32_e32 v31, v34, v30
	v_add_f32_e32 v36, v35, v31
	s_delay_alu instid0(VALU_DEP_1) | instskip(NEXT) | instid1(VALU_DEP_1)
	v_sub_f32_e32 v37, v33, v36
	v_sub_f32_e32 v33, v33, v37
	;; [unrolled: 1-line block ×3, first 2 shown]
	s_delay_alu instid0(VALU_DEP_2) | instskip(NEXT) | instid1(VALU_DEP_2)
	v_sub_f32_e32 v33, v33, v36
	v_sub_f32_e32 v29, v29, v31
	s_delay_alu instid0(VALU_DEP_2) | instskip(NEXT) | instid1(VALU_DEP_1)
	v_add_f32_e32 v23, v23, v33
	v_add_f32_e32 v23, v29, v23
	s_delay_alu instid0(VALU_DEP_1) | instskip(NEXT) | instid1(VALU_DEP_1)
	v_add_f32_e32 v29, v37, v23
	v_mul_f32_e32 v31, v28, v29
	s_delay_alu instid0(VALU_DEP_1) | instskip(NEXT) | instid1(VALU_DEP_1)
	v_dual_sub_f32 v36, v37, v29 :: v_dual_mul_f32 v33, v32, v31
	v_add_f32_e32 v23, v23, v36
	s_delay_alu instid0(VALU_DEP_2) | instskip(NEXT) | instid1(VALU_DEP_1)
	v_fma_f32 v32, v31, v32, -v33
	v_fmac_f32_e32 v32, v31, v30
	s_delay_alu instid0(VALU_DEP_1) | instskip(NEXT) | instid1(VALU_DEP_1)
	v_add_f32_e32 v30, v33, v32
	v_sub_f32_e32 v35, v29, v30
	v_sub_f32_e32 v33, v30, v33
	s_delay_alu instid0(VALU_DEP_2) | instskip(NEXT) | instid1(VALU_DEP_1)
	v_sub_f32_e32 v29, v29, v35
	v_sub_f32_e32 v29, v29, v30
	s_delay_alu instid0(VALU_DEP_1) | instskip(SKIP_1) | instid1(VALU_DEP_1)
	v_dual_sub_f32 v30, v33, v32 :: v_dual_add_f32 v23, v23, v29
	v_add_f32_e32 v29, v34, v31
	v_dual_add_f32 v23, v30, v23 :: v_dual_sub_f32 v30, v29, v34
	s_delay_alu instid0(VALU_DEP_1) | instskip(NEXT) | instid1(VALU_DEP_1)
	v_add_f32_e32 v23, v35, v23
	v_dual_sub_f32 v30, v31, v30 :: v_dual_mul_f32 v23, v28, v23
	s_delay_alu instid0(VALU_DEP_1) | instskip(NEXT) | instid1(VALU_DEP_1)
	v_add_f32_e32 v23, v30, v23
	v_add_f32_e32 v28, v29, v23
	s_delay_alu instid0(VALU_DEP_1) | instskip(NEXT) | instid1(VALU_DEP_1)
	v_mul_f32_e32 v30, v28, v28
	v_fmaak_f32 v31, s37, v30, 0x3ecc95a3
	v_mul_f32_e32 v32, v28, v30
	v_cmp_eq_f32_e64 s37, 0x7f800000, v24
	s_delay_alu instid0(VALU_DEP_3) | instskip(SKIP_2) | instid1(VALU_DEP_4)
	v_fmaak_f32 v30, v30, v31, 0x3f2aaada
	v_ldexp_f32 v31, v28, 1
	v_sub_f32_e32 v28, v28, v29
	s_or_b32 s37, s37, s39
	s_delay_alu instid0(VALU_DEP_3) | instskip(NEXT) | instid1(VALU_DEP_2)
	v_mul_f32_e32 v30, v32, v30
	v_dual_mul_f32 v32, 0x3f317218, v22 :: v_dual_sub_f32 v23, v23, v28
	s_delay_alu instid0(VALU_DEP_2) | instskip(NEXT) | instid1(VALU_DEP_2)
	v_add_f32_e32 v29, v31, v30
	v_ldexp_f32 v23, v23, 1
	s_delay_alu instid0(VALU_DEP_2) | instskip(NEXT) | instid1(VALU_DEP_4)
	v_sub_f32_e32 v28, v29, v31
	v_fma_f32 v31, 0x3f317218, v22, -v32
	s_delay_alu instid0(VALU_DEP_2) | instskip(NEXT) | instid1(VALU_DEP_1)
	v_sub_f32_e32 v28, v30, v28
	v_dual_fmamk_f32 v22, v22, 0xb102e308, v31 :: v_dual_add_f32 v23, v23, v28
	s_delay_alu instid0(VALU_DEP_1) | instskip(NEXT) | instid1(VALU_DEP_2)
	v_add_f32_e32 v28, v32, v22
	v_add_f32_e32 v30, v29, v23
	s_delay_alu instid0(VALU_DEP_2) | instskip(NEXT) | instid1(VALU_DEP_2)
	v_sub_f32_e32 v32, v28, v32
	v_add_f32_e32 v31, v28, v30
	v_sub_f32_e32 v29, v30, v29
	s_delay_alu instid0(VALU_DEP_3) | instskip(NEXT) | instid1(VALU_DEP_3)
	v_sub_f32_e32 v22, v22, v32
	v_sub_f32_e32 v33, v31, v28
	s_delay_alu instid0(VALU_DEP_3) | instskip(NEXT) | instid1(VALU_DEP_2)
	v_sub_f32_e32 v23, v23, v29
	v_sub_f32_e32 v34, v31, v33
	;; [unrolled: 1-line block ×3, first 2 shown]
	s_delay_alu instid0(VALU_DEP_3) | instskip(NEXT) | instid1(VALU_DEP_3)
	v_add_f32_e32 v30, v22, v23
	v_sub_f32_e32 v28, v28, v34
	s_delay_alu instid0(VALU_DEP_1) | instskip(NEXT) | instid1(VALU_DEP_1)
	v_dual_add_f32 v28, v29, v28 :: v_dual_sub_f32 v29, v30, v22
	v_add_f32_e32 v28, v30, v28
	s_delay_alu instid0(VALU_DEP_2) | instskip(SKIP_1) | instid1(VALU_DEP_3)
	v_sub_f32_e32 v30, v30, v29
	v_sub_f32_e32 v23, v23, v29
	v_add_f32_e32 v32, v31, v28
	s_delay_alu instid0(VALU_DEP_1) | instskip(NEXT) | instid1(VALU_DEP_1)
	v_dual_sub_f32 v22, v22, v30 :: v_dual_sub_f32 v29, v32, v31
	v_dual_add_f32 v22, v23, v22 :: v_dual_sub_f32 v23, v28, v29
	s_delay_alu instid0(VALU_DEP_1) | instskip(NEXT) | instid1(VALU_DEP_1)
	v_add_f32_e32 v22, v22, v23
	v_add_f32_e32 v22, v32, v22
	s_delay_alu instid0(VALU_DEP_1) | instskip(NEXT) | instid1(VALU_DEP_1)
	v_cndmask_b32_e64 v22, v22, v24, s37
	v_add_f32_e32 v6, v6, v22
	s_delay_alu instid0(VALU_DEP_1) | instskip(NEXT) | instid1(VALU_DEP_1)
	v_cvt_f16_f32_e32 v28, v6
	v_cvt_f32_f16_e32 v30, v28
	v_mov_b32_e32 v29, v28
.LBB400_72:
	s_or_b32 exec_lo, exec_lo, s38
	v_cvt_f32_f16_e32 v6, v7
	s_delay_alu instid0(VALU_DEP_3) | instskip(SKIP_1) | instid1(VALU_DEP_2)
	v_max_f32_e32 v22, v30, v30
	v_cmp_u_f16_e64 s37, v28, v28
	v_min_f32_e32 v23, v22, v6
	v_max_f32_e32 v22, v22, v6
	s_delay_alu instid0(VALU_DEP_2) | instskip(NEXT) | instid1(VALU_DEP_2)
	v_cndmask_b32_e64 v23, v23, v30, s37
	v_cndmask_b32_e64 v22, v22, v30, s37
	v_cmp_u_f16_e64 s37, v7, v7
	s_delay_alu instid0(VALU_DEP_1) | instskip(NEXT) | instid1(VALU_DEP_3)
	v_cndmask_b32_e64 v23, v23, v6, s37
	v_cndmask_b32_e64 v22, v22, v6, s37
	s_delay_alu instid0(VALU_DEP_2) | instskip(NEXT) | instid1(VALU_DEP_2)
	v_cmp_class_f32_e64 s39, v23, 0x1f8
	v_cmp_neq_f32_e64 s38, v23, v22
	s_delay_alu instid0(VALU_DEP_1) | instskip(NEXT) | instid1(SALU_CYCLE_1)
	s_or_b32 s38, s38, s39
	s_and_saveexec_b32 s39, s38
	s_cbranch_execz .LBB400_74
; %bb.73:
	v_sub_f32_e32 v23, v23, v22
	s_delay_alu instid0(VALU_DEP_1) | instskip(NEXT) | instid1(VALU_DEP_1)
	v_mul_f32_e32 v24, 0x3fb8aa3b, v23
	v_fma_f32 v28, 0x3fb8aa3b, v23, -v24
	v_rndne_f32_e32 v29, v24
	s_delay_alu instid0(VALU_DEP_1) | instskip(NEXT) | instid1(VALU_DEP_3)
	v_sub_f32_e32 v24, v24, v29
	v_fmamk_f32 v28, v23, 0x32a5705f, v28
	v_cmp_ngt_f32_e64 s38, 0xc2ce8ed0, v23
	s_delay_alu instid0(VALU_DEP_2) | instskip(SKIP_1) | instid1(VALU_DEP_2)
	v_add_f32_e32 v24, v24, v28
	v_cvt_i32_f32_e32 v28, v29
	v_exp_f32_e32 v24, v24
	s_waitcnt_depctr 0xfff
	v_ldexp_f32 v24, v24, v28
	s_delay_alu instid0(VALU_DEP_1) | instskip(SKIP_1) | instid1(VALU_DEP_1)
	v_cndmask_b32_e64 v24, 0, v24, s38
	v_cmp_nlt_f32_e64 s38, 0x42b17218, v23
	v_cndmask_b32_e64 v28, 0x7f800000, v24, s38
	s_delay_alu instid0(VALU_DEP_1) | instskip(SKIP_1) | instid1(VALU_DEP_2)
	v_add_f32_e32 v29, 1.0, v28
	v_cmp_gt_f32_e64 s40, 0x33800000, |v28|
	v_cvt_f64_f32_e32 v[23:24], v29
	s_delay_alu instid0(VALU_DEP_1) | instskip(SKIP_1) | instid1(VALU_DEP_1)
	v_frexp_exp_i32_f64_e32 v23, v[23:24]
	v_frexp_mant_f32_e32 v24, v29
	v_cmp_gt_f32_e64 s38, 0x3f2aaaab, v24
	v_add_f32_e32 v24, -1.0, v29
	s_delay_alu instid0(VALU_DEP_1) | instskip(NEXT) | instid1(VALU_DEP_1)
	v_sub_f32_e32 v31, v24, v29
	v_add_f32_e32 v31, 1.0, v31
	s_delay_alu instid0(VALU_DEP_4) | instskip(SKIP_1) | instid1(VALU_DEP_1)
	v_subrev_co_ci_u32_e64 v23, s38, 0, v23, s38
	s_mov_b32 s38, 0x3e9b6dac
	v_sub_nc_u32_e32 v30, 0, v23
	v_cvt_f32_i32_e32 v23, v23
	s_delay_alu instid0(VALU_DEP_2) | instskip(SKIP_1) | instid1(VALU_DEP_1)
	v_ldexp_f32 v29, v29, v30
	v_sub_f32_e32 v24, v28, v24
	v_add_f32_e32 v24, v24, v31
	s_delay_alu instid0(VALU_DEP_1) | instskip(NEXT) | instid1(VALU_DEP_4)
	v_ldexp_f32 v24, v24, v30
	v_add_f32_e32 v30, -1.0, v29
	s_delay_alu instid0(VALU_DEP_1) | instskip(NEXT) | instid1(VALU_DEP_1)
	v_dual_add_f32 v32, 1.0, v29 :: v_dual_add_f32 v33, 1.0, v30
	v_add_f32_e32 v31, -1.0, v32
	s_delay_alu instid0(VALU_DEP_1) | instskip(NEXT) | instid1(VALU_DEP_3)
	v_sub_f32_e32 v31, v29, v31
	v_sub_f32_e32 v29, v29, v33
	s_delay_alu instid0(VALU_DEP_2) | instskip(NEXT) | instid1(VALU_DEP_2)
	v_add_f32_e32 v31, v24, v31
	v_add_f32_e32 v24, v24, v29
	s_delay_alu instid0(VALU_DEP_1) | instskip(NEXT) | instid1(VALU_DEP_1)
	v_dual_add_f32 v33, v32, v31 :: v_dual_add_f32 v34, v30, v24
	v_rcp_f32_e32 v29, v33
	v_sub_f32_e32 v32, v32, v33
	s_delay_alu instid0(VALU_DEP_1) | instskip(SKIP_2) | instid1(VALU_DEP_1)
	v_dual_sub_f32 v30, v30, v34 :: v_dual_add_f32 v31, v31, v32
	s_waitcnt_depctr 0xfff
	v_dual_add_f32 v24, v24, v30 :: v_dual_mul_f32 v35, v34, v29
	v_mul_f32_e32 v36, v33, v35
	s_delay_alu instid0(VALU_DEP_1) | instskip(NEXT) | instid1(VALU_DEP_1)
	v_fma_f32 v32, v35, v33, -v36
	v_fmac_f32_e32 v32, v35, v31
	s_delay_alu instid0(VALU_DEP_1) | instskip(NEXT) | instid1(VALU_DEP_1)
	v_add_f32_e32 v37, v36, v32
	v_sub_f32_e32 v38, v34, v37
	s_delay_alu instid0(VALU_DEP_1) | instskip(SKIP_1) | instid1(VALU_DEP_2)
	v_sub_f32_e32 v34, v34, v38
	v_sub_f32_e32 v30, v37, v36
	;; [unrolled: 1-line block ×3, first 2 shown]
	s_delay_alu instid0(VALU_DEP_2) | instskip(NEXT) | instid1(VALU_DEP_2)
	v_sub_f32_e32 v30, v30, v32
	v_add_f32_e32 v24, v24, v34
	s_delay_alu instid0(VALU_DEP_1) | instskip(NEXT) | instid1(VALU_DEP_1)
	v_add_f32_e32 v24, v30, v24
	v_add_f32_e32 v30, v38, v24
	s_delay_alu instid0(VALU_DEP_1) | instskip(NEXT) | instid1(VALU_DEP_1)
	v_mul_f32_e32 v32, v29, v30
	v_mul_f32_e32 v34, v33, v32
	s_delay_alu instid0(VALU_DEP_1) | instskip(NEXT) | instid1(VALU_DEP_1)
	v_fma_f32 v33, v32, v33, -v34
	v_fmac_f32_e32 v33, v32, v31
	v_sub_f32_e32 v37, v38, v30
	s_delay_alu instid0(VALU_DEP_2) | instskip(NEXT) | instid1(VALU_DEP_2)
	v_add_f32_e32 v31, v34, v33
	v_add_f32_e32 v24, v24, v37
	s_delay_alu instid0(VALU_DEP_2) | instskip(SKIP_1) | instid1(VALU_DEP_2)
	v_sub_f32_e32 v36, v30, v31
	v_sub_f32_e32 v34, v31, v34
	;; [unrolled: 1-line block ×3, first 2 shown]
	s_delay_alu instid0(VALU_DEP_1) | instskip(NEXT) | instid1(VALU_DEP_1)
	v_sub_f32_e32 v30, v30, v31
	v_dual_sub_f32 v31, v34, v33 :: v_dual_add_f32 v24, v24, v30
	v_add_f32_e32 v30, v35, v32
	s_delay_alu instid0(VALU_DEP_1) | instskip(NEXT) | instid1(VALU_DEP_1)
	v_dual_add_f32 v24, v31, v24 :: v_dual_sub_f32 v31, v30, v35
	v_add_f32_e32 v24, v36, v24
	s_delay_alu instid0(VALU_DEP_1) | instskip(NEXT) | instid1(VALU_DEP_1)
	v_dual_sub_f32 v31, v32, v31 :: v_dual_mul_f32 v24, v29, v24
	v_add_f32_e32 v24, v31, v24
	s_delay_alu instid0(VALU_DEP_1) | instskip(NEXT) | instid1(VALU_DEP_1)
	v_add_f32_e32 v29, v30, v24
	v_mul_f32_e32 v31, v29, v29
	s_delay_alu instid0(VALU_DEP_1) | instskip(SKIP_2) | instid1(VALU_DEP_3)
	v_fmaak_f32 v32, s38, v31, 0x3ecc95a3
	v_mul_f32_e32 v33, v29, v31
	v_cmp_eq_f32_e64 s38, 0x7f800000, v28
	v_fmaak_f32 v31, v31, v32, 0x3f2aaada
	v_ldexp_f32 v32, v29, 1
	v_sub_f32_e32 v29, v29, v30
	s_delay_alu instid0(VALU_DEP_4) | instskip(NEXT) | instid1(VALU_DEP_3)
	s_or_b32 s38, s38, s40
	v_mul_f32_e32 v31, v33, v31
	s_delay_alu instid0(VALU_DEP_2) | instskip(NEXT) | instid1(VALU_DEP_2)
	v_dual_mul_f32 v33, 0x3f317218, v23 :: v_dual_sub_f32 v24, v24, v29
	v_add_f32_e32 v30, v32, v31
	s_delay_alu instid0(VALU_DEP_2) | instskip(NEXT) | instid1(VALU_DEP_2)
	v_ldexp_f32 v24, v24, 1
	v_sub_f32_e32 v29, v30, v32
	s_delay_alu instid0(VALU_DEP_4) | instskip(NEXT) | instid1(VALU_DEP_2)
	v_fma_f32 v32, 0x3f317218, v23, -v33
	v_sub_f32_e32 v29, v31, v29
	s_delay_alu instid0(VALU_DEP_1) | instskip(NEXT) | instid1(VALU_DEP_1)
	v_dual_fmamk_f32 v23, v23, 0xb102e308, v32 :: v_dual_add_f32 v24, v24, v29
	v_add_f32_e32 v29, v33, v23
	s_delay_alu instid0(VALU_DEP_2) | instskip(NEXT) | instid1(VALU_DEP_2)
	v_add_f32_e32 v31, v30, v24
	v_sub_f32_e32 v33, v29, v33
	s_delay_alu instid0(VALU_DEP_2) | instskip(SKIP_1) | instid1(VALU_DEP_3)
	v_add_f32_e32 v32, v29, v31
	v_sub_f32_e32 v30, v31, v30
	v_sub_f32_e32 v23, v23, v33
	s_delay_alu instid0(VALU_DEP_3) | instskip(NEXT) | instid1(VALU_DEP_3)
	v_sub_f32_e32 v34, v32, v29
	v_sub_f32_e32 v24, v24, v30
	s_delay_alu instid0(VALU_DEP_2) | instskip(SKIP_1) | instid1(VALU_DEP_3)
	v_sub_f32_e32 v35, v32, v34
	v_sub_f32_e32 v30, v31, v34
	v_add_f32_e32 v31, v23, v24
	s_delay_alu instid0(VALU_DEP_3) | instskip(NEXT) | instid1(VALU_DEP_1)
	v_sub_f32_e32 v29, v29, v35
	v_dual_add_f32 v29, v30, v29 :: v_dual_sub_f32 v30, v31, v23
	s_delay_alu instid0(VALU_DEP_1) | instskip(NEXT) | instid1(VALU_DEP_2)
	v_add_f32_e32 v29, v31, v29
	v_sub_f32_e32 v31, v31, v30
	v_sub_f32_e32 v24, v24, v30
	s_delay_alu instid0(VALU_DEP_3) | instskip(NEXT) | instid1(VALU_DEP_1)
	v_add_f32_e32 v33, v32, v29
	v_dual_sub_f32 v23, v23, v31 :: v_dual_sub_f32 v30, v33, v32
	s_delay_alu instid0(VALU_DEP_1) | instskip(NEXT) | instid1(VALU_DEP_1)
	v_dual_add_f32 v23, v24, v23 :: v_dual_sub_f32 v24, v29, v30
	v_add_f32_e32 v23, v23, v24
	s_delay_alu instid0(VALU_DEP_1) | instskip(NEXT) | instid1(VALU_DEP_1)
	v_add_f32_e32 v23, v33, v23
	v_cndmask_b32_e64 v23, v23, v28, s38
	s_delay_alu instid0(VALU_DEP_1) | instskip(NEXT) | instid1(VALU_DEP_1)
	v_add_f32_e32 v22, v22, v23
	v_cvt_f16_f32_e32 v28, v22
	s_delay_alu instid0(VALU_DEP_1)
	v_mov_b32_e32 v29, v28
	v_cvt_f32_f16_e32 v30, v28
.LBB400_74:
	s_or_b32 exec_lo, exec_lo, s39
	v_lshrrev_b32_e32 v7, 16, v7
	s_delay_alu instid0(VALU_DEP_2) | instskip(SKIP_1) | instid1(VALU_DEP_3)
	v_max_f32_e32 v23, v30, v30
	v_cmp_u_f16_e64 s38, v28, v28
	v_cvt_f32_f16_e32 v22, v7
	s_delay_alu instid0(VALU_DEP_1) | instskip(SKIP_1) | instid1(VALU_DEP_2)
	v_min_f32_e32 v24, v23, v22
	v_max_f32_e32 v23, v23, v22
	v_cndmask_b32_e64 v24, v24, v30, s38
	s_delay_alu instid0(VALU_DEP_2) | instskip(SKIP_1) | instid1(VALU_DEP_1)
	v_cndmask_b32_e64 v31, v23, v30, s38
	v_cmp_u_f16_e64 s38, v7, v7
	v_cndmask_b32_e64 v23, v24, v22, s38
	s_delay_alu instid0(VALU_DEP_3) | instskip(NEXT) | instid1(VALU_DEP_2)
	v_cndmask_b32_e64 v7, v31, v22, s38
	v_cmp_class_f32_e64 s40, v23, 0x1f8
	s_delay_alu instid0(VALU_DEP_2) | instskip(NEXT) | instid1(VALU_DEP_1)
	v_cmp_neq_f32_e64 s39, v23, v7
	s_or_b32 s39, s39, s40
	s_delay_alu instid0(SALU_CYCLE_1)
	s_and_saveexec_b32 s40, s39
	s_cbranch_execz .LBB400_76
; %bb.75:
	v_sub_f32_e32 v23, v23, v7
	s_delay_alu instid0(VALU_DEP_1) | instskip(NEXT) | instid1(VALU_DEP_1)
	v_mul_f32_e32 v24, 0x3fb8aa3b, v23
	v_fma_f32 v28, 0x3fb8aa3b, v23, -v24
	v_rndne_f32_e32 v29, v24
	s_delay_alu instid0(VALU_DEP_1) | instskip(NEXT) | instid1(VALU_DEP_3)
	v_sub_f32_e32 v24, v24, v29
	v_fmamk_f32 v28, v23, 0x32a5705f, v28
	v_cmp_ngt_f32_e64 s39, 0xc2ce8ed0, v23
	s_delay_alu instid0(VALU_DEP_2) | instskip(SKIP_1) | instid1(VALU_DEP_2)
	v_add_f32_e32 v24, v24, v28
	v_cvt_i32_f32_e32 v28, v29
	v_exp_f32_e32 v24, v24
	s_waitcnt_depctr 0xfff
	v_ldexp_f32 v24, v24, v28
	s_delay_alu instid0(VALU_DEP_1) | instskip(SKIP_1) | instid1(VALU_DEP_1)
	v_cndmask_b32_e64 v24, 0, v24, s39
	v_cmp_nlt_f32_e64 s39, 0x42b17218, v23
	v_cndmask_b32_e64 v28, 0x7f800000, v24, s39
	s_delay_alu instid0(VALU_DEP_1) | instskip(SKIP_1) | instid1(VALU_DEP_2)
	v_add_f32_e32 v29, 1.0, v28
	v_cmp_gt_f32_e64 s41, 0x33800000, |v28|
	v_cvt_f64_f32_e32 v[23:24], v29
	s_delay_alu instid0(VALU_DEP_1) | instskip(SKIP_1) | instid1(VALU_DEP_1)
	v_frexp_exp_i32_f64_e32 v23, v[23:24]
	v_frexp_mant_f32_e32 v24, v29
	v_cmp_gt_f32_e64 s39, 0x3f2aaaab, v24
	v_add_f32_e32 v24, -1.0, v29
	s_delay_alu instid0(VALU_DEP_1) | instskip(NEXT) | instid1(VALU_DEP_1)
	v_sub_f32_e32 v31, v24, v29
	v_add_f32_e32 v31, 1.0, v31
	s_delay_alu instid0(VALU_DEP_4) | instskip(SKIP_1) | instid1(VALU_DEP_1)
	v_subrev_co_ci_u32_e64 v23, s39, 0, v23, s39
	s_mov_b32 s39, 0x3e9b6dac
	v_sub_nc_u32_e32 v30, 0, v23
	v_cvt_f32_i32_e32 v23, v23
	s_delay_alu instid0(VALU_DEP_2) | instskip(SKIP_1) | instid1(VALU_DEP_1)
	v_ldexp_f32 v29, v29, v30
	v_sub_f32_e32 v24, v28, v24
	v_add_f32_e32 v24, v24, v31
	s_delay_alu instid0(VALU_DEP_1) | instskip(NEXT) | instid1(VALU_DEP_4)
	v_ldexp_f32 v24, v24, v30
	v_add_f32_e32 v30, -1.0, v29
	s_delay_alu instid0(VALU_DEP_1) | instskip(NEXT) | instid1(VALU_DEP_1)
	v_dual_add_f32 v32, 1.0, v29 :: v_dual_add_f32 v33, 1.0, v30
	v_add_f32_e32 v31, -1.0, v32
	s_delay_alu instid0(VALU_DEP_1) | instskip(NEXT) | instid1(VALU_DEP_3)
	v_sub_f32_e32 v31, v29, v31
	v_sub_f32_e32 v29, v29, v33
	s_delay_alu instid0(VALU_DEP_2) | instskip(NEXT) | instid1(VALU_DEP_2)
	v_add_f32_e32 v31, v24, v31
	v_add_f32_e32 v24, v24, v29
	s_delay_alu instid0(VALU_DEP_1) | instskip(NEXT) | instid1(VALU_DEP_1)
	v_dual_add_f32 v33, v32, v31 :: v_dual_add_f32 v34, v30, v24
	v_rcp_f32_e32 v29, v33
	v_sub_f32_e32 v32, v32, v33
	s_delay_alu instid0(VALU_DEP_1) | instskip(SKIP_2) | instid1(VALU_DEP_1)
	v_dual_sub_f32 v30, v30, v34 :: v_dual_add_f32 v31, v31, v32
	s_waitcnt_depctr 0xfff
	v_dual_add_f32 v24, v24, v30 :: v_dual_mul_f32 v35, v34, v29
	v_mul_f32_e32 v36, v33, v35
	s_delay_alu instid0(VALU_DEP_1) | instskip(NEXT) | instid1(VALU_DEP_1)
	v_fma_f32 v32, v35, v33, -v36
	v_fmac_f32_e32 v32, v35, v31
	s_delay_alu instid0(VALU_DEP_1) | instskip(NEXT) | instid1(VALU_DEP_1)
	v_add_f32_e32 v37, v36, v32
	v_sub_f32_e32 v38, v34, v37
	s_delay_alu instid0(VALU_DEP_1) | instskip(SKIP_1) | instid1(VALU_DEP_2)
	v_sub_f32_e32 v34, v34, v38
	v_sub_f32_e32 v30, v37, v36
	v_sub_f32_e32 v34, v34, v37
	s_delay_alu instid0(VALU_DEP_2) | instskip(NEXT) | instid1(VALU_DEP_2)
	v_sub_f32_e32 v30, v30, v32
	v_add_f32_e32 v24, v24, v34
	s_delay_alu instid0(VALU_DEP_1) | instskip(NEXT) | instid1(VALU_DEP_1)
	v_add_f32_e32 v24, v30, v24
	v_add_f32_e32 v30, v38, v24
	s_delay_alu instid0(VALU_DEP_1) | instskip(NEXT) | instid1(VALU_DEP_1)
	v_mul_f32_e32 v32, v29, v30
	v_mul_f32_e32 v34, v33, v32
	s_delay_alu instid0(VALU_DEP_1) | instskip(NEXT) | instid1(VALU_DEP_1)
	v_fma_f32 v33, v32, v33, -v34
	v_fmac_f32_e32 v33, v32, v31
	v_sub_f32_e32 v37, v38, v30
	s_delay_alu instid0(VALU_DEP_2) | instskip(NEXT) | instid1(VALU_DEP_2)
	v_add_f32_e32 v31, v34, v33
	v_add_f32_e32 v24, v24, v37
	s_delay_alu instid0(VALU_DEP_2) | instskip(SKIP_1) | instid1(VALU_DEP_2)
	v_sub_f32_e32 v36, v30, v31
	v_sub_f32_e32 v34, v31, v34
	;; [unrolled: 1-line block ×3, first 2 shown]
	s_delay_alu instid0(VALU_DEP_1) | instskip(NEXT) | instid1(VALU_DEP_1)
	v_sub_f32_e32 v30, v30, v31
	v_dual_sub_f32 v31, v34, v33 :: v_dual_add_f32 v24, v24, v30
	v_add_f32_e32 v30, v35, v32
	s_delay_alu instid0(VALU_DEP_1) | instskip(NEXT) | instid1(VALU_DEP_1)
	v_dual_add_f32 v24, v31, v24 :: v_dual_sub_f32 v31, v30, v35
	v_add_f32_e32 v24, v36, v24
	s_delay_alu instid0(VALU_DEP_1) | instskip(NEXT) | instid1(VALU_DEP_1)
	v_dual_sub_f32 v31, v32, v31 :: v_dual_mul_f32 v24, v29, v24
	v_add_f32_e32 v24, v31, v24
	s_delay_alu instid0(VALU_DEP_1) | instskip(NEXT) | instid1(VALU_DEP_1)
	v_add_f32_e32 v29, v30, v24
	v_mul_f32_e32 v31, v29, v29
	s_delay_alu instid0(VALU_DEP_1) | instskip(SKIP_2) | instid1(VALU_DEP_3)
	v_fmaak_f32 v32, s39, v31, 0x3ecc95a3
	v_mul_f32_e32 v33, v29, v31
	v_cmp_eq_f32_e64 s39, 0x7f800000, v28
	v_fmaak_f32 v31, v31, v32, 0x3f2aaada
	v_ldexp_f32 v32, v29, 1
	v_sub_f32_e32 v29, v29, v30
	s_delay_alu instid0(VALU_DEP_4) | instskip(NEXT) | instid1(VALU_DEP_3)
	s_or_b32 s39, s39, s41
	v_mul_f32_e32 v31, v33, v31
	s_delay_alu instid0(VALU_DEP_2) | instskip(NEXT) | instid1(VALU_DEP_2)
	v_dual_mul_f32 v33, 0x3f317218, v23 :: v_dual_sub_f32 v24, v24, v29
	v_add_f32_e32 v30, v32, v31
	s_delay_alu instid0(VALU_DEP_2) | instskip(NEXT) | instid1(VALU_DEP_2)
	v_ldexp_f32 v24, v24, 1
	v_sub_f32_e32 v29, v30, v32
	s_delay_alu instid0(VALU_DEP_4) | instskip(NEXT) | instid1(VALU_DEP_2)
	v_fma_f32 v32, 0x3f317218, v23, -v33
	v_sub_f32_e32 v29, v31, v29
	s_delay_alu instid0(VALU_DEP_1) | instskip(NEXT) | instid1(VALU_DEP_1)
	v_dual_fmamk_f32 v23, v23, 0xb102e308, v32 :: v_dual_add_f32 v24, v24, v29
	v_add_f32_e32 v29, v33, v23
	s_delay_alu instid0(VALU_DEP_2) | instskip(NEXT) | instid1(VALU_DEP_2)
	v_add_f32_e32 v31, v30, v24
	v_sub_f32_e32 v33, v29, v33
	s_delay_alu instid0(VALU_DEP_2) | instskip(SKIP_1) | instid1(VALU_DEP_3)
	v_add_f32_e32 v32, v29, v31
	v_sub_f32_e32 v30, v31, v30
	v_sub_f32_e32 v23, v23, v33
	s_delay_alu instid0(VALU_DEP_3) | instskip(NEXT) | instid1(VALU_DEP_3)
	v_sub_f32_e32 v34, v32, v29
	v_sub_f32_e32 v24, v24, v30
	s_delay_alu instid0(VALU_DEP_2) | instskip(SKIP_1) | instid1(VALU_DEP_3)
	v_sub_f32_e32 v35, v32, v34
	v_sub_f32_e32 v30, v31, v34
	v_add_f32_e32 v31, v23, v24
	s_delay_alu instid0(VALU_DEP_3) | instskip(NEXT) | instid1(VALU_DEP_1)
	v_sub_f32_e32 v29, v29, v35
	v_dual_add_f32 v29, v30, v29 :: v_dual_sub_f32 v30, v31, v23
	s_delay_alu instid0(VALU_DEP_1) | instskip(NEXT) | instid1(VALU_DEP_2)
	v_add_f32_e32 v29, v31, v29
	v_sub_f32_e32 v31, v31, v30
	v_sub_f32_e32 v24, v24, v30
	s_delay_alu instid0(VALU_DEP_3) | instskip(NEXT) | instid1(VALU_DEP_1)
	v_add_f32_e32 v33, v32, v29
	v_dual_sub_f32 v23, v23, v31 :: v_dual_sub_f32 v30, v33, v32
	s_delay_alu instid0(VALU_DEP_1) | instskip(NEXT) | instid1(VALU_DEP_1)
	v_dual_add_f32 v23, v24, v23 :: v_dual_sub_f32 v24, v29, v30
	v_add_f32_e32 v23, v23, v24
	s_delay_alu instid0(VALU_DEP_1) | instskip(NEXT) | instid1(VALU_DEP_1)
	v_add_f32_e32 v23, v33, v23
	v_cndmask_b32_e64 v23, v23, v28, s39
	s_delay_alu instid0(VALU_DEP_1) | instskip(NEXT) | instid1(VALU_DEP_1)
	v_add_f32_e32 v7, v7, v23
	v_cvt_f16_f32_e32 v28, v7
	s_delay_alu instid0(VALU_DEP_1)
	v_mov_b32_e32 v29, v28
	v_cvt_f32_f16_e32 v30, v28
.LBB400_76:
	s_or_b32 exec_lo, exec_lo, s40
	v_cvt_f32_f16_e32 v7, v4
	s_delay_alu instid0(VALU_DEP_2) | instskip(SKIP_1) | instid1(VALU_DEP_2)
	v_max_f32_e32 v23, v30, v30
	v_cmp_u_f16_e64 s39, v28, v28
	v_min_f32_e32 v24, v23, v7
	v_max_f32_e32 v23, v23, v7
	s_delay_alu instid0(VALU_DEP_2) | instskip(NEXT) | instid1(VALU_DEP_2)
	v_cndmask_b32_e64 v24, v24, v30, s39
	v_cndmask_b32_e64 v23, v23, v30, s39
	v_cmp_u_f16_e64 s39, v4, v4
	s_delay_alu instid0(VALU_DEP_1) | instskip(NEXT) | instid1(VALU_DEP_3)
	v_cndmask_b32_e64 v24, v24, v7, s39
	v_cndmask_b32_e64 v23, v23, v7, s39
	s_delay_alu instid0(VALU_DEP_2) | instskip(NEXT) | instid1(VALU_DEP_2)
	v_cmp_class_f32_e64 s41, v24, 0x1f8
	v_cmp_neq_f32_e64 s40, v24, v23
	s_delay_alu instid0(VALU_DEP_1) | instskip(NEXT) | instid1(SALU_CYCLE_1)
	s_or_b32 s40, s40, s41
	s_and_saveexec_b32 s41, s40
	s_cbranch_execz .LBB400_78
; %bb.77:
	v_sub_f32_e32 v24, v24, v23
	s_delay_alu instid0(VALU_DEP_1) | instskip(SKIP_1) | instid1(VALU_DEP_2)
	v_mul_f32_e32 v28, 0x3fb8aa3b, v24
	v_cmp_ngt_f32_e64 s40, 0xc2ce8ed0, v24
	v_fma_f32 v29, 0x3fb8aa3b, v24, -v28
	v_rndne_f32_e32 v30, v28
	s_delay_alu instid0(VALU_DEP_2) | instskip(NEXT) | instid1(VALU_DEP_2)
	v_fmamk_f32 v29, v24, 0x32a5705f, v29
	v_sub_f32_e32 v28, v28, v30
	s_delay_alu instid0(VALU_DEP_1) | instskip(SKIP_1) | instid1(VALU_DEP_2)
	v_add_f32_e32 v28, v28, v29
	v_cvt_i32_f32_e32 v29, v30
	v_exp_f32_e32 v28, v28
	s_waitcnt_depctr 0xfff
	v_ldexp_f32 v28, v28, v29
	s_delay_alu instid0(VALU_DEP_1) | instskip(SKIP_1) | instid1(VALU_DEP_1)
	v_cndmask_b32_e64 v28, 0, v28, s40
	v_cmp_nlt_f32_e64 s40, 0x42b17218, v24
	v_cndmask_b32_e64 v24, 0x7f800000, v28, s40
	s_delay_alu instid0(VALU_DEP_1) | instskip(SKIP_1) | instid1(VALU_DEP_2)
	v_add_f32_e32 v30, 1.0, v24
	v_cmp_gt_f32_e64 s42, 0x33800000, |v24|
	v_cvt_f64_f32_e32 v[28:29], v30
	s_delay_alu instid0(VALU_DEP_1) | instskip(SKIP_1) | instid1(VALU_DEP_1)
	v_frexp_exp_i32_f64_e32 v28, v[28:29]
	v_frexp_mant_f32_e32 v29, v30
	v_cmp_gt_f32_e64 s40, 0x3f2aaaab, v29
	v_add_f32_e32 v29, -1.0, v30
	s_delay_alu instid0(VALU_DEP_1) | instskip(NEXT) | instid1(VALU_DEP_3)
	v_dual_sub_f32 v32, v29, v30 :: v_dual_sub_f32 v29, v24, v29
	v_subrev_co_ci_u32_e64 v28, s40, 0, v28, s40
	s_mov_b32 s40, 0x3e9b6dac
	s_delay_alu instid0(VALU_DEP_1) | instskip(SKIP_1) | instid1(VALU_DEP_2)
	v_sub_nc_u32_e32 v31, 0, v28
	v_cvt_f32_i32_e32 v28, v28
	v_ldexp_f32 v30, v30, v31
	s_delay_alu instid0(VALU_DEP_1) | instskip(NEXT) | instid1(VALU_DEP_1)
	v_dual_add_f32 v32, 1.0, v32 :: v_dual_add_f32 v33, 1.0, v30
	v_add_f32_e32 v29, v29, v32
	s_delay_alu instid0(VALU_DEP_1) | instskip(NEXT) | instid1(VALU_DEP_3)
	v_ldexp_f32 v29, v29, v31
	v_dual_add_f32 v31, -1.0, v30 :: v_dual_add_f32 v32, -1.0, v33
	s_delay_alu instid0(VALU_DEP_1) | instskip(NEXT) | instid1(VALU_DEP_2)
	v_add_f32_e32 v34, 1.0, v31
	v_sub_f32_e32 v32, v30, v32
	s_delay_alu instid0(VALU_DEP_2) | instskip(NEXT) | instid1(VALU_DEP_2)
	v_sub_f32_e32 v30, v30, v34
	v_add_f32_e32 v32, v29, v32
	s_delay_alu instid0(VALU_DEP_2) | instskip(NEXT) | instid1(VALU_DEP_1)
	v_add_f32_e32 v29, v29, v30
	v_dual_add_f32 v35, v31, v29 :: v_dual_add_f32 v34, v33, v32
	s_delay_alu instid0(VALU_DEP_1) | instskip(NEXT) | instid1(VALU_DEP_2)
	v_sub_f32_e32 v31, v31, v35
	v_rcp_f32_e32 v30, v34
	v_sub_f32_e32 v33, v33, v34
	s_delay_alu instid0(VALU_DEP_1) | instskip(SKIP_2) | instid1(VALU_DEP_1)
	v_dual_add_f32 v29, v29, v31 :: v_dual_add_f32 v32, v32, v33
	s_waitcnt_depctr 0xfff
	v_mul_f32_e32 v36, v35, v30
	v_mul_f32_e32 v37, v34, v36
	s_delay_alu instid0(VALU_DEP_1) | instskip(NEXT) | instid1(VALU_DEP_1)
	v_fma_f32 v33, v36, v34, -v37
	v_fmac_f32_e32 v33, v36, v32
	s_delay_alu instid0(VALU_DEP_1) | instskip(NEXT) | instid1(VALU_DEP_1)
	v_add_f32_e32 v38, v37, v33
	v_sub_f32_e32 v39, v35, v38
	v_sub_f32_e32 v31, v38, v37
	s_delay_alu instid0(VALU_DEP_2) | instskip(NEXT) | instid1(VALU_DEP_2)
	v_sub_f32_e32 v35, v35, v39
	v_sub_f32_e32 v31, v31, v33
	s_delay_alu instid0(VALU_DEP_2) | instskip(NEXT) | instid1(VALU_DEP_1)
	v_sub_f32_e32 v35, v35, v38
	v_add_f32_e32 v29, v29, v35
	s_delay_alu instid0(VALU_DEP_1) | instskip(NEXT) | instid1(VALU_DEP_1)
	v_add_f32_e32 v29, v31, v29
	v_add_f32_e32 v31, v39, v29
	s_delay_alu instid0(VALU_DEP_1) | instskip(NEXT) | instid1(VALU_DEP_1)
	v_mul_f32_e32 v33, v30, v31
	v_dual_sub_f32 v38, v39, v31 :: v_dual_mul_f32 v35, v34, v33
	s_delay_alu instid0(VALU_DEP_1) | instskip(NEXT) | instid1(VALU_DEP_2)
	v_add_f32_e32 v29, v29, v38
	v_fma_f32 v34, v33, v34, -v35
	s_delay_alu instid0(VALU_DEP_1) | instskip(NEXT) | instid1(VALU_DEP_1)
	v_fmac_f32_e32 v34, v33, v32
	v_add_f32_e32 v32, v35, v34
	s_delay_alu instid0(VALU_DEP_1) | instskip(NEXT) | instid1(VALU_DEP_1)
	v_sub_f32_e32 v37, v31, v32
	v_sub_f32_e32 v31, v31, v37
	s_delay_alu instid0(VALU_DEP_1) | instskip(NEXT) | instid1(VALU_DEP_1)
	v_sub_f32_e32 v31, v31, v32
	v_add_f32_e32 v29, v29, v31
	v_add_f32_e32 v31, v36, v33
	v_sub_f32_e32 v35, v32, v35
	s_delay_alu instid0(VALU_DEP_1) | instskip(NEXT) | instid1(VALU_DEP_1)
	v_sub_f32_e32 v32, v35, v34
	v_dual_add_f32 v29, v32, v29 :: v_dual_sub_f32 v32, v31, v36
	s_delay_alu instid0(VALU_DEP_1) | instskip(NEXT) | instid1(VALU_DEP_1)
	v_add_f32_e32 v29, v37, v29
	v_dual_sub_f32 v32, v33, v32 :: v_dual_mul_f32 v29, v30, v29
	s_delay_alu instid0(VALU_DEP_1) | instskip(NEXT) | instid1(VALU_DEP_1)
	v_add_f32_e32 v29, v32, v29
	v_add_f32_e32 v30, v31, v29
	s_delay_alu instid0(VALU_DEP_1) | instskip(NEXT) | instid1(VALU_DEP_1)
	v_mul_f32_e32 v32, v30, v30
	v_fmaak_f32 v33, s40, v32, 0x3ecc95a3
	v_mul_f32_e32 v34, v30, v32
	v_cmp_eq_f32_e64 s40, 0x7f800000, v24
	s_delay_alu instid0(VALU_DEP_3) | instskip(SKIP_2) | instid1(VALU_DEP_4)
	v_fmaak_f32 v32, v32, v33, 0x3f2aaada
	v_ldexp_f32 v33, v30, 1
	v_sub_f32_e32 v30, v30, v31
	s_or_b32 s40, s40, s42
	s_delay_alu instid0(VALU_DEP_3) | instskip(NEXT) | instid1(VALU_DEP_2)
	v_mul_f32_e32 v32, v34, v32
	v_dual_mul_f32 v34, 0x3f317218, v28 :: v_dual_sub_f32 v29, v29, v30
	s_delay_alu instid0(VALU_DEP_2) | instskip(NEXT) | instid1(VALU_DEP_2)
	v_add_f32_e32 v31, v33, v32
	v_ldexp_f32 v29, v29, 1
	s_delay_alu instid0(VALU_DEP_2) | instskip(NEXT) | instid1(VALU_DEP_4)
	v_sub_f32_e32 v30, v31, v33
	v_fma_f32 v33, 0x3f317218, v28, -v34
	s_delay_alu instid0(VALU_DEP_2) | instskip(NEXT) | instid1(VALU_DEP_1)
	v_sub_f32_e32 v30, v32, v30
	v_dual_fmamk_f32 v28, v28, 0xb102e308, v33 :: v_dual_add_f32 v29, v29, v30
	s_delay_alu instid0(VALU_DEP_1) | instskip(NEXT) | instid1(VALU_DEP_1)
	v_add_f32_e32 v30, v34, v28
	v_sub_f32_e32 v34, v30, v34
	s_delay_alu instid0(VALU_DEP_1) | instskip(NEXT) | instid1(VALU_DEP_4)
	v_sub_f32_e32 v28, v28, v34
	v_add_f32_e32 v32, v31, v29
	s_delay_alu instid0(VALU_DEP_1) | instskip(NEXT) | instid1(VALU_DEP_1)
	v_sub_f32_e32 v31, v32, v31
	v_sub_f32_e32 v29, v29, v31
	v_add_f32_e32 v33, v30, v32
	s_delay_alu instid0(VALU_DEP_1) | instskip(NEXT) | instid1(VALU_DEP_1)
	v_sub_f32_e32 v35, v33, v30
	v_sub_f32_e32 v31, v32, v35
	s_delay_alu instid0(VALU_DEP_4) | instskip(SKIP_1) | instid1(VALU_DEP_1)
	v_add_f32_e32 v32, v28, v29
	v_sub_f32_e32 v36, v33, v35
	v_sub_f32_e32 v30, v30, v36
	s_delay_alu instid0(VALU_DEP_1) | instskip(NEXT) | instid1(VALU_DEP_1)
	v_dual_add_f32 v30, v31, v30 :: v_dual_sub_f32 v31, v32, v28
	v_dual_add_f32 v30, v32, v30 :: v_dual_sub_f32 v29, v29, v31
	v_sub_f32_e32 v32, v32, v31
	s_delay_alu instid0(VALU_DEP_2) | instskip(NEXT) | instid1(VALU_DEP_1)
	v_add_f32_e32 v34, v33, v30
	v_dual_sub_f32 v28, v28, v32 :: v_dual_sub_f32 v31, v34, v33
	s_delay_alu instid0(VALU_DEP_1) | instskip(NEXT) | instid1(VALU_DEP_1)
	v_dual_add_f32 v28, v29, v28 :: v_dual_sub_f32 v29, v30, v31
	v_add_f32_e32 v28, v28, v29
	s_delay_alu instid0(VALU_DEP_1) | instskip(NEXT) | instid1(VALU_DEP_1)
	v_add_f32_e32 v28, v34, v28
	v_cndmask_b32_e64 v24, v28, v24, s40
	s_delay_alu instid0(VALU_DEP_1) | instskip(NEXT) | instid1(VALU_DEP_1)
	v_add_f32_e32 v23, v23, v24
	v_cvt_f16_f32_e32 v28, v23
	s_delay_alu instid0(VALU_DEP_1)
	v_cvt_f32_f16_e32 v30, v28
	v_mov_b32_e32 v29, v28
.LBB400_78:
	s_or_b32 exec_lo, exec_lo, s41
	v_lshrrev_b32_e32 v4, 16, v4
	s_delay_alu instid0(VALU_DEP_3) | instskip(SKIP_1) | instid1(VALU_DEP_3)
	v_max_f32_e32 v24, v30, v30
	v_cmp_u_f16_e64 s40, v28, v28
	v_cvt_f32_f16_e32 v23, v4
	s_delay_alu instid0(VALU_DEP_1) | instskip(SKIP_1) | instid1(VALU_DEP_2)
	v_min_f32_e32 v31, v24, v23
	v_max_f32_e32 v24, v24, v23
	v_cndmask_b32_e64 v31, v31, v30, s40
	s_delay_alu instid0(VALU_DEP_2) | instskip(SKIP_1) | instid1(VALU_DEP_1)
	v_cndmask_b32_e64 v32, v24, v30, s40
	v_cmp_u_f16_e64 s40, v4, v4
	v_cndmask_b32_e64 v24, v31, v23, s40
	s_delay_alu instid0(VALU_DEP_3) | instskip(NEXT) | instid1(VALU_DEP_2)
	v_cndmask_b32_e64 v4, v32, v23, s40
	v_cmp_class_f32_e64 s42, v24, 0x1f8
	s_delay_alu instid0(VALU_DEP_2) | instskip(NEXT) | instid1(VALU_DEP_1)
	v_cmp_neq_f32_e64 s41, v24, v4
	s_or_b32 s41, s41, s42
	s_delay_alu instid0(SALU_CYCLE_1)
	s_and_saveexec_b32 s42, s41
	s_cbranch_execz .LBB400_80
; %bb.79:
	v_sub_f32_e32 v24, v24, v4
	s_delay_alu instid0(VALU_DEP_1) | instskip(SKIP_1) | instid1(VALU_DEP_2)
	v_mul_f32_e32 v28, 0x3fb8aa3b, v24
	v_cmp_ngt_f32_e64 s41, 0xc2ce8ed0, v24
	v_fma_f32 v29, 0x3fb8aa3b, v24, -v28
	v_rndne_f32_e32 v30, v28
	s_delay_alu instid0(VALU_DEP_2) | instskip(NEXT) | instid1(VALU_DEP_2)
	v_fmamk_f32 v29, v24, 0x32a5705f, v29
	v_sub_f32_e32 v28, v28, v30
	s_delay_alu instid0(VALU_DEP_1) | instskip(SKIP_1) | instid1(VALU_DEP_2)
	v_add_f32_e32 v28, v28, v29
	v_cvt_i32_f32_e32 v29, v30
	v_exp_f32_e32 v28, v28
	s_waitcnt_depctr 0xfff
	v_ldexp_f32 v28, v28, v29
	s_delay_alu instid0(VALU_DEP_1) | instskip(SKIP_1) | instid1(VALU_DEP_1)
	v_cndmask_b32_e64 v28, 0, v28, s41
	v_cmp_nlt_f32_e64 s41, 0x42b17218, v24
	v_cndmask_b32_e64 v24, 0x7f800000, v28, s41
	s_delay_alu instid0(VALU_DEP_1) | instskip(SKIP_1) | instid1(VALU_DEP_2)
	v_add_f32_e32 v30, 1.0, v24
	v_cmp_gt_f32_e64 s43, 0x33800000, |v24|
	v_cvt_f64_f32_e32 v[28:29], v30
	s_delay_alu instid0(VALU_DEP_1) | instskip(SKIP_1) | instid1(VALU_DEP_1)
	v_frexp_exp_i32_f64_e32 v28, v[28:29]
	v_frexp_mant_f32_e32 v29, v30
	v_cmp_gt_f32_e64 s41, 0x3f2aaaab, v29
	v_add_f32_e32 v29, -1.0, v30
	s_delay_alu instid0(VALU_DEP_1) | instskip(NEXT) | instid1(VALU_DEP_3)
	v_dual_sub_f32 v32, v29, v30 :: v_dual_sub_f32 v29, v24, v29
	v_subrev_co_ci_u32_e64 v28, s41, 0, v28, s41
	s_mov_b32 s41, 0x3e9b6dac
	s_delay_alu instid0(VALU_DEP_1) | instskip(SKIP_1) | instid1(VALU_DEP_2)
	v_sub_nc_u32_e32 v31, 0, v28
	v_cvt_f32_i32_e32 v28, v28
	v_ldexp_f32 v30, v30, v31
	s_delay_alu instid0(VALU_DEP_1) | instskip(NEXT) | instid1(VALU_DEP_1)
	v_dual_add_f32 v32, 1.0, v32 :: v_dual_add_f32 v33, 1.0, v30
	v_add_f32_e32 v29, v29, v32
	s_delay_alu instid0(VALU_DEP_1) | instskip(NEXT) | instid1(VALU_DEP_3)
	v_ldexp_f32 v29, v29, v31
	v_dual_add_f32 v31, -1.0, v30 :: v_dual_add_f32 v32, -1.0, v33
	s_delay_alu instid0(VALU_DEP_1) | instskip(NEXT) | instid1(VALU_DEP_2)
	v_add_f32_e32 v34, 1.0, v31
	v_sub_f32_e32 v32, v30, v32
	s_delay_alu instid0(VALU_DEP_2) | instskip(NEXT) | instid1(VALU_DEP_2)
	v_sub_f32_e32 v30, v30, v34
	v_add_f32_e32 v32, v29, v32
	s_delay_alu instid0(VALU_DEP_2) | instskip(NEXT) | instid1(VALU_DEP_1)
	v_add_f32_e32 v29, v29, v30
	v_dual_add_f32 v35, v31, v29 :: v_dual_add_f32 v34, v33, v32
	s_delay_alu instid0(VALU_DEP_1) | instskip(NEXT) | instid1(VALU_DEP_2)
	v_sub_f32_e32 v31, v31, v35
	v_rcp_f32_e32 v30, v34
	v_sub_f32_e32 v33, v33, v34
	s_delay_alu instid0(VALU_DEP_1) | instskip(SKIP_2) | instid1(VALU_DEP_1)
	v_dual_add_f32 v29, v29, v31 :: v_dual_add_f32 v32, v32, v33
	s_waitcnt_depctr 0xfff
	v_mul_f32_e32 v36, v35, v30
	v_mul_f32_e32 v37, v34, v36
	s_delay_alu instid0(VALU_DEP_1) | instskip(NEXT) | instid1(VALU_DEP_1)
	v_fma_f32 v33, v36, v34, -v37
	v_fmac_f32_e32 v33, v36, v32
	s_delay_alu instid0(VALU_DEP_1) | instskip(NEXT) | instid1(VALU_DEP_1)
	v_add_f32_e32 v38, v37, v33
	v_sub_f32_e32 v39, v35, v38
	v_sub_f32_e32 v31, v38, v37
	s_delay_alu instid0(VALU_DEP_2) | instskip(NEXT) | instid1(VALU_DEP_2)
	v_sub_f32_e32 v35, v35, v39
	v_sub_f32_e32 v31, v31, v33
	s_delay_alu instid0(VALU_DEP_2) | instskip(NEXT) | instid1(VALU_DEP_1)
	v_sub_f32_e32 v35, v35, v38
	v_add_f32_e32 v29, v29, v35
	s_delay_alu instid0(VALU_DEP_1) | instskip(NEXT) | instid1(VALU_DEP_1)
	v_add_f32_e32 v29, v31, v29
	v_add_f32_e32 v31, v39, v29
	s_delay_alu instid0(VALU_DEP_1) | instskip(NEXT) | instid1(VALU_DEP_1)
	v_mul_f32_e32 v33, v30, v31
	v_dual_sub_f32 v38, v39, v31 :: v_dual_mul_f32 v35, v34, v33
	s_delay_alu instid0(VALU_DEP_1) | instskip(NEXT) | instid1(VALU_DEP_2)
	v_add_f32_e32 v29, v29, v38
	v_fma_f32 v34, v33, v34, -v35
	s_delay_alu instid0(VALU_DEP_1) | instskip(NEXT) | instid1(VALU_DEP_1)
	v_fmac_f32_e32 v34, v33, v32
	v_add_f32_e32 v32, v35, v34
	s_delay_alu instid0(VALU_DEP_1) | instskip(NEXT) | instid1(VALU_DEP_1)
	v_sub_f32_e32 v37, v31, v32
	v_sub_f32_e32 v31, v31, v37
	s_delay_alu instid0(VALU_DEP_1) | instskip(NEXT) | instid1(VALU_DEP_1)
	v_sub_f32_e32 v31, v31, v32
	v_add_f32_e32 v29, v29, v31
	v_add_f32_e32 v31, v36, v33
	v_sub_f32_e32 v35, v32, v35
	s_delay_alu instid0(VALU_DEP_1) | instskip(NEXT) | instid1(VALU_DEP_1)
	v_sub_f32_e32 v32, v35, v34
	v_dual_add_f32 v29, v32, v29 :: v_dual_sub_f32 v32, v31, v36
	s_delay_alu instid0(VALU_DEP_1) | instskip(NEXT) | instid1(VALU_DEP_1)
	v_add_f32_e32 v29, v37, v29
	v_dual_sub_f32 v32, v33, v32 :: v_dual_mul_f32 v29, v30, v29
	s_delay_alu instid0(VALU_DEP_1) | instskip(NEXT) | instid1(VALU_DEP_1)
	v_add_f32_e32 v29, v32, v29
	v_add_f32_e32 v30, v31, v29
	s_delay_alu instid0(VALU_DEP_1) | instskip(NEXT) | instid1(VALU_DEP_1)
	v_mul_f32_e32 v32, v30, v30
	v_fmaak_f32 v33, s41, v32, 0x3ecc95a3
	v_mul_f32_e32 v34, v30, v32
	v_cmp_eq_f32_e64 s41, 0x7f800000, v24
	s_delay_alu instid0(VALU_DEP_3) | instskip(SKIP_2) | instid1(VALU_DEP_4)
	v_fmaak_f32 v32, v32, v33, 0x3f2aaada
	v_ldexp_f32 v33, v30, 1
	v_sub_f32_e32 v30, v30, v31
	s_or_b32 s41, s41, s43
	s_delay_alu instid0(VALU_DEP_3) | instskip(NEXT) | instid1(VALU_DEP_2)
	v_mul_f32_e32 v32, v34, v32
	v_dual_mul_f32 v34, 0x3f317218, v28 :: v_dual_sub_f32 v29, v29, v30
	s_delay_alu instid0(VALU_DEP_2) | instskip(NEXT) | instid1(VALU_DEP_2)
	v_add_f32_e32 v31, v33, v32
	v_ldexp_f32 v29, v29, 1
	s_delay_alu instid0(VALU_DEP_2) | instskip(NEXT) | instid1(VALU_DEP_4)
	v_sub_f32_e32 v30, v31, v33
	v_fma_f32 v33, 0x3f317218, v28, -v34
	s_delay_alu instid0(VALU_DEP_2) | instskip(NEXT) | instid1(VALU_DEP_1)
	v_sub_f32_e32 v30, v32, v30
	v_dual_fmamk_f32 v28, v28, 0xb102e308, v33 :: v_dual_add_f32 v29, v29, v30
	s_delay_alu instid0(VALU_DEP_1) | instskip(NEXT) | instid1(VALU_DEP_1)
	v_add_f32_e32 v30, v34, v28
	v_sub_f32_e32 v34, v30, v34
	s_delay_alu instid0(VALU_DEP_1) | instskip(NEXT) | instid1(VALU_DEP_4)
	v_sub_f32_e32 v28, v28, v34
	v_add_f32_e32 v32, v31, v29
	s_delay_alu instid0(VALU_DEP_1) | instskip(NEXT) | instid1(VALU_DEP_1)
	v_sub_f32_e32 v31, v32, v31
	v_sub_f32_e32 v29, v29, v31
	v_add_f32_e32 v33, v30, v32
	s_delay_alu instid0(VALU_DEP_1) | instskip(NEXT) | instid1(VALU_DEP_1)
	v_sub_f32_e32 v35, v33, v30
	v_sub_f32_e32 v31, v32, v35
	s_delay_alu instid0(VALU_DEP_4) | instskip(SKIP_1) | instid1(VALU_DEP_1)
	v_add_f32_e32 v32, v28, v29
	v_sub_f32_e32 v36, v33, v35
	v_sub_f32_e32 v30, v30, v36
	s_delay_alu instid0(VALU_DEP_1) | instskip(NEXT) | instid1(VALU_DEP_1)
	v_dual_add_f32 v30, v31, v30 :: v_dual_sub_f32 v31, v32, v28
	v_dual_add_f32 v30, v32, v30 :: v_dual_sub_f32 v29, v29, v31
	v_sub_f32_e32 v32, v32, v31
	s_delay_alu instid0(VALU_DEP_2) | instskip(NEXT) | instid1(VALU_DEP_1)
	v_add_f32_e32 v34, v33, v30
	v_dual_sub_f32 v28, v28, v32 :: v_dual_sub_f32 v31, v34, v33
	s_delay_alu instid0(VALU_DEP_1) | instskip(NEXT) | instid1(VALU_DEP_1)
	v_dual_add_f32 v28, v29, v28 :: v_dual_sub_f32 v29, v30, v31
	v_add_f32_e32 v28, v28, v29
	s_delay_alu instid0(VALU_DEP_1) | instskip(NEXT) | instid1(VALU_DEP_1)
	v_add_f32_e32 v28, v34, v28
	v_cndmask_b32_e64 v24, v28, v24, s41
	s_delay_alu instid0(VALU_DEP_1) | instskip(NEXT) | instid1(VALU_DEP_1)
	v_add_f32_e32 v4, v4, v24
	v_cvt_f16_f32_e32 v28, v4
	s_delay_alu instid0(VALU_DEP_1)
	v_cvt_f32_f16_e32 v30, v28
	v_mov_b32_e32 v29, v28
.LBB400_80:
	s_or_b32 exec_lo, exec_lo, s42
	v_cvt_f32_f16_e32 v4, v5
	s_delay_alu instid0(VALU_DEP_3) | instskip(SKIP_1) | instid1(VALU_DEP_2)
	v_max_f32_e32 v24, v30, v30
	v_cmp_u_f16_e64 s41, v28, v28
	v_min_f32_e32 v31, v24, v4
	v_max_f32_e32 v24, v24, v4
	s_delay_alu instid0(VALU_DEP_2) | instskip(NEXT) | instid1(VALU_DEP_2)
	v_cndmask_b32_e64 v31, v31, v30, s41
	v_cndmask_b32_e64 v24, v24, v30, s41
	v_cmp_u_f16_e64 s41, v5, v5
	s_delay_alu instid0(VALU_DEP_1) | instskip(NEXT) | instid1(VALU_DEP_3)
	v_cndmask_b32_e64 v31, v31, v4, s41
	v_cndmask_b32_e64 v24, v24, v4, s41
	s_delay_alu instid0(VALU_DEP_2) | instskip(NEXT) | instid1(VALU_DEP_2)
	v_cmp_class_f32_e64 s43, v31, 0x1f8
	v_cmp_neq_f32_e64 s42, v31, v24
	s_delay_alu instid0(VALU_DEP_1) | instskip(NEXT) | instid1(SALU_CYCLE_1)
	s_or_b32 s42, s42, s43
	s_and_saveexec_b32 s43, s42
	s_cbranch_execz .LBB400_82
; %bb.81:
	v_sub_f32_e32 v28, v31, v24
	s_delay_alu instid0(VALU_DEP_1) | instskip(NEXT) | instid1(VALU_DEP_1)
	v_mul_f32_e32 v29, 0x3fb8aa3b, v28
	v_fma_f32 v30, 0x3fb8aa3b, v28, -v29
	v_rndne_f32_e32 v31, v29
	s_delay_alu instid0(VALU_DEP_1) | instskip(SKIP_1) | instid1(VALU_DEP_2)
	v_dual_sub_f32 v29, v29, v31 :: v_dual_fmamk_f32 v30, v28, 0x32a5705f, v30
	v_cmp_ngt_f32_e64 s42, 0xc2ce8ed0, v28
	v_add_f32_e32 v29, v29, v30
	v_cvt_i32_f32_e32 v30, v31
	s_delay_alu instid0(VALU_DEP_2) | instskip(SKIP_2) | instid1(VALU_DEP_1)
	v_exp_f32_e32 v29, v29
	s_waitcnt_depctr 0xfff
	v_ldexp_f32 v29, v29, v30
	v_cndmask_b32_e64 v29, 0, v29, s42
	v_cmp_nlt_f32_e64 s42, 0x42b17218, v28
	s_delay_alu instid0(VALU_DEP_1) | instskip(NEXT) | instid1(VALU_DEP_1)
	v_cndmask_b32_e64 v30, 0x7f800000, v29, s42
	v_add_f32_e32 v31, 1.0, v30
	v_cmp_gt_f32_e64 s44, 0x33800000, |v30|
	s_delay_alu instid0(VALU_DEP_2) | instskip(NEXT) | instid1(VALU_DEP_1)
	v_cvt_f64_f32_e32 v[28:29], v31
	v_frexp_exp_i32_f64_e32 v28, v[28:29]
	v_frexp_mant_f32_e32 v29, v31
	s_delay_alu instid0(VALU_DEP_1) | instskip(SKIP_1) | instid1(VALU_DEP_1)
	v_cmp_gt_f32_e64 s42, 0x3f2aaaab, v29
	v_add_f32_e32 v29, -1.0, v31
	v_sub_f32_e32 v33, v29, v31
	v_sub_f32_e32 v29, v30, v29
	s_delay_alu instid0(VALU_DEP_4) | instskip(SKIP_1) | instid1(VALU_DEP_1)
	v_subrev_co_ci_u32_e64 v28, s42, 0, v28, s42
	s_mov_b32 s42, 0x3e9b6dac
	v_sub_nc_u32_e32 v32, 0, v28
	v_cvt_f32_i32_e32 v28, v28
	s_delay_alu instid0(VALU_DEP_2) | instskip(NEXT) | instid1(VALU_DEP_1)
	v_ldexp_f32 v31, v31, v32
	v_dual_add_f32 v34, 1.0, v31 :: v_dual_add_f32 v33, 1.0, v33
	s_delay_alu instid0(VALU_DEP_1) | instskip(NEXT) | instid1(VALU_DEP_2)
	v_add_f32_e32 v29, v29, v33
	v_add_f32_e32 v33, -1.0, v34
	s_delay_alu instid0(VALU_DEP_2) | instskip(NEXT) | instid1(VALU_DEP_2)
	v_ldexp_f32 v29, v29, v32
	v_dual_add_f32 v32, -1.0, v31 :: v_dual_sub_f32 v33, v31, v33
	s_delay_alu instid0(VALU_DEP_1) | instskip(NEXT) | instid1(VALU_DEP_2)
	v_add_f32_e32 v35, 1.0, v32
	v_add_f32_e32 v33, v29, v33
	s_delay_alu instid0(VALU_DEP_2) | instskip(NEXT) | instid1(VALU_DEP_2)
	v_sub_f32_e32 v31, v31, v35
	v_add_f32_e32 v35, v34, v33
	s_delay_alu instid0(VALU_DEP_2) | instskip(NEXT) | instid1(VALU_DEP_2)
	v_add_f32_e32 v29, v29, v31
	v_rcp_f32_e32 v31, v35
	v_sub_f32_e32 v34, v34, v35
	s_delay_alu instid0(VALU_DEP_1) | instskip(NEXT) | instid1(VALU_DEP_1)
	v_dual_add_f32 v36, v32, v29 :: v_dual_add_f32 v33, v33, v34
	v_sub_f32_e32 v32, v32, v36
	s_waitcnt_depctr 0xfff
	v_mul_f32_e32 v37, v36, v31
	s_delay_alu instid0(VALU_DEP_1) | instskip(NEXT) | instid1(VALU_DEP_1)
	v_dual_add_f32 v29, v29, v32 :: v_dual_mul_f32 v38, v35, v37
	v_fma_f32 v34, v37, v35, -v38
	s_delay_alu instid0(VALU_DEP_1) | instskip(NEXT) | instid1(VALU_DEP_1)
	v_fmac_f32_e32 v34, v37, v33
	v_add_f32_e32 v39, v38, v34
	s_delay_alu instid0(VALU_DEP_1) | instskip(SKIP_1) | instid1(VALU_DEP_2)
	v_sub_f32_e32 v40, v36, v39
	v_sub_f32_e32 v32, v39, v38
	;; [unrolled: 1-line block ×3, first 2 shown]
	s_delay_alu instid0(VALU_DEP_2) | instskip(NEXT) | instid1(VALU_DEP_2)
	v_sub_f32_e32 v32, v32, v34
	v_sub_f32_e32 v36, v36, v39
	s_delay_alu instid0(VALU_DEP_1) | instskip(NEXT) | instid1(VALU_DEP_1)
	v_add_f32_e32 v29, v29, v36
	v_add_f32_e32 v29, v32, v29
	s_delay_alu instid0(VALU_DEP_1) | instskip(NEXT) | instid1(VALU_DEP_1)
	v_add_f32_e32 v32, v40, v29
	v_mul_f32_e32 v34, v31, v32
	s_delay_alu instid0(VALU_DEP_1) | instskip(NEXT) | instid1(VALU_DEP_1)
	v_dual_sub_f32 v39, v40, v32 :: v_dual_mul_f32 v36, v35, v34
	v_add_f32_e32 v29, v29, v39
	s_delay_alu instid0(VALU_DEP_2) | instskip(NEXT) | instid1(VALU_DEP_1)
	v_fma_f32 v35, v34, v35, -v36
	v_fmac_f32_e32 v35, v34, v33
	s_delay_alu instid0(VALU_DEP_1) | instskip(NEXT) | instid1(VALU_DEP_1)
	v_add_f32_e32 v33, v36, v35
	v_sub_f32_e32 v38, v32, v33
	v_sub_f32_e32 v36, v33, v36
	s_delay_alu instid0(VALU_DEP_2) | instskip(NEXT) | instid1(VALU_DEP_1)
	v_sub_f32_e32 v32, v32, v38
	v_sub_f32_e32 v32, v32, v33
	s_delay_alu instid0(VALU_DEP_3) | instskip(NEXT) | instid1(VALU_DEP_2)
	v_sub_f32_e32 v33, v36, v35
	v_add_f32_e32 v29, v29, v32
	v_add_f32_e32 v32, v37, v34
	s_delay_alu instid0(VALU_DEP_2) | instskip(NEXT) | instid1(VALU_DEP_2)
	v_add_f32_e32 v29, v33, v29
	v_sub_f32_e32 v33, v32, v37
	s_delay_alu instid0(VALU_DEP_2) | instskip(NEXT) | instid1(VALU_DEP_2)
	v_add_f32_e32 v29, v38, v29
	v_sub_f32_e32 v33, v34, v33
	s_delay_alu instid0(VALU_DEP_2) | instskip(NEXT) | instid1(VALU_DEP_1)
	v_mul_f32_e32 v29, v31, v29
	v_add_f32_e32 v29, v33, v29
	s_delay_alu instid0(VALU_DEP_1) | instskip(NEXT) | instid1(VALU_DEP_1)
	v_add_f32_e32 v31, v32, v29
	v_mul_f32_e32 v33, v31, v31
	s_delay_alu instid0(VALU_DEP_1) | instskip(SKIP_2) | instid1(VALU_DEP_3)
	v_fmaak_f32 v34, s42, v33, 0x3ecc95a3
	v_mul_f32_e32 v35, v31, v33
	v_cmp_eq_f32_e64 s42, 0x7f800000, v30
	v_fmaak_f32 v33, v33, v34, 0x3f2aaada
	v_ldexp_f32 v34, v31, 1
	v_sub_f32_e32 v31, v31, v32
	s_delay_alu instid0(VALU_DEP_4) | instskip(NEXT) | instid1(VALU_DEP_3)
	s_or_b32 s42, s42, s44
	v_mul_f32_e32 v33, v35, v33
	v_mul_f32_e32 v35, 0x3f317218, v28
	s_delay_alu instid0(VALU_DEP_2) | instskip(NEXT) | instid1(VALU_DEP_1)
	v_dual_sub_f32 v29, v29, v31 :: v_dual_add_f32 v32, v34, v33
	v_ldexp_f32 v29, v29, 1
	s_delay_alu instid0(VALU_DEP_2) | instskip(NEXT) | instid1(VALU_DEP_4)
	v_sub_f32_e32 v31, v32, v34
	v_fma_f32 v34, 0x3f317218, v28, -v35
	s_delay_alu instid0(VALU_DEP_1) | instskip(NEXT) | instid1(VALU_DEP_1)
	v_dual_sub_f32 v31, v33, v31 :: v_dual_fmamk_f32 v28, v28, 0xb102e308, v34
	v_add_f32_e32 v29, v29, v31
	s_delay_alu instid0(VALU_DEP_2) | instskip(NEXT) | instid1(VALU_DEP_2)
	v_add_f32_e32 v31, v35, v28
	v_add_f32_e32 v33, v32, v29
	s_delay_alu instid0(VALU_DEP_2) | instskip(NEXT) | instid1(VALU_DEP_2)
	v_sub_f32_e32 v35, v31, v35
	v_add_f32_e32 v34, v31, v33
	v_sub_f32_e32 v32, v33, v32
	s_delay_alu instid0(VALU_DEP_3) | instskip(NEXT) | instid1(VALU_DEP_2)
	v_sub_f32_e32 v28, v28, v35
	v_dual_sub_f32 v36, v34, v31 :: v_dual_sub_f32 v29, v29, v32
	s_delay_alu instid0(VALU_DEP_1) | instskip(NEXT) | instid1(VALU_DEP_2)
	v_sub_f32_e32 v37, v34, v36
	v_dual_sub_f32 v32, v33, v36 :: v_dual_add_f32 v33, v28, v29
	s_delay_alu instid0(VALU_DEP_2) | instskip(NEXT) | instid1(VALU_DEP_1)
	v_sub_f32_e32 v31, v31, v37
	v_dual_add_f32 v31, v32, v31 :: v_dual_sub_f32 v32, v33, v28
	s_delay_alu instid0(VALU_DEP_1) | instskip(NEXT) | instid1(VALU_DEP_2)
	v_add_f32_e32 v31, v33, v31
	v_sub_f32_e32 v33, v33, v32
	v_sub_f32_e32 v29, v29, v32
	s_delay_alu instid0(VALU_DEP_2) | instskip(NEXT) | instid1(VALU_DEP_1)
	v_dual_add_f32 v35, v34, v31 :: v_dual_sub_f32 v28, v28, v33
	v_sub_f32_e32 v32, v35, v34
	s_delay_alu instid0(VALU_DEP_2) | instskip(NEXT) | instid1(VALU_DEP_2)
	v_add_f32_e32 v28, v29, v28
	v_sub_f32_e32 v29, v31, v32
	s_delay_alu instid0(VALU_DEP_1) | instskip(NEXT) | instid1(VALU_DEP_1)
	v_add_f32_e32 v28, v28, v29
	v_add_f32_e32 v28, v35, v28
	s_delay_alu instid0(VALU_DEP_1) | instskip(NEXT) | instid1(VALU_DEP_1)
	v_cndmask_b32_e64 v28, v28, v30, s42
	v_add_f32_e32 v24, v24, v28
	s_delay_alu instid0(VALU_DEP_1) | instskip(NEXT) | instid1(VALU_DEP_1)
	v_cvt_f16_f32_e32 v28, v24
	v_cvt_f32_f16_e32 v30, v28
	v_mov_b32_e32 v29, v28
.LBB400_82:
	s_or_b32 exec_lo, exec_lo, s43
	v_lshrrev_b32_e32 v5, 16, v5
	s_delay_alu instid0(VALU_DEP_3) | instskip(SKIP_1) | instid1(VALU_DEP_3)
	v_max_f32_e32 v31, v30, v30
	v_cmp_u_f16_e64 s42, v28, v28
	v_cvt_f32_f16_e32 v24, v5
	s_delay_alu instid0(VALU_DEP_1) | instskip(SKIP_1) | instid1(VALU_DEP_2)
	v_min_f32_e32 v32, v31, v24
	v_max_f32_e32 v31, v31, v24
	v_cndmask_b32_e64 v32, v32, v30, s42
	s_delay_alu instid0(VALU_DEP_2) | instskip(SKIP_1) | instid1(VALU_DEP_1)
	v_cndmask_b32_e64 v33, v31, v30, s42
	v_cmp_u_f16_e64 s42, v5, v5
	v_cndmask_b32_e64 v31, v32, v24, s42
	s_delay_alu instid0(VALU_DEP_3) | instskip(NEXT) | instid1(VALU_DEP_2)
	v_cndmask_b32_e64 v5, v33, v24, s42
	v_cmp_class_f32_e64 s44, v31, 0x1f8
	s_delay_alu instid0(VALU_DEP_2) | instskip(NEXT) | instid1(VALU_DEP_1)
	v_cmp_neq_f32_e64 s43, v31, v5
	s_or_b32 s43, s43, s44
	s_delay_alu instid0(SALU_CYCLE_1)
	s_and_saveexec_b32 s44, s43
	s_cbranch_execz .LBB400_84
; %bb.83:
	v_sub_f32_e32 v28, v31, v5
	s_delay_alu instid0(VALU_DEP_1) | instskip(NEXT) | instid1(VALU_DEP_1)
	v_mul_f32_e32 v29, 0x3fb8aa3b, v28
	v_fma_f32 v30, 0x3fb8aa3b, v28, -v29
	v_rndne_f32_e32 v31, v29
	s_delay_alu instid0(VALU_DEP_1) | instskip(SKIP_1) | instid1(VALU_DEP_2)
	v_dual_sub_f32 v29, v29, v31 :: v_dual_fmamk_f32 v30, v28, 0x32a5705f, v30
	v_cmp_ngt_f32_e64 s43, 0xc2ce8ed0, v28
	v_add_f32_e32 v29, v29, v30
	v_cvt_i32_f32_e32 v30, v31
	s_delay_alu instid0(VALU_DEP_2) | instskip(SKIP_2) | instid1(VALU_DEP_1)
	v_exp_f32_e32 v29, v29
	s_waitcnt_depctr 0xfff
	v_ldexp_f32 v29, v29, v30
	v_cndmask_b32_e64 v29, 0, v29, s43
	v_cmp_nlt_f32_e64 s43, 0x42b17218, v28
	s_delay_alu instid0(VALU_DEP_1) | instskip(NEXT) | instid1(VALU_DEP_1)
	v_cndmask_b32_e64 v30, 0x7f800000, v29, s43
	v_add_f32_e32 v31, 1.0, v30
	v_cmp_gt_f32_e64 s46, 0x33800000, |v30|
	s_delay_alu instid0(VALU_DEP_2) | instskip(NEXT) | instid1(VALU_DEP_1)
	v_cvt_f64_f32_e32 v[28:29], v31
	v_frexp_exp_i32_f64_e32 v28, v[28:29]
	v_frexp_mant_f32_e32 v29, v31
	s_delay_alu instid0(VALU_DEP_1) | instskip(SKIP_1) | instid1(VALU_DEP_1)
	v_cmp_gt_f32_e64 s43, 0x3f2aaaab, v29
	v_add_f32_e32 v29, -1.0, v31
	v_sub_f32_e32 v33, v29, v31
	v_sub_f32_e32 v29, v30, v29
	s_delay_alu instid0(VALU_DEP_4) | instskip(SKIP_1) | instid1(VALU_DEP_1)
	v_subrev_co_ci_u32_e64 v28, s43, 0, v28, s43
	s_mov_b32 s43, 0x3e9b6dac
	v_sub_nc_u32_e32 v32, 0, v28
	v_cvt_f32_i32_e32 v28, v28
	s_delay_alu instid0(VALU_DEP_2) | instskip(NEXT) | instid1(VALU_DEP_1)
	v_ldexp_f32 v31, v31, v32
	v_dual_add_f32 v34, 1.0, v31 :: v_dual_add_f32 v33, 1.0, v33
	s_delay_alu instid0(VALU_DEP_1) | instskip(NEXT) | instid1(VALU_DEP_2)
	v_add_f32_e32 v29, v29, v33
	v_add_f32_e32 v33, -1.0, v34
	s_delay_alu instid0(VALU_DEP_2) | instskip(NEXT) | instid1(VALU_DEP_2)
	v_ldexp_f32 v29, v29, v32
	v_dual_add_f32 v32, -1.0, v31 :: v_dual_sub_f32 v33, v31, v33
	s_delay_alu instid0(VALU_DEP_1) | instskip(NEXT) | instid1(VALU_DEP_2)
	v_add_f32_e32 v35, 1.0, v32
	v_add_f32_e32 v33, v29, v33
	s_delay_alu instid0(VALU_DEP_2) | instskip(NEXT) | instid1(VALU_DEP_2)
	v_sub_f32_e32 v31, v31, v35
	v_add_f32_e32 v35, v34, v33
	s_delay_alu instid0(VALU_DEP_2) | instskip(NEXT) | instid1(VALU_DEP_2)
	v_add_f32_e32 v29, v29, v31
	v_rcp_f32_e32 v31, v35
	v_sub_f32_e32 v34, v34, v35
	s_delay_alu instid0(VALU_DEP_1) | instskip(NEXT) | instid1(VALU_DEP_1)
	v_dual_add_f32 v36, v32, v29 :: v_dual_add_f32 v33, v33, v34
	v_sub_f32_e32 v32, v32, v36
	s_waitcnt_depctr 0xfff
	v_mul_f32_e32 v37, v36, v31
	s_delay_alu instid0(VALU_DEP_1) | instskip(NEXT) | instid1(VALU_DEP_1)
	v_dual_add_f32 v29, v29, v32 :: v_dual_mul_f32 v38, v35, v37
	v_fma_f32 v34, v37, v35, -v38
	s_delay_alu instid0(VALU_DEP_1) | instskip(NEXT) | instid1(VALU_DEP_1)
	v_fmac_f32_e32 v34, v37, v33
	v_add_f32_e32 v39, v38, v34
	s_delay_alu instid0(VALU_DEP_1) | instskip(SKIP_1) | instid1(VALU_DEP_2)
	v_sub_f32_e32 v40, v36, v39
	v_sub_f32_e32 v32, v39, v38
	;; [unrolled: 1-line block ×3, first 2 shown]
	s_delay_alu instid0(VALU_DEP_2) | instskip(NEXT) | instid1(VALU_DEP_2)
	v_sub_f32_e32 v32, v32, v34
	v_sub_f32_e32 v36, v36, v39
	s_delay_alu instid0(VALU_DEP_1) | instskip(NEXT) | instid1(VALU_DEP_1)
	v_add_f32_e32 v29, v29, v36
	v_add_f32_e32 v29, v32, v29
	s_delay_alu instid0(VALU_DEP_1) | instskip(NEXT) | instid1(VALU_DEP_1)
	v_add_f32_e32 v32, v40, v29
	v_mul_f32_e32 v34, v31, v32
	s_delay_alu instid0(VALU_DEP_1) | instskip(NEXT) | instid1(VALU_DEP_1)
	v_dual_sub_f32 v39, v40, v32 :: v_dual_mul_f32 v36, v35, v34
	v_add_f32_e32 v29, v29, v39
	s_delay_alu instid0(VALU_DEP_2) | instskip(NEXT) | instid1(VALU_DEP_1)
	v_fma_f32 v35, v34, v35, -v36
	v_fmac_f32_e32 v35, v34, v33
	s_delay_alu instid0(VALU_DEP_1) | instskip(NEXT) | instid1(VALU_DEP_1)
	v_add_f32_e32 v33, v36, v35
	v_sub_f32_e32 v38, v32, v33
	v_sub_f32_e32 v36, v33, v36
	s_delay_alu instid0(VALU_DEP_2) | instskip(NEXT) | instid1(VALU_DEP_1)
	v_sub_f32_e32 v32, v32, v38
	v_sub_f32_e32 v32, v32, v33
	s_delay_alu instid0(VALU_DEP_3) | instskip(NEXT) | instid1(VALU_DEP_2)
	v_sub_f32_e32 v33, v36, v35
	v_add_f32_e32 v29, v29, v32
	v_add_f32_e32 v32, v37, v34
	s_delay_alu instid0(VALU_DEP_2) | instskip(NEXT) | instid1(VALU_DEP_2)
	v_add_f32_e32 v29, v33, v29
	v_sub_f32_e32 v33, v32, v37
	s_delay_alu instid0(VALU_DEP_2) | instskip(NEXT) | instid1(VALU_DEP_2)
	v_add_f32_e32 v29, v38, v29
	v_sub_f32_e32 v33, v34, v33
	s_delay_alu instid0(VALU_DEP_2) | instskip(NEXT) | instid1(VALU_DEP_1)
	v_mul_f32_e32 v29, v31, v29
	v_add_f32_e32 v29, v33, v29
	s_delay_alu instid0(VALU_DEP_1) | instskip(NEXT) | instid1(VALU_DEP_1)
	v_add_f32_e32 v31, v32, v29
	v_mul_f32_e32 v33, v31, v31
	s_delay_alu instid0(VALU_DEP_1) | instskip(SKIP_2) | instid1(VALU_DEP_3)
	v_fmaak_f32 v34, s43, v33, 0x3ecc95a3
	v_mul_f32_e32 v35, v31, v33
	v_cmp_eq_f32_e64 s43, 0x7f800000, v30
	v_fmaak_f32 v33, v33, v34, 0x3f2aaada
	v_ldexp_f32 v34, v31, 1
	v_sub_f32_e32 v31, v31, v32
	s_delay_alu instid0(VALU_DEP_4) | instskip(NEXT) | instid1(VALU_DEP_3)
	s_or_b32 s43, s43, s46
	v_mul_f32_e32 v33, v35, v33
	v_mul_f32_e32 v35, 0x3f317218, v28
	s_delay_alu instid0(VALU_DEP_2) | instskip(NEXT) | instid1(VALU_DEP_1)
	v_dual_sub_f32 v29, v29, v31 :: v_dual_add_f32 v32, v34, v33
	v_ldexp_f32 v29, v29, 1
	s_delay_alu instid0(VALU_DEP_2) | instskip(NEXT) | instid1(VALU_DEP_4)
	v_sub_f32_e32 v31, v32, v34
	v_fma_f32 v34, 0x3f317218, v28, -v35
	s_delay_alu instid0(VALU_DEP_1) | instskip(NEXT) | instid1(VALU_DEP_1)
	v_dual_sub_f32 v31, v33, v31 :: v_dual_fmamk_f32 v28, v28, 0xb102e308, v34
	v_add_f32_e32 v29, v29, v31
	s_delay_alu instid0(VALU_DEP_2) | instskip(NEXT) | instid1(VALU_DEP_2)
	v_add_f32_e32 v31, v35, v28
	v_add_f32_e32 v33, v32, v29
	s_delay_alu instid0(VALU_DEP_2) | instskip(NEXT) | instid1(VALU_DEP_2)
	v_sub_f32_e32 v35, v31, v35
	v_add_f32_e32 v34, v31, v33
	v_sub_f32_e32 v32, v33, v32
	s_delay_alu instid0(VALU_DEP_3) | instskip(NEXT) | instid1(VALU_DEP_2)
	v_sub_f32_e32 v28, v28, v35
	v_dual_sub_f32 v36, v34, v31 :: v_dual_sub_f32 v29, v29, v32
	s_delay_alu instid0(VALU_DEP_1) | instskip(NEXT) | instid1(VALU_DEP_2)
	v_sub_f32_e32 v37, v34, v36
	v_dual_sub_f32 v32, v33, v36 :: v_dual_add_f32 v33, v28, v29
	s_delay_alu instid0(VALU_DEP_2) | instskip(NEXT) | instid1(VALU_DEP_1)
	v_sub_f32_e32 v31, v31, v37
	v_dual_add_f32 v31, v32, v31 :: v_dual_sub_f32 v32, v33, v28
	s_delay_alu instid0(VALU_DEP_1) | instskip(NEXT) | instid1(VALU_DEP_2)
	v_add_f32_e32 v31, v33, v31
	v_sub_f32_e32 v33, v33, v32
	v_sub_f32_e32 v29, v29, v32
	s_delay_alu instid0(VALU_DEP_2) | instskip(NEXT) | instid1(VALU_DEP_1)
	v_dual_add_f32 v35, v34, v31 :: v_dual_sub_f32 v28, v28, v33
	v_sub_f32_e32 v32, v35, v34
	s_delay_alu instid0(VALU_DEP_2) | instskip(NEXT) | instid1(VALU_DEP_2)
	v_add_f32_e32 v28, v29, v28
	v_sub_f32_e32 v29, v31, v32
	s_delay_alu instid0(VALU_DEP_1) | instskip(NEXT) | instid1(VALU_DEP_1)
	v_add_f32_e32 v28, v28, v29
	v_add_f32_e32 v28, v35, v28
	s_delay_alu instid0(VALU_DEP_1) | instskip(NEXT) | instid1(VALU_DEP_1)
	v_cndmask_b32_e64 v28, v28, v30, s43
	v_add_f32_e32 v5, v5, v28
	s_delay_alu instid0(VALU_DEP_1) | instskip(NEXT) | instid1(VALU_DEP_1)
	v_cvt_f16_f32_e32 v28, v5
	v_cvt_f32_f16_e32 v30, v28
	v_mov_b32_e32 v29, v28
.LBB400_84:
	s_or_b32 exec_lo, exec_lo, s44
	v_cvt_f32_f16_e32 v5, v25
	s_delay_alu instid0(VALU_DEP_3) | instskip(SKIP_1) | instid1(VALU_DEP_2)
	v_max_f32_e32 v31, v30, v30
	v_cmp_u_f16_e64 s43, v28, v28
	v_min_f32_e32 v32, v31, v5
	v_max_f32_e32 v31, v31, v5
	s_delay_alu instid0(VALU_DEP_2) | instskip(NEXT) | instid1(VALU_DEP_2)
	v_cndmask_b32_e64 v32, v32, v30, s43
	v_cndmask_b32_e64 v31, v31, v30, s43
	v_cmp_u_f16_e64 s43, v25, v25
	s_delay_alu instid0(VALU_DEP_1) | instskip(NEXT) | instid1(VALU_DEP_3)
	v_cndmask_b32_e64 v32, v32, v5, s43
	v_cndmask_b32_e64 v31, v31, v5, s43
	s_delay_alu instid0(VALU_DEP_2) | instskip(NEXT) | instid1(VALU_DEP_2)
	v_cmp_class_f32_e64 s46, v32, 0x1f8
	v_cmp_neq_f32_e64 s44, v32, v31
	s_delay_alu instid0(VALU_DEP_1) | instskip(NEXT) | instid1(SALU_CYCLE_1)
	s_or_b32 s44, s44, s46
	s_and_saveexec_b32 s46, s44
	s_cbranch_execz .LBB400_86
; %bb.85:
	v_sub_f32_e32 v28, v32, v31
	s_delay_alu instid0(VALU_DEP_1) | instskip(NEXT) | instid1(VALU_DEP_1)
	v_mul_f32_e32 v29, 0x3fb8aa3b, v28
	v_fma_f32 v30, 0x3fb8aa3b, v28, -v29
	v_rndne_f32_e32 v32, v29
	s_delay_alu instid0(VALU_DEP_1) | instskip(SKIP_1) | instid1(VALU_DEP_2)
	v_dual_sub_f32 v29, v29, v32 :: v_dual_fmamk_f32 v30, v28, 0x32a5705f, v30
	v_cmp_ngt_f32_e64 s44, 0xc2ce8ed0, v28
	v_add_f32_e32 v29, v29, v30
	v_cvt_i32_f32_e32 v30, v32
	s_delay_alu instid0(VALU_DEP_2) | instskip(SKIP_2) | instid1(VALU_DEP_1)
	v_exp_f32_e32 v29, v29
	s_waitcnt_depctr 0xfff
	v_ldexp_f32 v29, v29, v30
	v_cndmask_b32_e64 v29, 0, v29, s44
	v_cmp_nlt_f32_e64 s44, 0x42b17218, v28
	s_delay_alu instid0(VALU_DEP_1) | instskip(NEXT) | instid1(VALU_DEP_1)
	v_cndmask_b32_e64 v30, 0x7f800000, v29, s44
	v_add_f32_e32 v32, 1.0, v30
	v_cmp_gt_f32_e64 s47, 0x33800000, |v30|
	s_delay_alu instid0(VALU_DEP_2) | instskip(NEXT) | instid1(VALU_DEP_1)
	v_cvt_f64_f32_e32 v[28:29], v32
	v_frexp_exp_i32_f64_e32 v28, v[28:29]
	v_frexp_mant_f32_e32 v29, v32
	s_delay_alu instid0(VALU_DEP_1) | instskip(SKIP_1) | instid1(VALU_DEP_1)
	v_cmp_gt_f32_e64 s44, 0x3f2aaaab, v29
	v_add_f32_e32 v29, -1.0, v32
	v_dual_sub_f32 v34, v29, v32 :: v_dual_sub_f32 v29, v30, v29
	s_delay_alu instid0(VALU_DEP_3) | instskip(SKIP_1) | instid1(VALU_DEP_1)
	v_subrev_co_ci_u32_e64 v28, s44, 0, v28, s44
	s_mov_b32 s44, 0x3e9b6dac
	v_sub_nc_u32_e32 v33, 0, v28
	v_cvt_f32_i32_e32 v28, v28
	s_delay_alu instid0(VALU_DEP_2) | instskip(NEXT) | instid1(VALU_DEP_1)
	v_ldexp_f32 v32, v32, v33
	v_dual_add_f32 v34, 1.0, v34 :: v_dual_add_f32 v35, 1.0, v32
	s_delay_alu instid0(VALU_DEP_1) | instskip(NEXT) | instid1(VALU_DEP_1)
	v_dual_add_f32 v29, v29, v34 :: v_dual_add_f32 v34, -1.0, v35
	v_ldexp_f32 v29, v29, v33
	s_delay_alu instid0(VALU_DEP_2) | instskip(NEXT) | instid1(VALU_DEP_1)
	v_dual_add_f32 v33, -1.0, v32 :: v_dual_sub_f32 v34, v32, v34
	v_add_f32_e32 v36, 1.0, v33
	s_delay_alu instid0(VALU_DEP_2) | instskip(NEXT) | instid1(VALU_DEP_2)
	v_add_f32_e32 v34, v29, v34
	v_sub_f32_e32 v32, v32, v36
	s_delay_alu instid0(VALU_DEP_1) | instskip(NEXT) | instid1(VALU_DEP_1)
	v_dual_add_f32 v36, v35, v34 :: v_dual_add_f32 v29, v29, v32
	v_rcp_f32_e32 v32, v36
	v_sub_f32_e32 v35, v35, v36
	s_delay_alu instid0(VALU_DEP_1) | instskip(NEXT) | instid1(VALU_DEP_1)
	v_dual_add_f32 v37, v33, v29 :: v_dual_add_f32 v34, v34, v35
	v_sub_f32_e32 v33, v33, v37
	s_waitcnt_depctr 0xfff
	v_mul_f32_e32 v38, v37, v32
	v_add_f32_e32 v29, v29, v33
	s_delay_alu instid0(VALU_DEP_2) | instskip(NEXT) | instid1(VALU_DEP_1)
	v_mul_f32_e32 v39, v36, v38
	v_fma_f32 v35, v38, v36, -v39
	s_delay_alu instid0(VALU_DEP_1) | instskip(NEXT) | instid1(VALU_DEP_1)
	v_fmac_f32_e32 v35, v38, v34
	v_add_f32_e32 v40, v39, v35
	s_delay_alu instid0(VALU_DEP_1) | instskip(SKIP_1) | instid1(VALU_DEP_2)
	v_sub_f32_e32 v41, v37, v40
	v_sub_f32_e32 v33, v40, v39
	;; [unrolled: 1-line block ×3, first 2 shown]
	s_delay_alu instid0(VALU_DEP_2) | instskip(NEXT) | instid1(VALU_DEP_2)
	v_sub_f32_e32 v33, v33, v35
	v_sub_f32_e32 v37, v37, v40
	s_delay_alu instid0(VALU_DEP_1) | instskip(NEXT) | instid1(VALU_DEP_1)
	v_add_f32_e32 v29, v29, v37
	v_add_f32_e32 v29, v33, v29
	s_delay_alu instid0(VALU_DEP_1) | instskip(NEXT) | instid1(VALU_DEP_1)
	v_add_f32_e32 v33, v41, v29
	v_mul_f32_e32 v35, v32, v33
	s_delay_alu instid0(VALU_DEP_1) | instskip(NEXT) | instid1(VALU_DEP_1)
	v_mul_f32_e32 v37, v36, v35
	v_fma_f32 v36, v35, v36, -v37
	s_delay_alu instid0(VALU_DEP_1) | instskip(SKIP_1) | instid1(VALU_DEP_2)
	v_fmac_f32_e32 v36, v35, v34
	v_sub_f32_e32 v40, v41, v33
	v_add_f32_e32 v34, v37, v36
	s_delay_alu instid0(VALU_DEP_2) | instskip(NEXT) | instid1(VALU_DEP_2)
	v_add_f32_e32 v29, v29, v40
	v_sub_f32_e32 v39, v33, v34
	v_sub_f32_e32 v37, v34, v37
	s_delay_alu instid0(VALU_DEP_2) | instskip(NEXT) | instid1(VALU_DEP_1)
	v_sub_f32_e32 v33, v33, v39
	v_sub_f32_e32 v33, v33, v34
	s_delay_alu instid0(VALU_DEP_3) | instskip(NEXT) | instid1(VALU_DEP_2)
	v_sub_f32_e32 v34, v37, v36
	v_add_f32_e32 v29, v29, v33
	v_add_f32_e32 v33, v38, v35
	s_delay_alu instid0(VALU_DEP_1) | instskip(NEXT) | instid1(VALU_DEP_1)
	v_dual_add_f32 v29, v34, v29 :: v_dual_sub_f32 v34, v33, v38
	v_add_f32_e32 v29, v39, v29
	s_delay_alu instid0(VALU_DEP_1) | instskip(NEXT) | instid1(VALU_DEP_1)
	v_dual_sub_f32 v34, v35, v34 :: v_dual_mul_f32 v29, v32, v29
	v_add_f32_e32 v29, v34, v29
	s_delay_alu instid0(VALU_DEP_1) | instskip(NEXT) | instid1(VALU_DEP_1)
	v_add_f32_e32 v32, v33, v29
	v_mul_f32_e32 v34, v32, v32
	s_delay_alu instid0(VALU_DEP_1) | instskip(SKIP_2) | instid1(VALU_DEP_3)
	v_fmaak_f32 v35, s44, v34, 0x3ecc95a3
	v_mul_f32_e32 v36, v32, v34
	v_cmp_eq_f32_e64 s44, 0x7f800000, v30
	v_fmaak_f32 v34, v34, v35, 0x3f2aaada
	v_ldexp_f32 v35, v32, 1
	v_sub_f32_e32 v32, v32, v33
	s_delay_alu instid0(VALU_DEP_4) | instskip(NEXT) | instid1(VALU_DEP_3)
	s_or_b32 s44, s44, s47
	v_mul_f32_e32 v34, v36, v34
	v_mul_f32_e32 v36, 0x3f317218, v28
	s_delay_alu instid0(VALU_DEP_3) | instskip(NEXT) | instid1(VALU_DEP_3)
	v_sub_f32_e32 v29, v29, v32
	v_add_f32_e32 v33, v35, v34
	s_delay_alu instid0(VALU_DEP_2) | instskip(NEXT) | instid1(VALU_DEP_2)
	v_ldexp_f32 v29, v29, 1
	v_sub_f32_e32 v32, v33, v35
	v_fma_f32 v35, 0x3f317218, v28, -v36
	s_delay_alu instid0(VALU_DEP_2) | instskip(NEXT) | instid1(VALU_DEP_1)
	v_sub_f32_e32 v32, v34, v32
	v_dual_fmamk_f32 v28, v28, 0xb102e308, v35 :: v_dual_add_f32 v29, v29, v32
	s_delay_alu instid0(VALU_DEP_1) | instskip(NEXT) | instid1(VALU_DEP_2)
	v_add_f32_e32 v32, v36, v28
	v_add_f32_e32 v34, v33, v29
	s_delay_alu instid0(VALU_DEP_2) | instskip(NEXT) | instid1(VALU_DEP_2)
	v_sub_f32_e32 v36, v32, v36
	v_add_f32_e32 v35, v32, v34
	s_delay_alu instid0(VALU_DEP_2) | instskip(NEXT) | instid1(VALU_DEP_2)
	v_sub_f32_e32 v28, v28, v36
	v_sub_f32_e32 v37, v35, v32
	;; [unrolled: 1-line block ×3, first 2 shown]
	s_delay_alu instid0(VALU_DEP_2) | instskip(NEXT) | instid1(VALU_DEP_2)
	v_sub_f32_e32 v38, v35, v37
	v_sub_f32_e32 v29, v29, v33
	s_delay_alu instid0(VALU_DEP_2) | instskip(NEXT) | instid1(VALU_DEP_2)
	v_dual_sub_f32 v33, v34, v37 :: v_dual_sub_f32 v32, v32, v38
	v_add_f32_e32 v34, v28, v29
	s_delay_alu instid0(VALU_DEP_2) | instskip(NEXT) | instid1(VALU_DEP_2)
	v_add_f32_e32 v32, v33, v32
	v_sub_f32_e32 v33, v34, v28
	s_delay_alu instid0(VALU_DEP_2) | instskip(NEXT) | instid1(VALU_DEP_2)
	v_add_f32_e32 v32, v34, v32
	v_sub_f32_e32 v34, v34, v33
	s_delay_alu instid0(VALU_DEP_2) | instskip(NEXT) | instid1(VALU_DEP_2)
	v_dual_sub_f32 v29, v29, v33 :: v_dual_add_f32 v36, v35, v32
	v_sub_f32_e32 v28, v28, v34
	s_delay_alu instid0(VALU_DEP_1) | instskip(NEXT) | instid1(VALU_DEP_1)
	v_dual_sub_f32 v33, v36, v35 :: v_dual_add_f32 v28, v29, v28
	v_sub_f32_e32 v29, v32, v33
	s_delay_alu instid0(VALU_DEP_1) | instskip(NEXT) | instid1(VALU_DEP_1)
	v_add_f32_e32 v28, v28, v29
	v_add_f32_e32 v28, v36, v28
	s_delay_alu instid0(VALU_DEP_1) | instskip(NEXT) | instid1(VALU_DEP_1)
	v_cndmask_b32_e64 v28, v28, v30, s44
	v_add_f32_e32 v28, v31, v28
	s_delay_alu instid0(VALU_DEP_1) | instskip(NEXT) | instid1(VALU_DEP_1)
	v_cvt_f16_f32_e32 v28, v28
	v_cvt_f32_f16_e32 v30, v28
	v_mov_b32_e32 v29, v28
.LBB400_86:
	s_or_b32 exec_lo, exec_lo, s46
	v_lshrrev_b32_e32 v31, 16, v25
	s_delay_alu instid0(VALU_DEP_3) | instskip(SKIP_1) | instid1(VALU_DEP_3)
	v_max_f32_e32 v32, v30, v30
	v_cmp_u_f16_e64 s44, v28, v28
	v_cvt_f32_f16_e32 v25, v31
	s_delay_alu instid0(VALU_DEP_1) | instskip(SKIP_1) | instid1(VALU_DEP_2)
	v_min_f32_e32 v33, v32, v25
	v_max_f32_e32 v32, v32, v25
	v_cndmask_b32_e64 v28, v33, v30, s44
	s_delay_alu instid0(VALU_DEP_2) | instskip(SKIP_1) | instid1(VALU_DEP_1)
	v_cndmask_b32_e64 v32, v32, v30, s44
	v_cmp_u_f16_e64 s44, v31, v31
	v_cndmask_b32_e64 v30, v28, v25, s44
	s_delay_alu instid0(VALU_DEP_3) | instskip(NEXT) | instid1(VALU_DEP_2)
	v_cndmask_b32_e64 v28, v32, v25, s44
	v_cmp_class_f32_e64 s47, v30, 0x1f8
	s_delay_alu instid0(VALU_DEP_2) | instskip(NEXT) | instid1(VALU_DEP_1)
	v_cmp_neq_f32_e64 s46, v30, v28
	s_or_b32 s46, s46, s47
	s_delay_alu instid0(SALU_CYCLE_1)
	s_and_saveexec_b32 s47, s46
	s_cbranch_execz .LBB400_88
; %bb.87:
	v_sub_f32_e32 v29, v30, v28
	s_delay_alu instid0(VALU_DEP_1) | instskip(SKIP_1) | instid1(VALU_DEP_2)
	v_mul_f32_e32 v30, 0x3fb8aa3b, v29
	v_cmp_ngt_f32_e64 s46, 0xc2ce8ed0, v29
	v_fma_f32 v31, 0x3fb8aa3b, v29, -v30
	v_rndne_f32_e32 v32, v30
	s_delay_alu instid0(VALU_DEP_1) | instskip(NEXT) | instid1(VALU_DEP_1)
	v_dual_fmamk_f32 v31, v29, 0x32a5705f, v31 :: v_dual_sub_f32 v30, v30, v32
	v_add_f32_e32 v30, v30, v31
	v_cvt_i32_f32_e32 v31, v32
	s_delay_alu instid0(VALU_DEP_2) | instskip(SKIP_2) | instid1(VALU_DEP_1)
	v_exp_f32_e32 v30, v30
	s_waitcnt_depctr 0xfff
	v_ldexp_f32 v30, v30, v31
	v_cndmask_b32_e64 v30, 0, v30, s46
	v_cmp_nlt_f32_e64 s46, 0x42b17218, v29
	s_delay_alu instid0(VALU_DEP_1) | instskip(NEXT) | instid1(VALU_DEP_1)
	v_cndmask_b32_e64 v31, 0x7f800000, v30, s46
	v_add_f32_e32 v32, 1.0, v31
	v_cmp_gt_f32_e64 s48, 0x33800000, |v31|
	s_delay_alu instid0(VALU_DEP_2) | instskip(NEXT) | instid1(VALU_DEP_1)
	v_cvt_f64_f32_e32 v[29:30], v32
	v_frexp_exp_i32_f64_e32 v29, v[29:30]
	v_frexp_mant_f32_e32 v30, v32
	s_delay_alu instid0(VALU_DEP_1) | instskip(SKIP_1) | instid1(VALU_DEP_1)
	v_cmp_gt_f32_e64 s46, 0x3f2aaaab, v30
	v_add_f32_e32 v30, -1.0, v32
	v_sub_f32_e32 v34, v30, v32
	v_sub_f32_e32 v30, v31, v30
	s_delay_alu instid0(VALU_DEP_4) | instskip(SKIP_1) | instid1(VALU_DEP_1)
	v_subrev_co_ci_u32_e64 v29, s46, 0, v29, s46
	s_mov_b32 s46, 0x3e9b6dac
	v_sub_nc_u32_e32 v33, 0, v29
	v_cvt_f32_i32_e32 v29, v29
	s_delay_alu instid0(VALU_DEP_2) | instskip(NEXT) | instid1(VALU_DEP_1)
	v_ldexp_f32 v32, v32, v33
	v_dual_add_f32 v35, 1.0, v32 :: v_dual_add_f32 v34, 1.0, v34
	s_delay_alu instid0(VALU_DEP_1) | instskip(NEXT) | instid1(VALU_DEP_2)
	v_add_f32_e32 v30, v30, v34
	v_add_f32_e32 v34, -1.0, v35
	s_delay_alu instid0(VALU_DEP_2) | instskip(NEXT) | instid1(VALU_DEP_2)
	v_ldexp_f32 v30, v30, v33
	v_dual_add_f32 v33, -1.0, v32 :: v_dual_sub_f32 v34, v32, v34
	s_delay_alu instid0(VALU_DEP_1) | instskip(NEXT) | instid1(VALU_DEP_2)
	v_add_f32_e32 v36, 1.0, v33
	v_add_f32_e32 v34, v30, v34
	s_delay_alu instid0(VALU_DEP_2) | instskip(NEXT) | instid1(VALU_DEP_2)
	v_sub_f32_e32 v32, v32, v36
	v_add_f32_e32 v36, v35, v34
	s_delay_alu instid0(VALU_DEP_2) | instskip(NEXT) | instid1(VALU_DEP_2)
	v_add_f32_e32 v30, v30, v32
	v_rcp_f32_e32 v32, v36
	v_sub_f32_e32 v35, v35, v36
	s_delay_alu instid0(VALU_DEP_1) | instskip(NEXT) | instid1(VALU_DEP_1)
	v_dual_add_f32 v37, v33, v30 :: v_dual_add_f32 v34, v34, v35
	v_sub_f32_e32 v33, v33, v37
	s_waitcnt_depctr 0xfff
	v_mul_f32_e32 v38, v37, v32
	s_delay_alu instid0(VALU_DEP_1) | instskip(NEXT) | instid1(VALU_DEP_1)
	v_dual_add_f32 v30, v30, v33 :: v_dual_mul_f32 v39, v36, v38
	v_fma_f32 v35, v38, v36, -v39
	s_delay_alu instid0(VALU_DEP_1) | instskip(NEXT) | instid1(VALU_DEP_1)
	v_fmac_f32_e32 v35, v38, v34
	v_add_f32_e32 v40, v39, v35
	s_delay_alu instid0(VALU_DEP_1) | instskip(SKIP_1) | instid1(VALU_DEP_2)
	v_sub_f32_e32 v41, v37, v40
	v_sub_f32_e32 v33, v40, v39
	;; [unrolled: 1-line block ×3, first 2 shown]
	s_delay_alu instid0(VALU_DEP_2) | instskip(NEXT) | instid1(VALU_DEP_2)
	v_sub_f32_e32 v33, v33, v35
	v_sub_f32_e32 v37, v37, v40
	s_delay_alu instid0(VALU_DEP_1) | instskip(NEXT) | instid1(VALU_DEP_1)
	v_add_f32_e32 v30, v30, v37
	v_add_f32_e32 v30, v33, v30
	s_delay_alu instid0(VALU_DEP_1) | instskip(NEXT) | instid1(VALU_DEP_1)
	v_add_f32_e32 v33, v41, v30
	v_mul_f32_e32 v35, v32, v33
	s_delay_alu instid0(VALU_DEP_1) | instskip(NEXT) | instid1(VALU_DEP_1)
	v_dual_sub_f32 v40, v41, v33 :: v_dual_mul_f32 v37, v36, v35
	v_add_f32_e32 v30, v30, v40
	s_delay_alu instid0(VALU_DEP_2) | instskip(NEXT) | instid1(VALU_DEP_1)
	v_fma_f32 v36, v35, v36, -v37
	v_fmac_f32_e32 v36, v35, v34
	s_delay_alu instid0(VALU_DEP_1) | instskip(NEXT) | instid1(VALU_DEP_1)
	v_add_f32_e32 v34, v37, v36
	v_sub_f32_e32 v39, v33, v34
	v_sub_f32_e32 v37, v34, v37
	s_delay_alu instid0(VALU_DEP_2) | instskip(NEXT) | instid1(VALU_DEP_1)
	v_sub_f32_e32 v33, v33, v39
	v_sub_f32_e32 v33, v33, v34
	s_delay_alu instid0(VALU_DEP_3) | instskip(NEXT) | instid1(VALU_DEP_2)
	v_sub_f32_e32 v34, v37, v36
	v_add_f32_e32 v30, v30, v33
	v_add_f32_e32 v33, v38, v35
	s_delay_alu instid0(VALU_DEP_2) | instskip(NEXT) | instid1(VALU_DEP_2)
	v_add_f32_e32 v30, v34, v30
	v_sub_f32_e32 v34, v33, v38
	s_delay_alu instid0(VALU_DEP_2) | instskip(NEXT) | instid1(VALU_DEP_2)
	v_add_f32_e32 v30, v39, v30
	v_sub_f32_e32 v34, v35, v34
	s_delay_alu instid0(VALU_DEP_2) | instskip(NEXT) | instid1(VALU_DEP_1)
	v_mul_f32_e32 v30, v32, v30
	v_add_f32_e32 v30, v34, v30
	s_delay_alu instid0(VALU_DEP_1) | instskip(NEXT) | instid1(VALU_DEP_1)
	v_add_f32_e32 v32, v33, v30
	v_mul_f32_e32 v34, v32, v32
	s_delay_alu instid0(VALU_DEP_1) | instskip(SKIP_2) | instid1(VALU_DEP_3)
	v_fmaak_f32 v35, s46, v34, 0x3ecc95a3
	v_mul_f32_e32 v36, v32, v34
	v_cmp_eq_f32_e64 s46, 0x7f800000, v31
	v_fmaak_f32 v34, v34, v35, 0x3f2aaada
	v_ldexp_f32 v35, v32, 1
	v_sub_f32_e32 v32, v32, v33
	s_delay_alu instid0(VALU_DEP_4) | instskip(NEXT) | instid1(VALU_DEP_3)
	s_or_b32 s46, s46, s48
	v_mul_f32_e32 v34, v36, v34
	v_mul_f32_e32 v36, 0x3f317218, v29
	s_delay_alu instid0(VALU_DEP_2) | instskip(NEXT) | instid1(VALU_DEP_1)
	v_dual_sub_f32 v30, v30, v32 :: v_dual_add_f32 v33, v35, v34
	v_ldexp_f32 v30, v30, 1
	s_delay_alu instid0(VALU_DEP_2) | instskip(NEXT) | instid1(VALU_DEP_4)
	v_sub_f32_e32 v32, v33, v35
	v_fma_f32 v35, 0x3f317218, v29, -v36
	s_delay_alu instid0(VALU_DEP_1) | instskip(NEXT) | instid1(VALU_DEP_1)
	v_dual_sub_f32 v32, v34, v32 :: v_dual_fmamk_f32 v29, v29, 0xb102e308, v35
	v_add_f32_e32 v30, v30, v32
	s_delay_alu instid0(VALU_DEP_2) | instskip(NEXT) | instid1(VALU_DEP_2)
	v_add_f32_e32 v32, v36, v29
	v_add_f32_e32 v34, v33, v30
	s_delay_alu instid0(VALU_DEP_2) | instskip(NEXT) | instid1(VALU_DEP_2)
	v_sub_f32_e32 v36, v32, v36
	v_add_f32_e32 v35, v32, v34
	v_sub_f32_e32 v33, v34, v33
	s_delay_alu instid0(VALU_DEP_3) | instskip(NEXT) | instid1(VALU_DEP_2)
	v_sub_f32_e32 v29, v29, v36
	v_dual_sub_f32 v37, v35, v32 :: v_dual_sub_f32 v30, v30, v33
	s_delay_alu instid0(VALU_DEP_1) | instskip(NEXT) | instid1(VALU_DEP_2)
	v_sub_f32_e32 v38, v35, v37
	v_dual_sub_f32 v33, v34, v37 :: v_dual_add_f32 v34, v29, v30
	s_delay_alu instid0(VALU_DEP_2) | instskip(NEXT) | instid1(VALU_DEP_1)
	v_sub_f32_e32 v32, v32, v38
	v_dual_add_f32 v32, v33, v32 :: v_dual_sub_f32 v33, v34, v29
	s_delay_alu instid0(VALU_DEP_1) | instskip(NEXT) | instid1(VALU_DEP_2)
	v_add_f32_e32 v32, v34, v32
	v_sub_f32_e32 v34, v34, v33
	v_sub_f32_e32 v30, v30, v33
	s_delay_alu instid0(VALU_DEP_2) | instskip(NEXT) | instid1(VALU_DEP_1)
	v_dual_add_f32 v36, v35, v32 :: v_dual_sub_f32 v29, v29, v34
	v_sub_f32_e32 v33, v36, v35
	s_delay_alu instid0(VALU_DEP_2) | instskip(NEXT) | instid1(VALU_DEP_2)
	v_add_f32_e32 v29, v30, v29
	v_sub_f32_e32 v30, v32, v33
	s_delay_alu instid0(VALU_DEP_1) | instskip(NEXT) | instid1(VALU_DEP_1)
	v_add_f32_e32 v29, v29, v30
	v_add_f32_e32 v29, v36, v29
	s_delay_alu instid0(VALU_DEP_1) | instskip(NEXT) | instid1(VALU_DEP_1)
	v_cndmask_b32_e64 v29, v29, v31, s46
	v_add_f32_e32 v28, v28, v29
	s_delay_alu instid0(VALU_DEP_1)
	v_cvt_f16_f32_e32 v29, v28
.LBB400_88:
	s_or_b32 exec_lo, exec_lo, s47
	s_load_b64 s[46:47], s[0:1], 0x18
	v_lshrrev_b32_e32 v28, 4, v0
	s_mov_b32 s48, exec_lo
	s_delay_alu instid0(VALU_DEP_1) | instskip(NEXT) | instid1(VALU_DEP_1)
	v_and_b32_e32 v28, 2, v28
	v_add_nc_u32_e32 v28, v12, v28
	ds_store_b16 v28, v29
	s_waitcnt lgkmcnt(0)
	s_barrier
	buffer_gl0_inv
	v_cmpx_gt_u32_e32 32, v0
	s_cbranch_execz .LBB400_116
; %bb.89:
	v_lshrrev_b32_e32 v28, 3, v0
	s_delay_alu instid0(VALU_DEP_1) | instskip(NEXT) | instid1(VALU_DEP_1)
	v_and_b32_e32 v28, 6, v28
	v_lshl_or_b32 v28, v0, 2, v28
	ds_load_u16 v33, v28
	ds_load_u16 v31, v28 offset:2
	s_waitcnt lgkmcnt(1)
	v_cvt_f32_f16_e32 v30, v33
	s_waitcnt lgkmcnt(0)
	v_cvt_f32_f16_e32 v34, v31
	v_cmp_u_f16_e64 s0, v33, v33
	v_cmp_u_f16_e64 s1, v31, v31
	s_delay_alu instid0(VALU_DEP_3) | instskip(SKIP_1) | instid1(VALU_DEP_2)
	v_max_f32_e32 v35, v30, v34
	v_min_f32_e32 v32, v30, v34
	v_cndmask_b32_e64 v35, v35, v30, s0
	s_delay_alu instid0(VALU_DEP_2) | instskip(NEXT) | instid1(VALU_DEP_2)
	v_cndmask_b32_e64 v32, v32, v30, s0
	v_cndmask_b32_e64 v31, v35, v34, s1
	s_delay_alu instid0(VALU_DEP_2) | instskip(NEXT) | instid1(VALU_DEP_1)
	v_cndmask_b32_e64 v32, v32, v34, s1
	v_cmp_neq_f32_e64 s1, v32, v31
	v_cmp_class_f32_e64 s49, v32, 0x1f8
	s_delay_alu instid0(VALU_DEP_1) | instskip(NEXT) | instid1(SALU_CYCLE_1)
	s_or_b32 s1, s1, s49
	s_and_saveexec_b32 s49, s1
	s_cbranch_execz .LBB400_91
; %bb.90:
	v_sub_f32_e32 v32, v32, v31
	s_delay_alu instid0(VALU_DEP_1) | instskip(NEXT) | instid1(VALU_DEP_1)
	v_mul_f32_e32 v33, 0x3fb8aa3b, v32
	v_fma_f32 v34, 0x3fb8aa3b, v32, -v33
	v_rndne_f32_e32 v35, v33
	s_delay_alu instid0(VALU_DEP_1) | instskip(NEXT) | instid1(VALU_DEP_1)
	v_dual_fmamk_f32 v34, v32, 0x32a5705f, v34 :: v_dual_sub_f32 v33, v33, v35
	v_add_f32_e32 v33, v33, v34
	v_cvt_i32_f32_e32 v34, v35
	v_cmp_ngt_f32_e64 s1, 0xc2ce8ed0, v32
	s_delay_alu instid0(VALU_DEP_3) | instskip(SKIP_2) | instid1(VALU_DEP_1)
	v_exp_f32_e32 v33, v33
	s_waitcnt_depctr 0xfff
	v_ldexp_f32 v33, v33, v34
	v_cndmask_b32_e64 v33, 0, v33, s1
	v_cmp_nlt_f32_e64 s1, 0x42b17218, v32
	s_delay_alu instid0(VALU_DEP_1) | instskip(NEXT) | instid1(VALU_DEP_1)
	v_cndmask_b32_e64 v34, 0x7f800000, v33, s1
	v_add_f32_e32 v35, 1.0, v34
	v_cmp_gt_f32_e64 s50, 0x33800000, |v34|
	s_delay_alu instid0(VALU_DEP_2) | instskip(NEXT) | instid1(VALU_DEP_1)
	v_cvt_f64_f32_e32 v[32:33], v35
	v_frexp_exp_i32_f64_e32 v32, v[32:33]
	v_frexp_mant_f32_e32 v33, v35
	s_delay_alu instid0(VALU_DEP_1) | instskip(SKIP_1) | instid1(VALU_DEP_1)
	v_cmp_gt_f32_e64 s1, 0x3f2aaaab, v33
	v_add_f32_e32 v33, -1.0, v35
	v_sub_f32_e32 v37, v33, v35
	s_delay_alu instid0(VALU_DEP_3) | instskip(SKIP_1) | instid1(VALU_DEP_1)
	v_subrev_co_ci_u32_e64 v32, s1, 0, v32, s1
	s_mov_b32 s1, 0x3e9b6dac
	v_sub_nc_u32_e32 v36, 0, v32
	v_cvt_f32_i32_e32 v32, v32
	s_delay_alu instid0(VALU_DEP_2) | instskip(NEXT) | instid1(VALU_DEP_1)
	v_ldexp_f32 v35, v35, v36
	v_dual_sub_f32 v33, v34, v33 :: v_dual_add_f32 v38, 1.0, v35
	v_add_f32_e32 v37, 1.0, v37
	s_delay_alu instid0(VALU_DEP_1) | instskip(NEXT) | instid1(VALU_DEP_3)
	v_add_f32_e32 v33, v33, v37
	v_add_f32_e32 v37, -1.0, v38
	s_delay_alu instid0(VALU_DEP_2) | instskip(NEXT) | instid1(VALU_DEP_2)
	v_ldexp_f32 v33, v33, v36
	v_dual_add_f32 v36, -1.0, v35 :: v_dual_sub_f32 v37, v35, v37
	s_delay_alu instid0(VALU_DEP_1) | instskip(NEXT) | instid1(VALU_DEP_2)
	v_add_f32_e32 v39, 1.0, v36
	v_add_f32_e32 v37, v33, v37
	s_delay_alu instid0(VALU_DEP_2) | instskip(NEXT) | instid1(VALU_DEP_2)
	v_sub_f32_e32 v35, v35, v39
	v_add_f32_e32 v39, v38, v37
	s_delay_alu instid0(VALU_DEP_2) | instskip(NEXT) | instid1(VALU_DEP_2)
	v_add_f32_e32 v33, v33, v35
	v_rcp_f32_e32 v35, v39
	v_sub_f32_e32 v38, v38, v39
	s_delay_alu instid0(VALU_DEP_1) | instskip(NEXT) | instid1(VALU_DEP_1)
	v_dual_add_f32 v40, v36, v33 :: v_dual_add_f32 v37, v37, v38
	v_sub_f32_e32 v36, v36, v40
	s_waitcnt_depctr 0xfff
	v_mul_f32_e32 v41, v40, v35
	s_delay_alu instid0(VALU_DEP_1) | instskip(NEXT) | instid1(VALU_DEP_1)
	v_dual_add_f32 v33, v33, v36 :: v_dual_mul_f32 v42, v39, v41
	v_fma_f32 v38, v41, v39, -v42
	s_delay_alu instid0(VALU_DEP_1) | instskip(NEXT) | instid1(VALU_DEP_1)
	v_fmac_f32_e32 v38, v41, v37
	v_add_f32_e32 v43, v42, v38
	s_delay_alu instid0(VALU_DEP_1) | instskip(SKIP_1) | instid1(VALU_DEP_2)
	v_sub_f32_e32 v44, v40, v43
	v_sub_f32_e32 v36, v43, v42
	;; [unrolled: 1-line block ×3, first 2 shown]
	s_delay_alu instid0(VALU_DEP_2) | instskip(NEXT) | instid1(VALU_DEP_2)
	v_sub_f32_e32 v36, v36, v38
	v_sub_f32_e32 v40, v40, v43
	s_delay_alu instid0(VALU_DEP_1) | instskip(NEXT) | instid1(VALU_DEP_1)
	v_add_f32_e32 v33, v33, v40
	v_add_f32_e32 v33, v36, v33
	s_delay_alu instid0(VALU_DEP_1) | instskip(NEXT) | instid1(VALU_DEP_1)
	v_add_f32_e32 v36, v44, v33
	v_mul_f32_e32 v38, v35, v36
	s_delay_alu instid0(VALU_DEP_1) | instskip(NEXT) | instid1(VALU_DEP_1)
	v_dual_sub_f32 v43, v44, v36 :: v_dual_mul_f32 v40, v39, v38
	v_add_f32_e32 v33, v33, v43
	s_delay_alu instid0(VALU_DEP_2) | instskip(NEXT) | instid1(VALU_DEP_1)
	v_fma_f32 v39, v38, v39, -v40
	v_fmac_f32_e32 v39, v38, v37
	s_delay_alu instid0(VALU_DEP_1) | instskip(NEXT) | instid1(VALU_DEP_1)
	v_add_f32_e32 v37, v40, v39
	v_sub_f32_e32 v42, v36, v37
	v_sub_f32_e32 v40, v37, v40
	s_delay_alu instid0(VALU_DEP_2) | instskip(NEXT) | instid1(VALU_DEP_1)
	v_sub_f32_e32 v36, v36, v42
	v_sub_f32_e32 v36, v36, v37
	s_delay_alu instid0(VALU_DEP_3) | instskip(NEXT) | instid1(VALU_DEP_2)
	v_sub_f32_e32 v37, v40, v39
	v_add_f32_e32 v33, v33, v36
	v_add_f32_e32 v36, v41, v38
	s_delay_alu instid0(VALU_DEP_2) | instskip(NEXT) | instid1(VALU_DEP_2)
	v_add_f32_e32 v33, v37, v33
	v_sub_f32_e32 v37, v36, v41
	s_delay_alu instid0(VALU_DEP_2) | instskip(NEXT) | instid1(VALU_DEP_2)
	v_add_f32_e32 v33, v42, v33
	v_sub_f32_e32 v37, v38, v37
	s_delay_alu instid0(VALU_DEP_2) | instskip(NEXT) | instid1(VALU_DEP_1)
	v_mul_f32_e32 v33, v35, v33
	v_add_f32_e32 v33, v37, v33
	s_delay_alu instid0(VALU_DEP_1) | instskip(NEXT) | instid1(VALU_DEP_1)
	v_add_f32_e32 v35, v36, v33
	v_mul_f32_e32 v37, v35, v35
	s_delay_alu instid0(VALU_DEP_1) | instskip(SKIP_2) | instid1(VALU_DEP_3)
	v_fmaak_f32 v38, s1, v37, 0x3ecc95a3
	v_mul_f32_e32 v39, v35, v37
	v_cmp_eq_f32_e64 s1, 0x7f800000, v34
	v_fmaak_f32 v37, v37, v38, 0x3f2aaada
	v_ldexp_f32 v38, v35, 1
	v_sub_f32_e32 v35, v35, v36
	s_delay_alu instid0(VALU_DEP_4) | instskip(NEXT) | instid1(VALU_DEP_3)
	s_or_b32 s1, s1, s50
	v_mul_f32_e32 v37, v39, v37
	v_mul_f32_e32 v39, 0x3f317218, v32
	s_delay_alu instid0(VALU_DEP_2) | instskip(NEXT) | instid1(VALU_DEP_1)
	v_dual_sub_f32 v33, v33, v35 :: v_dual_add_f32 v36, v38, v37
	v_ldexp_f32 v33, v33, 1
	s_delay_alu instid0(VALU_DEP_2) | instskip(NEXT) | instid1(VALU_DEP_4)
	v_sub_f32_e32 v35, v36, v38
	v_fma_f32 v38, 0x3f317218, v32, -v39
	s_delay_alu instid0(VALU_DEP_1) | instskip(NEXT) | instid1(VALU_DEP_1)
	v_dual_sub_f32 v35, v37, v35 :: v_dual_fmamk_f32 v32, v32, 0xb102e308, v38
	v_add_f32_e32 v33, v33, v35
	s_delay_alu instid0(VALU_DEP_2) | instskip(NEXT) | instid1(VALU_DEP_2)
	v_add_f32_e32 v35, v39, v32
	v_add_f32_e32 v37, v36, v33
	s_delay_alu instid0(VALU_DEP_2) | instskip(NEXT) | instid1(VALU_DEP_2)
	v_sub_f32_e32 v39, v35, v39
	v_add_f32_e32 v38, v35, v37
	v_sub_f32_e32 v36, v37, v36
	s_delay_alu instid0(VALU_DEP_3) | instskip(NEXT) | instid1(VALU_DEP_2)
	v_sub_f32_e32 v32, v32, v39
	v_dual_sub_f32 v40, v38, v35 :: v_dual_sub_f32 v33, v33, v36
	s_delay_alu instid0(VALU_DEP_1) | instskip(NEXT) | instid1(VALU_DEP_2)
	v_sub_f32_e32 v41, v38, v40
	v_dual_sub_f32 v36, v37, v40 :: v_dual_add_f32 v37, v32, v33
	s_delay_alu instid0(VALU_DEP_2) | instskip(NEXT) | instid1(VALU_DEP_1)
	v_sub_f32_e32 v35, v35, v41
	v_dual_add_f32 v35, v36, v35 :: v_dual_sub_f32 v36, v37, v32
	s_delay_alu instid0(VALU_DEP_1) | instskip(NEXT) | instid1(VALU_DEP_2)
	v_add_f32_e32 v35, v37, v35
	v_sub_f32_e32 v37, v37, v36
	v_sub_f32_e32 v33, v33, v36
	s_delay_alu instid0(VALU_DEP_2) | instskip(NEXT) | instid1(VALU_DEP_1)
	v_dual_add_f32 v39, v38, v35 :: v_dual_sub_f32 v32, v32, v37
	v_sub_f32_e32 v36, v39, v38
	s_delay_alu instid0(VALU_DEP_2) | instskip(NEXT) | instid1(VALU_DEP_2)
	v_add_f32_e32 v32, v33, v32
	v_sub_f32_e32 v33, v35, v36
	s_delay_alu instid0(VALU_DEP_1) | instskip(NEXT) | instid1(VALU_DEP_1)
	v_add_f32_e32 v32, v32, v33
	v_add_f32_e32 v32, v39, v32
	s_delay_alu instid0(VALU_DEP_1) | instskip(NEXT) | instid1(VALU_DEP_1)
	v_cndmask_b32_e64 v32, v32, v34, s1
	v_add_f32_e32 v31, v31, v32
	s_delay_alu instid0(VALU_DEP_1)
	v_cvt_f16_f32_e32 v33, v31
.LBB400_91:
	s_or_b32 exec_lo, exec_lo, s49
	v_mbcnt_lo_u32_b32 v31, -1, 0
	s_delay_alu instid0(VALU_DEP_2) | instskip(SKIP_1) | instid1(VALU_DEP_2)
	v_and_b32_e32 v34, 0xffff, v33
	s_mov_b32 s49, exec_lo
	v_and_b32_e32 v32, 15, v31
	s_delay_alu instid0(VALU_DEP_2) | instskip(NEXT) | instid1(VALU_DEP_2)
	v_mov_b32_dpp v35, v34 row_shr:1 row_mask:0xf bank_mask:0xf
	v_cmpx_ne_u32_e32 0, v32
	s_cbranch_execz .LBB400_95
; %bb.92:
	s_delay_alu instid0(VALU_DEP_2) | instskip(SKIP_2) | instid1(VALU_DEP_2)
	v_cvt_f32_f16_e32 v34, v35
	v_cvt_f32_f16_e32 v36, v33
	v_cmp_u_f16_e64 s1, v35, v35
	v_min_f32_e32 v37, v34, v36
	v_max_f32_e32 v38, v34, v36
	s_delay_alu instid0(VALU_DEP_2) | instskip(NEXT) | instid1(VALU_DEP_2)
	v_cndmask_b32_e64 v37, v37, v34, s1
	v_cndmask_b32_e64 v38, v38, v34, s1
	v_cmp_u_f16_e64 s1, v33, v33
	s_delay_alu instid0(VALU_DEP_1) | instskip(NEXT) | instid1(VALU_DEP_3)
	v_cndmask_b32_e64 v34, v37, v36, s1
	v_cndmask_b32_e64 v33, v38, v36, s1
	s_delay_alu instid0(VALU_DEP_2) | instskip(NEXT) | instid1(VALU_DEP_2)
	v_cmp_class_f32_e64 s50, v34, 0x1f8
	v_cmp_neq_f32_e64 s1, v34, v33
	s_delay_alu instid0(VALU_DEP_1) | instskip(NEXT) | instid1(SALU_CYCLE_1)
	s_or_b32 s1, s1, s50
	s_and_saveexec_b32 s50, s1
	s_cbranch_execz .LBB400_94
; %bb.93:
	v_sub_f32_e32 v34, v34, v33
	s_delay_alu instid0(VALU_DEP_1) | instskip(NEXT) | instid1(VALU_DEP_1)
	v_mul_f32_e32 v35, 0x3fb8aa3b, v34
	v_fma_f32 v36, 0x3fb8aa3b, v34, -v35
	v_rndne_f32_e32 v37, v35
	s_delay_alu instid0(VALU_DEP_1) | instskip(NEXT) | instid1(VALU_DEP_1)
	v_dual_fmamk_f32 v36, v34, 0x32a5705f, v36 :: v_dual_sub_f32 v35, v35, v37
	v_add_f32_e32 v35, v35, v36
	v_cvt_i32_f32_e32 v36, v37
	v_cmp_ngt_f32_e64 s1, 0xc2ce8ed0, v34
	s_delay_alu instid0(VALU_DEP_3) | instskip(SKIP_2) | instid1(VALU_DEP_1)
	v_exp_f32_e32 v35, v35
	s_waitcnt_depctr 0xfff
	v_ldexp_f32 v35, v35, v36
	v_cndmask_b32_e64 v35, 0, v35, s1
	v_cmp_nlt_f32_e64 s1, 0x42b17218, v34
	s_delay_alu instid0(VALU_DEP_1) | instskip(NEXT) | instid1(VALU_DEP_1)
	v_cndmask_b32_e64 v36, 0x7f800000, v35, s1
	v_add_f32_e32 v37, 1.0, v36
	v_cmp_gt_f32_e64 s51, 0x33800000, |v36|
	s_delay_alu instid0(VALU_DEP_2) | instskip(NEXT) | instid1(VALU_DEP_1)
	v_cvt_f64_f32_e32 v[34:35], v37
	v_frexp_exp_i32_f64_e32 v34, v[34:35]
	v_frexp_mant_f32_e32 v35, v37
	s_delay_alu instid0(VALU_DEP_1) | instskip(SKIP_1) | instid1(VALU_DEP_1)
	v_cmp_gt_f32_e64 s1, 0x3f2aaaab, v35
	v_add_f32_e32 v35, -1.0, v37
	v_sub_f32_e32 v39, v35, v37
	s_delay_alu instid0(VALU_DEP_3) | instskip(SKIP_1) | instid1(VALU_DEP_1)
	v_subrev_co_ci_u32_e64 v34, s1, 0, v34, s1
	s_mov_b32 s1, 0x3e9b6dac
	v_sub_nc_u32_e32 v38, 0, v34
	v_cvt_f32_i32_e32 v34, v34
	s_delay_alu instid0(VALU_DEP_2) | instskip(NEXT) | instid1(VALU_DEP_1)
	v_ldexp_f32 v37, v37, v38
	v_dual_sub_f32 v35, v36, v35 :: v_dual_add_f32 v40, 1.0, v37
	v_add_f32_e32 v39, 1.0, v39
	s_delay_alu instid0(VALU_DEP_1) | instskip(NEXT) | instid1(VALU_DEP_3)
	v_add_f32_e32 v35, v35, v39
	v_add_f32_e32 v39, -1.0, v40
	s_delay_alu instid0(VALU_DEP_2) | instskip(NEXT) | instid1(VALU_DEP_2)
	v_ldexp_f32 v35, v35, v38
	v_dual_add_f32 v38, -1.0, v37 :: v_dual_sub_f32 v39, v37, v39
	s_delay_alu instid0(VALU_DEP_1) | instskip(NEXT) | instid1(VALU_DEP_2)
	v_add_f32_e32 v41, 1.0, v38
	v_add_f32_e32 v39, v35, v39
	s_delay_alu instid0(VALU_DEP_2) | instskip(NEXT) | instid1(VALU_DEP_2)
	v_sub_f32_e32 v37, v37, v41
	v_add_f32_e32 v41, v40, v39
	s_delay_alu instid0(VALU_DEP_2) | instskip(NEXT) | instid1(VALU_DEP_2)
	v_add_f32_e32 v35, v35, v37
	v_rcp_f32_e32 v37, v41
	v_sub_f32_e32 v40, v40, v41
	s_delay_alu instid0(VALU_DEP_1) | instskip(NEXT) | instid1(VALU_DEP_1)
	v_dual_add_f32 v42, v38, v35 :: v_dual_add_f32 v39, v39, v40
	v_sub_f32_e32 v38, v38, v42
	s_waitcnt_depctr 0xfff
	v_mul_f32_e32 v43, v42, v37
	s_delay_alu instid0(VALU_DEP_1) | instskip(NEXT) | instid1(VALU_DEP_1)
	v_dual_add_f32 v35, v35, v38 :: v_dual_mul_f32 v44, v41, v43
	v_fma_f32 v40, v43, v41, -v44
	s_delay_alu instid0(VALU_DEP_1) | instskip(NEXT) | instid1(VALU_DEP_1)
	v_fmac_f32_e32 v40, v43, v39
	v_add_f32_e32 v45, v44, v40
	s_delay_alu instid0(VALU_DEP_1) | instskip(SKIP_1) | instid1(VALU_DEP_2)
	v_sub_f32_e32 v46, v42, v45
	v_sub_f32_e32 v38, v45, v44
	;; [unrolled: 1-line block ×3, first 2 shown]
	s_delay_alu instid0(VALU_DEP_2) | instskip(NEXT) | instid1(VALU_DEP_2)
	v_sub_f32_e32 v38, v38, v40
	v_sub_f32_e32 v42, v42, v45
	s_delay_alu instid0(VALU_DEP_1) | instskip(NEXT) | instid1(VALU_DEP_1)
	v_add_f32_e32 v35, v35, v42
	v_add_f32_e32 v35, v38, v35
	s_delay_alu instid0(VALU_DEP_1) | instskip(NEXT) | instid1(VALU_DEP_1)
	v_add_f32_e32 v38, v46, v35
	v_mul_f32_e32 v40, v37, v38
	s_delay_alu instid0(VALU_DEP_1) | instskip(NEXT) | instid1(VALU_DEP_1)
	v_dual_sub_f32 v45, v46, v38 :: v_dual_mul_f32 v42, v41, v40
	v_add_f32_e32 v35, v35, v45
	s_delay_alu instid0(VALU_DEP_2) | instskip(NEXT) | instid1(VALU_DEP_1)
	v_fma_f32 v41, v40, v41, -v42
	v_fmac_f32_e32 v41, v40, v39
	s_delay_alu instid0(VALU_DEP_1) | instskip(NEXT) | instid1(VALU_DEP_1)
	v_add_f32_e32 v39, v42, v41
	v_sub_f32_e32 v44, v38, v39
	v_sub_f32_e32 v42, v39, v42
	s_delay_alu instid0(VALU_DEP_2) | instskip(NEXT) | instid1(VALU_DEP_1)
	v_sub_f32_e32 v38, v38, v44
	v_sub_f32_e32 v38, v38, v39
	s_delay_alu instid0(VALU_DEP_3) | instskip(NEXT) | instid1(VALU_DEP_2)
	v_sub_f32_e32 v39, v42, v41
	v_add_f32_e32 v35, v35, v38
	v_add_f32_e32 v38, v43, v40
	s_delay_alu instid0(VALU_DEP_2) | instskip(NEXT) | instid1(VALU_DEP_2)
	v_add_f32_e32 v35, v39, v35
	v_sub_f32_e32 v39, v38, v43
	s_delay_alu instid0(VALU_DEP_2) | instskip(NEXT) | instid1(VALU_DEP_2)
	v_add_f32_e32 v35, v44, v35
	v_sub_f32_e32 v39, v40, v39
	s_delay_alu instid0(VALU_DEP_2) | instskip(NEXT) | instid1(VALU_DEP_1)
	v_mul_f32_e32 v35, v37, v35
	v_add_f32_e32 v35, v39, v35
	s_delay_alu instid0(VALU_DEP_1) | instskip(NEXT) | instid1(VALU_DEP_1)
	v_add_f32_e32 v37, v38, v35
	v_mul_f32_e32 v39, v37, v37
	s_delay_alu instid0(VALU_DEP_1) | instskip(SKIP_2) | instid1(VALU_DEP_3)
	v_fmaak_f32 v40, s1, v39, 0x3ecc95a3
	v_mul_f32_e32 v41, v37, v39
	v_cmp_eq_f32_e64 s1, 0x7f800000, v36
	v_fmaak_f32 v39, v39, v40, 0x3f2aaada
	v_ldexp_f32 v40, v37, 1
	v_sub_f32_e32 v37, v37, v38
	s_delay_alu instid0(VALU_DEP_4) | instskip(NEXT) | instid1(VALU_DEP_3)
	s_or_b32 s1, s1, s51
	v_mul_f32_e32 v39, v41, v39
	v_mul_f32_e32 v41, 0x3f317218, v34
	s_delay_alu instid0(VALU_DEP_2) | instskip(NEXT) | instid1(VALU_DEP_1)
	v_dual_sub_f32 v35, v35, v37 :: v_dual_add_f32 v38, v40, v39
	v_ldexp_f32 v35, v35, 1
	s_delay_alu instid0(VALU_DEP_2) | instskip(NEXT) | instid1(VALU_DEP_4)
	v_sub_f32_e32 v37, v38, v40
	v_fma_f32 v40, 0x3f317218, v34, -v41
	s_delay_alu instid0(VALU_DEP_1) | instskip(NEXT) | instid1(VALU_DEP_1)
	v_dual_sub_f32 v37, v39, v37 :: v_dual_fmamk_f32 v34, v34, 0xb102e308, v40
	v_add_f32_e32 v35, v35, v37
	s_delay_alu instid0(VALU_DEP_2) | instskip(NEXT) | instid1(VALU_DEP_2)
	v_add_f32_e32 v37, v41, v34
	v_add_f32_e32 v39, v38, v35
	s_delay_alu instid0(VALU_DEP_2) | instskip(NEXT) | instid1(VALU_DEP_2)
	v_sub_f32_e32 v41, v37, v41
	v_add_f32_e32 v40, v37, v39
	v_sub_f32_e32 v38, v39, v38
	s_delay_alu instid0(VALU_DEP_3) | instskip(NEXT) | instid1(VALU_DEP_2)
	v_sub_f32_e32 v34, v34, v41
	v_dual_sub_f32 v42, v40, v37 :: v_dual_sub_f32 v35, v35, v38
	s_delay_alu instid0(VALU_DEP_1) | instskip(NEXT) | instid1(VALU_DEP_2)
	v_sub_f32_e32 v43, v40, v42
	v_dual_sub_f32 v38, v39, v42 :: v_dual_add_f32 v39, v34, v35
	s_delay_alu instid0(VALU_DEP_2) | instskip(NEXT) | instid1(VALU_DEP_1)
	v_sub_f32_e32 v37, v37, v43
	v_dual_add_f32 v37, v38, v37 :: v_dual_sub_f32 v38, v39, v34
	s_delay_alu instid0(VALU_DEP_1) | instskip(NEXT) | instid1(VALU_DEP_2)
	v_add_f32_e32 v37, v39, v37
	v_sub_f32_e32 v39, v39, v38
	v_sub_f32_e32 v35, v35, v38
	s_delay_alu instid0(VALU_DEP_2) | instskip(NEXT) | instid1(VALU_DEP_1)
	v_dual_add_f32 v41, v40, v37 :: v_dual_sub_f32 v34, v34, v39
	v_sub_f32_e32 v38, v41, v40
	s_delay_alu instid0(VALU_DEP_2) | instskip(NEXT) | instid1(VALU_DEP_2)
	v_add_f32_e32 v34, v35, v34
	v_sub_f32_e32 v35, v37, v38
	s_delay_alu instid0(VALU_DEP_1) | instskip(NEXT) | instid1(VALU_DEP_1)
	v_add_f32_e32 v34, v34, v35
	v_add_f32_e32 v34, v41, v34
	s_delay_alu instid0(VALU_DEP_1) | instskip(NEXT) | instid1(VALU_DEP_1)
	v_cndmask_b32_e64 v34, v34, v36, s1
	v_add_f32_e32 v33, v33, v34
	s_delay_alu instid0(VALU_DEP_1)
	v_cvt_f16_f32_e32 v35, v33
.LBB400_94:
	s_or_b32 exec_lo, exec_lo, s50
	s_delay_alu instid0(VALU_DEP_1)
	v_dual_mov_b32 v33, v35 :: v_dual_and_b32 v34, 0xffff, v35
.LBB400_95:
	s_or_b32 exec_lo, exec_lo, s49
	s_delay_alu instid0(VALU_DEP_1)
	v_mov_b32_dpp v35, v34 row_shr:2 row_mask:0xf bank_mask:0xf
	s_mov_b32 s49, exec_lo
	v_cmpx_lt_u32_e32 1, v32
	s_cbranch_execz .LBB400_99
; %bb.96:
	s_delay_alu instid0(VALU_DEP_2) | instskip(SKIP_2) | instid1(VALU_DEP_2)
	v_cvt_f32_f16_e32 v34, v35
	v_cvt_f32_f16_e32 v36, v33
	v_cmp_u_f16_e64 s1, v35, v35
	v_min_f32_e32 v37, v34, v36
	v_max_f32_e32 v38, v34, v36
	s_delay_alu instid0(VALU_DEP_2) | instskip(NEXT) | instid1(VALU_DEP_2)
	v_cndmask_b32_e64 v37, v37, v34, s1
	v_cndmask_b32_e64 v38, v38, v34, s1
	v_cmp_u_f16_e64 s1, v33, v33
	s_delay_alu instid0(VALU_DEP_1) | instskip(NEXT) | instid1(VALU_DEP_3)
	v_cndmask_b32_e64 v34, v37, v36, s1
	v_cndmask_b32_e64 v33, v38, v36, s1
	s_delay_alu instid0(VALU_DEP_2) | instskip(NEXT) | instid1(VALU_DEP_2)
	v_cmp_class_f32_e64 s50, v34, 0x1f8
	v_cmp_neq_f32_e64 s1, v34, v33
	s_delay_alu instid0(VALU_DEP_1) | instskip(NEXT) | instid1(SALU_CYCLE_1)
	s_or_b32 s1, s1, s50
	s_and_saveexec_b32 s50, s1
	s_cbranch_execz .LBB400_98
; %bb.97:
	v_sub_f32_e32 v34, v34, v33
	s_delay_alu instid0(VALU_DEP_1) | instskip(NEXT) | instid1(VALU_DEP_1)
	v_mul_f32_e32 v35, 0x3fb8aa3b, v34
	v_fma_f32 v36, 0x3fb8aa3b, v34, -v35
	v_rndne_f32_e32 v37, v35
	s_delay_alu instid0(VALU_DEP_1) | instskip(NEXT) | instid1(VALU_DEP_1)
	v_dual_fmamk_f32 v36, v34, 0x32a5705f, v36 :: v_dual_sub_f32 v35, v35, v37
	v_add_f32_e32 v35, v35, v36
	v_cvt_i32_f32_e32 v36, v37
	v_cmp_ngt_f32_e64 s1, 0xc2ce8ed0, v34
	s_delay_alu instid0(VALU_DEP_3) | instskip(SKIP_2) | instid1(VALU_DEP_1)
	v_exp_f32_e32 v35, v35
	s_waitcnt_depctr 0xfff
	v_ldexp_f32 v35, v35, v36
	v_cndmask_b32_e64 v35, 0, v35, s1
	v_cmp_nlt_f32_e64 s1, 0x42b17218, v34
	s_delay_alu instid0(VALU_DEP_1) | instskip(NEXT) | instid1(VALU_DEP_1)
	v_cndmask_b32_e64 v36, 0x7f800000, v35, s1
	v_add_f32_e32 v37, 1.0, v36
	v_cmp_gt_f32_e64 s51, 0x33800000, |v36|
	s_delay_alu instid0(VALU_DEP_2) | instskip(NEXT) | instid1(VALU_DEP_1)
	v_cvt_f64_f32_e32 v[34:35], v37
	v_frexp_exp_i32_f64_e32 v34, v[34:35]
	v_frexp_mant_f32_e32 v35, v37
	s_delay_alu instid0(VALU_DEP_1) | instskip(SKIP_1) | instid1(VALU_DEP_1)
	v_cmp_gt_f32_e64 s1, 0x3f2aaaab, v35
	v_add_f32_e32 v35, -1.0, v37
	v_sub_f32_e32 v39, v35, v37
	s_delay_alu instid0(VALU_DEP_3) | instskip(SKIP_1) | instid1(VALU_DEP_1)
	v_subrev_co_ci_u32_e64 v34, s1, 0, v34, s1
	s_mov_b32 s1, 0x3e9b6dac
	v_sub_nc_u32_e32 v38, 0, v34
	v_cvt_f32_i32_e32 v34, v34
	s_delay_alu instid0(VALU_DEP_2) | instskip(NEXT) | instid1(VALU_DEP_1)
	v_ldexp_f32 v37, v37, v38
	v_dual_sub_f32 v35, v36, v35 :: v_dual_add_f32 v40, 1.0, v37
	v_add_f32_e32 v39, 1.0, v39
	s_delay_alu instid0(VALU_DEP_1) | instskip(NEXT) | instid1(VALU_DEP_3)
	v_add_f32_e32 v35, v35, v39
	v_add_f32_e32 v39, -1.0, v40
	s_delay_alu instid0(VALU_DEP_2) | instskip(NEXT) | instid1(VALU_DEP_2)
	v_ldexp_f32 v35, v35, v38
	v_dual_add_f32 v38, -1.0, v37 :: v_dual_sub_f32 v39, v37, v39
	s_delay_alu instid0(VALU_DEP_1) | instskip(NEXT) | instid1(VALU_DEP_2)
	v_add_f32_e32 v41, 1.0, v38
	v_add_f32_e32 v39, v35, v39
	s_delay_alu instid0(VALU_DEP_2) | instskip(NEXT) | instid1(VALU_DEP_2)
	v_sub_f32_e32 v37, v37, v41
	v_add_f32_e32 v41, v40, v39
	s_delay_alu instid0(VALU_DEP_2) | instskip(NEXT) | instid1(VALU_DEP_2)
	v_add_f32_e32 v35, v35, v37
	v_rcp_f32_e32 v37, v41
	v_sub_f32_e32 v40, v40, v41
	s_delay_alu instid0(VALU_DEP_1) | instskip(NEXT) | instid1(VALU_DEP_1)
	v_dual_add_f32 v42, v38, v35 :: v_dual_add_f32 v39, v39, v40
	v_sub_f32_e32 v38, v38, v42
	s_waitcnt_depctr 0xfff
	v_mul_f32_e32 v43, v42, v37
	s_delay_alu instid0(VALU_DEP_1) | instskip(NEXT) | instid1(VALU_DEP_1)
	v_dual_add_f32 v35, v35, v38 :: v_dual_mul_f32 v44, v41, v43
	v_fma_f32 v40, v43, v41, -v44
	s_delay_alu instid0(VALU_DEP_1) | instskip(NEXT) | instid1(VALU_DEP_1)
	v_fmac_f32_e32 v40, v43, v39
	v_add_f32_e32 v45, v44, v40
	s_delay_alu instid0(VALU_DEP_1) | instskip(SKIP_1) | instid1(VALU_DEP_2)
	v_sub_f32_e32 v46, v42, v45
	v_sub_f32_e32 v38, v45, v44
	;; [unrolled: 1-line block ×3, first 2 shown]
	s_delay_alu instid0(VALU_DEP_2) | instskip(NEXT) | instid1(VALU_DEP_2)
	v_sub_f32_e32 v38, v38, v40
	v_sub_f32_e32 v42, v42, v45
	s_delay_alu instid0(VALU_DEP_1) | instskip(NEXT) | instid1(VALU_DEP_1)
	v_add_f32_e32 v35, v35, v42
	v_add_f32_e32 v35, v38, v35
	s_delay_alu instid0(VALU_DEP_1) | instskip(NEXT) | instid1(VALU_DEP_1)
	v_add_f32_e32 v38, v46, v35
	v_mul_f32_e32 v40, v37, v38
	s_delay_alu instid0(VALU_DEP_1) | instskip(NEXT) | instid1(VALU_DEP_1)
	v_dual_sub_f32 v45, v46, v38 :: v_dual_mul_f32 v42, v41, v40
	v_add_f32_e32 v35, v35, v45
	s_delay_alu instid0(VALU_DEP_2) | instskip(NEXT) | instid1(VALU_DEP_1)
	v_fma_f32 v41, v40, v41, -v42
	v_fmac_f32_e32 v41, v40, v39
	s_delay_alu instid0(VALU_DEP_1) | instskip(NEXT) | instid1(VALU_DEP_1)
	v_add_f32_e32 v39, v42, v41
	v_sub_f32_e32 v44, v38, v39
	v_sub_f32_e32 v42, v39, v42
	s_delay_alu instid0(VALU_DEP_2) | instskip(NEXT) | instid1(VALU_DEP_1)
	v_sub_f32_e32 v38, v38, v44
	v_sub_f32_e32 v38, v38, v39
	s_delay_alu instid0(VALU_DEP_3) | instskip(NEXT) | instid1(VALU_DEP_2)
	v_sub_f32_e32 v39, v42, v41
	v_add_f32_e32 v35, v35, v38
	v_add_f32_e32 v38, v43, v40
	s_delay_alu instid0(VALU_DEP_2) | instskip(NEXT) | instid1(VALU_DEP_2)
	v_add_f32_e32 v35, v39, v35
	v_sub_f32_e32 v39, v38, v43
	s_delay_alu instid0(VALU_DEP_2) | instskip(NEXT) | instid1(VALU_DEP_2)
	v_add_f32_e32 v35, v44, v35
	v_sub_f32_e32 v39, v40, v39
	s_delay_alu instid0(VALU_DEP_2) | instskip(NEXT) | instid1(VALU_DEP_1)
	v_mul_f32_e32 v35, v37, v35
	v_add_f32_e32 v35, v39, v35
	s_delay_alu instid0(VALU_DEP_1) | instskip(NEXT) | instid1(VALU_DEP_1)
	v_add_f32_e32 v37, v38, v35
	v_mul_f32_e32 v39, v37, v37
	s_delay_alu instid0(VALU_DEP_1) | instskip(SKIP_2) | instid1(VALU_DEP_3)
	v_fmaak_f32 v40, s1, v39, 0x3ecc95a3
	v_mul_f32_e32 v41, v37, v39
	v_cmp_eq_f32_e64 s1, 0x7f800000, v36
	v_fmaak_f32 v39, v39, v40, 0x3f2aaada
	v_ldexp_f32 v40, v37, 1
	v_sub_f32_e32 v37, v37, v38
	s_delay_alu instid0(VALU_DEP_4) | instskip(NEXT) | instid1(VALU_DEP_3)
	s_or_b32 s1, s1, s51
	v_mul_f32_e32 v39, v41, v39
	v_mul_f32_e32 v41, 0x3f317218, v34
	s_delay_alu instid0(VALU_DEP_2) | instskip(NEXT) | instid1(VALU_DEP_1)
	v_dual_sub_f32 v35, v35, v37 :: v_dual_add_f32 v38, v40, v39
	v_ldexp_f32 v35, v35, 1
	s_delay_alu instid0(VALU_DEP_2) | instskip(NEXT) | instid1(VALU_DEP_4)
	v_sub_f32_e32 v37, v38, v40
	v_fma_f32 v40, 0x3f317218, v34, -v41
	s_delay_alu instid0(VALU_DEP_1) | instskip(NEXT) | instid1(VALU_DEP_1)
	v_dual_sub_f32 v37, v39, v37 :: v_dual_fmamk_f32 v34, v34, 0xb102e308, v40
	v_add_f32_e32 v35, v35, v37
	s_delay_alu instid0(VALU_DEP_2) | instskip(NEXT) | instid1(VALU_DEP_2)
	v_add_f32_e32 v37, v41, v34
	v_add_f32_e32 v39, v38, v35
	s_delay_alu instid0(VALU_DEP_2) | instskip(NEXT) | instid1(VALU_DEP_2)
	v_sub_f32_e32 v41, v37, v41
	v_add_f32_e32 v40, v37, v39
	v_sub_f32_e32 v38, v39, v38
	s_delay_alu instid0(VALU_DEP_3) | instskip(NEXT) | instid1(VALU_DEP_2)
	v_sub_f32_e32 v34, v34, v41
	v_dual_sub_f32 v42, v40, v37 :: v_dual_sub_f32 v35, v35, v38
	s_delay_alu instid0(VALU_DEP_1) | instskip(NEXT) | instid1(VALU_DEP_2)
	v_sub_f32_e32 v43, v40, v42
	v_dual_sub_f32 v38, v39, v42 :: v_dual_add_f32 v39, v34, v35
	s_delay_alu instid0(VALU_DEP_2) | instskip(NEXT) | instid1(VALU_DEP_1)
	v_sub_f32_e32 v37, v37, v43
	v_dual_add_f32 v37, v38, v37 :: v_dual_sub_f32 v38, v39, v34
	s_delay_alu instid0(VALU_DEP_1) | instskip(NEXT) | instid1(VALU_DEP_2)
	v_add_f32_e32 v37, v39, v37
	v_sub_f32_e32 v39, v39, v38
	v_sub_f32_e32 v35, v35, v38
	s_delay_alu instid0(VALU_DEP_2) | instskip(NEXT) | instid1(VALU_DEP_1)
	v_dual_add_f32 v41, v40, v37 :: v_dual_sub_f32 v34, v34, v39
	v_sub_f32_e32 v38, v41, v40
	s_delay_alu instid0(VALU_DEP_2) | instskip(NEXT) | instid1(VALU_DEP_2)
	v_add_f32_e32 v34, v35, v34
	v_sub_f32_e32 v35, v37, v38
	s_delay_alu instid0(VALU_DEP_1) | instskip(NEXT) | instid1(VALU_DEP_1)
	v_add_f32_e32 v34, v34, v35
	v_add_f32_e32 v34, v41, v34
	s_delay_alu instid0(VALU_DEP_1) | instskip(NEXT) | instid1(VALU_DEP_1)
	v_cndmask_b32_e64 v34, v34, v36, s1
	v_add_f32_e32 v33, v33, v34
	s_delay_alu instid0(VALU_DEP_1)
	v_cvt_f16_f32_e32 v35, v33
.LBB400_98:
	s_or_b32 exec_lo, exec_lo, s50
	s_delay_alu instid0(VALU_DEP_1)
	v_dual_mov_b32 v33, v35 :: v_dual_and_b32 v34, 0xffff, v35
.LBB400_99:
	s_or_b32 exec_lo, exec_lo, s49
	s_delay_alu instid0(VALU_DEP_1)
	v_mov_b32_dpp v35, v34 row_shr:4 row_mask:0xf bank_mask:0xf
	s_mov_b32 s49, exec_lo
	v_cmpx_lt_u32_e32 3, v32
	s_cbranch_execz .LBB400_103
; %bb.100:
	s_delay_alu instid0(VALU_DEP_2) | instskip(SKIP_2) | instid1(VALU_DEP_2)
	v_cvt_f32_f16_e32 v34, v35
	v_cvt_f32_f16_e32 v36, v33
	v_cmp_u_f16_e64 s1, v35, v35
	v_min_f32_e32 v37, v34, v36
	v_max_f32_e32 v38, v34, v36
	s_delay_alu instid0(VALU_DEP_2) | instskip(NEXT) | instid1(VALU_DEP_2)
	v_cndmask_b32_e64 v37, v37, v34, s1
	v_cndmask_b32_e64 v38, v38, v34, s1
	v_cmp_u_f16_e64 s1, v33, v33
	s_delay_alu instid0(VALU_DEP_1) | instskip(NEXT) | instid1(VALU_DEP_3)
	v_cndmask_b32_e64 v34, v37, v36, s1
	v_cndmask_b32_e64 v33, v38, v36, s1
	s_delay_alu instid0(VALU_DEP_2) | instskip(NEXT) | instid1(VALU_DEP_2)
	v_cmp_class_f32_e64 s50, v34, 0x1f8
	v_cmp_neq_f32_e64 s1, v34, v33
	s_delay_alu instid0(VALU_DEP_1) | instskip(NEXT) | instid1(SALU_CYCLE_1)
	s_or_b32 s1, s1, s50
	s_and_saveexec_b32 s50, s1
	s_cbranch_execz .LBB400_102
; %bb.101:
	v_sub_f32_e32 v34, v34, v33
	s_delay_alu instid0(VALU_DEP_1) | instskip(NEXT) | instid1(VALU_DEP_1)
	v_mul_f32_e32 v35, 0x3fb8aa3b, v34
	v_fma_f32 v36, 0x3fb8aa3b, v34, -v35
	v_rndne_f32_e32 v37, v35
	s_delay_alu instid0(VALU_DEP_1) | instskip(NEXT) | instid1(VALU_DEP_1)
	v_dual_fmamk_f32 v36, v34, 0x32a5705f, v36 :: v_dual_sub_f32 v35, v35, v37
	v_add_f32_e32 v35, v35, v36
	v_cvt_i32_f32_e32 v36, v37
	v_cmp_ngt_f32_e64 s1, 0xc2ce8ed0, v34
	s_delay_alu instid0(VALU_DEP_3) | instskip(SKIP_2) | instid1(VALU_DEP_1)
	v_exp_f32_e32 v35, v35
	s_waitcnt_depctr 0xfff
	v_ldexp_f32 v35, v35, v36
	v_cndmask_b32_e64 v35, 0, v35, s1
	v_cmp_nlt_f32_e64 s1, 0x42b17218, v34
	s_delay_alu instid0(VALU_DEP_1) | instskip(NEXT) | instid1(VALU_DEP_1)
	v_cndmask_b32_e64 v36, 0x7f800000, v35, s1
	v_add_f32_e32 v37, 1.0, v36
	v_cmp_gt_f32_e64 s51, 0x33800000, |v36|
	s_delay_alu instid0(VALU_DEP_2) | instskip(NEXT) | instid1(VALU_DEP_1)
	v_cvt_f64_f32_e32 v[34:35], v37
	v_frexp_exp_i32_f64_e32 v34, v[34:35]
	v_frexp_mant_f32_e32 v35, v37
	s_delay_alu instid0(VALU_DEP_1) | instskip(SKIP_1) | instid1(VALU_DEP_1)
	v_cmp_gt_f32_e64 s1, 0x3f2aaaab, v35
	v_add_f32_e32 v35, -1.0, v37
	v_sub_f32_e32 v39, v35, v37
	s_delay_alu instid0(VALU_DEP_3) | instskip(SKIP_1) | instid1(VALU_DEP_1)
	v_subrev_co_ci_u32_e64 v34, s1, 0, v34, s1
	s_mov_b32 s1, 0x3e9b6dac
	v_sub_nc_u32_e32 v38, 0, v34
	v_cvt_f32_i32_e32 v34, v34
	s_delay_alu instid0(VALU_DEP_2) | instskip(NEXT) | instid1(VALU_DEP_1)
	v_ldexp_f32 v37, v37, v38
	v_dual_sub_f32 v35, v36, v35 :: v_dual_add_f32 v40, 1.0, v37
	v_add_f32_e32 v39, 1.0, v39
	s_delay_alu instid0(VALU_DEP_1) | instskip(NEXT) | instid1(VALU_DEP_3)
	v_add_f32_e32 v35, v35, v39
	v_add_f32_e32 v39, -1.0, v40
	s_delay_alu instid0(VALU_DEP_2) | instskip(NEXT) | instid1(VALU_DEP_2)
	v_ldexp_f32 v35, v35, v38
	v_dual_add_f32 v38, -1.0, v37 :: v_dual_sub_f32 v39, v37, v39
	s_delay_alu instid0(VALU_DEP_1) | instskip(NEXT) | instid1(VALU_DEP_2)
	v_add_f32_e32 v41, 1.0, v38
	v_add_f32_e32 v39, v35, v39
	s_delay_alu instid0(VALU_DEP_2) | instskip(NEXT) | instid1(VALU_DEP_2)
	v_sub_f32_e32 v37, v37, v41
	v_add_f32_e32 v41, v40, v39
	s_delay_alu instid0(VALU_DEP_2) | instskip(NEXT) | instid1(VALU_DEP_2)
	v_add_f32_e32 v35, v35, v37
	v_rcp_f32_e32 v37, v41
	v_sub_f32_e32 v40, v40, v41
	s_delay_alu instid0(VALU_DEP_1) | instskip(NEXT) | instid1(VALU_DEP_1)
	v_dual_add_f32 v42, v38, v35 :: v_dual_add_f32 v39, v39, v40
	v_sub_f32_e32 v38, v38, v42
	s_waitcnt_depctr 0xfff
	v_mul_f32_e32 v43, v42, v37
	s_delay_alu instid0(VALU_DEP_1) | instskip(NEXT) | instid1(VALU_DEP_1)
	v_dual_add_f32 v35, v35, v38 :: v_dual_mul_f32 v44, v41, v43
	v_fma_f32 v40, v43, v41, -v44
	s_delay_alu instid0(VALU_DEP_1) | instskip(NEXT) | instid1(VALU_DEP_1)
	v_fmac_f32_e32 v40, v43, v39
	v_add_f32_e32 v45, v44, v40
	s_delay_alu instid0(VALU_DEP_1) | instskip(SKIP_1) | instid1(VALU_DEP_2)
	v_sub_f32_e32 v46, v42, v45
	v_sub_f32_e32 v38, v45, v44
	;; [unrolled: 1-line block ×3, first 2 shown]
	s_delay_alu instid0(VALU_DEP_2) | instskip(NEXT) | instid1(VALU_DEP_2)
	v_sub_f32_e32 v38, v38, v40
	v_sub_f32_e32 v42, v42, v45
	s_delay_alu instid0(VALU_DEP_1) | instskip(NEXT) | instid1(VALU_DEP_1)
	v_add_f32_e32 v35, v35, v42
	v_add_f32_e32 v35, v38, v35
	s_delay_alu instid0(VALU_DEP_1) | instskip(NEXT) | instid1(VALU_DEP_1)
	v_add_f32_e32 v38, v46, v35
	v_mul_f32_e32 v40, v37, v38
	s_delay_alu instid0(VALU_DEP_1) | instskip(NEXT) | instid1(VALU_DEP_1)
	v_dual_sub_f32 v45, v46, v38 :: v_dual_mul_f32 v42, v41, v40
	v_add_f32_e32 v35, v35, v45
	s_delay_alu instid0(VALU_DEP_2) | instskip(NEXT) | instid1(VALU_DEP_1)
	v_fma_f32 v41, v40, v41, -v42
	v_fmac_f32_e32 v41, v40, v39
	s_delay_alu instid0(VALU_DEP_1) | instskip(NEXT) | instid1(VALU_DEP_1)
	v_add_f32_e32 v39, v42, v41
	v_sub_f32_e32 v44, v38, v39
	v_sub_f32_e32 v42, v39, v42
	s_delay_alu instid0(VALU_DEP_2) | instskip(NEXT) | instid1(VALU_DEP_1)
	v_sub_f32_e32 v38, v38, v44
	v_sub_f32_e32 v38, v38, v39
	s_delay_alu instid0(VALU_DEP_3) | instskip(NEXT) | instid1(VALU_DEP_2)
	v_sub_f32_e32 v39, v42, v41
	v_add_f32_e32 v35, v35, v38
	v_add_f32_e32 v38, v43, v40
	s_delay_alu instid0(VALU_DEP_2) | instskip(NEXT) | instid1(VALU_DEP_2)
	v_add_f32_e32 v35, v39, v35
	v_sub_f32_e32 v39, v38, v43
	s_delay_alu instid0(VALU_DEP_2) | instskip(NEXT) | instid1(VALU_DEP_2)
	v_add_f32_e32 v35, v44, v35
	v_sub_f32_e32 v39, v40, v39
	s_delay_alu instid0(VALU_DEP_2) | instskip(NEXT) | instid1(VALU_DEP_1)
	v_mul_f32_e32 v35, v37, v35
	v_add_f32_e32 v35, v39, v35
	s_delay_alu instid0(VALU_DEP_1) | instskip(NEXT) | instid1(VALU_DEP_1)
	v_add_f32_e32 v37, v38, v35
	v_mul_f32_e32 v39, v37, v37
	s_delay_alu instid0(VALU_DEP_1) | instskip(SKIP_2) | instid1(VALU_DEP_3)
	v_fmaak_f32 v40, s1, v39, 0x3ecc95a3
	v_mul_f32_e32 v41, v37, v39
	v_cmp_eq_f32_e64 s1, 0x7f800000, v36
	v_fmaak_f32 v39, v39, v40, 0x3f2aaada
	v_ldexp_f32 v40, v37, 1
	v_sub_f32_e32 v37, v37, v38
	s_delay_alu instid0(VALU_DEP_4) | instskip(NEXT) | instid1(VALU_DEP_3)
	s_or_b32 s1, s1, s51
	v_mul_f32_e32 v39, v41, v39
	v_mul_f32_e32 v41, 0x3f317218, v34
	s_delay_alu instid0(VALU_DEP_2) | instskip(NEXT) | instid1(VALU_DEP_1)
	v_dual_sub_f32 v35, v35, v37 :: v_dual_add_f32 v38, v40, v39
	v_ldexp_f32 v35, v35, 1
	s_delay_alu instid0(VALU_DEP_2) | instskip(NEXT) | instid1(VALU_DEP_4)
	v_sub_f32_e32 v37, v38, v40
	v_fma_f32 v40, 0x3f317218, v34, -v41
	s_delay_alu instid0(VALU_DEP_1) | instskip(NEXT) | instid1(VALU_DEP_1)
	v_dual_sub_f32 v37, v39, v37 :: v_dual_fmamk_f32 v34, v34, 0xb102e308, v40
	v_add_f32_e32 v35, v35, v37
	s_delay_alu instid0(VALU_DEP_2) | instskip(NEXT) | instid1(VALU_DEP_2)
	v_add_f32_e32 v37, v41, v34
	v_add_f32_e32 v39, v38, v35
	s_delay_alu instid0(VALU_DEP_2) | instskip(NEXT) | instid1(VALU_DEP_2)
	v_sub_f32_e32 v41, v37, v41
	v_add_f32_e32 v40, v37, v39
	v_sub_f32_e32 v38, v39, v38
	s_delay_alu instid0(VALU_DEP_3) | instskip(NEXT) | instid1(VALU_DEP_2)
	v_sub_f32_e32 v34, v34, v41
	v_dual_sub_f32 v42, v40, v37 :: v_dual_sub_f32 v35, v35, v38
	s_delay_alu instid0(VALU_DEP_1) | instskip(NEXT) | instid1(VALU_DEP_2)
	v_sub_f32_e32 v43, v40, v42
	v_dual_sub_f32 v38, v39, v42 :: v_dual_add_f32 v39, v34, v35
	s_delay_alu instid0(VALU_DEP_2) | instskip(NEXT) | instid1(VALU_DEP_1)
	v_sub_f32_e32 v37, v37, v43
	v_dual_add_f32 v37, v38, v37 :: v_dual_sub_f32 v38, v39, v34
	s_delay_alu instid0(VALU_DEP_1) | instskip(NEXT) | instid1(VALU_DEP_2)
	v_add_f32_e32 v37, v39, v37
	v_sub_f32_e32 v39, v39, v38
	v_sub_f32_e32 v35, v35, v38
	s_delay_alu instid0(VALU_DEP_2) | instskip(NEXT) | instid1(VALU_DEP_1)
	v_dual_add_f32 v41, v40, v37 :: v_dual_sub_f32 v34, v34, v39
	v_sub_f32_e32 v38, v41, v40
	s_delay_alu instid0(VALU_DEP_2) | instskip(NEXT) | instid1(VALU_DEP_2)
	v_add_f32_e32 v34, v35, v34
	v_sub_f32_e32 v35, v37, v38
	s_delay_alu instid0(VALU_DEP_1) | instskip(NEXT) | instid1(VALU_DEP_1)
	v_add_f32_e32 v34, v34, v35
	v_add_f32_e32 v34, v41, v34
	s_delay_alu instid0(VALU_DEP_1) | instskip(NEXT) | instid1(VALU_DEP_1)
	v_cndmask_b32_e64 v34, v34, v36, s1
	v_add_f32_e32 v33, v33, v34
	s_delay_alu instid0(VALU_DEP_1)
	v_cvt_f16_f32_e32 v35, v33
.LBB400_102:
	s_or_b32 exec_lo, exec_lo, s50
	s_delay_alu instid0(VALU_DEP_1)
	v_dual_mov_b32 v33, v35 :: v_dual_and_b32 v34, 0xffff, v35
.LBB400_103:
	s_or_b32 exec_lo, exec_lo, s49
	s_delay_alu instid0(VALU_DEP_1)
	v_mov_b32_dpp v35, v34 row_shr:8 row_mask:0xf bank_mask:0xf
	s_mov_b32 s49, exec_lo
	v_cmpx_lt_u32_e32 7, v32
	s_cbranch_execz .LBB400_107
; %bb.104:
	s_delay_alu instid0(VALU_DEP_2) | instskip(SKIP_2) | instid1(VALU_DEP_2)
	v_cvt_f32_f16_e32 v32, v35
	v_cvt_f32_f16_e32 v34, v33
	v_cmp_u_f16_e64 s1, v35, v35
	v_min_f32_e32 v36, v32, v34
	v_max_f32_e32 v37, v32, v34
	s_delay_alu instid0(VALU_DEP_2) | instskip(NEXT) | instid1(VALU_DEP_2)
	v_cndmask_b32_e64 v36, v36, v32, s1
	v_cndmask_b32_e64 v32, v37, v32, s1
	v_cmp_u_f16_e64 s1, v33, v33
	s_delay_alu instid0(VALU_DEP_1) | instskip(NEXT) | instid1(VALU_DEP_3)
	v_cndmask_b32_e64 v33, v36, v34, s1
	v_cndmask_b32_e64 v32, v32, v34, s1
	s_delay_alu instid0(VALU_DEP_2) | instskip(NEXT) | instid1(VALU_DEP_2)
	v_cmp_class_f32_e64 s50, v33, 0x1f8
	v_cmp_neq_f32_e64 s1, v33, v32
	s_delay_alu instid0(VALU_DEP_1) | instskip(NEXT) | instid1(SALU_CYCLE_1)
	s_or_b32 s1, s1, s50
	s_and_saveexec_b32 s50, s1
	s_cbranch_execz .LBB400_106
; %bb.105:
	v_sub_f32_e32 v33, v33, v32
	s_delay_alu instid0(VALU_DEP_1) | instskip(NEXT) | instid1(VALU_DEP_1)
	v_mul_f32_e32 v34, 0x3fb8aa3b, v33
	v_fma_f32 v35, 0x3fb8aa3b, v33, -v34
	v_rndne_f32_e32 v36, v34
	s_delay_alu instid0(VALU_DEP_1) | instskip(NEXT) | instid1(VALU_DEP_1)
	v_dual_fmamk_f32 v35, v33, 0x32a5705f, v35 :: v_dual_sub_f32 v34, v34, v36
	v_add_f32_e32 v34, v34, v35
	v_cvt_i32_f32_e32 v35, v36
	v_cmp_ngt_f32_e64 s1, 0xc2ce8ed0, v33
	s_delay_alu instid0(VALU_DEP_3) | instskip(SKIP_2) | instid1(VALU_DEP_1)
	v_exp_f32_e32 v34, v34
	s_waitcnt_depctr 0xfff
	v_ldexp_f32 v34, v34, v35
	v_cndmask_b32_e64 v34, 0, v34, s1
	v_cmp_nlt_f32_e64 s1, 0x42b17218, v33
	s_delay_alu instid0(VALU_DEP_1) | instskip(NEXT) | instid1(VALU_DEP_1)
	v_cndmask_b32_e64 v35, 0x7f800000, v34, s1
	v_add_f32_e32 v36, 1.0, v35
	v_cmp_gt_f32_e64 s51, 0x33800000, |v35|
	s_delay_alu instid0(VALU_DEP_2) | instskip(NEXT) | instid1(VALU_DEP_1)
	v_cvt_f64_f32_e32 v[33:34], v36
	v_frexp_exp_i32_f64_e32 v33, v[33:34]
	v_frexp_mant_f32_e32 v34, v36
	s_delay_alu instid0(VALU_DEP_1) | instskip(SKIP_1) | instid1(VALU_DEP_1)
	v_cmp_gt_f32_e64 s1, 0x3f2aaaab, v34
	v_add_f32_e32 v34, -1.0, v36
	v_sub_f32_e32 v38, v34, v36
	s_delay_alu instid0(VALU_DEP_3) | instskip(SKIP_1) | instid1(VALU_DEP_1)
	v_subrev_co_ci_u32_e64 v33, s1, 0, v33, s1
	s_mov_b32 s1, 0x3e9b6dac
	v_sub_nc_u32_e32 v37, 0, v33
	v_cvt_f32_i32_e32 v33, v33
	s_delay_alu instid0(VALU_DEP_2) | instskip(NEXT) | instid1(VALU_DEP_1)
	v_ldexp_f32 v36, v36, v37
	v_dual_sub_f32 v34, v35, v34 :: v_dual_add_f32 v39, 1.0, v36
	v_add_f32_e32 v38, 1.0, v38
	s_delay_alu instid0(VALU_DEP_1) | instskip(NEXT) | instid1(VALU_DEP_3)
	v_add_f32_e32 v34, v34, v38
	v_add_f32_e32 v38, -1.0, v39
	s_delay_alu instid0(VALU_DEP_2) | instskip(NEXT) | instid1(VALU_DEP_2)
	v_ldexp_f32 v34, v34, v37
	v_dual_add_f32 v37, -1.0, v36 :: v_dual_sub_f32 v38, v36, v38
	s_delay_alu instid0(VALU_DEP_1) | instskip(NEXT) | instid1(VALU_DEP_2)
	v_add_f32_e32 v40, 1.0, v37
	v_add_f32_e32 v38, v34, v38
	s_delay_alu instid0(VALU_DEP_2) | instskip(NEXT) | instid1(VALU_DEP_2)
	v_sub_f32_e32 v36, v36, v40
	v_add_f32_e32 v40, v39, v38
	s_delay_alu instid0(VALU_DEP_2) | instskip(NEXT) | instid1(VALU_DEP_2)
	v_add_f32_e32 v34, v34, v36
	v_rcp_f32_e32 v36, v40
	v_sub_f32_e32 v39, v39, v40
	s_delay_alu instid0(VALU_DEP_1) | instskip(NEXT) | instid1(VALU_DEP_1)
	v_dual_add_f32 v41, v37, v34 :: v_dual_add_f32 v38, v38, v39
	v_sub_f32_e32 v37, v37, v41
	s_waitcnt_depctr 0xfff
	v_mul_f32_e32 v42, v41, v36
	s_delay_alu instid0(VALU_DEP_1) | instskip(NEXT) | instid1(VALU_DEP_1)
	v_dual_add_f32 v34, v34, v37 :: v_dual_mul_f32 v43, v40, v42
	v_fma_f32 v39, v42, v40, -v43
	s_delay_alu instid0(VALU_DEP_1) | instskip(NEXT) | instid1(VALU_DEP_1)
	v_fmac_f32_e32 v39, v42, v38
	v_add_f32_e32 v44, v43, v39
	s_delay_alu instid0(VALU_DEP_1) | instskip(SKIP_1) | instid1(VALU_DEP_2)
	v_sub_f32_e32 v45, v41, v44
	v_sub_f32_e32 v37, v44, v43
	;; [unrolled: 1-line block ×3, first 2 shown]
	s_delay_alu instid0(VALU_DEP_2) | instskip(NEXT) | instid1(VALU_DEP_2)
	v_sub_f32_e32 v37, v37, v39
	v_sub_f32_e32 v41, v41, v44
	s_delay_alu instid0(VALU_DEP_1) | instskip(NEXT) | instid1(VALU_DEP_1)
	v_add_f32_e32 v34, v34, v41
	v_add_f32_e32 v34, v37, v34
	s_delay_alu instid0(VALU_DEP_1) | instskip(NEXT) | instid1(VALU_DEP_1)
	v_add_f32_e32 v37, v45, v34
	v_mul_f32_e32 v39, v36, v37
	s_delay_alu instid0(VALU_DEP_1) | instskip(NEXT) | instid1(VALU_DEP_1)
	v_dual_sub_f32 v44, v45, v37 :: v_dual_mul_f32 v41, v40, v39
	v_add_f32_e32 v34, v34, v44
	s_delay_alu instid0(VALU_DEP_2) | instskip(NEXT) | instid1(VALU_DEP_1)
	v_fma_f32 v40, v39, v40, -v41
	v_fmac_f32_e32 v40, v39, v38
	s_delay_alu instid0(VALU_DEP_1) | instskip(NEXT) | instid1(VALU_DEP_1)
	v_add_f32_e32 v38, v41, v40
	v_sub_f32_e32 v43, v37, v38
	v_sub_f32_e32 v41, v38, v41
	s_delay_alu instid0(VALU_DEP_2) | instskip(NEXT) | instid1(VALU_DEP_1)
	v_sub_f32_e32 v37, v37, v43
	v_sub_f32_e32 v37, v37, v38
	s_delay_alu instid0(VALU_DEP_3) | instskip(NEXT) | instid1(VALU_DEP_2)
	v_sub_f32_e32 v38, v41, v40
	v_add_f32_e32 v34, v34, v37
	v_add_f32_e32 v37, v42, v39
	s_delay_alu instid0(VALU_DEP_2) | instskip(NEXT) | instid1(VALU_DEP_2)
	v_add_f32_e32 v34, v38, v34
	v_sub_f32_e32 v38, v37, v42
	s_delay_alu instid0(VALU_DEP_2) | instskip(NEXT) | instid1(VALU_DEP_2)
	v_add_f32_e32 v34, v43, v34
	v_sub_f32_e32 v38, v39, v38
	s_delay_alu instid0(VALU_DEP_2) | instskip(NEXT) | instid1(VALU_DEP_1)
	v_mul_f32_e32 v34, v36, v34
	v_add_f32_e32 v34, v38, v34
	s_delay_alu instid0(VALU_DEP_1) | instskip(NEXT) | instid1(VALU_DEP_1)
	v_add_f32_e32 v36, v37, v34
	v_mul_f32_e32 v38, v36, v36
	s_delay_alu instid0(VALU_DEP_1) | instskip(SKIP_2) | instid1(VALU_DEP_3)
	v_fmaak_f32 v39, s1, v38, 0x3ecc95a3
	v_mul_f32_e32 v40, v36, v38
	v_cmp_eq_f32_e64 s1, 0x7f800000, v35
	v_fmaak_f32 v38, v38, v39, 0x3f2aaada
	v_ldexp_f32 v39, v36, 1
	v_sub_f32_e32 v36, v36, v37
	s_delay_alu instid0(VALU_DEP_4) | instskip(NEXT) | instid1(VALU_DEP_3)
	s_or_b32 s1, s1, s51
	v_mul_f32_e32 v38, v40, v38
	v_mul_f32_e32 v40, 0x3f317218, v33
	s_delay_alu instid0(VALU_DEP_2) | instskip(NEXT) | instid1(VALU_DEP_1)
	v_dual_sub_f32 v34, v34, v36 :: v_dual_add_f32 v37, v39, v38
	v_ldexp_f32 v34, v34, 1
	s_delay_alu instid0(VALU_DEP_2) | instskip(NEXT) | instid1(VALU_DEP_4)
	v_sub_f32_e32 v36, v37, v39
	v_fma_f32 v39, 0x3f317218, v33, -v40
	s_delay_alu instid0(VALU_DEP_1) | instskip(NEXT) | instid1(VALU_DEP_1)
	v_dual_sub_f32 v36, v38, v36 :: v_dual_fmamk_f32 v33, v33, 0xb102e308, v39
	v_add_f32_e32 v34, v34, v36
	s_delay_alu instid0(VALU_DEP_2) | instskip(NEXT) | instid1(VALU_DEP_2)
	v_add_f32_e32 v36, v40, v33
	v_add_f32_e32 v38, v37, v34
	s_delay_alu instid0(VALU_DEP_2) | instskip(NEXT) | instid1(VALU_DEP_2)
	v_sub_f32_e32 v40, v36, v40
	v_add_f32_e32 v39, v36, v38
	v_sub_f32_e32 v37, v38, v37
	s_delay_alu instid0(VALU_DEP_3) | instskip(NEXT) | instid1(VALU_DEP_2)
	v_sub_f32_e32 v33, v33, v40
	v_dual_sub_f32 v41, v39, v36 :: v_dual_sub_f32 v34, v34, v37
	s_delay_alu instid0(VALU_DEP_1) | instskip(NEXT) | instid1(VALU_DEP_2)
	v_sub_f32_e32 v42, v39, v41
	v_dual_sub_f32 v37, v38, v41 :: v_dual_add_f32 v38, v33, v34
	s_delay_alu instid0(VALU_DEP_2) | instskip(NEXT) | instid1(VALU_DEP_1)
	v_sub_f32_e32 v36, v36, v42
	v_dual_add_f32 v36, v37, v36 :: v_dual_sub_f32 v37, v38, v33
	s_delay_alu instid0(VALU_DEP_1) | instskip(NEXT) | instid1(VALU_DEP_2)
	v_add_f32_e32 v36, v38, v36
	v_sub_f32_e32 v38, v38, v37
	v_sub_f32_e32 v34, v34, v37
	s_delay_alu instid0(VALU_DEP_2) | instskip(NEXT) | instid1(VALU_DEP_1)
	v_dual_add_f32 v40, v39, v36 :: v_dual_sub_f32 v33, v33, v38
	v_sub_f32_e32 v37, v40, v39
	s_delay_alu instid0(VALU_DEP_2) | instskip(NEXT) | instid1(VALU_DEP_2)
	v_add_f32_e32 v33, v34, v33
	v_sub_f32_e32 v34, v36, v37
	s_delay_alu instid0(VALU_DEP_1) | instskip(NEXT) | instid1(VALU_DEP_1)
	v_add_f32_e32 v33, v33, v34
	v_add_f32_e32 v33, v40, v33
	s_delay_alu instid0(VALU_DEP_1) | instskip(NEXT) | instid1(VALU_DEP_1)
	v_cndmask_b32_e64 v33, v33, v35, s1
	v_add_f32_e32 v32, v32, v33
	s_delay_alu instid0(VALU_DEP_1)
	v_cvt_f16_f32_e32 v35, v32
.LBB400_106:
	s_or_b32 exec_lo, exec_lo, s50
	s_delay_alu instid0(VALU_DEP_1)
	v_dual_mov_b32 v33, v35 :: v_dual_and_b32 v34, 0xffff, v35
.LBB400_107:
	s_or_b32 exec_lo, exec_lo, s49
	ds_swizzle_b32 v34, v34 offset:swizzle(BROADCAST,32,15)
	v_and_b32_e32 v32, 16, v31
	s_mov_b32 s49, exec_lo
	s_delay_alu instid0(VALU_DEP_1)
	v_cmpx_ne_u32_e32 0, v32
	s_cbranch_execz .LBB400_111
; %bb.108:
	s_waitcnt lgkmcnt(0)
	v_cvt_f32_f16_e32 v32, v34
	v_cvt_f32_f16_e32 v35, v33
	v_cmp_u_f16_e64 s1, v34, v34
	s_delay_alu instid0(VALU_DEP_2) | instskip(SKIP_1) | instid1(VALU_DEP_2)
	v_min_f32_e32 v36, v32, v35
	v_max_f32_e32 v37, v32, v35
	v_cndmask_b32_e64 v36, v36, v32, s1
	s_delay_alu instid0(VALU_DEP_2) | instskip(SKIP_1) | instid1(VALU_DEP_1)
	v_cndmask_b32_e64 v32, v37, v32, s1
	v_cmp_u_f16_e64 s1, v33, v33
	v_cndmask_b32_e64 v33, v36, v35, s1
	s_delay_alu instid0(VALU_DEP_3) | instskip(NEXT) | instid1(VALU_DEP_2)
	v_cndmask_b32_e64 v32, v32, v35, s1
	v_cmp_class_f32_e64 s50, v33, 0x1f8
	s_delay_alu instid0(VALU_DEP_2) | instskip(NEXT) | instid1(VALU_DEP_1)
	v_cmp_neq_f32_e64 s1, v33, v32
	s_or_b32 s1, s1, s50
	s_delay_alu instid0(SALU_CYCLE_1)
	s_and_saveexec_b32 s50, s1
	s_cbranch_execz .LBB400_110
; %bb.109:
	v_sub_f32_e32 v33, v33, v32
	s_delay_alu instid0(VALU_DEP_1) | instskip(NEXT) | instid1(VALU_DEP_1)
	v_mul_f32_e32 v34, 0x3fb8aa3b, v33
	v_fma_f32 v35, 0x3fb8aa3b, v33, -v34
	v_rndne_f32_e32 v36, v34
	s_delay_alu instid0(VALU_DEP_1) | instskip(NEXT) | instid1(VALU_DEP_1)
	v_dual_fmamk_f32 v35, v33, 0x32a5705f, v35 :: v_dual_sub_f32 v34, v34, v36
	v_add_f32_e32 v34, v34, v35
	v_cvt_i32_f32_e32 v35, v36
	v_cmp_ngt_f32_e64 s1, 0xc2ce8ed0, v33
	s_delay_alu instid0(VALU_DEP_3) | instskip(SKIP_2) | instid1(VALU_DEP_1)
	v_exp_f32_e32 v34, v34
	s_waitcnt_depctr 0xfff
	v_ldexp_f32 v34, v34, v35
	v_cndmask_b32_e64 v34, 0, v34, s1
	v_cmp_nlt_f32_e64 s1, 0x42b17218, v33
	s_delay_alu instid0(VALU_DEP_1) | instskip(NEXT) | instid1(VALU_DEP_1)
	v_cndmask_b32_e64 v35, 0x7f800000, v34, s1
	v_add_f32_e32 v36, 1.0, v35
	v_cmp_gt_f32_e64 s51, 0x33800000, |v35|
	s_delay_alu instid0(VALU_DEP_2) | instskip(NEXT) | instid1(VALU_DEP_1)
	v_cvt_f64_f32_e32 v[33:34], v36
	v_frexp_exp_i32_f64_e32 v33, v[33:34]
	v_frexp_mant_f32_e32 v34, v36
	s_delay_alu instid0(VALU_DEP_1) | instskip(SKIP_1) | instid1(VALU_DEP_1)
	v_cmp_gt_f32_e64 s1, 0x3f2aaaab, v34
	v_add_f32_e32 v34, -1.0, v36
	v_sub_f32_e32 v38, v34, v36
	s_delay_alu instid0(VALU_DEP_3) | instskip(SKIP_1) | instid1(VALU_DEP_1)
	v_subrev_co_ci_u32_e64 v33, s1, 0, v33, s1
	s_mov_b32 s1, 0x3e9b6dac
	v_sub_nc_u32_e32 v37, 0, v33
	v_cvt_f32_i32_e32 v33, v33
	s_delay_alu instid0(VALU_DEP_2) | instskip(NEXT) | instid1(VALU_DEP_1)
	v_ldexp_f32 v36, v36, v37
	v_dual_sub_f32 v34, v35, v34 :: v_dual_add_f32 v39, 1.0, v36
	v_add_f32_e32 v38, 1.0, v38
	s_delay_alu instid0(VALU_DEP_1) | instskip(NEXT) | instid1(VALU_DEP_3)
	v_add_f32_e32 v34, v34, v38
	v_add_f32_e32 v38, -1.0, v39
	s_delay_alu instid0(VALU_DEP_2) | instskip(NEXT) | instid1(VALU_DEP_2)
	v_ldexp_f32 v34, v34, v37
	v_dual_add_f32 v37, -1.0, v36 :: v_dual_sub_f32 v38, v36, v38
	s_delay_alu instid0(VALU_DEP_1) | instskip(NEXT) | instid1(VALU_DEP_2)
	v_add_f32_e32 v40, 1.0, v37
	v_add_f32_e32 v38, v34, v38
	s_delay_alu instid0(VALU_DEP_2) | instskip(NEXT) | instid1(VALU_DEP_2)
	v_sub_f32_e32 v36, v36, v40
	v_add_f32_e32 v40, v39, v38
	s_delay_alu instid0(VALU_DEP_2) | instskip(NEXT) | instid1(VALU_DEP_2)
	v_add_f32_e32 v34, v34, v36
	v_rcp_f32_e32 v36, v40
	v_sub_f32_e32 v39, v39, v40
	s_delay_alu instid0(VALU_DEP_1) | instskip(NEXT) | instid1(VALU_DEP_1)
	v_dual_add_f32 v41, v37, v34 :: v_dual_add_f32 v38, v38, v39
	v_sub_f32_e32 v37, v37, v41
	s_waitcnt_depctr 0xfff
	v_mul_f32_e32 v42, v41, v36
	s_delay_alu instid0(VALU_DEP_1) | instskip(NEXT) | instid1(VALU_DEP_1)
	v_dual_add_f32 v34, v34, v37 :: v_dual_mul_f32 v43, v40, v42
	v_fma_f32 v39, v42, v40, -v43
	s_delay_alu instid0(VALU_DEP_1) | instskip(NEXT) | instid1(VALU_DEP_1)
	v_fmac_f32_e32 v39, v42, v38
	v_add_f32_e32 v44, v43, v39
	s_delay_alu instid0(VALU_DEP_1) | instskip(SKIP_1) | instid1(VALU_DEP_2)
	v_sub_f32_e32 v45, v41, v44
	v_sub_f32_e32 v37, v44, v43
	;; [unrolled: 1-line block ×3, first 2 shown]
	s_delay_alu instid0(VALU_DEP_2) | instskip(NEXT) | instid1(VALU_DEP_2)
	v_sub_f32_e32 v37, v37, v39
	v_sub_f32_e32 v41, v41, v44
	s_delay_alu instid0(VALU_DEP_1) | instskip(NEXT) | instid1(VALU_DEP_1)
	v_add_f32_e32 v34, v34, v41
	v_add_f32_e32 v34, v37, v34
	s_delay_alu instid0(VALU_DEP_1) | instskip(NEXT) | instid1(VALU_DEP_1)
	v_add_f32_e32 v37, v45, v34
	v_mul_f32_e32 v39, v36, v37
	s_delay_alu instid0(VALU_DEP_1) | instskip(NEXT) | instid1(VALU_DEP_1)
	v_dual_sub_f32 v44, v45, v37 :: v_dual_mul_f32 v41, v40, v39
	v_add_f32_e32 v34, v34, v44
	s_delay_alu instid0(VALU_DEP_2) | instskip(NEXT) | instid1(VALU_DEP_1)
	v_fma_f32 v40, v39, v40, -v41
	v_fmac_f32_e32 v40, v39, v38
	s_delay_alu instid0(VALU_DEP_1) | instskip(NEXT) | instid1(VALU_DEP_1)
	v_add_f32_e32 v38, v41, v40
	v_sub_f32_e32 v43, v37, v38
	v_sub_f32_e32 v41, v38, v41
	s_delay_alu instid0(VALU_DEP_2) | instskip(NEXT) | instid1(VALU_DEP_1)
	v_sub_f32_e32 v37, v37, v43
	v_sub_f32_e32 v37, v37, v38
	s_delay_alu instid0(VALU_DEP_3) | instskip(NEXT) | instid1(VALU_DEP_2)
	v_sub_f32_e32 v38, v41, v40
	v_add_f32_e32 v34, v34, v37
	v_add_f32_e32 v37, v42, v39
	s_delay_alu instid0(VALU_DEP_2) | instskip(NEXT) | instid1(VALU_DEP_2)
	v_add_f32_e32 v34, v38, v34
	v_sub_f32_e32 v38, v37, v42
	s_delay_alu instid0(VALU_DEP_2) | instskip(NEXT) | instid1(VALU_DEP_2)
	v_add_f32_e32 v34, v43, v34
	v_sub_f32_e32 v38, v39, v38
	s_delay_alu instid0(VALU_DEP_2) | instskip(NEXT) | instid1(VALU_DEP_1)
	v_mul_f32_e32 v34, v36, v34
	v_add_f32_e32 v34, v38, v34
	s_delay_alu instid0(VALU_DEP_1) | instskip(NEXT) | instid1(VALU_DEP_1)
	v_add_f32_e32 v36, v37, v34
	v_mul_f32_e32 v38, v36, v36
	s_delay_alu instid0(VALU_DEP_1) | instskip(SKIP_2) | instid1(VALU_DEP_3)
	v_fmaak_f32 v39, s1, v38, 0x3ecc95a3
	v_mul_f32_e32 v40, v36, v38
	v_cmp_eq_f32_e64 s1, 0x7f800000, v35
	v_fmaak_f32 v38, v38, v39, 0x3f2aaada
	v_ldexp_f32 v39, v36, 1
	v_sub_f32_e32 v36, v36, v37
	s_delay_alu instid0(VALU_DEP_4) | instskip(NEXT) | instid1(VALU_DEP_3)
	s_or_b32 s1, s1, s51
	v_mul_f32_e32 v38, v40, v38
	v_mul_f32_e32 v40, 0x3f317218, v33
	s_delay_alu instid0(VALU_DEP_2) | instskip(NEXT) | instid1(VALU_DEP_1)
	v_dual_sub_f32 v34, v34, v36 :: v_dual_add_f32 v37, v39, v38
	v_ldexp_f32 v34, v34, 1
	s_delay_alu instid0(VALU_DEP_2) | instskip(NEXT) | instid1(VALU_DEP_4)
	v_sub_f32_e32 v36, v37, v39
	v_fma_f32 v39, 0x3f317218, v33, -v40
	s_delay_alu instid0(VALU_DEP_1) | instskip(NEXT) | instid1(VALU_DEP_1)
	v_dual_sub_f32 v36, v38, v36 :: v_dual_fmamk_f32 v33, v33, 0xb102e308, v39
	v_add_f32_e32 v34, v34, v36
	s_delay_alu instid0(VALU_DEP_2) | instskip(NEXT) | instid1(VALU_DEP_2)
	v_add_f32_e32 v36, v40, v33
	v_add_f32_e32 v38, v37, v34
	s_delay_alu instid0(VALU_DEP_2) | instskip(NEXT) | instid1(VALU_DEP_2)
	v_sub_f32_e32 v40, v36, v40
	v_add_f32_e32 v39, v36, v38
	v_sub_f32_e32 v37, v38, v37
	s_delay_alu instid0(VALU_DEP_3) | instskip(NEXT) | instid1(VALU_DEP_2)
	v_sub_f32_e32 v33, v33, v40
	v_dual_sub_f32 v41, v39, v36 :: v_dual_sub_f32 v34, v34, v37
	s_delay_alu instid0(VALU_DEP_1) | instskip(NEXT) | instid1(VALU_DEP_2)
	v_sub_f32_e32 v42, v39, v41
	v_dual_sub_f32 v37, v38, v41 :: v_dual_add_f32 v38, v33, v34
	s_delay_alu instid0(VALU_DEP_2) | instskip(NEXT) | instid1(VALU_DEP_1)
	v_sub_f32_e32 v36, v36, v42
	v_dual_add_f32 v36, v37, v36 :: v_dual_sub_f32 v37, v38, v33
	s_delay_alu instid0(VALU_DEP_1) | instskip(NEXT) | instid1(VALU_DEP_2)
	v_add_f32_e32 v36, v38, v36
	v_sub_f32_e32 v38, v38, v37
	v_sub_f32_e32 v34, v34, v37
	s_delay_alu instid0(VALU_DEP_2) | instskip(NEXT) | instid1(VALU_DEP_1)
	v_dual_add_f32 v40, v39, v36 :: v_dual_sub_f32 v33, v33, v38
	v_sub_f32_e32 v37, v40, v39
	s_delay_alu instid0(VALU_DEP_2) | instskip(NEXT) | instid1(VALU_DEP_2)
	v_add_f32_e32 v33, v34, v33
	v_sub_f32_e32 v34, v36, v37
	s_delay_alu instid0(VALU_DEP_1) | instskip(NEXT) | instid1(VALU_DEP_1)
	v_add_f32_e32 v33, v33, v34
	v_add_f32_e32 v33, v40, v33
	s_delay_alu instid0(VALU_DEP_1) | instskip(NEXT) | instid1(VALU_DEP_1)
	v_cndmask_b32_e64 v33, v33, v35, s1
	v_add_f32_e32 v32, v32, v33
	s_delay_alu instid0(VALU_DEP_1)
	v_cvt_f16_f32_e32 v34, v32
.LBB400_110:
	s_or_b32 exec_lo, exec_lo, s50
	s_delay_alu instid0(VALU_DEP_1)
	v_mov_b32_e32 v33, v34
.LBB400_111:
	s_or_b32 exec_lo, exec_lo, s49
	v_add_nc_u32_e32 v32, -1, v31
	s_delay_alu instid0(VALU_DEP_1) | instskip(NEXT) | instid1(VALU_DEP_1)
	v_cmp_gt_i32_e64 s1, 0, v32
	v_cndmask_b32_e64 v31, v32, v31, s1
	v_and_b32_e32 v32, 0xffff, v33
	s_delay_alu instid0(VALU_DEP_2)
	v_lshlrev_b32_e32 v31, 2, v31
	ds_bpermute_b32 v31, v31, v32
	v_max_f32_e32 v32, v30, v30
	s_waitcnt lgkmcnt(0)
	v_cvt_f32_f16_e32 v33, v31
	v_cmp_u_f16_e64 s1, v31, v31
	s_delay_alu instid0(VALU_DEP_2) | instskip(SKIP_1) | instid1(VALU_DEP_2)
	v_min_f32_e32 v34, v33, v32
	v_max_f32_e32 v32, v33, v32
	v_cndmask_b32_e64 v34, v34, v33, s1
	s_delay_alu instid0(VALU_DEP_2) | instskip(NEXT) | instid1(VALU_DEP_2)
	v_cndmask_b32_e64 v33, v32, v33, s1
	v_cndmask_b32_e64 v32, v34, v30, s0
	s_delay_alu instid0(VALU_DEP_2) | instskip(NEXT) | instid1(VALU_DEP_2)
	v_cndmask_b32_e64 v30, v33, v30, s0
	v_cmp_class_f32_e64 s1, v32, 0x1f8
	s_delay_alu instid0(VALU_DEP_2) | instskip(NEXT) | instid1(VALU_DEP_1)
	v_cmp_neq_f32_e64 s0, v32, v30
	s_or_b32 s0, s0, s1
	s_delay_alu instid0(SALU_CYCLE_1)
	s_and_saveexec_b32 s1, s0
	s_cbranch_execz .LBB400_113
; %bb.112:
	v_sub_f32_e32 v31, v32, v30
	s_delay_alu instid0(VALU_DEP_1) | instskip(SKIP_1) | instid1(VALU_DEP_2)
	v_mul_f32_e32 v32, 0x3fb8aa3b, v31
	v_cmp_ngt_f32_e64 s0, 0xc2ce8ed0, v31
	v_fma_f32 v33, 0x3fb8aa3b, v31, -v32
	v_rndne_f32_e32 v34, v32
	s_delay_alu instid0(VALU_DEP_1) | instskip(NEXT) | instid1(VALU_DEP_1)
	v_dual_fmamk_f32 v33, v31, 0x32a5705f, v33 :: v_dual_sub_f32 v32, v32, v34
	v_add_f32_e32 v32, v32, v33
	v_cvt_i32_f32_e32 v33, v34
	s_delay_alu instid0(VALU_DEP_2) | instskip(SKIP_2) | instid1(VALU_DEP_1)
	v_exp_f32_e32 v32, v32
	s_waitcnt_depctr 0xfff
	v_ldexp_f32 v32, v32, v33
	v_cndmask_b32_e64 v32, 0, v32, s0
	v_cmp_nlt_f32_e64 s0, 0x42b17218, v31
	s_delay_alu instid0(VALU_DEP_1) | instskip(NEXT) | instid1(VALU_DEP_1)
	v_cndmask_b32_e64 v33, 0x7f800000, v32, s0
	v_add_f32_e32 v34, 1.0, v33
	v_cmp_gt_f32_e64 s49, 0x33800000, |v33|
	s_delay_alu instid0(VALU_DEP_2) | instskip(NEXT) | instid1(VALU_DEP_1)
	v_cvt_f64_f32_e32 v[31:32], v34
	v_frexp_exp_i32_f64_e32 v31, v[31:32]
	v_frexp_mant_f32_e32 v32, v34
	s_delay_alu instid0(VALU_DEP_1) | instskip(SKIP_1) | instid1(VALU_DEP_1)
	v_cmp_gt_f32_e64 s0, 0x3f2aaaab, v32
	v_add_f32_e32 v32, -1.0, v34
	v_sub_f32_e32 v36, v32, v34
	v_sub_f32_e32 v32, v33, v32
	s_delay_alu instid0(VALU_DEP_4) | instskip(SKIP_1) | instid1(VALU_DEP_1)
	v_subrev_co_ci_u32_e64 v31, s0, 0, v31, s0
	s_mov_b32 s0, 0x3e9b6dac
	v_sub_nc_u32_e32 v35, 0, v31
	v_cvt_f32_i32_e32 v31, v31
	s_delay_alu instid0(VALU_DEP_2) | instskip(NEXT) | instid1(VALU_DEP_1)
	v_ldexp_f32 v34, v34, v35
	v_dual_add_f32 v37, 1.0, v34 :: v_dual_add_f32 v36, 1.0, v36
	s_delay_alu instid0(VALU_DEP_1) | instskip(NEXT) | instid1(VALU_DEP_2)
	v_add_f32_e32 v32, v32, v36
	v_add_f32_e32 v36, -1.0, v37
	s_delay_alu instid0(VALU_DEP_2) | instskip(NEXT) | instid1(VALU_DEP_2)
	v_ldexp_f32 v32, v32, v35
	v_dual_add_f32 v35, -1.0, v34 :: v_dual_sub_f32 v36, v34, v36
	s_delay_alu instid0(VALU_DEP_1) | instskip(NEXT) | instid1(VALU_DEP_2)
	v_add_f32_e32 v38, 1.0, v35
	v_add_f32_e32 v36, v32, v36
	s_delay_alu instid0(VALU_DEP_2) | instskip(NEXT) | instid1(VALU_DEP_2)
	v_sub_f32_e32 v34, v34, v38
	v_add_f32_e32 v38, v37, v36
	s_delay_alu instid0(VALU_DEP_2) | instskip(NEXT) | instid1(VALU_DEP_2)
	v_add_f32_e32 v32, v32, v34
	v_rcp_f32_e32 v34, v38
	v_sub_f32_e32 v37, v37, v38
	s_delay_alu instid0(VALU_DEP_1) | instskip(NEXT) | instid1(VALU_DEP_1)
	v_dual_add_f32 v39, v35, v32 :: v_dual_add_f32 v36, v36, v37
	v_sub_f32_e32 v35, v35, v39
	s_waitcnt_depctr 0xfff
	v_mul_f32_e32 v40, v39, v34
	s_delay_alu instid0(VALU_DEP_1) | instskip(NEXT) | instid1(VALU_DEP_1)
	v_dual_add_f32 v32, v32, v35 :: v_dual_mul_f32 v41, v38, v40
	v_fma_f32 v37, v40, v38, -v41
	s_delay_alu instid0(VALU_DEP_1) | instskip(NEXT) | instid1(VALU_DEP_1)
	v_fmac_f32_e32 v37, v40, v36
	v_add_f32_e32 v42, v41, v37
	s_delay_alu instid0(VALU_DEP_1) | instskip(SKIP_1) | instid1(VALU_DEP_2)
	v_sub_f32_e32 v43, v39, v42
	v_sub_f32_e32 v35, v42, v41
	;; [unrolled: 1-line block ×3, first 2 shown]
	s_delay_alu instid0(VALU_DEP_2) | instskip(NEXT) | instid1(VALU_DEP_2)
	v_sub_f32_e32 v35, v35, v37
	v_sub_f32_e32 v39, v39, v42
	s_delay_alu instid0(VALU_DEP_1) | instskip(NEXT) | instid1(VALU_DEP_1)
	v_add_f32_e32 v32, v32, v39
	v_add_f32_e32 v32, v35, v32
	s_delay_alu instid0(VALU_DEP_1) | instskip(NEXT) | instid1(VALU_DEP_1)
	v_add_f32_e32 v35, v43, v32
	v_mul_f32_e32 v37, v34, v35
	s_delay_alu instid0(VALU_DEP_1) | instskip(NEXT) | instid1(VALU_DEP_1)
	v_dual_sub_f32 v42, v43, v35 :: v_dual_mul_f32 v39, v38, v37
	v_add_f32_e32 v32, v32, v42
	s_delay_alu instid0(VALU_DEP_2) | instskip(NEXT) | instid1(VALU_DEP_1)
	v_fma_f32 v38, v37, v38, -v39
	v_fmac_f32_e32 v38, v37, v36
	s_delay_alu instid0(VALU_DEP_1) | instskip(NEXT) | instid1(VALU_DEP_1)
	v_add_f32_e32 v36, v39, v38
	v_sub_f32_e32 v41, v35, v36
	v_sub_f32_e32 v39, v36, v39
	s_delay_alu instid0(VALU_DEP_2) | instskip(NEXT) | instid1(VALU_DEP_1)
	v_sub_f32_e32 v35, v35, v41
	v_sub_f32_e32 v35, v35, v36
	s_delay_alu instid0(VALU_DEP_3) | instskip(NEXT) | instid1(VALU_DEP_2)
	v_sub_f32_e32 v36, v39, v38
	v_add_f32_e32 v32, v32, v35
	v_add_f32_e32 v35, v40, v37
	s_delay_alu instid0(VALU_DEP_2) | instskip(NEXT) | instid1(VALU_DEP_2)
	v_add_f32_e32 v32, v36, v32
	v_sub_f32_e32 v36, v35, v40
	s_delay_alu instid0(VALU_DEP_2) | instskip(NEXT) | instid1(VALU_DEP_2)
	v_add_f32_e32 v32, v41, v32
	v_sub_f32_e32 v36, v37, v36
	s_delay_alu instid0(VALU_DEP_2) | instskip(NEXT) | instid1(VALU_DEP_1)
	v_mul_f32_e32 v32, v34, v32
	v_add_f32_e32 v32, v36, v32
	s_delay_alu instid0(VALU_DEP_1) | instskip(NEXT) | instid1(VALU_DEP_1)
	v_add_f32_e32 v34, v35, v32
	v_mul_f32_e32 v36, v34, v34
	s_delay_alu instid0(VALU_DEP_1) | instskip(SKIP_2) | instid1(VALU_DEP_3)
	v_fmaak_f32 v37, s0, v36, 0x3ecc95a3
	v_mul_f32_e32 v38, v34, v36
	v_cmp_eq_f32_e64 s0, 0x7f800000, v33
	v_fmaak_f32 v36, v36, v37, 0x3f2aaada
	v_ldexp_f32 v37, v34, 1
	v_sub_f32_e32 v34, v34, v35
	s_delay_alu instid0(VALU_DEP_4) | instskip(NEXT) | instid1(VALU_DEP_3)
	s_or_b32 s0, s0, s49
	v_mul_f32_e32 v36, v38, v36
	v_mul_f32_e32 v38, 0x3f317218, v31
	s_delay_alu instid0(VALU_DEP_2) | instskip(NEXT) | instid1(VALU_DEP_1)
	v_dual_sub_f32 v32, v32, v34 :: v_dual_add_f32 v35, v37, v36
	v_ldexp_f32 v32, v32, 1
	s_delay_alu instid0(VALU_DEP_2) | instskip(NEXT) | instid1(VALU_DEP_4)
	v_sub_f32_e32 v34, v35, v37
	v_fma_f32 v37, 0x3f317218, v31, -v38
	s_delay_alu instid0(VALU_DEP_1) | instskip(NEXT) | instid1(VALU_DEP_1)
	v_dual_sub_f32 v34, v36, v34 :: v_dual_fmamk_f32 v31, v31, 0xb102e308, v37
	v_add_f32_e32 v32, v32, v34
	s_delay_alu instid0(VALU_DEP_2) | instskip(NEXT) | instid1(VALU_DEP_2)
	v_add_f32_e32 v34, v38, v31
	v_add_f32_e32 v36, v35, v32
	s_delay_alu instid0(VALU_DEP_2) | instskip(NEXT) | instid1(VALU_DEP_2)
	v_sub_f32_e32 v38, v34, v38
	v_add_f32_e32 v37, v34, v36
	v_sub_f32_e32 v35, v36, v35
	s_delay_alu instid0(VALU_DEP_3) | instskip(NEXT) | instid1(VALU_DEP_2)
	v_sub_f32_e32 v31, v31, v38
	v_dual_sub_f32 v39, v37, v34 :: v_dual_sub_f32 v32, v32, v35
	s_delay_alu instid0(VALU_DEP_1) | instskip(NEXT) | instid1(VALU_DEP_2)
	v_sub_f32_e32 v40, v37, v39
	v_dual_sub_f32 v35, v36, v39 :: v_dual_add_f32 v36, v31, v32
	s_delay_alu instid0(VALU_DEP_2) | instskip(NEXT) | instid1(VALU_DEP_1)
	v_sub_f32_e32 v34, v34, v40
	v_dual_add_f32 v34, v35, v34 :: v_dual_sub_f32 v35, v36, v31
	s_delay_alu instid0(VALU_DEP_1) | instskip(NEXT) | instid1(VALU_DEP_2)
	v_add_f32_e32 v34, v36, v34
	v_sub_f32_e32 v36, v36, v35
	v_sub_f32_e32 v32, v32, v35
	s_delay_alu instid0(VALU_DEP_2) | instskip(NEXT) | instid1(VALU_DEP_1)
	v_dual_add_f32 v38, v37, v34 :: v_dual_sub_f32 v31, v31, v36
	v_sub_f32_e32 v35, v38, v37
	s_delay_alu instid0(VALU_DEP_2) | instskip(NEXT) | instid1(VALU_DEP_2)
	v_add_f32_e32 v31, v32, v31
	v_sub_f32_e32 v32, v34, v35
	s_delay_alu instid0(VALU_DEP_1) | instskip(NEXT) | instid1(VALU_DEP_1)
	v_add_f32_e32 v31, v31, v32
	v_add_f32_e32 v31, v38, v31
	s_delay_alu instid0(VALU_DEP_1) | instskip(NEXT) | instid1(VALU_DEP_1)
	v_cndmask_b32_e64 v31, v31, v33, s0
	v_add_f32_e32 v30, v30, v31
	s_delay_alu instid0(VALU_DEP_1)
	v_cvt_f16_f32_e32 v31, v30
.LBB400_113:
	s_or_b32 exec_lo, exec_lo, s1
	v_cmp_eq_u32_e64 s0, 0, v0
	; wave barrier
	s_delay_alu instid0(VALU_DEP_1)
	v_cndmask_b32_e64 v31, v31, v29, s0
	ds_store_b16 v28, v31
	; wave barrier
	ds_load_u16 v30, v28 offset:2
	v_cvt_f32_f16_e32 v32, v31
	v_cmp_u_f16_e64 s0, v31, v31
	s_waitcnt lgkmcnt(0)
	v_cvt_f32_f16_e32 v33, v30
	s_delay_alu instid0(VALU_DEP_1) | instskip(SKIP_1) | instid1(VALU_DEP_2)
	v_min_f32_e32 v34, v32, v33
	v_max_f32_e32 v35, v32, v33
	v_cndmask_b32_e64 v34, v34, v32, s0
	s_delay_alu instid0(VALU_DEP_2) | instskip(SKIP_1) | instid1(VALU_DEP_1)
	v_cndmask_b32_e64 v35, v35, v32, s0
	v_cmp_u_f16_e64 s0, v30, v30
	v_cndmask_b32_e64 v32, v34, v33, s0
	s_delay_alu instid0(VALU_DEP_3) | instskip(NEXT) | instid1(VALU_DEP_2)
	v_cndmask_b32_e64 v30, v35, v33, s0
	v_cmp_class_f32_e64 s1, v32, 0x1f8
	s_delay_alu instid0(VALU_DEP_2) | instskip(NEXT) | instid1(VALU_DEP_1)
	v_cmp_neq_f32_e64 s0, v32, v30
	s_or_b32 s0, s0, s1
	s_delay_alu instid0(SALU_CYCLE_1)
	s_and_saveexec_b32 s1, s0
	s_cbranch_execz .LBB400_115
; %bb.114:
	v_sub_f32_e32 v31, v32, v30
	s_delay_alu instid0(VALU_DEP_1) | instskip(SKIP_1) | instid1(VALU_DEP_2)
	v_mul_f32_e32 v32, 0x3fb8aa3b, v31
	v_cmp_ngt_f32_e64 s0, 0xc2ce8ed0, v31
	v_fma_f32 v33, 0x3fb8aa3b, v31, -v32
	v_rndne_f32_e32 v34, v32
	s_delay_alu instid0(VALU_DEP_1) | instskip(NEXT) | instid1(VALU_DEP_1)
	v_dual_fmamk_f32 v33, v31, 0x32a5705f, v33 :: v_dual_sub_f32 v32, v32, v34
	v_add_f32_e32 v32, v32, v33
	v_cvt_i32_f32_e32 v33, v34
	s_delay_alu instid0(VALU_DEP_2) | instskip(SKIP_2) | instid1(VALU_DEP_1)
	v_exp_f32_e32 v32, v32
	s_waitcnt_depctr 0xfff
	v_ldexp_f32 v32, v32, v33
	v_cndmask_b32_e64 v32, 0, v32, s0
	v_cmp_nlt_f32_e64 s0, 0x42b17218, v31
	s_delay_alu instid0(VALU_DEP_1) | instskip(NEXT) | instid1(VALU_DEP_1)
	v_cndmask_b32_e64 v33, 0x7f800000, v32, s0
	v_add_f32_e32 v34, 1.0, v33
	v_cmp_gt_f32_e64 s49, 0x33800000, |v33|
	s_delay_alu instid0(VALU_DEP_2) | instskip(NEXT) | instid1(VALU_DEP_1)
	v_cvt_f64_f32_e32 v[31:32], v34
	v_frexp_exp_i32_f64_e32 v31, v[31:32]
	v_frexp_mant_f32_e32 v32, v34
	s_delay_alu instid0(VALU_DEP_1) | instskip(SKIP_1) | instid1(VALU_DEP_1)
	v_cmp_gt_f32_e64 s0, 0x3f2aaaab, v32
	v_add_f32_e32 v32, -1.0, v34
	v_sub_f32_e32 v36, v32, v34
	v_sub_f32_e32 v32, v33, v32
	s_delay_alu instid0(VALU_DEP_4) | instskip(SKIP_1) | instid1(VALU_DEP_1)
	v_subrev_co_ci_u32_e64 v31, s0, 0, v31, s0
	s_mov_b32 s0, 0x3e9b6dac
	v_sub_nc_u32_e32 v35, 0, v31
	v_cvt_f32_i32_e32 v31, v31
	s_delay_alu instid0(VALU_DEP_2) | instskip(NEXT) | instid1(VALU_DEP_1)
	v_ldexp_f32 v34, v34, v35
	v_dual_add_f32 v37, 1.0, v34 :: v_dual_add_f32 v36, 1.0, v36
	s_delay_alu instid0(VALU_DEP_1) | instskip(NEXT) | instid1(VALU_DEP_2)
	v_add_f32_e32 v32, v32, v36
	v_add_f32_e32 v36, -1.0, v37
	s_delay_alu instid0(VALU_DEP_2) | instskip(NEXT) | instid1(VALU_DEP_2)
	v_ldexp_f32 v32, v32, v35
	v_dual_add_f32 v35, -1.0, v34 :: v_dual_sub_f32 v36, v34, v36
	s_delay_alu instid0(VALU_DEP_1) | instskip(NEXT) | instid1(VALU_DEP_2)
	v_add_f32_e32 v38, 1.0, v35
	v_add_f32_e32 v36, v32, v36
	s_delay_alu instid0(VALU_DEP_2) | instskip(NEXT) | instid1(VALU_DEP_2)
	v_sub_f32_e32 v34, v34, v38
	v_add_f32_e32 v38, v37, v36
	s_delay_alu instid0(VALU_DEP_2) | instskip(NEXT) | instid1(VALU_DEP_2)
	v_add_f32_e32 v32, v32, v34
	v_rcp_f32_e32 v34, v38
	v_sub_f32_e32 v37, v37, v38
	s_delay_alu instid0(VALU_DEP_1) | instskip(NEXT) | instid1(VALU_DEP_1)
	v_dual_add_f32 v39, v35, v32 :: v_dual_add_f32 v36, v36, v37
	v_sub_f32_e32 v35, v35, v39
	s_waitcnt_depctr 0xfff
	v_mul_f32_e32 v40, v39, v34
	s_delay_alu instid0(VALU_DEP_1) | instskip(NEXT) | instid1(VALU_DEP_1)
	v_dual_add_f32 v32, v32, v35 :: v_dual_mul_f32 v41, v38, v40
	v_fma_f32 v37, v40, v38, -v41
	s_delay_alu instid0(VALU_DEP_1) | instskip(NEXT) | instid1(VALU_DEP_1)
	v_fmac_f32_e32 v37, v40, v36
	v_add_f32_e32 v42, v41, v37
	s_delay_alu instid0(VALU_DEP_1) | instskip(SKIP_1) | instid1(VALU_DEP_2)
	v_sub_f32_e32 v43, v39, v42
	v_sub_f32_e32 v35, v42, v41
	;; [unrolled: 1-line block ×3, first 2 shown]
	s_delay_alu instid0(VALU_DEP_2) | instskip(NEXT) | instid1(VALU_DEP_2)
	v_sub_f32_e32 v35, v35, v37
	v_sub_f32_e32 v39, v39, v42
	s_delay_alu instid0(VALU_DEP_1) | instskip(NEXT) | instid1(VALU_DEP_1)
	v_add_f32_e32 v32, v32, v39
	v_add_f32_e32 v32, v35, v32
	s_delay_alu instid0(VALU_DEP_1) | instskip(NEXT) | instid1(VALU_DEP_1)
	v_add_f32_e32 v35, v43, v32
	v_mul_f32_e32 v37, v34, v35
	s_delay_alu instid0(VALU_DEP_1) | instskip(NEXT) | instid1(VALU_DEP_1)
	v_dual_sub_f32 v42, v43, v35 :: v_dual_mul_f32 v39, v38, v37
	v_add_f32_e32 v32, v32, v42
	s_delay_alu instid0(VALU_DEP_2) | instskip(NEXT) | instid1(VALU_DEP_1)
	v_fma_f32 v38, v37, v38, -v39
	v_fmac_f32_e32 v38, v37, v36
	s_delay_alu instid0(VALU_DEP_1) | instskip(NEXT) | instid1(VALU_DEP_1)
	v_add_f32_e32 v36, v39, v38
	v_sub_f32_e32 v41, v35, v36
	v_sub_f32_e32 v39, v36, v39
	s_delay_alu instid0(VALU_DEP_2) | instskip(NEXT) | instid1(VALU_DEP_1)
	v_sub_f32_e32 v35, v35, v41
	v_sub_f32_e32 v35, v35, v36
	s_delay_alu instid0(VALU_DEP_3) | instskip(NEXT) | instid1(VALU_DEP_2)
	v_sub_f32_e32 v36, v39, v38
	v_add_f32_e32 v32, v32, v35
	v_add_f32_e32 v35, v40, v37
	s_delay_alu instid0(VALU_DEP_2) | instskip(NEXT) | instid1(VALU_DEP_2)
	v_add_f32_e32 v32, v36, v32
	v_sub_f32_e32 v36, v35, v40
	s_delay_alu instid0(VALU_DEP_2) | instskip(NEXT) | instid1(VALU_DEP_2)
	v_add_f32_e32 v32, v41, v32
	v_sub_f32_e32 v36, v37, v36
	s_delay_alu instid0(VALU_DEP_2) | instskip(NEXT) | instid1(VALU_DEP_1)
	v_mul_f32_e32 v32, v34, v32
	v_add_f32_e32 v32, v36, v32
	s_delay_alu instid0(VALU_DEP_1) | instskip(NEXT) | instid1(VALU_DEP_1)
	v_add_f32_e32 v34, v35, v32
	v_mul_f32_e32 v36, v34, v34
	s_delay_alu instid0(VALU_DEP_1) | instskip(SKIP_2) | instid1(VALU_DEP_3)
	v_fmaak_f32 v37, s0, v36, 0x3ecc95a3
	v_mul_f32_e32 v38, v34, v36
	v_cmp_eq_f32_e64 s0, 0x7f800000, v33
	v_fmaak_f32 v36, v36, v37, 0x3f2aaada
	v_ldexp_f32 v37, v34, 1
	v_sub_f32_e32 v34, v34, v35
	s_delay_alu instid0(VALU_DEP_4) | instskip(NEXT) | instid1(VALU_DEP_3)
	s_or_b32 s0, s0, s49
	v_mul_f32_e32 v36, v38, v36
	v_mul_f32_e32 v38, 0x3f317218, v31
	s_delay_alu instid0(VALU_DEP_2) | instskip(NEXT) | instid1(VALU_DEP_1)
	v_dual_sub_f32 v32, v32, v34 :: v_dual_add_f32 v35, v37, v36
	v_ldexp_f32 v32, v32, 1
	s_delay_alu instid0(VALU_DEP_2) | instskip(NEXT) | instid1(VALU_DEP_4)
	v_sub_f32_e32 v34, v35, v37
	v_fma_f32 v37, 0x3f317218, v31, -v38
	s_delay_alu instid0(VALU_DEP_1) | instskip(NEXT) | instid1(VALU_DEP_1)
	v_dual_sub_f32 v34, v36, v34 :: v_dual_fmamk_f32 v31, v31, 0xb102e308, v37
	v_add_f32_e32 v32, v32, v34
	s_delay_alu instid0(VALU_DEP_2) | instskip(NEXT) | instid1(VALU_DEP_2)
	v_add_f32_e32 v34, v38, v31
	v_add_f32_e32 v36, v35, v32
	s_delay_alu instid0(VALU_DEP_2) | instskip(NEXT) | instid1(VALU_DEP_2)
	v_sub_f32_e32 v38, v34, v38
	v_add_f32_e32 v37, v34, v36
	v_sub_f32_e32 v35, v36, v35
	s_delay_alu instid0(VALU_DEP_3) | instskip(NEXT) | instid1(VALU_DEP_2)
	v_sub_f32_e32 v31, v31, v38
	v_dual_sub_f32 v39, v37, v34 :: v_dual_sub_f32 v32, v32, v35
	s_delay_alu instid0(VALU_DEP_1) | instskip(NEXT) | instid1(VALU_DEP_2)
	v_sub_f32_e32 v40, v37, v39
	v_dual_sub_f32 v35, v36, v39 :: v_dual_add_f32 v36, v31, v32
	s_delay_alu instid0(VALU_DEP_2) | instskip(NEXT) | instid1(VALU_DEP_1)
	v_sub_f32_e32 v34, v34, v40
	v_dual_add_f32 v34, v35, v34 :: v_dual_sub_f32 v35, v36, v31
	s_delay_alu instid0(VALU_DEP_1) | instskip(NEXT) | instid1(VALU_DEP_2)
	v_add_f32_e32 v34, v36, v34
	v_sub_f32_e32 v36, v36, v35
	v_sub_f32_e32 v32, v32, v35
	s_delay_alu instid0(VALU_DEP_2) | instskip(NEXT) | instid1(VALU_DEP_1)
	v_dual_add_f32 v38, v37, v34 :: v_dual_sub_f32 v31, v31, v36
	v_sub_f32_e32 v35, v38, v37
	s_delay_alu instid0(VALU_DEP_2) | instskip(NEXT) | instid1(VALU_DEP_2)
	v_add_f32_e32 v31, v32, v31
	v_sub_f32_e32 v32, v34, v35
	s_delay_alu instid0(VALU_DEP_1) | instskip(NEXT) | instid1(VALU_DEP_1)
	v_add_f32_e32 v31, v31, v32
	v_add_f32_e32 v31, v38, v31
	s_delay_alu instid0(VALU_DEP_1) | instskip(NEXT) | instid1(VALU_DEP_1)
	v_cndmask_b32_e64 v31, v31, v33, s0
	v_add_f32_e32 v30, v30, v31
	s_delay_alu instid0(VALU_DEP_1)
	v_cvt_f16_f32_e32 v31, v30
.LBB400_115:
	s_or_b32 exec_lo, exec_lo, s1
	ds_store_b16 v28, v31 offset:2
.LBB400_116:
	s_or_b32 exec_lo, exec_lo, s48
	v_mul_u32_u24_e32 v28, 42, v0
	v_cmp_ne_u32_e64 s0, 0, v0
	s_waitcnt lgkmcnt(0)
	s_barrier
	buffer_gl0_inv
	s_and_saveexec_b32 s1, s0
	s_cbranch_execz .LBB400_118
; %bb.117:
	v_add_nc_u32_e32 v29, -1, v0
	s_delay_alu instid0(VALU_DEP_1) | instskip(NEXT) | instid1(VALU_DEP_1)
	v_lshrrev_b32_e32 v30, 5, v29
	v_add_lshl_u32 v29, v30, v29, 1
	ds_load_u16 v29, v29
.LBB400_118:
	s_or_b32 exec_lo, exec_lo, s1
	v_mov_b32_e32 v30, v2
	s_and_saveexec_b32 s1, s0
	s_cbranch_execz .LBB400_122
; %bb.119:
	s_waitcnt lgkmcnt(0)
	v_cvt_f32_f16_e32 v31, v29
	v_max_f32_e32 v2, v13, v13
	v_cmp_u_f16_e64 s0, v29, v29
	s_delay_alu instid0(VALU_DEP_2) | instskip(SKIP_1) | instid1(VALU_DEP_2)
	v_min_f32_e32 v26, v31, v2
	v_max_f32_e32 v2, v31, v2
	v_cndmask_b32_e64 v26, v26, v31, s0
	s_delay_alu instid0(VALU_DEP_2) | instskip(NEXT) | instid1(VALU_DEP_2)
	v_cndmask_b32_e64 v2, v2, v31, s0
	v_cndmask_b32_e64 v26, v26, v13, s45
	s_delay_alu instid0(VALU_DEP_2) | instskip(NEXT) | instid1(VALU_DEP_2)
	v_cndmask_b32_e64 v2, v2, v13, s45
	v_cmp_class_f32_e64 s45, v26, 0x1f8
	s_delay_alu instid0(VALU_DEP_2) | instskip(NEXT) | instid1(VALU_DEP_1)
	v_cmp_neq_f32_e64 s0, v26, v2
	s_or_b32 s0, s0, s45
	s_delay_alu instid0(SALU_CYCLE_1)
	s_and_saveexec_b32 s45, s0
	s_cbranch_execz .LBB400_121
; %bb.120:
	v_sub_f32_e32 v13, v26, v2
	s_delay_alu instid0(VALU_DEP_1) | instskip(SKIP_1) | instid1(VALU_DEP_2)
	v_mul_f32_e32 v26, 0x3fb8aa3b, v13
	v_cmp_ngt_f32_e64 s0, 0xc2ce8ed0, v13
	v_fma_f32 v27, 0x3fb8aa3b, v13, -v26
	v_rndne_f32_e32 v29, v26
	s_delay_alu instid0(VALU_DEP_1) | instskip(NEXT) | instid1(VALU_DEP_1)
	v_dual_fmamk_f32 v27, v13, 0x32a5705f, v27 :: v_dual_sub_f32 v26, v26, v29
	v_add_f32_e32 v26, v26, v27
	v_cvt_i32_f32_e32 v27, v29
	s_delay_alu instid0(VALU_DEP_2) | instskip(SKIP_2) | instid1(VALU_DEP_1)
	v_exp_f32_e32 v26, v26
	s_waitcnt_depctr 0xfff
	v_ldexp_f32 v26, v26, v27
	v_cndmask_b32_e64 v26, 0, v26, s0
	v_cmp_nlt_f32_e64 s0, 0x42b17218, v13
	s_delay_alu instid0(VALU_DEP_1) | instskip(NEXT) | instid1(VALU_DEP_1)
	v_cndmask_b32_e64 v13, 0x7f800000, v26, s0
	v_add_f32_e32 v29, 1.0, v13
	v_cmp_gt_f32_e64 s48, 0x33800000, |v13|
	s_delay_alu instid0(VALU_DEP_2) | instskip(NEXT) | instid1(VALU_DEP_1)
	v_cvt_f64_f32_e32 v[26:27], v29
	v_frexp_exp_i32_f64_e32 v26, v[26:27]
	v_frexp_mant_f32_e32 v27, v29
	s_delay_alu instid0(VALU_DEP_1) | instskip(SKIP_1) | instid1(VALU_DEP_1)
	v_cmp_gt_f32_e64 s0, 0x3f2aaaab, v27
	v_add_f32_e32 v27, -1.0, v29
	v_sub_f32_e32 v31, v27, v29
	v_sub_f32_e32 v27, v13, v27
	s_delay_alu instid0(VALU_DEP_4) | instskip(SKIP_1) | instid1(VALU_DEP_1)
	v_subrev_co_ci_u32_e64 v26, s0, 0, v26, s0
	s_mov_b32 s0, 0x3e9b6dac
	v_sub_nc_u32_e32 v30, 0, v26
	v_cvt_f32_i32_e32 v26, v26
	s_delay_alu instid0(VALU_DEP_2) | instskip(NEXT) | instid1(VALU_DEP_1)
	v_ldexp_f32 v29, v29, v30
	v_dual_add_f32 v31, 1.0, v31 :: v_dual_add_f32 v32, 1.0, v29
	s_delay_alu instid0(VALU_DEP_1) | instskip(NEXT) | instid1(VALU_DEP_2)
	v_add_f32_e32 v27, v27, v31
	v_add_f32_e32 v31, -1.0, v32
	s_delay_alu instid0(VALU_DEP_2) | instskip(NEXT) | instid1(VALU_DEP_2)
	v_ldexp_f32 v27, v27, v30
	v_dual_add_f32 v30, -1.0, v29 :: v_dual_sub_f32 v31, v29, v31
	s_delay_alu instid0(VALU_DEP_1) | instskip(NEXT) | instid1(VALU_DEP_2)
	v_add_f32_e32 v33, 1.0, v30
	v_add_f32_e32 v31, v27, v31
	s_delay_alu instid0(VALU_DEP_2) | instskip(NEXT) | instid1(VALU_DEP_2)
	v_sub_f32_e32 v29, v29, v33
	v_add_f32_e32 v33, v32, v31
	s_delay_alu instid0(VALU_DEP_2) | instskip(NEXT) | instid1(VALU_DEP_2)
	v_add_f32_e32 v27, v27, v29
	v_rcp_f32_e32 v29, v33
	v_sub_f32_e32 v32, v32, v33
	s_delay_alu instid0(VALU_DEP_1) | instskip(NEXT) | instid1(VALU_DEP_1)
	v_dual_add_f32 v34, v30, v27 :: v_dual_add_f32 v31, v31, v32
	v_sub_f32_e32 v30, v30, v34
	s_waitcnt_depctr 0xfff
	v_mul_f32_e32 v35, v34, v29
	s_delay_alu instid0(VALU_DEP_1) | instskip(NEXT) | instid1(VALU_DEP_1)
	v_dual_add_f32 v27, v27, v30 :: v_dual_mul_f32 v36, v33, v35
	v_fma_f32 v32, v35, v33, -v36
	s_delay_alu instid0(VALU_DEP_1) | instskip(NEXT) | instid1(VALU_DEP_1)
	v_fmac_f32_e32 v32, v35, v31
	v_add_f32_e32 v37, v36, v32
	s_delay_alu instid0(VALU_DEP_1) | instskip(SKIP_1) | instid1(VALU_DEP_2)
	v_sub_f32_e32 v38, v34, v37
	v_sub_f32_e32 v30, v37, v36
	;; [unrolled: 1-line block ×3, first 2 shown]
	s_delay_alu instid0(VALU_DEP_2) | instskip(NEXT) | instid1(VALU_DEP_2)
	v_sub_f32_e32 v30, v30, v32
	v_sub_f32_e32 v34, v34, v37
	s_delay_alu instid0(VALU_DEP_1) | instskip(NEXT) | instid1(VALU_DEP_1)
	v_add_f32_e32 v27, v27, v34
	v_add_f32_e32 v27, v30, v27
	s_delay_alu instid0(VALU_DEP_1) | instskip(NEXT) | instid1(VALU_DEP_1)
	v_add_f32_e32 v30, v38, v27
	v_mul_f32_e32 v32, v29, v30
	s_delay_alu instid0(VALU_DEP_1) | instskip(NEXT) | instid1(VALU_DEP_1)
	v_dual_sub_f32 v37, v38, v30 :: v_dual_mul_f32 v34, v33, v32
	v_fma_f32 v33, v32, v33, -v34
	s_delay_alu instid0(VALU_DEP_1) | instskip(NEXT) | instid1(VALU_DEP_1)
	v_fmac_f32_e32 v33, v32, v31
	v_add_f32_e32 v31, v34, v33
	s_delay_alu instid0(VALU_DEP_1) | instskip(SKIP_1) | instid1(VALU_DEP_2)
	v_sub_f32_e32 v36, v30, v31
	v_sub_f32_e32 v34, v31, v34
	v_dual_sub_f32 v30, v30, v36 :: v_dual_add_f32 v27, v27, v37
	s_delay_alu instid0(VALU_DEP_1) | instskip(NEXT) | instid1(VALU_DEP_1)
	v_sub_f32_e32 v30, v30, v31
	v_add_f32_e32 v27, v27, v30
	s_delay_alu instid0(VALU_DEP_4) | instskip(NEXT) | instid1(VALU_DEP_1)
	v_dual_add_f32 v30, v35, v32 :: v_dual_sub_f32 v31, v34, v33
	v_add_f32_e32 v27, v31, v27
	s_delay_alu instid0(VALU_DEP_2) | instskip(NEXT) | instid1(VALU_DEP_2)
	v_sub_f32_e32 v31, v30, v35
	v_add_f32_e32 v27, v36, v27
	s_delay_alu instid0(VALU_DEP_2) | instskip(NEXT) | instid1(VALU_DEP_2)
	v_sub_f32_e32 v31, v32, v31
	v_mul_f32_e32 v27, v29, v27
	s_delay_alu instid0(VALU_DEP_1) | instskip(NEXT) | instid1(VALU_DEP_1)
	v_add_f32_e32 v27, v31, v27
	v_add_f32_e32 v29, v30, v27
	s_delay_alu instid0(VALU_DEP_1) | instskip(NEXT) | instid1(VALU_DEP_1)
	v_mul_f32_e32 v31, v29, v29
	v_fmaak_f32 v32, s0, v31, 0x3ecc95a3
	v_mul_f32_e32 v33, v29, v31
	v_cmp_eq_f32_e64 s0, 0x7f800000, v13
	s_delay_alu instid0(VALU_DEP_3) | instskip(SKIP_2) | instid1(VALU_DEP_4)
	v_fmaak_f32 v31, v31, v32, 0x3f2aaada
	v_ldexp_f32 v32, v29, 1
	v_sub_f32_e32 v29, v29, v30
	s_or_b32 s0, s0, s48
	s_delay_alu instid0(VALU_DEP_3) | instskip(NEXT) | instid1(VALU_DEP_1)
	v_mul_f32_e32 v31, v33, v31
	v_dual_sub_f32 v27, v27, v29 :: v_dual_add_f32 v30, v32, v31
	s_delay_alu instid0(VALU_DEP_1) | instskip(NEXT) | instid1(VALU_DEP_2)
	v_ldexp_f32 v27, v27, 1
	v_sub_f32_e32 v29, v30, v32
	s_delay_alu instid0(VALU_DEP_1) | instskip(NEXT) | instid1(VALU_DEP_1)
	v_sub_f32_e32 v29, v31, v29
	v_add_f32_e32 v27, v27, v29
	s_delay_alu instid0(VALU_DEP_1) | instskip(SKIP_1) | instid1(VALU_DEP_2)
	v_add_f32_e32 v31, v30, v27
	v_mul_f32_e32 v33, 0x3f317218, v26
	v_sub_f32_e32 v30, v31, v30
	s_delay_alu instid0(VALU_DEP_2) | instskip(NEXT) | instid1(VALU_DEP_1)
	v_fma_f32 v32, 0x3f317218, v26, -v33
	v_dual_sub_f32 v27, v27, v30 :: v_dual_fmamk_f32 v26, v26, 0xb102e308, v32
	s_delay_alu instid0(VALU_DEP_1) | instskip(NEXT) | instid1(VALU_DEP_1)
	v_add_f32_e32 v29, v33, v26
	v_add_f32_e32 v32, v29, v31
	v_sub_f32_e32 v33, v29, v33
	s_delay_alu instid0(VALU_DEP_2) | instskip(NEXT) | instid1(VALU_DEP_1)
	v_sub_f32_e32 v34, v32, v29
	v_dual_sub_f32 v26, v26, v33 :: v_dual_sub_f32 v35, v32, v34
	s_delay_alu instid0(VALU_DEP_1) | instskip(NEXT) | instid1(VALU_DEP_2)
	v_dual_sub_f32 v30, v31, v34 :: v_dual_add_f32 v31, v26, v27
	v_sub_f32_e32 v29, v29, v35
	s_delay_alu instid0(VALU_DEP_1) | instskip(NEXT) | instid1(VALU_DEP_1)
	v_dual_add_f32 v29, v30, v29 :: v_dual_sub_f32 v30, v31, v26
	v_add_f32_e32 v29, v31, v29
	s_delay_alu instid0(VALU_DEP_2) | instskip(SKIP_1) | instid1(VALU_DEP_2)
	v_sub_f32_e32 v31, v31, v30
	v_sub_f32_e32 v27, v27, v30
	v_dual_add_f32 v33, v32, v29 :: v_dual_sub_f32 v26, v26, v31
	s_delay_alu instid0(VALU_DEP_1) | instskip(NEXT) | instid1(VALU_DEP_2)
	v_sub_f32_e32 v30, v33, v32
	v_add_f32_e32 v26, v27, v26
	s_delay_alu instid0(VALU_DEP_2) | instskip(NEXT) | instid1(VALU_DEP_1)
	v_sub_f32_e32 v27, v29, v30
	v_add_f32_e32 v26, v26, v27
	s_delay_alu instid0(VALU_DEP_1) | instskip(NEXT) | instid1(VALU_DEP_1)
	v_add_f32_e32 v26, v33, v26
	v_cndmask_b32_e64 v13, v26, v13, s0
	s_delay_alu instid0(VALU_DEP_1) | instskip(NEXT) | instid1(VALU_DEP_1)
	v_add_f32_e32 v2, v2, v13
	v_cvt_f16_f32_e32 v29, v2
	s_delay_alu instid0(VALU_DEP_1)
	v_cvt_f32_f16_e32 v31, v29
.LBB400_121:
	s_or_b32 exec_lo, exec_lo, s45
	v_dual_max_f32 v13, v14, v14 :: v_dual_mov_b32 v2, v29
	s_delay_alu instid0(VALU_DEP_2) | instskip(SKIP_1) | instid1(VALU_DEP_1)
	v_dual_max_f32 v27, v31, v31 :: v_dual_mov_b32 v30, v29
	;;#ASMSTART
	;;#ASMEND
	v_min_f32_e32 v26, v27, v13
	v_max_f32_e32 v27, v27, v13
	v_mov_b32_e32 v13, v31
.LBB400_122:
	s_or_b32 exec_lo, exec_lo, s1
	s_delay_alu instid0(VALU_DEP_1) | instskip(NEXT) | instid1(VALU_DEP_1)
	v_cmp_u_f16_e64 s0, v30, v30
	v_cndmask_b32_e64 v26, v26, v13, s0
	s_waitcnt lgkmcnt(0)
	v_cndmask_b32_e64 v29, v27, v13, s0
	s_delay_alu instid0(VALU_DEP_2) | instskip(NEXT) | instid1(VALU_DEP_2)
	v_cndmask_b32_e64 v27, v26, v14, s23
	v_cndmask_b32_e64 v26, v29, v14, s23
	v_mov_b32_e32 v14, v2
	s_delay_alu instid0(VALU_DEP_3) | instskip(NEXT) | instid1(VALU_DEP_3)
	v_cmp_class_f32_e64 s1, v27, 0x1f8
	v_cmp_neq_f32_e64 s0, v27, v26
	s_delay_alu instid0(VALU_DEP_1) | instskip(NEXT) | instid1(SALU_CYCLE_1)
	s_or_b32 s0, s0, s1
	s_and_saveexec_b32 s1, s0
	s_cbranch_execz .LBB400_124
; %bb.123:
	v_sub_f32_e32 v13, v27, v26
	s_delay_alu instid0(VALU_DEP_1) | instskip(NEXT) | instid1(VALU_DEP_1)
	v_mul_f32_e32 v14, 0x3fb8aa3b, v13
	v_fma_f32 v27, 0x3fb8aa3b, v13, -v14
	v_rndne_f32_e32 v29, v14
	s_delay_alu instid0(VALU_DEP_1) | instskip(SKIP_1) | instid1(VALU_DEP_2)
	v_dual_sub_f32 v14, v14, v29 :: v_dual_fmamk_f32 v27, v13, 0x32a5705f, v27
	v_cmp_ngt_f32_e64 s0, 0xc2ce8ed0, v13
	v_add_f32_e32 v14, v14, v27
	v_cvt_i32_f32_e32 v27, v29
	s_delay_alu instid0(VALU_DEP_2) | instskip(SKIP_2) | instid1(VALU_DEP_1)
	v_exp_f32_e32 v14, v14
	s_waitcnt_depctr 0xfff
	v_ldexp_f32 v14, v14, v27
	v_cndmask_b32_e64 v14, 0, v14, s0
	v_cmp_nlt_f32_e64 s0, 0x42b17218, v13
	s_delay_alu instid0(VALU_DEP_1) | instskip(NEXT) | instid1(VALU_DEP_1)
	v_cndmask_b32_e64 v27, 0x7f800000, v14, s0
	v_add_f32_e32 v29, 1.0, v27
	v_cmp_gt_f32_e64 s23, 0x33800000, |v27|
	s_delay_alu instid0(VALU_DEP_2) | instskip(NEXT) | instid1(VALU_DEP_1)
	v_cvt_f64_f32_e32 v[13:14], v29
	v_frexp_exp_i32_f64_e32 v13, v[13:14]
	v_frexp_mant_f32_e32 v14, v29
	s_delay_alu instid0(VALU_DEP_1) | instskip(SKIP_1) | instid1(VALU_DEP_1)
	v_cmp_gt_f32_e64 s0, 0x3f2aaaab, v14
	v_add_f32_e32 v14, -1.0, v29
	v_dual_sub_f32 v31, v14, v29 :: v_dual_sub_f32 v14, v27, v14
	s_delay_alu instid0(VALU_DEP_3) | instskip(SKIP_1) | instid1(VALU_DEP_1)
	v_subrev_co_ci_u32_e64 v13, s0, 0, v13, s0
	s_mov_b32 s0, 0x3e9b6dac
	v_sub_nc_u32_e32 v30, 0, v13
	v_cvt_f32_i32_e32 v13, v13
	s_delay_alu instid0(VALU_DEP_2) | instskip(NEXT) | instid1(VALU_DEP_1)
	v_ldexp_f32 v29, v29, v30
	v_dual_add_f32 v31, 1.0, v31 :: v_dual_add_f32 v32, 1.0, v29
	s_delay_alu instid0(VALU_DEP_1) | instskip(NEXT) | instid1(VALU_DEP_1)
	v_dual_add_f32 v14, v14, v31 :: v_dual_add_f32 v31, -1.0, v32
	v_ldexp_f32 v14, v14, v30
	s_delay_alu instid0(VALU_DEP_2) | instskip(NEXT) | instid1(VALU_DEP_1)
	v_dual_add_f32 v30, -1.0, v29 :: v_dual_sub_f32 v31, v29, v31
	v_add_f32_e32 v33, 1.0, v30
	s_delay_alu instid0(VALU_DEP_2) | instskip(NEXT) | instid1(VALU_DEP_2)
	v_add_f32_e32 v31, v14, v31
	v_sub_f32_e32 v29, v29, v33
	s_delay_alu instid0(VALU_DEP_1) | instskip(NEXT) | instid1(VALU_DEP_1)
	v_dual_add_f32 v33, v32, v31 :: v_dual_add_f32 v14, v14, v29
	v_rcp_f32_e32 v29, v33
	v_sub_f32_e32 v32, v32, v33
	s_delay_alu instid0(VALU_DEP_1) | instskip(NEXT) | instid1(VALU_DEP_1)
	v_dual_add_f32 v34, v30, v14 :: v_dual_add_f32 v31, v31, v32
	v_sub_f32_e32 v30, v30, v34
	s_waitcnt_depctr 0xfff
	v_mul_f32_e32 v35, v34, v29
	v_add_f32_e32 v14, v14, v30
	s_delay_alu instid0(VALU_DEP_2) | instskip(NEXT) | instid1(VALU_DEP_1)
	v_mul_f32_e32 v36, v33, v35
	v_fma_f32 v32, v35, v33, -v36
	s_delay_alu instid0(VALU_DEP_1) | instskip(NEXT) | instid1(VALU_DEP_1)
	v_fmac_f32_e32 v32, v35, v31
	v_add_f32_e32 v37, v36, v32
	s_delay_alu instid0(VALU_DEP_1) | instskip(SKIP_1) | instid1(VALU_DEP_2)
	v_sub_f32_e32 v38, v34, v37
	v_sub_f32_e32 v30, v37, v36
	;; [unrolled: 1-line block ×3, first 2 shown]
	s_delay_alu instid0(VALU_DEP_2) | instskip(NEXT) | instid1(VALU_DEP_2)
	v_sub_f32_e32 v30, v30, v32
	v_sub_f32_e32 v34, v34, v37
	s_delay_alu instid0(VALU_DEP_1) | instskip(NEXT) | instid1(VALU_DEP_1)
	v_add_f32_e32 v14, v14, v34
	v_add_f32_e32 v14, v30, v14
	s_delay_alu instid0(VALU_DEP_1) | instskip(NEXT) | instid1(VALU_DEP_1)
	v_add_f32_e32 v30, v38, v14
	v_mul_f32_e32 v32, v29, v30
	s_delay_alu instid0(VALU_DEP_1) | instskip(NEXT) | instid1(VALU_DEP_1)
	v_mul_f32_e32 v34, v33, v32
	v_fma_f32 v33, v32, v33, -v34
	s_delay_alu instid0(VALU_DEP_1) | instskip(SKIP_1) | instid1(VALU_DEP_2)
	v_fmac_f32_e32 v33, v32, v31
	v_sub_f32_e32 v37, v38, v30
	v_add_f32_e32 v31, v34, v33
	s_delay_alu instid0(VALU_DEP_2) | instskip(NEXT) | instid1(VALU_DEP_2)
	v_add_f32_e32 v14, v14, v37
	v_sub_f32_e32 v36, v30, v31
	v_sub_f32_e32 v34, v31, v34
	s_delay_alu instid0(VALU_DEP_2) | instskip(NEXT) | instid1(VALU_DEP_1)
	v_sub_f32_e32 v30, v30, v36
	v_sub_f32_e32 v30, v30, v31
	s_delay_alu instid0(VALU_DEP_3) | instskip(NEXT) | instid1(VALU_DEP_2)
	v_sub_f32_e32 v31, v34, v33
	v_add_f32_e32 v14, v14, v30
	v_add_f32_e32 v30, v35, v32
	s_delay_alu instid0(VALU_DEP_1) | instskip(NEXT) | instid1(VALU_DEP_1)
	v_dual_add_f32 v14, v31, v14 :: v_dual_sub_f32 v31, v30, v35
	v_add_f32_e32 v14, v36, v14
	s_delay_alu instid0(VALU_DEP_1) | instskip(NEXT) | instid1(VALU_DEP_1)
	v_dual_sub_f32 v31, v32, v31 :: v_dual_mul_f32 v14, v29, v14
	v_add_f32_e32 v14, v31, v14
	s_delay_alu instid0(VALU_DEP_1) | instskip(NEXT) | instid1(VALU_DEP_1)
	v_add_f32_e32 v29, v30, v14
	v_mul_f32_e32 v31, v29, v29
	s_delay_alu instid0(VALU_DEP_1) | instskip(SKIP_2) | instid1(VALU_DEP_3)
	v_fmaak_f32 v32, s0, v31, 0x3ecc95a3
	v_mul_f32_e32 v33, v29, v31
	v_cmp_eq_f32_e64 s0, 0x7f800000, v27
	v_fmaak_f32 v31, v31, v32, 0x3f2aaada
	v_ldexp_f32 v32, v29, 1
	v_sub_f32_e32 v29, v29, v30
	s_delay_alu instid0(VALU_DEP_4) | instskip(NEXT) | instid1(VALU_DEP_3)
	s_or_b32 s0, s0, s23
	v_mul_f32_e32 v31, v33, v31
	v_mul_f32_e32 v33, 0x3f317218, v13
	s_delay_alu instid0(VALU_DEP_3) | instskip(NEXT) | instid1(VALU_DEP_3)
	v_sub_f32_e32 v14, v14, v29
	v_add_f32_e32 v30, v32, v31
	s_delay_alu instid0(VALU_DEP_2) | instskip(NEXT) | instid1(VALU_DEP_2)
	v_ldexp_f32 v14, v14, 1
	v_sub_f32_e32 v29, v30, v32
	v_fma_f32 v32, 0x3f317218, v13, -v33
	s_delay_alu instid0(VALU_DEP_2) | instskip(NEXT) | instid1(VALU_DEP_1)
	v_sub_f32_e32 v29, v31, v29
	v_dual_fmamk_f32 v13, v13, 0xb102e308, v32 :: v_dual_add_f32 v14, v14, v29
	s_delay_alu instid0(VALU_DEP_1) | instskip(NEXT) | instid1(VALU_DEP_2)
	v_add_f32_e32 v29, v33, v13
	v_add_f32_e32 v31, v30, v14
	s_delay_alu instid0(VALU_DEP_2) | instskip(NEXT) | instid1(VALU_DEP_2)
	v_sub_f32_e32 v33, v29, v33
	v_add_f32_e32 v32, v29, v31
	s_delay_alu instid0(VALU_DEP_2) | instskip(NEXT) | instid1(VALU_DEP_2)
	v_sub_f32_e32 v13, v13, v33
	v_sub_f32_e32 v34, v32, v29
	;; [unrolled: 1-line block ×3, first 2 shown]
	s_delay_alu instid0(VALU_DEP_2) | instskip(NEXT) | instid1(VALU_DEP_2)
	v_sub_f32_e32 v35, v32, v34
	v_sub_f32_e32 v14, v14, v30
	s_delay_alu instid0(VALU_DEP_2) | instskip(NEXT) | instid1(VALU_DEP_2)
	v_dual_sub_f32 v30, v31, v34 :: v_dual_sub_f32 v29, v29, v35
	v_add_f32_e32 v31, v13, v14
	s_delay_alu instid0(VALU_DEP_2) | instskip(NEXT) | instid1(VALU_DEP_2)
	v_add_f32_e32 v29, v30, v29
	v_sub_f32_e32 v30, v31, v13
	s_delay_alu instid0(VALU_DEP_2) | instskip(NEXT) | instid1(VALU_DEP_2)
	v_add_f32_e32 v29, v31, v29
	v_sub_f32_e32 v31, v31, v30
	s_delay_alu instid0(VALU_DEP_2) | instskip(NEXT) | instid1(VALU_DEP_2)
	v_dual_sub_f32 v14, v14, v30 :: v_dual_add_f32 v33, v32, v29
	v_sub_f32_e32 v13, v13, v31
	s_delay_alu instid0(VALU_DEP_1) | instskip(NEXT) | instid1(VALU_DEP_1)
	v_dual_sub_f32 v30, v33, v32 :: v_dual_add_f32 v13, v14, v13
	v_sub_f32_e32 v14, v29, v30
	s_delay_alu instid0(VALU_DEP_1) | instskip(NEXT) | instid1(VALU_DEP_1)
	v_add_f32_e32 v13, v13, v14
	v_add_f32_e32 v13, v33, v13
	s_delay_alu instid0(VALU_DEP_1) | instskip(NEXT) | instid1(VALU_DEP_1)
	v_cndmask_b32_e64 v13, v13, v27, s0
	v_add_f32_e32 v13, v26, v13
	s_delay_alu instid0(VALU_DEP_1) | instskip(NEXT) | instid1(VALU_DEP_1)
	v_cvt_f16_f32_e32 v30, v13
	v_cvt_f32_f16_e32 v13, v30
	v_mov_b32_e32 v14, v30
.LBB400_124:
	s_or_b32 exec_lo, exec_lo, s1
	s_delay_alu instid0(VALU_DEP_2) | instskip(SKIP_1) | instid1(VALU_DEP_2)
	v_dual_max_f32 v26, v15, v15 :: v_dual_max_f32 v27, v13, v13
	v_cmp_u_f16_e64 s0, v30, v30
	v_min_f32_e32 v29, v27, v26
	v_max_f32_e32 v26, v27, v26
	s_delay_alu instid0(VALU_DEP_2) | instskip(NEXT) | instid1(VALU_DEP_2)
	v_cndmask_b32_e64 v27, v29, v13, s0
	v_cndmask_b32_e64 v26, v26, v13, s0
	s_delay_alu instid0(VALU_DEP_2) | instskip(NEXT) | instid1(VALU_DEP_2)
	v_cndmask_b32_e64 v27, v27, v15, s24
	v_cndmask_b32_e64 v26, v26, v15, s24
	v_mov_b32_e32 v15, v14
	s_delay_alu instid0(VALU_DEP_3) | instskip(NEXT) | instid1(VALU_DEP_3)
	v_cmp_class_f32_e64 s1, v27, 0x1f8
	v_cmp_neq_f32_e64 s0, v27, v26
	s_delay_alu instid0(VALU_DEP_1) | instskip(NEXT) | instid1(SALU_CYCLE_1)
	s_or_b32 s0, s0, s1
	s_and_saveexec_b32 s1, s0
	s_cbranch_execz .LBB400_126
; %bb.125:
	v_sub_f32_e32 v13, v27, v26
	s_delay_alu instid0(VALU_DEP_1) | instskip(SKIP_1) | instid1(VALU_DEP_2)
	v_mul_f32_e32 v15, 0x3fb8aa3b, v13
	v_cmp_ngt_f32_e64 s0, 0xc2ce8ed0, v13
	v_fma_f32 v27, 0x3fb8aa3b, v13, -v15
	v_rndne_f32_e32 v29, v15
	s_delay_alu instid0(VALU_DEP_2) | instskip(NEXT) | instid1(VALU_DEP_2)
	v_fmamk_f32 v27, v13, 0x32a5705f, v27
	v_sub_f32_e32 v15, v15, v29
	s_delay_alu instid0(VALU_DEP_1) | instskip(SKIP_1) | instid1(VALU_DEP_2)
	v_add_f32_e32 v15, v15, v27
	v_cvt_i32_f32_e32 v27, v29
	v_exp_f32_e32 v15, v15
	s_waitcnt_depctr 0xfff
	v_ldexp_f32 v15, v15, v27
	s_delay_alu instid0(VALU_DEP_1) | instskip(SKIP_1) | instid1(VALU_DEP_1)
	v_cndmask_b32_e64 v15, 0, v15, s0
	v_cmp_nlt_f32_e64 s0, 0x42b17218, v13
	v_cndmask_b32_e64 v13, 0x7f800000, v15, s0
	s_delay_alu instid0(VALU_DEP_1) | instskip(SKIP_1) | instid1(VALU_DEP_2)
	v_add_f32_e32 v15, 1.0, v13
	v_cmp_gt_f32_e64 s23, 0x33800000, |v13|
	v_cvt_f64_f32_e32 v[29:30], v15
	s_delay_alu instid0(VALU_DEP_1) | instskip(SKIP_1) | instid1(VALU_DEP_1)
	v_frexp_exp_i32_f64_e32 v27, v[29:30]
	v_frexp_mant_f32_e32 v29, v15
	v_cmp_gt_f32_e64 s0, 0x3f2aaaab, v29
	v_add_f32_e32 v29, -1.0, v15
	s_delay_alu instid0(VALU_DEP_1) | instskip(SKIP_1) | instid1(VALU_DEP_2)
	v_sub_f32_e32 v31, v29, v15
	v_sub_f32_e32 v29, v13, v29
	v_add_f32_e32 v31, 1.0, v31
	s_delay_alu instid0(VALU_DEP_1) | instskip(SKIP_2) | instid1(VALU_DEP_1)
	v_add_f32_e32 v29, v29, v31
	v_subrev_co_ci_u32_e64 v27, s0, 0, v27, s0
	s_mov_b32 s0, 0x3e9b6dac
	v_sub_nc_u32_e32 v30, 0, v27
	v_cvt_f32_i32_e32 v27, v27
	s_delay_alu instid0(VALU_DEP_2) | instskip(SKIP_1) | instid1(VALU_DEP_2)
	v_ldexp_f32 v15, v15, v30
	v_ldexp_f32 v29, v29, v30
	v_add_f32_e32 v32, 1.0, v15
	s_delay_alu instid0(VALU_DEP_1) | instskip(NEXT) | instid1(VALU_DEP_1)
	v_dual_add_f32 v30, -1.0, v15 :: v_dual_add_f32 v31, -1.0, v32
	v_add_f32_e32 v33, 1.0, v30
	s_delay_alu instid0(VALU_DEP_2) | instskip(NEXT) | instid1(VALU_DEP_2)
	v_sub_f32_e32 v31, v15, v31
	v_sub_f32_e32 v15, v15, v33
	s_delay_alu instid0(VALU_DEP_2) | instskip(NEXT) | instid1(VALU_DEP_2)
	v_add_f32_e32 v31, v29, v31
	v_add_f32_e32 v15, v29, v15
	s_delay_alu instid0(VALU_DEP_2) | instskip(NEXT) | instid1(VALU_DEP_2)
	v_add_f32_e32 v33, v32, v31
	v_add_f32_e32 v34, v30, v15
	s_delay_alu instid0(VALU_DEP_2) | instskip(SKIP_1) | instid1(VALU_DEP_1)
	v_rcp_f32_e32 v29, v33
	v_sub_f32_e32 v32, v32, v33
	v_dual_sub_f32 v30, v30, v34 :: v_dual_add_f32 v31, v31, v32
	s_delay_alu instid0(VALU_DEP_1) | instskip(SKIP_2) | instid1(VALU_DEP_1)
	v_add_f32_e32 v15, v15, v30
	s_waitcnt_depctr 0xfff
	v_mul_f32_e32 v35, v34, v29
	v_mul_f32_e32 v36, v33, v35
	s_delay_alu instid0(VALU_DEP_1) | instskip(NEXT) | instid1(VALU_DEP_1)
	v_fma_f32 v32, v35, v33, -v36
	v_fmac_f32_e32 v32, v35, v31
	s_delay_alu instid0(VALU_DEP_1) | instskip(NEXT) | instid1(VALU_DEP_1)
	v_add_f32_e32 v37, v36, v32
	v_sub_f32_e32 v38, v34, v37
	v_sub_f32_e32 v30, v37, v36
	s_delay_alu instid0(VALU_DEP_2) | instskip(NEXT) | instid1(VALU_DEP_2)
	v_sub_f32_e32 v34, v34, v38
	v_sub_f32_e32 v30, v30, v32
	s_delay_alu instid0(VALU_DEP_2) | instskip(NEXT) | instid1(VALU_DEP_1)
	v_sub_f32_e32 v34, v34, v37
	v_add_f32_e32 v15, v15, v34
	s_delay_alu instid0(VALU_DEP_1) | instskip(NEXT) | instid1(VALU_DEP_1)
	v_add_f32_e32 v15, v30, v15
	v_add_f32_e32 v30, v38, v15
	s_delay_alu instid0(VALU_DEP_1) | instskip(NEXT) | instid1(VALU_DEP_1)
	v_mul_f32_e32 v32, v29, v30
	v_dual_sub_f32 v37, v38, v30 :: v_dual_mul_f32 v34, v33, v32
	s_delay_alu instid0(VALU_DEP_1) | instskip(NEXT) | instid1(VALU_DEP_2)
	v_add_f32_e32 v15, v15, v37
	v_fma_f32 v33, v32, v33, -v34
	s_delay_alu instid0(VALU_DEP_1) | instskip(NEXT) | instid1(VALU_DEP_1)
	v_fmac_f32_e32 v33, v32, v31
	v_add_f32_e32 v31, v34, v33
	s_delay_alu instid0(VALU_DEP_1) | instskip(SKIP_1) | instid1(VALU_DEP_2)
	v_sub_f32_e32 v36, v30, v31
	v_sub_f32_e32 v34, v31, v34
	v_sub_f32_e32 v30, v30, v36
	s_delay_alu instid0(VALU_DEP_1) | instskip(NEXT) | instid1(VALU_DEP_3)
	v_sub_f32_e32 v30, v30, v31
	v_sub_f32_e32 v31, v34, v33
	s_delay_alu instid0(VALU_DEP_2) | instskip(SKIP_1) | instid1(VALU_DEP_2)
	v_add_f32_e32 v15, v15, v30
	v_add_f32_e32 v30, v35, v32
	;; [unrolled: 1-line block ×3, first 2 shown]
	s_delay_alu instid0(VALU_DEP_2) | instskip(NEXT) | instid1(VALU_DEP_2)
	v_sub_f32_e32 v31, v30, v35
	v_add_f32_e32 v15, v36, v15
	s_delay_alu instid0(VALU_DEP_2) | instskip(NEXT) | instid1(VALU_DEP_2)
	v_sub_f32_e32 v31, v32, v31
	v_mul_f32_e32 v15, v29, v15
	s_delay_alu instid0(VALU_DEP_1) | instskip(NEXT) | instid1(VALU_DEP_1)
	v_add_f32_e32 v15, v31, v15
	v_add_f32_e32 v29, v30, v15
	s_delay_alu instid0(VALU_DEP_1) | instskip(NEXT) | instid1(VALU_DEP_1)
	v_mul_f32_e32 v31, v29, v29
	v_fmaak_f32 v32, s0, v31, 0x3ecc95a3
	v_mul_f32_e32 v33, v29, v31
	v_cmp_eq_f32_e64 s0, 0x7f800000, v13
	s_delay_alu instid0(VALU_DEP_3) | instskip(SKIP_2) | instid1(VALU_DEP_4)
	v_fmaak_f32 v31, v31, v32, 0x3f2aaada
	v_ldexp_f32 v32, v29, 1
	v_sub_f32_e32 v29, v29, v30
	s_or_b32 s0, s0, s23
	s_delay_alu instid0(VALU_DEP_3) | instskip(SKIP_1) | instid1(VALU_DEP_2)
	v_mul_f32_e32 v31, v33, v31
	v_mul_f32_e32 v33, 0x3f317218, v27
	v_dual_sub_f32 v15, v15, v29 :: v_dual_add_f32 v30, v32, v31
	s_delay_alu instid0(VALU_DEP_1) | instskip(NEXT) | instid1(VALU_DEP_2)
	v_ldexp_f32 v15, v15, 1
	v_sub_f32_e32 v29, v30, v32
	s_delay_alu instid0(VALU_DEP_4) | instskip(NEXT) | instid1(VALU_DEP_2)
	v_fma_f32 v32, 0x3f317218, v27, -v33
	v_sub_f32_e32 v29, v31, v29
	s_delay_alu instid0(VALU_DEP_2) | instskip(NEXT) | instid1(VALU_DEP_2)
	v_fmamk_f32 v27, v27, 0xb102e308, v32
	v_add_f32_e32 v15, v15, v29
	s_delay_alu instid0(VALU_DEP_2) | instskip(NEXT) | instid1(VALU_DEP_2)
	v_add_f32_e32 v29, v33, v27
	v_add_f32_e32 v31, v30, v15
	s_delay_alu instid0(VALU_DEP_2) | instskip(NEXT) | instid1(VALU_DEP_2)
	v_sub_f32_e32 v33, v29, v33
	v_add_f32_e32 v32, v29, v31
	v_sub_f32_e32 v30, v31, v30
	s_delay_alu instid0(VALU_DEP_3) | instskip(NEXT) | instid1(VALU_DEP_2)
	v_sub_f32_e32 v27, v27, v33
	v_dual_sub_f32 v34, v32, v29 :: v_dual_sub_f32 v15, v15, v30
	s_delay_alu instid0(VALU_DEP_1) | instskip(SKIP_1) | instid1(VALU_DEP_3)
	v_sub_f32_e32 v35, v32, v34
	v_sub_f32_e32 v30, v31, v34
	v_add_f32_e32 v31, v27, v15
	s_delay_alu instid0(VALU_DEP_3) | instskip(NEXT) | instid1(VALU_DEP_1)
	v_sub_f32_e32 v29, v29, v35
	v_dual_add_f32 v29, v30, v29 :: v_dual_sub_f32 v30, v31, v27
	s_delay_alu instid0(VALU_DEP_1) | instskip(NEXT) | instid1(VALU_DEP_2)
	v_add_f32_e32 v29, v31, v29
	v_sub_f32_e32 v31, v31, v30
	v_sub_f32_e32 v15, v15, v30
	s_delay_alu instid0(VALU_DEP_3) | instskip(NEXT) | instid1(VALU_DEP_1)
	v_add_f32_e32 v33, v32, v29
	v_dual_sub_f32 v27, v27, v31 :: v_dual_sub_f32 v30, v33, v32
	s_delay_alu instid0(VALU_DEP_1) | instskip(NEXT) | instid1(VALU_DEP_2)
	v_add_f32_e32 v15, v15, v27
	v_sub_f32_e32 v27, v29, v30
	s_delay_alu instid0(VALU_DEP_1) | instskip(NEXT) | instid1(VALU_DEP_1)
	v_add_f32_e32 v15, v15, v27
	v_add_f32_e32 v15, v33, v15
	s_delay_alu instid0(VALU_DEP_1) | instskip(NEXT) | instid1(VALU_DEP_1)
	v_cndmask_b32_e64 v13, v15, v13, s0
	v_add_f32_e32 v13, v26, v13
	s_delay_alu instid0(VALU_DEP_1) | instskip(NEXT) | instid1(VALU_DEP_1)
	v_cvt_f16_f32_e32 v30, v13
	v_cvt_f32_f16_e32 v13, v30
	v_mov_b32_e32 v15, v30
.LBB400_126:
	s_or_b32 exec_lo, exec_lo, s1
	s_delay_alu instid0(VALU_DEP_2) | instskip(SKIP_1) | instid1(VALU_DEP_2)
	v_dual_max_f32 v26, v16, v16 :: v_dual_max_f32 v27, v13, v13
	v_cmp_u_f16_e64 s0, v30, v30
	v_min_f32_e32 v29, v27, v26
	v_max_f32_e32 v26, v27, v26
	s_delay_alu instid0(VALU_DEP_2) | instskip(NEXT) | instid1(VALU_DEP_2)
	v_cndmask_b32_e64 v27, v29, v13, s0
	v_cndmask_b32_e64 v26, v26, v13, s0
	s_delay_alu instid0(VALU_DEP_2) | instskip(NEXT) | instid1(VALU_DEP_2)
	v_cndmask_b32_e64 v27, v27, v16, s25
	v_cndmask_b32_e64 v26, v26, v16, s25
	v_mov_b32_e32 v16, v15
	s_delay_alu instid0(VALU_DEP_3) | instskip(NEXT) | instid1(VALU_DEP_3)
	v_cmp_class_f32_e64 s1, v27, 0x1f8
	v_cmp_neq_f32_e64 s0, v27, v26
	s_delay_alu instid0(VALU_DEP_1) | instskip(NEXT) | instid1(SALU_CYCLE_1)
	s_or_b32 s0, s0, s1
	s_and_saveexec_b32 s1, s0
	s_cbranch_execz .LBB400_128
; %bb.127:
	v_sub_f32_e32 v13, v27, v26
	s_delay_alu instid0(VALU_DEP_1) | instskip(NEXT) | instid1(VALU_DEP_1)
	v_mul_f32_e32 v16, 0x3fb8aa3b, v13
	v_fma_f32 v27, 0x3fb8aa3b, v13, -v16
	v_rndne_f32_e32 v29, v16
	s_delay_alu instid0(VALU_DEP_1) | instskip(SKIP_1) | instid1(VALU_DEP_2)
	v_dual_sub_f32 v16, v16, v29 :: v_dual_fmamk_f32 v27, v13, 0x32a5705f, v27
	v_cmp_ngt_f32_e64 s0, 0xc2ce8ed0, v13
	v_add_f32_e32 v16, v16, v27
	v_cvt_i32_f32_e32 v27, v29
	s_delay_alu instid0(VALU_DEP_2) | instskip(SKIP_2) | instid1(VALU_DEP_1)
	v_exp_f32_e32 v16, v16
	s_waitcnt_depctr 0xfff
	v_ldexp_f32 v16, v16, v27
	v_cndmask_b32_e64 v16, 0, v16, s0
	v_cmp_nlt_f32_e64 s0, 0x42b17218, v13
	s_delay_alu instid0(VALU_DEP_1) | instskip(NEXT) | instid1(VALU_DEP_1)
	v_cndmask_b32_e64 v13, 0x7f800000, v16, s0
	v_add_f32_e32 v16, 1.0, v13
	v_cmp_gt_f32_e64 s23, 0x33800000, |v13|
	s_delay_alu instid0(VALU_DEP_2) | instskip(NEXT) | instid1(VALU_DEP_1)
	v_cvt_f64_f32_e32 v[29:30], v16
	v_frexp_exp_i32_f64_e32 v27, v[29:30]
	v_frexp_mant_f32_e32 v29, v16
	s_delay_alu instid0(VALU_DEP_1) | instskip(SKIP_1) | instid1(VALU_DEP_1)
	v_cmp_gt_f32_e64 s0, 0x3f2aaaab, v29
	v_add_f32_e32 v29, -1.0, v16
	v_sub_f32_e32 v31, v29, v16
	v_sub_f32_e32 v29, v13, v29
	s_delay_alu instid0(VALU_DEP_2) | instskip(NEXT) | instid1(VALU_DEP_1)
	v_add_f32_e32 v31, 1.0, v31
	v_add_f32_e32 v29, v29, v31
	v_subrev_co_ci_u32_e64 v27, s0, 0, v27, s0
	s_mov_b32 s0, 0x3e9b6dac
	s_delay_alu instid0(VALU_DEP_1) | instskip(SKIP_1) | instid1(VALU_DEP_2)
	v_sub_nc_u32_e32 v30, 0, v27
	v_cvt_f32_i32_e32 v27, v27
	v_ldexp_f32 v16, v16, v30
	v_ldexp_f32 v29, v29, v30
	s_delay_alu instid0(VALU_DEP_2) | instskip(NEXT) | instid1(VALU_DEP_1)
	v_add_f32_e32 v32, 1.0, v16
	v_add_f32_e32 v31, -1.0, v32
	s_delay_alu instid0(VALU_DEP_1) | instskip(NEXT) | instid1(VALU_DEP_1)
	v_dual_add_f32 v30, -1.0, v16 :: v_dual_sub_f32 v31, v16, v31
	v_add_f32_e32 v33, 1.0, v30
	s_delay_alu instid0(VALU_DEP_1) | instskip(NEXT) | instid1(VALU_DEP_1)
	v_sub_f32_e32 v16, v16, v33
	v_add_f32_e32 v16, v29, v16
	s_delay_alu instid0(VALU_DEP_1) | instskip(NEXT) | instid1(VALU_DEP_1)
	v_dual_add_f32 v31, v29, v31 :: v_dual_add_f32 v34, v30, v16
	v_dual_add_f32 v33, v32, v31 :: v_dual_sub_f32 v30, v30, v34
	s_delay_alu instid0(VALU_DEP_1) | instskip(SKIP_1) | instid1(VALU_DEP_1)
	v_rcp_f32_e32 v29, v33
	v_sub_f32_e32 v32, v32, v33
	v_dual_add_f32 v16, v16, v30 :: v_dual_add_f32 v31, v31, v32
	s_waitcnt_depctr 0xfff
	v_mul_f32_e32 v35, v34, v29
	s_delay_alu instid0(VALU_DEP_1) | instskip(NEXT) | instid1(VALU_DEP_1)
	v_mul_f32_e32 v36, v33, v35
	v_fma_f32 v32, v35, v33, -v36
	s_delay_alu instid0(VALU_DEP_1) | instskip(NEXT) | instid1(VALU_DEP_1)
	v_fmac_f32_e32 v32, v35, v31
	v_add_f32_e32 v37, v36, v32
	s_delay_alu instid0(VALU_DEP_1) | instskip(NEXT) | instid1(VALU_DEP_1)
	v_sub_f32_e32 v38, v34, v37
	v_sub_f32_e32 v34, v34, v38
	;; [unrolled: 1-line block ×3, first 2 shown]
	s_delay_alu instid0(VALU_DEP_2) | instskip(NEXT) | instid1(VALU_DEP_2)
	v_sub_f32_e32 v34, v34, v37
	v_sub_f32_e32 v30, v30, v32
	s_delay_alu instid0(VALU_DEP_2) | instskip(NEXT) | instid1(VALU_DEP_1)
	v_add_f32_e32 v16, v16, v34
	v_add_f32_e32 v16, v30, v16
	s_delay_alu instid0(VALU_DEP_1) | instskip(NEXT) | instid1(VALU_DEP_1)
	v_add_f32_e32 v30, v38, v16
	v_mul_f32_e32 v32, v29, v30
	s_delay_alu instid0(VALU_DEP_1) | instskip(NEXT) | instid1(VALU_DEP_1)
	v_dual_sub_f32 v37, v38, v30 :: v_dual_mul_f32 v34, v33, v32
	v_add_f32_e32 v16, v16, v37
	s_delay_alu instid0(VALU_DEP_2) | instskip(NEXT) | instid1(VALU_DEP_1)
	v_fma_f32 v33, v32, v33, -v34
	v_fmac_f32_e32 v33, v32, v31
	s_delay_alu instid0(VALU_DEP_1) | instskip(NEXT) | instid1(VALU_DEP_1)
	v_add_f32_e32 v31, v34, v33
	v_sub_f32_e32 v36, v30, v31
	s_delay_alu instid0(VALU_DEP_1) | instskip(NEXT) | instid1(VALU_DEP_1)
	v_sub_f32_e32 v30, v30, v36
	v_sub_f32_e32 v30, v30, v31
	s_delay_alu instid0(VALU_DEP_1) | instskip(SKIP_2) | instid1(VALU_DEP_1)
	v_add_f32_e32 v16, v16, v30
	v_add_f32_e32 v30, v35, v32
	v_sub_f32_e32 v34, v31, v34
	v_sub_f32_e32 v31, v34, v33
	s_delay_alu instid0(VALU_DEP_1) | instskip(NEXT) | instid1(VALU_DEP_1)
	v_dual_add_f32 v16, v31, v16 :: v_dual_sub_f32 v31, v30, v35
	v_add_f32_e32 v16, v36, v16
	s_delay_alu instid0(VALU_DEP_1) | instskip(NEXT) | instid1(VALU_DEP_1)
	v_dual_sub_f32 v31, v32, v31 :: v_dual_mul_f32 v16, v29, v16
	v_add_f32_e32 v16, v31, v16
	s_delay_alu instid0(VALU_DEP_1) | instskip(NEXT) | instid1(VALU_DEP_1)
	v_add_f32_e32 v29, v30, v16
	v_mul_f32_e32 v31, v29, v29
	s_delay_alu instid0(VALU_DEP_1) | instskip(SKIP_2) | instid1(VALU_DEP_3)
	v_fmaak_f32 v32, s0, v31, 0x3ecc95a3
	v_mul_f32_e32 v33, v29, v31
	v_cmp_eq_f32_e64 s0, 0x7f800000, v13
	v_fmaak_f32 v31, v31, v32, 0x3f2aaada
	v_ldexp_f32 v32, v29, 1
	v_sub_f32_e32 v29, v29, v30
	s_delay_alu instid0(VALU_DEP_4) | instskip(NEXT) | instid1(VALU_DEP_3)
	s_or_b32 s0, s0, s23
	v_mul_f32_e32 v31, v33, v31
	s_delay_alu instid0(VALU_DEP_2) | instskip(NEXT) | instid1(VALU_DEP_2)
	v_dual_mul_f32 v33, 0x3f317218, v27 :: v_dual_sub_f32 v16, v16, v29
	v_add_f32_e32 v30, v32, v31
	s_delay_alu instid0(VALU_DEP_2) | instskip(NEXT) | instid1(VALU_DEP_2)
	v_ldexp_f32 v16, v16, 1
	v_sub_f32_e32 v29, v30, v32
	s_delay_alu instid0(VALU_DEP_4) | instskip(NEXT) | instid1(VALU_DEP_2)
	v_fma_f32 v32, 0x3f317218, v27, -v33
	v_sub_f32_e32 v29, v31, v29
	s_delay_alu instid0(VALU_DEP_1) | instskip(NEXT) | instid1(VALU_DEP_1)
	v_dual_fmamk_f32 v27, v27, 0xb102e308, v32 :: v_dual_add_f32 v16, v16, v29
	v_add_f32_e32 v29, v33, v27
	s_delay_alu instid0(VALU_DEP_1) | instskip(NEXT) | instid1(VALU_DEP_1)
	v_sub_f32_e32 v33, v29, v33
	v_sub_f32_e32 v27, v27, v33
	s_delay_alu instid0(VALU_DEP_4) | instskip(NEXT) | instid1(VALU_DEP_1)
	v_add_f32_e32 v31, v30, v16
	v_sub_f32_e32 v30, v31, v30
	s_delay_alu instid0(VALU_DEP_1) | instskip(SKIP_1) | instid1(VALU_DEP_1)
	v_sub_f32_e32 v16, v16, v30
	v_add_f32_e32 v32, v29, v31
	v_sub_f32_e32 v34, v32, v29
	s_delay_alu instid0(VALU_DEP_1) | instskip(NEXT) | instid1(VALU_DEP_4)
	v_sub_f32_e32 v30, v31, v34
	v_add_f32_e32 v31, v27, v16
	v_sub_f32_e32 v35, v32, v34
	s_delay_alu instid0(VALU_DEP_1) | instskip(NEXT) | instid1(VALU_DEP_1)
	v_sub_f32_e32 v29, v29, v35
	v_dual_add_f32 v29, v30, v29 :: v_dual_sub_f32 v30, v31, v27
	s_delay_alu instid0(VALU_DEP_1) | instskip(SKIP_1) | instid1(VALU_DEP_2)
	v_dual_add_f32 v29, v31, v29 :: v_dual_sub_f32 v16, v16, v30
	v_sub_f32_e32 v31, v31, v30
	v_add_f32_e32 v33, v32, v29
	s_delay_alu instid0(VALU_DEP_1) | instskip(NEXT) | instid1(VALU_DEP_1)
	v_dual_sub_f32 v27, v27, v31 :: v_dual_sub_f32 v30, v33, v32
	v_dual_add_f32 v16, v16, v27 :: v_dual_sub_f32 v27, v29, v30
	s_delay_alu instid0(VALU_DEP_1) | instskip(NEXT) | instid1(VALU_DEP_1)
	v_add_f32_e32 v16, v16, v27
	v_add_f32_e32 v16, v33, v16
	s_delay_alu instid0(VALU_DEP_1) | instskip(NEXT) | instid1(VALU_DEP_1)
	v_cndmask_b32_e64 v13, v16, v13, s0
	v_add_f32_e32 v13, v26, v13
	s_delay_alu instid0(VALU_DEP_1) | instskip(NEXT) | instid1(VALU_DEP_1)
	v_cvt_f16_f32_e32 v30, v13
	v_cvt_f32_f16_e32 v13, v30
	v_mov_b32_e32 v16, v30
.LBB400_128:
	s_or_b32 exec_lo, exec_lo, s1
	s_delay_alu instid0(VALU_DEP_2) | instskip(SKIP_1) | instid1(VALU_DEP_2)
	v_dual_max_f32 v26, v3, v3 :: v_dual_max_f32 v27, v13, v13
	v_cmp_u_f16_e64 s0, v30, v30
	v_min_f32_e32 v29, v27, v26
	v_max_f32_e32 v26, v27, v26
	s_delay_alu instid0(VALU_DEP_2) | instskip(NEXT) | instid1(VALU_DEP_2)
	v_cndmask_b32_e64 v27, v29, v13, s0
	v_cndmask_b32_e64 v26, v26, v13, s0
	s_delay_alu instid0(VALU_DEP_2) | instskip(NEXT) | instid1(VALU_DEP_2)
	v_cndmask_b32_e64 v27, v27, v3, s26
	v_cndmask_b32_e64 v26, v26, v3, s26
	v_mov_b32_e32 v3, v16
	s_delay_alu instid0(VALU_DEP_3) | instskip(NEXT) | instid1(VALU_DEP_3)
	v_cmp_class_f32_e64 s1, v27, 0x1f8
	v_cmp_neq_f32_e64 s0, v27, v26
	s_delay_alu instid0(VALU_DEP_1) | instskip(NEXT) | instid1(SALU_CYCLE_1)
	s_or_b32 s0, s0, s1
	s_and_saveexec_b32 s1, s0
	s_cbranch_execz .LBB400_130
; %bb.129:
	v_sub_f32_e32 v3, v27, v26
	s_delay_alu instid0(VALU_DEP_1) | instskip(SKIP_1) | instid1(VALU_DEP_2)
	v_mul_f32_e32 v13, 0x3fb8aa3b, v3
	v_cmp_ngt_f32_e64 s0, 0xc2ce8ed0, v3
	v_fma_f32 v27, 0x3fb8aa3b, v3, -v13
	v_rndne_f32_e32 v29, v13
	s_delay_alu instid0(VALU_DEP_2) | instskip(NEXT) | instid1(VALU_DEP_2)
	v_fmamk_f32 v27, v3, 0x32a5705f, v27
	v_sub_f32_e32 v13, v13, v29
	s_delay_alu instid0(VALU_DEP_1) | instskip(SKIP_1) | instid1(VALU_DEP_2)
	v_add_f32_e32 v13, v13, v27
	v_cvt_i32_f32_e32 v27, v29
	v_exp_f32_e32 v13, v13
	s_waitcnt_depctr 0xfff
	v_ldexp_f32 v13, v13, v27
	s_delay_alu instid0(VALU_DEP_1) | instskip(SKIP_1) | instid1(VALU_DEP_1)
	v_cndmask_b32_e64 v13, 0, v13, s0
	v_cmp_nlt_f32_e64 s0, 0x42b17218, v3
	v_cndmask_b32_e64 v3, 0x7f800000, v13, s0
	s_delay_alu instid0(VALU_DEP_1) | instskip(SKIP_1) | instid1(VALU_DEP_2)
	v_add_f32_e32 v13, 1.0, v3
	v_cmp_gt_f32_e64 s23, 0x33800000, |v3|
	v_cvt_f64_f32_e32 v[29:30], v13
	s_delay_alu instid0(VALU_DEP_1) | instskip(SKIP_1) | instid1(VALU_DEP_1)
	v_frexp_exp_i32_f64_e32 v27, v[29:30]
	v_frexp_mant_f32_e32 v29, v13
	v_cmp_gt_f32_e64 s0, 0x3f2aaaab, v29
	v_add_f32_e32 v29, -1.0, v13
	s_delay_alu instid0(VALU_DEP_1) | instskip(SKIP_1) | instid1(VALU_DEP_2)
	v_sub_f32_e32 v31, v29, v13
	v_sub_f32_e32 v29, v3, v29
	v_add_f32_e32 v31, 1.0, v31
	s_delay_alu instid0(VALU_DEP_1) | instskip(SKIP_2) | instid1(VALU_DEP_1)
	v_add_f32_e32 v29, v29, v31
	v_subrev_co_ci_u32_e64 v27, s0, 0, v27, s0
	s_mov_b32 s0, 0x3e9b6dac
	v_sub_nc_u32_e32 v30, 0, v27
	v_cvt_f32_i32_e32 v27, v27
	s_delay_alu instid0(VALU_DEP_2) | instskip(SKIP_1) | instid1(VALU_DEP_2)
	v_ldexp_f32 v13, v13, v30
	v_ldexp_f32 v29, v29, v30
	v_add_f32_e32 v32, 1.0, v13
	s_delay_alu instid0(VALU_DEP_1) | instskip(NEXT) | instid1(VALU_DEP_1)
	v_dual_add_f32 v30, -1.0, v13 :: v_dual_add_f32 v31, -1.0, v32
	v_add_f32_e32 v33, 1.0, v30
	s_delay_alu instid0(VALU_DEP_2) | instskip(NEXT) | instid1(VALU_DEP_2)
	v_sub_f32_e32 v31, v13, v31
	v_sub_f32_e32 v13, v13, v33
	s_delay_alu instid0(VALU_DEP_2) | instskip(NEXT) | instid1(VALU_DEP_2)
	v_add_f32_e32 v31, v29, v31
	v_add_f32_e32 v13, v29, v13
	s_delay_alu instid0(VALU_DEP_1) | instskip(NEXT) | instid1(VALU_DEP_1)
	v_dual_add_f32 v33, v32, v31 :: v_dual_add_f32 v34, v30, v13
	v_rcp_f32_e32 v29, v33
	v_sub_f32_e32 v32, v32, v33
	s_delay_alu instid0(VALU_DEP_1) | instskip(SKIP_3) | instid1(VALU_DEP_2)
	v_dual_sub_f32 v30, v30, v34 :: v_dual_add_f32 v31, v31, v32
	s_waitcnt_depctr 0xfff
	v_mul_f32_e32 v35, v34, v29
	v_add_f32_e32 v13, v13, v30
	v_mul_f32_e32 v36, v33, v35
	s_delay_alu instid0(VALU_DEP_1) | instskip(NEXT) | instid1(VALU_DEP_1)
	v_fma_f32 v32, v35, v33, -v36
	v_fmac_f32_e32 v32, v35, v31
	s_delay_alu instid0(VALU_DEP_1) | instskip(NEXT) | instid1(VALU_DEP_1)
	v_add_f32_e32 v37, v36, v32
	v_sub_f32_e32 v38, v34, v37
	v_sub_f32_e32 v30, v37, v36
	s_delay_alu instid0(VALU_DEP_2) | instskip(NEXT) | instid1(VALU_DEP_2)
	v_sub_f32_e32 v34, v34, v38
	v_sub_f32_e32 v30, v30, v32
	s_delay_alu instid0(VALU_DEP_2) | instskip(NEXT) | instid1(VALU_DEP_1)
	v_sub_f32_e32 v34, v34, v37
	v_add_f32_e32 v13, v13, v34
	s_delay_alu instid0(VALU_DEP_1) | instskip(NEXT) | instid1(VALU_DEP_1)
	v_add_f32_e32 v13, v30, v13
	v_add_f32_e32 v30, v38, v13
	s_delay_alu instid0(VALU_DEP_1) | instskip(NEXT) | instid1(VALU_DEP_1)
	v_mul_f32_e32 v32, v29, v30
	v_dual_sub_f32 v37, v38, v30 :: v_dual_mul_f32 v34, v33, v32
	s_delay_alu instid0(VALU_DEP_1) | instskip(NEXT) | instid1(VALU_DEP_2)
	v_add_f32_e32 v13, v13, v37
	v_fma_f32 v33, v32, v33, -v34
	s_delay_alu instid0(VALU_DEP_1) | instskip(NEXT) | instid1(VALU_DEP_1)
	v_fmac_f32_e32 v33, v32, v31
	v_add_f32_e32 v31, v34, v33
	s_delay_alu instid0(VALU_DEP_1) | instskip(SKIP_1) | instid1(VALU_DEP_2)
	v_sub_f32_e32 v36, v30, v31
	v_sub_f32_e32 v34, v31, v34
	;; [unrolled: 1-line block ×3, first 2 shown]
	s_delay_alu instid0(VALU_DEP_1) | instskip(NEXT) | instid1(VALU_DEP_3)
	v_sub_f32_e32 v30, v30, v31
	v_sub_f32_e32 v31, v34, v33
	s_delay_alu instid0(VALU_DEP_2) | instskip(NEXT) | instid1(VALU_DEP_1)
	v_dual_add_f32 v13, v13, v30 :: v_dual_add_f32 v30, v35, v32
	v_add_f32_e32 v13, v31, v13
	s_delay_alu instid0(VALU_DEP_2) | instskip(NEXT) | instid1(VALU_DEP_2)
	v_sub_f32_e32 v31, v30, v35
	v_add_f32_e32 v13, v36, v13
	s_delay_alu instid0(VALU_DEP_2) | instskip(NEXT) | instid1(VALU_DEP_2)
	v_sub_f32_e32 v31, v32, v31
	v_mul_f32_e32 v13, v29, v13
	s_delay_alu instid0(VALU_DEP_1) | instskip(NEXT) | instid1(VALU_DEP_1)
	v_add_f32_e32 v13, v31, v13
	v_add_f32_e32 v29, v30, v13
	s_delay_alu instid0(VALU_DEP_1) | instskip(NEXT) | instid1(VALU_DEP_1)
	v_mul_f32_e32 v31, v29, v29
	v_fmaak_f32 v32, s0, v31, 0x3ecc95a3
	v_mul_f32_e32 v33, v29, v31
	v_cmp_eq_f32_e64 s0, 0x7f800000, v3
	s_delay_alu instid0(VALU_DEP_3) | instskip(SKIP_2) | instid1(VALU_DEP_4)
	v_fmaak_f32 v31, v31, v32, 0x3f2aaada
	v_ldexp_f32 v32, v29, 1
	v_sub_f32_e32 v29, v29, v30
	s_or_b32 s0, s0, s23
	s_delay_alu instid0(VALU_DEP_3) | instskip(SKIP_1) | instid1(VALU_DEP_2)
	v_mul_f32_e32 v31, v33, v31
	v_mul_f32_e32 v33, 0x3f317218, v27
	v_dual_sub_f32 v13, v13, v29 :: v_dual_add_f32 v30, v32, v31
	s_delay_alu instid0(VALU_DEP_1) | instskip(NEXT) | instid1(VALU_DEP_2)
	v_ldexp_f32 v13, v13, 1
	v_sub_f32_e32 v29, v30, v32
	s_delay_alu instid0(VALU_DEP_4) | instskip(NEXT) | instid1(VALU_DEP_2)
	v_fma_f32 v32, 0x3f317218, v27, -v33
	v_sub_f32_e32 v29, v31, v29
	s_delay_alu instid0(VALU_DEP_2) | instskip(NEXT) | instid1(VALU_DEP_2)
	v_fmamk_f32 v27, v27, 0xb102e308, v32
	v_add_f32_e32 v13, v13, v29
	s_delay_alu instid0(VALU_DEP_2) | instskip(NEXT) | instid1(VALU_DEP_2)
	v_add_f32_e32 v29, v33, v27
	v_add_f32_e32 v31, v30, v13
	s_delay_alu instid0(VALU_DEP_2) | instskip(NEXT) | instid1(VALU_DEP_2)
	v_sub_f32_e32 v33, v29, v33
	v_add_f32_e32 v32, v29, v31
	v_sub_f32_e32 v30, v31, v30
	s_delay_alu instid0(VALU_DEP_3) | instskip(NEXT) | instid1(VALU_DEP_2)
	v_sub_f32_e32 v27, v27, v33
	v_dual_sub_f32 v34, v32, v29 :: v_dual_sub_f32 v13, v13, v30
	s_delay_alu instid0(VALU_DEP_1) | instskip(SKIP_1) | instid1(VALU_DEP_3)
	v_sub_f32_e32 v35, v32, v34
	v_sub_f32_e32 v30, v31, v34
	v_add_f32_e32 v31, v27, v13
	s_delay_alu instid0(VALU_DEP_3) | instskip(NEXT) | instid1(VALU_DEP_1)
	v_sub_f32_e32 v29, v29, v35
	v_dual_add_f32 v29, v30, v29 :: v_dual_sub_f32 v30, v31, v27
	s_delay_alu instid0(VALU_DEP_1) | instskip(NEXT) | instid1(VALU_DEP_2)
	v_add_f32_e32 v29, v31, v29
	v_sub_f32_e32 v31, v31, v30
	v_sub_f32_e32 v13, v13, v30
	s_delay_alu instid0(VALU_DEP_3) | instskip(NEXT) | instid1(VALU_DEP_1)
	v_add_f32_e32 v33, v32, v29
	v_dual_sub_f32 v27, v27, v31 :: v_dual_sub_f32 v30, v33, v32
	s_delay_alu instid0(VALU_DEP_1) | instskip(NEXT) | instid1(VALU_DEP_2)
	v_add_f32_e32 v13, v13, v27
	v_sub_f32_e32 v27, v29, v30
	s_delay_alu instid0(VALU_DEP_1) | instskip(NEXT) | instid1(VALU_DEP_1)
	v_add_f32_e32 v13, v13, v27
	v_add_f32_e32 v13, v33, v13
	s_delay_alu instid0(VALU_DEP_1) | instskip(NEXT) | instid1(VALU_DEP_1)
	v_cndmask_b32_e64 v3, v13, v3, s0
	v_add_f32_e32 v3, v26, v3
	s_delay_alu instid0(VALU_DEP_1) | instskip(NEXT) | instid1(VALU_DEP_1)
	v_cvt_f16_f32_e32 v30, v3
	v_cvt_f32_f16_e32 v13, v30
	v_mov_b32_e32 v3, v30
.LBB400_130:
	s_or_b32 exec_lo, exec_lo, s1
	v_max_f32_e32 v26, v17, v17
	s_delay_alu instid0(VALU_DEP_3) | instskip(SKIP_1) | instid1(VALU_DEP_2)
	v_max_f32_e32 v27, v13, v13
	v_cmp_u_f16_e64 s0, v30, v30
	v_min_f32_e32 v29, v27, v26
	v_max_f32_e32 v26, v27, v26
	s_delay_alu instid0(VALU_DEP_2) | instskip(NEXT) | instid1(VALU_DEP_2)
	v_cndmask_b32_e64 v27, v29, v13, s0
	v_cndmask_b32_e64 v26, v26, v13, s0
	s_delay_alu instid0(VALU_DEP_2) | instskip(NEXT) | instid1(VALU_DEP_2)
	v_cndmask_b32_e64 v27, v27, v17, s27
	v_cndmask_b32_e64 v26, v26, v17, s27
	v_mov_b32_e32 v17, v3
	s_delay_alu instid0(VALU_DEP_3) | instskip(NEXT) | instid1(VALU_DEP_3)
	v_cmp_class_f32_e64 s1, v27, 0x1f8
	v_cmp_neq_f32_e64 s0, v27, v26
	s_delay_alu instid0(VALU_DEP_1) | instskip(NEXT) | instid1(SALU_CYCLE_1)
	s_or_b32 s0, s0, s1
	s_and_saveexec_b32 s1, s0
	s_cbranch_execz .LBB400_132
; %bb.131:
	v_sub_f32_e32 v13, v27, v26
	s_delay_alu instid0(VALU_DEP_1) | instskip(SKIP_1) | instid1(VALU_DEP_2)
	v_mul_f32_e32 v17, 0x3fb8aa3b, v13
	v_cmp_ngt_f32_e64 s0, 0xc2ce8ed0, v13
	v_fma_f32 v27, 0x3fb8aa3b, v13, -v17
	v_rndne_f32_e32 v29, v17
	s_delay_alu instid0(VALU_DEP_2) | instskip(NEXT) | instid1(VALU_DEP_2)
	v_fmamk_f32 v27, v13, 0x32a5705f, v27
	v_sub_f32_e32 v17, v17, v29
	s_delay_alu instid0(VALU_DEP_1) | instskip(SKIP_1) | instid1(VALU_DEP_2)
	v_add_f32_e32 v17, v17, v27
	v_cvt_i32_f32_e32 v27, v29
	v_exp_f32_e32 v17, v17
	s_waitcnt_depctr 0xfff
	v_ldexp_f32 v17, v17, v27
	s_delay_alu instid0(VALU_DEP_1) | instskip(SKIP_1) | instid1(VALU_DEP_1)
	v_cndmask_b32_e64 v17, 0, v17, s0
	v_cmp_nlt_f32_e64 s0, 0x42b17218, v13
	v_cndmask_b32_e64 v13, 0x7f800000, v17, s0
	s_delay_alu instid0(VALU_DEP_1) | instskip(SKIP_1) | instid1(VALU_DEP_2)
	v_add_f32_e32 v17, 1.0, v13
	v_cmp_gt_f32_e64 s23, 0x33800000, |v13|
	v_cvt_f64_f32_e32 v[29:30], v17
	s_delay_alu instid0(VALU_DEP_1) | instskip(SKIP_1) | instid1(VALU_DEP_1)
	v_frexp_exp_i32_f64_e32 v27, v[29:30]
	v_frexp_mant_f32_e32 v29, v17
	v_cmp_gt_f32_e64 s0, 0x3f2aaaab, v29
	v_add_f32_e32 v29, -1.0, v17
	s_delay_alu instid0(VALU_DEP_1) | instskip(SKIP_1) | instid1(VALU_DEP_2)
	v_sub_f32_e32 v31, v29, v17
	v_sub_f32_e32 v29, v13, v29
	v_add_f32_e32 v31, 1.0, v31
	s_delay_alu instid0(VALU_DEP_1) | instskip(SKIP_2) | instid1(VALU_DEP_1)
	v_add_f32_e32 v29, v29, v31
	v_subrev_co_ci_u32_e64 v27, s0, 0, v27, s0
	s_mov_b32 s0, 0x3e9b6dac
	v_sub_nc_u32_e32 v30, 0, v27
	v_cvt_f32_i32_e32 v27, v27
	s_delay_alu instid0(VALU_DEP_2) | instskip(SKIP_1) | instid1(VALU_DEP_2)
	v_ldexp_f32 v17, v17, v30
	v_ldexp_f32 v29, v29, v30
	v_add_f32_e32 v32, 1.0, v17
	s_delay_alu instid0(VALU_DEP_1) | instskip(NEXT) | instid1(VALU_DEP_1)
	v_dual_add_f32 v30, -1.0, v17 :: v_dual_add_f32 v31, -1.0, v32
	v_add_f32_e32 v33, 1.0, v30
	s_delay_alu instid0(VALU_DEP_2) | instskip(NEXT) | instid1(VALU_DEP_2)
	v_sub_f32_e32 v31, v17, v31
	v_sub_f32_e32 v17, v17, v33
	s_delay_alu instid0(VALU_DEP_2) | instskip(NEXT) | instid1(VALU_DEP_2)
	v_add_f32_e32 v31, v29, v31
	v_add_f32_e32 v17, v29, v17
	s_delay_alu instid0(VALU_DEP_1) | instskip(NEXT) | instid1(VALU_DEP_1)
	v_dual_add_f32 v33, v32, v31 :: v_dual_add_f32 v34, v30, v17
	v_rcp_f32_e32 v29, v33
	v_sub_f32_e32 v32, v32, v33
	s_delay_alu instid0(VALU_DEP_1) | instskip(SKIP_3) | instid1(VALU_DEP_2)
	v_dual_sub_f32 v30, v30, v34 :: v_dual_add_f32 v31, v31, v32
	s_waitcnt_depctr 0xfff
	v_mul_f32_e32 v35, v34, v29
	v_add_f32_e32 v17, v17, v30
	v_mul_f32_e32 v36, v33, v35
	s_delay_alu instid0(VALU_DEP_1) | instskip(NEXT) | instid1(VALU_DEP_1)
	v_fma_f32 v32, v35, v33, -v36
	v_fmac_f32_e32 v32, v35, v31
	s_delay_alu instid0(VALU_DEP_1) | instskip(NEXT) | instid1(VALU_DEP_1)
	v_add_f32_e32 v37, v36, v32
	v_sub_f32_e32 v38, v34, v37
	v_sub_f32_e32 v30, v37, v36
	s_delay_alu instid0(VALU_DEP_2) | instskip(NEXT) | instid1(VALU_DEP_2)
	v_sub_f32_e32 v34, v34, v38
	v_sub_f32_e32 v30, v30, v32
	s_delay_alu instid0(VALU_DEP_2) | instskip(NEXT) | instid1(VALU_DEP_1)
	v_sub_f32_e32 v34, v34, v37
	v_add_f32_e32 v17, v17, v34
	s_delay_alu instid0(VALU_DEP_1) | instskip(NEXT) | instid1(VALU_DEP_1)
	v_add_f32_e32 v17, v30, v17
	v_add_f32_e32 v30, v38, v17
	s_delay_alu instid0(VALU_DEP_1) | instskip(NEXT) | instid1(VALU_DEP_1)
	v_mul_f32_e32 v32, v29, v30
	v_dual_sub_f32 v37, v38, v30 :: v_dual_mul_f32 v34, v33, v32
	s_delay_alu instid0(VALU_DEP_1) | instskip(NEXT) | instid1(VALU_DEP_2)
	v_add_f32_e32 v17, v17, v37
	v_fma_f32 v33, v32, v33, -v34
	s_delay_alu instid0(VALU_DEP_1) | instskip(NEXT) | instid1(VALU_DEP_1)
	v_fmac_f32_e32 v33, v32, v31
	v_add_f32_e32 v31, v34, v33
	s_delay_alu instid0(VALU_DEP_1) | instskip(SKIP_1) | instid1(VALU_DEP_2)
	v_sub_f32_e32 v36, v30, v31
	v_sub_f32_e32 v34, v31, v34
	;; [unrolled: 1-line block ×3, first 2 shown]
	s_delay_alu instid0(VALU_DEP_1) | instskip(NEXT) | instid1(VALU_DEP_3)
	v_sub_f32_e32 v30, v30, v31
	v_sub_f32_e32 v31, v34, v33
	s_delay_alu instid0(VALU_DEP_2) | instskip(NEXT) | instid1(VALU_DEP_1)
	v_dual_add_f32 v17, v17, v30 :: v_dual_add_f32 v30, v35, v32
	v_add_f32_e32 v17, v31, v17
	s_delay_alu instid0(VALU_DEP_2) | instskip(NEXT) | instid1(VALU_DEP_2)
	v_sub_f32_e32 v31, v30, v35
	v_add_f32_e32 v17, v36, v17
	s_delay_alu instid0(VALU_DEP_2) | instskip(NEXT) | instid1(VALU_DEP_2)
	v_sub_f32_e32 v31, v32, v31
	v_mul_f32_e32 v17, v29, v17
	s_delay_alu instid0(VALU_DEP_1) | instskip(NEXT) | instid1(VALU_DEP_1)
	v_add_f32_e32 v17, v31, v17
	v_add_f32_e32 v29, v30, v17
	s_delay_alu instid0(VALU_DEP_1) | instskip(NEXT) | instid1(VALU_DEP_1)
	v_mul_f32_e32 v31, v29, v29
	v_fmaak_f32 v32, s0, v31, 0x3ecc95a3
	v_mul_f32_e32 v33, v29, v31
	v_cmp_eq_f32_e64 s0, 0x7f800000, v13
	s_delay_alu instid0(VALU_DEP_3) | instskip(SKIP_2) | instid1(VALU_DEP_4)
	v_fmaak_f32 v31, v31, v32, 0x3f2aaada
	v_ldexp_f32 v32, v29, 1
	v_sub_f32_e32 v29, v29, v30
	s_or_b32 s0, s0, s23
	s_delay_alu instid0(VALU_DEP_3) | instskip(SKIP_1) | instid1(VALU_DEP_2)
	v_mul_f32_e32 v31, v33, v31
	v_mul_f32_e32 v33, 0x3f317218, v27
	v_dual_sub_f32 v17, v17, v29 :: v_dual_add_f32 v30, v32, v31
	s_delay_alu instid0(VALU_DEP_1) | instskip(NEXT) | instid1(VALU_DEP_2)
	v_ldexp_f32 v17, v17, 1
	v_sub_f32_e32 v29, v30, v32
	s_delay_alu instid0(VALU_DEP_4) | instskip(NEXT) | instid1(VALU_DEP_2)
	v_fma_f32 v32, 0x3f317218, v27, -v33
	v_sub_f32_e32 v29, v31, v29
	s_delay_alu instid0(VALU_DEP_2) | instskip(NEXT) | instid1(VALU_DEP_2)
	v_fmamk_f32 v27, v27, 0xb102e308, v32
	v_add_f32_e32 v17, v17, v29
	s_delay_alu instid0(VALU_DEP_2) | instskip(NEXT) | instid1(VALU_DEP_2)
	v_add_f32_e32 v29, v33, v27
	v_add_f32_e32 v31, v30, v17
	s_delay_alu instid0(VALU_DEP_2) | instskip(NEXT) | instid1(VALU_DEP_2)
	v_sub_f32_e32 v33, v29, v33
	v_add_f32_e32 v32, v29, v31
	v_sub_f32_e32 v30, v31, v30
	s_delay_alu instid0(VALU_DEP_3) | instskip(NEXT) | instid1(VALU_DEP_2)
	v_sub_f32_e32 v27, v27, v33
	v_dual_sub_f32 v34, v32, v29 :: v_dual_sub_f32 v17, v17, v30
	s_delay_alu instid0(VALU_DEP_1) | instskip(SKIP_1) | instid1(VALU_DEP_3)
	v_sub_f32_e32 v35, v32, v34
	v_sub_f32_e32 v30, v31, v34
	v_add_f32_e32 v31, v27, v17
	s_delay_alu instid0(VALU_DEP_3) | instskip(NEXT) | instid1(VALU_DEP_1)
	v_sub_f32_e32 v29, v29, v35
	v_dual_add_f32 v29, v30, v29 :: v_dual_sub_f32 v30, v31, v27
	s_delay_alu instid0(VALU_DEP_1) | instskip(NEXT) | instid1(VALU_DEP_2)
	v_add_f32_e32 v29, v31, v29
	v_sub_f32_e32 v31, v31, v30
	v_sub_f32_e32 v17, v17, v30
	s_delay_alu instid0(VALU_DEP_3) | instskip(NEXT) | instid1(VALU_DEP_1)
	v_add_f32_e32 v33, v32, v29
	v_dual_sub_f32 v27, v27, v31 :: v_dual_sub_f32 v30, v33, v32
	s_delay_alu instid0(VALU_DEP_1) | instskip(NEXT) | instid1(VALU_DEP_2)
	v_add_f32_e32 v17, v17, v27
	v_sub_f32_e32 v27, v29, v30
	s_delay_alu instid0(VALU_DEP_1) | instskip(NEXT) | instid1(VALU_DEP_1)
	v_add_f32_e32 v17, v17, v27
	v_add_f32_e32 v17, v33, v17
	s_delay_alu instid0(VALU_DEP_1) | instskip(NEXT) | instid1(VALU_DEP_1)
	v_cndmask_b32_e64 v13, v17, v13, s0
	v_add_f32_e32 v13, v26, v13
	s_delay_alu instid0(VALU_DEP_1) | instskip(NEXT) | instid1(VALU_DEP_1)
	v_cvt_f16_f32_e32 v30, v13
	v_cvt_f32_f16_e32 v13, v30
	v_mov_b32_e32 v17, v30
.LBB400_132:
	s_or_b32 exec_lo, exec_lo, s1
	s_delay_alu instid0(VALU_DEP_2) | instskip(SKIP_1) | instid1(VALU_DEP_2)
	v_dual_max_f32 v26, v10, v10 :: v_dual_max_f32 v27, v13, v13
	v_cmp_u_f16_e64 s0, v30, v30
	v_min_f32_e32 v29, v27, v26
	v_max_f32_e32 v26, v27, v26
	s_delay_alu instid0(VALU_DEP_2) | instskip(NEXT) | instid1(VALU_DEP_2)
	v_cndmask_b32_e64 v27, v29, v13, s0
	v_cndmask_b32_e64 v26, v26, v13, s0
	s_delay_alu instid0(VALU_DEP_2) | instskip(NEXT) | instid1(VALU_DEP_2)
	v_cndmask_b32_e64 v27, v27, v10, s28
	v_cndmask_b32_e64 v26, v26, v10, s28
	v_mov_b32_e32 v10, v17
	s_delay_alu instid0(VALU_DEP_3) | instskip(NEXT) | instid1(VALU_DEP_3)
	v_cmp_class_f32_e64 s1, v27, 0x1f8
	v_cmp_neq_f32_e64 s0, v27, v26
	s_delay_alu instid0(VALU_DEP_1) | instskip(NEXT) | instid1(SALU_CYCLE_1)
	s_or_b32 s0, s0, s1
	s_and_saveexec_b32 s1, s0
	s_cbranch_execz .LBB400_134
; %bb.133:
	v_sub_f32_e32 v10, v27, v26
	s_delay_alu instid0(VALU_DEP_1) | instskip(NEXT) | instid1(VALU_DEP_1)
	v_mul_f32_e32 v13, 0x3fb8aa3b, v10
	v_fma_f32 v27, 0x3fb8aa3b, v10, -v13
	v_rndne_f32_e32 v29, v13
	s_delay_alu instid0(VALU_DEP_1) | instskip(NEXT) | instid1(VALU_DEP_3)
	v_sub_f32_e32 v13, v13, v29
	v_fmamk_f32 v27, v10, 0x32a5705f, v27
	v_cmp_ngt_f32_e64 s0, 0xc2ce8ed0, v10
	s_delay_alu instid0(VALU_DEP_2) | instskip(SKIP_1) | instid1(VALU_DEP_2)
	v_add_f32_e32 v13, v13, v27
	v_cvt_i32_f32_e32 v27, v29
	v_exp_f32_e32 v13, v13
	s_waitcnt_depctr 0xfff
	v_ldexp_f32 v13, v13, v27
	s_delay_alu instid0(VALU_DEP_1) | instskip(SKIP_1) | instid1(VALU_DEP_1)
	v_cndmask_b32_e64 v13, 0, v13, s0
	v_cmp_nlt_f32_e64 s0, 0x42b17218, v10
	v_cndmask_b32_e64 v10, 0x7f800000, v13, s0
	s_delay_alu instid0(VALU_DEP_1) | instskip(SKIP_1) | instid1(VALU_DEP_2)
	v_add_f32_e32 v13, 1.0, v10
	v_cmp_gt_f32_e64 s23, 0x33800000, |v10|
	v_cvt_f64_f32_e32 v[29:30], v13
	s_delay_alu instid0(VALU_DEP_1) | instskip(SKIP_1) | instid1(VALU_DEP_1)
	v_frexp_exp_i32_f64_e32 v27, v[29:30]
	v_frexp_mant_f32_e32 v29, v13
	v_cmp_gt_f32_e64 s0, 0x3f2aaaab, v29
	v_add_f32_e32 v29, -1.0, v13
	s_delay_alu instid0(VALU_DEP_1) | instskip(SKIP_1) | instid1(VALU_DEP_4)
	v_sub_f32_e32 v31, v29, v13
	v_sub_f32_e32 v29, v10, v29
	v_subrev_co_ci_u32_e64 v27, s0, 0, v27, s0
	s_mov_b32 s0, 0x3e9b6dac
	s_delay_alu instid0(VALU_DEP_1) | instskip(SKIP_1) | instid1(VALU_DEP_2)
	v_sub_nc_u32_e32 v30, 0, v27
	v_cvt_f32_i32_e32 v27, v27
	v_ldexp_f32 v13, v13, v30
	s_delay_alu instid0(VALU_DEP_1) | instskip(NEXT) | instid1(VALU_DEP_1)
	v_dual_add_f32 v31, 1.0, v31 :: v_dual_add_f32 v32, 1.0, v13
	v_add_f32_e32 v29, v29, v31
	s_delay_alu instid0(VALU_DEP_2) | instskip(NEXT) | instid1(VALU_DEP_2)
	v_add_f32_e32 v31, -1.0, v32
	v_ldexp_f32 v29, v29, v30
	s_delay_alu instid0(VALU_DEP_2) | instskip(NEXT) | instid1(VALU_DEP_1)
	v_dual_add_f32 v30, -1.0, v13 :: v_dual_sub_f32 v31, v13, v31
	v_add_f32_e32 v33, 1.0, v30
	s_delay_alu instid0(VALU_DEP_2) | instskip(NEXT) | instid1(VALU_DEP_2)
	v_add_f32_e32 v31, v29, v31
	v_sub_f32_e32 v13, v13, v33
	s_delay_alu instid0(VALU_DEP_2) | instskip(NEXT) | instid1(VALU_DEP_2)
	v_add_f32_e32 v33, v32, v31
	v_add_f32_e32 v13, v29, v13
	s_delay_alu instid0(VALU_DEP_2) | instskip(SKIP_1) | instid1(VALU_DEP_1)
	v_rcp_f32_e32 v29, v33
	v_sub_f32_e32 v32, v32, v33
	v_dual_add_f32 v34, v30, v13 :: v_dual_add_f32 v31, v31, v32
	s_delay_alu instid0(VALU_DEP_1) | instskip(SKIP_3) | instid1(VALU_DEP_2)
	v_sub_f32_e32 v30, v30, v34
	s_waitcnt_depctr 0xfff
	v_mul_f32_e32 v35, v34, v29
	v_add_f32_e32 v13, v13, v30
	v_mul_f32_e32 v36, v33, v35
	s_delay_alu instid0(VALU_DEP_1) | instskip(NEXT) | instid1(VALU_DEP_1)
	v_fma_f32 v32, v35, v33, -v36
	v_fmac_f32_e32 v32, v35, v31
	s_delay_alu instid0(VALU_DEP_1) | instskip(NEXT) | instid1(VALU_DEP_1)
	v_add_f32_e32 v37, v36, v32
	v_sub_f32_e32 v38, v34, v37
	v_sub_f32_e32 v30, v37, v36
	s_delay_alu instid0(VALU_DEP_2) | instskip(NEXT) | instid1(VALU_DEP_2)
	v_sub_f32_e32 v34, v34, v38
	v_sub_f32_e32 v30, v30, v32
	s_delay_alu instid0(VALU_DEP_2) | instskip(NEXT) | instid1(VALU_DEP_1)
	v_sub_f32_e32 v34, v34, v37
	v_add_f32_e32 v13, v13, v34
	s_delay_alu instid0(VALU_DEP_1) | instskip(NEXT) | instid1(VALU_DEP_1)
	v_add_f32_e32 v13, v30, v13
	v_add_f32_e32 v30, v38, v13
	s_delay_alu instid0(VALU_DEP_1) | instskip(NEXT) | instid1(VALU_DEP_1)
	v_mul_f32_e32 v32, v29, v30
	v_dual_sub_f32 v37, v38, v30 :: v_dual_mul_f32 v34, v33, v32
	s_delay_alu instid0(VALU_DEP_1) | instskip(NEXT) | instid1(VALU_DEP_2)
	v_add_f32_e32 v13, v13, v37
	v_fma_f32 v33, v32, v33, -v34
	s_delay_alu instid0(VALU_DEP_1) | instskip(NEXT) | instid1(VALU_DEP_1)
	v_fmac_f32_e32 v33, v32, v31
	v_add_f32_e32 v31, v34, v33
	s_delay_alu instid0(VALU_DEP_1) | instskip(SKIP_1) | instid1(VALU_DEP_2)
	v_sub_f32_e32 v36, v30, v31
	v_sub_f32_e32 v34, v31, v34
	;; [unrolled: 1-line block ×3, first 2 shown]
	s_delay_alu instid0(VALU_DEP_1) | instskip(NEXT) | instid1(VALU_DEP_3)
	v_sub_f32_e32 v30, v30, v31
	v_sub_f32_e32 v31, v34, v33
	s_delay_alu instid0(VALU_DEP_2) | instskip(NEXT) | instid1(VALU_DEP_1)
	v_dual_add_f32 v13, v13, v30 :: v_dual_add_f32 v30, v35, v32
	v_add_f32_e32 v13, v31, v13
	s_delay_alu instid0(VALU_DEP_2) | instskip(NEXT) | instid1(VALU_DEP_2)
	v_sub_f32_e32 v31, v30, v35
	v_add_f32_e32 v13, v36, v13
	s_delay_alu instid0(VALU_DEP_2) | instskip(NEXT) | instid1(VALU_DEP_2)
	v_sub_f32_e32 v31, v32, v31
	v_mul_f32_e32 v13, v29, v13
	s_delay_alu instid0(VALU_DEP_1) | instskip(NEXT) | instid1(VALU_DEP_1)
	v_add_f32_e32 v13, v31, v13
	v_add_f32_e32 v29, v30, v13
	s_delay_alu instid0(VALU_DEP_1) | instskip(NEXT) | instid1(VALU_DEP_1)
	v_mul_f32_e32 v31, v29, v29
	v_fmaak_f32 v32, s0, v31, 0x3ecc95a3
	v_mul_f32_e32 v33, v29, v31
	v_cmp_eq_f32_e64 s0, 0x7f800000, v10
	s_delay_alu instid0(VALU_DEP_3) | instskip(SKIP_2) | instid1(VALU_DEP_4)
	v_fmaak_f32 v31, v31, v32, 0x3f2aaada
	v_ldexp_f32 v32, v29, 1
	v_sub_f32_e32 v29, v29, v30
	s_or_b32 s0, s0, s23
	s_delay_alu instid0(VALU_DEP_3) | instskip(SKIP_1) | instid1(VALU_DEP_2)
	v_mul_f32_e32 v31, v33, v31
	v_mul_f32_e32 v33, 0x3f317218, v27
	v_dual_sub_f32 v13, v13, v29 :: v_dual_add_f32 v30, v32, v31
	s_delay_alu instid0(VALU_DEP_1) | instskip(NEXT) | instid1(VALU_DEP_2)
	v_ldexp_f32 v13, v13, 1
	v_sub_f32_e32 v29, v30, v32
	s_delay_alu instid0(VALU_DEP_4) | instskip(NEXT) | instid1(VALU_DEP_2)
	v_fma_f32 v32, 0x3f317218, v27, -v33
	v_sub_f32_e32 v29, v31, v29
	s_delay_alu instid0(VALU_DEP_2) | instskip(NEXT) | instid1(VALU_DEP_2)
	v_fmamk_f32 v27, v27, 0xb102e308, v32
	v_add_f32_e32 v13, v13, v29
	s_delay_alu instid0(VALU_DEP_2) | instskip(NEXT) | instid1(VALU_DEP_2)
	v_add_f32_e32 v29, v33, v27
	v_add_f32_e32 v31, v30, v13
	s_delay_alu instid0(VALU_DEP_2) | instskip(NEXT) | instid1(VALU_DEP_2)
	v_sub_f32_e32 v33, v29, v33
	v_add_f32_e32 v32, v29, v31
	v_sub_f32_e32 v30, v31, v30
	s_delay_alu instid0(VALU_DEP_3) | instskip(NEXT) | instid1(VALU_DEP_2)
	v_sub_f32_e32 v27, v27, v33
	v_dual_sub_f32 v34, v32, v29 :: v_dual_sub_f32 v13, v13, v30
	s_delay_alu instid0(VALU_DEP_1) | instskip(SKIP_1) | instid1(VALU_DEP_3)
	v_sub_f32_e32 v35, v32, v34
	v_sub_f32_e32 v30, v31, v34
	v_add_f32_e32 v31, v27, v13
	s_delay_alu instid0(VALU_DEP_3) | instskip(NEXT) | instid1(VALU_DEP_1)
	v_sub_f32_e32 v29, v29, v35
	v_dual_add_f32 v29, v30, v29 :: v_dual_sub_f32 v30, v31, v27
	s_delay_alu instid0(VALU_DEP_1) | instskip(NEXT) | instid1(VALU_DEP_2)
	v_add_f32_e32 v29, v31, v29
	v_sub_f32_e32 v31, v31, v30
	v_sub_f32_e32 v13, v13, v30
	s_delay_alu instid0(VALU_DEP_3) | instskip(NEXT) | instid1(VALU_DEP_1)
	v_add_f32_e32 v33, v32, v29
	v_dual_sub_f32 v27, v27, v31 :: v_dual_sub_f32 v30, v33, v32
	s_delay_alu instid0(VALU_DEP_1) | instskip(NEXT) | instid1(VALU_DEP_2)
	v_add_f32_e32 v13, v13, v27
	v_sub_f32_e32 v27, v29, v30
	s_delay_alu instid0(VALU_DEP_1) | instskip(NEXT) | instid1(VALU_DEP_1)
	v_add_f32_e32 v13, v13, v27
	v_add_f32_e32 v13, v33, v13
	s_delay_alu instid0(VALU_DEP_1) | instskip(NEXT) | instid1(VALU_DEP_1)
	v_cndmask_b32_e64 v10, v13, v10, s0
	v_add_f32_e32 v10, v26, v10
	s_delay_alu instid0(VALU_DEP_1) | instskip(NEXT) | instid1(VALU_DEP_1)
	v_cvt_f16_f32_e32 v30, v10
	v_mov_b32_e32 v10, v30
	v_cvt_f32_f16_e32 v13, v30
.LBB400_134:
	s_or_b32 exec_lo, exec_lo, s1
	s_delay_alu instid0(VALU_DEP_1) | instskip(SKIP_1) | instid1(VALU_DEP_2)
	v_dual_max_f32 v26, v18, v18 :: v_dual_max_f32 v27, v13, v13
	v_cmp_u_f16_e64 s0, v30, v30
	v_min_f32_e32 v29, v27, v26
	v_max_f32_e32 v26, v27, v26
	s_delay_alu instid0(VALU_DEP_2) | instskip(NEXT) | instid1(VALU_DEP_2)
	v_cndmask_b32_e64 v27, v29, v13, s0
	v_cndmask_b32_e64 v26, v26, v13, s0
	s_delay_alu instid0(VALU_DEP_2) | instskip(NEXT) | instid1(VALU_DEP_2)
	v_cndmask_b32_e64 v27, v27, v18, s29
	v_cndmask_b32_e64 v26, v26, v18, s29
	v_mov_b32_e32 v18, v10
	s_delay_alu instid0(VALU_DEP_3) | instskip(NEXT) | instid1(VALU_DEP_3)
	v_cmp_class_f32_e64 s1, v27, 0x1f8
	v_cmp_neq_f32_e64 s0, v27, v26
	s_delay_alu instid0(VALU_DEP_1) | instskip(NEXT) | instid1(SALU_CYCLE_1)
	s_or_b32 s0, s0, s1
	s_and_saveexec_b32 s1, s0
	s_cbranch_execz .LBB400_136
; %bb.135:
	v_sub_f32_e32 v13, v27, v26
	s_delay_alu instid0(VALU_DEP_1) | instskip(NEXT) | instid1(VALU_DEP_1)
	v_mul_f32_e32 v18, 0x3fb8aa3b, v13
	v_fma_f32 v27, 0x3fb8aa3b, v13, -v18
	v_rndne_f32_e32 v29, v18
	s_delay_alu instid0(VALU_DEP_1) | instskip(SKIP_1) | instid1(VALU_DEP_2)
	v_dual_sub_f32 v18, v18, v29 :: v_dual_fmamk_f32 v27, v13, 0x32a5705f, v27
	v_cmp_ngt_f32_e64 s0, 0xc2ce8ed0, v13
	v_add_f32_e32 v18, v18, v27
	v_cvt_i32_f32_e32 v27, v29
	s_delay_alu instid0(VALU_DEP_2) | instskip(SKIP_2) | instid1(VALU_DEP_1)
	v_exp_f32_e32 v18, v18
	s_waitcnt_depctr 0xfff
	v_ldexp_f32 v18, v18, v27
	v_cndmask_b32_e64 v18, 0, v18, s0
	v_cmp_nlt_f32_e64 s0, 0x42b17218, v13
	s_delay_alu instid0(VALU_DEP_1) | instskip(NEXT) | instid1(VALU_DEP_1)
	v_cndmask_b32_e64 v13, 0x7f800000, v18, s0
	v_add_f32_e32 v18, 1.0, v13
	v_cmp_gt_f32_e64 s23, 0x33800000, |v13|
	s_delay_alu instid0(VALU_DEP_2) | instskip(NEXT) | instid1(VALU_DEP_1)
	v_cvt_f64_f32_e32 v[29:30], v18
	v_frexp_exp_i32_f64_e32 v27, v[29:30]
	v_frexp_mant_f32_e32 v29, v18
	s_delay_alu instid0(VALU_DEP_1) | instskip(SKIP_1) | instid1(VALU_DEP_1)
	v_cmp_gt_f32_e64 s0, 0x3f2aaaab, v29
	v_add_f32_e32 v29, -1.0, v18
	v_sub_f32_e32 v31, v29, v18
	v_sub_f32_e32 v29, v13, v29
	s_delay_alu instid0(VALU_DEP_2) | instskip(NEXT) | instid1(VALU_DEP_1)
	v_add_f32_e32 v31, 1.0, v31
	v_add_f32_e32 v29, v29, v31
	v_subrev_co_ci_u32_e64 v27, s0, 0, v27, s0
	s_mov_b32 s0, 0x3e9b6dac
	s_delay_alu instid0(VALU_DEP_1) | instskip(SKIP_1) | instid1(VALU_DEP_2)
	v_sub_nc_u32_e32 v30, 0, v27
	v_cvt_f32_i32_e32 v27, v27
	v_ldexp_f32 v18, v18, v30
	v_ldexp_f32 v29, v29, v30
	s_delay_alu instid0(VALU_DEP_2) | instskip(NEXT) | instid1(VALU_DEP_1)
	v_add_f32_e32 v32, 1.0, v18
	v_dual_add_f32 v30, -1.0, v18 :: v_dual_add_f32 v31, -1.0, v32
	s_delay_alu instid0(VALU_DEP_1) | instskip(NEXT) | instid1(VALU_DEP_2)
	v_add_f32_e32 v33, 1.0, v30
	v_sub_f32_e32 v31, v18, v31
	s_delay_alu instid0(VALU_DEP_2) | instskip(NEXT) | instid1(VALU_DEP_1)
	v_sub_f32_e32 v18, v18, v33
	v_add_f32_e32 v18, v29, v18
	s_delay_alu instid0(VALU_DEP_1) | instskip(NEXT) | instid1(VALU_DEP_1)
	v_dual_add_f32 v31, v29, v31 :: v_dual_add_f32 v34, v30, v18
	v_dual_add_f32 v33, v32, v31 :: v_dual_sub_f32 v30, v30, v34
	s_delay_alu instid0(VALU_DEP_1) | instskip(SKIP_1) | instid1(VALU_DEP_1)
	v_rcp_f32_e32 v29, v33
	v_sub_f32_e32 v32, v32, v33
	v_dual_add_f32 v18, v18, v30 :: v_dual_add_f32 v31, v31, v32
	s_waitcnt_depctr 0xfff
	v_mul_f32_e32 v35, v34, v29
	s_delay_alu instid0(VALU_DEP_1) | instskip(NEXT) | instid1(VALU_DEP_1)
	v_mul_f32_e32 v36, v33, v35
	v_fma_f32 v32, v35, v33, -v36
	s_delay_alu instid0(VALU_DEP_1) | instskip(NEXT) | instid1(VALU_DEP_1)
	v_fmac_f32_e32 v32, v35, v31
	v_add_f32_e32 v37, v36, v32
	s_delay_alu instid0(VALU_DEP_1) | instskip(SKIP_1) | instid1(VALU_DEP_2)
	v_sub_f32_e32 v38, v34, v37
	v_sub_f32_e32 v30, v37, v36
	;; [unrolled: 1-line block ×3, first 2 shown]
	s_delay_alu instid0(VALU_DEP_2) | instskip(NEXT) | instid1(VALU_DEP_2)
	v_sub_f32_e32 v30, v30, v32
	v_sub_f32_e32 v34, v34, v37
	s_delay_alu instid0(VALU_DEP_1) | instskip(NEXT) | instid1(VALU_DEP_1)
	v_add_f32_e32 v18, v18, v34
	v_add_f32_e32 v18, v30, v18
	s_delay_alu instid0(VALU_DEP_1) | instskip(NEXT) | instid1(VALU_DEP_1)
	v_add_f32_e32 v30, v38, v18
	v_mul_f32_e32 v32, v29, v30
	s_delay_alu instid0(VALU_DEP_1) | instskip(NEXT) | instid1(VALU_DEP_1)
	v_dual_sub_f32 v37, v38, v30 :: v_dual_mul_f32 v34, v33, v32
	v_add_f32_e32 v18, v18, v37
	s_delay_alu instid0(VALU_DEP_2) | instskip(NEXT) | instid1(VALU_DEP_1)
	v_fma_f32 v33, v32, v33, -v34
	v_fmac_f32_e32 v33, v32, v31
	s_delay_alu instid0(VALU_DEP_1) | instskip(NEXT) | instid1(VALU_DEP_1)
	v_add_f32_e32 v31, v34, v33
	v_sub_f32_e32 v36, v30, v31
	s_delay_alu instid0(VALU_DEP_1) | instskip(NEXT) | instid1(VALU_DEP_1)
	v_sub_f32_e32 v30, v30, v36
	v_sub_f32_e32 v30, v30, v31
	s_delay_alu instid0(VALU_DEP_1) | instskip(SKIP_2) | instid1(VALU_DEP_1)
	v_add_f32_e32 v18, v18, v30
	v_add_f32_e32 v30, v35, v32
	v_sub_f32_e32 v34, v31, v34
	v_sub_f32_e32 v31, v34, v33
	s_delay_alu instid0(VALU_DEP_1) | instskip(NEXT) | instid1(VALU_DEP_1)
	v_dual_add_f32 v18, v31, v18 :: v_dual_sub_f32 v31, v30, v35
	v_add_f32_e32 v18, v36, v18
	s_delay_alu instid0(VALU_DEP_1) | instskip(NEXT) | instid1(VALU_DEP_1)
	v_dual_sub_f32 v31, v32, v31 :: v_dual_mul_f32 v18, v29, v18
	v_add_f32_e32 v18, v31, v18
	s_delay_alu instid0(VALU_DEP_1) | instskip(NEXT) | instid1(VALU_DEP_1)
	v_add_f32_e32 v29, v30, v18
	v_mul_f32_e32 v31, v29, v29
	s_delay_alu instid0(VALU_DEP_1) | instskip(SKIP_2) | instid1(VALU_DEP_3)
	v_fmaak_f32 v32, s0, v31, 0x3ecc95a3
	v_mul_f32_e32 v33, v29, v31
	v_cmp_eq_f32_e64 s0, 0x7f800000, v13
	v_fmaak_f32 v31, v31, v32, 0x3f2aaada
	v_ldexp_f32 v32, v29, 1
	v_sub_f32_e32 v29, v29, v30
	s_delay_alu instid0(VALU_DEP_4) | instskip(NEXT) | instid1(VALU_DEP_3)
	s_or_b32 s0, s0, s23
	v_mul_f32_e32 v31, v33, v31
	s_delay_alu instid0(VALU_DEP_2) | instskip(NEXT) | instid1(VALU_DEP_2)
	v_dual_mul_f32 v33, 0x3f317218, v27 :: v_dual_sub_f32 v18, v18, v29
	v_add_f32_e32 v30, v32, v31
	s_delay_alu instid0(VALU_DEP_2) | instskip(NEXT) | instid1(VALU_DEP_2)
	v_ldexp_f32 v18, v18, 1
	v_sub_f32_e32 v29, v30, v32
	s_delay_alu instid0(VALU_DEP_4) | instskip(NEXT) | instid1(VALU_DEP_2)
	v_fma_f32 v32, 0x3f317218, v27, -v33
	v_sub_f32_e32 v29, v31, v29
	s_delay_alu instid0(VALU_DEP_1) | instskip(NEXT) | instid1(VALU_DEP_1)
	v_dual_fmamk_f32 v27, v27, 0xb102e308, v32 :: v_dual_add_f32 v18, v18, v29
	v_add_f32_e32 v29, v33, v27
	s_delay_alu instid0(VALU_DEP_2) | instskip(NEXT) | instid1(VALU_DEP_2)
	v_add_f32_e32 v31, v30, v18
	v_sub_f32_e32 v33, v29, v33
	s_delay_alu instid0(VALU_DEP_1) | instskip(NEXT) | instid1(VALU_DEP_1)
	v_dual_add_f32 v32, v29, v31 :: v_dual_sub_f32 v27, v27, v33
	v_sub_f32_e32 v34, v32, v29
	v_sub_f32_e32 v30, v31, v30
	s_delay_alu instid0(VALU_DEP_2) | instskip(NEXT) | instid1(VALU_DEP_2)
	v_sub_f32_e32 v35, v32, v34
	v_sub_f32_e32 v18, v18, v30
	s_delay_alu instid0(VALU_DEP_2) | instskip(NEXT) | instid1(VALU_DEP_2)
	v_dual_sub_f32 v30, v31, v34 :: v_dual_sub_f32 v29, v29, v35
	v_add_f32_e32 v31, v27, v18
	s_delay_alu instid0(VALU_DEP_1) | instskip(NEXT) | instid1(VALU_DEP_1)
	v_dual_add_f32 v29, v30, v29 :: v_dual_sub_f32 v30, v31, v27
	v_add_f32_e32 v29, v31, v29
	s_delay_alu instid0(VALU_DEP_2) | instskip(NEXT) | instid1(VALU_DEP_2)
	v_sub_f32_e32 v31, v31, v30
	v_dual_sub_f32 v18, v18, v30 :: v_dual_add_f32 v33, v32, v29
	s_delay_alu instid0(VALU_DEP_1) | instskip(NEXT) | instid1(VALU_DEP_1)
	v_dual_sub_f32 v27, v27, v31 :: v_dual_sub_f32 v30, v33, v32
	v_dual_add_f32 v18, v18, v27 :: v_dual_sub_f32 v27, v29, v30
	s_delay_alu instid0(VALU_DEP_1) | instskip(NEXT) | instid1(VALU_DEP_1)
	v_add_f32_e32 v18, v18, v27
	v_add_f32_e32 v18, v33, v18
	s_delay_alu instid0(VALU_DEP_1) | instskip(NEXT) | instid1(VALU_DEP_1)
	v_cndmask_b32_e64 v13, v18, v13, s0
	v_add_f32_e32 v13, v26, v13
	s_delay_alu instid0(VALU_DEP_1) | instskip(NEXT) | instid1(VALU_DEP_1)
	v_cvt_f16_f32_e32 v30, v13
	v_cvt_f32_f16_e32 v13, v30
	v_mov_b32_e32 v18, v30
.LBB400_136:
	s_or_b32 exec_lo, exec_lo, s1
	s_delay_alu instid0(VALU_DEP_2) | instskip(SKIP_1) | instid1(VALU_DEP_2)
	v_dual_max_f32 v26, v11, v11 :: v_dual_max_f32 v27, v13, v13
	v_cmp_u_f16_e64 s0, v30, v30
	v_min_f32_e32 v29, v27, v26
	v_max_f32_e32 v26, v27, v26
	s_delay_alu instid0(VALU_DEP_2) | instskip(NEXT) | instid1(VALU_DEP_2)
	v_cndmask_b32_e64 v27, v29, v13, s0
	v_cndmask_b32_e64 v26, v26, v13, s0
	s_delay_alu instid0(VALU_DEP_2) | instskip(NEXT) | instid1(VALU_DEP_2)
	v_cndmask_b32_e64 v27, v27, v11, s30
	v_cndmask_b32_e64 v26, v26, v11, s30
	v_mov_b32_e32 v11, v18
	s_delay_alu instid0(VALU_DEP_3) | instskip(NEXT) | instid1(VALU_DEP_3)
	v_cmp_class_f32_e64 s1, v27, 0x1f8
	v_cmp_neq_f32_e64 s0, v27, v26
	s_delay_alu instid0(VALU_DEP_1) | instskip(NEXT) | instid1(SALU_CYCLE_1)
	s_or_b32 s0, s0, s1
	s_and_saveexec_b32 s1, s0
	s_cbranch_execz .LBB400_138
; %bb.137:
	v_sub_f32_e32 v11, v27, v26
	s_delay_alu instid0(VALU_DEP_1) | instskip(SKIP_1) | instid1(VALU_DEP_2)
	v_mul_f32_e32 v13, 0x3fb8aa3b, v11
	v_cmp_ngt_f32_e64 s0, 0xc2ce8ed0, v11
	v_fma_f32 v27, 0x3fb8aa3b, v11, -v13
	v_rndne_f32_e32 v29, v13
	s_delay_alu instid0(VALU_DEP_2) | instskip(NEXT) | instid1(VALU_DEP_2)
	v_fmamk_f32 v27, v11, 0x32a5705f, v27
	v_sub_f32_e32 v13, v13, v29
	s_delay_alu instid0(VALU_DEP_1) | instskip(SKIP_1) | instid1(VALU_DEP_2)
	v_add_f32_e32 v13, v13, v27
	v_cvt_i32_f32_e32 v27, v29
	v_exp_f32_e32 v13, v13
	s_waitcnt_depctr 0xfff
	v_ldexp_f32 v13, v13, v27
	s_delay_alu instid0(VALU_DEP_1) | instskip(SKIP_1) | instid1(VALU_DEP_1)
	v_cndmask_b32_e64 v13, 0, v13, s0
	v_cmp_nlt_f32_e64 s0, 0x42b17218, v11
	v_cndmask_b32_e64 v11, 0x7f800000, v13, s0
	s_delay_alu instid0(VALU_DEP_1) | instskip(SKIP_1) | instid1(VALU_DEP_2)
	v_add_f32_e32 v13, 1.0, v11
	v_cmp_gt_f32_e64 s23, 0x33800000, |v11|
	v_cvt_f64_f32_e32 v[29:30], v13
	s_delay_alu instid0(VALU_DEP_1) | instskip(SKIP_1) | instid1(VALU_DEP_1)
	v_frexp_exp_i32_f64_e32 v27, v[29:30]
	v_frexp_mant_f32_e32 v29, v13
	v_cmp_gt_f32_e64 s0, 0x3f2aaaab, v29
	v_add_f32_e32 v29, -1.0, v13
	s_delay_alu instid0(VALU_DEP_1) | instskip(SKIP_1) | instid1(VALU_DEP_2)
	v_sub_f32_e32 v31, v29, v13
	v_sub_f32_e32 v29, v11, v29
	v_add_f32_e32 v31, 1.0, v31
	s_delay_alu instid0(VALU_DEP_1) | instskip(SKIP_2) | instid1(VALU_DEP_1)
	v_add_f32_e32 v29, v29, v31
	v_subrev_co_ci_u32_e64 v27, s0, 0, v27, s0
	s_mov_b32 s0, 0x3e9b6dac
	v_sub_nc_u32_e32 v30, 0, v27
	v_cvt_f32_i32_e32 v27, v27
	s_delay_alu instid0(VALU_DEP_2) | instskip(SKIP_1) | instid1(VALU_DEP_2)
	v_ldexp_f32 v13, v13, v30
	v_ldexp_f32 v29, v29, v30
	v_add_f32_e32 v32, 1.0, v13
	s_delay_alu instid0(VALU_DEP_1) | instskip(NEXT) | instid1(VALU_DEP_1)
	v_dual_add_f32 v30, -1.0, v13 :: v_dual_add_f32 v31, -1.0, v32
	v_add_f32_e32 v33, 1.0, v30
	s_delay_alu instid0(VALU_DEP_2) | instskip(NEXT) | instid1(VALU_DEP_2)
	v_sub_f32_e32 v31, v13, v31
	v_sub_f32_e32 v13, v13, v33
	s_delay_alu instid0(VALU_DEP_2) | instskip(NEXT) | instid1(VALU_DEP_2)
	v_add_f32_e32 v31, v29, v31
	v_add_f32_e32 v13, v29, v13
	s_delay_alu instid0(VALU_DEP_1) | instskip(NEXT) | instid1(VALU_DEP_1)
	v_dual_add_f32 v33, v32, v31 :: v_dual_add_f32 v34, v30, v13
	v_rcp_f32_e32 v29, v33
	v_sub_f32_e32 v32, v32, v33
	s_delay_alu instid0(VALU_DEP_1) | instskip(SKIP_3) | instid1(VALU_DEP_2)
	v_dual_sub_f32 v30, v30, v34 :: v_dual_add_f32 v31, v31, v32
	s_waitcnt_depctr 0xfff
	v_mul_f32_e32 v35, v34, v29
	v_add_f32_e32 v13, v13, v30
	v_mul_f32_e32 v36, v33, v35
	s_delay_alu instid0(VALU_DEP_1) | instskip(NEXT) | instid1(VALU_DEP_1)
	v_fma_f32 v32, v35, v33, -v36
	v_fmac_f32_e32 v32, v35, v31
	s_delay_alu instid0(VALU_DEP_1) | instskip(NEXT) | instid1(VALU_DEP_1)
	v_add_f32_e32 v37, v36, v32
	v_sub_f32_e32 v38, v34, v37
	v_sub_f32_e32 v30, v37, v36
	s_delay_alu instid0(VALU_DEP_2) | instskip(NEXT) | instid1(VALU_DEP_2)
	v_sub_f32_e32 v34, v34, v38
	v_sub_f32_e32 v30, v30, v32
	s_delay_alu instid0(VALU_DEP_2) | instskip(NEXT) | instid1(VALU_DEP_1)
	v_sub_f32_e32 v34, v34, v37
	v_add_f32_e32 v13, v13, v34
	s_delay_alu instid0(VALU_DEP_1) | instskip(NEXT) | instid1(VALU_DEP_1)
	v_add_f32_e32 v13, v30, v13
	v_add_f32_e32 v30, v38, v13
	s_delay_alu instid0(VALU_DEP_1) | instskip(NEXT) | instid1(VALU_DEP_1)
	v_mul_f32_e32 v32, v29, v30
	v_dual_sub_f32 v37, v38, v30 :: v_dual_mul_f32 v34, v33, v32
	s_delay_alu instid0(VALU_DEP_1) | instskip(NEXT) | instid1(VALU_DEP_2)
	v_add_f32_e32 v13, v13, v37
	v_fma_f32 v33, v32, v33, -v34
	s_delay_alu instid0(VALU_DEP_1) | instskip(NEXT) | instid1(VALU_DEP_1)
	v_fmac_f32_e32 v33, v32, v31
	v_add_f32_e32 v31, v34, v33
	s_delay_alu instid0(VALU_DEP_1) | instskip(SKIP_1) | instid1(VALU_DEP_2)
	v_sub_f32_e32 v36, v30, v31
	v_sub_f32_e32 v34, v31, v34
	;; [unrolled: 1-line block ×3, first 2 shown]
	s_delay_alu instid0(VALU_DEP_1) | instskip(NEXT) | instid1(VALU_DEP_3)
	v_sub_f32_e32 v30, v30, v31
	v_sub_f32_e32 v31, v34, v33
	s_delay_alu instid0(VALU_DEP_2) | instskip(NEXT) | instid1(VALU_DEP_1)
	v_dual_add_f32 v13, v13, v30 :: v_dual_add_f32 v30, v35, v32
	v_add_f32_e32 v13, v31, v13
	s_delay_alu instid0(VALU_DEP_2) | instskip(NEXT) | instid1(VALU_DEP_2)
	v_sub_f32_e32 v31, v30, v35
	v_add_f32_e32 v13, v36, v13
	s_delay_alu instid0(VALU_DEP_2) | instskip(NEXT) | instid1(VALU_DEP_2)
	v_sub_f32_e32 v31, v32, v31
	v_mul_f32_e32 v13, v29, v13
	s_delay_alu instid0(VALU_DEP_1) | instskip(NEXT) | instid1(VALU_DEP_1)
	v_add_f32_e32 v13, v31, v13
	v_add_f32_e32 v29, v30, v13
	s_delay_alu instid0(VALU_DEP_1) | instskip(NEXT) | instid1(VALU_DEP_1)
	v_mul_f32_e32 v31, v29, v29
	v_fmaak_f32 v32, s0, v31, 0x3ecc95a3
	v_mul_f32_e32 v33, v29, v31
	v_cmp_eq_f32_e64 s0, 0x7f800000, v11
	s_delay_alu instid0(VALU_DEP_3) | instskip(SKIP_2) | instid1(VALU_DEP_4)
	v_fmaak_f32 v31, v31, v32, 0x3f2aaada
	v_ldexp_f32 v32, v29, 1
	v_sub_f32_e32 v29, v29, v30
	s_or_b32 s0, s0, s23
	s_delay_alu instid0(VALU_DEP_3) | instskip(SKIP_1) | instid1(VALU_DEP_2)
	v_mul_f32_e32 v31, v33, v31
	v_mul_f32_e32 v33, 0x3f317218, v27
	v_dual_sub_f32 v13, v13, v29 :: v_dual_add_f32 v30, v32, v31
	s_delay_alu instid0(VALU_DEP_1) | instskip(NEXT) | instid1(VALU_DEP_2)
	v_ldexp_f32 v13, v13, 1
	v_sub_f32_e32 v29, v30, v32
	s_delay_alu instid0(VALU_DEP_4) | instskip(NEXT) | instid1(VALU_DEP_2)
	v_fma_f32 v32, 0x3f317218, v27, -v33
	v_sub_f32_e32 v29, v31, v29
	s_delay_alu instid0(VALU_DEP_2) | instskip(NEXT) | instid1(VALU_DEP_2)
	v_fmamk_f32 v27, v27, 0xb102e308, v32
	v_add_f32_e32 v13, v13, v29
	s_delay_alu instid0(VALU_DEP_2) | instskip(NEXT) | instid1(VALU_DEP_2)
	v_add_f32_e32 v29, v33, v27
	v_add_f32_e32 v31, v30, v13
	s_delay_alu instid0(VALU_DEP_2) | instskip(NEXT) | instid1(VALU_DEP_2)
	v_sub_f32_e32 v33, v29, v33
	v_add_f32_e32 v32, v29, v31
	v_sub_f32_e32 v30, v31, v30
	s_delay_alu instid0(VALU_DEP_3) | instskip(NEXT) | instid1(VALU_DEP_2)
	v_sub_f32_e32 v27, v27, v33
	v_dual_sub_f32 v34, v32, v29 :: v_dual_sub_f32 v13, v13, v30
	s_delay_alu instid0(VALU_DEP_1) | instskip(SKIP_1) | instid1(VALU_DEP_3)
	v_sub_f32_e32 v35, v32, v34
	v_sub_f32_e32 v30, v31, v34
	v_add_f32_e32 v31, v27, v13
	s_delay_alu instid0(VALU_DEP_3) | instskip(NEXT) | instid1(VALU_DEP_1)
	v_sub_f32_e32 v29, v29, v35
	v_dual_add_f32 v29, v30, v29 :: v_dual_sub_f32 v30, v31, v27
	s_delay_alu instid0(VALU_DEP_1) | instskip(NEXT) | instid1(VALU_DEP_2)
	v_add_f32_e32 v29, v31, v29
	v_sub_f32_e32 v31, v31, v30
	v_sub_f32_e32 v13, v13, v30
	s_delay_alu instid0(VALU_DEP_3) | instskip(NEXT) | instid1(VALU_DEP_1)
	v_add_f32_e32 v33, v32, v29
	v_dual_sub_f32 v27, v27, v31 :: v_dual_sub_f32 v30, v33, v32
	s_delay_alu instid0(VALU_DEP_1) | instskip(NEXT) | instid1(VALU_DEP_2)
	v_add_f32_e32 v13, v13, v27
	v_sub_f32_e32 v27, v29, v30
	s_delay_alu instid0(VALU_DEP_1) | instskip(NEXT) | instid1(VALU_DEP_1)
	v_add_f32_e32 v13, v13, v27
	v_add_f32_e32 v13, v33, v13
	s_delay_alu instid0(VALU_DEP_1) | instskip(NEXT) | instid1(VALU_DEP_1)
	v_cndmask_b32_e64 v11, v13, v11, s0
	v_add_f32_e32 v11, v26, v11
	s_delay_alu instid0(VALU_DEP_1) | instskip(NEXT) | instid1(VALU_DEP_1)
	v_cvt_f16_f32_e32 v30, v11
	v_cvt_f32_f16_e32 v13, v30
	v_mov_b32_e32 v11, v30
.LBB400_138:
	s_or_b32 exec_lo, exec_lo, s1
	s_delay_alu instid0(VALU_DEP_2) | instskip(SKIP_1) | instid1(VALU_DEP_2)
	v_dual_max_f32 v26, v19, v19 :: v_dual_max_f32 v27, v13, v13
	v_cmp_u_f16_e64 s0, v30, v30
	v_min_f32_e32 v29, v27, v26
	v_max_f32_e32 v26, v27, v26
	s_delay_alu instid0(VALU_DEP_2) | instskip(NEXT) | instid1(VALU_DEP_2)
	v_cndmask_b32_e64 v27, v29, v13, s0
	v_cndmask_b32_e64 v26, v26, v13, s0
	s_delay_alu instid0(VALU_DEP_2) | instskip(NEXT) | instid1(VALU_DEP_2)
	v_cndmask_b32_e64 v27, v27, v19, s31
	v_cndmask_b32_e64 v26, v26, v19, s31
	v_mov_b32_e32 v19, v11
	s_delay_alu instid0(VALU_DEP_3) | instskip(NEXT) | instid1(VALU_DEP_3)
	v_cmp_class_f32_e64 s1, v27, 0x1f8
	v_cmp_neq_f32_e64 s0, v27, v26
	s_delay_alu instid0(VALU_DEP_1) | instskip(NEXT) | instid1(SALU_CYCLE_1)
	s_or_b32 s0, s0, s1
	s_and_saveexec_b32 s1, s0
	s_cbranch_execz .LBB400_140
; %bb.139:
	v_sub_f32_e32 v13, v27, v26
	s_delay_alu instid0(VALU_DEP_1) | instskip(SKIP_1) | instid1(VALU_DEP_2)
	v_mul_f32_e32 v19, 0x3fb8aa3b, v13
	v_cmp_ngt_f32_e64 s0, 0xc2ce8ed0, v13
	v_fma_f32 v27, 0x3fb8aa3b, v13, -v19
	v_rndne_f32_e32 v29, v19
	s_delay_alu instid0(VALU_DEP_2) | instskip(NEXT) | instid1(VALU_DEP_2)
	v_fmamk_f32 v27, v13, 0x32a5705f, v27
	v_sub_f32_e32 v19, v19, v29
	s_delay_alu instid0(VALU_DEP_1) | instskip(SKIP_1) | instid1(VALU_DEP_2)
	v_add_f32_e32 v19, v19, v27
	v_cvt_i32_f32_e32 v27, v29
	v_exp_f32_e32 v19, v19
	s_waitcnt_depctr 0xfff
	v_ldexp_f32 v19, v19, v27
	s_delay_alu instid0(VALU_DEP_1) | instskip(SKIP_1) | instid1(VALU_DEP_1)
	v_cndmask_b32_e64 v19, 0, v19, s0
	v_cmp_nlt_f32_e64 s0, 0x42b17218, v13
	v_cndmask_b32_e64 v13, 0x7f800000, v19, s0
	s_delay_alu instid0(VALU_DEP_1) | instskip(SKIP_1) | instid1(VALU_DEP_2)
	v_add_f32_e32 v19, 1.0, v13
	v_cmp_gt_f32_e64 s23, 0x33800000, |v13|
	v_cvt_f64_f32_e32 v[29:30], v19
	s_delay_alu instid0(VALU_DEP_1) | instskip(SKIP_1) | instid1(VALU_DEP_1)
	v_frexp_exp_i32_f64_e32 v27, v[29:30]
	v_frexp_mant_f32_e32 v29, v19
	v_cmp_gt_f32_e64 s0, 0x3f2aaaab, v29
	v_add_f32_e32 v29, -1.0, v19
	s_delay_alu instid0(VALU_DEP_1) | instskip(SKIP_1) | instid1(VALU_DEP_2)
	v_sub_f32_e32 v31, v29, v19
	v_sub_f32_e32 v29, v13, v29
	v_add_f32_e32 v31, 1.0, v31
	s_delay_alu instid0(VALU_DEP_1) | instskip(SKIP_2) | instid1(VALU_DEP_1)
	v_add_f32_e32 v29, v29, v31
	v_subrev_co_ci_u32_e64 v27, s0, 0, v27, s0
	s_mov_b32 s0, 0x3e9b6dac
	v_sub_nc_u32_e32 v30, 0, v27
	v_cvt_f32_i32_e32 v27, v27
	s_delay_alu instid0(VALU_DEP_2) | instskip(SKIP_1) | instid1(VALU_DEP_2)
	v_ldexp_f32 v19, v19, v30
	v_ldexp_f32 v29, v29, v30
	v_add_f32_e32 v32, 1.0, v19
	s_delay_alu instid0(VALU_DEP_1) | instskip(NEXT) | instid1(VALU_DEP_1)
	v_dual_add_f32 v30, -1.0, v19 :: v_dual_add_f32 v31, -1.0, v32
	v_add_f32_e32 v33, 1.0, v30
	s_delay_alu instid0(VALU_DEP_2) | instskip(NEXT) | instid1(VALU_DEP_2)
	v_sub_f32_e32 v31, v19, v31
	v_sub_f32_e32 v19, v19, v33
	s_delay_alu instid0(VALU_DEP_2) | instskip(NEXT) | instid1(VALU_DEP_2)
	v_add_f32_e32 v31, v29, v31
	v_add_f32_e32 v19, v29, v19
	s_delay_alu instid0(VALU_DEP_2) | instskip(NEXT) | instid1(VALU_DEP_2)
	v_add_f32_e32 v33, v32, v31
	v_add_f32_e32 v34, v30, v19
	s_delay_alu instid0(VALU_DEP_2) | instskip(SKIP_1) | instid1(VALU_DEP_1)
	v_rcp_f32_e32 v29, v33
	v_sub_f32_e32 v32, v32, v33
	v_dual_sub_f32 v30, v30, v34 :: v_dual_add_f32 v31, v31, v32
	s_delay_alu instid0(VALU_DEP_1) | instskip(SKIP_2) | instid1(VALU_DEP_1)
	v_add_f32_e32 v19, v19, v30
	s_waitcnt_depctr 0xfff
	v_mul_f32_e32 v35, v34, v29
	v_mul_f32_e32 v36, v33, v35
	s_delay_alu instid0(VALU_DEP_1) | instskip(NEXT) | instid1(VALU_DEP_1)
	v_fma_f32 v32, v35, v33, -v36
	v_fmac_f32_e32 v32, v35, v31
	s_delay_alu instid0(VALU_DEP_1) | instskip(NEXT) | instid1(VALU_DEP_1)
	v_add_f32_e32 v37, v36, v32
	v_sub_f32_e32 v38, v34, v37
	v_sub_f32_e32 v30, v37, v36
	s_delay_alu instid0(VALU_DEP_2) | instskip(NEXT) | instid1(VALU_DEP_2)
	v_sub_f32_e32 v34, v34, v38
	v_sub_f32_e32 v30, v30, v32
	s_delay_alu instid0(VALU_DEP_2) | instskip(NEXT) | instid1(VALU_DEP_1)
	v_sub_f32_e32 v34, v34, v37
	v_add_f32_e32 v19, v19, v34
	s_delay_alu instid0(VALU_DEP_1) | instskip(NEXT) | instid1(VALU_DEP_1)
	v_add_f32_e32 v19, v30, v19
	v_add_f32_e32 v30, v38, v19
	s_delay_alu instid0(VALU_DEP_1) | instskip(NEXT) | instid1(VALU_DEP_1)
	v_mul_f32_e32 v32, v29, v30
	v_dual_sub_f32 v37, v38, v30 :: v_dual_mul_f32 v34, v33, v32
	s_delay_alu instid0(VALU_DEP_1) | instskip(NEXT) | instid1(VALU_DEP_2)
	v_add_f32_e32 v19, v19, v37
	v_fma_f32 v33, v32, v33, -v34
	s_delay_alu instid0(VALU_DEP_1) | instskip(NEXT) | instid1(VALU_DEP_1)
	v_fmac_f32_e32 v33, v32, v31
	v_add_f32_e32 v31, v34, v33
	s_delay_alu instid0(VALU_DEP_1) | instskip(SKIP_1) | instid1(VALU_DEP_2)
	v_sub_f32_e32 v36, v30, v31
	v_sub_f32_e32 v34, v31, v34
	;; [unrolled: 1-line block ×3, first 2 shown]
	s_delay_alu instid0(VALU_DEP_1) | instskip(NEXT) | instid1(VALU_DEP_3)
	v_sub_f32_e32 v30, v30, v31
	v_sub_f32_e32 v31, v34, v33
	s_delay_alu instid0(VALU_DEP_2) | instskip(SKIP_1) | instid1(VALU_DEP_2)
	v_add_f32_e32 v19, v19, v30
	v_add_f32_e32 v30, v35, v32
	;; [unrolled: 1-line block ×3, first 2 shown]
	s_delay_alu instid0(VALU_DEP_2) | instskip(NEXT) | instid1(VALU_DEP_2)
	v_sub_f32_e32 v31, v30, v35
	v_add_f32_e32 v19, v36, v19
	s_delay_alu instid0(VALU_DEP_2) | instskip(NEXT) | instid1(VALU_DEP_2)
	v_sub_f32_e32 v31, v32, v31
	v_mul_f32_e32 v19, v29, v19
	s_delay_alu instid0(VALU_DEP_1) | instskip(NEXT) | instid1(VALU_DEP_1)
	v_add_f32_e32 v19, v31, v19
	v_add_f32_e32 v29, v30, v19
	s_delay_alu instid0(VALU_DEP_1) | instskip(NEXT) | instid1(VALU_DEP_1)
	v_mul_f32_e32 v31, v29, v29
	v_fmaak_f32 v32, s0, v31, 0x3ecc95a3
	v_mul_f32_e32 v33, v29, v31
	v_cmp_eq_f32_e64 s0, 0x7f800000, v13
	s_delay_alu instid0(VALU_DEP_3) | instskip(SKIP_2) | instid1(VALU_DEP_4)
	v_fmaak_f32 v31, v31, v32, 0x3f2aaada
	v_ldexp_f32 v32, v29, 1
	v_sub_f32_e32 v29, v29, v30
	s_or_b32 s0, s0, s23
	s_delay_alu instid0(VALU_DEP_3) | instskip(SKIP_1) | instid1(VALU_DEP_2)
	v_mul_f32_e32 v31, v33, v31
	v_mul_f32_e32 v33, 0x3f317218, v27
	v_dual_sub_f32 v19, v19, v29 :: v_dual_add_f32 v30, v32, v31
	s_delay_alu instid0(VALU_DEP_1) | instskip(NEXT) | instid1(VALU_DEP_2)
	v_ldexp_f32 v19, v19, 1
	v_sub_f32_e32 v29, v30, v32
	s_delay_alu instid0(VALU_DEP_4) | instskip(NEXT) | instid1(VALU_DEP_2)
	v_fma_f32 v32, 0x3f317218, v27, -v33
	v_sub_f32_e32 v29, v31, v29
	s_delay_alu instid0(VALU_DEP_2) | instskip(NEXT) | instid1(VALU_DEP_2)
	v_fmamk_f32 v27, v27, 0xb102e308, v32
	v_add_f32_e32 v19, v19, v29
	s_delay_alu instid0(VALU_DEP_2) | instskip(NEXT) | instid1(VALU_DEP_2)
	v_add_f32_e32 v29, v33, v27
	v_add_f32_e32 v31, v30, v19
	s_delay_alu instid0(VALU_DEP_2) | instskip(NEXT) | instid1(VALU_DEP_2)
	v_sub_f32_e32 v33, v29, v33
	v_add_f32_e32 v32, v29, v31
	v_sub_f32_e32 v30, v31, v30
	s_delay_alu instid0(VALU_DEP_3) | instskip(NEXT) | instid1(VALU_DEP_2)
	v_sub_f32_e32 v27, v27, v33
	v_dual_sub_f32 v34, v32, v29 :: v_dual_sub_f32 v19, v19, v30
	s_delay_alu instid0(VALU_DEP_1) | instskip(SKIP_1) | instid1(VALU_DEP_3)
	v_sub_f32_e32 v35, v32, v34
	v_sub_f32_e32 v30, v31, v34
	v_add_f32_e32 v31, v27, v19
	s_delay_alu instid0(VALU_DEP_3) | instskip(NEXT) | instid1(VALU_DEP_1)
	v_sub_f32_e32 v29, v29, v35
	v_dual_add_f32 v29, v30, v29 :: v_dual_sub_f32 v30, v31, v27
	s_delay_alu instid0(VALU_DEP_1) | instskip(NEXT) | instid1(VALU_DEP_2)
	v_add_f32_e32 v29, v31, v29
	v_sub_f32_e32 v31, v31, v30
	v_sub_f32_e32 v19, v19, v30
	s_delay_alu instid0(VALU_DEP_3) | instskip(NEXT) | instid1(VALU_DEP_1)
	v_add_f32_e32 v33, v32, v29
	v_dual_sub_f32 v27, v27, v31 :: v_dual_sub_f32 v30, v33, v32
	s_delay_alu instid0(VALU_DEP_1) | instskip(NEXT) | instid1(VALU_DEP_2)
	v_add_f32_e32 v19, v19, v27
	v_sub_f32_e32 v27, v29, v30
	s_delay_alu instid0(VALU_DEP_1) | instskip(NEXT) | instid1(VALU_DEP_1)
	v_add_f32_e32 v19, v19, v27
	v_add_f32_e32 v19, v33, v19
	s_delay_alu instid0(VALU_DEP_1) | instskip(NEXT) | instid1(VALU_DEP_1)
	v_cndmask_b32_e64 v13, v19, v13, s0
	v_add_f32_e32 v13, v26, v13
	s_delay_alu instid0(VALU_DEP_1) | instskip(NEXT) | instid1(VALU_DEP_1)
	v_cvt_f16_f32_e32 v30, v13
	v_cvt_f32_f16_e32 v13, v30
	v_mov_b32_e32 v19, v30
.LBB400_140:
	s_or_b32 exec_lo, exec_lo, s1
	s_delay_alu instid0(VALU_DEP_2) | instskip(SKIP_1) | instid1(VALU_DEP_2)
	v_dual_max_f32 v26, v8, v8 :: v_dual_max_f32 v27, v13, v13
	v_cmp_u_f16_e64 s0, v30, v30
	v_min_f32_e32 v29, v27, v26
	v_max_f32_e32 v26, v27, v26
	s_delay_alu instid0(VALU_DEP_2) | instskip(NEXT) | instid1(VALU_DEP_2)
	v_cndmask_b32_e64 v27, v29, v13, s0
	v_cndmask_b32_e64 v26, v26, v13, s0
	s_delay_alu instid0(VALU_DEP_2) | instskip(NEXT) | instid1(VALU_DEP_2)
	v_cndmask_b32_e64 v27, v27, v8, s33
	v_cndmask_b32_e64 v26, v26, v8, s33
	v_mov_b32_e32 v8, v19
	s_delay_alu instid0(VALU_DEP_3) | instskip(NEXT) | instid1(VALU_DEP_3)
	v_cmp_class_f32_e64 s1, v27, 0x1f8
	v_cmp_neq_f32_e64 s0, v27, v26
	s_delay_alu instid0(VALU_DEP_1) | instskip(NEXT) | instid1(SALU_CYCLE_1)
	s_or_b32 s0, s0, s1
	s_and_saveexec_b32 s1, s0
	s_cbranch_execz .LBB400_142
; %bb.141:
	v_sub_f32_e32 v8, v27, v26
	s_delay_alu instid0(VALU_DEP_1) | instskip(NEXT) | instid1(VALU_DEP_1)
	v_mul_f32_e32 v13, 0x3fb8aa3b, v8
	v_fma_f32 v27, 0x3fb8aa3b, v8, -v13
	v_rndne_f32_e32 v29, v13
	s_delay_alu instid0(VALU_DEP_1) | instskip(NEXT) | instid1(VALU_DEP_3)
	v_sub_f32_e32 v13, v13, v29
	v_fmamk_f32 v27, v8, 0x32a5705f, v27
	v_cmp_ngt_f32_e64 s0, 0xc2ce8ed0, v8
	s_delay_alu instid0(VALU_DEP_2) | instskip(SKIP_1) | instid1(VALU_DEP_2)
	v_add_f32_e32 v13, v13, v27
	v_cvt_i32_f32_e32 v27, v29
	v_exp_f32_e32 v13, v13
	s_waitcnt_depctr 0xfff
	v_ldexp_f32 v13, v13, v27
	s_delay_alu instid0(VALU_DEP_1) | instskip(SKIP_1) | instid1(VALU_DEP_1)
	v_cndmask_b32_e64 v13, 0, v13, s0
	v_cmp_nlt_f32_e64 s0, 0x42b17218, v8
	v_cndmask_b32_e64 v8, 0x7f800000, v13, s0
	s_delay_alu instid0(VALU_DEP_1) | instskip(SKIP_1) | instid1(VALU_DEP_2)
	v_add_f32_e32 v13, 1.0, v8
	v_cmp_gt_f32_e64 s23, 0x33800000, |v8|
	v_cvt_f64_f32_e32 v[29:30], v13
	s_delay_alu instid0(VALU_DEP_1) | instskip(SKIP_1) | instid1(VALU_DEP_1)
	v_frexp_exp_i32_f64_e32 v27, v[29:30]
	v_frexp_mant_f32_e32 v29, v13
	v_cmp_gt_f32_e64 s0, 0x3f2aaaab, v29
	v_add_f32_e32 v29, -1.0, v13
	s_delay_alu instid0(VALU_DEP_1) | instskip(SKIP_1) | instid1(VALU_DEP_4)
	v_sub_f32_e32 v31, v29, v13
	v_sub_f32_e32 v29, v8, v29
	v_subrev_co_ci_u32_e64 v27, s0, 0, v27, s0
	s_mov_b32 s0, 0x3e9b6dac
	s_delay_alu instid0(VALU_DEP_1) | instskip(SKIP_1) | instid1(VALU_DEP_2)
	v_sub_nc_u32_e32 v30, 0, v27
	v_cvt_f32_i32_e32 v27, v27
	v_ldexp_f32 v13, v13, v30
	s_delay_alu instid0(VALU_DEP_1) | instskip(NEXT) | instid1(VALU_DEP_1)
	v_dual_add_f32 v31, 1.0, v31 :: v_dual_add_f32 v32, 1.0, v13
	v_add_f32_e32 v29, v29, v31
	s_delay_alu instid0(VALU_DEP_2) | instskip(NEXT) | instid1(VALU_DEP_2)
	v_add_f32_e32 v31, -1.0, v32
	v_ldexp_f32 v29, v29, v30
	s_delay_alu instid0(VALU_DEP_2) | instskip(NEXT) | instid1(VALU_DEP_1)
	v_dual_add_f32 v30, -1.0, v13 :: v_dual_sub_f32 v31, v13, v31
	v_add_f32_e32 v33, 1.0, v30
	s_delay_alu instid0(VALU_DEP_2) | instskip(NEXT) | instid1(VALU_DEP_2)
	v_add_f32_e32 v31, v29, v31
	v_sub_f32_e32 v13, v13, v33
	s_delay_alu instid0(VALU_DEP_2) | instskip(NEXT) | instid1(VALU_DEP_2)
	v_add_f32_e32 v33, v32, v31
	v_add_f32_e32 v13, v29, v13
	s_delay_alu instid0(VALU_DEP_2) | instskip(SKIP_1) | instid1(VALU_DEP_1)
	v_rcp_f32_e32 v29, v33
	v_sub_f32_e32 v32, v32, v33
	v_dual_add_f32 v34, v30, v13 :: v_dual_add_f32 v31, v31, v32
	s_delay_alu instid0(VALU_DEP_1) | instskip(SKIP_3) | instid1(VALU_DEP_2)
	v_sub_f32_e32 v30, v30, v34
	s_waitcnt_depctr 0xfff
	v_mul_f32_e32 v35, v34, v29
	v_add_f32_e32 v13, v13, v30
	v_mul_f32_e32 v36, v33, v35
	s_delay_alu instid0(VALU_DEP_1) | instskip(NEXT) | instid1(VALU_DEP_1)
	v_fma_f32 v32, v35, v33, -v36
	v_fmac_f32_e32 v32, v35, v31
	s_delay_alu instid0(VALU_DEP_1) | instskip(NEXT) | instid1(VALU_DEP_1)
	v_add_f32_e32 v37, v36, v32
	v_sub_f32_e32 v38, v34, v37
	v_sub_f32_e32 v30, v37, v36
	s_delay_alu instid0(VALU_DEP_2) | instskip(NEXT) | instid1(VALU_DEP_2)
	v_sub_f32_e32 v34, v34, v38
	v_sub_f32_e32 v30, v30, v32
	s_delay_alu instid0(VALU_DEP_2) | instskip(NEXT) | instid1(VALU_DEP_1)
	v_sub_f32_e32 v34, v34, v37
	v_add_f32_e32 v13, v13, v34
	s_delay_alu instid0(VALU_DEP_1) | instskip(NEXT) | instid1(VALU_DEP_1)
	v_add_f32_e32 v13, v30, v13
	v_add_f32_e32 v30, v38, v13
	s_delay_alu instid0(VALU_DEP_1) | instskip(NEXT) | instid1(VALU_DEP_1)
	v_mul_f32_e32 v32, v29, v30
	v_dual_sub_f32 v37, v38, v30 :: v_dual_mul_f32 v34, v33, v32
	s_delay_alu instid0(VALU_DEP_1) | instskip(NEXT) | instid1(VALU_DEP_2)
	v_add_f32_e32 v13, v13, v37
	v_fma_f32 v33, v32, v33, -v34
	s_delay_alu instid0(VALU_DEP_1) | instskip(NEXT) | instid1(VALU_DEP_1)
	v_fmac_f32_e32 v33, v32, v31
	v_add_f32_e32 v31, v34, v33
	s_delay_alu instid0(VALU_DEP_1) | instskip(SKIP_1) | instid1(VALU_DEP_2)
	v_sub_f32_e32 v36, v30, v31
	v_sub_f32_e32 v34, v31, v34
	;; [unrolled: 1-line block ×3, first 2 shown]
	s_delay_alu instid0(VALU_DEP_1) | instskip(NEXT) | instid1(VALU_DEP_3)
	v_sub_f32_e32 v30, v30, v31
	v_sub_f32_e32 v31, v34, v33
	s_delay_alu instid0(VALU_DEP_2) | instskip(NEXT) | instid1(VALU_DEP_1)
	v_dual_add_f32 v13, v13, v30 :: v_dual_add_f32 v30, v35, v32
	v_add_f32_e32 v13, v31, v13
	s_delay_alu instid0(VALU_DEP_2) | instskip(NEXT) | instid1(VALU_DEP_2)
	v_sub_f32_e32 v31, v30, v35
	v_add_f32_e32 v13, v36, v13
	s_delay_alu instid0(VALU_DEP_2) | instskip(NEXT) | instid1(VALU_DEP_2)
	v_sub_f32_e32 v31, v32, v31
	v_mul_f32_e32 v13, v29, v13
	s_delay_alu instid0(VALU_DEP_1) | instskip(NEXT) | instid1(VALU_DEP_1)
	v_add_f32_e32 v13, v31, v13
	v_add_f32_e32 v29, v30, v13
	s_delay_alu instid0(VALU_DEP_1) | instskip(NEXT) | instid1(VALU_DEP_1)
	v_mul_f32_e32 v31, v29, v29
	v_fmaak_f32 v32, s0, v31, 0x3ecc95a3
	v_mul_f32_e32 v33, v29, v31
	v_cmp_eq_f32_e64 s0, 0x7f800000, v8
	s_delay_alu instid0(VALU_DEP_3) | instskip(SKIP_2) | instid1(VALU_DEP_4)
	v_fmaak_f32 v31, v31, v32, 0x3f2aaada
	v_ldexp_f32 v32, v29, 1
	v_sub_f32_e32 v29, v29, v30
	s_or_b32 s0, s0, s23
	s_delay_alu instid0(VALU_DEP_3) | instskip(SKIP_1) | instid1(VALU_DEP_2)
	v_mul_f32_e32 v31, v33, v31
	v_mul_f32_e32 v33, 0x3f317218, v27
	v_dual_sub_f32 v13, v13, v29 :: v_dual_add_f32 v30, v32, v31
	s_delay_alu instid0(VALU_DEP_1) | instskip(NEXT) | instid1(VALU_DEP_2)
	v_ldexp_f32 v13, v13, 1
	v_sub_f32_e32 v29, v30, v32
	s_delay_alu instid0(VALU_DEP_4) | instskip(NEXT) | instid1(VALU_DEP_2)
	v_fma_f32 v32, 0x3f317218, v27, -v33
	v_sub_f32_e32 v29, v31, v29
	s_delay_alu instid0(VALU_DEP_2) | instskip(NEXT) | instid1(VALU_DEP_2)
	v_fmamk_f32 v27, v27, 0xb102e308, v32
	v_add_f32_e32 v13, v13, v29
	s_delay_alu instid0(VALU_DEP_2) | instskip(NEXT) | instid1(VALU_DEP_2)
	v_add_f32_e32 v29, v33, v27
	v_add_f32_e32 v31, v30, v13
	s_delay_alu instid0(VALU_DEP_2) | instskip(NEXT) | instid1(VALU_DEP_2)
	v_sub_f32_e32 v33, v29, v33
	v_add_f32_e32 v32, v29, v31
	v_sub_f32_e32 v30, v31, v30
	s_delay_alu instid0(VALU_DEP_3) | instskip(NEXT) | instid1(VALU_DEP_2)
	v_sub_f32_e32 v27, v27, v33
	v_dual_sub_f32 v34, v32, v29 :: v_dual_sub_f32 v13, v13, v30
	s_delay_alu instid0(VALU_DEP_1) | instskip(SKIP_1) | instid1(VALU_DEP_3)
	v_sub_f32_e32 v35, v32, v34
	v_sub_f32_e32 v30, v31, v34
	v_add_f32_e32 v31, v27, v13
	s_delay_alu instid0(VALU_DEP_3) | instskip(NEXT) | instid1(VALU_DEP_1)
	v_sub_f32_e32 v29, v29, v35
	v_dual_add_f32 v29, v30, v29 :: v_dual_sub_f32 v30, v31, v27
	s_delay_alu instid0(VALU_DEP_1) | instskip(NEXT) | instid1(VALU_DEP_2)
	v_add_f32_e32 v29, v31, v29
	v_sub_f32_e32 v31, v31, v30
	v_sub_f32_e32 v13, v13, v30
	s_delay_alu instid0(VALU_DEP_3) | instskip(NEXT) | instid1(VALU_DEP_1)
	v_add_f32_e32 v33, v32, v29
	v_dual_sub_f32 v27, v27, v31 :: v_dual_sub_f32 v30, v33, v32
	s_delay_alu instid0(VALU_DEP_1) | instskip(NEXT) | instid1(VALU_DEP_2)
	v_add_f32_e32 v13, v13, v27
	v_sub_f32_e32 v27, v29, v30
	s_delay_alu instid0(VALU_DEP_1) | instskip(NEXT) | instid1(VALU_DEP_1)
	v_add_f32_e32 v13, v13, v27
	v_add_f32_e32 v13, v33, v13
	s_delay_alu instid0(VALU_DEP_1) | instskip(NEXT) | instid1(VALU_DEP_1)
	v_cndmask_b32_e64 v8, v13, v8, s0
	v_add_f32_e32 v8, v26, v8
	s_delay_alu instid0(VALU_DEP_1) | instskip(NEXT) | instid1(VALU_DEP_1)
	v_cvt_f16_f32_e32 v30, v8
	v_mov_b32_e32 v8, v30
	v_cvt_f32_f16_e32 v13, v30
.LBB400_142:
	s_or_b32 exec_lo, exec_lo, s1
	s_delay_alu instid0(VALU_DEP_1) | instskip(SKIP_1) | instid1(VALU_DEP_2)
	v_dual_max_f32 v26, v20, v20 :: v_dual_max_f32 v27, v13, v13
	v_cmp_u_f16_e64 s0, v30, v30
	v_min_f32_e32 v29, v27, v26
	v_max_f32_e32 v26, v27, v26
	s_delay_alu instid0(VALU_DEP_2) | instskip(NEXT) | instid1(VALU_DEP_2)
	v_cndmask_b32_e64 v27, v29, v13, s0
	v_cndmask_b32_e64 v26, v26, v13, s0
	s_delay_alu instid0(VALU_DEP_2) | instskip(NEXT) | instid1(VALU_DEP_2)
	v_cndmask_b32_e64 v27, v27, v20, s34
	v_cndmask_b32_e64 v26, v26, v20, s34
	v_mov_b32_e32 v20, v8
	s_delay_alu instid0(VALU_DEP_3) | instskip(NEXT) | instid1(VALU_DEP_3)
	v_cmp_class_f32_e64 s1, v27, 0x1f8
	v_cmp_neq_f32_e64 s0, v27, v26
	s_delay_alu instid0(VALU_DEP_1) | instskip(NEXT) | instid1(SALU_CYCLE_1)
	s_or_b32 s0, s0, s1
	s_and_saveexec_b32 s1, s0
	s_cbranch_execz .LBB400_144
; %bb.143:
	v_sub_f32_e32 v13, v27, v26
	s_delay_alu instid0(VALU_DEP_1) | instskip(NEXT) | instid1(VALU_DEP_1)
	v_mul_f32_e32 v20, 0x3fb8aa3b, v13
	v_fma_f32 v27, 0x3fb8aa3b, v13, -v20
	v_rndne_f32_e32 v29, v20
	s_delay_alu instid0(VALU_DEP_1) | instskip(SKIP_1) | instid1(VALU_DEP_2)
	v_dual_sub_f32 v20, v20, v29 :: v_dual_fmamk_f32 v27, v13, 0x32a5705f, v27
	v_cmp_ngt_f32_e64 s0, 0xc2ce8ed0, v13
	v_add_f32_e32 v20, v20, v27
	v_cvt_i32_f32_e32 v27, v29
	s_delay_alu instid0(VALU_DEP_2) | instskip(SKIP_2) | instid1(VALU_DEP_1)
	v_exp_f32_e32 v20, v20
	s_waitcnt_depctr 0xfff
	v_ldexp_f32 v20, v20, v27
	v_cndmask_b32_e64 v20, 0, v20, s0
	v_cmp_nlt_f32_e64 s0, 0x42b17218, v13
	s_delay_alu instid0(VALU_DEP_1) | instskip(NEXT) | instid1(VALU_DEP_1)
	v_cndmask_b32_e64 v13, 0x7f800000, v20, s0
	v_add_f32_e32 v20, 1.0, v13
	v_cmp_gt_f32_e64 s23, 0x33800000, |v13|
	s_delay_alu instid0(VALU_DEP_2) | instskip(NEXT) | instid1(VALU_DEP_1)
	v_cvt_f64_f32_e32 v[29:30], v20
	v_frexp_exp_i32_f64_e32 v27, v[29:30]
	v_frexp_mant_f32_e32 v29, v20
	s_delay_alu instid0(VALU_DEP_1) | instskip(SKIP_1) | instid1(VALU_DEP_1)
	v_cmp_gt_f32_e64 s0, 0x3f2aaaab, v29
	v_add_f32_e32 v29, -1.0, v20
	v_sub_f32_e32 v31, v29, v20
	v_sub_f32_e32 v29, v13, v29
	s_delay_alu instid0(VALU_DEP_2) | instskip(NEXT) | instid1(VALU_DEP_1)
	v_add_f32_e32 v31, 1.0, v31
	v_add_f32_e32 v29, v29, v31
	v_subrev_co_ci_u32_e64 v27, s0, 0, v27, s0
	s_mov_b32 s0, 0x3e9b6dac
	s_delay_alu instid0(VALU_DEP_1) | instskip(SKIP_1) | instid1(VALU_DEP_2)
	v_sub_nc_u32_e32 v30, 0, v27
	v_cvt_f32_i32_e32 v27, v27
	v_ldexp_f32 v20, v20, v30
	v_ldexp_f32 v29, v29, v30
	s_delay_alu instid0(VALU_DEP_2) | instskip(NEXT) | instid1(VALU_DEP_1)
	v_add_f32_e32 v32, 1.0, v20
	v_add_f32_e32 v31, -1.0, v32
	s_delay_alu instid0(VALU_DEP_1) | instskip(NEXT) | instid1(VALU_DEP_1)
	v_dual_add_f32 v30, -1.0, v20 :: v_dual_sub_f32 v31, v20, v31
	v_add_f32_e32 v33, 1.0, v30
	s_delay_alu instid0(VALU_DEP_1) | instskip(NEXT) | instid1(VALU_DEP_1)
	v_sub_f32_e32 v20, v20, v33
	v_add_f32_e32 v20, v29, v20
	s_delay_alu instid0(VALU_DEP_1) | instskip(NEXT) | instid1(VALU_DEP_1)
	v_dual_add_f32 v31, v29, v31 :: v_dual_add_f32 v34, v30, v20
	v_dual_add_f32 v33, v32, v31 :: v_dual_sub_f32 v30, v30, v34
	s_delay_alu instid0(VALU_DEP_1) | instskip(SKIP_1) | instid1(VALU_DEP_1)
	v_rcp_f32_e32 v29, v33
	v_sub_f32_e32 v32, v32, v33
	v_dual_add_f32 v20, v20, v30 :: v_dual_add_f32 v31, v31, v32
	s_waitcnt_depctr 0xfff
	v_mul_f32_e32 v35, v34, v29
	s_delay_alu instid0(VALU_DEP_1) | instskip(NEXT) | instid1(VALU_DEP_1)
	v_mul_f32_e32 v36, v33, v35
	v_fma_f32 v32, v35, v33, -v36
	s_delay_alu instid0(VALU_DEP_1) | instskip(NEXT) | instid1(VALU_DEP_1)
	v_fmac_f32_e32 v32, v35, v31
	v_add_f32_e32 v37, v36, v32
	s_delay_alu instid0(VALU_DEP_1) | instskip(NEXT) | instid1(VALU_DEP_1)
	v_sub_f32_e32 v38, v34, v37
	v_sub_f32_e32 v34, v34, v38
	;; [unrolled: 1-line block ×3, first 2 shown]
	s_delay_alu instid0(VALU_DEP_2) | instskip(NEXT) | instid1(VALU_DEP_2)
	v_sub_f32_e32 v34, v34, v37
	v_sub_f32_e32 v30, v30, v32
	s_delay_alu instid0(VALU_DEP_2) | instskip(NEXT) | instid1(VALU_DEP_1)
	v_add_f32_e32 v20, v20, v34
	v_add_f32_e32 v20, v30, v20
	s_delay_alu instid0(VALU_DEP_1) | instskip(NEXT) | instid1(VALU_DEP_1)
	v_add_f32_e32 v30, v38, v20
	v_mul_f32_e32 v32, v29, v30
	s_delay_alu instid0(VALU_DEP_1) | instskip(NEXT) | instid1(VALU_DEP_1)
	v_dual_sub_f32 v37, v38, v30 :: v_dual_mul_f32 v34, v33, v32
	v_add_f32_e32 v20, v20, v37
	s_delay_alu instid0(VALU_DEP_2) | instskip(NEXT) | instid1(VALU_DEP_1)
	v_fma_f32 v33, v32, v33, -v34
	v_fmac_f32_e32 v33, v32, v31
	s_delay_alu instid0(VALU_DEP_1) | instskip(NEXT) | instid1(VALU_DEP_1)
	v_add_f32_e32 v31, v34, v33
	v_sub_f32_e32 v36, v30, v31
	s_delay_alu instid0(VALU_DEP_1) | instskip(NEXT) | instid1(VALU_DEP_1)
	v_sub_f32_e32 v30, v30, v36
	v_sub_f32_e32 v30, v30, v31
	s_delay_alu instid0(VALU_DEP_1) | instskip(SKIP_2) | instid1(VALU_DEP_1)
	v_add_f32_e32 v20, v20, v30
	v_add_f32_e32 v30, v35, v32
	v_sub_f32_e32 v34, v31, v34
	v_sub_f32_e32 v31, v34, v33
	s_delay_alu instid0(VALU_DEP_1) | instskip(NEXT) | instid1(VALU_DEP_1)
	v_dual_add_f32 v20, v31, v20 :: v_dual_sub_f32 v31, v30, v35
	v_add_f32_e32 v20, v36, v20
	s_delay_alu instid0(VALU_DEP_1) | instskip(NEXT) | instid1(VALU_DEP_1)
	v_dual_sub_f32 v31, v32, v31 :: v_dual_mul_f32 v20, v29, v20
	v_add_f32_e32 v20, v31, v20
	s_delay_alu instid0(VALU_DEP_1) | instskip(NEXT) | instid1(VALU_DEP_1)
	v_add_f32_e32 v29, v30, v20
	v_mul_f32_e32 v31, v29, v29
	s_delay_alu instid0(VALU_DEP_1) | instskip(SKIP_2) | instid1(VALU_DEP_3)
	v_fmaak_f32 v32, s0, v31, 0x3ecc95a3
	v_mul_f32_e32 v33, v29, v31
	v_cmp_eq_f32_e64 s0, 0x7f800000, v13
	v_fmaak_f32 v31, v31, v32, 0x3f2aaada
	v_ldexp_f32 v32, v29, 1
	v_sub_f32_e32 v29, v29, v30
	s_delay_alu instid0(VALU_DEP_4) | instskip(NEXT) | instid1(VALU_DEP_3)
	s_or_b32 s0, s0, s23
	v_mul_f32_e32 v31, v33, v31
	s_delay_alu instid0(VALU_DEP_2) | instskip(NEXT) | instid1(VALU_DEP_2)
	v_dual_mul_f32 v33, 0x3f317218, v27 :: v_dual_sub_f32 v20, v20, v29
	v_add_f32_e32 v30, v32, v31
	s_delay_alu instid0(VALU_DEP_2) | instskip(NEXT) | instid1(VALU_DEP_2)
	v_ldexp_f32 v20, v20, 1
	v_sub_f32_e32 v29, v30, v32
	s_delay_alu instid0(VALU_DEP_4) | instskip(NEXT) | instid1(VALU_DEP_2)
	v_fma_f32 v32, 0x3f317218, v27, -v33
	v_sub_f32_e32 v29, v31, v29
	s_delay_alu instid0(VALU_DEP_1) | instskip(NEXT) | instid1(VALU_DEP_1)
	v_dual_fmamk_f32 v27, v27, 0xb102e308, v32 :: v_dual_add_f32 v20, v20, v29
	v_add_f32_e32 v29, v33, v27
	s_delay_alu instid0(VALU_DEP_1) | instskip(NEXT) | instid1(VALU_DEP_1)
	v_sub_f32_e32 v33, v29, v33
	v_sub_f32_e32 v27, v27, v33
	s_delay_alu instid0(VALU_DEP_4) | instskip(NEXT) | instid1(VALU_DEP_1)
	v_add_f32_e32 v31, v30, v20
	v_sub_f32_e32 v30, v31, v30
	s_delay_alu instid0(VALU_DEP_1) | instskip(SKIP_1) | instid1(VALU_DEP_1)
	v_sub_f32_e32 v20, v20, v30
	v_add_f32_e32 v32, v29, v31
	v_sub_f32_e32 v34, v32, v29
	s_delay_alu instid0(VALU_DEP_1) | instskip(NEXT) | instid1(VALU_DEP_4)
	v_sub_f32_e32 v30, v31, v34
	v_add_f32_e32 v31, v27, v20
	v_sub_f32_e32 v35, v32, v34
	s_delay_alu instid0(VALU_DEP_1) | instskip(NEXT) | instid1(VALU_DEP_1)
	v_sub_f32_e32 v29, v29, v35
	v_dual_add_f32 v29, v30, v29 :: v_dual_sub_f32 v30, v31, v27
	s_delay_alu instid0(VALU_DEP_1) | instskip(SKIP_1) | instid1(VALU_DEP_2)
	v_dual_add_f32 v29, v31, v29 :: v_dual_sub_f32 v20, v20, v30
	v_sub_f32_e32 v31, v31, v30
	v_add_f32_e32 v33, v32, v29
	s_delay_alu instid0(VALU_DEP_1) | instskip(NEXT) | instid1(VALU_DEP_1)
	v_dual_sub_f32 v27, v27, v31 :: v_dual_sub_f32 v30, v33, v32
	v_dual_add_f32 v20, v20, v27 :: v_dual_sub_f32 v27, v29, v30
	s_delay_alu instid0(VALU_DEP_1) | instskip(NEXT) | instid1(VALU_DEP_1)
	v_add_f32_e32 v20, v20, v27
	v_add_f32_e32 v20, v33, v20
	s_delay_alu instid0(VALU_DEP_1) | instskip(NEXT) | instid1(VALU_DEP_1)
	v_cndmask_b32_e64 v13, v20, v13, s0
	v_add_f32_e32 v13, v26, v13
	s_delay_alu instid0(VALU_DEP_1) | instskip(NEXT) | instid1(VALU_DEP_1)
	v_cvt_f16_f32_e32 v30, v13
	v_cvt_f32_f16_e32 v13, v30
	v_mov_b32_e32 v20, v30
.LBB400_144:
	s_or_b32 exec_lo, exec_lo, s1
	v_max_f32_e32 v26, v9, v9
	s_delay_alu instid0(VALU_DEP_3) | instskip(SKIP_1) | instid1(VALU_DEP_2)
	v_max_f32_e32 v27, v13, v13
	v_cmp_u_f16_e64 s0, v30, v30
	v_min_f32_e32 v29, v27, v26
	v_max_f32_e32 v26, v27, v26
	s_delay_alu instid0(VALU_DEP_2) | instskip(NEXT) | instid1(VALU_DEP_2)
	v_cndmask_b32_e64 v27, v29, v13, s0
	v_cndmask_b32_e64 v26, v26, v13, s0
	s_delay_alu instid0(VALU_DEP_2) | instskip(NEXT) | instid1(VALU_DEP_2)
	v_cndmask_b32_e64 v27, v27, v9, s35
	v_cndmask_b32_e64 v26, v26, v9, s35
	v_mov_b32_e32 v9, v20
	s_delay_alu instid0(VALU_DEP_3) | instskip(NEXT) | instid1(VALU_DEP_3)
	v_cmp_class_f32_e64 s1, v27, 0x1f8
	v_cmp_neq_f32_e64 s0, v27, v26
	s_delay_alu instid0(VALU_DEP_1) | instskip(NEXT) | instid1(SALU_CYCLE_1)
	s_or_b32 s0, s0, s1
	s_and_saveexec_b32 s1, s0
	s_cbranch_execz .LBB400_146
; %bb.145:
	v_sub_f32_e32 v9, v27, v26
	s_delay_alu instid0(VALU_DEP_1) | instskip(SKIP_1) | instid1(VALU_DEP_2)
	v_mul_f32_e32 v13, 0x3fb8aa3b, v9
	v_cmp_ngt_f32_e64 s0, 0xc2ce8ed0, v9
	v_fma_f32 v27, 0x3fb8aa3b, v9, -v13
	v_rndne_f32_e32 v29, v13
	s_delay_alu instid0(VALU_DEP_2) | instskip(NEXT) | instid1(VALU_DEP_2)
	v_fmamk_f32 v27, v9, 0x32a5705f, v27
	v_sub_f32_e32 v13, v13, v29
	s_delay_alu instid0(VALU_DEP_1) | instskip(SKIP_1) | instid1(VALU_DEP_2)
	v_add_f32_e32 v13, v13, v27
	v_cvt_i32_f32_e32 v27, v29
	v_exp_f32_e32 v13, v13
	s_waitcnt_depctr 0xfff
	v_ldexp_f32 v13, v13, v27
	s_delay_alu instid0(VALU_DEP_1) | instskip(SKIP_1) | instid1(VALU_DEP_1)
	v_cndmask_b32_e64 v13, 0, v13, s0
	v_cmp_nlt_f32_e64 s0, 0x42b17218, v9
	v_cndmask_b32_e64 v9, 0x7f800000, v13, s0
	s_delay_alu instid0(VALU_DEP_1) | instskip(SKIP_1) | instid1(VALU_DEP_2)
	v_add_f32_e32 v13, 1.0, v9
	v_cmp_gt_f32_e64 s23, 0x33800000, |v9|
	v_cvt_f64_f32_e32 v[29:30], v13
	s_delay_alu instid0(VALU_DEP_1) | instskip(SKIP_1) | instid1(VALU_DEP_1)
	v_frexp_exp_i32_f64_e32 v27, v[29:30]
	v_frexp_mant_f32_e32 v29, v13
	v_cmp_gt_f32_e64 s0, 0x3f2aaaab, v29
	v_add_f32_e32 v29, -1.0, v13
	s_delay_alu instid0(VALU_DEP_1) | instskip(SKIP_1) | instid1(VALU_DEP_2)
	v_sub_f32_e32 v31, v29, v13
	v_sub_f32_e32 v29, v9, v29
	v_add_f32_e32 v31, 1.0, v31
	s_delay_alu instid0(VALU_DEP_1) | instskip(SKIP_2) | instid1(VALU_DEP_1)
	v_add_f32_e32 v29, v29, v31
	v_subrev_co_ci_u32_e64 v27, s0, 0, v27, s0
	s_mov_b32 s0, 0x3e9b6dac
	v_sub_nc_u32_e32 v30, 0, v27
	v_cvt_f32_i32_e32 v27, v27
	s_delay_alu instid0(VALU_DEP_2) | instskip(SKIP_1) | instid1(VALU_DEP_2)
	v_ldexp_f32 v13, v13, v30
	v_ldexp_f32 v29, v29, v30
	v_add_f32_e32 v32, 1.0, v13
	s_delay_alu instid0(VALU_DEP_1) | instskip(NEXT) | instid1(VALU_DEP_1)
	v_dual_add_f32 v30, -1.0, v13 :: v_dual_add_f32 v31, -1.0, v32
	v_add_f32_e32 v33, 1.0, v30
	s_delay_alu instid0(VALU_DEP_2) | instskip(NEXT) | instid1(VALU_DEP_2)
	v_sub_f32_e32 v31, v13, v31
	v_sub_f32_e32 v13, v13, v33
	s_delay_alu instid0(VALU_DEP_2) | instskip(NEXT) | instid1(VALU_DEP_2)
	v_add_f32_e32 v31, v29, v31
	v_add_f32_e32 v13, v29, v13
	s_delay_alu instid0(VALU_DEP_1) | instskip(NEXT) | instid1(VALU_DEP_1)
	v_dual_add_f32 v33, v32, v31 :: v_dual_add_f32 v34, v30, v13
	v_rcp_f32_e32 v29, v33
	v_sub_f32_e32 v32, v32, v33
	s_delay_alu instid0(VALU_DEP_1) | instskip(SKIP_3) | instid1(VALU_DEP_2)
	v_dual_sub_f32 v30, v30, v34 :: v_dual_add_f32 v31, v31, v32
	s_waitcnt_depctr 0xfff
	v_mul_f32_e32 v35, v34, v29
	v_add_f32_e32 v13, v13, v30
	v_mul_f32_e32 v36, v33, v35
	s_delay_alu instid0(VALU_DEP_1) | instskip(NEXT) | instid1(VALU_DEP_1)
	v_fma_f32 v32, v35, v33, -v36
	v_fmac_f32_e32 v32, v35, v31
	s_delay_alu instid0(VALU_DEP_1) | instskip(NEXT) | instid1(VALU_DEP_1)
	v_add_f32_e32 v37, v36, v32
	v_sub_f32_e32 v38, v34, v37
	v_sub_f32_e32 v30, v37, v36
	s_delay_alu instid0(VALU_DEP_2) | instskip(NEXT) | instid1(VALU_DEP_2)
	v_sub_f32_e32 v34, v34, v38
	v_sub_f32_e32 v30, v30, v32
	s_delay_alu instid0(VALU_DEP_2) | instskip(NEXT) | instid1(VALU_DEP_1)
	v_sub_f32_e32 v34, v34, v37
	v_add_f32_e32 v13, v13, v34
	s_delay_alu instid0(VALU_DEP_1) | instskip(NEXT) | instid1(VALU_DEP_1)
	v_add_f32_e32 v13, v30, v13
	v_add_f32_e32 v30, v38, v13
	s_delay_alu instid0(VALU_DEP_1) | instskip(NEXT) | instid1(VALU_DEP_1)
	v_mul_f32_e32 v32, v29, v30
	v_dual_sub_f32 v37, v38, v30 :: v_dual_mul_f32 v34, v33, v32
	s_delay_alu instid0(VALU_DEP_1) | instskip(NEXT) | instid1(VALU_DEP_2)
	v_add_f32_e32 v13, v13, v37
	v_fma_f32 v33, v32, v33, -v34
	s_delay_alu instid0(VALU_DEP_1) | instskip(NEXT) | instid1(VALU_DEP_1)
	v_fmac_f32_e32 v33, v32, v31
	v_add_f32_e32 v31, v34, v33
	s_delay_alu instid0(VALU_DEP_1) | instskip(SKIP_1) | instid1(VALU_DEP_2)
	v_sub_f32_e32 v36, v30, v31
	v_sub_f32_e32 v34, v31, v34
	;; [unrolled: 1-line block ×3, first 2 shown]
	s_delay_alu instid0(VALU_DEP_1) | instskip(NEXT) | instid1(VALU_DEP_3)
	v_sub_f32_e32 v30, v30, v31
	v_sub_f32_e32 v31, v34, v33
	s_delay_alu instid0(VALU_DEP_2) | instskip(NEXT) | instid1(VALU_DEP_1)
	v_dual_add_f32 v13, v13, v30 :: v_dual_add_f32 v30, v35, v32
	v_add_f32_e32 v13, v31, v13
	s_delay_alu instid0(VALU_DEP_2) | instskip(NEXT) | instid1(VALU_DEP_2)
	v_sub_f32_e32 v31, v30, v35
	v_add_f32_e32 v13, v36, v13
	s_delay_alu instid0(VALU_DEP_2) | instskip(NEXT) | instid1(VALU_DEP_2)
	v_sub_f32_e32 v31, v32, v31
	v_mul_f32_e32 v13, v29, v13
	s_delay_alu instid0(VALU_DEP_1) | instskip(NEXT) | instid1(VALU_DEP_1)
	v_add_f32_e32 v13, v31, v13
	v_add_f32_e32 v29, v30, v13
	s_delay_alu instid0(VALU_DEP_1) | instskip(NEXT) | instid1(VALU_DEP_1)
	v_mul_f32_e32 v31, v29, v29
	v_fmaak_f32 v32, s0, v31, 0x3ecc95a3
	v_mul_f32_e32 v33, v29, v31
	v_cmp_eq_f32_e64 s0, 0x7f800000, v9
	s_delay_alu instid0(VALU_DEP_3) | instskip(SKIP_2) | instid1(VALU_DEP_4)
	v_fmaak_f32 v31, v31, v32, 0x3f2aaada
	v_ldexp_f32 v32, v29, 1
	v_sub_f32_e32 v29, v29, v30
	s_or_b32 s0, s0, s23
	s_delay_alu instid0(VALU_DEP_3) | instskip(SKIP_1) | instid1(VALU_DEP_2)
	v_mul_f32_e32 v31, v33, v31
	v_mul_f32_e32 v33, 0x3f317218, v27
	v_dual_sub_f32 v13, v13, v29 :: v_dual_add_f32 v30, v32, v31
	s_delay_alu instid0(VALU_DEP_1) | instskip(NEXT) | instid1(VALU_DEP_2)
	v_ldexp_f32 v13, v13, 1
	v_sub_f32_e32 v29, v30, v32
	s_delay_alu instid0(VALU_DEP_4) | instskip(NEXT) | instid1(VALU_DEP_2)
	v_fma_f32 v32, 0x3f317218, v27, -v33
	v_sub_f32_e32 v29, v31, v29
	s_delay_alu instid0(VALU_DEP_2) | instskip(NEXT) | instid1(VALU_DEP_2)
	v_fmamk_f32 v27, v27, 0xb102e308, v32
	v_add_f32_e32 v13, v13, v29
	s_delay_alu instid0(VALU_DEP_2) | instskip(NEXT) | instid1(VALU_DEP_2)
	v_add_f32_e32 v29, v33, v27
	v_add_f32_e32 v31, v30, v13
	s_delay_alu instid0(VALU_DEP_2) | instskip(NEXT) | instid1(VALU_DEP_2)
	v_sub_f32_e32 v33, v29, v33
	v_add_f32_e32 v32, v29, v31
	v_sub_f32_e32 v30, v31, v30
	s_delay_alu instid0(VALU_DEP_3) | instskip(NEXT) | instid1(VALU_DEP_2)
	v_sub_f32_e32 v27, v27, v33
	v_dual_sub_f32 v34, v32, v29 :: v_dual_sub_f32 v13, v13, v30
	s_delay_alu instid0(VALU_DEP_1) | instskip(SKIP_1) | instid1(VALU_DEP_3)
	v_sub_f32_e32 v35, v32, v34
	v_sub_f32_e32 v30, v31, v34
	v_add_f32_e32 v31, v27, v13
	s_delay_alu instid0(VALU_DEP_3) | instskip(NEXT) | instid1(VALU_DEP_1)
	v_sub_f32_e32 v29, v29, v35
	v_dual_add_f32 v29, v30, v29 :: v_dual_sub_f32 v30, v31, v27
	s_delay_alu instid0(VALU_DEP_1) | instskip(NEXT) | instid1(VALU_DEP_2)
	v_add_f32_e32 v29, v31, v29
	v_sub_f32_e32 v31, v31, v30
	v_sub_f32_e32 v13, v13, v30
	s_delay_alu instid0(VALU_DEP_3) | instskip(NEXT) | instid1(VALU_DEP_1)
	v_add_f32_e32 v33, v32, v29
	v_dual_sub_f32 v27, v27, v31 :: v_dual_sub_f32 v30, v33, v32
	s_delay_alu instid0(VALU_DEP_1) | instskip(NEXT) | instid1(VALU_DEP_2)
	v_add_f32_e32 v13, v13, v27
	v_sub_f32_e32 v27, v29, v30
	s_delay_alu instid0(VALU_DEP_1) | instskip(NEXT) | instid1(VALU_DEP_1)
	v_add_f32_e32 v13, v13, v27
	v_add_f32_e32 v13, v33, v13
	s_delay_alu instid0(VALU_DEP_1) | instskip(NEXT) | instid1(VALU_DEP_1)
	v_cndmask_b32_e64 v9, v13, v9, s0
	v_add_f32_e32 v9, v26, v9
	s_delay_alu instid0(VALU_DEP_1) | instskip(NEXT) | instid1(VALU_DEP_1)
	v_cvt_f16_f32_e32 v30, v9
	v_cvt_f32_f16_e32 v13, v30
	v_mov_b32_e32 v9, v30
.LBB400_146:
	s_or_b32 exec_lo, exec_lo, s1
	v_max_f32_e32 v26, v21, v21
	s_delay_alu instid0(VALU_DEP_3) | instskip(SKIP_1) | instid1(VALU_DEP_2)
	v_max_f32_e32 v27, v13, v13
	v_cmp_u_f16_e64 s0, v30, v30
	v_min_f32_e32 v29, v27, v26
	v_max_f32_e32 v26, v27, v26
	s_delay_alu instid0(VALU_DEP_2) | instskip(NEXT) | instid1(VALU_DEP_2)
	v_cndmask_b32_e64 v27, v29, v13, s0
	v_cndmask_b32_e64 v26, v26, v13, s0
	s_delay_alu instid0(VALU_DEP_2) | instskip(NEXT) | instid1(VALU_DEP_2)
	v_cndmask_b32_e64 v27, v27, v21, s36
	v_cndmask_b32_e64 v26, v26, v21, s36
	v_mov_b32_e32 v21, v9
	s_delay_alu instid0(VALU_DEP_3) | instskip(NEXT) | instid1(VALU_DEP_3)
	v_cmp_class_f32_e64 s1, v27, 0x1f8
	v_cmp_neq_f32_e64 s0, v27, v26
	s_delay_alu instid0(VALU_DEP_1) | instskip(NEXT) | instid1(SALU_CYCLE_1)
	s_or_b32 s0, s0, s1
	s_and_saveexec_b32 s1, s0
	s_cbranch_execz .LBB400_148
; %bb.147:
	v_sub_f32_e32 v13, v27, v26
	s_delay_alu instid0(VALU_DEP_1) | instskip(SKIP_1) | instid1(VALU_DEP_2)
	v_mul_f32_e32 v21, 0x3fb8aa3b, v13
	v_cmp_ngt_f32_e64 s0, 0xc2ce8ed0, v13
	v_fma_f32 v27, 0x3fb8aa3b, v13, -v21
	v_rndne_f32_e32 v29, v21
	s_delay_alu instid0(VALU_DEP_2) | instskip(NEXT) | instid1(VALU_DEP_2)
	v_fmamk_f32 v27, v13, 0x32a5705f, v27
	v_sub_f32_e32 v21, v21, v29
	s_delay_alu instid0(VALU_DEP_1) | instskip(SKIP_1) | instid1(VALU_DEP_2)
	v_add_f32_e32 v21, v21, v27
	v_cvt_i32_f32_e32 v27, v29
	v_exp_f32_e32 v21, v21
	s_waitcnt_depctr 0xfff
	v_ldexp_f32 v21, v21, v27
	s_delay_alu instid0(VALU_DEP_1) | instskip(SKIP_1) | instid1(VALU_DEP_1)
	v_cndmask_b32_e64 v21, 0, v21, s0
	v_cmp_nlt_f32_e64 s0, 0x42b17218, v13
	v_cndmask_b32_e64 v13, 0x7f800000, v21, s0
	s_delay_alu instid0(VALU_DEP_1) | instskip(SKIP_1) | instid1(VALU_DEP_2)
	v_add_f32_e32 v21, 1.0, v13
	v_cmp_gt_f32_e64 s23, 0x33800000, |v13|
	v_cvt_f64_f32_e32 v[29:30], v21
	s_delay_alu instid0(VALU_DEP_1) | instskip(SKIP_1) | instid1(VALU_DEP_1)
	v_frexp_exp_i32_f64_e32 v27, v[29:30]
	v_frexp_mant_f32_e32 v29, v21
	v_cmp_gt_f32_e64 s0, 0x3f2aaaab, v29
	v_add_f32_e32 v29, -1.0, v21
	s_delay_alu instid0(VALU_DEP_1) | instskip(SKIP_1) | instid1(VALU_DEP_2)
	v_sub_f32_e32 v31, v29, v21
	v_sub_f32_e32 v29, v13, v29
	v_add_f32_e32 v31, 1.0, v31
	s_delay_alu instid0(VALU_DEP_1) | instskip(SKIP_2) | instid1(VALU_DEP_1)
	v_add_f32_e32 v29, v29, v31
	v_subrev_co_ci_u32_e64 v27, s0, 0, v27, s0
	s_mov_b32 s0, 0x3e9b6dac
	v_sub_nc_u32_e32 v30, 0, v27
	v_cvt_f32_i32_e32 v27, v27
	s_delay_alu instid0(VALU_DEP_2) | instskip(SKIP_1) | instid1(VALU_DEP_2)
	v_ldexp_f32 v21, v21, v30
	v_ldexp_f32 v29, v29, v30
	v_add_f32_e32 v32, 1.0, v21
	s_delay_alu instid0(VALU_DEP_1) | instskip(NEXT) | instid1(VALU_DEP_1)
	v_dual_add_f32 v30, -1.0, v21 :: v_dual_add_f32 v31, -1.0, v32
	v_add_f32_e32 v33, 1.0, v30
	s_delay_alu instid0(VALU_DEP_2) | instskip(NEXT) | instid1(VALU_DEP_2)
	v_sub_f32_e32 v31, v21, v31
	v_sub_f32_e32 v21, v21, v33
	s_delay_alu instid0(VALU_DEP_2) | instskip(NEXT) | instid1(VALU_DEP_2)
	v_add_f32_e32 v31, v29, v31
	v_add_f32_e32 v21, v29, v21
	s_delay_alu instid0(VALU_DEP_1) | instskip(NEXT) | instid1(VALU_DEP_1)
	v_dual_add_f32 v33, v32, v31 :: v_dual_add_f32 v34, v30, v21
	v_rcp_f32_e32 v29, v33
	v_sub_f32_e32 v32, v32, v33
	s_delay_alu instid0(VALU_DEP_1) | instskip(SKIP_3) | instid1(VALU_DEP_2)
	v_dual_sub_f32 v30, v30, v34 :: v_dual_add_f32 v31, v31, v32
	s_waitcnt_depctr 0xfff
	v_mul_f32_e32 v35, v34, v29
	v_add_f32_e32 v21, v21, v30
	v_mul_f32_e32 v36, v33, v35
	s_delay_alu instid0(VALU_DEP_1) | instskip(NEXT) | instid1(VALU_DEP_1)
	v_fma_f32 v32, v35, v33, -v36
	v_fmac_f32_e32 v32, v35, v31
	s_delay_alu instid0(VALU_DEP_1) | instskip(NEXT) | instid1(VALU_DEP_1)
	v_add_f32_e32 v37, v36, v32
	v_sub_f32_e32 v38, v34, v37
	v_sub_f32_e32 v30, v37, v36
	s_delay_alu instid0(VALU_DEP_2) | instskip(NEXT) | instid1(VALU_DEP_2)
	v_sub_f32_e32 v34, v34, v38
	v_sub_f32_e32 v30, v30, v32
	s_delay_alu instid0(VALU_DEP_2) | instskip(NEXT) | instid1(VALU_DEP_1)
	v_sub_f32_e32 v34, v34, v37
	v_add_f32_e32 v21, v21, v34
	s_delay_alu instid0(VALU_DEP_1) | instskip(NEXT) | instid1(VALU_DEP_1)
	v_add_f32_e32 v21, v30, v21
	v_add_f32_e32 v30, v38, v21
	s_delay_alu instid0(VALU_DEP_1) | instskip(NEXT) | instid1(VALU_DEP_1)
	v_mul_f32_e32 v32, v29, v30
	v_dual_sub_f32 v37, v38, v30 :: v_dual_mul_f32 v34, v33, v32
	s_delay_alu instid0(VALU_DEP_1) | instskip(NEXT) | instid1(VALU_DEP_2)
	v_add_f32_e32 v21, v21, v37
	v_fma_f32 v33, v32, v33, -v34
	s_delay_alu instid0(VALU_DEP_1) | instskip(NEXT) | instid1(VALU_DEP_1)
	v_fmac_f32_e32 v33, v32, v31
	v_add_f32_e32 v31, v34, v33
	s_delay_alu instid0(VALU_DEP_1) | instskip(SKIP_1) | instid1(VALU_DEP_2)
	v_sub_f32_e32 v36, v30, v31
	v_sub_f32_e32 v34, v31, v34
	;; [unrolled: 1-line block ×3, first 2 shown]
	s_delay_alu instid0(VALU_DEP_1) | instskip(NEXT) | instid1(VALU_DEP_3)
	v_sub_f32_e32 v30, v30, v31
	v_sub_f32_e32 v31, v34, v33
	s_delay_alu instid0(VALU_DEP_2) | instskip(NEXT) | instid1(VALU_DEP_1)
	v_dual_add_f32 v21, v21, v30 :: v_dual_add_f32 v30, v35, v32
	v_add_f32_e32 v21, v31, v21
	s_delay_alu instid0(VALU_DEP_2) | instskip(NEXT) | instid1(VALU_DEP_2)
	v_sub_f32_e32 v31, v30, v35
	v_add_f32_e32 v21, v36, v21
	s_delay_alu instid0(VALU_DEP_2) | instskip(NEXT) | instid1(VALU_DEP_2)
	v_sub_f32_e32 v31, v32, v31
	v_mul_f32_e32 v21, v29, v21
	s_delay_alu instid0(VALU_DEP_1) | instskip(NEXT) | instid1(VALU_DEP_1)
	v_add_f32_e32 v21, v31, v21
	v_add_f32_e32 v29, v30, v21
	s_delay_alu instid0(VALU_DEP_1) | instskip(NEXT) | instid1(VALU_DEP_1)
	v_mul_f32_e32 v31, v29, v29
	v_fmaak_f32 v32, s0, v31, 0x3ecc95a3
	v_mul_f32_e32 v33, v29, v31
	v_cmp_eq_f32_e64 s0, 0x7f800000, v13
	s_delay_alu instid0(VALU_DEP_3) | instskip(SKIP_2) | instid1(VALU_DEP_4)
	v_fmaak_f32 v31, v31, v32, 0x3f2aaada
	v_ldexp_f32 v32, v29, 1
	v_sub_f32_e32 v29, v29, v30
	s_or_b32 s0, s0, s23
	s_delay_alu instid0(VALU_DEP_3) | instskip(SKIP_1) | instid1(VALU_DEP_2)
	v_mul_f32_e32 v31, v33, v31
	v_mul_f32_e32 v33, 0x3f317218, v27
	v_dual_sub_f32 v21, v21, v29 :: v_dual_add_f32 v30, v32, v31
	s_delay_alu instid0(VALU_DEP_1) | instskip(NEXT) | instid1(VALU_DEP_2)
	v_ldexp_f32 v21, v21, 1
	v_sub_f32_e32 v29, v30, v32
	s_delay_alu instid0(VALU_DEP_4) | instskip(NEXT) | instid1(VALU_DEP_2)
	v_fma_f32 v32, 0x3f317218, v27, -v33
	v_sub_f32_e32 v29, v31, v29
	s_delay_alu instid0(VALU_DEP_2) | instskip(NEXT) | instid1(VALU_DEP_2)
	v_fmamk_f32 v27, v27, 0xb102e308, v32
	v_add_f32_e32 v21, v21, v29
	s_delay_alu instid0(VALU_DEP_2) | instskip(NEXT) | instid1(VALU_DEP_2)
	v_add_f32_e32 v29, v33, v27
	v_add_f32_e32 v31, v30, v21
	s_delay_alu instid0(VALU_DEP_2) | instskip(NEXT) | instid1(VALU_DEP_2)
	v_sub_f32_e32 v33, v29, v33
	v_add_f32_e32 v32, v29, v31
	v_sub_f32_e32 v30, v31, v30
	s_delay_alu instid0(VALU_DEP_3) | instskip(NEXT) | instid1(VALU_DEP_2)
	v_sub_f32_e32 v27, v27, v33
	v_dual_sub_f32 v34, v32, v29 :: v_dual_sub_f32 v21, v21, v30
	s_delay_alu instid0(VALU_DEP_1) | instskip(SKIP_1) | instid1(VALU_DEP_3)
	v_sub_f32_e32 v35, v32, v34
	v_sub_f32_e32 v30, v31, v34
	v_add_f32_e32 v31, v27, v21
	s_delay_alu instid0(VALU_DEP_3) | instskip(NEXT) | instid1(VALU_DEP_1)
	v_sub_f32_e32 v29, v29, v35
	v_dual_add_f32 v29, v30, v29 :: v_dual_sub_f32 v30, v31, v27
	s_delay_alu instid0(VALU_DEP_1) | instskip(NEXT) | instid1(VALU_DEP_2)
	v_add_f32_e32 v29, v31, v29
	v_sub_f32_e32 v31, v31, v30
	v_sub_f32_e32 v21, v21, v30
	s_delay_alu instid0(VALU_DEP_3) | instskip(NEXT) | instid1(VALU_DEP_1)
	v_add_f32_e32 v33, v32, v29
	v_dual_sub_f32 v27, v27, v31 :: v_dual_sub_f32 v30, v33, v32
	s_delay_alu instid0(VALU_DEP_1) | instskip(NEXT) | instid1(VALU_DEP_2)
	v_add_f32_e32 v21, v21, v27
	v_sub_f32_e32 v27, v29, v30
	s_delay_alu instid0(VALU_DEP_1) | instskip(NEXT) | instid1(VALU_DEP_1)
	v_add_f32_e32 v21, v21, v27
	v_add_f32_e32 v21, v33, v21
	s_delay_alu instid0(VALU_DEP_1) | instskip(NEXT) | instid1(VALU_DEP_1)
	v_cndmask_b32_e64 v13, v21, v13, s0
	v_add_f32_e32 v13, v26, v13
	s_delay_alu instid0(VALU_DEP_1) | instskip(NEXT) | instid1(VALU_DEP_1)
	v_cvt_f16_f32_e32 v30, v13
	v_cvt_f32_f16_e32 v13, v30
	v_mov_b32_e32 v21, v30
.LBB400_148:
	s_or_b32 exec_lo, exec_lo, s1
	s_delay_alu instid0(VALU_DEP_2) | instskip(SKIP_1) | instid1(VALU_DEP_2)
	v_dual_max_f32 v26, v6, v6 :: v_dual_max_f32 v27, v13, v13
	v_cmp_u_f16_e64 s0, v30, v30
	v_min_f32_e32 v29, v27, v26
	v_max_f32_e32 v26, v27, v26
	s_delay_alu instid0(VALU_DEP_2) | instskip(NEXT) | instid1(VALU_DEP_2)
	v_cndmask_b32_e64 v27, v29, v13, s0
	v_cndmask_b32_e64 v26, v26, v13, s0
	s_delay_alu instid0(VALU_DEP_2) | instskip(NEXT) | instid1(VALU_DEP_2)
	v_cndmask_b32_e64 v27, v27, v6, s37
	v_cndmask_b32_e64 v26, v26, v6, s37
	v_mov_b32_e32 v6, v21
	s_delay_alu instid0(VALU_DEP_3) | instskip(NEXT) | instid1(VALU_DEP_3)
	v_cmp_class_f32_e64 s1, v27, 0x1f8
	v_cmp_neq_f32_e64 s0, v27, v26
	s_delay_alu instid0(VALU_DEP_1) | instskip(NEXT) | instid1(SALU_CYCLE_1)
	s_or_b32 s0, s0, s1
	s_and_saveexec_b32 s1, s0
	s_cbranch_execz .LBB400_150
; %bb.149:
	v_sub_f32_e32 v6, v27, v26
	s_delay_alu instid0(VALU_DEP_1) | instskip(NEXT) | instid1(VALU_DEP_1)
	v_mul_f32_e32 v13, 0x3fb8aa3b, v6
	v_fma_f32 v27, 0x3fb8aa3b, v6, -v13
	v_rndne_f32_e32 v29, v13
	s_delay_alu instid0(VALU_DEP_1) | instskip(NEXT) | instid1(VALU_DEP_3)
	v_sub_f32_e32 v13, v13, v29
	v_fmamk_f32 v27, v6, 0x32a5705f, v27
	v_cmp_ngt_f32_e64 s0, 0xc2ce8ed0, v6
	s_delay_alu instid0(VALU_DEP_2) | instskip(SKIP_1) | instid1(VALU_DEP_2)
	v_add_f32_e32 v13, v13, v27
	v_cvt_i32_f32_e32 v27, v29
	v_exp_f32_e32 v13, v13
	s_waitcnt_depctr 0xfff
	v_ldexp_f32 v13, v13, v27
	s_delay_alu instid0(VALU_DEP_1) | instskip(SKIP_1) | instid1(VALU_DEP_1)
	v_cndmask_b32_e64 v13, 0, v13, s0
	v_cmp_nlt_f32_e64 s0, 0x42b17218, v6
	v_cndmask_b32_e64 v6, 0x7f800000, v13, s0
	s_delay_alu instid0(VALU_DEP_1) | instskip(SKIP_1) | instid1(VALU_DEP_2)
	v_add_f32_e32 v13, 1.0, v6
	v_cmp_gt_f32_e64 s23, 0x33800000, |v6|
	v_cvt_f64_f32_e32 v[29:30], v13
	s_delay_alu instid0(VALU_DEP_1) | instskip(SKIP_1) | instid1(VALU_DEP_1)
	v_frexp_exp_i32_f64_e32 v27, v[29:30]
	v_frexp_mant_f32_e32 v29, v13
	v_cmp_gt_f32_e64 s0, 0x3f2aaaab, v29
	v_add_f32_e32 v29, -1.0, v13
	s_delay_alu instid0(VALU_DEP_1) | instskip(SKIP_1) | instid1(VALU_DEP_4)
	v_sub_f32_e32 v31, v29, v13
	v_sub_f32_e32 v29, v6, v29
	v_subrev_co_ci_u32_e64 v27, s0, 0, v27, s0
	s_mov_b32 s0, 0x3e9b6dac
	s_delay_alu instid0(VALU_DEP_1) | instskip(SKIP_1) | instid1(VALU_DEP_2)
	v_sub_nc_u32_e32 v30, 0, v27
	v_cvt_f32_i32_e32 v27, v27
	v_ldexp_f32 v13, v13, v30
	s_delay_alu instid0(VALU_DEP_1) | instskip(NEXT) | instid1(VALU_DEP_1)
	v_dual_add_f32 v31, 1.0, v31 :: v_dual_add_f32 v32, 1.0, v13
	v_add_f32_e32 v29, v29, v31
	s_delay_alu instid0(VALU_DEP_2) | instskip(NEXT) | instid1(VALU_DEP_2)
	v_add_f32_e32 v31, -1.0, v32
	v_ldexp_f32 v29, v29, v30
	s_delay_alu instid0(VALU_DEP_2) | instskip(NEXT) | instid1(VALU_DEP_1)
	v_dual_add_f32 v30, -1.0, v13 :: v_dual_sub_f32 v31, v13, v31
	v_add_f32_e32 v33, 1.0, v30
	s_delay_alu instid0(VALU_DEP_2) | instskip(NEXT) | instid1(VALU_DEP_2)
	v_add_f32_e32 v31, v29, v31
	v_sub_f32_e32 v13, v13, v33
	s_delay_alu instid0(VALU_DEP_2) | instskip(NEXT) | instid1(VALU_DEP_2)
	v_add_f32_e32 v33, v32, v31
	v_add_f32_e32 v13, v29, v13
	s_delay_alu instid0(VALU_DEP_2) | instskip(SKIP_1) | instid1(VALU_DEP_1)
	v_rcp_f32_e32 v29, v33
	v_sub_f32_e32 v32, v32, v33
	v_dual_add_f32 v34, v30, v13 :: v_dual_add_f32 v31, v31, v32
	s_delay_alu instid0(VALU_DEP_1) | instskip(SKIP_3) | instid1(VALU_DEP_2)
	v_sub_f32_e32 v30, v30, v34
	s_waitcnt_depctr 0xfff
	v_mul_f32_e32 v35, v34, v29
	v_add_f32_e32 v13, v13, v30
	v_mul_f32_e32 v36, v33, v35
	s_delay_alu instid0(VALU_DEP_1) | instskip(NEXT) | instid1(VALU_DEP_1)
	v_fma_f32 v32, v35, v33, -v36
	v_fmac_f32_e32 v32, v35, v31
	s_delay_alu instid0(VALU_DEP_1) | instskip(NEXT) | instid1(VALU_DEP_1)
	v_add_f32_e32 v37, v36, v32
	v_sub_f32_e32 v38, v34, v37
	v_sub_f32_e32 v30, v37, v36
	s_delay_alu instid0(VALU_DEP_2) | instskip(NEXT) | instid1(VALU_DEP_2)
	v_sub_f32_e32 v34, v34, v38
	v_sub_f32_e32 v30, v30, v32
	s_delay_alu instid0(VALU_DEP_2) | instskip(NEXT) | instid1(VALU_DEP_1)
	v_sub_f32_e32 v34, v34, v37
	v_add_f32_e32 v13, v13, v34
	s_delay_alu instid0(VALU_DEP_1) | instskip(NEXT) | instid1(VALU_DEP_1)
	v_add_f32_e32 v13, v30, v13
	v_add_f32_e32 v30, v38, v13
	s_delay_alu instid0(VALU_DEP_1) | instskip(NEXT) | instid1(VALU_DEP_1)
	v_mul_f32_e32 v32, v29, v30
	v_dual_sub_f32 v37, v38, v30 :: v_dual_mul_f32 v34, v33, v32
	s_delay_alu instid0(VALU_DEP_1) | instskip(NEXT) | instid1(VALU_DEP_2)
	v_add_f32_e32 v13, v13, v37
	v_fma_f32 v33, v32, v33, -v34
	s_delay_alu instid0(VALU_DEP_1) | instskip(NEXT) | instid1(VALU_DEP_1)
	v_fmac_f32_e32 v33, v32, v31
	v_add_f32_e32 v31, v34, v33
	s_delay_alu instid0(VALU_DEP_1) | instskip(SKIP_1) | instid1(VALU_DEP_2)
	v_sub_f32_e32 v36, v30, v31
	v_sub_f32_e32 v34, v31, v34
	;; [unrolled: 1-line block ×3, first 2 shown]
	s_delay_alu instid0(VALU_DEP_1) | instskip(NEXT) | instid1(VALU_DEP_3)
	v_sub_f32_e32 v30, v30, v31
	v_sub_f32_e32 v31, v34, v33
	s_delay_alu instid0(VALU_DEP_2) | instskip(NEXT) | instid1(VALU_DEP_1)
	v_dual_add_f32 v13, v13, v30 :: v_dual_add_f32 v30, v35, v32
	v_add_f32_e32 v13, v31, v13
	s_delay_alu instid0(VALU_DEP_2) | instskip(NEXT) | instid1(VALU_DEP_2)
	v_sub_f32_e32 v31, v30, v35
	v_add_f32_e32 v13, v36, v13
	s_delay_alu instid0(VALU_DEP_2) | instskip(NEXT) | instid1(VALU_DEP_2)
	v_sub_f32_e32 v31, v32, v31
	v_mul_f32_e32 v13, v29, v13
	s_delay_alu instid0(VALU_DEP_1) | instskip(NEXT) | instid1(VALU_DEP_1)
	v_add_f32_e32 v13, v31, v13
	v_add_f32_e32 v29, v30, v13
	s_delay_alu instid0(VALU_DEP_1) | instskip(NEXT) | instid1(VALU_DEP_1)
	v_mul_f32_e32 v31, v29, v29
	v_fmaak_f32 v32, s0, v31, 0x3ecc95a3
	v_mul_f32_e32 v33, v29, v31
	v_cmp_eq_f32_e64 s0, 0x7f800000, v6
	s_delay_alu instid0(VALU_DEP_3) | instskip(SKIP_2) | instid1(VALU_DEP_4)
	v_fmaak_f32 v31, v31, v32, 0x3f2aaada
	v_ldexp_f32 v32, v29, 1
	v_sub_f32_e32 v29, v29, v30
	s_or_b32 s0, s0, s23
	s_delay_alu instid0(VALU_DEP_3) | instskip(SKIP_1) | instid1(VALU_DEP_2)
	v_mul_f32_e32 v31, v33, v31
	v_mul_f32_e32 v33, 0x3f317218, v27
	v_dual_sub_f32 v13, v13, v29 :: v_dual_add_f32 v30, v32, v31
	s_delay_alu instid0(VALU_DEP_1) | instskip(NEXT) | instid1(VALU_DEP_2)
	v_ldexp_f32 v13, v13, 1
	v_sub_f32_e32 v29, v30, v32
	s_delay_alu instid0(VALU_DEP_4) | instskip(NEXT) | instid1(VALU_DEP_2)
	v_fma_f32 v32, 0x3f317218, v27, -v33
	v_sub_f32_e32 v29, v31, v29
	s_delay_alu instid0(VALU_DEP_2) | instskip(NEXT) | instid1(VALU_DEP_2)
	v_fmamk_f32 v27, v27, 0xb102e308, v32
	v_add_f32_e32 v13, v13, v29
	s_delay_alu instid0(VALU_DEP_2) | instskip(NEXT) | instid1(VALU_DEP_2)
	v_add_f32_e32 v29, v33, v27
	v_add_f32_e32 v31, v30, v13
	s_delay_alu instid0(VALU_DEP_2) | instskip(NEXT) | instid1(VALU_DEP_2)
	v_sub_f32_e32 v33, v29, v33
	v_add_f32_e32 v32, v29, v31
	v_sub_f32_e32 v30, v31, v30
	s_delay_alu instid0(VALU_DEP_3) | instskip(NEXT) | instid1(VALU_DEP_2)
	v_sub_f32_e32 v27, v27, v33
	v_dual_sub_f32 v34, v32, v29 :: v_dual_sub_f32 v13, v13, v30
	s_delay_alu instid0(VALU_DEP_1) | instskip(SKIP_1) | instid1(VALU_DEP_3)
	v_sub_f32_e32 v35, v32, v34
	v_sub_f32_e32 v30, v31, v34
	v_add_f32_e32 v31, v27, v13
	s_delay_alu instid0(VALU_DEP_3) | instskip(NEXT) | instid1(VALU_DEP_1)
	v_sub_f32_e32 v29, v29, v35
	v_dual_add_f32 v29, v30, v29 :: v_dual_sub_f32 v30, v31, v27
	s_delay_alu instid0(VALU_DEP_1) | instskip(NEXT) | instid1(VALU_DEP_2)
	v_add_f32_e32 v29, v31, v29
	v_sub_f32_e32 v31, v31, v30
	v_sub_f32_e32 v13, v13, v30
	s_delay_alu instid0(VALU_DEP_3) | instskip(NEXT) | instid1(VALU_DEP_1)
	v_add_f32_e32 v33, v32, v29
	v_dual_sub_f32 v27, v27, v31 :: v_dual_sub_f32 v30, v33, v32
	s_delay_alu instid0(VALU_DEP_1) | instskip(NEXT) | instid1(VALU_DEP_2)
	v_add_f32_e32 v13, v13, v27
	v_sub_f32_e32 v27, v29, v30
	s_delay_alu instid0(VALU_DEP_1) | instskip(NEXT) | instid1(VALU_DEP_1)
	v_add_f32_e32 v13, v13, v27
	v_add_f32_e32 v13, v33, v13
	s_delay_alu instid0(VALU_DEP_1) | instskip(NEXT) | instid1(VALU_DEP_1)
	v_cndmask_b32_e64 v6, v13, v6, s0
	v_add_f32_e32 v6, v26, v6
	s_delay_alu instid0(VALU_DEP_1) | instskip(NEXT) | instid1(VALU_DEP_1)
	v_cvt_f16_f32_e32 v30, v6
	v_mov_b32_e32 v6, v30
	v_cvt_f32_f16_e32 v13, v30
.LBB400_150:
	s_or_b32 exec_lo, exec_lo, s1
	s_delay_alu instid0(VALU_DEP_1) | instskip(SKIP_1) | instid1(VALU_DEP_2)
	v_dual_max_f32 v26, v22, v22 :: v_dual_max_f32 v27, v13, v13
	v_cmp_u_f16_e64 s0, v30, v30
	v_min_f32_e32 v29, v27, v26
	v_max_f32_e32 v26, v27, v26
	s_delay_alu instid0(VALU_DEP_2) | instskip(NEXT) | instid1(VALU_DEP_2)
	v_cndmask_b32_e64 v27, v29, v13, s0
	v_cndmask_b32_e64 v26, v26, v13, s0
	s_delay_alu instid0(VALU_DEP_2) | instskip(NEXT) | instid1(VALU_DEP_2)
	v_cndmask_b32_e64 v27, v27, v22, s38
	v_cndmask_b32_e64 v26, v26, v22, s38
	v_mov_b32_e32 v22, v6
	s_delay_alu instid0(VALU_DEP_3) | instskip(NEXT) | instid1(VALU_DEP_3)
	v_cmp_class_f32_e64 s1, v27, 0x1f8
	v_cmp_neq_f32_e64 s0, v27, v26
	s_delay_alu instid0(VALU_DEP_1) | instskip(NEXT) | instid1(SALU_CYCLE_1)
	s_or_b32 s0, s0, s1
	s_and_saveexec_b32 s1, s0
	s_cbranch_execz .LBB400_152
; %bb.151:
	v_sub_f32_e32 v13, v27, v26
	s_delay_alu instid0(VALU_DEP_1) | instskip(NEXT) | instid1(VALU_DEP_1)
	v_mul_f32_e32 v22, 0x3fb8aa3b, v13
	v_fma_f32 v27, 0x3fb8aa3b, v13, -v22
	v_rndne_f32_e32 v29, v22
	s_delay_alu instid0(VALU_DEP_1) | instskip(SKIP_1) | instid1(VALU_DEP_2)
	v_dual_sub_f32 v22, v22, v29 :: v_dual_fmamk_f32 v27, v13, 0x32a5705f, v27
	v_cmp_ngt_f32_e64 s0, 0xc2ce8ed0, v13
	v_add_f32_e32 v22, v22, v27
	v_cvt_i32_f32_e32 v27, v29
	s_delay_alu instid0(VALU_DEP_2) | instskip(SKIP_2) | instid1(VALU_DEP_1)
	v_exp_f32_e32 v22, v22
	s_waitcnt_depctr 0xfff
	v_ldexp_f32 v22, v22, v27
	v_cndmask_b32_e64 v22, 0, v22, s0
	v_cmp_nlt_f32_e64 s0, 0x42b17218, v13
	s_delay_alu instid0(VALU_DEP_1) | instskip(NEXT) | instid1(VALU_DEP_1)
	v_cndmask_b32_e64 v13, 0x7f800000, v22, s0
	v_add_f32_e32 v22, 1.0, v13
	v_cmp_gt_f32_e64 s23, 0x33800000, |v13|
	s_delay_alu instid0(VALU_DEP_2) | instskip(NEXT) | instid1(VALU_DEP_1)
	v_cvt_f64_f32_e32 v[29:30], v22
	v_frexp_exp_i32_f64_e32 v27, v[29:30]
	v_frexp_mant_f32_e32 v29, v22
	s_delay_alu instid0(VALU_DEP_1) | instskip(SKIP_1) | instid1(VALU_DEP_1)
	v_cmp_gt_f32_e64 s0, 0x3f2aaaab, v29
	v_add_f32_e32 v29, -1.0, v22
	v_sub_f32_e32 v31, v29, v22
	v_sub_f32_e32 v29, v13, v29
	s_delay_alu instid0(VALU_DEP_2) | instskip(NEXT) | instid1(VALU_DEP_1)
	v_add_f32_e32 v31, 1.0, v31
	v_add_f32_e32 v29, v29, v31
	v_subrev_co_ci_u32_e64 v27, s0, 0, v27, s0
	s_mov_b32 s0, 0x3e9b6dac
	s_delay_alu instid0(VALU_DEP_1) | instskip(SKIP_1) | instid1(VALU_DEP_2)
	v_sub_nc_u32_e32 v30, 0, v27
	v_cvt_f32_i32_e32 v27, v27
	v_ldexp_f32 v22, v22, v30
	v_ldexp_f32 v29, v29, v30
	s_delay_alu instid0(VALU_DEP_2) | instskip(NEXT) | instid1(VALU_DEP_1)
	v_add_f32_e32 v32, 1.0, v22
	v_dual_add_f32 v30, -1.0, v22 :: v_dual_add_f32 v31, -1.0, v32
	s_delay_alu instid0(VALU_DEP_1) | instskip(NEXT) | instid1(VALU_DEP_2)
	v_add_f32_e32 v33, 1.0, v30
	v_sub_f32_e32 v31, v22, v31
	s_delay_alu instid0(VALU_DEP_2) | instskip(NEXT) | instid1(VALU_DEP_1)
	v_sub_f32_e32 v22, v22, v33
	v_add_f32_e32 v22, v29, v22
	s_delay_alu instid0(VALU_DEP_1) | instskip(NEXT) | instid1(VALU_DEP_1)
	v_dual_add_f32 v31, v29, v31 :: v_dual_add_f32 v34, v30, v22
	v_dual_add_f32 v33, v32, v31 :: v_dual_sub_f32 v30, v30, v34
	s_delay_alu instid0(VALU_DEP_1) | instskip(SKIP_1) | instid1(VALU_DEP_1)
	v_rcp_f32_e32 v29, v33
	v_sub_f32_e32 v32, v32, v33
	v_dual_add_f32 v22, v22, v30 :: v_dual_add_f32 v31, v31, v32
	s_waitcnt_depctr 0xfff
	v_mul_f32_e32 v35, v34, v29
	s_delay_alu instid0(VALU_DEP_1) | instskip(NEXT) | instid1(VALU_DEP_1)
	v_mul_f32_e32 v36, v33, v35
	v_fma_f32 v32, v35, v33, -v36
	s_delay_alu instid0(VALU_DEP_1) | instskip(NEXT) | instid1(VALU_DEP_1)
	v_fmac_f32_e32 v32, v35, v31
	v_add_f32_e32 v37, v36, v32
	s_delay_alu instid0(VALU_DEP_1) | instskip(SKIP_1) | instid1(VALU_DEP_2)
	v_sub_f32_e32 v38, v34, v37
	v_sub_f32_e32 v30, v37, v36
	v_sub_f32_e32 v34, v34, v38
	s_delay_alu instid0(VALU_DEP_2) | instskip(NEXT) | instid1(VALU_DEP_2)
	v_sub_f32_e32 v30, v30, v32
	v_sub_f32_e32 v34, v34, v37
	s_delay_alu instid0(VALU_DEP_1) | instskip(NEXT) | instid1(VALU_DEP_1)
	v_add_f32_e32 v22, v22, v34
	v_add_f32_e32 v22, v30, v22
	s_delay_alu instid0(VALU_DEP_1) | instskip(NEXT) | instid1(VALU_DEP_1)
	v_add_f32_e32 v30, v38, v22
	v_mul_f32_e32 v32, v29, v30
	s_delay_alu instid0(VALU_DEP_1) | instskip(NEXT) | instid1(VALU_DEP_1)
	v_dual_sub_f32 v37, v38, v30 :: v_dual_mul_f32 v34, v33, v32
	v_add_f32_e32 v22, v22, v37
	s_delay_alu instid0(VALU_DEP_2) | instskip(NEXT) | instid1(VALU_DEP_1)
	v_fma_f32 v33, v32, v33, -v34
	v_fmac_f32_e32 v33, v32, v31
	s_delay_alu instid0(VALU_DEP_1) | instskip(NEXT) | instid1(VALU_DEP_1)
	v_add_f32_e32 v31, v34, v33
	v_sub_f32_e32 v36, v30, v31
	s_delay_alu instid0(VALU_DEP_1) | instskip(NEXT) | instid1(VALU_DEP_1)
	v_sub_f32_e32 v30, v30, v36
	v_sub_f32_e32 v30, v30, v31
	s_delay_alu instid0(VALU_DEP_1) | instskip(SKIP_2) | instid1(VALU_DEP_1)
	v_add_f32_e32 v22, v22, v30
	v_add_f32_e32 v30, v35, v32
	v_sub_f32_e32 v34, v31, v34
	v_sub_f32_e32 v31, v34, v33
	s_delay_alu instid0(VALU_DEP_1) | instskip(NEXT) | instid1(VALU_DEP_1)
	v_dual_add_f32 v22, v31, v22 :: v_dual_sub_f32 v31, v30, v35
	v_add_f32_e32 v22, v36, v22
	s_delay_alu instid0(VALU_DEP_1) | instskip(NEXT) | instid1(VALU_DEP_1)
	v_dual_sub_f32 v31, v32, v31 :: v_dual_mul_f32 v22, v29, v22
	v_add_f32_e32 v22, v31, v22
	s_delay_alu instid0(VALU_DEP_1) | instskip(NEXT) | instid1(VALU_DEP_1)
	v_add_f32_e32 v29, v30, v22
	v_mul_f32_e32 v31, v29, v29
	s_delay_alu instid0(VALU_DEP_1) | instskip(SKIP_2) | instid1(VALU_DEP_3)
	v_fmaak_f32 v32, s0, v31, 0x3ecc95a3
	v_mul_f32_e32 v33, v29, v31
	v_cmp_eq_f32_e64 s0, 0x7f800000, v13
	v_fmaak_f32 v31, v31, v32, 0x3f2aaada
	v_ldexp_f32 v32, v29, 1
	v_sub_f32_e32 v29, v29, v30
	s_delay_alu instid0(VALU_DEP_4) | instskip(NEXT) | instid1(VALU_DEP_3)
	s_or_b32 s0, s0, s23
	v_mul_f32_e32 v31, v33, v31
	s_delay_alu instid0(VALU_DEP_2) | instskip(NEXT) | instid1(VALU_DEP_2)
	v_dual_mul_f32 v33, 0x3f317218, v27 :: v_dual_sub_f32 v22, v22, v29
	v_add_f32_e32 v30, v32, v31
	s_delay_alu instid0(VALU_DEP_2) | instskip(NEXT) | instid1(VALU_DEP_2)
	v_ldexp_f32 v22, v22, 1
	v_sub_f32_e32 v29, v30, v32
	s_delay_alu instid0(VALU_DEP_4) | instskip(NEXT) | instid1(VALU_DEP_2)
	v_fma_f32 v32, 0x3f317218, v27, -v33
	v_sub_f32_e32 v29, v31, v29
	s_delay_alu instid0(VALU_DEP_1) | instskip(NEXT) | instid1(VALU_DEP_1)
	v_dual_fmamk_f32 v27, v27, 0xb102e308, v32 :: v_dual_add_f32 v22, v22, v29
	v_add_f32_e32 v29, v33, v27
	s_delay_alu instid0(VALU_DEP_2) | instskip(NEXT) | instid1(VALU_DEP_2)
	v_add_f32_e32 v31, v30, v22
	v_sub_f32_e32 v33, v29, v33
	s_delay_alu instid0(VALU_DEP_1) | instskip(NEXT) | instid1(VALU_DEP_1)
	v_dual_add_f32 v32, v29, v31 :: v_dual_sub_f32 v27, v27, v33
	v_sub_f32_e32 v34, v32, v29
	v_sub_f32_e32 v30, v31, v30
	s_delay_alu instid0(VALU_DEP_2) | instskip(NEXT) | instid1(VALU_DEP_2)
	v_sub_f32_e32 v35, v32, v34
	v_sub_f32_e32 v22, v22, v30
	s_delay_alu instid0(VALU_DEP_2) | instskip(NEXT) | instid1(VALU_DEP_2)
	v_dual_sub_f32 v30, v31, v34 :: v_dual_sub_f32 v29, v29, v35
	v_add_f32_e32 v31, v27, v22
	s_delay_alu instid0(VALU_DEP_1) | instskip(NEXT) | instid1(VALU_DEP_1)
	v_dual_add_f32 v29, v30, v29 :: v_dual_sub_f32 v30, v31, v27
	v_add_f32_e32 v29, v31, v29
	s_delay_alu instid0(VALU_DEP_2) | instskip(NEXT) | instid1(VALU_DEP_2)
	v_sub_f32_e32 v31, v31, v30
	v_dual_sub_f32 v22, v22, v30 :: v_dual_add_f32 v33, v32, v29
	s_delay_alu instid0(VALU_DEP_1) | instskip(NEXT) | instid1(VALU_DEP_1)
	v_dual_sub_f32 v27, v27, v31 :: v_dual_sub_f32 v30, v33, v32
	v_dual_add_f32 v22, v22, v27 :: v_dual_sub_f32 v27, v29, v30
	s_delay_alu instid0(VALU_DEP_1) | instskip(NEXT) | instid1(VALU_DEP_1)
	v_add_f32_e32 v22, v22, v27
	v_add_f32_e32 v22, v33, v22
	s_delay_alu instid0(VALU_DEP_1) | instskip(NEXT) | instid1(VALU_DEP_1)
	v_cndmask_b32_e64 v13, v22, v13, s0
	v_add_f32_e32 v13, v26, v13
	s_delay_alu instid0(VALU_DEP_1) | instskip(NEXT) | instid1(VALU_DEP_1)
	v_cvt_f16_f32_e32 v30, v13
	v_cvt_f32_f16_e32 v13, v30
	v_mov_b32_e32 v22, v30
.LBB400_152:
	s_or_b32 exec_lo, exec_lo, s1
	s_delay_alu instid0(VALU_DEP_2) | instskip(SKIP_1) | instid1(VALU_DEP_2)
	v_dual_max_f32 v26, v7, v7 :: v_dual_max_f32 v27, v13, v13
	v_cmp_u_f16_e64 s0, v30, v30
	v_min_f32_e32 v29, v27, v26
	v_max_f32_e32 v26, v27, v26
	s_delay_alu instid0(VALU_DEP_2) | instskip(NEXT) | instid1(VALU_DEP_2)
	v_cndmask_b32_e64 v27, v29, v13, s0
	v_cndmask_b32_e64 v26, v26, v13, s0
	s_delay_alu instid0(VALU_DEP_2) | instskip(NEXT) | instid1(VALU_DEP_2)
	v_cndmask_b32_e64 v27, v27, v7, s39
	v_cndmask_b32_e64 v26, v26, v7, s39
	v_mov_b32_e32 v7, v22
	s_delay_alu instid0(VALU_DEP_3) | instskip(NEXT) | instid1(VALU_DEP_3)
	v_cmp_class_f32_e64 s1, v27, 0x1f8
	v_cmp_neq_f32_e64 s0, v27, v26
	s_delay_alu instid0(VALU_DEP_1) | instskip(NEXT) | instid1(SALU_CYCLE_1)
	s_or_b32 s0, s0, s1
	s_and_saveexec_b32 s1, s0
	s_cbranch_execz .LBB400_154
; %bb.153:
	v_sub_f32_e32 v7, v27, v26
	s_delay_alu instid0(VALU_DEP_1) | instskip(SKIP_1) | instid1(VALU_DEP_2)
	v_mul_f32_e32 v13, 0x3fb8aa3b, v7
	v_cmp_ngt_f32_e64 s0, 0xc2ce8ed0, v7
	v_fma_f32 v27, 0x3fb8aa3b, v7, -v13
	v_rndne_f32_e32 v29, v13
	s_delay_alu instid0(VALU_DEP_2) | instskip(NEXT) | instid1(VALU_DEP_2)
	v_fmamk_f32 v27, v7, 0x32a5705f, v27
	v_sub_f32_e32 v13, v13, v29
	s_delay_alu instid0(VALU_DEP_1) | instskip(SKIP_1) | instid1(VALU_DEP_2)
	v_add_f32_e32 v13, v13, v27
	v_cvt_i32_f32_e32 v27, v29
	v_exp_f32_e32 v13, v13
	s_waitcnt_depctr 0xfff
	v_ldexp_f32 v13, v13, v27
	s_delay_alu instid0(VALU_DEP_1) | instskip(SKIP_1) | instid1(VALU_DEP_1)
	v_cndmask_b32_e64 v13, 0, v13, s0
	v_cmp_nlt_f32_e64 s0, 0x42b17218, v7
	v_cndmask_b32_e64 v7, 0x7f800000, v13, s0
	s_delay_alu instid0(VALU_DEP_1) | instskip(SKIP_1) | instid1(VALU_DEP_2)
	v_add_f32_e32 v13, 1.0, v7
	v_cmp_gt_f32_e64 s23, 0x33800000, |v7|
	v_cvt_f64_f32_e32 v[29:30], v13
	s_delay_alu instid0(VALU_DEP_1) | instskip(SKIP_1) | instid1(VALU_DEP_1)
	v_frexp_exp_i32_f64_e32 v27, v[29:30]
	v_frexp_mant_f32_e32 v29, v13
	v_cmp_gt_f32_e64 s0, 0x3f2aaaab, v29
	v_add_f32_e32 v29, -1.0, v13
	s_delay_alu instid0(VALU_DEP_1) | instskip(SKIP_1) | instid1(VALU_DEP_2)
	v_sub_f32_e32 v31, v29, v13
	v_sub_f32_e32 v29, v7, v29
	v_add_f32_e32 v31, 1.0, v31
	s_delay_alu instid0(VALU_DEP_1) | instskip(SKIP_2) | instid1(VALU_DEP_1)
	v_add_f32_e32 v29, v29, v31
	v_subrev_co_ci_u32_e64 v27, s0, 0, v27, s0
	s_mov_b32 s0, 0x3e9b6dac
	v_sub_nc_u32_e32 v30, 0, v27
	v_cvt_f32_i32_e32 v27, v27
	s_delay_alu instid0(VALU_DEP_2) | instskip(SKIP_1) | instid1(VALU_DEP_2)
	v_ldexp_f32 v13, v13, v30
	v_ldexp_f32 v29, v29, v30
	v_add_f32_e32 v32, 1.0, v13
	s_delay_alu instid0(VALU_DEP_1) | instskip(NEXT) | instid1(VALU_DEP_1)
	v_dual_add_f32 v30, -1.0, v13 :: v_dual_add_f32 v31, -1.0, v32
	v_add_f32_e32 v33, 1.0, v30
	s_delay_alu instid0(VALU_DEP_2) | instskip(NEXT) | instid1(VALU_DEP_2)
	v_sub_f32_e32 v31, v13, v31
	v_sub_f32_e32 v13, v13, v33
	s_delay_alu instid0(VALU_DEP_2) | instskip(NEXT) | instid1(VALU_DEP_2)
	v_add_f32_e32 v31, v29, v31
	v_add_f32_e32 v13, v29, v13
	s_delay_alu instid0(VALU_DEP_1) | instskip(NEXT) | instid1(VALU_DEP_1)
	v_dual_add_f32 v33, v32, v31 :: v_dual_add_f32 v34, v30, v13
	v_rcp_f32_e32 v29, v33
	v_sub_f32_e32 v32, v32, v33
	s_delay_alu instid0(VALU_DEP_1) | instskip(SKIP_3) | instid1(VALU_DEP_2)
	v_dual_sub_f32 v30, v30, v34 :: v_dual_add_f32 v31, v31, v32
	s_waitcnt_depctr 0xfff
	v_mul_f32_e32 v35, v34, v29
	v_add_f32_e32 v13, v13, v30
	v_mul_f32_e32 v36, v33, v35
	s_delay_alu instid0(VALU_DEP_1) | instskip(NEXT) | instid1(VALU_DEP_1)
	v_fma_f32 v32, v35, v33, -v36
	v_fmac_f32_e32 v32, v35, v31
	s_delay_alu instid0(VALU_DEP_1) | instskip(NEXT) | instid1(VALU_DEP_1)
	v_add_f32_e32 v37, v36, v32
	v_sub_f32_e32 v38, v34, v37
	v_sub_f32_e32 v30, v37, v36
	s_delay_alu instid0(VALU_DEP_2) | instskip(NEXT) | instid1(VALU_DEP_2)
	v_sub_f32_e32 v34, v34, v38
	v_sub_f32_e32 v30, v30, v32
	s_delay_alu instid0(VALU_DEP_2) | instskip(NEXT) | instid1(VALU_DEP_1)
	v_sub_f32_e32 v34, v34, v37
	v_add_f32_e32 v13, v13, v34
	s_delay_alu instid0(VALU_DEP_1) | instskip(NEXT) | instid1(VALU_DEP_1)
	v_add_f32_e32 v13, v30, v13
	v_add_f32_e32 v30, v38, v13
	s_delay_alu instid0(VALU_DEP_1) | instskip(NEXT) | instid1(VALU_DEP_1)
	v_mul_f32_e32 v32, v29, v30
	v_dual_sub_f32 v37, v38, v30 :: v_dual_mul_f32 v34, v33, v32
	s_delay_alu instid0(VALU_DEP_1) | instskip(NEXT) | instid1(VALU_DEP_2)
	v_add_f32_e32 v13, v13, v37
	v_fma_f32 v33, v32, v33, -v34
	s_delay_alu instid0(VALU_DEP_1) | instskip(NEXT) | instid1(VALU_DEP_1)
	v_fmac_f32_e32 v33, v32, v31
	v_add_f32_e32 v31, v34, v33
	s_delay_alu instid0(VALU_DEP_1) | instskip(SKIP_1) | instid1(VALU_DEP_2)
	v_sub_f32_e32 v36, v30, v31
	v_sub_f32_e32 v34, v31, v34
	;; [unrolled: 1-line block ×3, first 2 shown]
	s_delay_alu instid0(VALU_DEP_1) | instskip(NEXT) | instid1(VALU_DEP_3)
	v_sub_f32_e32 v30, v30, v31
	v_sub_f32_e32 v31, v34, v33
	s_delay_alu instid0(VALU_DEP_2) | instskip(NEXT) | instid1(VALU_DEP_1)
	v_dual_add_f32 v13, v13, v30 :: v_dual_add_f32 v30, v35, v32
	v_add_f32_e32 v13, v31, v13
	s_delay_alu instid0(VALU_DEP_2) | instskip(NEXT) | instid1(VALU_DEP_2)
	v_sub_f32_e32 v31, v30, v35
	v_add_f32_e32 v13, v36, v13
	s_delay_alu instid0(VALU_DEP_2) | instskip(NEXT) | instid1(VALU_DEP_2)
	v_sub_f32_e32 v31, v32, v31
	v_mul_f32_e32 v13, v29, v13
	s_delay_alu instid0(VALU_DEP_1) | instskip(NEXT) | instid1(VALU_DEP_1)
	v_add_f32_e32 v13, v31, v13
	v_add_f32_e32 v29, v30, v13
	s_delay_alu instid0(VALU_DEP_1) | instskip(NEXT) | instid1(VALU_DEP_1)
	v_mul_f32_e32 v31, v29, v29
	v_fmaak_f32 v32, s0, v31, 0x3ecc95a3
	v_mul_f32_e32 v33, v29, v31
	v_cmp_eq_f32_e64 s0, 0x7f800000, v7
	s_delay_alu instid0(VALU_DEP_3) | instskip(SKIP_2) | instid1(VALU_DEP_4)
	v_fmaak_f32 v31, v31, v32, 0x3f2aaada
	v_ldexp_f32 v32, v29, 1
	v_sub_f32_e32 v29, v29, v30
	s_or_b32 s0, s0, s23
	s_delay_alu instid0(VALU_DEP_3) | instskip(SKIP_1) | instid1(VALU_DEP_2)
	v_mul_f32_e32 v31, v33, v31
	v_mul_f32_e32 v33, 0x3f317218, v27
	v_dual_sub_f32 v13, v13, v29 :: v_dual_add_f32 v30, v32, v31
	s_delay_alu instid0(VALU_DEP_1) | instskip(NEXT) | instid1(VALU_DEP_2)
	v_ldexp_f32 v13, v13, 1
	v_sub_f32_e32 v29, v30, v32
	s_delay_alu instid0(VALU_DEP_4) | instskip(NEXT) | instid1(VALU_DEP_2)
	v_fma_f32 v32, 0x3f317218, v27, -v33
	v_sub_f32_e32 v29, v31, v29
	s_delay_alu instid0(VALU_DEP_2) | instskip(NEXT) | instid1(VALU_DEP_2)
	v_fmamk_f32 v27, v27, 0xb102e308, v32
	v_add_f32_e32 v13, v13, v29
	s_delay_alu instid0(VALU_DEP_2) | instskip(NEXT) | instid1(VALU_DEP_2)
	v_add_f32_e32 v29, v33, v27
	v_add_f32_e32 v31, v30, v13
	s_delay_alu instid0(VALU_DEP_2) | instskip(NEXT) | instid1(VALU_DEP_2)
	v_sub_f32_e32 v33, v29, v33
	v_add_f32_e32 v32, v29, v31
	v_sub_f32_e32 v30, v31, v30
	s_delay_alu instid0(VALU_DEP_3) | instskip(NEXT) | instid1(VALU_DEP_2)
	v_sub_f32_e32 v27, v27, v33
	v_dual_sub_f32 v34, v32, v29 :: v_dual_sub_f32 v13, v13, v30
	s_delay_alu instid0(VALU_DEP_1) | instskip(SKIP_1) | instid1(VALU_DEP_3)
	v_sub_f32_e32 v35, v32, v34
	v_sub_f32_e32 v30, v31, v34
	v_add_f32_e32 v31, v27, v13
	s_delay_alu instid0(VALU_DEP_3) | instskip(NEXT) | instid1(VALU_DEP_1)
	v_sub_f32_e32 v29, v29, v35
	v_dual_add_f32 v29, v30, v29 :: v_dual_sub_f32 v30, v31, v27
	s_delay_alu instid0(VALU_DEP_1) | instskip(NEXT) | instid1(VALU_DEP_2)
	v_add_f32_e32 v29, v31, v29
	v_sub_f32_e32 v31, v31, v30
	v_sub_f32_e32 v13, v13, v30
	s_delay_alu instid0(VALU_DEP_3) | instskip(NEXT) | instid1(VALU_DEP_1)
	v_add_f32_e32 v33, v32, v29
	v_dual_sub_f32 v27, v27, v31 :: v_dual_sub_f32 v30, v33, v32
	s_delay_alu instid0(VALU_DEP_1) | instskip(NEXT) | instid1(VALU_DEP_2)
	v_add_f32_e32 v13, v13, v27
	v_sub_f32_e32 v27, v29, v30
	s_delay_alu instid0(VALU_DEP_1) | instskip(NEXT) | instid1(VALU_DEP_1)
	v_add_f32_e32 v13, v13, v27
	v_add_f32_e32 v13, v33, v13
	s_delay_alu instid0(VALU_DEP_1) | instskip(NEXT) | instid1(VALU_DEP_1)
	v_cndmask_b32_e64 v7, v13, v7, s0
	v_add_f32_e32 v7, v26, v7
	s_delay_alu instid0(VALU_DEP_1) | instskip(NEXT) | instid1(VALU_DEP_1)
	v_cvt_f16_f32_e32 v30, v7
	v_cvt_f32_f16_e32 v13, v30
	v_mov_b32_e32 v7, v30
.LBB400_154:
	s_or_b32 exec_lo, exec_lo, s1
	s_delay_alu instid0(VALU_DEP_2) | instskip(SKIP_1) | instid1(VALU_DEP_2)
	v_dual_max_f32 v26, v23, v23 :: v_dual_max_f32 v27, v13, v13
	v_cmp_u_f16_e64 s0, v30, v30
	v_min_f32_e32 v29, v27, v26
	v_max_f32_e32 v26, v27, v26
	s_delay_alu instid0(VALU_DEP_2) | instskip(NEXT) | instid1(VALU_DEP_2)
	v_cndmask_b32_e64 v27, v29, v13, s0
	v_cndmask_b32_e64 v26, v26, v13, s0
	s_delay_alu instid0(VALU_DEP_2) | instskip(NEXT) | instid1(VALU_DEP_2)
	v_cndmask_b32_e64 v27, v27, v23, s40
	v_cndmask_b32_e64 v26, v26, v23, s40
	v_mov_b32_e32 v23, v7
	s_delay_alu instid0(VALU_DEP_3) | instskip(NEXT) | instid1(VALU_DEP_3)
	v_cmp_class_f32_e64 s1, v27, 0x1f8
	v_cmp_neq_f32_e64 s0, v27, v26
	s_delay_alu instid0(VALU_DEP_1) | instskip(NEXT) | instid1(SALU_CYCLE_1)
	s_or_b32 s0, s0, s1
	s_and_saveexec_b32 s1, s0
	s_cbranch_execz .LBB400_156
; %bb.155:
	v_sub_f32_e32 v13, v27, v26
	s_delay_alu instid0(VALU_DEP_1) | instskip(SKIP_1) | instid1(VALU_DEP_2)
	v_mul_f32_e32 v23, 0x3fb8aa3b, v13
	v_cmp_ngt_f32_e64 s0, 0xc2ce8ed0, v13
	v_fma_f32 v27, 0x3fb8aa3b, v13, -v23
	v_rndne_f32_e32 v29, v23
	s_delay_alu instid0(VALU_DEP_2) | instskip(NEXT) | instid1(VALU_DEP_2)
	v_fmamk_f32 v27, v13, 0x32a5705f, v27
	v_sub_f32_e32 v23, v23, v29
	s_delay_alu instid0(VALU_DEP_1) | instskip(SKIP_1) | instid1(VALU_DEP_2)
	v_add_f32_e32 v23, v23, v27
	v_cvt_i32_f32_e32 v27, v29
	v_exp_f32_e32 v23, v23
	s_waitcnt_depctr 0xfff
	v_ldexp_f32 v23, v23, v27
	s_delay_alu instid0(VALU_DEP_1) | instskip(SKIP_1) | instid1(VALU_DEP_1)
	v_cndmask_b32_e64 v23, 0, v23, s0
	v_cmp_nlt_f32_e64 s0, 0x42b17218, v13
	v_cndmask_b32_e64 v13, 0x7f800000, v23, s0
	s_delay_alu instid0(VALU_DEP_1) | instskip(SKIP_1) | instid1(VALU_DEP_2)
	v_add_f32_e32 v23, 1.0, v13
	v_cmp_gt_f32_e64 s23, 0x33800000, |v13|
	v_cvt_f64_f32_e32 v[29:30], v23
	s_delay_alu instid0(VALU_DEP_1) | instskip(SKIP_1) | instid1(VALU_DEP_1)
	v_frexp_exp_i32_f64_e32 v27, v[29:30]
	v_frexp_mant_f32_e32 v29, v23
	v_cmp_gt_f32_e64 s0, 0x3f2aaaab, v29
	v_add_f32_e32 v29, -1.0, v23
	s_delay_alu instid0(VALU_DEP_1) | instskip(SKIP_1) | instid1(VALU_DEP_2)
	v_sub_f32_e32 v31, v29, v23
	v_sub_f32_e32 v29, v13, v29
	v_add_f32_e32 v31, 1.0, v31
	s_delay_alu instid0(VALU_DEP_1) | instskip(SKIP_2) | instid1(VALU_DEP_1)
	v_add_f32_e32 v29, v29, v31
	v_subrev_co_ci_u32_e64 v27, s0, 0, v27, s0
	s_mov_b32 s0, 0x3e9b6dac
	v_sub_nc_u32_e32 v30, 0, v27
	v_cvt_f32_i32_e32 v27, v27
	s_delay_alu instid0(VALU_DEP_2) | instskip(SKIP_1) | instid1(VALU_DEP_2)
	v_ldexp_f32 v23, v23, v30
	v_ldexp_f32 v29, v29, v30
	v_add_f32_e32 v32, 1.0, v23
	s_delay_alu instid0(VALU_DEP_1) | instskip(NEXT) | instid1(VALU_DEP_1)
	v_dual_add_f32 v30, -1.0, v23 :: v_dual_add_f32 v31, -1.0, v32
	v_add_f32_e32 v33, 1.0, v30
	s_delay_alu instid0(VALU_DEP_2) | instskip(NEXT) | instid1(VALU_DEP_2)
	v_sub_f32_e32 v31, v23, v31
	v_sub_f32_e32 v23, v23, v33
	s_delay_alu instid0(VALU_DEP_2) | instskip(NEXT) | instid1(VALU_DEP_2)
	v_add_f32_e32 v31, v29, v31
	v_add_f32_e32 v23, v29, v23
	s_delay_alu instid0(VALU_DEP_2) | instskip(NEXT) | instid1(VALU_DEP_2)
	v_add_f32_e32 v33, v32, v31
	v_add_f32_e32 v34, v30, v23
	s_delay_alu instid0(VALU_DEP_2) | instskip(SKIP_1) | instid1(VALU_DEP_1)
	v_rcp_f32_e32 v29, v33
	v_sub_f32_e32 v32, v32, v33
	v_dual_sub_f32 v30, v30, v34 :: v_dual_add_f32 v31, v31, v32
	s_delay_alu instid0(VALU_DEP_1) | instskip(SKIP_2) | instid1(VALU_DEP_1)
	v_add_f32_e32 v23, v23, v30
	s_waitcnt_depctr 0xfff
	v_mul_f32_e32 v35, v34, v29
	v_mul_f32_e32 v36, v33, v35
	s_delay_alu instid0(VALU_DEP_1) | instskip(NEXT) | instid1(VALU_DEP_1)
	v_fma_f32 v32, v35, v33, -v36
	v_fmac_f32_e32 v32, v35, v31
	s_delay_alu instid0(VALU_DEP_1) | instskip(NEXT) | instid1(VALU_DEP_1)
	v_add_f32_e32 v37, v36, v32
	v_sub_f32_e32 v38, v34, v37
	v_sub_f32_e32 v30, v37, v36
	s_delay_alu instid0(VALU_DEP_2) | instskip(NEXT) | instid1(VALU_DEP_2)
	v_sub_f32_e32 v34, v34, v38
	v_sub_f32_e32 v30, v30, v32
	s_delay_alu instid0(VALU_DEP_2) | instskip(NEXT) | instid1(VALU_DEP_1)
	v_sub_f32_e32 v34, v34, v37
	v_add_f32_e32 v23, v23, v34
	s_delay_alu instid0(VALU_DEP_1) | instskip(NEXT) | instid1(VALU_DEP_1)
	v_add_f32_e32 v23, v30, v23
	v_add_f32_e32 v30, v38, v23
	s_delay_alu instid0(VALU_DEP_1) | instskip(NEXT) | instid1(VALU_DEP_1)
	v_mul_f32_e32 v32, v29, v30
	v_dual_sub_f32 v37, v38, v30 :: v_dual_mul_f32 v34, v33, v32
	s_delay_alu instid0(VALU_DEP_1) | instskip(NEXT) | instid1(VALU_DEP_2)
	v_add_f32_e32 v23, v23, v37
	v_fma_f32 v33, v32, v33, -v34
	s_delay_alu instid0(VALU_DEP_1) | instskip(NEXT) | instid1(VALU_DEP_1)
	v_fmac_f32_e32 v33, v32, v31
	v_add_f32_e32 v31, v34, v33
	s_delay_alu instid0(VALU_DEP_1) | instskip(SKIP_1) | instid1(VALU_DEP_2)
	v_sub_f32_e32 v36, v30, v31
	v_sub_f32_e32 v34, v31, v34
	;; [unrolled: 1-line block ×3, first 2 shown]
	s_delay_alu instid0(VALU_DEP_1) | instskip(NEXT) | instid1(VALU_DEP_3)
	v_sub_f32_e32 v30, v30, v31
	v_sub_f32_e32 v31, v34, v33
	s_delay_alu instid0(VALU_DEP_2) | instskip(SKIP_1) | instid1(VALU_DEP_2)
	v_add_f32_e32 v23, v23, v30
	v_add_f32_e32 v30, v35, v32
	;; [unrolled: 1-line block ×3, first 2 shown]
	s_delay_alu instid0(VALU_DEP_2) | instskip(NEXT) | instid1(VALU_DEP_2)
	v_sub_f32_e32 v31, v30, v35
	v_add_f32_e32 v23, v36, v23
	s_delay_alu instid0(VALU_DEP_2) | instskip(NEXT) | instid1(VALU_DEP_2)
	v_sub_f32_e32 v31, v32, v31
	v_mul_f32_e32 v23, v29, v23
	s_delay_alu instid0(VALU_DEP_1) | instskip(NEXT) | instid1(VALU_DEP_1)
	v_add_f32_e32 v23, v31, v23
	v_add_f32_e32 v29, v30, v23
	s_delay_alu instid0(VALU_DEP_1) | instskip(NEXT) | instid1(VALU_DEP_1)
	v_mul_f32_e32 v31, v29, v29
	v_fmaak_f32 v32, s0, v31, 0x3ecc95a3
	v_mul_f32_e32 v33, v29, v31
	v_cmp_eq_f32_e64 s0, 0x7f800000, v13
	s_delay_alu instid0(VALU_DEP_3) | instskip(SKIP_2) | instid1(VALU_DEP_4)
	v_fmaak_f32 v31, v31, v32, 0x3f2aaada
	v_ldexp_f32 v32, v29, 1
	v_sub_f32_e32 v29, v29, v30
	s_or_b32 s0, s0, s23
	s_delay_alu instid0(VALU_DEP_3) | instskip(SKIP_1) | instid1(VALU_DEP_2)
	v_mul_f32_e32 v31, v33, v31
	v_mul_f32_e32 v33, 0x3f317218, v27
	v_dual_sub_f32 v23, v23, v29 :: v_dual_add_f32 v30, v32, v31
	s_delay_alu instid0(VALU_DEP_1) | instskip(NEXT) | instid1(VALU_DEP_2)
	v_ldexp_f32 v23, v23, 1
	v_sub_f32_e32 v29, v30, v32
	s_delay_alu instid0(VALU_DEP_4) | instskip(NEXT) | instid1(VALU_DEP_2)
	v_fma_f32 v32, 0x3f317218, v27, -v33
	v_sub_f32_e32 v29, v31, v29
	s_delay_alu instid0(VALU_DEP_2) | instskip(NEXT) | instid1(VALU_DEP_2)
	v_fmamk_f32 v27, v27, 0xb102e308, v32
	v_add_f32_e32 v23, v23, v29
	s_delay_alu instid0(VALU_DEP_2) | instskip(NEXT) | instid1(VALU_DEP_2)
	v_add_f32_e32 v29, v33, v27
	v_add_f32_e32 v31, v30, v23
	s_delay_alu instid0(VALU_DEP_2) | instskip(NEXT) | instid1(VALU_DEP_2)
	v_sub_f32_e32 v33, v29, v33
	v_add_f32_e32 v32, v29, v31
	v_sub_f32_e32 v30, v31, v30
	s_delay_alu instid0(VALU_DEP_3) | instskip(NEXT) | instid1(VALU_DEP_2)
	v_sub_f32_e32 v27, v27, v33
	v_dual_sub_f32 v34, v32, v29 :: v_dual_sub_f32 v23, v23, v30
	s_delay_alu instid0(VALU_DEP_1) | instskip(SKIP_1) | instid1(VALU_DEP_3)
	v_sub_f32_e32 v35, v32, v34
	v_sub_f32_e32 v30, v31, v34
	v_add_f32_e32 v31, v27, v23
	s_delay_alu instid0(VALU_DEP_3) | instskip(NEXT) | instid1(VALU_DEP_1)
	v_sub_f32_e32 v29, v29, v35
	v_dual_add_f32 v29, v30, v29 :: v_dual_sub_f32 v30, v31, v27
	s_delay_alu instid0(VALU_DEP_1) | instskip(NEXT) | instid1(VALU_DEP_2)
	v_add_f32_e32 v29, v31, v29
	v_sub_f32_e32 v31, v31, v30
	v_sub_f32_e32 v23, v23, v30
	s_delay_alu instid0(VALU_DEP_3) | instskip(NEXT) | instid1(VALU_DEP_1)
	v_add_f32_e32 v33, v32, v29
	v_dual_sub_f32 v27, v27, v31 :: v_dual_sub_f32 v30, v33, v32
	s_delay_alu instid0(VALU_DEP_1) | instskip(NEXT) | instid1(VALU_DEP_2)
	v_add_f32_e32 v23, v23, v27
	v_sub_f32_e32 v27, v29, v30
	s_delay_alu instid0(VALU_DEP_1) | instskip(NEXT) | instid1(VALU_DEP_1)
	v_add_f32_e32 v23, v23, v27
	v_add_f32_e32 v23, v33, v23
	s_delay_alu instid0(VALU_DEP_1) | instskip(NEXT) | instid1(VALU_DEP_1)
	v_cndmask_b32_e64 v13, v23, v13, s0
	v_add_f32_e32 v13, v26, v13
	s_delay_alu instid0(VALU_DEP_1) | instskip(NEXT) | instid1(VALU_DEP_1)
	v_cvt_f16_f32_e32 v30, v13
	v_cvt_f32_f16_e32 v13, v30
	v_mov_b32_e32 v23, v30
.LBB400_156:
	s_or_b32 exec_lo, exec_lo, s1
	s_delay_alu instid0(VALU_DEP_2) | instskip(SKIP_1) | instid1(VALU_DEP_2)
	v_dual_max_f32 v26, v4, v4 :: v_dual_max_f32 v27, v13, v13
	v_cmp_u_f16_e64 s0, v30, v30
	v_min_f32_e32 v29, v27, v26
	v_max_f32_e32 v26, v27, v26
	s_delay_alu instid0(VALU_DEP_2) | instskip(NEXT) | instid1(VALU_DEP_2)
	v_cndmask_b32_e64 v27, v29, v13, s0
	v_cndmask_b32_e64 v26, v26, v13, s0
	s_delay_alu instid0(VALU_DEP_2) | instskip(NEXT) | instid1(VALU_DEP_2)
	v_cndmask_b32_e64 v27, v27, v4, s41
	v_cndmask_b32_e64 v26, v26, v4, s41
	v_mov_b32_e32 v4, v23
	s_delay_alu instid0(VALU_DEP_3) | instskip(NEXT) | instid1(VALU_DEP_3)
	v_cmp_class_f32_e64 s1, v27, 0x1f8
	v_cmp_neq_f32_e64 s0, v27, v26
	s_delay_alu instid0(VALU_DEP_1) | instskip(NEXT) | instid1(SALU_CYCLE_1)
	s_or_b32 s0, s0, s1
	s_and_saveexec_b32 s1, s0
	s_cbranch_execz .LBB400_158
; %bb.157:
	v_sub_f32_e32 v4, v27, v26
	s_delay_alu instid0(VALU_DEP_1) | instskip(NEXT) | instid1(VALU_DEP_1)
	v_mul_f32_e32 v13, 0x3fb8aa3b, v4
	v_fma_f32 v27, 0x3fb8aa3b, v4, -v13
	v_rndne_f32_e32 v29, v13
	s_delay_alu instid0(VALU_DEP_1) | instskip(NEXT) | instid1(VALU_DEP_3)
	v_sub_f32_e32 v13, v13, v29
	v_fmamk_f32 v27, v4, 0x32a5705f, v27
	v_cmp_ngt_f32_e64 s0, 0xc2ce8ed0, v4
	s_delay_alu instid0(VALU_DEP_2) | instskip(SKIP_1) | instid1(VALU_DEP_2)
	v_add_f32_e32 v13, v13, v27
	v_cvt_i32_f32_e32 v27, v29
	v_exp_f32_e32 v13, v13
	s_waitcnt_depctr 0xfff
	v_ldexp_f32 v13, v13, v27
	s_delay_alu instid0(VALU_DEP_1) | instskip(SKIP_1) | instid1(VALU_DEP_1)
	v_cndmask_b32_e64 v13, 0, v13, s0
	v_cmp_nlt_f32_e64 s0, 0x42b17218, v4
	v_cndmask_b32_e64 v4, 0x7f800000, v13, s0
	s_delay_alu instid0(VALU_DEP_1) | instskip(SKIP_1) | instid1(VALU_DEP_2)
	v_add_f32_e32 v13, 1.0, v4
	v_cmp_gt_f32_e64 s23, 0x33800000, |v4|
	v_cvt_f64_f32_e32 v[29:30], v13
	s_delay_alu instid0(VALU_DEP_1) | instskip(SKIP_1) | instid1(VALU_DEP_1)
	v_frexp_exp_i32_f64_e32 v27, v[29:30]
	v_frexp_mant_f32_e32 v29, v13
	v_cmp_gt_f32_e64 s0, 0x3f2aaaab, v29
	v_add_f32_e32 v29, -1.0, v13
	s_delay_alu instid0(VALU_DEP_1) | instskip(SKIP_1) | instid1(VALU_DEP_4)
	v_sub_f32_e32 v31, v29, v13
	v_sub_f32_e32 v29, v4, v29
	v_subrev_co_ci_u32_e64 v27, s0, 0, v27, s0
	s_mov_b32 s0, 0x3e9b6dac
	s_delay_alu instid0(VALU_DEP_1) | instskip(SKIP_1) | instid1(VALU_DEP_2)
	v_sub_nc_u32_e32 v30, 0, v27
	v_cvt_f32_i32_e32 v27, v27
	v_ldexp_f32 v13, v13, v30
	s_delay_alu instid0(VALU_DEP_1) | instskip(NEXT) | instid1(VALU_DEP_1)
	v_dual_add_f32 v31, 1.0, v31 :: v_dual_add_f32 v32, 1.0, v13
	v_add_f32_e32 v29, v29, v31
	s_delay_alu instid0(VALU_DEP_2) | instskip(NEXT) | instid1(VALU_DEP_2)
	v_add_f32_e32 v31, -1.0, v32
	v_ldexp_f32 v29, v29, v30
	s_delay_alu instid0(VALU_DEP_2) | instskip(NEXT) | instid1(VALU_DEP_1)
	v_dual_add_f32 v30, -1.0, v13 :: v_dual_sub_f32 v31, v13, v31
	v_add_f32_e32 v33, 1.0, v30
	s_delay_alu instid0(VALU_DEP_2) | instskip(NEXT) | instid1(VALU_DEP_2)
	v_add_f32_e32 v31, v29, v31
	v_sub_f32_e32 v13, v13, v33
	s_delay_alu instid0(VALU_DEP_2) | instskip(NEXT) | instid1(VALU_DEP_2)
	v_add_f32_e32 v33, v32, v31
	v_add_f32_e32 v13, v29, v13
	s_delay_alu instid0(VALU_DEP_2) | instskip(SKIP_1) | instid1(VALU_DEP_1)
	v_rcp_f32_e32 v29, v33
	v_sub_f32_e32 v32, v32, v33
	v_dual_add_f32 v34, v30, v13 :: v_dual_add_f32 v31, v31, v32
	s_delay_alu instid0(VALU_DEP_1) | instskip(SKIP_3) | instid1(VALU_DEP_2)
	v_sub_f32_e32 v30, v30, v34
	s_waitcnt_depctr 0xfff
	v_mul_f32_e32 v35, v34, v29
	v_add_f32_e32 v13, v13, v30
	v_mul_f32_e32 v36, v33, v35
	s_delay_alu instid0(VALU_DEP_1) | instskip(NEXT) | instid1(VALU_DEP_1)
	v_fma_f32 v32, v35, v33, -v36
	v_fmac_f32_e32 v32, v35, v31
	s_delay_alu instid0(VALU_DEP_1) | instskip(NEXT) | instid1(VALU_DEP_1)
	v_add_f32_e32 v37, v36, v32
	v_sub_f32_e32 v38, v34, v37
	v_sub_f32_e32 v30, v37, v36
	s_delay_alu instid0(VALU_DEP_2) | instskip(NEXT) | instid1(VALU_DEP_2)
	v_sub_f32_e32 v34, v34, v38
	v_sub_f32_e32 v30, v30, v32
	s_delay_alu instid0(VALU_DEP_2) | instskip(NEXT) | instid1(VALU_DEP_1)
	v_sub_f32_e32 v34, v34, v37
	v_add_f32_e32 v13, v13, v34
	s_delay_alu instid0(VALU_DEP_1) | instskip(NEXT) | instid1(VALU_DEP_1)
	v_add_f32_e32 v13, v30, v13
	v_add_f32_e32 v30, v38, v13
	s_delay_alu instid0(VALU_DEP_1) | instskip(NEXT) | instid1(VALU_DEP_1)
	v_mul_f32_e32 v32, v29, v30
	v_dual_sub_f32 v37, v38, v30 :: v_dual_mul_f32 v34, v33, v32
	s_delay_alu instid0(VALU_DEP_1) | instskip(NEXT) | instid1(VALU_DEP_2)
	v_add_f32_e32 v13, v13, v37
	v_fma_f32 v33, v32, v33, -v34
	s_delay_alu instid0(VALU_DEP_1) | instskip(NEXT) | instid1(VALU_DEP_1)
	v_fmac_f32_e32 v33, v32, v31
	v_add_f32_e32 v31, v34, v33
	s_delay_alu instid0(VALU_DEP_1) | instskip(SKIP_1) | instid1(VALU_DEP_2)
	v_sub_f32_e32 v36, v30, v31
	v_sub_f32_e32 v34, v31, v34
	;; [unrolled: 1-line block ×3, first 2 shown]
	s_delay_alu instid0(VALU_DEP_1) | instskip(NEXT) | instid1(VALU_DEP_3)
	v_sub_f32_e32 v30, v30, v31
	v_sub_f32_e32 v31, v34, v33
	s_delay_alu instid0(VALU_DEP_2) | instskip(NEXT) | instid1(VALU_DEP_1)
	v_dual_add_f32 v13, v13, v30 :: v_dual_add_f32 v30, v35, v32
	v_add_f32_e32 v13, v31, v13
	s_delay_alu instid0(VALU_DEP_2) | instskip(NEXT) | instid1(VALU_DEP_2)
	v_sub_f32_e32 v31, v30, v35
	v_add_f32_e32 v13, v36, v13
	s_delay_alu instid0(VALU_DEP_2) | instskip(NEXT) | instid1(VALU_DEP_2)
	v_sub_f32_e32 v31, v32, v31
	v_mul_f32_e32 v13, v29, v13
	s_delay_alu instid0(VALU_DEP_1) | instskip(NEXT) | instid1(VALU_DEP_1)
	v_add_f32_e32 v13, v31, v13
	v_add_f32_e32 v29, v30, v13
	s_delay_alu instid0(VALU_DEP_1) | instskip(NEXT) | instid1(VALU_DEP_1)
	v_mul_f32_e32 v31, v29, v29
	v_fmaak_f32 v32, s0, v31, 0x3ecc95a3
	v_mul_f32_e32 v33, v29, v31
	v_cmp_eq_f32_e64 s0, 0x7f800000, v4
	s_delay_alu instid0(VALU_DEP_3) | instskip(SKIP_2) | instid1(VALU_DEP_4)
	v_fmaak_f32 v31, v31, v32, 0x3f2aaada
	v_ldexp_f32 v32, v29, 1
	v_sub_f32_e32 v29, v29, v30
	s_or_b32 s0, s0, s23
	s_delay_alu instid0(VALU_DEP_3) | instskip(SKIP_1) | instid1(VALU_DEP_2)
	v_mul_f32_e32 v31, v33, v31
	v_mul_f32_e32 v33, 0x3f317218, v27
	v_dual_sub_f32 v13, v13, v29 :: v_dual_add_f32 v30, v32, v31
	s_delay_alu instid0(VALU_DEP_1) | instskip(NEXT) | instid1(VALU_DEP_2)
	v_ldexp_f32 v13, v13, 1
	v_sub_f32_e32 v29, v30, v32
	s_delay_alu instid0(VALU_DEP_4) | instskip(NEXT) | instid1(VALU_DEP_2)
	v_fma_f32 v32, 0x3f317218, v27, -v33
	v_sub_f32_e32 v29, v31, v29
	s_delay_alu instid0(VALU_DEP_2) | instskip(NEXT) | instid1(VALU_DEP_2)
	v_fmamk_f32 v27, v27, 0xb102e308, v32
	v_add_f32_e32 v13, v13, v29
	s_delay_alu instid0(VALU_DEP_2) | instskip(NEXT) | instid1(VALU_DEP_2)
	v_add_f32_e32 v29, v33, v27
	v_add_f32_e32 v31, v30, v13
	s_delay_alu instid0(VALU_DEP_2) | instskip(NEXT) | instid1(VALU_DEP_2)
	v_sub_f32_e32 v33, v29, v33
	v_add_f32_e32 v32, v29, v31
	v_sub_f32_e32 v30, v31, v30
	s_delay_alu instid0(VALU_DEP_3) | instskip(NEXT) | instid1(VALU_DEP_2)
	v_sub_f32_e32 v27, v27, v33
	v_dual_sub_f32 v34, v32, v29 :: v_dual_sub_f32 v13, v13, v30
	s_delay_alu instid0(VALU_DEP_1) | instskip(SKIP_1) | instid1(VALU_DEP_3)
	v_sub_f32_e32 v35, v32, v34
	v_sub_f32_e32 v30, v31, v34
	v_add_f32_e32 v31, v27, v13
	s_delay_alu instid0(VALU_DEP_3) | instskip(NEXT) | instid1(VALU_DEP_1)
	v_sub_f32_e32 v29, v29, v35
	v_dual_add_f32 v29, v30, v29 :: v_dual_sub_f32 v30, v31, v27
	s_delay_alu instid0(VALU_DEP_1) | instskip(NEXT) | instid1(VALU_DEP_2)
	v_add_f32_e32 v29, v31, v29
	v_sub_f32_e32 v31, v31, v30
	v_sub_f32_e32 v13, v13, v30
	s_delay_alu instid0(VALU_DEP_3) | instskip(NEXT) | instid1(VALU_DEP_1)
	v_add_f32_e32 v33, v32, v29
	v_dual_sub_f32 v27, v27, v31 :: v_dual_sub_f32 v30, v33, v32
	s_delay_alu instid0(VALU_DEP_1) | instskip(NEXT) | instid1(VALU_DEP_2)
	v_add_f32_e32 v13, v13, v27
	v_sub_f32_e32 v27, v29, v30
	s_delay_alu instid0(VALU_DEP_1) | instskip(NEXT) | instid1(VALU_DEP_1)
	v_add_f32_e32 v13, v13, v27
	v_add_f32_e32 v13, v33, v13
	s_delay_alu instid0(VALU_DEP_1) | instskip(NEXT) | instid1(VALU_DEP_1)
	v_cndmask_b32_e64 v4, v13, v4, s0
	v_add_f32_e32 v4, v26, v4
	s_delay_alu instid0(VALU_DEP_1) | instskip(NEXT) | instid1(VALU_DEP_1)
	v_cvt_f16_f32_e32 v30, v4
	v_mov_b32_e32 v4, v30
	v_cvt_f32_f16_e32 v13, v30
.LBB400_158:
	s_or_b32 exec_lo, exec_lo, s1
	s_delay_alu instid0(VALU_DEP_1) | instskip(SKIP_1) | instid1(VALU_DEP_2)
	v_dual_max_f32 v26, v24, v24 :: v_dual_max_f32 v27, v13, v13
	v_cmp_u_f16_e64 s0, v30, v30
	v_min_f32_e32 v29, v27, v26
	v_max_f32_e32 v26, v27, v26
	s_delay_alu instid0(VALU_DEP_2) | instskip(NEXT) | instid1(VALU_DEP_2)
	v_cndmask_b32_e64 v27, v29, v13, s0
	v_cndmask_b32_e64 v26, v26, v13, s0
	s_delay_alu instid0(VALU_DEP_2) | instskip(NEXT) | instid1(VALU_DEP_2)
	v_cndmask_b32_e64 v27, v27, v24, s42
	v_cndmask_b32_e64 v26, v26, v24, s42
	v_mov_b32_e32 v24, v4
	s_delay_alu instid0(VALU_DEP_3) | instskip(NEXT) | instid1(VALU_DEP_3)
	v_cmp_class_f32_e64 s1, v27, 0x1f8
	v_cmp_neq_f32_e64 s0, v27, v26
	s_delay_alu instid0(VALU_DEP_1) | instskip(NEXT) | instid1(SALU_CYCLE_1)
	s_or_b32 s0, s0, s1
	s_and_saveexec_b32 s1, s0
	s_cbranch_execz .LBB400_160
; %bb.159:
	v_sub_f32_e32 v13, v27, v26
	s_delay_alu instid0(VALU_DEP_1) | instskip(NEXT) | instid1(VALU_DEP_1)
	v_mul_f32_e32 v24, 0x3fb8aa3b, v13
	v_fma_f32 v27, 0x3fb8aa3b, v13, -v24
	v_rndne_f32_e32 v29, v24
	s_delay_alu instid0(VALU_DEP_1) | instskip(SKIP_1) | instid1(VALU_DEP_2)
	v_dual_sub_f32 v24, v24, v29 :: v_dual_fmamk_f32 v27, v13, 0x32a5705f, v27
	v_cmp_ngt_f32_e64 s0, 0xc2ce8ed0, v13
	v_add_f32_e32 v24, v24, v27
	v_cvt_i32_f32_e32 v27, v29
	s_delay_alu instid0(VALU_DEP_2) | instskip(SKIP_2) | instid1(VALU_DEP_1)
	v_exp_f32_e32 v24, v24
	s_waitcnt_depctr 0xfff
	v_ldexp_f32 v24, v24, v27
	v_cndmask_b32_e64 v24, 0, v24, s0
	v_cmp_nlt_f32_e64 s0, 0x42b17218, v13
	s_delay_alu instid0(VALU_DEP_1) | instskip(NEXT) | instid1(VALU_DEP_1)
	v_cndmask_b32_e64 v13, 0x7f800000, v24, s0
	v_add_f32_e32 v24, 1.0, v13
	v_cmp_gt_f32_e64 s23, 0x33800000, |v13|
	s_delay_alu instid0(VALU_DEP_2) | instskip(NEXT) | instid1(VALU_DEP_1)
	v_cvt_f64_f32_e32 v[29:30], v24
	v_frexp_exp_i32_f64_e32 v27, v[29:30]
	v_frexp_mant_f32_e32 v29, v24
	s_delay_alu instid0(VALU_DEP_1) | instskip(SKIP_1) | instid1(VALU_DEP_1)
	v_cmp_gt_f32_e64 s0, 0x3f2aaaab, v29
	v_add_f32_e32 v29, -1.0, v24
	v_sub_f32_e32 v31, v29, v24
	v_sub_f32_e32 v29, v13, v29
	s_delay_alu instid0(VALU_DEP_2) | instskip(NEXT) | instid1(VALU_DEP_1)
	v_add_f32_e32 v31, 1.0, v31
	v_add_f32_e32 v29, v29, v31
	v_subrev_co_ci_u32_e64 v27, s0, 0, v27, s0
	s_mov_b32 s0, 0x3e9b6dac
	s_delay_alu instid0(VALU_DEP_1) | instskip(SKIP_1) | instid1(VALU_DEP_2)
	v_sub_nc_u32_e32 v30, 0, v27
	v_cvt_f32_i32_e32 v27, v27
	v_ldexp_f32 v24, v24, v30
	v_ldexp_f32 v29, v29, v30
	s_delay_alu instid0(VALU_DEP_2) | instskip(NEXT) | instid1(VALU_DEP_1)
	v_add_f32_e32 v32, 1.0, v24
	v_add_f32_e32 v31, -1.0, v32
	s_delay_alu instid0(VALU_DEP_1) | instskip(NEXT) | instid1(VALU_DEP_1)
	v_dual_add_f32 v30, -1.0, v24 :: v_dual_sub_f32 v31, v24, v31
	v_add_f32_e32 v33, 1.0, v30
	s_delay_alu instid0(VALU_DEP_1) | instskip(NEXT) | instid1(VALU_DEP_1)
	v_sub_f32_e32 v24, v24, v33
	v_add_f32_e32 v24, v29, v24
	s_delay_alu instid0(VALU_DEP_1) | instskip(NEXT) | instid1(VALU_DEP_1)
	v_dual_add_f32 v31, v29, v31 :: v_dual_add_f32 v34, v30, v24
	v_dual_add_f32 v33, v32, v31 :: v_dual_sub_f32 v30, v30, v34
	s_delay_alu instid0(VALU_DEP_1) | instskip(SKIP_1) | instid1(VALU_DEP_1)
	v_rcp_f32_e32 v29, v33
	v_sub_f32_e32 v32, v32, v33
	v_dual_add_f32 v24, v24, v30 :: v_dual_add_f32 v31, v31, v32
	s_waitcnt_depctr 0xfff
	v_mul_f32_e32 v35, v34, v29
	s_delay_alu instid0(VALU_DEP_1) | instskip(NEXT) | instid1(VALU_DEP_1)
	v_mul_f32_e32 v36, v33, v35
	v_fma_f32 v32, v35, v33, -v36
	s_delay_alu instid0(VALU_DEP_1) | instskip(NEXT) | instid1(VALU_DEP_1)
	v_fmac_f32_e32 v32, v35, v31
	v_add_f32_e32 v37, v36, v32
	s_delay_alu instid0(VALU_DEP_1) | instskip(NEXT) | instid1(VALU_DEP_1)
	v_sub_f32_e32 v38, v34, v37
	v_sub_f32_e32 v34, v34, v38
	;; [unrolled: 1-line block ×3, first 2 shown]
	s_delay_alu instid0(VALU_DEP_2) | instskip(NEXT) | instid1(VALU_DEP_2)
	v_sub_f32_e32 v34, v34, v37
	v_sub_f32_e32 v30, v30, v32
	s_delay_alu instid0(VALU_DEP_2) | instskip(NEXT) | instid1(VALU_DEP_1)
	v_add_f32_e32 v24, v24, v34
	v_add_f32_e32 v24, v30, v24
	s_delay_alu instid0(VALU_DEP_1) | instskip(NEXT) | instid1(VALU_DEP_1)
	v_add_f32_e32 v30, v38, v24
	v_mul_f32_e32 v32, v29, v30
	s_delay_alu instid0(VALU_DEP_1) | instskip(NEXT) | instid1(VALU_DEP_1)
	v_dual_sub_f32 v37, v38, v30 :: v_dual_mul_f32 v34, v33, v32
	v_add_f32_e32 v24, v24, v37
	s_delay_alu instid0(VALU_DEP_2) | instskip(NEXT) | instid1(VALU_DEP_1)
	v_fma_f32 v33, v32, v33, -v34
	v_fmac_f32_e32 v33, v32, v31
	s_delay_alu instid0(VALU_DEP_1) | instskip(NEXT) | instid1(VALU_DEP_1)
	v_add_f32_e32 v31, v34, v33
	v_sub_f32_e32 v36, v30, v31
	s_delay_alu instid0(VALU_DEP_1) | instskip(NEXT) | instid1(VALU_DEP_1)
	v_sub_f32_e32 v30, v30, v36
	v_sub_f32_e32 v30, v30, v31
	s_delay_alu instid0(VALU_DEP_1) | instskip(SKIP_2) | instid1(VALU_DEP_1)
	v_add_f32_e32 v24, v24, v30
	v_add_f32_e32 v30, v35, v32
	v_sub_f32_e32 v34, v31, v34
	v_sub_f32_e32 v31, v34, v33
	s_delay_alu instid0(VALU_DEP_1) | instskip(NEXT) | instid1(VALU_DEP_1)
	v_dual_add_f32 v24, v31, v24 :: v_dual_sub_f32 v31, v30, v35
	v_add_f32_e32 v24, v36, v24
	s_delay_alu instid0(VALU_DEP_1) | instskip(NEXT) | instid1(VALU_DEP_1)
	v_dual_sub_f32 v31, v32, v31 :: v_dual_mul_f32 v24, v29, v24
	v_add_f32_e32 v24, v31, v24
	s_delay_alu instid0(VALU_DEP_1) | instskip(NEXT) | instid1(VALU_DEP_1)
	v_add_f32_e32 v29, v30, v24
	v_mul_f32_e32 v31, v29, v29
	s_delay_alu instid0(VALU_DEP_1) | instskip(SKIP_2) | instid1(VALU_DEP_3)
	v_fmaak_f32 v32, s0, v31, 0x3ecc95a3
	v_mul_f32_e32 v33, v29, v31
	v_cmp_eq_f32_e64 s0, 0x7f800000, v13
	v_fmaak_f32 v31, v31, v32, 0x3f2aaada
	v_ldexp_f32 v32, v29, 1
	v_sub_f32_e32 v29, v29, v30
	s_delay_alu instid0(VALU_DEP_4) | instskip(NEXT) | instid1(VALU_DEP_3)
	s_or_b32 s0, s0, s23
	v_mul_f32_e32 v31, v33, v31
	s_delay_alu instid0(VALU_DEP_2) | instskip(NEXT) | instid1(VALU_DEP_2)
	v_dual_mul_f32 v33, 0x3f317218, v27 :: v_dual_sub_f32 v24, v24, v29
	v_add_f32_e32 v30, v32, v31
	s_delay_alu instid0(VALU_DEP_2) | instskip(NEXT) | instid1(VALU_DEP_2)
	v_ldexp_f32 v24, v24, 1
	v_sub_f32_e32 v29, v30, v32
	s_delay_alu instid0(VALU_DEP_4) | instskip(NEXT) | instid1(VALU_DEP_2)
	v_fma_f32 v32, 0x3f317218, v27, -v33
	v_sub_f32_e32 v29, v31, v29
	s_delay_alu instid0(VALU_DEP_1) | instskip(NEXT) | instid1(VALU_DEP_1)
	v_dual_fmamk_f32 v27, v27, 0xb102e308, v32 :: v_dual_add_f32 v24, v24, v29
	v_add_f32_e32 v29, v33, v27
	s_delay_alu instid0(VALU_DEP_1) | instskip(NEXT) | instid1(VALU_DEP_1)
	v_sub_f32_e32 v33, v29, v33
	v_sub_f32_e32 v27, v27, v33
	s_delay_alu instid0(VALU_DEP_4) | instskip(NEXT) | instid1(VALU_DEP_1)
	v_add_f32_e32 v31, v30, v24
	v_sub_f32_e32 v30, v31, v30
	s_delay_alu instid0(VALU_DEP_1) | instskip(SKIP_1) | instid1(VALU_DEP_1)
	v_sub_f32_e32 v24, v24, v30
	v_add_f32_e32 v32, v29, v31
	v_sub_f32_e32 v34, v32, v29
	s_delay_alu instid0(VALU_DEP_1) | instskip(NEXT) | instid1(VALU_DEP_4)
	v_sub_f32_e32 v30, v31, v34
	v_add_f32_e32 v31, v27, v24
	v_sub_f32_e32 v35, v32, v34
	s_delay_alu instid0(VALU_DEP_1) | instskip(NEXT) | instid1(VALU_DEP_1)
	v_sub_f32_e32 v29, v29, v35
	v_dual_add_f32 v29, v30, v29 :: v_dual_sub_f32 v30, v31, v27
	s_delay_alu instid0(VALU_DEP_1) | instskip(SKIP_1) | instid1(VALU_DEP_2)
	v_dual_add_f32 v29, v31, v29 :: v_dual_sub_f32 v24, v24, v30
	v_sub_f32_e32 v31, v31, v30
	v_add_f32_e32 v33, v32, v29
	s_delay_alu instid0(VALU_DEP_1) | instskip(NEXT) | instid1(VALU_DEP_1)
	v_dual_sub_f32 v27, v27, v31 :: v_dual_sub_f32 v30, v33, v32
	v_dual_add_f32 v24, v24, v27 :: v_dual_sub_f32 v27, v29, v30
	s_delay_alu instid0(VALU_DEP_1) | instskip(NEXT) | instid1(VALU_DEP_1)
	v_add_f32_e32 v24, v24, v27
	v_add_f32_e32 v24, v33, v24
	s_delay_alu instid0(VALU_DEP_1) | instskip(NEXT) | instid1(VALU_DEP_1)
	v_cndmask_b32_e64 v13, v24, v13, s0
	v_add_f32_e32 v13, v26, v13
	s_delay_alu instid0(VALU_DEP_1) | instskip(NEXT) | instid1(VALU_DEP_1)
	v_cvt_f16_f32_e32 v30, v13
	v_cvt_f32_f16_e32 v13, v30
	v_mov_b32_e32 v24, v30
.LBB400_160:
	s_or_b32 exec_lo, exec_lo, s1
	v_max_f32_e32 v26, v5, v5
	s_delay_alu instid0(VALU_DEP_3) | instskip(SKIP_1) | instid1(VALU_DEP_2)
	v_max_f32_e32 v27, v13, v13
	v_cmp_u_f16_e64 s0, v30, v30
	v_min_f32_e32 v29, v27, v26
	v_max_f32_e32 v26, v27, v26
	s_delay_alu instid0(VALU_DEP_2) | instskip(NEXT) | instid1(VALU_DEP_2)
	v_cndmask_b32_e64 v27, v29, v13, s0
	v_cndmask_b32_e64 v26, v26, v13, s0
	s_delay_alu instid0(VALU_DEP_2) | instskip(NEXT) | instid1(VALU_DEP_2)
	v_cndmask_b32_e64 v27, v27, v5, s43
	v_cndmask_b32_e64 v26, v26, v5, s43
	v_mov_b32_e32 v5, v24
	s_delay_alu instid0(VALU_DEP_3) | instskip(NEXT) | instid1(VALU_DEP_3)
	v_cmp_class_f32_e64 s1, v27, 0x1f8
	v_cmp_neq_f32_e64 s0, v27, v26
	s_delay_alu instid0(VALU_DEP_1) | instskip(NEXT) | instid1(SALU_CYCLE_1)
	s_or_b32 s0, s0, s1
	s_and_saveexec_b32 s1, s0
	s_cbranch_execz .LBB400_162
; %bb.161:
	v_sub_f32_e32 v5, v27, v26
	s_delay_alu instid0(VALU_DEP_1) | instskip(SKIP_1) | instid1(VALU_DEP_2)
	v_mul_f32_e32 v13, 0x3fb8aa3b, v5
	v_cmp_ngt_f32_e64 s0, 0xc2ce8ed0, v5
	v_fma_f32 v27, 0x3fb8aa3b, v5, -v13
	v_rndne_f32_e32 v29, v13
	s_delay_alu instid0(VALU_DEP_2) | instskip(NEXT) | instid1(VALU_DEP_2)
	v_fmamk_f32 v27, v5, 0x32a5705f, v27
	v_sub_f32_e32 v13, v13, v29
	s_delay_alu instid0(VALU_DEP_1) | instskip(SKIP_1) | instid1(VALU_DEP_2)
	v_add_f32_e32 v13, v13, v27
	v_cvt_i32_f32_e32 v27, v29
	v_exp_f32_e32 v13, v13
	s_waitcnt_depctr 0xfff
	v_ldexp_f32 v13, v13, v27
	s_delay_alu instid0(VALU_DEP_1) | instskip(SKIP_1) | instid1(VALU_DEP_1)
	v_cndmask_b32_e64 v13, 0, v13, s0
	v_cmp_nlt_f32_e64 s0, 0x42b17218, v5
	v_cndmask_b32_e64 v5, 0x7f800000, v13, s0
	s_delay_alu instid0(VALU_DEP_1) | instskip(SKIP_1) | instid1(VALU_DEP_2)
	v_add_f32_e32 v13, 1.0, v5
	v_cmp_gt_f32_e64 s23, 0x33800000, |v5|
	v_cvt_f64_f32_e32 v[29:30], v13
	s_delay_alu instid0(VALU_DEP_1) | instskip(SKIP_1) | instid1(VALU_DEP_1)
	v_frexp_exp_i32_f64_e32 v27, v[29:30]
	v_frexp_mant_f32_e32 v29, v13
	v_cmp_gt_f32_e64 s0, 0x3f2aaaab, v29
	v_add_f32_e32 v29, -1.0, v13
	s_delay_alu instid0(VALU_DEP_1) | instskip(SKIP_1) | instid1(VALU_DEP_2)
	v_sub_f32_e32 v31, v29, v13
	v_sub_f32_e32 v29, v5, v29
	v_add_f32_e32 v31, 1.0, v31
	s_delay_alu instid0(VALU_DEP_1) | instskip(SKIP_2) | instid1(VALU_DEP_1)
	v_add_f32_e32 v29, v29, v31
	v_subrev_co_ci_u32_e64 v27, s0, 0, v27, s0
	s_mov_b32 s0, 0x3e9b6dac
	v_sub_nc_u32_e32 v30, 0, v27
	v_cvt_f32_i32_e32 v27, v27
	s_delay_alu instid0(VALU_DEP_2) | instskip(SKIP_1) | instid1(VALU_DEP_2)
	v_ldexp_f32 v13, v13, v30
	v_ldexp_f32 v29, v29, v30
	v_add_f32_e32 v32, 1.0, v13
	s_delay_alu instid0(VALU_DEP_1) | instskip(NEXT) | instid1(VALU_DEP_1)
	v_dual_add_f32 v30, -1.0, v13 :: v_dual_add_f32 v31, -1.0, v32
	v_add_f32_e32 v33, 1.0, v30
	s_delay_alu instid0(VALU_DEP_2) | instskip(NEXT) | instid1(VALU_DEP_2)
	v_sub_f32_e32 v31, v13, v31
	v_sub_f32_e32 v13, v13, v33
	s_delay_alu instid0(VALU_DEP_2) | instskip(NEXT) | instid1(VALU_DEP_2)
	v_add_f32_e32 v31, v29, v31
	v_add_f32_e32 v13, v29, v13
	s_delay_alu instid0(VALU_DEP_1) | instskip(NEXT) | instid1(VALU_DEP_1)
	v_dual_add_f32 v33, v32, v31 :: v_dual_add_f32 v34, v30, v13
	v_rcp_f32_e32 v29, v33
	v_sub_f32_e32 v32, v32, v33
	s_delay_alu instid0(VALU_DEP_1) | instskip(SKIP_3) | instid1(VALU_DEP_2)
	v_dual_sub_f32 v30, v30, v34 :: v_dual_add_f32 v31, v31, v32
	s_waitcnt_depctr 0xfff
	v_mul_f32_e32 v35, v34, v29
	v_add_f32_e32 v13, v13, v30
	v_mul_f32_e32 v36, v33, v35
	s_delay_alu instid0(VALU_DEP_1) | instskip(NEXT) | instid1(VALU_DEP_1)
	v_fma_f32 v32, v35, v33, -v36
	v_fmac_f32_e32 v32, v35, v31
	s_delay_alu instid0(VALU_DEP_1) | instskip(NEXT) | instid1(VALU_DEP_1)
	v_add_f32_e32 v37, v36, v32
	v_sub_f32_e32 v38, v34, v37
	v_sub_f32_e32 v30, v37, v36
	s_delay_alu instid0(VALU_DEP_2) | instskip(NEXT) | instid1(VALU_DEP_2)
	v_sub_f32_e32 v34, v34, v38
	v_sub_f32_e32 v30, v30, v32
	s_delay_alu instid0(VALU_DEP_2) | instskip(NEXT) | instid1(VALU_DEP_1)
	v_sub_f32_e32 v34, v34, v37
	v_add_f32_e32 v13, v13, v34
	s_delay_alu instid0(VALU_DEP_1) | instskip(NEXT) | instid1(VALU_DEP_1)
	v_add_f32_e32 v13, v30, v13
	v_add_f32_e32 v30, v38, v13
	s_delay_alu instid0(VALU_DEP_1) | instskip(NEXT) | instid1(VALU_DEP_1)
	v_mul_f32_e32 v32, v29, v30
	v_dual_sub_f32 v37, v38, v30 :: v_dual_mul_f32 v34, v33, v32
	s_delay_alu instid0(VALU_DEP_1) | instskip(NEXT) | instid1(VALU_DEP_2)
	v_add_f32_e32 v13, v13, v37
	v_fma_f32 v33, v32, v33, -v34
	s_delay_alu instid0(VALU_DEP_1) | instskip(NEXT) | instid1(VALU_DEP_1)
	v_fmac_f32_e32 v33, v32, v31
	v_add_f32_e32 v31, v34, v33
	s_delay_alu instid0(VALU_DEP_1) | instskip(SKIP_1) | instid1(VALU_DEP_2)
	v_sub_f32_e32 v36, v30, v31
	v_sub_f32_e32 v34, v31, v34
	;; [unrolled: 1-line block ×3, first 2 shown]
	s_delay_alu instid0(VALU_DEP_1) | instskip(NEXT) | instid1(VALU_DEP_3)
	v_sub_f32_e32 v30, v30, v31
	v_sub_f32_e32 v31, v34, v33
	s_delay_alu instid0(VALU_DEP_2) | instskip(NEXT) | instid1(VALU_DEP_1)
	v_dual_add_f32 v13, v13, v30 :: v_dual_add_f32 v30, v35, v32
	v_add_f32_e32 v13, v31, v13
	s_delay_alu instid0(VALU_DEP_2) | instskip(NEXT) | instid1(VALU_DEP_2)
	v_sub_f32_e32 v31, v30, v35
	v_add_f32_e32 v13, v36, v13
	s_delay_alu instid0(VALU_DEP_2) | instskip(NEXT) | instid1(VALU_DEP_2)
	v_sub_f32_e32 v31, v32, v31
	v_mul_f32_e32 v13, v29, v13
	s_delay_alu instid0(VALU_DEP_1) | instskip(NEXT) | instid1(VALU_DEP_1)
	v_add_f32_e32 v13, v31, v13
	v_add_f32_e32 v29, v30, v13
	s_delay_alu instid0(VALU_DEP_1) | instskip(NEXT) | instid1(VALU_DEP_1)
	v_mul_f32_e32 v31, v29, v29
	v_fmaak_f32 v32, s0, v31, 0x3ecc95a3
	v_mul_f32_e32 v33, v29, v31
	v_cmp_eq_f32_e64 s0, 0x7f800000, v5
	s_delay_alu instid0(VALU_DEP_3) | instskip(SKIP_2) | instid1(VALU_DEP_4)
	v_fmaak_f32 v31, v31, v32, 0x3f2aaada
	v_ldexp_f32 v32, v29, 1
	v_sub_f32_e32 v29, v29, v30
	s_or_b32 s0, s0, s23
	s_delay_alu instid0(VALU_DEP_3) | instskip(SKIP_1) | instid1(VALU_DEP_2)
	v_mul_f32_e32 v31, v33, v31
	v_mul_f32_e32 v33, 0x3f317218, v27
	v_dual_sub_f32 v13, v13, v29 :: v_dual_add_f32 v30, v32, v31
	s_delay_alu instid0(VALU_DEP_1) | instskip(NEXT) | instid1(VALU_DEP_2)
	v_ldexp_f32 v13, v13, 1
	v_sub_f32_e32 v29, v30, v32
	s_delay_alu instid0(VALU_DEP_4) | instskip(NEXT) | instid1(VALU_DEP_2)
	v_fma_f32 v32, 0x3f317218, v27, -v33
	v_sub_f32_e32 v29, v31, v29
	s_delay_alu instid0(VALU_DEP_2) | instskip(NEXT) | instid1(VALU_DEP_2)
	v_fmamk_f32 v27, v27, 0xb102e308, v32
	v_add_f32_e32 v13, v13, v29
	s_delay_alu instid0(VALU_DEP_2) | instskip(NEXT) | instid1(VALU_DEP_2)
	v_add_f32_e32 v29, v33, v27
	v_add_f32_e32 v31, v30, v13
	s_delay_alu instid0(VALU_DEP_2) | instskip(NEXT) | instid1(VALU_DEP_2)
	v_sub_f32_e32 v33, v29, v33
	v_add_f32_e32 v32, v29, v31
	v_sub_f32_e32 v30, v31, v30
	s_delay_alu instid0(VALU_DEP_3) | instskip(NEXT) | instid1(VALU_DEP_2)
	v_sub_f32_e32 v27, v27, v33
	v_dual_sub_f32 v34, v32, v29 :: v_dual_sub_f32 v13, v13, v30
	s_delay_alu instid0(VALU_DEP_1) | instskip(SKIP_1) | instid1(VALU_DEP_3)
	v_sub_f32_e32 v35, v32, v34
	v_sub_f32_e32 v30, v31, v34
	v_add_f32_e32 v31, v27, v13
	s_delay_alu instid0(VALU_DEP_3) | instskip(NEXT) | instid1(VALU_DEP_1)
	v_sub_f32_e32 v29, v29, v35
	v_dual_add_f32 v29, v30, v29 :: v_dual_sub_f32 v30, v31, v27
	s_delay_alu instid0(VALU_DEP_1) | instskip(NEXT) | instid1(VALU_DEP_2)
	v_add_f32_e32 v29, v31, v29
	v_sub_f32_e32 v31, v31, v30
	v_sub_f32_e32 v13, v13, v30
	s_delay_alu instid0(VALU_DEP_3) | instskip(NEXT) | instid1(VALU_DEP_1)
	v_add_f32_e32 v33, v32, v29
	v_dual_sub_f32 v27, v27, v31 :: v_dual_sub_f32 v30, v33, v32
	s_delay_alu instid0(VALU_DEP_1) | instskip(NEXT) | instid1(VALU_DEP_2)
	v_add_f32_e32 v13, v13, v27
	v_sub_f32_e32 v27, v29, v30
	s_delay_alu instid0(VALU_DEP_1) | instskip(NEXT) | instid1(VALU_DEP_1)
	v_add_f32_e32 v13, v13, v27
	v_add_f32_e32 v13, v33, v13
	s_delay_alu instid0(VALU_DEP_1) | instskip(NEXT) | instid1(VALU_DEP_1)
	v_cndmask_b32_e64 v5, v13, v5, s0
	v_add_f32_e32 v5, v26, v5
	s_delay_alu instid0(VALU_DEP_1) | instskip(NEXT) | instid1(VALU_DEP_1)
	v_cvt_f16_f32_e32 v30, v5
	v_cvt_f32_f16_e32 v13, v30
	v_mov_b32_e32 v5, v30
.LBB400_162:
	s_or_b32 exec_lo, exec_lo, s1
	v_max_f32_e32 v26, v25, v25
	s_delay_alu instid0(VALU_DEP_3) | instskip(SKIP_1) | instid1(VALU_DEP_2)
	v_max_f32_e32 v27, v13, v13
	v_cmp_u_f16_e64 s0, v30, v30
	v_min_f32_e32 v29, v27, v26
	v_max_f32_e32 v26, v27, v26
	s_delay_alu instid0(VALU_DEP_2) | instskip(NEXT) | instid1(VALU_DEP_2)
	v_cndmask_b32_e64 v27, v29, v13, s0
	v_cndmask_b32_e64 v13, v26, v13, s0
	s_delay_alu instid0(VALU_DEP_2) | instskip(NEXT) | instid1(VALU_DEP_2)
	v_cndmask_b32_e64 v26, v27, v25, s44
	v_cndmask_b32_e64 v13, v13, v25, s44
	v_mov_b32_e32 v25, v5
	s_delay_alu instid0(VALU_DEP_3) | instskip(NEXT) | instid1(VALU_DEP_3)
	v_cmp_class_f32_e64 s1, v26, 0x1f8
	v_cmp_neq_f32_e64 s0, v26, v13
	s_delay_alu instid0(VALU_DEP_1) | instskip(NEXT) | instid1(SALU_CYCLE_1)
	s_or_b32 s0, s0, s1
	s_and_saveexec_b32 s1, s0
	s_cbranch_execz .LBB400_164
; %bb.163:
	v_sub_f32_e32 v25, v26, v13
	s_delay_alu instid0(VALU_DEP_1) | instskip(SKIP_1) | instid1(VALU_DEP_2)
	v_mul_f32_e32 v26, 0x3fb8aa3b, v25
	v_cmp_ngt_f32_e64 s0, 0xc2ce8ed0, v25
	v_fma_f32 v27, 0x3fb8aa3b, v25, -v26
	v_rndne_f32_e32 v29, v26
	s_delay_alu instid0(VALU_DEP_1) | instskip(NEXT) | instid1(VALU_DEP_1)
	v_dual_fmamk_f32 v27, v25, 0x32a5705f, v27 :: v_dual_sub_f32 v26, v26, v29
	v_add_f32_e32 v26, v26, v27
	v_cvt_i32_f32_e32 v27, v29
	s_delay_alu instid0(VALU_DEP_2) | instskip(SKIP_2) | instid1(VALU_DEP_1)
	v_exp_f32_e32 v26, v26
	s_waitcnt_depctr 0xfff
	v_ldexp_f32 v26, v26, v27
	v_cndmask_b32_e64 v26, 0, v26, s0
	v_cmp_nlt_f32_e64 s0, 0x42b17218, v25
	s_delay_alu instid0(VALU_DEP_1) | instskip(NEXT) | instid1(VALU_DEP_1)
	v_cndmask_b32_e64 v27, 0x7f800000, v26, s0
	v_add_f32_e32 v29, 1.0, v27
	v_cmp_gt_f32_e64 s23, 0x33800000, |v27|
	s_delay_alu instid0(VALU_DEP_2) | instskip(NEXT) | instid1(VALU_DEP_1)
	v_cvt_f64_f32_e32 v[25:26], v29
	v_frexp_exp_i32_f64_e32 v25, v[25:26]
	v_frexp_mant_f32_e32 v26, v29
	s_delay_alu instid0(VALU_DEP_1) | instskip(SKIP_1) | instid1(VALU_DEP_1)
	v_cmp_gt_f32_e64 s0, 0x3f2aaaab, v26
	v_add_f32_e32 v26, -1.0, v29
	v_sub_f32_e32 v31, v26, v29
	s_delay_alu instid0(VALU_DEP_1) | instskip(NEXT) | instid1(VALU_DEP_1)
	v_dual_add_f32 v31, 1.0, v31 :: v_dual_sub_f32 v26, v27, v26
	v_add_f32_e32 v26, v26, v31
	v_subrev_co_ci_u32_e64 v25, s0, 0, v25, s0
	s_mov_b32 s0, 0x3e9b6dac
	s_delay_alu instid0(VALU_DEP_1) | instskip(SKIP_1) | instid1(VALU_DEP_2)
	v_sub_nc_u32_e32 v30, 0, v25
	v_cvt_f32_i32_e32 v25, v25
	v_ldexp_f32 v29, v29, v30
	v_ldexp_f32 v26, v26, v30
	s_delay_alu instid0(VALU_DEP_2) | instskip(NEXT) | instid1(VALU_DEP_1)
	v_add_f32_e32 v32, 1.0, v29
	v_add_f32_e32 v31, -1.0, v32
	s_delay_alu instid0(VALU_DEP_1) | instskip(NEXT) | instid1(VALU_DEP_1)
	v_dual_sub_f32 v31, v29, v31 :: v_dual_add_f32 v30, -1.0, v29
	v_add_f32_e32 v31, v26, v31
	s_delay_alu instid0(VALU_DEP_2) | instskip(NEXT) | instid1(VALU_DEP_1)
	v_add_f32_e32 v33, 1.0, v30
	v_sub_f32_e32 v29, v29, v33
	s_delay_alu instid0(VALU_DEP_1) | instskip(NEXT) | instid1(VALU_DEP_1)
	v_dual_add_f32 v33, v32, v31 :: v_dual_add_f32 v26, v26, v29
	v_rcp_f32_e32 v29, v33
	v_sub_f32_e32 v32, v32, v33
	s_delay_alu instid0(VALU_DEP_1) | instskip(NEXT) | instid1(VALU_DEP_1)
	v_dual_add_f32 v34, v30, v26 :: v_dual_add_f32 v31, v31, v32
	v_sub_f32_e32 v30, v30, v34
	s_waitcnt_depctr 0xfff
	v_mul_f32_e32 v35, v34, v29
	v_add_f32_e32 v26, v26, v30
	s_delay_alu instid0(VALU_DEP_2) | instskip(NEXT) | instid1(VALU_DEP_1)
	v_mul_f32_e32 v36, v33, v35
	v_fma_f32 v32, v35, v33, -v36
	s_delay_alu instid0(VALU_DEP_1) | instskip(NEXT) | instid1(VALU_DEP_1)
	v_fmac_f32_e32 v32, v35, v31
	v_add_f32_e32 v37, v36, v32
	s_delay_alu instid0(VALU_DEP_1) | instskip(SKIP_1) | instid1(VALU_DEP_2)
	v_sub_f32_e32 v38, v34, v37
	v_sub_f32_e32 v30, v37, v36
	;; [unrolled: 1-line block ×3, first 2 shown]
	s_delay_alu instid0(VALU_DEP_2) | instskip(NEXT) | instid1(VALU_DEP_2)
	v_sub_f32_e32 v30, v30, v32
	v_sub_f32_e32 v34, v34, v37
	s_delay_alu instid0(VALU_DEP_1) | instskip(NEXT) | instid1(VALU_DEP_1)
	v_add_f32_e32 v26, v26, v34
	v_add_f32_e32 v26, v30, v26
	s_delay_alu instid0(VALU_DEP_1) | instskip(NEXT) | instid1(VALU_DEP_1)
	v_add_f32_e32 v30, v38, v26
	v_mul_f32_e32 v32, v29, v30
	s_delay_alu instid0(VALU_DEP_1) | instskip(NEXT) | instid1(VALU_DEP_1)
	v_dual_sub_f32 v37, v38, v30 :: v_dual_mul_f32 v34, v33, v32
	v_add_f32_e32 v26, v26, v37
	s_delay_alu instid0(VALU_DEP_2) | instskip(NEXT) | instid1(VALU_DEP_1)
	v_fma_f32 v33, v32, v33, -v34
	v_fmac_f32_e32 v33, v32, v31
	s_delay_alu instid0(VALU_DEP_1) | instskip(NEXT) | instid1(VALU_DEP_1)
	v_add_f32_e32 v31, v34, v33
	v_sub_f32_e32 v36, v30, v31
	v_sub_f32_e32 v34, v31, v34
	s_delay_alu instid0(VALU_DEP_2) | instskip(NEXT) | instid1(VALU_DEP_1)
	v_sub_f32_e32 v30, v30, v36
	v_sub_f32_e32 v30, v30, v31
	s_delay_alu instid0(VALU_DEP_3) | instskip(NEXT) | instid1(VALU_DEP_2)
	v_sub_f32_e32 v31, v34, v33
	v_add_f32_e32 v26, v26, v30
	v_add_f32_e32 v30, v35, v32
	s_delay_alu instid0(VALU_DEP_1) | instskip(NEXT) | instid1(VALU_DEP_1)
	v_dual_add_f32 v26, v31, v26 :: v_dual_sub_f32 v31, v30, v35
	v_add_f32_e32 v26, v36, v26
	s_delay_alu instid0(VALU_DEP_1) | instskip(NEXT) | instid1(VALU_DEP_1)
	v_dual_sub_f32 v31, v32, v31 :: v_dual_mul_f32 v26, v29, v26
	v_add_f32_e32 v26, v31, v26
	s_delay_alu instid0(VALU_DEP_1) | instskip(NEXT) | instid1(VALU_DEP_1)
	v_add_f32_e32 v29, v30, v26
	v_mul_f32_e32 v31, v29, v29
	s_delay_alu instid0(VALU_DEP_1) | instskip(SKIP_2) | instid1(VALU_DEP_3)
	v_fmaak_f32 v32, s0, v31, 0x3ecc95a3
	v_mul_f32_e32 v33, v29, v31
	v_cmp_eq_f32_e64 s0, 0x7f800000, v27
	v_fmaak_f32 v31, v31, v32, 0x3f2aaada
	v_ldexp_f32 v32, v29, 1
	v_sub_f32_e32 v29, v29, v30
	s_delay_alu instid0(VALU_DEP_4) | instskip(NEXT) | instid1(VALU_DEP_3)
	s_or_b32 s0, s0, s23
	v_mul_f32_e32 v31, v33, v31
	v_mul_f32_e32 v33, 0x3f317218, v25
	s_delay_alu instid0(VALU_DEP_3) | instskip(NEXT) | instid1(VALU_DEP_3)
	v_sub_f32_e32 v26, v26, v29
	v_add_f32_e32 v30, v32, v31
	s_delay_alu instid0(VALU_DEP_2) | instskip(NEXT) | instid1(VALU_DEP_2)
	v_ldexp_f32 v26, v26, 1
	v_sub_f32_e32 v29, v30, v32
	v_fma_f32 v32, 0x3f317218, v25, -v33
	s_delay_alu instid0(VALU_DEP_2) | instskip(NEXT) | instid1(VALU_DEP_1)
	v_sub_f32_e32 v29, v31, v29
	v_dual_fmamk_f32 v25, v25, 0xb102e308, v32 :: v_dual_add_f32 v26, v26, v29
	s_delay_alu instid0(VALU_DEP_1) | instskip(NEXT) | instid1(VALU_DEP_2)
	v_add_f32_e32 v29, v33, v25
	v_add_f32_e32 v31, v30, v26
	s_delay_alu instid0(VALU_DEP_2) | instskip(NEXT) | instid1(VALU_DEP_2)
	v_sub_f32_e32 v33, v29, v33
	v_add_f32_e32 v32, v29, v31
	s_delay_alu instid0(VALU_DEP_2) | instskip(NEXT) | instid1(VALU_DEP_2)
	v_sub_f32_e32 v25, v25, v33
	v_sub_f32_e32 v34, v32, v29
	;; [unrolled: 1-line block ×3, first 2 shown]
	s_delay_alu instid0(VALU_DEP_2) | instskip(NEXT) | instid1(VALU_DEP_2)
	v_sub_f32_e32 v35, v32, v34
	v_sub_f32_e32 v26, v26, v30
	s_delay_alu instid0(VALU_DEP_2) | instskip(NEXT) | instid1(VALU_DEP_2)
	v_dual_sub_f32 v30, v31, v34 :: v_dual_sub_f32 v29, v29, v35
	v_add_f32_e32 v31, v25, v26
	s_delay_alu instid0(VALU_DEP_2) | instskip(NEXT) | instid1(VALU_DEP_2)
	v_add_f32_e32 v29, v30, v29
	v_sub_f32_e32 v30, v31, v25
	s_delay_alu instid0(VALU_DEP_2) | instskip(NEXT) | instid1(VALU_DEP_2)
	v_add_f32_e32 v29, v31, v29
	v_sub_f32_e32 v31, v31, v30
	s_delay_alu instid0(VALU_DEP_2) | instskip(NEXT) | instid1(VALU_DEP_2)
	v_dual_sub_f32 v26, v26, v30 :: v_dual_add_f32 v33, v32, v29
	v_sub_f32_e32 v25, v25, v31
	s_delay_alu instid0(VALU_DEP_1) | instskip(NEXT) | instid1(VALU_DEP_1)
	v_dual_sub_f32 v30, v33, v32 :: v_dual_add_f32 v25, v26, v25
	v_sub_f32_e32 v26, v29, v30
	s_delay_alu instid0(VALU_DEP_1) | instskip(NEXT) | instid1(VALU_DEP_1)
	v_add_f32_e32 v25, v25, v26
	v_add_f32_e32 v25, v33, v25
	s_delay_alu instid0(VALU_DEP_1) | instskip(NEXT) | instid1(VALU_DEP_1)
	v_cndmask_b32_e64 v25, v25, v27, s0
	v_add_f32_e32 v13, v13, v25
	s_delay_alu instid0(VALU_DEP_1)
	v_cvt_f16_f32_e32 v25, v13
.LBB400_164:
	s_or_b32 exec_lo, exec_lo, s1
	v_add_nc_u32_e32 v13, v12, v28
	v_perm_b32 v15, v16, v15, 0x5040100
	v_perm_b32 v2, v14, v2, 0x5040100
	;; [unrolled: 1-line block ×11, first 2 shown]
	s_barrier
	buffer_gl0_inv
	ds_store_2addr_b32 v13, v2, v15 offset1:1
	ds_store_2addr_b32 v13, v3, v10 offset0:2 offset1:3
	ds_store_2addr_b32 v13, v11, v8 offset0:4 offset1:5
	;; [unrolled: 1-line block ×4, first 2 shown]
	ds_store_b32 v13, v5 offset:40
	s_waitcnt lgkmcnt(0)
	s_barrier
	buffer_gl0_inv
	ds_load_u16 v23, v12 offset:128
	ds_load_u16 v22, v12 offset:256
	;; [unrolled: 1-line block ×21, first 2 shown]
	v_lshlrev_b64 v[0:1], 1, v[0:1]
	s_delay_alu instid0(VALU_DEP_1) | instskip(NEXT) | instid1(VALU_DEP_1)
	v_add_co_u32 v0, s0, s46, v0
	v_add_co_ci_u32_e64 v1, s0, s47, v1, s0
	s_and_saveexec_b32 s0, vcc_lo
	s_cbranch_execnz .LBB400_187
; %bb.165:
	s_or_b32 exec_lo, exec_lo, s0
	s_and_saveexec_b32 s0, s2
	s_cbranch_execnz .LBB400_188
.LBB400_166:
	s_or_b32 exec_lo, exec_lo, s0
	s_and_saveexec_b32 s0, s3
	s_cbranch_execnz .LBB400_189
.LBB400_167:
	s_or_b32 exec_lo, exec_lo, s0
	s_and_saveexec_b32 s0, s4
	s_cbranch_execnz .LBB400_190
.LBB400_168:
	s_or_b32 exec_lo, exec_lo, s0
	s_and_saveexec_b32 s0, s5
	s_cbranch_execnz .LBB400_191
.LBB400_169:
	s_or_b32 exec_lo, exec_lo, s0
	s_and_saveexec_b32 s0, s6
	s_cbranch_execnz .LBB400_192
.LBB400_170:
	s_or_b32 exec_lo, exec_lo, s0
	s_and_saveexec_b32 s0, s7
	s_cbranch_execnz .LBB400_193
.LBB400_171:
	s_or_b32 exec_lo, exec_lo, s0
	s_and_saveexec_b32 s0, s8
	s_cbranch_execnz .LBB400_194
.LBB400_172:
	s_or_b32 exec_lo, exec_lo, s0
	s_and_saveexec_b32 s0, s9
	s_cbranch_execnz .LBB400_195
.LBB400_173:
	s_or_b32 exec_lo, exec_lo, s0
	s_and_saveexec_b32 s0, s10
	s_cbranch_execnz .LBB400_196
.LBB400_174:
	s_or_b32 exec_lo, exec_lo, s0
	s_and_saveexec_b32 s0, s11
	s_cbranch_execnz .LBB400_197
.LBB400_175:
	s_or_b32 exec_lo, exec_lo, s0
	s_and_saveexec_b32 s0, s12
	s_cbranch_execnz .LBB400_198
.LBB400_176:
	s_or_b32 exec_lo, exec_lo, s0
	s_and_saveexec_b32 s0, s13
	s_cbranch_execnz .LBB400_199
.LBB400_177:
	s_or_b32 exec_lo, exec_lo, s0
	s_and_saveexec_b32 s0, s14
	s_cbranch_execnz .LBB400_200
.LBB400_178:
	s_or_b32 exec_lo, exec_lo, s0
	s_and_saveexec_b32 s0, s15
	s_cbranch_execnz .LBB400_201
.LBB400_179:
	s_or_b32 exec_lo, exec_lo, s0
	s_and_saveexec_b32 s0, s16
	s_cbranch_execnz .LBB400_202
.LBB400_180:
	s_or_b32 exec_lo, exec_lo, s0
	s_and_saveexec_b32 s0, s17
	s_cbranch_execnz .LBB400_203
.LBB400_181:
	s_or_b32 exec_lo, exec_lo, s0
	s_and_saveexec_b32 s0, s18
	s_cbranch_execnz .LBB400_204
.LBB400_182:
	s_or_b32 exec_lo, exec_lo, s0
	s_and_saveexec_b32 s0, s19
	s_cbranch_execnz .LBB400_205
.LBB400_183:
	s_or_b32 exec_lo, exec_lo, s0
	s_and_saveexec_b32 s0, s20
	s_cbranch_execnz .LBB400_206
.LBB400_184:
	s_or_b32 exec_lo, exec_lo, s0
	s_and_saveexec_b32 s0, s21
	s_cbranch_execnz .LBB400_207
.LBB400_185:
	s_or_b32 exec_lo, exec_lo, s0
	s_and_saveexec_b32 s0, s22
	s_cbranch_execnz .LBB400_208
.LBB400_186:
	s_nop 0
	s_sendmsg sendmsg(MSG_DEALLOC_VGPRS)
	s_endpgm
.LBB400_187:
	ds_load_u16 v12, v12
	s_waitcnt lgkmcnt(0)
	global_store_b16 v[0:1], v12, off
	s_or_b32 exec_lo, exec_lo, s0
	s_and_saveexec_b32 s0, s2
	s_cbranch_execz .LBB400_166
.LBB400_188:
	s_waitcnt lgkmcnt(20)
	global_store_b16 v[0:1], v23, off offset:128
	s_or_b32 exec_lo, exec_lo, s0
	s_and_saveexec_b32 s0, s3
	s_cbranch_execz .LBB400_167
.LBB400_189:
	s_waitcnt lgkmcnt(19)
	global_store_b16 v[0:1], v22, off offset:256
	s_or_b32 exec_lo, exec_lo, s0
	s_and_saveexec_b32 s0, s4
	s_cbranch_execz .LBB400_168
.LBB400_190:
	s_waitcnt lgkmcnt(18)
	global_store_b16 v[0:1], v21, off offset:384
	s_or_b32 exec_lo, exec_lo, s0
	s_and_saveexec_b32 s0, s5
	s_cbranch_execz .LBB400_169
.LBB400_191:
	s_waitcnt lgkmcnt(17)
	global_store_b16 v[0:1], v20, off offset:512
	s_or_b32 exec_lo, exec_lo, s0
	s_and_saveexec_b32 s0, s6
	s_cbranch_execz .LBB400_170
.LBB400_192:
	s_waitcnt lgkmcnt(16)
	global_store_b16 v[0:1], v19, off offset:640
	s_or_b32 exec_lo, exec_lo, s0
	s_and_saveexec_b32 s0, s7
	s_cbranch_execz .LBB400_171
.LBB400_193:
	s_waitcnt lgkmcnt(15)
	global_store_b16 v[0:1], v18, off offset:768
	s_or_b32 exec_lo, exec_lo, s0
	s_and_saveexec_b32 s0, s8
	s_cbranch_execz .LBB400_172
.LBB400_194:
	s_waitcnt lgkmcnt(14)
	global_store_b16 v[0:1], v17, off offset:896
	s_or_b32 exec_lo, exec_lo, s0
	s_and_saveexec_b32 s0, s9
	s_cbranch_execz .LBB400_173
.LBB400_195:
	s_waitcnt lgkmcnt(13)
	global_store_b16 v[0:1], v16, off offset:1024
	s_or_b32 exec_lo, exec_lo, s0
	s_and_saveexec_b32 s0, s10
	s_cbranch_execz .LBB400_174
.LBB400_196:
	s_waitcnt lgkmcnt(12)
	global_store_b16 v[0:1], v15, off offset:1152
	s_or_b32 exec_lo, exec_lo, s0
	s_and_saveexec_b32 s0, s11
	s_cbranch_execz .LBB400_175
.LBB400_197:
	s_waitcnt lgkmcnt(11)
	global_store_b16 v[0:1], v14, off offset:1280
	s_or_b32 exec_lo, exec_lo, s0
	s_and_saveexec_b32 s0, s12
	s_cbranch_execz .LBB400_176
.LBB400_198:
	s_waitcnt lgkmcnt(10)
	global_store_b16 v[0:1], v13, off offset:1408
	s_or_b32 exec_lo, exec_lo, s0
	s_and_saveexec_b32 s0, s13
	s_cbranch_execz .LBB400_177
.LBB400_199:
	s_waitcnt lgkmcnt(9)
	global_store_b16 v[0:1], v11, off offset:1536
	s_or_b32 exec_lo, exec_lo, s0
	s_and_saveexec_b32 s0, s14
	s_cbranch_execz .LBB400_178
.LBB400_200:
	s_waitcnt lgkmcnt(8)
	global_store_b16 v[0:1], v10, off offset:1664
	s_or_b32 exec_lo, exec_lo, s0
	s_and_saveexec_b32 s0, s15
	s_cbranch_execz .LBB400_179
.LBB400_201:
	s_waitcnt lgkmcnt(7)
	global_store_b16 v[0:1], v9, off offset:1792
	s_or_b32 exec_lo, exec_lo, s0
	s_and_saveexec_b32 s0, s16
	s_cbranch_execz .LBB400_180
.LBB400_202:
	s_waitcnt lgkmcnt(6)
	global_store_b16 v[0:1], v8, off offset:1920
	s_or_b32 exec_lo, exec_lo, s0
	s_and_saveexec_b32 s0, s17
	s_cbranch_execz .LBB400_181
.LBB400_203:
	s_waitcnt lgkmcnt(5)
	global_store_b16 v[0:1], v7, off offset:2048
	s_or_b32 exec_lo, exec_lo, s0
	s_and_saveexec_b32 s0, s18
	s_cbranch_execz .LBB400_182
.LBB400_204:
	s_waitcnt lgkmcnt(4)
	global_store_b16 v[0:1], v6, off offset:2176
	s_or_b32 exec_lo, exec_lo, s0
	s_and_saveexec_b32 s0, s19
	s_cbranch_execz .LBB400_183
.LBB400_205:
	s_waitcnt lgkmcnt(3)
	global_store_b16 v[0:1], v5, off offset:2304
	s_or_b32 exec_lo, exec_lo, s0
	s_and_saveexec_b32 s0, s20
	s_cbranch_execz .LBB400_184
.LBB400_206:
	s_waitcnt lgkmcnt(2)
	global_store_b16 v[0:1], v4, off offset:2432
	s_or_b32 exec_lo, exec_lo, s0
	s_and_saveexec_b32 s0, s21
	s_cbranch_execz .LBB400_185
.LBB400_207:
	s_waitcnt lgkmcnt(1)
	global_store_b16 v[0:1], v3, off offset:2560
	s_or_b32 exec_lo, exec_lo, s0
	s_and_saveexec_b32 s0, s22
	s_cbranch_execz .LBB400_186
.LBB400_208:
	s_waitcnt lgkmcnt(0)
	global_store_b16 v[0:1], v2, off offset:2688
	s_nop 0
	s_sendmsg sendmsg(MSG_DEALLOC_VGPRS)
	s_endpgm
	.section	.rodata,"a",@progbits
	.p2align	6, 0x0
	.amdhsa_kernel _ZN7rocprim17ROCPRIM_400000_NS6detail17trampoline_kernelINS0_14default_configENS1_20scan_config_selectorIN3c104HalfEEEZZNS1_9scan_implILNS1_25lookback_scan_determinismE0ELb0ELb0ES3_PKS6_PS6_S6_ZZZN2at6native31launch_logcumsumexp_cuda_kernelERKNSD_10TensorBaseESH_lENKUlvE_clEvENKUlvE3_clEvEUlS6_S6_E_S6_EEDaPvRmT3_T4_T5_mT6_P12ihipStream_tbENKUlT_T0_E_clISt17integral_constantIbLb1EESY_EEDaST_SU_EUlST_E0_NS1_11comp_targetILNS1_3genE9ELNS1_11target_archE1100ELNS1_3gpuE3ELNS1_3repE0EEENS1_30default_config_static_selectorELNS0_4arch9wavefront6targetE0EEEvT1_
		.amdhsa_group_segment_fixed_size 2816
		.amdhsa_private_segment_fixed_size 0
		.amdhsa_kernarg_size 32
		.amdhsa_user_sgpr_count 15
		.amdhsa_user_sgpr_dispatch_ptr 0
		.amdhsa_user_sgpr_queue_ptr 0
		.amdhsa_user_sgpr_kernarg_segment_ptr 1
		.amdhsa_user_sgpr_dispatch_id 0
		.amdhsa_user_sgpr_private_segment_size 0
		.amdhsa_wavefront_size32 1
		.amdhsa_uses_dynamic_stack 0
		.amdhsa_enable_private_segment 0
		.amdhsa_system_sgpr_workgroup_id_x 1
		.amdhsa_system_sgpr_workgroup_id_y 0
		.amdhsa_system_sgpr_workgroup_id_z 0
		.amdhsa_system_sgpr_workgroup_info 0
		.amdhsa_system_vgpr_workitem_id 0
		.amdhsa_next_free_vgpr 47
		.amdhsa_next_free_sgpr 52
		.amdhsa_reserve_vcc 1
		.amdhsa_float_round_mode_32 0
		.amdhsa_float_round_mode_16_64 0
		.amdhsa_float_denorm_mode_32 3
		.amdhsa_float_denorm_mode_16_64 3
		.amdhsa_dx10_clamp 1
		.amdhsa_ieee_mode 1
		.amdhsa_fp16_overflow 0
		.amdhsa_workgroup_processor_mode 1
		.amdhsa_memory_ordered 1
		.amdhsa_forward_progress 0
		.amdhsa_shared_vgpr_count 0
		.amdhsa_exception_fp_ieee_invalid_op 0
		.amdhsa_exception_fp_denorm_src 0
		.amdhsa_exception_fp_ieee_div_zero 0
		.amdhsa_exception_fp_ieee_overflow 0
		.amdhsa_exception_fp_ieee_underflow 0
		.amdhsa_exception_fp_ieee_inexact 0
		.amdhsa_exception_int_div_zero 0
	.end_amdhsa_kernel
	.section	.text._ZN7rocprim17ROCPRIM_400000_NS6detail17trampoline_kernelINS0_14default_configENS1_20scan_config_selectorIN3c104HalfEEEZZNS1_9scan_implILNS1_25lookback_scan_determinismE0ELb0ELb0ES3_PKS6_PS6_S6_ZZZN2at6native31launch_logcumsumexp_cuda_kernelERKNSD_10TensorBaseESH_lENKUlvE_clEvENKUlvE3_clEvEUlS6_S6_E_S6_EEDaPvRmT3_T4_T5_mT6_P12ihipStream_tbENKUlT_T0_E_clISt17integral_constantIbLb1EESY_EEDaST_SU_EUlST_E0_NS1_11comp_targetILNS1_3genE9ELNS1_11target_archE1100ELNS1_3gpuE3ELNS1_3repE0EEENS1_30default_config_static_selectorELNS0_4arch9wavefront6targetE0EEEvT1_,"axG",@progbits,_ZN7rocprim17ROCPRIM_400000_NS6detail17trampoline_kernelINS0_14default_configENS1_20scan_config_selectorIN3c104HalfEEEZZNS1_9scan_implILNS1_25lookback_scan_determinismE0ELb0ELb0ES3_PKS6_PS6_S6_ZZZN2at6native31launch_logcumsumexp_cuda_kernelERKNSD_10TensorBaseESH_lENKUlvE_clEvENKUlvE3_clEvEUlS6_S6_E_S6_EEDaPvRmT3_T4_T5_mT6_P12ihipStream_tbENKUlT_T0_E_clISt17integral_constantIbLb1EESY_EEDaST_SU_EUlST_E0_NS1_11comp_targetILNS1_3genE9ELNS1_11target_archE1100ELNS1_3gpuE3ELNS1_3repE0EEENS1_30default_config_static_selectorELNS0_4arch9wavefront6targetE0EEEvT1_,comdat
.Lfunc_end400:
	.size	_ZN7rocprim17ROCPRIM_400000_NS6detail17trampoline_kernelINS0_14default_configENS1_20scan_config_selectorIN3c104HalfEEEZZNS1_9scan_implILNS1_25lookback_scan_determinismE0ELb0ELb0ES3_PKS6_PS6_S6_ZZZN2at6native31launch_logcumsumexp_cuda_kernelERKNSD_10TensorBaseESH_lENKUlvE_clEvENKUlvE3_clEvEUlS6_S6_E_S6_EEDaPvRmT3_T4_T5_mT6_P12ihipStream_tbENKUlT_T0_E_clISt17integral_constantIbLb1EESY_EEDaST_SU_EUlST_E0_NS1_11comp_targetILNS1_3genE9ELNS1_11target_archE1100ELNS1_3gpuE3ELNS1_3repE0EEENS1_30default_config_static_selectorELNS0_4arch9wavefront6targetE0EEEvT1_, .Lfunc_end400-_ZN7rocprim17ROCPRIM_400000_NS6detail17trampoline_kernelINS0_14default_configENS1_20scan_config_selectorIN3c104HalfEEEZZNS1_9scan_implILNS1_25lookback_scan_determinismE0ELb0ELb0ES3_PKS6_PS6_S6_ZZZN2at6native31launch_logcumsumexp_cuda_kernelERKNSD_10TensorBaseESH_lENKUlvE_clEvENKUlvE3_clEvEUlS6_S6_E_S6_EEDaPvRmT3_T4_T5_mT6_P12ihipStream_tbENKUlT_T0_E_clISt17integral_constantIbLb1EESY_EEDaST_SU_EUlST_E0_NS1_11comp_targetILNS1_3genE9ELNS1_11target_archE1100ELNS1_3gpuE3ELNS1_3repE0EEENS1_30default_config_static_selectorELNS0_4arch9wavefront6targetE0EEEvT1_
                                        ; -- End function
	.section	.AMDGPU.csdata,"",@progbits
; Kernel info:
; codeLenInByte = 51208
; NumSgprs: 54
; NumVgprs: 47
; ScratchSize: 0
; MemoryBound: 0
; FloatMode: 240
; IeeeMode: 1
; LDSByteSize: 2816 bytes/workgroup (compile time only)
; SGPRBlocks: 6
; VGPRBlocks: 5
; NumSGPRsForWavesPerEU: 54
; NumVGPRsForWavesPerEU: 47
; Occupancy: 16
; WaveLimiterHint : 0
; COMPUTE_PGM_RSRC2:SCRATCH_EN: 0
; COMPUTE_PGM_RSRC2:USER_SGPR: 15
; COMPUTE_PGM_RSRC2:TRAP_HANDLER: 0
; COMPUTE_PGM_RSRC2:TGID_X_EN: 1
; COMPUTE_PGM_RSRC2:TGID_Y_EN: 0
; COMPUTE_PGM_RSRC2:TGID_Z_EN: 0
; COMPUTE_PGM_RSRC2:TIDIG_COMP_CNT: 0
	.section	.text._ZN7rocprim17ROCPRIM_400000_NS6detail17trampoline_kernelINS0_14default_configENS1_20scan_config_selectorIN3c104HalfEEEZZNS1_9scan_implILNS1_25lookback_scan_determinismE0ELb0ELb0ES3_PKS6_PS6_S6_ZZZN2at6native31launch_logcumsumexp_cuda_kernelERKNSD_10TensorBaseESH_lENKUlvE_clEvENKUlvE3_clEvEUlS6_S6_E_S6_EEDaPvRmT3_T4_T5_mT6_P12ihipStream_tbENKUlT_T0_E_clISt17integral_constantIbLb1EESY_EEDaST_SU_EUlST_E0_NS1_11comp_targetILNS1_3genE8ELNS1_11target_archE1030ELNS1_3gpuE2ELNS1_3repE0EEENS1_30default_config_static_selectorELNS0_4arch9wavefront6targetE0EEEvT1_,"axG",@progbits,_ZN7rocprim17ROCPRIM_400000_NS6detail17trampoline_kernelINS0_14default_configENS1_20scan_config_selectorIN3c104HalfEEEZZNS1_9scan_implILNS1_25lookback_scan_determinismE0ELb0ELb0ES3_PKS6_PS6_S6_ZZZN2at6native31launch_logcumsumexp_cuda_kernelERKNSD_10TensorBaseESH_lENKUlvE_clEvENKUlvE3_clEvEUlS6_S6_E_S6_EEDaPvRmT3_T4_T5_mT6_P12ihipStream_tbENKUlT_T0_E_clISt17integral_constantIbLb1EESY_EEDaST_SU_EUlST_E0_NS1_11comp_targetILNS1_3genE8ELNS1_11target_archE1030ELNS1_3gpuE2ELNS1_3repE0EEENS1_30default_config_static_selectorELNS0_4arch9wavefront6targetE0EEEvT1_,comdat
	.globl	_ZN7rocprim17ROCPRIM_400000_NS6detail17trampoline_kernelINS0_14default_configENS1_20scan_config_selectorIN3c104HalfEEEZZNS1_9scan_implILNS1_25lookback_scan_determinismE0ELb0ELb0ES3_PKS6_PS6_S6_ZZZN2at6native31launch_logcumsumexp_cuda_kernelERKNSD_10TensorBaseESH_lENKUlvE_clEvENKUlvE3_clEvEUlS6_S6_E_S6_EEDaPvRmT3_T4_T5_mT6_P12ihipStream_tbENKUlT_T0_E_clISt17integral_constantIbLb1EESY_EEDaST_SU_EUlST_E0_NS1_11comp_targetILNS1_3genE8ELNS1_11target_archE1030ELNS1_3gpuE2ELNS1_3repE0EEENS1_30default_config_static_selectorELNS0_4arch9wavefront6targetE0EEEvT1_ ; -- Begin function _ZN7rocprim17ROCPRIM_400000_NS6detail17trampoline_kernelINS0_14default_configENS1_20scan_config_selectorIN3c104HalfEEEZZNS1_9scan_implILNS1_25lookback_scan_determinismE0ELb0ELb0ES3_PKS6_PS6_S6_ZZZN2at6native31launch_logcumsumexp_cuda_kernelERKNSD_10TensorBaseESH_lENKUlvE_clEvENKUlvE3_clEvEUlS6_S6_E_S6_EEDaPvRmT3_T4_T5_mT6_P12ihipStream_tbENKUlT_T0_E_clISt17integral_constantIbLb1EESY_EEDaST_SU_EUlST_E0_NS1_11comp_targetILNS1_3genE8ELNS1_11target_archE1030ELNS1_3gpuE2ELNS1_3repE0EEENS1_30default_config_static_selectorELNS0_4arch9wavefront6targetE0EEEvT1_
	.p2align	8
	.type	_ZN7rocprim17ROCPRIM_400000_NS6detail17trampoline_kernelINS0_14default_configENS1_20scan_config_selectorIN3c104HalfEEEZZNS1_9scan_implILNS1_25lookback_scan_determinismE0ELb0ELb0ES3_PKS6_PS6_S6_ZZZN2at6native31launch_logcumsumexp_cuda_kernelERKNSD_10TensorBaseESH_lENKUlvE_clEvENKUlvE3_clEvEUlS6_S6_E_S6_EEDaPvRmT3_T4_T5_mT6_P12ihipStream_tbENKUlT_T0_E_clISt17integral_constantIbLb1EESY_EEDaST_SU_EUlST_E0_NS1_11comp_targetILNS1_3genE8ELNS1_11target_archE1030ELNS1_3gpuE2ELNS1_3repE0EEENS1_30default_config_static_selectorELNS0_4arch9wavefront6targetE0EEEvT1_,@function
_ZN7rocprim17ROCPRIM_400000_NS6detail17trampoline_kernelINS0_14default_configENS1_20scan_config_selectorIN3c104HalfEEEZZNS1_9scan_implILNS1_25lookback_scan_determinismE0ELb0ELb0ES3_PKS6_PS6_S6_ZZZN2at6native31launch_logcumsumexp_cuda_kernelERKNSD_10TensorBaseESH_lENKUlvE_clEvENKUlvE3_clEvEUlS6_S6_E_S6_EEDaPvRmT3_T4_T5_mT6_P12ihipStream_tbENKUlT_T0_E_clISt17integral_constantIbLb1EESY_EEDaST_SU_EUlST_E0_NS1_11comp_targetILNS1_3genE8ELNS1_11target_archE1030ELNS1_3gpuE2ELNS1_3repE0EEENS1_30default_config_static_selectorELNS0_4arch9wavefront6targetE0EEEvT1_: ; @_ZN7rocprim17ROCPRIM_400000_NS6detail17trampoline_kernelINS0_14default_configENS1_20scan_config_selectorIN3c104HalfEEEZZNS1_9scan_implILNS1_25lookback_scan_determinismE0ELb0ELb0ES3_PKS6_PS6_S6_ZZZN2at6native31launch_logcumsumexp_cuda_kernelERKNSD_10TensorBaseESH_lENKUlvE_clEvENKUlvE3_clEvEUlS6_S6_E_S6_EEDaPvRmT3_T4_T5_mT6_P12ihipStream_tbENKUlT_T0_E_clISt17integral_constantIbLb1EESY_EEDaST_SU_EUlST_E0_NS1_11comp_targetILNS1_3genE8ELNS1_11target_archE1030ELNS1_3gpuE2ELNS1_3repE0EEENS1_30default_config_static_selectorELNS0_4arch9wavefront6targetE0EEEvT1_
; %bb.0:
	.section	.rodata,"a",@progbits
	.p2align	6, 0x0
	.amdhsa_kernel _ZN7rocprim17ROCPRIM_400000_NS6detail17trampoline_kernelINS0_14default_configENS1_20scan_config_selectorIN3c104HalfEEEZZNS1_9scan_implILNS1_25lookback_scan_determinismE0ELb0ELb0ES3_PKS6_PS6_S6_ZZZN2at6native31launch_logcumsumexp_cuda_kernelERKNSD_10TensorBaseESH_lENKUlvE_clEvENKUlvE3_clEvEUlS6_S6_E_S6_EEDaPvRmT3_T4_T5_mT6_P12ihipStream_tbENKUlT_T0_E_clISt17integral_constantIbLb1EESY_EEDaST_SU_EUlST_E0_NS1_11comp_targetILNS1_3genE8ELNS1_11target_archE1030ELNS1_3gpuE2ELNS1_3repE0EEENS1_30default_config_static_selectorELNS0_4arch9wavefront6targetE0EEEvT1_
		.amdhsa_group_segment_fixed_size 0
		.amdhsa_private_segment_fixed_size 0
		.amdhsa_kernarg_size 32
		.amdhsa_user_sgpr_count 15
		.amdhsa_user_sgpr_dispatch_ptr 0
		.amdhsa_user_sgpr_queue_ptr 0
		.amdhsa_user_sgpr_kernarg_segment_ptr 1
		.amdhsa_user_sgpr_dispatch_id 0
		.amdhsa_user_sgpr_private_segment_size 0
		.amdhsa_wavefront_size32 1
		.amdhsa_uses_dynamic_stack 0
		.amdhsa_enable_private_segment 0
		.amdhsa_system_sgpr_workgroup_id_x 1
		.amdhsa_system_sgpr_workgroup_id_y 0
		.amdhsa_system_sgpr_workgroup_id_z 0
		.amdhsa_system_sgpr_workgroup_info 0
		.amdhsa_system_vgpr_workitem_id 0
		.amdhsa_next_free_vgpr 1
		.amdhsa_next_free_sgpr 1
		.amdhsa_reserve_vcc 0
		.amdhsa_float_round_mode_32 0
		.amdhsa_float_round_mode_16_64 0
		.amdhsa_float_denorm_mode_32 3
		.amdhsa_float_denorm_mode_16_64 3
		.amdhsa_dx10_clamp 1
		.amdhsa_ieee_mode 1
		.amdhsa_fp16_overflow 0
		.amdhsa_workgroup_processor_mode 1
		.amdhsa_memory_ordered 1
		.amdhsa_forward_progress 0
		.amdhsa_shared_vgpr_count 0
		.amdhsa_exception_fp_ieee_invalid_op 0
		.amdhsa_exception_fp_denorm_src 0
		.amdhsa_exception_fp_ieee_div_zero 0
		.amdhsa_exception_fp_ieee_overflow 0
		.amdhsa_exception_fp_ieee_underflow 0
		.amdhsa_exception_fp_ieee_inexact 0
		.amdhsa_exception_int_div_zero 0
	.end_amdhsa_kernel
	.section	.text._ZN7rocprim17ROCPRIM_400000_NS6detail17trampoline_kernelINS0_14default_configENS1_20scan_config_selectorIN3c104HalfEEEZZNS1_9scan_implILNS1_25lookback_scan_determinismE0ELb0ELb0ES3_PKS6_PS6_S6_ZZZN2at6native31launch_logcumsumexp_cuda_kernelERKNSD_10TensorBaseESH_lENKUlvE_clEvENKUlvE3_clEvEUlS6_S6_E_S6_EEDaPvRmT3_T4_T5_mT6_P12ihipStream_tbENKUlT_T0_E_clISt17integral_constantIbLb1EESY_EEDaST_SU_EUlST_E0_NS1_11comp_targetILNS1_3genE8ELNS1_11target_archE1030ELNS1_3gpuE2ELNS1_3repE0EEENS1_30default_config_static_selectorELNS0_4arch9wavefront6targetE0EEEvT1_,"axG",@progbits,_ZN7rocprim17ROCPRIM_400000_NS6detail17trampoline_kernelINS0_14default_configENS1_20scan_config_selectorIN3c104HalfEEEZZNS1_9scan_implILNS1_25lookback_scan_determinismE0ELb0ELb0ES3_PKS6_PS6_S6_ZZZN2at6native31launch_logcumsumexp_cuda_kernelERKNSD_10TensorBaseESH_lENKUlvE_clEvENKUlvE3_clEvEUlS6_S6_E_S6_EEDaPvRmT3_T4_T5_mT6_P12ihipStream_tbENKUlT_T0_E_clISt17integral_constantIbLb1EESY_EEDaST_SU_EUlST_E0_NS1_11comp_targetILNS1_3genE8ELNS1_11target_archE1030ELNS1_3gpuE2ELNS1_3repE0EEENS1_30default_config_static_selectorELNS0_4arch9wavefront6targetE0EEEvT1_,comdat
.Lfunc_end401:
	.size	_ZN7rocprim17ROCPRIM_400000_NS6detail17trampoline_kernelINS0_14default_configENS1_20scan_config_selectorIN3c104HalfEEEZZNS1_9scan_implILNS1_25lookback_scan_determinismE0ELb0ELb0ES3_PKS6_PS6_S6_ZZZN2at6native31launch_logcumsumexp_cuda_kernelERKNSD_10TensorBaseESH_lENKUlvE_clEvENKUlvE3_clEvEUlS6_S6_E_S6_EEDaPvRmT3_T4_T5_mT6_P12ihipStream_tbENKUlT_T0_E_clISt17integral_constantIbLb1EESY_EEDaST_SU_EUlST_E0_NS1_11comp_targetILNS1_3genE8ELNS1_11target_archE1030ELNS1_3gpuE2ELNS1_3repE0EEENS1_30default_config_static_selectorELNS0_4arch9wavefront6targetE0EEEvT1_, .Lfunc_end401-_ZN7rocprim17ROCPRIM_400000_NS6detail17trampoline_kernelINS0_14default_configENS1_20scan_config_selectorIN3c104HalfEEEZZNS1_9scan_implILNS1_25lookback_scan_determinismE0ELb0ELb0ES3_PKS6_PS6_S6_ZZZN2at6native31launch_logcumsumexp_cuda_kernelERKNSD_10TensorBaseESH_lENKUlvE_clEvENKUlvE3_clEvEUlS6_S6_E_S6_EEDaPvRmT3_T4_T5_mT6_P12ihipStream_tbENKUlT_T0_E_clISt17integral_constantIbLb1EESY_EEDaST_SU_EUlST_E0_NS1_11comp_targetILNS1_3genE8ELNS1_11target_archE1030ELNS1_3gpuE2ELNS1_3repE0EEENS1_30default_config_static_selectorELNS0_4arch9wavefront6targetE0EEEvT1_
                                        ; -- End function
	.section	.AMDGPU.csdata,"",@progbits
; Kernel info:
; codeLenInByte = 0
; NumSgprs: 0
; NumVgprs: 0
; ScratchSize: 0
; MemoryBound: 0
; FloatMode: 240
; IeeeMode: 1
; LDSByteSize: 0 bytes/workgroup (compile time only)
; SGPRBlocks: 0
; VGPRBlocks: 0
; NumSGPRsForWavesPerEU: 1
; NumVGPRsForWavesPerEU: 1
; Occupancy: 16
; WaveLimiterHint : 0
; COMPUTE_PGM_RSRC2:SCRATCH_EN: 0
; COMPUTE_PGM_RSRC2:USER_SGPR: 15
; COMPUTE_PGM_RSRC2:TRAP_HANDLER: 0
; COMPUTE_PGM_RSRC2:TGID_X_EN: 1
; COMPUTE_PGM_RSRC2:TGID_Y_EN: 0
; COMPUTE_PGM_RSRC2:TGID_Z_EN: 0
; COMPUTE_PGM_RSRC2:TIDIG_COMP_CNT: 0
	.section	.text._ZN7rocprim17ROCPRIM_400000_NS6detail31init_lookback_scan_state_kernelINS1_19lookback_scan_stateIN3c104HalfELb1ELb1EEENS1_16block_id_wrapperIjLb0EEEEEvT_jT0_jPNS9_10value_typeE,"axG",@progbits,_ZN7rocprim17ROCPRIM_400000_NS6detail31init_lookback_scan_state_kernelINS1_19lookback_scan_stateIN3c104HalfELb1ELb1EEENS1_16block_id_wrapperIjLb0EEEEEvT_jT0_jPNS9_10value_typeE,comdat
	.protected	_ZN7rocprim17ROCPRIM_400000_NS6detail31init_lookback_scan_state_kernelINS1_19lookback_scan_stateIN3c104HalfELb1ELb1EEENS1_16block_id_wrapperIjLb0EEEEEvT_jT0_jPNS9_10value_typeE ; -- Begin function _ZN7rocprim17ROCPRIM_400000_NS6detail31init_lookback_scan_state_kernelINS1_19lookback_scan_stateIN3c104HalfELb1ELb1EEENS1_16block_id_wrapperIjLb0EEEEEvT_jT0_jPNS9_10value_typeE
	.globl	_ZN7rocprim17ROCPRIM_400000_NS6detail31init_lookback_scan_state_kernelINS1_19lookback_scan_stateIN3c104HalfELb1ELb1EEENS1_16block_id_wrapperIjLb0EEEEEvT_jT0_jPNS9_10value_typeE
	.p2align	8
	.type	_ZN7rocprim17ROCPRIM_400000_NS6detail31init_lookback_scan_state_kernelINS1_19lookback_scan_stateIN3c104HalfELb1ELb1EEENS1_16block_id_wrapperIjLb0EEEEEvT_jT0_jPNS9_10value_typeE,@function
_ZN7rocprim17ROCPRIM_400000_NS6detail31init_lookback_scan_state_kernelINS1_19lookback_scan_stateIN3c104HalfELb1ELb1EEENS1_16block_id_wrapperIjLb0EEEEEvT_jT0_jPNS9_10value_typeE: ; @_ZN7rocprim17ROCPRIM_400000_NS6detail31init_lookback_scan_state_kernelINS1_19lookback_scan_stateIN3c104HalfELb1ELb1EEENS1_16block_id_wrapperIjLb0EEEEEvT_jT0_jPNS9_10value_typeE
; %bb.0:
	s_clause 0x3
	s_load_b32 s7, s[0:1], 0x2c
	s_load_b64 s[4:5], s[0:1], 0x18
	s_load_b64 s[2:3], s[0:1], 0x0
	s_load_b32 s6, s[0:1], 0x8
	s_waitcnt lgkmcnt(0)
	s_and_b32 s7, s7, 0xffff
	s_cmp_eq_u64 s[4:5], 0
	v_mad_u64_u32 v[1:2], null, s15, s7, v[0:1]
	s_cbranch_scc1 .LBB402_9
; %bb.1:
	s_load_b32 s0, s[0:1], 0x10
	s_waitcnt lgkmcnt(0)
	s_cmp_lt_u32 s0, s6
	s_cselect_b32 s1, s0, 0
	s_delay_alu instid0(VALU_DEP_1) | instid1(SALU_CYCLE_1)
	v_cmp_eq_u32_e32 vcc_lo, s1, v1
	s_mov_b32 s1, 0
	s_and_saveexec_b32 s7, vcc_lo
	s_cbranch_execz .LBB402_8
; %bb.2:
	s_add_i32 s0, s0, 32
	v_mov_b32_e32 v0, 0
	s_lshl_b64 s[0:1], s[0:1], 2
	s_delay_alu instid0(SALU_CYCLE_1) | instskip(SKIP_4) | instid1(VALU_DEP_1)
	s_add_u32 s0, s2, s0
	s_addc_u32 s1, s3, s1
	global_load_b32 v2, v0, s[0:1] glc
	s_waitcnt vmcnt(0)
	v_and_b32_e32 v3, 0xff0000, v2
	v_cmp_ne_u32_e32 vcc_lo, 0, v3
	s_cbranch_vccnz .LBB402_7
; %bb.3:
	s_mov_b32 s8, 1
.LBB402_4:                              ; =>This Loop Header: Depth=1
                                        ;     Child Loop BB402_5 Depth 2
	s_delay_alu instid0(SALU_CYCLE_1)
	s_max_u32 s9, s8, 1
.LBB402_5:                              ;   Parent Loop BB402_4 Depth=1
                                        ; =>  This Inner Loop Header: Depth=2
	s_delay_alu instid0(SALU_CYCLE_1)
	s_add_i32 s9, s9, -1
	s_sleep 1
	s_cmp_eq_u32 s9, 0
	s_cbranch_scc0 .LBB402_5
; %bb.6:                                ;   in Loop: Header=BB402_4 Depth=1
	global_load_b32 v2, v0, s[0:1] glc
	s_cmp_lt_u32 s8, 32
	s_cselect_b32 s9, -1, 0
	s_delay_alu instid0(SALU_CYCLE_1) | instskip(SKIP_3) | instid1(VALU_DEP_1)
	s_cmp_lg_u32 s9, 0
	s_addc_u32 s8, s8, 0
	s_waitcnt vmcnt(0)
	v_and_b32_e32 v3, 0xff0000, v2
	v_cmp_ne_u32_e32 vcc_lo, 0, v3
	s_cbranch_vccz .LBB402_4
.LBB402_7:
	v_mov_b32_e32 v0, 0
	global_store_b16 v0, v2, s[4:5]
.LBB402_8:
	s_or_b32 exec_lo, exec_lo, s7
.LBB402_9:
	s_delay_alu instid0(SALU_CYCLE_1) | instskip(NEXT) | instid1(VALU_DEP_1)
	s_mov_b32 s0, exec_lo
	v_cmpx_gt_u32_e64 s6, v1
	s_cbranch_execz .LBB402_11
; %bb.10:
	v_dual_mov_b32 v3, 0 :: v_dual_add_nc_u32 v2, 32, v1
	s_delay_alu instid0(VALU_DEP_1) | instskip(NEXT) | instid1(VALU_DEP_1)
	v_lshlrev_b64 v[4:5], 2, v[2:3]
	v_add_co_u32 v4, vcc_lo, s2, v4
	s_delay_alu instid0(VALU_DEP_2)
	v_add_co_ci_u32_e32 v5, vcc_lo, s3, v5, vcc_lo
	global_store_b32 v[4:5], v3, off
.LBB402_11:
	s_or_b32 exec_lo, exec_lo, s0
	s_delay_alu instid0(SALU_CYCLE_1)
	s_mov_b32 s0, exec_lo
	v_cmpx_gt_u32_e32 32, v1
	s_cbranch_execz .LBB402_13
; %bb.12:
	v_mov_b32_e32 v2, 0
	s_delay_alu instid0(VALU_DEP_1) | instskip(SKIP_1) | instid1(VALU_DEP_2)
	v_lshlrev_b64 v[0:1], 2, v[1:2]
	v_mov_b32_e32 v2, 0xff0000
	v_add_co_u32 v0, vcc_lo, s2, v0
	s_delay_alu instid0(VALU_DEP_3)
	v_add_co_ci_u32_e32 v1, vcc_lo, s3, v1, vcc_lo
	global_store_b32 v[0:1], v2, off
.LBB402_13:
	s_nop 0
	s_sendmsg sendmsg(MSG_DEALLOC_VGPRS)
	s_endpgm
	.section	.rodata,"a",@progbits
	.p2align	6, 0x0
	.amdhsa_kernel _ZN7rocprim17ROCPRIM_400000_NS6detail31init_lookback_scan_state_kernelINS1_19lookback_scan_stateIN3c104HalfELb1ELb1EEENS1_16block_id_wrapperIjLb0EEEEEvT_jT0_jPNS9_10value_typeE
		.amdhsa_group_segment_fixed_size 0
		.amdhsa_private_segment_fixed_size 0
		.amdhsa_kernarg_size 288
		.amdhsa_user_sgpr_count 15
		.amdhsa_user_sgpr_dispatch_ptr 0
		.amdhsa_user_sgpr_queue_ptr 0
		.amdhsa_user_sgpr_kernarg_segment_ptr 1
		.amdhsa_user_sgpr_dispatch_id 0
		.amdhsa_user_sgpr_private_segment_size 0
		.amdhsa_wavefront_size32 1
		.amdhsa_uses_dynamic_stack 0
		.amdhsa_enable_private_segment 0
		.amdhsa_system_sgpr_workgroup_id_x 1
		.amdhsa_system_sgpr_workgroup_id_y 0
		.amdhsa_system_sgpr_workgroup_id_z 0
		.amdhsa_system_sgpr_workgroup_info 0
		.amdhsa_system_vgpr_workitem_id 0
		.amdhsa_next_free_vgpr 6
		.amdhsa_next_free_sgpr 16
		.amdhsa_reserve_vcc 1
		.amdhsa_float_round_mode_32 0
		.amdhsa_float_round_mode_16_64 0
		.amdhsa_float_denorm_mode_32 3
		.amdhsa_float_denorm_mode_16_64 3
		.amdhsa_dx10_clamp 1
		.amdhsa_ieee_mode 1
		.amdhsa_fp16_overflow 0
		.amdhsa_workgroup_processor_mode 1
		.amdhsa_memory_ordered 1
		.amdhsa_forward_progress 0
		.amdhsa_shared_vgpr_count 0
		.amdhsa_exception_fp_ieee_invalid_op 0
		.amdhsa_exception_fp_denorm_src 0
		.amdhsa_exception_fp_ieee_div_zero 0
		.amdhsa_exception_fp_ieee_overflow 0
		.amdhsa_exception_fp_ieee_underflow 0
		.amdhsa_exception_fp_ieee_inexact 0
		.amdhsa_exception_int_div_zero 0
	.end_amdhsa_kernel
	.section	.text._ZN7rocprim17ROCPRIM_400000_NS6detail31init_lookback_scan_state_kernelINS1_19lookback_scan_stateIN3c104HalfELb1ELb1EEENS1_16block_id_wrapperIjLb0EEEEEvT_jT0_jPNS9_10value_typeE,"axG",@progbits,_ZN7rocprim17ROCPRIM_400000_NS6detail31init_lookback_scan_state_kernelINS1_19lookback_scan_stateIN3c104HalfELb1ELb1EEENS1_16block_id_wrapperIjLb0EEEEEvT_jT0_jPNS9_10value_typeE,comdat
.Lfunc_end402:
	.size	_ZN7rocprim17ROCPRIM_400000_NS6detail31init_lookback_scan_state_kernelINS1_19lookback_scan_stateIN3c104HalfELb1ELb1EEENS1_16block_id_wrapperIjLb0EEEEEvT_jT0_jPNS9_10value_typeE, .Lfunc_end402-_ZN7rocprim17ROCPRIM_400000_NS6detail31init_lookback_scan_state_kernelINS1_19lookback_scan_stateIN3c104HalfELb1ELb1EEENS1_16block_id_wrapperIjLb0EEEEEvT_jT0_jPNS9_10value_typeE
                                        ; -- End function
	.section	.AMDGPU.csdata,"",@progbits
; Kernel info:
; codeLenInByte = 396
; NumSgprs: 18
; NumVgprs: 6
; ScratchSize: 0
; MemoryBound: 0
; FloatMode: 240
; IeeeMode: 1
; LDSByteSize: 0 bytes/workgroup (compile time only)
; SGPRBlocks: 2
; VGPRBlocks: 0
; NumSGPRsForWavesPerEU: 18
; NumVGPRsForWavesPerEU: 6
; Occupancy: 16
; WaveLimiterHint : 0
; COMPUTE_PGM_RSRC2:SCRATCH_EN: 0
; COMPUTE_PGM_RSRC2:USER_SGPR: 15
; COMPUTE_PGM_RSRC2:TRAP_HANDLER: 0
; COMPUTE_PGM_RSRC2:TGID_X_EN: 1
; COMPUTE_PGM_RSRC2:TGID_Y_EN: 0
; COMPUTE_PGM_RSRC2:TGID_Z_EN: 0
; COMPUTE_PGM_RSRC2:TIDIG_COMP_CNT: 0
	.section	.text._ZN7rocprim17ROCPRIM_400000_NS6detail17trampoline_kernelINS0_14default_configENS1_20scan_config_selectorIN3c104HalfEEEZZNS1_9scan_implILNS1_25lookback_scan_determinismE0ELb0ELb0ES3_PKS6_PS6_S6_ZZZN2at6native31launch_logcumsumexp_cuda_kernelERKNSD_10TensorBaseESH_lENKUlvE_clEvENKUlvE3_clEvEUlS6_S6_E_S6_EEDaPvRmT3_T4_T5_mT6_P12ihipStream_tbENKUlT_T0_E_clISt17integral_constantIbLb1EESX_IbLb0EEEEDaST_SU_EUlST_E_NS1_11comp_targetILNS1_3genE0ELNS1_11target_archE4294967295ELNS1_3gpuE0ELNS1_3repE0EEENS1_30default_config_static_selectorELNS0_4arch9wavefront6targetE0EEEvT1_,"axG",@progbits,_ZN7rocprim17ROCPRIM_400000_NS6detail17trampoline_kernelINS0_14default_configENS1_20scan_config_selectorIN3c104HalfEEEZZNS1_9scan_implILNS1_25lookback_scan_determinismE0ELb0ELb0ES3_PKS6_PS6_S6_ZZZN2at6native31launch_logcumsumexp_cuda_kernelERKNSD_10TensorBaseESH_lENKUlvE_clEvENKUlvE3_clEvEUlS6_S6_E_S6_EEDaPvRmT3_T4_T5_mT6_P12ihipStream_tbENKUlT_T0_E_clISt17integral_constantIbLb1EESX_IbLb0EEEEDaST_SU_EUlST_E_NS1_11comp_targetILNS1_3genE0ELNS1_11target_archE4294967295ELNS1_3gpuE0ELNS1_3repE0EEENS1_30default_config_static_selectorELNS0_4arch9wavefront6targetE0EEEvT1_,comdat
	.globl	_ZN7rocprim17ROCPRIM_400000_NS6detail17trampoline_kernelINS0_14default_configENS1_20scan_config_selectorIN3c104HalfEEEZZNS1_9scan_implILNS1_25lookback_scan_determinismE0ELb0ELb0ES3_PKS6_PS6_S6_ZZZN2at6native31launch_logcumsumexp_cuda_kernelERKNSD_10TensorBaseESH_lENKUlvE_clEvENKUlvE3_clEvEUlS6_S6_E_S6_EEDaPvRmT3_T4_T5_mT6_P12ihipStream_tbENKUlT_T0_E_clISt17integral_constantIbLb1EESX_IbLb0EEEEDaST_SU_EUlST_E_NS1_11comp_targetILNS1_3genE0ELNS1_11target_archE4294967295ELNS1_3gpuE0ELNS1_3repE0EEENS1_30default_config_static_selectorELNS0_4arch9wavefront6targetE0EEEvT1_ ; -- Begin function _ZN7rocprim17ROCPRIM_400000_NS6detail17trampoline_kernelINS0_14default_configENS1_20scan_config_selectorIN3c104HalfEEEZZNS1_9scan_implILNS1_25lookback_scan_determinismE0ELb0ELb0ES3_PKS6_PS6_S6_ZZZN2at6native31launch_logcumsumexp_cuda_kernelERKNSD_10TensorBaseESH_lENKUlvE_clEvENKUlvE3_clEvEUlS6_S6_E_S6_EEDaPvRmT3_T4_T5_mT6_P12ihipStream_tbENKUlT_T0_E_clISt17integral_constantIbLb1EESX_IbLb0EEEEDaST_SU_EUlST_E_NS1_11comp_targetILNS1_3genE0ELNS1_11target_archE4294967295ELNS1_3gpuE0ELNS1_3repE0EEENS1_30default_config_static_selectorELNS0_4arch9wavefront6targetE0EEEvT1_
	.p2align	8
	.type	_ZN7rocprim17ROCPRIM_400000_NS6detail17trampoline_kernelINS0_14default_configENS1_20scan_config_selectorIN3c104HalfEEEZZNS1_9scan_implILNS1_25lookback_scan_determinismE0ELb0ELb0ES3_PKS6_PS6_S6_ZZZN2at6native31launch_logcumsumexp_cuda_kernelERKNSD_10TensorBaseESH_lENKUlvE_clEvENKUlvE3_clEvEUlS6_S6_E_S6_EEDaPvRmT3_T4_T5_mT6_P12ihipStream_tbENKUlT_T0_E_clISt17integral_constantIbLb1EESX_IbLb0EEEEDaST_SU_EUlST_E_NS1_11comp_targetILNS1_3genE0ELNS1_11target_archE4294967295ELNS1_3gpuE0ELNS1_3repE0EEENS1_30default_config_static_selectorELNS0_4arch9wavefront6targetE0EEEvT1_,@function
_ZN7rocprim17ROCPRIM_400000_NS6detail17trampoline_kernelINS0_14default_configENS1_20scan_config_selectorIN3c104HalfEEEZZNS1_9scan_implILNS1_25lookback_scan_determinismE0ELb0ELb0ES3_PKS6_PS6_S6_ZZZN2at6native31launch_logcumsumexp_cuda_kernelERKNSD_10TensorBaseESH_lENKUlvE_clEvENKUlvE3_clEvEUlS6_S6_E_S6_EEDaPvRmT3_T4_T5_mT6_P12ihipStream_tbENKUlT_T0_E_clISt17integral_constantIbLb1EESX_IbLb0EEEEDaST_SU_EUlST_E_NS1_11comp_targetILNS1_3genE0ELNS1_11target_archE4294967295ELNS1_3gpuE0ELNS1_3repE0EEENS1_30default_config_static_selectorELNS0_4arch9wavefront6targetE0EEEvT1_: ; @_ZN7rocprim17ROCPRIM_400000_NS6detail17trampoline_kernelINS0_14default_configENS1_20scan_config_selectorIN3c104HalfEEEZZNS1_9scan_implILNS1_25lookback_scan_determinismE0ELb0ELb0ES3_PKS6_PS6_S6_ZZZN2at6native31launch_logcumsumexp_cuda_kernelERKNSD_10TensorBaseESH_lENKUlvE_clEvENKUlvE3_clEvEUlS6_S6_E_S6_EEDaPvRmT3_T4_T5_mT6_P12ihipStream_tbENKUlT_T0_E_clISt17integral_constantIbLb1EESX_IbLb0EEEEDaST_SU_EUlST_E_NS1_11comp_targetILNS1_3genE0ELNS1_11target_archE4294967295ELNS1_3gpuE0ELNS1_3repE0EEENS1_30default_config_static_selectorELNS0_4arch9wavefront6targetE0EEEvT1_
; %bb.0:
	.section	.rodata,"a",@progbits
	.p2align	6, 0x0
	.amdhsa_kernel _ZN7rocprim17ROCPRIM_400000_NS6detail17trampoline_kernelINS0_14default_configENS1_20scan_config_selectorIN3c104HalfEEEZZNS1_9scan_implILNS1_25lookback_scan_determinismE0ELb0ELb0ES3_PKS6_PS6_S6_ZZZN2at6native31launch_logcumsumexp_cuda_kernelERKNSD_10TensorBaseESH_lENKUlvE_clEvENKUlvE3_clEvEUlS6_S6_E_S6_EEDaPvRmT3_T4_T5_mT6_P12ihipStream_tbENKUlT_T0_E_clISt17integral_constantIbLb1EESX_IbLb0EEEEDaST_SU_EUlST_E_NS1_11comp_targetILNS1_3genE0ELNS1_11target_archE4294967295ELNS1_3gpuE0ELNS1_3repE0EEENS1_30default_config_static_selectorELNS0_4arch9wavefront6targetE0EEEvT1_
		.amdhsa_group_segment_fixed_size 0
		.amdhsa_private_segment_fixed_size 0
		.amdhsa_kernarg_size 96
		.amdhsa_user_sgpr_count 15
		.amdhsa_user_sgpr_dispatch_ptr 0
		.amdhsa_user_sgpr_queue_ptr 0
		.amdhsa_user_sgpr_kernarg_segment_ptr 1
		.amdhsa_user_sgpr_dispatch_id 0
		.amdhsa_user_sgpr_private_segment_size 0
		.amdhsa_wavefront_size32 1
		.amdhsa_uses_dynamic_stack 0
		.amdhsa_enable_private_segment 0
		.amdhsa_system_sgpr_workgroup_id_x 1
		.amdhsa_system_sgpr_workgroup_id_y 0
		.amdhsa_system_sgpr_workgroup_id_z 0
		.amdhsa_system_sgpr_workgroup_info 0
		.amdhsa_system_vgpr_workitem_id 0
		.amdhsa_next_free_vgpr 1
		.amdhsa_next_free_sgpr 1
		.amdhsa_reserve_vcc 0
		.amdhsa_float_round_mode_32 0
		.amdhsa_float_round_mode_16_64 0
		.amdhsa_float_denorm_mode_32 3
		.amdhsa_float_denorm_mode_16_64 3
		.amdhsa_dx10_clamp 1
		.amdhsa_ieee_mode 1
		.amdhsa_fp16_overflow 0
		.amdhsa_workgroup_processor_mode 1
		.amdhsa_memory_ordered 1
		.amdhsa_forward_progress 0
		.amdhsa_shared_vgpr_count 0
		.amdhsa_exception_fp_ieee_invalid_op 0
		.amdhsa_exception_fp_denorm_src 0
		.amdhsa_exception_fp_ieee_div_zero 0
		.amdhsa_exception_fp_ieee_overflow 0
		.amdhsa_exception_fp_ieee_underflow 0
		.amdhsa_exception_fp_ieee_inexact 0
		.amdhsa_exception_int_div_zero 0
	.end_amdhsa_kernel
	.section	.text._ZN7rocprim17ROCPRIM_400000_NS6detail17trampoline_kernelINS0_14default_configENS1_20scan_config_selectorIN3c104HalfEEEZZNS1_9scan_implILNS1_25lookback_scan_determinismE0ELb0ELb0ES3_PKS6_PS6_S6_ZZZN2at6native31launch_logcumsumexp_cuda_kernelERKNSD_10TensorBaseESH_lENKUlvE_clEvENKUlvE3_clEvEUlS6_S6_E_S6_EEDaPvRmT3_T4_T5_mT6_P12ihipStream_tbENKUlT_T0_E_clISt17integral_constantIbLb1EESX_IbLb0EEEEDaST_SU_EUlST_E_NS1_11comp_targetILNS1_3genE0ELNS1_11target_archE4294967295ELNS1_3gpuE0ELNS1_3repE0EEENS1_30default_config_static_selectorELNS0_4arch9wavefront6targetE0EEEvT1_,"axG",@progbits,_ZN7rocprim17ROCPRIM_400000_NS6detail17trampoline_kernelINS0_14default_configENS1_20scan_config_selectorIN3c104HalfEEEZZNS1_9scan_implILNS1_25lookback_scan_determinismE0ELb0ELb0ES3_PKS6_PS6_S6_ZZZN2at6native31launch_logcumsumexp_cuda_kernelERKNSD_10TensorBaseESH_lENKUlvE_clEvENKUlvE3_clEvEUlS6_S6_E_S6_EEDaPvRmT3_T4_T5_mT6_P12ihipStream_tbENKUlT_T0_E_clISt17integral_constantIbLb1EESX_IbLb0EEEEDaST_SU_EUlST_E_NS1_11comp_targetILNS1_3genE0ELNS1_11target_archE4294967295ELNS1_3gpuE0ELNS1_3repE0EEENS1_30default_config_static_selectorELNS0_4arch9wavefront6targetE0EEEvT1_,comdat
.Lfunc_end403:
	.size	_ZN7rocprim17ROCPRIM_400000_NS6detail17trampoline_kernelINS0_14default_configENS1_20scan_config_selectorIN3c104HalfEEEZZNS1_9scan_implILNS1_25lookback_scan_determinismE0ELb0ELb0ES3_PKS6_PS6_S6_ZZZN2at6native31launch_logcumsumexp_cuda_kernelERKNSD_10TensorBaseESH_lENKUlvE_clEvENKUlvE3_clEvEUlS6_S6_E_S6_EEDaPvRmT3_T4_T5_mT6_P12ihipStream_tbENKUlT_T0_E_clISt17integral_constantIbLb1EESX_IbLb0EEEEDaST_SU_EUlST_E_NS1_11comp_targetILNS1_3genE0ELNS1_11target_archE4294967295ELNS1_3gpuE0ELNS1_3repE0EEENS1_30default_config_static_selectorELNS0_4arch9wavefront6targetE0EEEvT1_, .Lfunc_end403-_ZN7rocprim17ROCPRIM_400000_NS6detail17trampoline_kernelINS0_14default_configENS1_20scan_config_selectorIN3c104HalfEEEZZNS1_9scan_implILNS1_25lookback_scan_determinismE0ELb0ELb0ES3_PKS6_PS6_S6_ZZZN2at6native31launch_logcumsumexp_cuda_kernelERKNSD_10TensorBaseESH_lENKUlvE_clEvENKUlvE3_clEvEUlS6_S6_E_S6_EEDaPvRmT3_T4_T5_mT6_P12ihipStream_tbENKUlT_T0_E_clISt17integral_constantIbLb1EESX_IbLb0EEEEDaST_SU_EUlST_E_NS1_11comp_targetILNS1_3genE0ELNS1_11target_archE4294967295ELNS1_3gpuE0ELNS1_3repE0EEENS1_30default_config_static_selectorELNS0_4arch9wavefront6targetE0EEEvT1_
                                        ; -- End function
	.section	.AMDGPU.csdata,"",@progbits
; Kernel info:
; codeLenInByte = 0
; NumSgprs: 0
; NumVgprs: 0
; ScratchSize: 0
; MemoryBound: 0
; FloatMode: 240
; IeeeMode: 1
; LDSByteSize: 0 bytes/workgroup (compile time only)
; SGPRBlocks: 0
; VGPRBlocks: 0
; NumSGPRsForWavesPerEU: 1
; NumVGPRsForWavesPerEU: 1
; Occupancy: 16
; WaveLimiterHint : 0
; COMPUTE_PGM_RSRC2:SCRATCH_EN: 0
; COMPUTE_PGM_RSRC2:USER_SGPR: 15
; COMPUTE_PGM_RSRC2:TRAP_HANDLER: 0
; COMPUTE_PGM_RSRC2:TGID_X_EN: 1
; COMPUTE_PGM_RSRC2:TGID_Y_EN: 0
; COMPUTE_PGM_RSRC2:TGID_Z_EN: 0
; COMPUTE_PGM_RSRC2:TIDIG_COMP_CNT: 0
	.section	.text._ZN7rocprim17ROCPRIM_400000_NS6detail17trampoline_kernelINS0_14default_configENS1_20scan_config_selectorIN3c104HalfEEEZZNS1_9scan_implILNS1_25lookback_scan_determinismE0ELb0ELb0ES3_PKS6_PS6_S6_ZZZN2at6native31launch_logcumsumexp_cuda_kernelERKNSD_10TensorBaseESH_lENKUlvE_clEvENKUlvE3_clEvEUlS6_S6_E_S6_EEDaPvRmT3_T4_T5_mT6_P12ihipStream_tbENKUlT_T0_E_clISt17integral_constantIbLb1EESX_IbLb0EEEEDaST_SU_EUlST_E_NS1_11comp_targetILNS1_3genE5ELNS1_11target_archE942ELNS1_3gpuE9ELNS1_3repE0EEENS1_30default_config_static_selectorELNS0_4arch9wavefront6targetE0EEEvT1_,"axG",@progbits,_ZN7rocprim17ROCPRIM_400000_NS6detail17trampoline_kernelINS0_14default_configENS1_20scan_config_selectorIN3c104HalfEEEZZNS1_9scan_implILNS1_25lookback_scan_determinismE0ELb0ELb0ES3_PKS6_PS6_S6_ZZZN2at6native31launch_logcumsumexp_cuda_kernelERKNSD_10TensorBaseESH_lENKUlvE_clEvENKUlvE3_clEvEUlS6_S6_E_S6_EEDaPvRmT3_T4_T5_mT6_P12ihipStream_tbENKUlT_T0_E_clISt17integral_constantIbLb1EESX_IbLb0EEEEDaST_SU_EUlST_E_NS1_11comp_targetILNS1_3genE5ELNS1_11target_archE942ELNS1_3gpuE9ELNS1_3repE0EEENS1_30default_config_static_selectorELNS0_4arch9wavefront6targetE0EEEvT1_,comdat
	.globl	_ZN7rocprim17ROCPRIM_400000_NS6detail17trampoline_kernelINS0_14default_configENS1_20scan_config_selectorIN3c104HalfEEEZZNS1_9scan_implILNS1_25lookback_scan_determinismE0ELb0ELb0ES3_PKS6_PS6_S6_ZZZN2at6native31launch_logcumsumexp_cuda_kernelERKNSD_10TensorBaseESH_lENKUlvE_clEvENKUlvE3_clEvEUlS6_S6_E_S6_EEDaPvRmT3_T4_T5_mT6_P12ihipStream_tbENKUlT_T0_E_clISt17integral_constantIbLb1EESX_IbLb0EEEEDaST_SU_EUlST_E_NS1_11comp_targetILNS1_3genE5ELNS1_11target_archE942ELNS1_3gpuE9ELNS1_3repE0EEENS1_30default_config_static_selectorELNS0_4arch9wavefront6targetE0EEEvT1_ ; -- Begin function _ZN7rocprim17ROCPRIM_400000_NS6detail17trampoline_kernelINS0_14default_configENS1_20scan_config_selectorIN3c104HalfEEEZZNS1_9scan_implILNS1_25lookback_scan_determinismE0ELb0ELb0ES3_PKS6_PS6_S6_ZZZN2at6native31launch_logcumsumexp_cuda_kernelERKNSD_10TensorBaseESH_lENKUlvE_clEvENKUlvE3_clEvEUlS6_S6_E_S6_EEDaPvRmT3_T4_T5_mT6_P12ihipStream_tbENKUlT_T0_E_clISt17integral_constantIbLb1EESX_IbLb0EEEEDaST_SU_EUlST_E_NS1_11comp_targetILNS1_3genE5ELNS1_11target_archE942ELNS1_3gpuE9ELNS1_3repE0EEENS1_30default_config_static_selectorELNS0_4arch9wavefront6targetE0EEEvT1_
	.p2align	8
	.type	_ZN7rocprim17ROCPRIM_400000_NS6detail17trampoline_kernelINS0_14default_configENS1_20scan_config_selectorIN3c104HalfEEEZZNS1_9scan_implILNS1_25lookback_scan_determinismE0ELb0ELb0ES3_PKS6_PS6_S6_ZZZN2at6native31launch_logcumsumexp_cuda_kernelERKNSD_10TensorBaseESH_lENKUlvE_clEvENKUlvE3_clEvEUlS6_S6_E_S6_EEDaPvRmT3_T4_T5_mT6_P12ihipStream_tbENKUlT_T0_E_clISt17integral_constantIbLb1EESX_IbLb0EEEEDaST_SU_EUlST_E_NS1_11comp_targetILNS1_3genE5ELNS1_11target_archE942ELNS1_3gpuE9ELNS1_3repE0EEENS1_30default_config_static_selectorELNS0_4arch9wavefront6targetE0EEEvT1_,@function
_ZN7rocprim17ROCPRIM_400000_NS6detail17trampoline_kernelINS0_14default_configENS1_20scan_config_selectorIN3c104HalfEEEZZNS1_9scan_implILNS1_25lookback_scan_determinismE0ELb0ELb0ES3_PKS6_PS6_S6_ZZZN2at6native31launch_logcumsumexp_cuda_kernelERKNSD_10TensorBaseESH_lENKUlvE_clEvENKUlvE3_clEvEUlS6_S6_E_S6_EEDaPvRmT3_T4_T5_mT6_P12ihipStream_tbENKUlT_T0_E_clISt17integral_constantIbLb1EESX_IbLb0EEEEDaST_SU_EUlST_E_NS1_11comp_targetILNS1_3genE5ELNS1_11target_archE942ELNS1_3gpuE9ELNS1_3repE0EEENS1_30default_config_static_selectorELNS0_4arch9wavefront6targetE0EEEvT1_: ; @_ZN7rocprim17ROCPRIM_400000_NS6detail17trampoline_kernelINS0_14default_configENS1_20scan_config_selectorIN3c104HalfEEEZZNS1_9scan_implILNS1_25lookback_scan_determinismE0ELb0ELb0ES3_PKS6_PS6_S6_ZZZN2at6native31launch_logcumsumexp_cuda_kernelERKNSD_10TensorBaseESH_lENKUlvE_clEvENKUlvE3_clEvEUlS6_S6_E_S6_EEDaPvRmT3_T4_T5_mT6_P12ihipStream_tbENKUlT_T0_E_clISt17integral_constantIbLb1EESX_IbLb0EEEEDaST_SU_EUlST_E_NS1_11comp_targetILNS1_3genE5ELNS1_11target_archE942ELNS1_3gpuE9ELNS1_3repE0EEENS1_30default_config_static_selectorELNS0_4arch9wavefront6targetE0EEEvT1_
; %bb.0:
	.section	.rodata,"a",@progbits
	.p2align	6, 0x0
	.amdhsa_kernel _ZN7rocprim17ROCPRIM_400000_NS6detail17trampoline_kernelINS0_14default_configENS1_20scan_config_selectorIN3c104HalfEEEZZNS1_9scan_implILNS1_25lookback_scan_determinismE0ELb0ELb0ES3_PKS6_PS6_S6_ZZZN2at6native31launch_logcumsumexp_cuda_kernelERKNSD_10TensorBaseESH_lENKUlvE_clEvENKUlvE3_clEvEUlS6_S6_E_S6_EEDaPvRmT3_T4_T5_mT6_P12ihipStream_tbENKUlT_T0_E_clISt17integral_constantIbLb1EESX_IbLb0EEEEDaST_SU_EUlST_E_NS1_11comp_targetILNS1_3genE5ELNS1_11target_archE942ELNS1_3gpuE9ELNS1_3repE0EEENS1_30default_config_static_selectorELNS0_4arch9wavefront6targetE0EEEvT1_
		.amdhsa_group_segment_fixed_size 0
		.amdhsa_private_segment_fixed_size 0
		.amdhsa_kernarg_size 96
		.amdhsa_user_sgpr_count 15
		.amdhsa_user_sgpr_dispatch_ptr 0
		.amdhsa_user_sgpr_queue_ptr 0
		.amdhsa_user_sgpr_kernarg_segment_ptr 1
		.amdhsa_user_sgpr_dispatch_id 0
		.amdhsa_user_sgpr_private_segment_size 0
		.amdhsa_wavefront_size32 1
		.amdhsa_uses_dynamic_stack 0
		.amdhsa_enable_private_segment 0
		.amdhsa_system_sgpr_workgroup_id_x 1
		.amdhsa_system_sgpr_workgroup_id_y 0
		.amdhsa_system_sgpr_workgroup_id_z 0
		.amdhsa_system_sgpr_workgroup_info 0
		.amdhsa_system_vgpr_workitem_id 0
		.amdhsa_next_free_vgpr 1
		.amdhsa_next_free_sgpr 1
		.amdhsa_reserve_vcc 0
		.amdhsa_float_round_mode_32 0
		.amdhsa_float_round_mode_16_64 0
		.amdhsa_float_denorm_mode_32 3
		.amdhsa_float_denorm_mode_16_64 3
		.amdhsa_dx10_clamp 1
		.amdhsa_ieee_mode 1
		.amdhsa_fp16_overflow 0
		.amdhsa_workgroup_processor_mode 1
		.amdhsa_memory_ordered 1
		.amdhsa_forward_progress 0
		.amdhsa_shared_vgpr_count 0
		.amdhsa_exception_fp_ieee_invalid_op 0
		.amdhsa_exception_fp_denorm_src 0
		.amdhsa_exception_fp_ieee_div_zero 0
		.amdhsa_exception_fp_ieee_overflow 0
		.amdhsa_exception_fp_ieee_underflow 0
		.amdhsa_exception_fp_ieee_inexact 0
		.amdhsa_exception_int_div_zero 0
	.end_amdhsa_kernel
	.section	.text._ZN7rocprim17ROCPRIM_400000_NS6detail17trampoline_kernelINS0_14default_configENS1_20scan_config_selectorIN3c104HalfEEEZZNS1_9scan_implILNS1_25lookback_scan_determinismE0ELb0ELb0ES3_PKS6_PS6_S6_ZZZN2at6native31launch_logcumsumexp_cuda_kernelERKNSD_10TensorBaseESH_lENKUlvE_clEvENKUlvE3_clEvEUlS6_S6_E_S6_EEDaPvRmT3_T4_T5_mT6_P12ihipStream_tbENKUlT_T0_E_clISt17integral_constantIbLb1EESX_IbLb0EEEEDaST_SU_EUlST_E_NS1_11comp_targetILNS1_3genE5ELNS1_11target_archE942ELNS1_3gpuE9ELNS1_3repE0EEENS1_30default_config_static_selectorELNS0_4arch9wavefront6targetE0EEEvT1_,"axG",@progbits,_ZN7rocprim17ROCPRIM_400000_NS6detail17trampoline_kernelINS0_14default_configENS1_20scan_config_selectorIN3c104HalfEEEZZNS1_9scan_implILNS1_25lookback_scan_determinismE0ELb0ELb0ES3_PKS6_PS6_S6_ZZZN2at6native31launch_logcumsumexp_cuda_kernelERKNSD_10TensorBaseESH_lENKUlvE_clEvENKUlvE3_clEvEUlS6_S6_E_S6_EEDaPvRmT3_T4_T5_mT6_P12ihipStream_tbENKUlT_T0_E_clISt17integral_constantIbLb1EESX_IbLb0EEEEDaST_SU_EUlST_E_NS1_11comp_targetILNS1_3genE5ELNS1_11target_archE942ELNS1_3gpuE9ELNS1_3repE0EEENS1_30default_config_static_selectorELNS0_4arch9wavefront6targetE0EEEvT1_,comdat
.Lfunc_end404:
	.size	_ZN7rocprim17ROCPRIM_400000_NS6detail17trampoline_kernelINS0_14default_configENS1_20scan_config_selectorIN3c104HalfEEEZZNS1_9scan_implILNS1_25lookback_scan_determinismE0ELb0ELb0ES3_PKS6_PS6_S6_ZZZN2at6native31launch_logcumsumexp_cuda_kernelERKNSD_10TensorBaseESH_lENKUlvE_clEvENKUlvE3_clEvEUlS6_S6_E_S6_EEDaPvRmT3_T4_T5_mT6_P12ihipStream_tbENKUlT_T0_E_clISt17integral_constantIbLb1EESX_IbLb0EEEEDaST_SU_EUlST_E_NS1_11comp_targetILNS1_3genE5ELNS1_11target_archE942ELNS1_3gpuE9ELNS1_3repE0EEENS1_30default_config_static_selectorELNS0_4arch9wavefront6targetE0EEEvT1_, .Lfunc_end404-_ZN7rocprim17ROCPRIM_400000_NS6detail17trampoline_kernelINS0_14default_configENS1_20scan_config_selectorIN3c104HalfEEEZZNS1_9scan_implILNS1_25lookback_scan_determinismE0ELb0ELb0ES3_PKS6_PS6_S6_ZZZN2at6native31launch_logcumsumexp_cuda_kernelERKNSD_10TensorBaseESH_lENKUlvE_clEvENKUlvE3_clEvEUlS6_S6_E_S6_EEDaPvRmT3_T4_T5_mT6_P12ihipStream_tbENKUlT_T0_E_clISt17integral_constantIbLb1EESX_IbLb0EEEEDaST_SU_EUlST_E_NS1_11comp_targetILNS1_3genE5ELNS1_11target_archE942ELNS1_3gpuE9ELNS1_3repE0EEENS1_30default_config_static_selectorELNS0_4arch9wavefront6targetE0EEEvT1_
                                        ; -- End function
	.section	.AMDGPU.csdata,"",@progbits
; Kernel info:
; codeLenInByte = 0
; NumSgprs: 0
; NumVgprs: 0
; ScratchSize: 0
; MemoryBound: 0
; FloatMode: 240
; IeeeMode: 1
; LDSByteSize: 0 bytes/workgroup (compile time only)
; SGPRBlocks: 0
; VGPRBlocks: 0
; NumSGPRsForWavesPerEU: 1
; NumVGPRsForWavesPerEU: 1
; Occupancy: 16
; WaveLimiterHint : 0
; COMPUTE_PGM_RSRC2:SCRATCH_EN: 0
; COMPUTE_PGM_RSRC2:USER_SGPR: 15
; COMPUTE_PGM_RSRC2:TRAP_HANDLER: 0
; COMPUTE_PGM_RSRC2:TGID_X_EN: 1
; COMPUTE_PGM_RSRC2:TGID_Y_EN: 0
; COMPUTE_PGM_RSRC2:TGID_Z_EN: 0
; COMPUTE_PGM_RSRC2:TIDIG_COMP_CNT: 0
	.section	.text._ZN7rocprim17ROCPRIM_400000_NS6detail17trampoline_kernelINS0_14default_configENS1_20scan_config_selectorIN3c104HalfEEEZZNS1_9scan_implILNS1_25lookback_scan_determinismE0ELb0ELb0ES3_PKS6_PS6_S6_ZZZN2at6native31launch_logcumsumexp_cuda_kernelERKNSD_10TensorBaseESH_lENKUlvE_clEvENKUlvE3_clEvEUlS6_S6_E_S6_EEDaPvRmT3_T4_T5_mT6_P12ihipStream_tbENKUlT_T0_E_clISt17integral_constantIbLb1EESX_IbLb0EEEEDaST_SU_EUlST_E_NS1_11comp_targetILNS1_3genE4ELNS1_11target_archE910ELNS1_3gpuE8ELNS1_3repE0EEENS1_30default_config_static_selectorELNS0_4arch9wavefront6targetE0EEEvT1_,"axG",@progbits,_ZN7rocprim17ROCPRIM_400000_NS6detail17trampoline_kernelINS0_14default_configENS1_20scan_config_selectorIN3c104HalfEEEZZNS1_9scan_implILNS1_25lookback_scan_determinismE0ELb0ELb0ES3_PKS6_PS6_S6_ZZZN2at6native31launch_logcumsumexp_cuda_kernelERKNSD_10TensorBaseESH_lENKUlvE_clEvENKUlvE3_clEvEUlS6_S6_E_S6_EEDaPvRmT3_T4_T5_mT6_P12ihipStream_tbENKUlT_T0_E_clISt17integral_constantIbLb1EESX_IbLb0EEEEDaST_SU_EUlST_E_NS1_11comp_targetILNS1_3genE4ELNS1_11target_archE910ELNS1_3gpuE8ELNS1_3repE0EEENS1_30default_config_static_selectorELNS0_4arch9wavefront6targetE0EEEvT1_,comdat
	.globl	_ZN7rocprim17ROCPRIM_400000_NS6detail17trampoline_kernelINS0_14default_configENS1_20scan_config_selectorIN3c104HalfEEEZZNS1_9scan_implILNS1_25lookback_scan_determinismE0ELb0ELb0ES3_PKS6_PS6_S6_ZZZN2at6native31launch_logcumsumexp_cuda_kernelERKNSD_10TensorBaseESH_lENKUlvE_clEvENKUlvE3_clEvEUlS6_S6_E_S6_EEDaPvRmT3_T4_T5_mT6_P12ihipStream_tbENKUlT_T0_E_clISt17integral_constantIbLb1EESX_IbLb0EEEEDaST_SU_EUlST_E_NS1_11comp_targetILNS1_3genE4ELNS1_11target_archE910ELNS1_3gpuE8ELNS1_3repE0EEENS1_30default_config_static_selectorELNS0_4arch9wavefront6targetE0EEEvT1_ ; -- Begin function _ZN7rocprim17ROCPRIM_400000_NS6detail17trampoline_kernelINS0_14default_configENS1_20scan_config_selectorIN3c104HalfEEEZZNS1_9scan_implILNS1_25lookback_scan_determinismE0ELb0ELb0ES3_PKS6_PS6_S6_ZZZN2at6native31launch_logcumsumexp_cuda_kernelERKNSD_10TensorBaseESH_lENKUlvE_clEvENKUlvE3_clEvEUlS6_S6_E_S6_EEDaPvRmT3_T4_T5_mT6_P12ihipStream_tbENKUlT_T0_E_clISt17integral_constantIbLb1EESX_IbLb0EEEEDaST_SU_EUlST_E_NS1_11comp_targetILNS1_3genE4ELNS1_11target_archE910ELNS1_3gpuE8ELNS1_3repE0EEENS1_30default_config_static_selectorELNS0_4arch9wavefront6targetE0EEEvT1_
	.p2align	8
	.type	_ZN7rocprim17ROCPRIM_400000_NS6detail17trampoline_kernelINS0_14default_configENS1_20scan_config_selectorIN3c104HalfEEEZZNS1_9scan_implILNS1_25lookback_scan_determinismE0ELb0ELb0ES3_PKS6_PS6_S6_ZZZN2at6native31launch_logcumsumexp_cuda_kernelERKNSD_10TensorBaseESH_lENKUlvE_clEvENKUlvE3_clEvEUlS6_S6_E_S6_EEDaPvRmT3_T4_T5_mT6_P12ihipStream_tbENKUlT_T0_E_clISt17integral_constantIbLb1EESX_IbLb0EEEEDaST_SU_EUlST_E_NS1_11comp_targetILNS1_3genE4ELNS1_11target_archE910ELNS1_3gpuE8ELNS1_3repE0EEENS1_30default_config_static_selectorELNS0_4arch9wavefront6targetE0EEEvT1_,@function
_ZN7rocprim17ROCPRIM_400000_NS6detail17trampoline_kernelINS0_14default_configENS1_20scan_config_selectorIN3c104HalfEEEZZNS1_9scan_implILNS1_25lookback_scan_determinismE0ELb0ELb0ES3_PKS6_PS6_S6_ZZZN2at6native31launch_logcumsumexp_cuda_kernelERKNSD_10TensorBaseESH_lENKUlvE_clEvENKUlvE3_clEvEUlS6_S6_E_S6_EEDaPvRmT3_T4_T5_mT6_P12ihipStream_tbENKUlT_T0_E_clISt17integral_constantIbLb1EESX_IbLb0EEEEDaST_SU_EUlST_E_NS1_11comp_targetILNS1_3genE4ELNS1_11target_archE910ELNS1_3gpuE8ELNS1_3repE0EEENS1_30default_config_static_selectorELNS0_4arch9wavefront6targetE0EEEvT1_: ; @_ZN7rocprim17ROCPRIM_400000_NS6detail17trampoline_kernelINS0_14default_configENS1_20scan_config_selectorIN3c104HalfEEEZZNS1_9scan_implILNS1_25lookback_scan_determinismE0ELb0ELb0ES3_PKS6_PS6_S6_ZZZN2at6native31launch_logcumsumexp_cuda_kernelERKNSD_10TensorBaseESH_lENKUlvE_clEvENKUlvE3_clEvEUlS6_S6_E_S6_EEDaPvRmT3_T4_T5_mT6_P12ihipStream_tbENKUlT_T0_E_clISt17integral_constantIbLb1EESX_IbLb0EEEEDaST_SU_EUlST_E_NS1_11comp_targetILNS1_3genE4ELNS1_11target_archE910ELNS1_3gpuE8ELNS1_3repE0EEENS1_30default_config_static_selectorELNS0_4arch9wavefront6targetE0EEEvT1_
; %bb.0:
	.section	.rodata,"a",@progbits
	.p2align	6, 0x0
	.amdhsa_kernel _ZN7rocprim17ROCPRIM_400000_NS6detail17trampoline_kernelINS0_14default_configENS1_20scan_config_selectorIN3c104HalfEEEZZNS1_9scan_implILNS1_25lookback_scan_determinismE0ELb0ELb0ES3_PKS6_PS6_S6_ZZZN2at6native31launch_logcumsumexp_cuda_kernelERKNSD_10TensorBaseESH_lENKUlvE_clEvENKUlvE3_clEvEUlS6_S6_E_S6_EEDaPvRmT3_T4_T5_mT6_P12ihipStream_tbENKUlT_T0_E_clISt17integral_constantIbLb1EESX_IbLb0EEEEDaST_SU_EUlST_E_NS1_11comp_targetILNS1_3genE4ELNS1_11target_archE910ELNS1_3gpuE8ELNS1_3repE0EEENS1_30default_config_static_selectorELNS0_4arch9wavefront6targetE0EEEvT1_
		.amdhsa_group_segment_fixed_size 0
		.amdhsa_private_segment_fixed_size 0
		.amdhsa_kernarg_size 96
		.amdhsa_user_sgpr_count 15
		.amdhsa_user_sgpr_dispatch_ptr 0
		.amdhsa_user_sgpr_queue_ptr 0
		.amdhsa_user_sgpr_kernarg_segment_ptr 1
		.amdhsa_user_sgpr_dispatch_id 0
		.amdhsa_user_sgpr_private_segment_size 0
		.amdhsa_wavefront_size32 1
		.amdhsa_uses_dynamic_stack 0
		.amdhsa_enable_private_segment 0
		.amdhsa_system_sgpr_workgroup_id_x 1
		.amdhsa_system_sgpr_workgroup_id_y 0
		.amdhsa_system_sgpr_workgroup_id_z 0
		.amdhsa_system_sgpr_workgroup_info 0
		.amdhsa_system_vgpr_workitem_id 0
		.amdhsa_next_free_vgpr 1
		.amdhsa_next_free_sgpr 1
		.amdhsa_reserve_vcc 0
		.amdhsa_float_round_mode_32 0
		.amdhsa_float_round_mode_16_64 0
		.amdhsa_float_denorm_mode_32 3
		.amdhsa_float_denorm_mode_16_64 3
		.amdhsa_dx10_clamp 1
		.amdhsa_ieee_mode 1
		.amdhsa_fp16_overflow 0
		.amdhsa_workgroup_processor_mode 1
		.amdhsa_memory_ordered 1
		.amdhsa_forward_progress 0
		.amdhsa_shared_vgpr_count 0
		.amdhsa_exception_fp_ieee_invalid_op 0
		.amdhsa_exception_fp_denorm_src 0
		.amdhsa_exception_fp_ieee_div_zero 0
		.amdhsa_exception_fp_ieee_overflow 0
		.amdhsa_exception_fp_ieee_underflow 0
		.amdhsa_exception_fp_ieee_inexact 0
		.amdhsa_exception_int_div_zero 0
	.end_amdhsa_kernel
	.section	.text._ZN7rocprim17ROCPRIM_400000_NS6detail17trampoline_kernelINS0_14default_configENS1_20scan_config_selectorIN3c104HalfEEEZZNS1_9scan_implILNS1_25lookback_scan_determinismE0ELb0ELb0ES3_PKS6_PS6_S6_ZZZN2at6native31launch_logcumsumexp_cuda_kernelERKNSD_10TensorBaseESH_lENKUlvE_clEvENKUlvE3_clEvEUlS6_S6_E_S6_EEDaPvRmT3_T4_T5_mT6_P12ihipStream_tbENKUlT_T0_E_clISt17integral_constantIbLb1EESX_IbLb0EEEEDaST_SU_EUlST_E_NS1_11comp_targetILNS1_3genE4ELNS1_11target_archE910ELNS1_3gpuE8ELNS1_3repE0EEENS1_30default_config_static_selectorELNS0_4arch9wavefront6targetE0EEEvT1_,"axG",@progbits,_ZN7rocprim17ROCPRIM_400000_NS6detail17trampoline_kernelINS0_14default_configENS1_20scan_config_selectorIN3c104HalfEEEZZNS1_9scan_implILNS1_25lookback_scan_determinismE0ELb0ELb0ES3_PKS6_PS6_S6_ZZZN2at6native31launch_logcumsumexp_cuda_kernelERKNSD_10TensorBaseESH_lENKUlvE_clEvENKUlvE3_clEvEUlS6_S6_E_S6_EEDaPvRmT3_T4_T5_mT6_P12ihipStream_tbENKUlT_T0_E_clISt17integral_constantIbLb1EESX_IbLb0EEEEDaST_SU_EUlST_E_NS1_11comp_targetILNS1_3genE4ELNS1_11target_archE910ELNS1_3gpuE8ELNS1_3repE0EEENS1_30default_config_static_selectorELNS0_4arch9wavefront6targetE0EEEvT1_,comdat
.Lfunc_end405:
	.size	_ZN7rocprim17ROCPRIM_400000_NS6detail17trampoline_kernelINS0_14default_configENS1_20scan_config_selectorIN3c104HalfEEEZZNS1_9scan_implILNS1_25lookback_scan_determinismE0ELb0ELb0ES3_PKS6_PS6_S6_ZZZN2at6native31launch_logcumsumexp_cuda_kernelERKNSD_10TensorBaseESH_lENKUlvE_clEvENKUlvE3_clEvEUlS6_S6_E_S6_EEDaPvRmT3_T4_T5_mT6_P12ihipStream_tbENKUlT_T0_E_clISt17integral_constantIbLb1EESX_IbLb0EEEEDaST_SU_EUlST_E_NS1_11comp_targetILNS1_3genE4ELNS1_11target_archE910ELNS1_3gpuE8ELNS1_3repE0EEENS1_30default_config_static_selectorELNS0_4arch9wavefront6targetE0EEEvT1_, .Lfunc_end405-_ZN7rocprim17ROCPRIM_400000_NS6detail17trampoline_kernelINS0_14default_configENS1_20scan_config_selectorIN3c104HalfEEEZZNS1_9scan_implILNS1_25lookback_scan_determinismE0ELb0ELb0ES3_PKS6_PS6_S6_ZZZN2at6native31launch_logcumsumexp_cuda_kernelERKNSD_10TensorBaseESH_lENKUlvE_clEvENKUlvE3_clEvEUlS6_S6_E_S6_EEDaPvRmT3_T4_T5_mT6_P12ihipStream_tbENKUlT_T0_E_clISt17integral_constantIbLb1EESX_IbLb0EEEEDaST_SU_EUlST_E_NS1_11comp_targetILNS1_3genE4ELNS1_11target_archE910ELNS1_3gpuE8ELNS1_3repE0EEENS1_30default_config_static_selectorELNS0_4arch9wavefront6targetE0EEEvT1_
                                        ; -- End function
	.section	.AMDGPU.csdata,"",@progbits
; Kernel info:
; codeLenInByte = 0
; NumSgprs: 0
; NumVgprs: 0
; ScratchSize: 0
; MemoryBound: 0
; FloatMode: 240
; IeeeMode: 1
; LDSByteSize: 0 bytes/workgroup (compile time only)
; SGPRBlocks: 0
; VGPRBlocks: 0
; NumSGPRsForWavesPerEU: 1
; NumVGPRsForWavesPerEU: 1
; Occupancy: 16
; WaveLimiterHint : 0
; COMPUTE_PGM_RSRC2:SCRATCH_EN: 0
; COMPUTE_PGM_RSRC2:USER_SGPR: 15
; COMPUTE_PGM_RSRC2:TRAP_HANDLER: 0
; COMPUTE_PGM_RSRC2:TGID_X_EN: 1
; COMPUTE_PGM_RSRC2:TGID_Y_EN: 0
; COMPUTE_PGM_RSRC2:TGID_Z_EN: 0
; COMPUTE_PGM_RSRC2:TIDIG_COMP_CNT: 0
	.section	.text._ZN7rocprim17ROCPRIM_400000_NS6detail17trampoline_kernelINS0_14default_configENS1_20scan_config_selectorIN3c104HalfEEEZZNS1_9scan_implILNS1_25lookback_scan_determinismE0ELb0ELb0ES3_PKS6_PS6_S6_ZZZN2at6native31launch_logcumsumexp_cuda_kernelERKNSD_10TensorBaseESH_lENKUlvE_clEvENKUlvE3_clEvEUlS6_S6_E_S6_EEDaPvRmT3_T4_T5_mT6_P12ihipStream_tbENKUlT_T0_E_clISt17integral_constantIbLb1EESX_IbLb0EEEEDaST_SU_EUlST_E_NS1_11comp_targetILNS1_3genE3ELNS1_11target_archE908ELNS1_3gpuE7ELNS1_3repE0EEENS1_30default_config_static_selectorELNS0_4arch9wavefront6targetE0EEEvT1_,"axG",@progbits,_ZN7rocprim17ROCPRIM_400000_NS6detail17trampoline_kernelINS0_14default_configENS1_20scan_config_selectorIN3c104HalfEEEZZNS1_9scan_implILNS1_25lookback_scan_determinismE0ELb0ELb0ES3_PKS6_PS6_S6_ZZZN2at6native31launch_logcumsumexp_cuda_kernelERKNSD_10TensorBaseESH_lENKUlvE_clEvENKUlvE3_clEvEUlS6_S6_E_S6_EEDaPvRmT3_T4_T5_mT6_P12ihipStream_tbENKUlT_T0_E_clISt17integral_constantIbLb1EESX_IbLb0EEEEDaST_SU_EUlST_E_NS1_11comp_targetILNS1_3genE3ELNS1_11target_archE908ELNS1_3gpuE7ELNS1_3repE0EEENS1_30default_config_static_selectorELNS0_4arch9wavefront6targetE0EEEvT1_,comdat
	.globl	_ZN7rocprim17ROCPRIM_400000_NS6detail17trampoline_kernelINS0_14default_configENS1_20scan_config_selectorIN3c104HalfEEEZZNS1_9scan_implILNS1_25lookback_scan_determinismE0ELb0ELb0ES3_PKS6_PS6_S6_ZZZN2at6native31launch_logcumsumexp_cuda_kernelERKNSD_10TensorBaseESH_lENKUlvE_clEvENKUlvE3_clEvEUlS6_S6_E_S6_EEDaPvRmT3_T4_T5_mT6_P12ihipStream_tbENKUlT_T0_E_clISt17integral_constantIbLb1EESX_IbLb0EEEEDaST_SU_EUlST_E_NS1_11comp_targetILNS1_3genE3ELNS1_11target_archE908ELNS1_3gpuE7ELNS1_3repE0EEENS1_30default_config_static_selectorELNS0_4arch9wavefront6targetE0EEEvT1_ ; -- Begin function _ZN7rocprim17ROCPRIM_400000_NS6detail17trampoline_kernelINS0_14default_configENS1_20scan_config_selectorIN3c104HalfEEEZZNS1_9scan_implILNS1_25lookback_scan_determinismE0ELb0ELb0ES3_PKS6_PS6_S6_ZZZN2at6native31launch_logcumsumexp_cuda_kernelERKNSD_10TensorBaseESH_lENKUlvE_clEvENKUlvE3_clEvEUlS6_S6_E_S6_EEDaPvRmT3_T4_T5_mT6_P12ihipStream_tbENKUlT_T0_E_clISt17integral_constantIbLb1EESX_IbLb0EEEEDaST_SU_EUlST_E_NS1_11comp_targetILNS1_3genE3ELNS1_11target_archE908ELNS1_3gpuE7ELNS1_3repE0EEENS1_30default_config_static_selectorELNS0_4arch9wavefront6targetE0EEEvT1_
	.p2align	8
	.type	_ZN7rocprim17ROCPRIM_400000_NS6detail17trampoline_kernelINS0_14default_configENS1_20scan_config_selectorIN3c104HalfEEEZZNS1_9scan_implILNS1_25lookback_scan_determinismE0ELb0ELb0ES3_PKS6_PS6_S6_ZZZN2at6native31launch_logcumsumexp_cuda_kernelERKNSD_10TensorBaseESH_lENKUlvE_clEvENKUlvE3_clEvEUlS6_S6_E_S6_EEDaPvRmT3_T4_T5_mT6_P12ihipStream_tbENKUlT_T0_E_clISt17integral_constantIbLb1EESX_IbLb0EEEEDaST_SU_EUlST_E_NS1_11comp_targetILNS1_3genE3ELNS1_11target_archE908ELNS1_3gpuE7ELNS1_3repE0EEENS1_30default_config_static_selectorELNS0_4arch9wavefront6targetE0EEEvT1_,@function
_ZN7rocprim17ROCPRIM_400000_NS6detail17trampoline_kernelINS0_14default_configENS1_20scan_config_selectorIN3c104HalfEEEZZNS1_9scan_implILNS1_25lookback_scan_determinismE0ELb0ELb0ES3_PKS6_PS6_S6_ZZZN2at6native31launch_logcumsumexp_cuda_kernelERKNSD_10TensorBaseESH_lENKUlvE_clEvENKUlvE3_clEvEUlS6_S6_E_S6_EEDaPvRmT3_T4_T5_mT6_P12ihipStream_tbENKUlT_T0_E_clISt17integral_constantIbLb1EESX_IbLb0EEEEDaST_SU_EUlST_E_NS1_11comp_targetILNS1_3genE3ELNS1_11target_archE908ELNS1_3gpuE7ELNS1_3repE0EEENS1_30default_config_static_selectorELNS0_4arch9wavefront6targetE0EEEvT1_: ; @_ZN7rocprim17ROCPRIM_400000_NS6detail17trampoline_kernelINS0_14default_configENS1_20scan_config_selectorIN3c104HalfEEEZZNS1_9scan_implILNS1_25lookback_scan_determinismE0ELb0ELb0ES3_PKS6_PS6_S6_ZZZN2at6native31launch_logcumsumexp_cuda_kernelERKNSD_10TensorBaseESH_lENKUlvE_clEvENKUlvE3_clEvEUlS6_S6_E_S6_EEDaPvRmT3_T4_T5_mT6_P12ihipStream_tbENKUlT_T0_E_clISt17integral_constantIbLb1EESX_IbLb0EEEEDaST_SU_EUlST_E_NS1_11comp_targetILNS1_3genE3ELNS1_11target_archE908ELNS1_3gpuE7ELNS1_3repE0EEENS1_30default_config_static_selectorELNS0_4arch9wavefront6targetE0EEEvT1_
; %bb.0:
	.section	.rodata,"a",@progbits
	.p2align	6, 0x0
	.amdhsa_kernel _ZN7rocprim17ROCPRIM_400000_NS6detail17trampoline_kernelINS0_14default_configENS1_20scan_config_selectorIN3c104HalfEEEZZNS1_9scan_implILNS1_25lookback_scan_determinismE0ELb0ELb0ES3_PKS6_PS6_S6_ZZZN2at6native31launch_logcumsumexp_cuda_kernelERKNSD_10TensorBaseESH_lENKUlvE_clEvENKUlvE3_clEvEUlS6_S6_E_S6_EEDaPvRmT3_T4_T5_mT6_P12ihipStream_tbENKUlT_T0_E_clISt17integral_constantIbLb1EESX_IbLb0EEEEDaST_SU_EUlST_E_NS1_11comp_targetILNS1_3genE3ELNS1_11target_archE908ELNS1_3gpuE7ELNS1_3repE0EEENS1_30default_config_static_selectorELNS0_4arch9wavefront6targetE0EEEvT1_
		.amdhsa_group_segment_fixed_size 0
		.amdhsa_private_segment_fixed_size 0
		.amdhsa_kernarg_size 96
		.amdhsa_user_sgpr_count 15
		.amdhsa_user_sgpr_dispatch_ptr 0
		.amdhsa_user_sgpr_queue_ptr 0
		.amdhsa_user_sgpr_kernarg_segment_ptr 1
		.amdhsa_user_sgpr_dispatch_id 0
		.amdhsa_user_sgpr_private_segment_size 0
		.amdhsa_wavefront_size32 1
		.amdhsa_uses_dynamic_stack 0
		.amdhsa_enable_private_segment 0
		.amdhsa_system_sgpr_workgroup_id_x 1
		.amdhsa_system_sgpr_workgroup_id_y 0
		.amdhsa_system_sgpr_workgroup_id_z 0
		.amdhsa_system_sgpr_workgroup_info 0
		.amdhsa_system_vgpr_workitem_id 0
		.amdhsa_next_free_vgpr 1
		.amdhsa_next_free_sgpr 1
		.amdhsa_reserve_vcc 0
		.amdhsa_float_round_mode_32 0
		.amdhsa_float_round_mode_16_64 0
		.amdhsa_float_denorm_mode_32 3
		.amdhsa_float_denorm_mode_16_64 3
		.amdhsa_dx10_clamp 1
		.amdhsa_ieee_mode 1
		.amdhsa_fp16_overflow 0
		.amdhsa_workgroup_processor_mode 1
		.amdhsa_memory_ordered 1
		.amdhsa_forward_progress 0
		.amdhsa_shared_vgpr_count 0
		.amdhsa_exception_fp_ieee_invalid_op 0
		.amdhsa_exception_fp_denorm_src 0
		.amdhsa_exception_fp_ieee_div_zero 0
		.amdhsa_exception_fp_ieee_overflow 0
		.amdhsa_exception_fp_ieee_underflow 0
		.amdhsa_exception_fp_ieee_inexact 0
		.amdhsa_exception_int_div_zero 0
	.end_amdhsa_kernel
	.section	.text._ZN7rocprim17ROCPRIM_400000_NS6detail17trampoline_kernelINS0_14default_configENS1_20scan_config_selectorIN3c104HalfEEEZZNS1_9scan_implILNS1_25lookback_scan_determinismE0ELb0ELb0ES3_PKS6_PS6_S6_ZZZN2at6native31launch_logcumsumexp_cuda_kernelERKNSD_10TensorBaseESH_lENKUlvE_clEvENKUlvE3_clEvEUlS6_S6_E_S6_EEDaPvRmT3_T4_T5_mT6_P12ihipStream_tbENKUlT_T0_E_clISt17integral_constantIbLb1EESX_IbLb0EEEEDaST_SU_EUlST_E_NS1_11comp_targetILNS1_3genE3ELNS1_11target_archE908ELNS1_3gpuE7ELNS1_3repE0EEENS1_30default_config_static_selectorELNS0_4arch9wavefront6targetE0EEEvT1_,"axG",@progbits,_ZN7rocprim17ROCPRIM_400000_NS6detail17trampoline_kernelINS0_14default_configENS1_20scan_config_selectorIN3c104HalfEEEZZNS1_9scan_implILNS1_25lookback_scan_determinismE0ELb0ELb0ES3_PKS6_PS6_S6_ZZZN2at6native31launch_logcumsumexp_cuda_kernelERKNSD_10TensorBaseESH_lENKUlvE_clEvENKUlvE3_clEvEUlS6_S6_E_S6_EEDaPvRmT3_T4_T5_mT6_P12ihipStream_tbENKUlT_T0_E_clISt17integral_constantIbLb1EESX_IbLb0EEEEDaST_SU_EUlST_E_NS1_11comp_targetILNS1_3genE3ELNS1_11target_archE908ELNS1_3gpuE7ELNS1_3repE0EEENS1_30default_config_static_selectorELNS0_4arch9wavefront6targetE0EEEvT1_,comdat
.Lfunc_end406:
	.size	_ZN7rocprim17ROCPRIM_400000_NS6detail17trampoline_kernelINS0_14default_configENS1_20scan_config_selectorIN3c104HalfEEEZZNS1_9scan_implILNS1_25lookback_scan_determinismE0ELb0ELb0ES3_PKS6_PS6_S6_ZZZN2at6native31launch_logcumsumexp_cuda_kernelERKNSD_10TensorBaseESH_lENKUlvE_clEvENKUlvE3_clEvEUlS6_S6_E_S6_EEDaPvRmT3_T4_T5_mT6_P12ihipStream_tbENKUlT_T0_E_clISt17integral_constantIbLb1EESX_IbLb0EEEEDaST_SU_EUlST_E_NS1_11comp_targetILNS1_3genE3ELNS1_11target_archE908ELNS1_3gpuE7ELNS1_3repE0EEENS1_30default_config_static_selectorELNS0_4arch9wavefront6targetE0EEEvT1_, .Lfunc_end406-_ZN7rocprim17ROCPRIM_400000_NS6detail17trampoline_kernelINS0_14default_configENS1_20scan_config_selectorIN3c104HalfEEEZZNS1_9scan_implILNS1_25lookback_scan_determinismE0ELb0ELb0ES3_PKS6_PS6_S6_ZZZN2at6native31launch_logcumsumexp_cuda_kernelERKNSD_10TensorBaseESH_lENKUlvE_clEvENKUlvE3_clEvEUlS6_S6_E_S6_EEDaPvRmT3_T4_T5_mT6_P12ihipStream_tbENKUlT_T0_E_clISt17integral_constantIbLb1EESX_IbLb0EEEEDaST_SU_EUlST_E_NS1_11comp_targetILNS1_3genE3ELNS1_11target_archE908ELNS1_3gpuE7ELNS1_3repE0EEENS1_30default_config_static_selectorELNS0_4arch9wavefront6targetE0EEEvT1_
                                        ; -- End function
	.section	.AMDGPU.csdata,"",@progbits
; Kernel info:
; codeLenInByte = 0
; NumSgprs: 0
; NumVgprs: 0
; ScratchSize: 0
; MemoryBound: 0
; FloatMode: 240
; IeeeMode: 1
; LDSByteSize: 0 bytes/workgroup (compile time only)
; SGPRBlocks: 0
; VGPRBlocks: 0
; NumSGPRsForWavesPerEU: 1
; NumVGPRsForWavesPerEU: 1
; Occupancy: 16
; WaveLimiterHint : 0
; COMPUTE_PGM_RSRC2:SCRATCH_EN: 0
; COMPUTE_PGM_RSRC2:USER_SGPR: 15
; COMPUTE_PGM_RSRC2:TRAP_HANDLER: 0
; COMPUTE_PGM_RSRC2:TGID_X_EN: 1
; COMPUTE_PGM_RSRC2:TGID_Y_EN: 0
; COMPUTE_PGM_RSRC2:TGID_Z_EN: 0
; COMPUTE_PGM_RSRC2:TIDIG_COMP_CNT: 0
	.section	.text._ZN7rocprim17ROCPRIM_400000_NS6detail17trampoline_kernelINS0_14default_configENS1_20scan_config_selectorIN3c104HalfEEEZZNS1_9scan_implILNS1_25lookback_scan_determinismE0ELb0ELb0ES3_PKS6_PS6_S6_ZZZN2at6native31launch_logcumsumexp_cuda_kernelERKNSD_10TensorBaseESH_lENKUlvE_clEvENKUlvE3_clEvEUlS6_S6_E_S6_EEDaPvRmT3_T4_T5_mT6_P12ihipStream_tbENKUlT_T0_E_clISt17integral_constantIbLb1EESX_IbLb0EEEEDaST_SU_EUlST_E_NS1_11comp_targetILNS1_3genE2ELNS1_11target_archE906ELNS1_3gpuE6ELNS1_3repE0EEENS1_30default_config_static_selectorELNS0_4arch9wavefront6targetE0EEEvT1_,"axG",@progbits,_ZN7rocprim17ROCPRIM_400000_NS6detail17trampoline_kernelINS0_14default_configENS1_20scan_config_selectorIN3c104HalfEEEZZNS1_9scan_implILNS1_25lookback_scan_determinismE0ELb0ELb0ES3_PKS6_PS6_S6_ZZZN2at6native31launch_logcumsumexp_cuda_kernelERKNSD_10TensorBaseESH_lENKUlvE_clEvENKUlvE3_clEvEUlS6_S6_E_S6_EEDaPvRmT3_T4_T5_mT6_P12ihipStream_tbENKUlT_T0_E_clISt17integral_constantIbLb1EESX_IbLb0EEEEDaST_SU_EUlST_E_NS1_11comp_targetILNS1_3genE2ELNS1_11target_archE906ELNS1_3gpuE6ELNS1_3repE0EEENS1_30default_config_static_selectorELNS0_4arch9wavefront6targetE0EEEvT1_,comdat
	.globl	_ZN7rocprim17ROCPRIM_400000_NS6detail17trampoline_kernelINS0_14default_configENS1_20scan_config_selectorIN3c104HalfEEEZZNS1_9scan_implILNS1_25lookback_scan_determinismE0ELb0ELb0ES3_PKS6_PS6_S6_ZZZN2at6native31launch_logcumsumexp_cuda_kernelERKNSD_10TensorBaseESH_lENKUlvE_clEvENKUlvE3_clEvEUlS6_S6_E_S6_EEDaPvRmT3_T4_T5_mT6_P12ihipStream_tbENKUlT_T0_E_clISt17integral_constantIbLb1EESX_IbLb0EEEEDaST_SU_EUlST_E_NS1_11comp_targetILNS1_3genE2ELNS1_11target_archE906ELNS1_3gpuE6ELNS1_3repE0EEENS1_30default_config_static_selectorELNS0_4arch9wavefront6targetE0EEEvT1_ ; -- Begin function _ZN7rocprim17ROCPRIM_400000_NS6detail17trampoline_kernelINS0_14default_configENS1_20scan_config_selectorIN3c104HalfEEEZZNS1_9scan_implILNS1_25lookback_scan_determinismE0ELb0ELb0ES3_PKS6_PS6_S6_ZZZN2at6native31launch_logcumsumexp_cuda_kernelERKNSD_10TensorBaseESH_lENKUlvE_clEvENKUlvE3_clEvEUlS6_S6_E_S6_EEDaPvRmT3_T4_T5_mT6_P12ihipStream_tbENKUlT_T0_E_clISt17integral_constantIbLb1EESX_IbLb0EEEEDaST_SU_EUlST_E_NS1_11comp_targetILNS1_3genE2ELNS1_11target_archE906ELNS1_3gpuE6ELNS1_3repE0EEENS1_30default_config_static_selectorELNS0_4arch9wavefront6targetE0EEEvT1_
	.p2align	8
	.type	_ZN7rocprim17ROCPRIM_400000_NS6detail17trampoline_kernelINS0_14default_configENS1_20scan_config_selectorIN3c104HalfEEEZZNS1_9scan_implILNS1_25lookback_scan_determinismE0ELb0ELb0ES3_PKS6_PS6_S6_ZZZN2at6native31launch_logcumsumexp_cuda_kernelERKNSD_10TensorBaseESH_lENKUlvE_clEvENKUlvE3_clEvEUlS6_S6_E_S6_EEDaPvRmT3_T4_T5_mT6_P12ihipStream_tbENKUlT_T0_E_clISt17integral_constantIbLb1EESX_IbLb0EEEEDaST_SU_EUlST_E_NS1_11comp_targetILNS1_3genE2ELNS1_11target_archE906ELNS1_3gpuE6ELNS1_3repE0EEENS1_30default_config_static_selectorELNS0_4arch9wavefront6targetE0EEEvT1_,@function
_ZN7rocprim17ROCPRIM_400000_NS6detail17trampoline_kernelINS0_14default_configENS1_20scan_config_selectorIN3c104HalfEEEZZNS1_9scan_implILNS1_25lookback_scan_determinismE0ELb0ELb0ES3_PKS6_PS6_S6_ZZZN2at6native31launch_logcumsumexp_cuda_kernelERKNSD_10TensorBaseESH_lENKUlvE_clEvENKUlvE3_clEvEUlS6_S6_E_S6_EEDaPvRmT3_T4_T5_mT6_P12ihipStream_tbENKUlT_T0_E_clISt17integral_constantIbLb1EESX_IbLb0EEEEDaST_SU_EUlST_E_NS1_11comp_targetILNS1_3genE2ELNS1_11target_archE906ELNS1_3gpuE6ELNS1_3repE0EEENS1_30default_config_static_selectorELNS0_4arch9wavefront6targetE0EEEvT1_: ; @_ZN7rocprim17ROCPRIM_400000_NS6detail17trampoline_kernelINS0_14default_configENS1_20scan_config_selectorIN3c104HalfEEEZZNS1_9scan_implILNS1_25lookback_scan_determinismE0ELb0ELb0ES3_PKS6_PS6_S6_ZZZN2at6native31launch_logcumsumexp_cuda_kernelERKNSD_10TensorBaseESH_lENKUlvE_clEvENKUlvE3_clEvEUlS6_S6_E_S6_EEDaPvRmT3_T4_T5_mT6_P12ihipStream_tbENKUlT_T0_E_clISt17integral_constantIbLb1EESX_IbLb0EEEEDaST_SU_EUlST_E_NS1_11comp_targetILNS1_3genE2ELNS1_11target_archE906ELNS1_3gpuE6ELNS1_3repE0EEENS1_30default_config_static_selectorELNS0_4arch9wavefront6targetE0EEEvT1_
; %bb.0:
	.section	.rodata,"a",@progbits
	.p2align	6, 0x0
	.amdhsa_kernel _ZN7rocprim17ROCPRIM_400000_NS6detail17trampoline_kernelINS0_14default_configENS1_20scan_config_selectorIN3c104HalfEEEZZNS1_9scan_implILNS1_25lookback_scan_determinismE0ELb0ELb0ES3_PKS6_PS6_S6_ZZZN2at6native31launch_logcumsumexp_cuda_kernelERKNSD_10TensorBaseESH_lENKUlvE_clEvENKUlvE3_clEvEUlS6_S6_E_S6_EEDaPvRmT3_T4_T5_mT6_P12ihipStream_tbENKUlT_T0_E_clISt17integral_constantIbLb1EESX_IbLb0EEEEDaST_SU_EUlST_E_NS1_11comp_targetILNS1_3genE2ELNS1_11target_archE906ELNS1_3gpuE6ELNS1_3repE0EEENS1_30default_config_static_selectorELNS0_4arch9wavefront6targetE0EEEvT1_
		.amdhsa_group_segment_fixed_size 0
		.amdhsa_private_segment_fixed_size 0
		.amdhsa_kernarg_size 96
		.amdhsa_user_sgpr_count 15
		.amdhsa_user_sgpr_dispatch_ptr 0
		.amdhsa_user_sgpr_queue_ptr 0
		.amdhsa_user_sgpr_kernarg_segment_ptr 1
		.amdhsa_user_sgpr_dispatch_id 0
		.amdhsa_user_sgpr_private_segment_size 0
		.amdhsa_wavefront_size32 1
		.amdhsa_uses_dynamic_stack 0
		.amdhsa_enable_private_segment 0
		.amdhsa_system_sgpr_workgroup_id_x 1
		.amdhsa_system_sgpr_workgroup_id_y 0
		.amdhsa_system_sgpr_workgroup_id_z 0
		.amdhsa_system_sgpr_workgroup_info 0
		.amdhsa_system_vgpr_workitem_id 0
		.amdhsa_next_free_vgpr 1
		.amdhsa_next_free_sgpr 1
		.amdhsa_reserve_vcc 0
		.amdhsa_float_round_mode_32 0
		.amdhsa_float_round_mode_16_64 0
		.amdhsa_float_denorm_mode_32 3
		.amdhsa_float_denorm_mode_16_64 3
		.amdhsa_dx10_clamp 1
		.amdhsa_ieee_mode 1
		.amdhsa_fp16_overflow 0
		.amdhsa_workgroup_processor_mode 1
		.amdhsa_memory_ordered 1
		.amdhsa_forward_progress 0
		.amdhsa_shared_vgpr_count 0
		.amdhsa_exception_fp_ieee_invalid_op 0
		.amdhsa_exception_fp_denorm_src 0
		.amdhsa_exception_fp_ieee_div_zero 0
		.amdhsa_exception_fp_ieee_overflow 0
		.amdhsa_exception_fp_ieee_underflow 0
		.amdhsa_exception_fp_ieee_inexact 0
		.amdhsa_exception_int_div_zero 0
	.end_amdhsa_kernel
	.section	.text._ZN7rocprim17ROCPRIM_400000_NS6detail17trampoline_kernelINS0_14default_configENS1_20scan_config_selectorIN3c104HalfEEEZZNS1_9scan_implILNS1_25lookback_scan_determinismE0ELb0ELb0ES3_PKS6_PS6_S6_ZZZN2at6native31launch_logcumsumexp_cuda_kernelERKNSD_10TensorBaseESH_lENKUlvE_clEvENKUlvE3_clEvEUlS6_S6_E_S6_EEDaPvRmT3_T4_T5_mT6_P12ihipStream_tbENKUlT_T0_E_clISt17integral_constantIbLb1EESX_IbLb0EEEEDaST_SU_EUlST_E_NS1_11comp_targetILNS1_3genE2ELNS1_11target_archE906ELNS1_3gpuE6ELNS1_3repE0EEENS1_30default_config_static_selectorELNS0_4arch9wavefront6targetE0EEEvT1_,"axG",@progbits,_ZN7rocprim17ROCPRIM_400000_NS6detail17trampoline_kernelINS0_14default_configENS1_20scan_config_selectorIN3c104HalfEEEZZNS1_9scan_implILNS1_25lookback_scan_determinismE0ELb0ELb0ES3_PKS6_PS6_S6_ZZZN2at6native31launch_logcumsumexp_cuda_kernelERKNSD_10TensorBaseESH_lENKUlvE_clEvENKUlvE3_clEvEUlS6_S6_E_S6_EEDaPvRmT3_T4_T5_mT6_P12ihipStream_tbENKUlT_T0_E_clISt17integral_constantIbLb1EESX_IbLb0EEEEDaST_SU_EUlST_E_NS1_11comp_targetILNS1_3genE2ELNS1_11target_archE906ELNS1_3gpuE6ELNS1_3repE0EEENS1_30default_config_static_selectorELNS0_4arch9wavefront6targetE0EEEvT1_,comdat
.Lfunc_end407:
	.size	_ZN7rocprim17ROCPRIM_400000_NS6detail17trampoline_kernelINS0_14default_configENS1_20scan_config_selectorIN3c104HalfEEEZZNS1_9scan_implILNS1_25lookback_scan_determinismE0ELb0ELb0ES3_PKS6_PS6_S6_ZZZN2at6native31launch_logcumsumexp_cuda_kernelERKNSD_10TensorBaseESH_lENKUlvE_clEvENKUlvE3_clEvEUlS6_S6_E_S6_EEDaPvRmT3_T4_T5_mT6_P12ihipStream_tbENKUlT_T0_E_clISt17integral_constantIbLb1EESX_IbLb0EEEEDaST_SU_EUlST_E_NS1_11comp_targetILNS1_3genE2ELNS1_11target_archE906ELNS1_3gpuE6ELNS1_3repE0EEENS1_30default_config_static_selectorELNS0_4arch9wavefront6targetE0EEEvT1_, .Lfunc_end407-_ZN7rocprim17ROCPRIM_400000_NS6detail17trampoline_kernelINS0_14default_configENS1_20scan_config_selectorIN3c104HalfEEEZZNS1_9scan_implILNS1_25lookback_scan_determinismE0ELb0ELb0ES3_PKS6_PS6_S6_ZZZN2at6native31launch_logcumsumexp_cuda_kernelERKNSD_10TensorBaseESH_lENKUlvE_clEvENKUlvE3_clEvEUlS6_S6_E_S6_EEDaPvRmT3_T4_T5_mT6_P12ihipStream_tbENKUlT_T0_E_clISt17integral_constantIbLb1EESX_IbLb0EEEEDaST_SU_EUlST_E_NS1_11comp_targetILNS1_3genE2ELNS1_11target_archE906ELNS1_3gpuE6ELNS1_3repE0EEENS1_30default_config_static_selectorELNS0_4arch9wavefront6targetE0EEEvT1_
                                        ; -- End function
	.section	.AMDGPU.csdata,"",@progbits
; Kernel info:
; codeLenInByte = 0
; NumSgprs: 0
; NumVgprs: 0
; ScratchSize: 0
; MemoryBound: 0
; FloatMode: 240
; IeeeMode: 1
; LDSByteSize: 0 bytes/workgroup (compile time only)
; SGPRBlocks: 0
; VGPRBlocks: 0
; NumSGPRsForWavesPerEU: 1
; NumVGPRsForWavesPerEU: 1
; Occupancy: 16
; WaveLimiterHint : 0
; COMPUTE_PGM_RSRC2:SCRATCH_EN: 0
; COMPUTE_PGM_RSRC2:USER_SGPR: 15
; COMPUTE_PGM_RSRC2:TRAP_HANDLER: 0
; COMPUTE_PGM_RSRC2:TGID_X_EN: 1
; COMPUTE_PGM_RSRC2:TGID_Y_EN: 0
; COMPUTE_PGM_RSRC2:TGID_Z_EN: 0
; COMPUTE_PGM_RSRC2:TIDIG_COMP_CNT: 0
	.section	.text._ZN7rocprim17ROCPRIM_400000_NS6detail17trampoline_kernelINS0_14default_configENS1_20scan_config_selectorIN3c104HalfEEEZZNS1_9scan_implILNS1_25lookback_scan_determinismE0ELb0ELb0ES3_PKS6_PS6_S6_ZZZN2at6native31launch_logcumsumexp_cuda_kernelERKNSD_10TensorBaseESH_lENKUlvE_clEvENKUlvE3_clEvEUlS6_S6_E_S6_EEDaPvRmT3_T4_T5_mT6_P12ihipStream_tbENKUlT_T0_E_clISt17integral_constantIbLb1EESX_IbLb0EEEEDaST_SU_EUlST_E_NS1_11comp_targetILNS1_3genE10ELNS1_11target_archE1201ELNS1_3gpuE5ELNS1_3repE0EEENS1_30default_config_static_selectorELNS0_4arch9wavefront6targetE0EEEvT1_,"axG",@progbits,_ZN7rocprim17ROCPRIM_400000_NS6detail17trampoline_kernelINS0_14default_configENS1_20scan_config_selectorIN3c104HalfEEEZZNS1_9scan_implILNS1_25lookback_scan_determinismE0ELb0ELb0ES3_PKS6_PS6_S6_ZZZN2at6native31launch_logcumsumexp_cuda_kernelERKNSD_10TensorBaseESH_lENKUlvE_clEvENKUlvE3_clEvEUlS6_S6_E_S6_EEDaPvRmT3_T4_T5_mT6_P12ihipStream_tbENKUlT_T0_E_clISt17integral_constantIbLb1EESX_IbLb0EEEEDaST_SU_EUlST_E_NS1_11comp_targetILNS1_3genE10ELNS1_11target_archE1201ELNS1_3gpuE5ELNS1_3repE0EEENS1_30default_config_static_selectorELNS0_4arch9wavefront6targetE0EEEvT1_,comdat
	.globl	_ZN7rocprim17ROCPRIM_400000_NS6detail17trampoline_kernelINS0_14default_configENS1_20scan_config_selectorIN3c104HalfEEEZZNS1_9scan_implILNS1_25lookback_scan_determinismE0ELb0ELb0ES3_PKS6_PS6_S6_ZZZN2at6native31launch_logcumsumexp_cuda_kernelERKNSD_10TensorBaseESH_lENKUlvE_clEvENKUlvE3_clEvEUlS6_S6_E_S6_EEDaPvRmT3_T4_T5_mT6_P12ihipStream_tbENKUlT_T0_E_clISt17integral_constantIbLb1EESX_IbLb0EEEEDaST_SU_EUlST_E_NS1_11comp_targetILNS1_3genE10ELNS1_11target_archE1201ELNS1_3gpuE5ELNS1_3repE0EEENS1_30default_config_static_selectorELNS0_4arch9wavefront6targetE0EEEvT1_ ; -- Begin function _ZN7rocprim17ROCPRIM_400000_NS6detail17trampoline_kernelINS0_14default_configENS1_20scan_config_selectorIN3c104HalfEEEZZNS1_9scan_implILNS1_25lookback_scan_determinismE0ELb0ELb0ES3_PKS6_PS6_S6_ZZZN2at6native31launch_logcumsumexp_cuda_kernelERKNSD_10TensorBaseESH_lENKUlvE_clEvENKUlvE3_clEvEUlS6_S6_E_S6_EEDaPvRmT3_T4_T5_mT6_P12ihipStream_tbENKUlT_T0_E_clISt17integral_constantIbLb1EESX_IbLb0EEEEDaST_SU_EUlST_E_NS1_11comp_targetILNS1_3genE10ELNS1_11target_archE1201ELNS1_3gpuE5ELNS1_3repE0EEENS1_30default_config_static_selectorELNS0_4arch9wavefront6targetE0EEEvT1_
	.p2align	8
	.type	_ZN7rocprim17ROCPRIM_400000_NS6detail17trampoline_kernelINS0_14default_configENS1_20scan_config_selectorIN3c104HalfEEEZZNS1_9scan_implILNS1_25lookback_scan_determinismE0ELb0ELb0ES3_PKS6_PS6_S6_ZZZN2at6native31launch_logcumsumexp_cuda_kernelERKNSD_10TensorBaseESH_lENKUlvE_clEvENKUlvE3_clEvEUlS6_S6_E_S6_EEDaPvRmT3_T4_T5_mT6_P12ihipStream_tbENKUlT_T0_E_clISt17integral_constantIbLb1EESX_IbLb0EEEEDaST_SU_EUlST_E_NS1_11comp_targetILNS1_3genE10ELNS1_11target_archE1201ELNS1_3gpuE5ELNS1_3repE0EEENS1_30default_config_static_selectorELNS0_4arch9wavefront6targetE0EEEvT1_,@function
_ZN7rocprim17ROCPRIM_400000_NS6detail17trampoline_kernelINS0_14default_configENS1_20scan_config_selectorIN3c104HalfEEEZZNS1_9scan_implILNS1_25lookback_scan_determinismE0ELb0ELb0ES3_PKS6_PS6_S6_ZZZN2at6native31launch_logcumsumexp_cuda_kernelERKNSD_10TensorBaseESH_lENKUlvE_clEvENKUlvE3_clEvEUlS6_S6_E_S6_EEDaPvRmT3_T4_T5_mT6_P12ihipStream_tbENKUlT_T0_E_clISt17integral_constantIbLb1EESX_IbLb0EEEEDaST_SU_EUlST_E_NS1_11comp_targetILNS1_3genE10ELNS1_11target_archE1201ELNS1_3gpuE5ELNS1_3repE0EEENS1_30default_config_static_selectorELNS0_4arch9wavefront6targetE0EEEvT1_: ; @_ZN7rocprim17ROCPRIM_400000_NS6detail17trampoline_kernelINS0_14default_configENS1_20scan_config_selectorIN3c104HalfEEEZZNS1_9scan_implILNS1_25lookback_scan_determinismE0ELb0ELb0ES3_PKS6_PS6_S6_ZZZN2at6native31launch_logcumsumexp_cuda_kernelERKNSD_10TensorBaseESH_lENKUlvE_clEvENKUlvE3_clEvEUlS6_S6_E_S6_EEDaPvRmT3_T4_T5_mT6_P12ihipStream_tbENKUlT_T0_E_clISt17integral_constantIbLb1EESX_IbLb0EEEEDaST_SU_EUlST_E_NS1_11comp_targetILNS1_3genE10ELNS1_11target_archE1201ELNS1_3gpuE5ELNS1_3repE0EEENS1_30default_config_static_selectorELNS0_4arch9wavefront6targetE0EEEvT1_
; %bb.0:
	.section	.rodata,"a",@progbits
	.p2align	6, 0x0
	.amdhsa_kernel _ZN7rocprim17ROCPRIM_400000_NS6detail17trampoline_kernelINS0_14default_configENS1_20scan_config_selectorIN3c104HalfEEEZZNS1_9scan_implILNS1_25lookback_scan_determinismE0ELb0ELb0ES3_PKS6_PS6_S6_ZZZN2at6native31launch_logcumsumexp_cuda_kernelERKNSD_10TensorBaseESH_lENKUlvE_clEvENKUlvE3_clEvEUlS6_S6_E_S6_EEDaPvRmT3_T4_T5_mT6_P12ihipStream_tbENKUlT_T0_E_clISt17integral_constantIbLb1EESX_IbLb0EEEEDaST_SU_EUlST_E_NS1_11comp_targetILNS1_3genE10ELNS1_11target_archE1201ELNS1_3gpuE5ELNS1_3repE0EEENS1_30default_config_static_selectorELNS0_4arch9wavefront6targetE0EEEvT1_
		.amdhsa_group_segment_fixed_size 0
		.amdhsa_private_segment_fixed_size 0
		.amdhsa_kernarg_size 96
		.amdhsa_user_sgpr_count 15
		.amdhsa_user_sgpr_dispatch_ptr 0
		.amdhsa_user_sgpr_queue_ptr 0
		.amdhsa_user_sgpr_kernarg_segment_ptr 1
		.amdhsa_user_sgpr_dispatch_id 0
		.amdhsa_user_sgpr_private_segment_size 0
		.amdhsa_wavefront_size32 1
		.amdhsa_uses_dynamic_stack 0
		.amdhsa_enable_private_segment 0
		.amdhsa_system_sgpr_workgroup_id_x 1
		.amdhsa_system_sgpr_workgroup_id_y 0
		.amdhsa_system_sgpr_workgroup_id_z 0
		.amdhsa_system_sgpr_workgroup_info 0
		.amdhsa_system_vgpr_workitem_id 0
		.amdhsa_next_free_vgpr 1
		.amdhsa_next_free_sgpr 1
		.amdhsa_reserve_vcc 0
		.amdhsa_float_round_mode_32 0
		.amdhsa_float_round_mode_16_64 0
		.amdhsa_float_denorm_mode_32 3
		.amdhsa_float_denorm_mode_16_64 3
		.amdhsa_dx10_clamp 1
		.amdhsa_ieee_mode 1
		.amdhsa_fp16_overflow 0
		.amdhsa_workgroup_processor_mode 1
		.amdhsa_memory_ordered 1
		.amdhsa_forward_progress 0
		.amdhsa_shared_vgpr_count 0
		.amdhsa_exception_fp_ieee_invalid_op 0
		.amdhsa_exception_fp_denorm_src 0
		.amdhsa_exception_fp_ieee_div_zero 0
		.amdhsa_exception_fp_ieee_overflow 0
		.amdhsa_exception_fp_ieee_underflow 0
		.amdhsa_exception_fp_ieee_inexact 0
		.amdhsa_exception_int_div_zero 0
	.end_amdhsa_kernel
	.section	.text._ZN7rocprim17ROCPRIM_400000_NS6detail17trampoline_kernelINS0_14default_configENS1_20scan_config_selectorIN3c104HalfEEEZZNS1_9scan_implILNS1_25lookback_scan_determinismE0ELb0ELb0ES3_PKS6_PS6_S6_ZZZN2at6native31launch_logcumsumexp_cuda_kernelERKNSD_10TensorBaseESH_lENKUlvE_clEvENKUlvE3_clEvEUlS6_S6_E_S6_EEDaPvRmT3_T4_T5_mT6_P12ihipStream_tbENKUlT_T0_E_clISt17integral_constantIbLb1EESX_IbLb0EEEEDaST_SU_EUlST_E_NS1_11comp_targetILNS1_3genE10ELNS1_11target_archE1201ELNS1_3gpuE5ELNS1_3repE0EEENS1_30default_config_static_selectorELNS0_4arch9wavefront6targetE0EEEvT1_,"axG",@progbits,_ZN7rocprim17ROCPRIM_400000_NS6detail17trampoline_kernelINS0_14default_configENS1_20scan_config_selectorIN3c104HalfEEEZZNS1_9scan_implILNS1_25lookback_scan_determinismE0ELb0ELb0ES3_PKS6_PS6_S6_ZZZN2at6native31launch_logcumsumexp_cuda_kernelERKNSD_10TensorBaseESH_lENKUlvE_clEvENKUlvE3_clEvEUlS6_S6_E_S6_EEDaPvRmT3_T4_T5_mT6_P12ihipStream_tbENKUlT_T0_E_clISt17integral_constantIbLb1EESX_IbLb0EEEEDaST_SU_EUlST_E_NS1_11comp_targetILNS1_3genE10ELNS1_11target_archE1201ELNS1_3gpuE5ELNS1_3repE0EEENS1_30default_config_static_selectorELNS0_4arch9wavefront6targetE0EEEvT1_,comdat
.Lfunc_end408:
	.size	_ZN7rocprim17ROCPRIM_400000_NS6detail17trampoline_kernelINS0_14default_configENS1_20scan_config_selectorIN3c104HalfEEEZZNS1_9scan_implILNS1_25lookback_scan_determinismE0ELb0ELb0ES3_PKS6_PS6_S6_ZZZN2at6native31launch_logcumsumexp_cuda_kernelERKNSD_10TensorBaseESH_lENKUlvE_clEvENKUlvE3_clEvEUlS6_S6_E_S6_EEDaPvRmT3_T4_T5_mT6_P12ihipStream_tbENKUlT_T0_E_clISt17integral_constantIbLb1EESX_IbLb0EEEEDaST_SU_EUlST_E_NS1_11comp_targetILNS1_3genE10ELNS1_11target_archE1201ELNS1_3gpuE5ELNS1_3repE0EEENS1_30default_config_static_selectorELNS0_4arch9wavefront6targetE0EEEvT1_, .Lfunc_end408-_ZN7rocprim17ROCPRIM_400000_NS6detail17trampoline_kernelINS0_14default_configENS1_20scan_config_selectorIN3c104HalfEEEZZNS1_9scan_implILNS1_25lookback_scan_determinismE0ELb0ELb0ES3_PKS6_PS6_S6_ZZZN2at6native31launch_logcumsumexp_cuda_kernelERKNSD_10TensorBaseESH_lENKUlvE_clEvENKUlvE3_clEvEUlS6_S6_E_S6_EEDaPvRmT3_T4_T5_mT6_P12ihipStream_tbENKUlT_T0_E_clISt17integral_constantIbLb1EESX_IbLb0EEEEDaST_SU_EUlST_E_NS1_11comp_targetILNS1_3genE10ELNS1_11target_archE1201ELNS1_3gpuE5ELNS1_3repE0EEENS1_30default_config_static_selectorELNS0_4arch9wavefront6targetE0EEEvT1_
                                        ; -- End function
	.section	.AMDGPU.csdata,"",@progbits
; Kernel info:
; codeLenInByte = 0
; NumSgprs: 0
; NumVgprs: 0
; ScratchSize: 0
; MemoryBound: 0
; FloatMode: 240
; IeeeMode: 1
; LDSByteSize: 0 bytes/workgroup (compile time only)
; SGPRBlocks: 0
; VGPRBlocks: 0
; NumSGPRsForWavesPerEU: 1
; NumVGPRsForWavesPerEU: 1
; Occupancy: 16
; WaveLimiterHint : 0
; COMPUTE_PGM_RSRC2:SCRATCH_EN: 0
; COMPUTE_PGM_RSRC2:USER_SGPR: 15
; COMPUTE_PGM_RSRC2:TRAP_HANDLER: 0
; COMPUTE_PGM_RSRC2:TGID_X_EN: 1
; COMPUTE_PGM_RSRC2:TGID_Y_EN: 0
; COMPUTE_PGM_RSRC2:TGID_Z_EN: 0
; COMPUTE_PGM_RSRC2:TIDIG_COMP_CNT: 0
	.section	.text._ZN7rocprim17ROCPRIM_400000_NS6detail17trampoline_kernelINS0_14default_configENS1_20scan_config_selectorIN3c104HalfEEEZZNS1_9scan_implILNS1_25lookback_scan_determinismE0ELb0ELb0ES3_PKS6_PS6_S6_ZZZN2at6native31launch_logcumsumexp_cuda_kernelERKNSD_10TensorBaseESH_lENKUlvE_clEvENKUlvE3_clEvEUlS6_S6_E_S6_EEDaPvRmT3_T4_T5_mT6_P12ihipStream_tbENKUlT_T0_E_clISt17integral_constantIbLb1EESX_IbLb0EEEEDaST_SU_EUlST_E_NS1_11comp_targetILNS1_3genE10ELNS1_11target_archE1200ELNS1_3gpuE4ELNS1_3repE0EEENS1_30default_config_static_selectorELNS0_4arch9wavefront6targetE0EEEvT1_,"axG",@progbits,_ZN7rocprim17ROCPRIM_400000_NS6detail17trampoline_kernelINS0_14default_configENS1_20scan_config_selectorIN3c104HalfEEEZZNS1_9scan_implILNS1_25lookback_scan_determinismE0ELb0ELb0ES3_PKS6_PS6_S6_ZZZN2at6native31launch_logcumsumexp_cuda_kernelERKNSD_10TensorBaseESH_lENKUlvE_clEvENKUlvE3_clEvEUlS6_S6_E_S6_EEDaPvRmT3_T4_T5_mT6_P12ihipStream_tbENKUlT_T0_E_clISt17integral_constantIbLb1EESX_IbLb0EEEEDaST_SU_EUlST_E_NS1_11comp_targetILNS1_3genE10ELNS1_11target_archE1200ELNS1_3gpuE4ELNS1_3repE0EEENS1_30default_config_static_selectorELNS0_4arch9wavefront6targetE0EEEvT1_,comdat
	.globl	_ZN7rocprim17ROCPRIM_400000_NS6detail17trampoline_kernelINS0_14default_configENS1_20scan_config_selectorIN3c104HalfEEEZZNS1_9scan_implILNS1_25lookback_scan_determinismE0ELb0ELb0ES3_PKS6_PS6_S6_ZZZN2at6native31launch_logcumsumexp_cuda_kernelERKNSD_10TensorBaseESH_lENKUlvE_clEvENKUlvE3_clEvEUlS6_S6_E_S6_EEDaPvRmT3_T4_T5_mT6_P12ihipStream_tbENKUlT_T0_E_clISt17integral_constantIbLb1EESX_IbLb0EEEEDaST_SU_EUlST_E_NS1_11comp_targetILNS1_3genE10ELNS1_11target_archE1200ELNS1_3gpuE4ELNS1_3repE0EEENS1_30default_config_static_selectorELNS0_4arch9wavefront6targetE0EEEvT1_ ; -- Begin function _ZN7rocprim17ROCPRIM_400000_NS6detail17trampoline_kernelINS0_14default_configENS1_20scan_config_selectorIN3c104HalfEEEZZNS1_9scan_implILNS1_25lookback_scan_determinismE0ELb0ELb0ES3_PKS6_PS6_S6_ZZZN2at6native31launch_logcumsumexp_cuda_kernelERKNSD_10TensorBaseESH_lENKUlvE_clEvENKUlvE3_clEvEUlS6_S6_E_S6_EEDaPvRmT3_T4_T5_mT6_P12ihipStream_tbENKUlT_T0_E_clISt17integral_constantIbLb1EESX_IbLb0EEEEDaST_SU_EUlST_E_NS1_11comp_targetILNS1_3genE10ELNS1_11target_archE1200ELNS1_3gpuE4ELNS1_3repE0EEENS1_30default_config_static_selectorELNS0_4arch9wavefront6targetE0EEEvT1_
	.p2align	8
	.type	_ZN7rocprim17ROCPRIM_400000_NS6detail17trampoline_kernelINS0_14default_configENS1_20scan_config_selectorIN3c104HalfEEEZZNS1_9scan_implILNS1_25lookback_scan_determinismE0ELb0ELb0ES3_PKS6_PS6_S6_ZZZN2at6native31launch_logcumsumexp_cuda_kernelERKNSD_10TensorBaseESH_lENKUlvE_clEvENKUlvE3_clEvEUlS6_S6_E_S6_EEDaPvRmT3_T4_T5_mT6_P12ihipStream_tbENKUlT_T0_E_clISt17integral_constantIbLb1EESX_IbLb0EEEEDaST_SU_EUlST_E_NS1_11comp_targetILNS1_3genE10ELNS1_11target_archE1200ELNS1_3gpuE4ELNS1_3repE0EEENS1_30default_config_static_selectorELNS0_4arch9wavefront6targetE0EEEvT1_,@function
_ZN7rocprim17ROCPRIM_400000_NS6detail17trampoline_kernelINS0_14default_configENS1_20scan_config_selectorIN3c104HalfEEEZZNS1_9scan_implILNS1_25lookback_scan_determinismE0ELb0ELb0ES3_PKS6_PS6_S6_ZZZN2at6native31launch_logcumsumexp_cuda_kernelERKNSD_10TensorBaseESH_lENKUlvE_clEvENKUlvE3_clEvEUlS6_S6_E_S6_EEDaPvRmT3_T4_T5_mT6_P12ihipStream_tbENKUlT_T0_E_clISt17integral_constantIbLb1EESX_IbLb0EEEEDaST_SU_EUlST_E_NS1_11comp_targetILNS1_3genE10ELNS1_11target_archE1200ELNS1_3gpuE4ELNS1_3repE0EEENS1_30default_config_static_selectorELNS0_4arch9wavefront6targetE0EEEvT1_: ; @_ZN7rocprim17ROCPRIM_400000_NS6detail17trampoline_kernelINS0_14default_configENS1_20scan_config_selectorIN3c104HalfEEEZZNS1_9scan_implILNS1_25lookback_scan_determinismE0ELb0ELb0ES3_PKS6_PS6_S6_ZZZN2at6native31launch_logcumsumexp_cuda_kernelERKNSD_10TensorBaseESH_lENKUlvE_clEvENKUlvE3_clEvEUlS6_S6_E_S6_EEDaPvRmT3_T4_T5_mT6_P12ihipStream_tbENKUlT_T0_E_clISt17integral_constantIbLb1EESX_IbLb0EEEEDaST_SU_EUlST_E_NS1_11comp_targetILNS1_3genE10ELNS1_11target_archE1200ELNS1_3gpuE4ELNS1_3repE0EEENS1_30default_config_static_selectorELNS0_4arch9wavefront6targetE0EEEvT1_
; %bb.0:
	.section	.rodata,"a",@progbits
	.p2align	6, 0x0
	.amdhsa_kernel _ZN7rocprim17ROCPRIM_400000_NS6detail17trampoline_kernelINS0_14default_configENS1_20scan_config_selectorIN3c104HalfEEEZZNS1_9scan_implILNS1_25lookback_scan_determinismE0ELb0ELb0ES3_PKS6_PS6_S6_ZZZN2at6native31launch_logcumsumexp_cuda_kernelERKNSD_10TensorBaseESH_lENKUlvE_clEvENKUlvE3_clEvEUlS6_S6_E_S6_EEDaPvRmT3_T4_T5_mT6_P12ihipStream_tbENKUlT_T0_E_clISt17integral_constantIbLb1EESX_IbLb0EEEEDaST_SU_EUlST_E_NS1_11comp_targetILNS1_3genE10ELNS1_11target_archE1200ELNS1_3gpuE4ELNS1_3repE0EEENS1_30default_config_static_selectorELNS0_4arch9wavefront6targetE0EEEvT1_
		.amdhsa_group_segment_fixed_size 0
		.amdhsa_private_segment_fixed_size 0
		.amdhsa_kernarg_size 96
		.amdhsa_user_sgpr_count 15
		.amdhsa_user_sgpr_dispatch_ptr 0
		.amdhsa_user_sgpr_queue_ptr 0
		.amdhsa_user_sgpr_kernarg_segment_ptr 1
		.amdhsa_user_sgpr_dispatch_id 0
		.amdhsa_user_sgpr_private_segment_size 0
		.amdhsa_wavefront_size32 1
		.amdhsa_uses_dynamic_stack 0
		.amdhsa_enable_private_segment 0
		.amdhsa_system_sgpr_workgroup_id_x 1
		.amdhsa_system_sgpr_workgroup_id_y 0
		.amdhsa_system_sgpr_workgroup_id_z 0
		.amdhsa_system_sgpr_workgroup_info 0
		.amdhsa_system_vgpr_workitem_id 0
		.amdhsa_next_free_vgpr 1
		.amdhsa_next_free_sgpr 1
		.amdhsa_reserve_vcc 0
		.amdhsa_float_round_mode_32 0
		.amdhsa_float_round_mode_16_64 0
		.amdhsa_float_denorm_mode_32 3
		.amdhsa_float_denorm_mode_16_64 3
		.amdhsa_dx10_clamp 1
		.amdhsa_ieee_mode 1
		.amdhsa_fp16_overflow 0
		.amdhsa_workgroup_processor_mode 1
		.amdhsa_memory_ordered 1
		.amdhsa_forward_progress 0
		.amdhsa_shared_vgpr_count 0
		.amdhsa_exception_fp_ieee_invalid_op 0
		.amdhsa_exception_fp_denorm_src 0
		.amdhsa_exception_fp_ieee_div_zero 0
		.amdhsa_exception_fp_ieee_overflow 0
		.amdhsa_exception_fp_ieee_underflow 0
		.amdhsa_exception_fp_ieee_inexact 0
		.amdhsa_exception_int_div_zero 0
	.end_amdhsa_kernel
	.section	.text._ZN7rocprim17ROCPRIM_400000_NS6detail17trampoline_kernelINS0_14default_configENS1_20scan_config_selectorIN3c104HalfEEEZZNS1_9scan_implILNS1_25lookback_scan_determinismE0ELb0ELb0ES3_PKS6_PS6_S6_ZZZN2at6native31launch_logcumsumexp_cuda_kernelERKNSD_10TensorBaseESH_lENKUlvE_clEvENKUlvE3_clEvEUlS6_S6_E_S6_EEDaPvRmT3_T4_T5_mT6_P12ihipStream_tbENKUlT_T0_E_clISt17integral_constantIbLb1EESX_IbLb0EEEEDaST_SU_EUlST_E_NS1_11comp_targetILNS1_3genE10ELNS1_11target_archE1200ELNS1_3gpuE4ELNS1_3repE0EEENS1_30default_config_static_selectorELNS0_4arch9wavefront6targetE0EEEvT1_,"axG",@progbits,_ZN7rocprim17ROCPRIM_400000_NS6detail17trampoline_kernelINS0_14default_configENS1_20scan_config_selectorIN3c104HalfEEEZZNS1_9scan_implILNS1_25lookback_scan_determinismE0ELb0ELb0ES3_PKS6_PS6_S6_ZZZN2at6native31launch_logcumsumexp_cuda_kernelERKNSD_10TensorBaseESH_lENKUlvE_clEvENKUlvE3_clEvEUlS6_S6_E_S6_EEDaPvRmT3_T4_T5_mT6_P12ihipStream_tbENKUlT_T0_E_clISt17integral_constantIbLb1EESX_IbLb0EEEEDaST_SU_EUlST_E_NS1_11comp_targetILNS1_3genE10ELNS1_11target_archE1200ELNS1_3gpuE4ELNS1_3repE0EEENS1_30default_config_static_selectorELNS0_4arch9wavefront6targetE0EEEvT1_,comdat
.Lfunc_end409:
	.size	_ZN7rocprim17ROCPRIM_400000_NS6detail17trampoline_kernelINS0_14default_configENS1_20scan_config_selectorIN3c104HalfEEEZZNS1_9scan_implILNS1_25lookback_scan_determinismE0ELb0ELb0ES3_PKS6_PS6_S6_ZZZN2at6native31launch_logcumsumexp_cuda_kernelERKNSD_10TensorBaseESH_lENKUlvE_clEvENKUlvE3_clEvEUlS6_S6_E_S6_EEDaPvRmT3_T4_T5_mT6_P12ihipStream_tbENKUlT_T0_E_clISt17integral_constantIbLb1EESX_IbLb0EEEEDaST_SU_EUlST_E_NS1_11comp_targetILNS1_3genE10ELNS1_11target_archE1200ELNS1_3gpuE4ELNS1_3repE0EEENS1_30default_config_static_selectorELNS0_4arch9wavefront6targetE0EEEvT1_, .Lfunc_end409-_ZN7rocprim17ROCPRIM_400000_NS6detail17trampoline_kernelINS0_14default_configENS1_20scan_config_selectorIN3c104HalfEEEZZNS1_9scan_implILNS1_25lookback_scan_determinismE0ELb0ELb0ES3_PKS6_PS6_S6_ZZZN2at6native31launch_logcumsumexp_cuda_kernelERKNSD_10TensorBaseESH_lENKUlvE_clEvENKUlvE3_clEvEUlS6_S6_E_S6_EEDaPvRmT3_T4_T5_mT6_P12ihipStream_tbENKUlT_T0_E_clISt17integral_constantIbLb1EESX_IbLb0EEEEDaST_SU_EUlST_E_NS1_11comp_targetILNS1_3genE10ELNS1_11target_archE1200ELNS1_3gpuE4ELNS1_3repE0EEENS1_30default_config_static_selectorELNS0_4arch9wavefront6targetE0EEEvT1_
                                        ; -- End function
	.section	.AMDGPU.csdata,"",@progbits
; Kernel info:
; codeLenInByte = 0
; NumSgprs: 0
; NumVgprs: 0
; ScratchSize: 0
; MemoryBound: 0
; FloatMode: 240
; IeeeMode: 1
; LDSByteSize: 0 bytes/workgroup (compile time only)
; SGPRBlocks: 0
; VGPRBlocks: 0
; NumSGPRsForWavesPerEU: 1
; NumVGPRsForWavesPerEU: 1
; Occupancy: 16
; WaveLimiterHint : 0
; COMPUTE_PGM_RSRC2:SCRATCH_EN: 0
; COMPUTE_PGM_RSRC2:USER_SGPR: 15
; COMPUTE_PGM_RSRC2:TRAP_HANDLER: 0
; COMPUTE_PGM_RSRC2:TGID_X_EN: 1
; COMPUTE_PGM_RSRC2:TGID_Y_EN: 0
; COMPUTE_PGM_RSRC2:TGID_Z_EN: 0
; COMPUTE_PGM_RSRC2:TIDIG_COMP_CNT: 0
	.text
	.p2align	2                               ; -- Begin function _ZZZN7rocprim17ROCPRIM_400000_NS6detail9scan_implILNS1_25lookback_scan_determinismE0ELb0ELb0ENS0_14default_configEPKN3c104HalfEPS6_S6_ZZZN2at6native31launch_logcumsumexp_cuda_kernelERKNSA_10TensorBaseESE_lENKUlvE_clEvENKUlvE3_clEvEUlS6_S6_E_S6_EEDaPvRmT3_T4_T5_mT6_P12ihipStream_tbENKUlT_T0_E_clISt17integral_constantIbLb1EESU_IbLb0EEEEDaSQ_SR_ENKUlSQ_E_clINS1_13target_configIS4_NS1_20scan_config_selectorIS6_EENS1_11comp_targetILNS1_3genE9ELNS1_11target_archE1100ELNS1_3gpuE3ELNS1_3repE0EEELNS0_4arch9wavefront6targetE0EEEEEDaSQ_
	.type	_ZZZN7rocprim17ROCPRIM_400000_NS6detail9scan_implILNS1_25lookback_scan_determinismE0ELb0ELb0ENS0_14default_configEPKN3c104HalfEPS6_S6_ZZZN2at6native31launch_logcumsumexp_cuda_kernelERKNSA_10TensorBaseESE_lENKUlvE_clEvENKUlvE3_clEvEUlS6_S6_E_S6_EEDaPvRmT3_T4_T5_mT6_P12ihipStream_tbENKUlT_T0_E_clISt17integral_constantIbLb1EESU_IbLb0EEEEDaSQ_SR_ENKUlSQ_E_clINS1_13target_configIS4_NS1_20scan_config_selectorIS6_EENS1_11comp_targetILNS1_3genE9ELNS1_11target_archE1100ELNS1_3gpuE3ELNS1_3repE0EEELNS0_4arch9wavefront6targetE0EEEEEDaSQ_,@function
_ZZZN7rocprim17ROCPRIM_400000_NS6detail9scan_implILNS1_25lookback_scan_determinismE0ELb0ELb0ENS0_14default_configEPKN3c104HalfEPS6_S6_ZZZN2at6native31launch_logcumsumexp_cuda_kernelERKNSA_10TensorBaseESE_lENKUlvE_clEvENKUlvE3_clEvEUlS6_S6_E_S6_EEDaPvRmT3_T4_T5_mT6_P12ihipStream_tbENKUlT_T0_E_clISt17integral_constantIbLb1EESU_IbLb0EEEEDaSQ_SR_ENKUlSQ_E_clINS1_13target_configIS4_NS1_20scan_config_selectorIS6_EENS1_11comp_targetILNS1_3genE9ELNS1_11target_archE1100ELNS1_3gpuE3ELNS1_3repE0EEELNS0_4arch9wavefront6targetE0EEEEEDaSQ_: ; @_ZZZN7rocprim17ROCPRIM_400000_NS6detail9scan_implILNS1_25lookback_scan_determinismE0ELb0ELb0ENS0_14default_configEPKN3c104HalfEPS6_S6_ZZZN2at6native31launch_logcumsumexp_cuda_kernelERKNSA_10TensorBaseESE_lENKUlvE_clEvENKUlvE3_clEvEUlS6_S6_E_S6_EEDaPvRmT3_T4_T5_mT6_P12ihipStream_tbENKUlT_T0_E_clISt17integral_constantIbLb1EESU_IbLb0EEEEDaSQ_SR_ENKUlSQ_E_clINS1_13target_configIS4_NS1_20scan_config_selectorIS6_EENS1_11comp_targetILNS1_3genE9ELNS1_11target_archE1100ELNS1_3gpuE3ELNS1_3repE0EEELNS0_4arch9wavefront6targetE0EEEEEDaSQ_
; %bb.0:
	s_waitcnt vmcnt(0) expcnt(0) lgkmcnt(0)
	s_or_saveexec_b32 s0, -1
	scratch_store_b32 off, v40, s32         ; 4-byte Folded Spill
	s_mov_b32 exec_lo, s0
	v_writelane_b32 v40, s30, 0
	v_writelane_b32 v40, s31, 1
	s_clause 0x4
	flat_load_b96 v[14:16], v[0:1] offset:40
	flat_load_b128 v[18:21], v[0:1]
	flat_load_b128 v[10:13], v[0:1] offset:16
	flat_load_b128 v[2:5], v[0:1] offset:56
	;; [unrolled: 1-line block ×3, first 2 shown]
	s_mov_b32 s1, 0
	s_mul_i32 s0, s12, 0x580
	v_and_b32_e32 v0, 0x3ff, v31
	s_lshl_b64 s[28:29], s[0:1], 1
	s_delay_alu instid0(VALU_DEP_1) | instskip(SKIP_4) | instid1(VALU_DEP_2)
	v_lshlrev_b32_e32 v32, 1, v0
	s_waitcnt vmcnt(4) lgkmcnt(4)
	v_add_nc_u32_e32 v1, -1, v16
	s_waitcnt vmcnt(3) lgkmcnt(3)
	v_lshlrev_b64 v[16:17], 1, v[20:21]
	v_mul_lo_u32 v20, 0x580, v1
	v_cmp_ne_u32_e64 s0, s12, v1
	s_delay_alu instid0(VALU_DEP_3) | instskip(NEXT) | instid1(VALU_DEP_4)
	v_add_co_u32 v18, vcc_lo, v18, v16
	v_add_co_ci_u32_e32 v19, vcc_lo, v19, v17, vcc_lo
	s_delay_alu instid0(VALU_DEP_2) | instskip(NEXT) | instid1(VALU_DEP_2)
	v_add_co_u32 v18, vcc_lo, v18, s28
	v_add_co_ci_u32_e32 v19, vcc_lo, s29, v19, vcc_lo
	s_waitcnt vmcnt(2) lgkmcnt(2)
	v_sub_co_u32 v30, vcc_lo, v12, v20
	v_subrev_co_ci_u32_e32 v31, vcc_lo, 0, v13, vcc_lo
	s_and_saveexec_b32 s1, s0
	s_delay_alu instid0(SALU_CYCLE_1)
	s_xor_b32 s1, exec_lo, s1
	s_cbranch_execz .LBB410_2
; %bb.1:
	v_add_co_u32 v12, vcc_lo, v18, v32
	v_add_co_ci_u32_e32 v13, vcc_lo, 0, v19, vcc_lo
	s_clause 0x15
	flat_load_u16 v1, v[12:13]
	flat_load_u16 v18, v[12:13] offset:128
	flat_load_u16 v19, v[12:13] offset:256
	;; [unrolled: 1-line block ×21, first 2 shown]
	s_waitcnt vmcnt(21) lgkmcnt(21)
	ds_store_b16 v32, v1
	s_waitcnt vmcnt(20) lgkmcnt(21)
	ds_store_b16 v32, v18 offset:128
	s_waitcnt vmcnt(19) lgkmcnt(21)
	ds_store_b16 v32, v19 offset:256
	;; [unrolled: 2-line block ×21, first 2 shown]
	s_waitcnt lgkmcnt(0)
	s_waitcnt_vscnt null, 0x0
	s_barrier
                                        ; implicit-def: $vgpr18
.LBB410_2:
	s_and_not1_saveexec_b32 s1, s1
	s_cbranch_execz .LBB410_48
; %bb.3:
	flat_load_u16 v1, v[18:19]
	s_mov_b32 s2, exec_lo
	s_waitcnt vmcnt(0) lgkmcnt(0)
	v_mov_b32_e32 v12, v1
	v_cmpx_lt_u32_e64 v0, v30
	s_cbranch_execz .LBB410_5
; %bb.4:
	v_add_co_u32 v12, vcc_lo, v18, v32
	v_add_co_ci_u32_e32 v13, vcc_lo, 0, v19, vcc_lo
	flat_load_u16 v12, v[12:13]
.LBB410_5:
	s_or_b32 exec_lo, exec_lo, s2
	v_add_nc_u32_e32 v13, 64, v0
	s_delay_alu instid0(VALU_DEP_1)
	v_cmp_lt_u32_e32 vcc_lo, v13, v30
	v_mov_b32_e32 v13, v1
	s_and_saveexec_b32 s2, vcc_lo
	s_cbranch_execz .LBB410_7
; %bb.6:
	v_add_co_u32 v20, vcc_lo, v18, v32
	v_add_co_ci_u32_e32 v21, vcc_lo, 0, v19, vcc_lo
	flat_load_u16 v13, v[20:21] offset:128
.LBB410_7:
	s_or_b32 exec_lo, exec_lo, s2
	v_add_nc_u32_e32 v20, 0x80, v0
	s_delay_alu instid0(VALU_DEP_1)
	v_cmp_lt_u32_e32 vcc_lo, v20, v30
	v_mov_b32_e32 v20, v1
	s_and_saveexec_b32 s2, vcc_lo
	s_cbranch_execz .LBB410_9
; %bb.8:
	v_add_co_u32 v20, vcc_lo, v18, v32
	v_add_co_ci_u32_e32 v21, vcc_lo, 0, v19, vcc_lo
	flat_load_u16 v20, v[20:21] offset:256
.LBB410_9:
	;; [unrolled: 12-line block ×15, first 2 shown]
	s_or_b32 exec_lo, exec_lo, s2
	v_or_b32_e32 v37, 0x400, v0
	s_delay_alu instid0(VALU_DEP_1)
	v_cmp_lt_u32_e32 vcc_lo, v37, v30
	v_mov_b32_e32 v37, v1
	s_and_saveexec_b32 s2, vcc_lo
	s_cbranch_execz .LBB410_37
; %bb.36:
	v_add_co_u32 v37, vcc_lo, v18, v32
	v_add_co_ci_u32_e32 v38, vcc_lo, 0, v19, vcc_lo
	flat_load_u16 v37, v[37:38] offset:2048
.LBB410_37:
	s_or_b32 exec_lo, exec_lo, s2
	v_add_nc_u32_e32 v38, 0x440, v0
	s_delay_alu instid0(VALU_DEP_1)
	v_cmp_lt_u32_e32 vcc_lo, v38, v30
	v_mov_b32_e32 v38, v1
	s_and_saveexec_b32 s2, vcc_lo
	s_cbranch_execz .LBB410_39
; %bb.38:
	v_add_co_u32 v38, vcc_lo, v18, v32
	v_add_co_ci_u32_e32 v39, vcc_lo, 0, v19, vcc_lo
	flat_load_u16 v38, v[38:39] offset:2176
.LBB410_39:
	s_or_b32 exec_lo, exec_lo, s2
	v_add_nc_u32_e32 v39, 0x480, v0
	;; [unrolled: 12-line block ×5, first 2 shown]
	s_mov_b32 s2, exec_lo
	s_delay_alu instid0(VALU_DEP_1)
	v_cmpx_lt_u32_e64 v50, v30
	s_cbranch_execz .LBB410_47
; %bb.46:
	v_add_co_u32 v18, vcc_lo, v18, v32
	v_add_co_ci_u32_e32 v19, vcc_lo, 0, v19, vcc_lo
	flat_load_u16 v1, v[18:19] offset:2688
.LBB410_47:
	s_or_b32 exec_lo, exec_lo, s2
	s_waitcnt vmcnt(0) lgkmcnt(0)
	ds_store_b16 v32, v12
	ds_store_b16 v32, v13 offset:128
	ds_store_b16 v32, v20 offset:256
	;; [unrolled: 1-line block ×21, first 2 shown]
	s_waitcnt lgkmcnt(0)
	s_waitcnt_vscnt null, 0x0
	s_barrier
.LBB410_48:
	s_or_b32 exec_lo, exec_lo, s1
	v_mul_u32_u24_e32 v33, 22, v0
	s_waitcnt vmcnt(0) lgkmcnt(0)
	s_waitcnt_vscnt null, 0x0
	buffer_gl0_inv
	s_cmp_lg_u32 s12, 0
	v_lshlrev_b32_e32 v1, 1, v33
	ds_load_2addr_b32 v[12:13], v1 offset1:1
	ds_load_2addr_b32 v[24:25], v1 offset0:2 offset1:3
	ds_load_2addr_b32 v[22:23], v1 offset0:4 offset1:5
	;; [unrolled: 1-line block ×4, first 2 shown]
	ds_load_b32 v36, v1 offset:40
	s_waitcnt lgkmcnt(0)
	s_barrier
	buffer_gl0_inv
	v_lshrrev_b32_e32 v54, 16, v12
	v_lshrrev_b32_e32 v53, 16, v13
	;; [unrolled: 1-line block ×11, first 2 shown]
	v_cvt_f32_f16_e32 v34, v54
	v_cmp_u_f16_e64 s1, v54, v54
	s_cbranch_scc0 .LBB410_237
; %bb.49:
	v_cvt_f32_f16_e32 v99, v12
	v_cmp_u_f16_e64 s23, v12, v12
	v_mov_b32_e32 v100, v12
	s_delay_alu instid0(VALU_DEP_3) | instskip(SKIP_1) | instid1(VALU_DEP_2)
	v_min_f32_e32 v26, v99, v34
	v_max_f32_e32 v27, v99, v34
	v_cndmask_b32_e64 v26, v26, v99, s23
	s_delay_alu instid0(VALU_DEP_1) | instskip(SKIP_1) | instid1(VALU_DEP_4)
	v_cndmask_b32_e64 v29, v26, v34, s1
	v_mov_b32_e32 v26, v12
	v_cndmask_b32_e64 v27, v27, v99, s23
	s_delay_alu instid0(VALU_DEP_3) | instskip(NEXT) | instid1(VALU_DEP_2)
	v_cmp_class_f32_e64 s2, v29, 0x1f8
	v_cndmask_b32_e64 v28, v27, v34, s1
	v_mov_b32_e32 v27, v99
	s_delay_alu instid0(VALU_DEP_2) | instskip(NEXT) | instid1(VALU_DEP_4)
	v_cmp_neq_f32_e32 vcc_lo, v29, v28
	s_or_b32 s3, vcc_lo, s2
	s_delay_alu instid0(SALU_CYCLE_1)
	s_and_saveexec_b32 s2, s3
	s_cbranch_execz .LBB410_51
; %bb.50:
	v_sub_f32_e32 v26, v29, v28
	s_mov_b32 s3, 0x3e9b6dac
	s_delay_alu instid0(VALU_DEP_1) | instskip(NEXT) | instid1(VALU_DEP_1)
	v_mul_f32_e32 v27, 0x3fb8aa3b, v26
	v_fma_f32 v29, 0x3fb8aa3b, v26, -v27
	v_rndne_f32_e32 v55, v27
	s_delay_alu instid0(VALU_DEP_1) | instskip(NEXT) | instid1(VALU_DEP_3)
	v_sub_f32_e32 v27, v27, v55
	v_fmamk_f32 v29, v26, 0x32a5705f, v29
	v_cmp_ngt_f32_e32 vcc_lo, 0xc2ce8ed0, v26
	s_delay_alu instid0(VALU_DEP_2) | instskip(SKIP_1) | instid1(VALU_DEP_2)
	v_add_f32_e32 v27, v27, v29
	v_cvt_i32_f32_e32 v29, v55
	v_exp_f32_e32 v27, v27
	s_waitcnt_depctr 0xfff
	v_ldexp_f32 v27, v27, v29
	s_delay_alu instid0(VALU_DEP_1) | instskip(SKIP_1) | instid1(VALU_DEP_2)
	v_cndmask_b32_e32 v27, 0, v27, vcc_lo
	v_cmp_nlt_f32_e32 vcc_lo, 0x42b17218, v26
	v_cndmask_b32_e32 v29, 0x7f800000, v27, vcc_lo
	s_delay_alu instid0(VALU_DEP_1) | instskip(NEXT) | instid1(VALU_DEP_1)
	v_add_f32_e32 v55, 1.0, v29
	v_cvt_f64_f32_e32 v[26:27], v55
	s_delay_alu instid0(VALU_DEP_1) | instskip(SKIP_1) | instid1(VALU_DEP_1)
	v_frexp_exp_i32_f64_e32 v26, v[26:27]
	v_frexp_mant_f32_e32 v27, v55
	v_cmp_gt_f32_e32 vcc_lo, 0x3f2aaaab, v27
	v_add_f32_e32 v27, -1.0, v55
	s_delay_alu instid0(VALU_DEP_1) | instskip(SKIP_1) | instid1(VALU_DEP_2)
	v_sub_f32_e32 v65, v27, v55
	v_sub_f32_e32 v27, v29, v27
	v_add_f32_e32 v65, 1.0, v65
	s_delay_alu instid0(VALU_DEP_1) | instskip(SKIP_1) | instid1(VALU_DEP_1)
	v_add_f32_e32 v27, v27, v65
	v_subrev_co_ci_u32_e32 v26, vcc_lo, 0, v26, vcc_lo
	v_sub_nc_u32_e32 v64, 0, v26
	v_cvt_f32_i32_e32 v26, v26
	s_delay_alu instid0(VALU_DEP_2) | instskip(SKIP_1) | instid1(VALU_DEP_2)
	v_ldexp_f32 v55, v55, v64
	v_ldexp_f32 v27, v27, v64
	v_add_f32_e32 v66, 1.0, v55
	s_delay_alu instid0(VALU_DEP_1) | instskip(NEXT) | instid1(VALU_DEP_1)
	v_dual_add_f32 v64, -1.0, v55 :: v_dual_add_f32 v65, -1.0, v66
	v_add_f32_e32 v67, 1.0, v64
	s_delay_alu instid0(VALU_DEP_2) | instskip(NEXT) | instid1(VALU_DEP_2)
	v_sub_f32_e32 v65, v55, v65
	v_sub_f32_e32 v55, v55, v67
	s_delay_alu instid0(VALU_DEP_2) | instskip(NEXT) | instid1(VALU_DEP_2)
	v_add_f32_e32 v65, v27, v65
	v_add_f32_e32 v27, v27, v55
	s_delay_alu instid0(VALU_DEP_1) | instskip(NEXT) | instid1(VALU_DEP_1)
	v_dual_add_f32 v67, v66, v65 :: v_dual_add_f32 v68, v64, v27
	v_rcp_f32_e32 v55, v67
	v_sub_f32_e32 v66, v66, v67
	s_delay_alu instid0(VALU_DEP_1) | instskip(SKIP_3) | instid1(VALU_DEP_2)
	v_dual_sub_f32 v64, v64, v68 :: v_dual_add_f32 v65, v65, v66
	s_waitcnt_depctr 0xfff
	v_mul_f32_e32 v69, v68, v55
	v_add_f32_e32 v27, v27, v64
	v_mul_f32_e32 v70, v67, v69
	s_delay_alu instid0(VALU_DEP_1) | instskip(NEXT) | instid1(VALU_DEP_1)
	v_fma_f32 v66, v69, v67, -v70
	v_fmac_f32_e32 v66, v69, v65
	v_cmp_eq_f32_e32 vcc_lo, 0x7f800000, v29
	s_delay_alu instid0(VALU_DEP_2) | instskip(NEXT) | instid1(VALU_DEP_1)
	v_add_f32_e32 v71, v70, v66
	v_sub_f32_e32 v80, v68, v71
	v_sub_f32_e32 v64, v71, v70
	s_delay_alu instid0(VALU_DEP_2) | instskip(NEXT) | instid1(VALU_DEP_2)
	v_sub_f32_e32 v68, v68, v80
	v_sub_f32_e32 v64, v64, v66
	s_delay_alu instid0(VALU_DEP_2) | instskip(NEXT) | instid1(VALU_DEP_1)
	v_sub_f32_e32 v68, v68, v71
	v_add_f32_e32 v27, v27, v68
	s_delay_alu instid0(VALU_DEP_1) | instskip(NEXT) | instid1(VALU_DEP_1)
	v_add_f32_e32 v27, v64, v27
	v_add_f32_e32 v64, v80, v27
	s_delay_alu instid0(VALU_DEP_1) | instskip(NEXT) | instid1(VALU_DEP_1)
	v_mul_f32_e32 v66, v55, v64
	v_dual_sub_f32 v71, v80, v64 :: v_dual_mul_f32 v68, v67, v66
	s_delay_alu instid0(VALU_DEP_1) | instskip(NEXT) | instid1(VALU_DEP_2)
	v_add_f32_e32 v27, v27, v71
	v_fma_f32 v67, v66, v67, -v68
	s_delay_alu instid0(VALU_DEP_1) | instskip(NEXT) | instid1(VALU_DEP_1)
	v_fmac_f32_e32 v67, v66, v65
	v_add_f32_e32 v65, v68, v67
	s_delay_alu instid0(VALU_DEP_1) | instskip(SKIP_1) | instid1(VALU_DEP_2)
	v_sub_f32_e32 v70, v64, v65
	v_sub_f32_e32 v68, v65, v68
	;; [unrolled: 1-line block ×3, first 2 shown]
	s_delay_alu instid0(VALU_DEP_1) | instskip(NEXT) | instid1(VALU_DEP_3)
	v_sub_f32_e32 v64, v64, v65
	v_sub_f32_e32 v65, v68, v67
	s_delay_alu instid0(VALU_DEP_2) | instskip(NEXT) | instid1(VALU_DEP_1)
	v_dual_add_f32 v27, v27, v64 :: v_dual_add_f32 v64, v69, v66
	v_add_f32_e32 v27, v65, v27
	s_delay_alu instid0(VALU_DEP_2) | instskip(NEXT) | instid1(VALU_DEP_2)
	v_sub_f32_e32 v65, v64, v69
	v_add_f32_e32 v27, v70, v27
	s_delay_alu instid0(VALU_DEP_2) | instskip(NEXT) | instid1(VALU_DEP_2)
	v_sub_f32_e32 v65, v66, v65
	v_mul_f32_e32 v27, v55, v27
	s_delay_alu instid0(VALU_DEP_1) | instskip(NEXT) | instid1(VALU_DEP_1)
	v_add_f32_e32 v27, v65, v27
	v_add_f32_e32 v55, v64, v27
	s_delay_alu instid0(VALU_DEP_1) | instskip(NEXT) | instid1(VALU_DEP_1)
	v_mul_f32_e32 v65, v55, v55
	v_fmaak_f32 v66, s3, v65, 0x3ecc95a3
	v_mul_f32_e32 v67, v55, v65
	v_cmp_gt_f32_e64 s3, 0x33800000, |v29|
	s_delay_alu instid0(VALU_DEP_3) | instskip(SKIP_2) | instid1(VALU_DEP_4)
	v_fmaak_f32 v65, v65, v66, 0x3f2aaada
	v_ldexp_f32 v66, v55, 1
	v_sub_f32_e32 v55, v55, v64
	s_or_b32 vcc_lo, vcc_lo, s3
	s_delay_alu instid0(VALU_DEP_3) | instskip(SKIP_1) | instid1(VALU_DEP_2)
	v_mul_f32_e32 v65, v67, v65
	v_mul_f32_e32 v67, 0x3f317218, v26
	v_dual_sub_f32 v27, v27, v55 :: v_dual_add_f32 v64, v66, v65
	s_delay_alu instid0(VALU_DEP_1) | instskip(NEXT) | instid1(VALU_DEP_2)
	v_ldexp_f32 v27, v27, 1
	v_sub_f32_e32 v55, v64, v66
	s_delay_alu instid0(VALU_DEP_4) | instskip(NEXT) | instid1(VALU_DEP_1)
	v_fma_f32 v66, 0x3f317218, v26, -v67
	v_dual_sub_f32 v55, v65, v55 :: v_dual_fmamk_f32 v26, v26, 0xb102e308, v66
	s_delay_alu instid0(VALU_DEP_1) | instskip(NEXT) | instid1(VALU_DEP_2)
	v_add_f32_e32 v27, v27, v55
	v_add_f32_e32 v55, v67, v26
	s_delay_alu instid0(VALU_DEP_2) | instskip(NEXT) | instid1(VALU_DEP_2)
	v_add_f32_e32 v65, v64, v27
	v_sub_f32_e32 v67, v55, v67
	s_delay_alu instid0(VALU_DEP_2) | instskip(SKIP_1) | instid1(VALU_DEP_3)
	v_add_f32_e32 v66, v55, v65
	v_sub_f32_e32 v64, v65, v64
	v_sub_f32_e32 v26, v26, v67
	s_delay_alu instid0(VALU_DEP_2) | instskip(NEXT) | instid1(VALU_DEP_1)
	v_dual_sub_f32 v68, v66, v55 :: v_dual_sub_f32 v27, v27, v64
	v_sub_f32_e32 v69, v66, v68
	s_delay_alu instid0(VALU_DEP_2) | instskip(NEXT) | instid1(VALU_DEP_2)
	v_dual_sub_f32 v64, v65, v68 :: v_dual_add_f32 v65, v26, v27
	v_sub_f32_e32 v55, v55, v69
	s_delay_alu instid0(VALU_DEP_1) | instskip(NEXT) | instid1(VALU_DEP_1)
	v_dual_add_f32 v55, v64, v55 :: v_dual_sub_f32 v64, v65, v26
	v_add_f32_e32 v55, v65, v55
	s_delay_alu instid0(VALU_DEP_2) | instskip(SKIP_1) | instid1(VALU_DEP_3)
	v_sub_f32_e32 v65, v65, v64
	v_sub_f32_e32 v27, v27, v64
	v_add_f32_e32 v67, v66, v55
	s_delay_alu instid0(VALU_DEP_3) | instskip(NEXT) | instid1(VALU_DEP_2)
	v_sub_f32_e32 v26, v26, v65
	v_sub_f32_e32 v64, v67, v66
	s_delay_alu instid0(VALU_DEP_2) | instskip(NEXT) | instid1(VALU_DEP_2)
	v_add_f32_e32 v26, v27, v26
	v_sub_f32_e32 v27, v55, v64
	s_delay_alu instid0(VALU_DEP_1) | instskip(NEXT) | instid1(VALU_DEP_1)
	v_add_f32_e32 v26, v26, v27
	v_add_f32_e32 v26, v67, v26
	s_delay_alu instid0(VALU_DEP_1) | instskip(NEXT) | instid1(VALU_DEP_1)
	v_cndmask_b32_e32 v26, v26, v29, vcc_lo
	v_add_f32_e32 v26, v28, v26
	s_delay_alu instid0(VALU_DEP_1) | instskip(NEXT) | instid1(VALU_DEP_1)
	v_cvt_f16_f32_e32 v26, v26
	v_mov_b32_e32 v100, v26
	v_cvt_f32_f16_e32 v27, v26
.LBB410_51:
	s_or_b32 exec_lo, exec_lo, s2
	v_cvt_f32_f16_e32 v55, v13
	s_delay_alu instid0(VALU_DEP_2) | instskip(SKIP_2) | instid1(VALU_DEP_3)
	v_max_f32_e32 v28, v27, v27
	v_cmp_u_f16_e32 vcc_lo, v26, v26
	v_cmp_u_f16_e64 s2, v13, v13
	v_min_f32_e32 v29, v28, v55
	v_max_f32_e32 v28, v28, v55
	s_delay_alu instid0(VALU_DEP_2) | instskip(NEXT) | instid1(VALU_DEP_2)
	v_cndmask_b32_e32 v29, v29, v27, vcc_lo
	v_cndmask_b32_e32 v28, v28, v27, vcc_lo
	s_delay_alu instid0(VALU_DEP_2) | instskip(NEXT) | instid1(VALU_DEP_2)
	v_cndmask_b32_e64 v29, v29, v55, s2
	v_cndmask_b32_e64 v28, v28, v55, s2
	s_delay_alu instid0(VALU_DEP_2) | instskip(NEXT) | instid1(VALU_DEP_2)
	v_cmp_class_f32_e64 s3, v29, 0x1f8
	v_cmp_neq_f32_e32 vcc_lo, v29, v28
	s_delay_alu instid0(VALU_DEP_2) | instskip(NEXT) | instid1(SALU_CYCLE_1)
	s_or_b32 s4, vcc_lo, s3
	s_and_saveexec_b32 s3, s4
	s_cbranch_execz .LBB410_53
; %bb.52:
	v_sub_f32_e32 v26, v29, v28
	s_mov_b32 s4, 0x3e9b6dac
	s_delay_alu instid0(VALU_DEP_1) | instskip(NEXT) | instid1(VALU_DEP_1)
	v_mul_f32_e32 v27, 0x3fb8aa3b, v26
	v_fma_f32 v29, 0x3fb8aa3b, v26, -v27
	v_rndne_f32_e32 v64, v27
	s_delay_alu instid0(VALU_DEP_2) | instskip(NEXT) | instid1(VALU_DEP_2)
	v_fmamk_f32 v29, v26, 0x32a5705f, v29
	v_sub_f32_e32 v27, v27, v64
	s_delay_alu instid0(VALU_DEP_1) | instskip(SKIP_2) | instid1(VALU_DEP_3)
	v_add_f32_e32 v27, v27, v29
	v_cvt_i32_f32_e32 v29, v64
	v_cmp_ngt_f32_e32 vcc_lo, 0xc2ce8ed0, v26
	v_exp_f32_e32 v27, v27
	s_waitcnt_depctr 0xfff
	v_ldexp_f32 v27, v27, v29
	s_delay_alu instid0(VALU_DEP_1) | instskip(SKIP_1) | instid1(VALU_DEP_2)
	v_cndmask_b32_e32 v27, 0, v27, vcc_lo
	v_cmp_nlt_f32_e32 vcc_lo, 0x42b17218, v26
	v_cndmask_b32_e32 v29, 0x7f800000, v27, vcc_lo
	s_delay_alu instid0(VALU_DEP_1) | instskip(NEXT) | instid1(VALU_DEP_1)
	v_add_f32_e32 v64, 1.0, v29
	v_cvt_f64_f32_e32 v[26:27], v64
	s_delay_alu instid0(VALU_DEP_1) | instskip(SKIP_1) | instid1(VALU_DEP_1)
	v_frexp_exp_i32_f64_e32 v26, v[26:27]
	v_frexp_mant_f32_e32 v27, v64
	v_cmp_gt_f32_e32 vcc_lo, 0x3f2aaaab, v27
	v_add_f32_e32 v27, -1.0, v64
	s_delay_alu instid0(VALU_DEP_1) | instskip(NEXT) | instid1(VALU_DEP_1)
	v_sub_f32_e32 v66, v27, v64
	v_add_f32_e32 v66, 1.0, v66
	v_subrev_co_ci_u32_e32 v26, vcc_lo, 0, v26, vcc_lo
	s_delay_alu instid0(VALU_DEP_1) | instskip(SKIP_1) | instid1(VALU_DEP_2)
	v_sub_nc_u32_e32 v65, 0, v26
	v_cvt_f32_i32_e32 v26, v26
	v_ldexp_f32 v64, v64, v65
	v_sub_f32_e32 v27, v29, v27
	s_delay_alu instid0(VALU_DEP_1) | instskip(NEXT) | instid1(VALU_DEP_1)
	v_add_f32_e32 v27, v27, v66
	v_ldexp_f32 v27, v27, v65
	s_delay_alu instid0(VALU_DEP_4) | instskip(NEXT) | instid1(VALU_DEP_1)
	v_add_f32_e32 v67, 1.0, v64
	v_add_f32_e32 v66, -1.0, v67
	s_delay_alu instid0(VALU_DEP_1) | instskip(NEXT) | instid1(VALU_DEP_1)
	v_sub_f32_e32 v66, v64, v66
	v_dual_add_f32 v66, v27, v66 :: v_dual_add_f32 v65, -1.0, v64
	s_delay_alu instid0(VALU_DEP_1) | instskip(SKIP_1) | instid1(VALU_DEP_2)
	v_add_f32_e32 v68, 1.0, v65
	v_cmp_eq_f32_e32 vcc_lo, 0x7f800000, v29
	v_sub_f32_e32 v64, v64, v68
	s_delay_alu instid0(VALU_DEP_4) | instskip(NEXT) | instid1(VALU_DEP_1)
	v_add_f32_e32 v68, v67, v66
	v_sub_f32_e32 v67, v67, v68
	s_delay_alu instid0(VALU_DEP_3) | instskip(SKIP_1) | instid1(VALU_DEP_2)
	v_add_f32_e32 v27, v27, v64
	v_rcp_f32_e32 v64, v68
	v_add_f32_e32 v66, v66, v67
	s_delay_alu instid0(VALU_DEP_2) | instskip(NEXT) | instid1(VALU_DEP_1)
	v_add_f32_e32 v69, v65, v27
	v_sub_f32_e32 v65, v65, v69
	s_waitcnt_depctr 0xfff
	v_dual_mul_f32 v70, v69, v64 :: v_dual_add_f32 v27, v27, v65
	s_delay_alu instid0(VALU_DEP_1) | instskip(NEXT) | instid1(VALU_DEP_1)
	v_mul_f32_e32 v71, v68, v70
	v_fma_f32 v67, v70, v68, -v71
	s_delay_alu instid0(VALU_DEP_1) | instskip(NEXT) | instid1(VALU_DEP_1)
	v_fmac_f32_e32 v67, v70, v66
	v_add_f32_e32 v80, v71, v67
	s_delay_alu instid0(VALU_DEP_1) | instskip(SKIP_1) | instid1(VALU_DEP_2)
	v_sub_f32_e32 v81, v69, v80
	v_sub_f32_e32 v65, v80, v71
	;; [unrolled: 1-line block ×3, first 2 shown]
	s_delay_alu instid0(VALU_DEP_2) | instskip(NEXT) | instid1(VALU_DEP_2)
	v_sub_f32_e32 v65, v65, v67
	v_sub_f32_e32 v69, v69, v80
	s_delay_alu instid0(VALU_DEP_1) | instskip(NEXT) | instid1(VALU_DEP_1)
	v_add_f32_e32 v27, v27, v69
	v_add_f32_e32 v27, v65, v27
	s_delay_alu instid0(VALU_DEP_1) | instskip(NEXT) | instid1(VALU_DEP_1)
	v_add_f32_e32 v65, v81, v27
	v_mul_f32_e32 v67, v64, v65
	s_delay_alu instid0(VALU_DEP_1) | instskip(NEXT) | instid1(VALU_DEP_1)
	v_dual_sub_f32 v80, v81, v65 :: v_dual_mul_f32 v69, v68, v67
	v_add_f32_e32 v27, v27, v80
	s_delay_alu instid0(VALU_DEP_2) | instskip(NEXT) | instid1(VALU_DEP_1)
	v_fma_f32 v68, v67, v68, -v69
	v_fmac_f32_e32 v68, v67, v66
	s_delay_alu instid0(VALU_DEP_1) | instskip(NEXT) | instid1(VALU_DEP_1)
	v_add_f32_e32 v66, v69, v68
	v_sub_f32_e32 v71, v65, v66
	v_sub_f32_e32 v69, v66, v69
	s_delay_alu instid0(VALU_DEP_2) | instskip(NEXT) | instid1(VALU_DEP_1)
	v_sub_f32_e32 v65, v65, v71
	v_sub_f32_e32 v65, v65, v66
	s_delay_alu instid0(VALU_DEP_1) | instskip(SKIP_1) | instid1(VALU_DEP_1)
	v_dual_sub_f32 v66, v69, v68 :: v_dual_add_f32 v27, v27, v65
	v_add_f32_e32 v65, v70, v67
	v_dual_add_f32 v27, v66, v27 :: v_dual_sub_f32 v66, v65, v70
	s_delay_alu instid0(VALU_DEP_1) | instskip(NEXT) | instid1(VALU_DEP_1)
	v_add_f32_e32 v27, v71, v27
	v_dual_sub_f32 v66, v67, v66 :: v_dual_mul_f32 v27, v64, v27
	s_delay_alu instid0(VALU_DEP_1) | instskip(NEXT) | instid1(VALU_DEP_1)
	v_add_f32_e32 v27, v66, v27
	v_add_f32_e32 v64, v65, v27
	s_delay_alu instid0(VALU_DEP_1) | instskip(NEXT) | instid1(VALU_DEP_1)
	v_mul_f32_e32 v66, v64, v64
	v_fmaak_f32 v67, s4, v66, 0x3ecc95a3
	v_mul_f32_e32 v68, v64, v66
	v_cmp_gt_f32_e64 s4, 0x33800000, |v29|
	s_delay_alu instid0(VALU_DEP_3) | instskip(SKIP_2) | instid1(VALU_DEP_4)
	v_fmaak_f32 v66, v66, v67, 0x3f2aaada
	v_ldexp_f32 v67, v64, 1
	v_sub_f32_e32 v64, v64, v65
	s_or_b32 vcc_lo, vcc_lo, s4
	s_delay_alu instid0(VALU_DEP_3) | instskip(NEXT) | instid1(VALU_DEP_2)
	v_mul_f32_e32 v66, v68, v66
	v_dual_mul_f32 v68, 0x3f317218, v26 :: v_dual_sub_f32 v27, v27, v64
	s_delay_alu instid0(VALU_DEP_2) | instskip(NEXT) | instid1(VALU_DEP_2)
	v_add_f32_e32 v65, v67, v66
	v_ldexp_f32 v27, v27, 1
	s_delay_alu instid0(VALU_DEP_2) | instskip(NEXT) | instid1(VALU_DEP_4)
	v_sub_f32_e32 v64, v65, v67
	v_fma_f32 v67, 0x3f317218, v26, -v68
	s_delay_alu instid0(VALU_DEP_2) | instskip(NEXT) | instid1(VALU_DEP_1)
	v_sub_f32_e32 v64, v66, v64
	v_dual_fmamk_f32 v26, v26, 0xb102e308, v67 :: v_dual_add_f32 v27, v27, v64
	s_delay_alu instid0(VALU_DEP_1) | instskip(NEXT) | instid1(VALU_DEP_2)
	v_add_f32_e32 v64, v68, v26
	v_add_f32_e32 v66, v65, v27
	s_delay_alu instid0(VALU_DEP_2) | instskip(NEXT) | instid1(VALU_DEP_2)
	v_sub_f32_e32 v68, v64, v68
	v_add_f32_e32 v67, v64, v66
	v_sub_f32_e32 v65, v66, v65
	s_delay_alu instid0(VALU_DEP_3) | instskip(NEXT) | instid1(VALU_DEP_3)
	v_sub_f32_e32 v26, v26, v68
	v_sub_f32_e32 v69, v67, v64
	s_delay_alu instid0(VALU_DEP_3) | instskip(NEXT) | instid1(VALU_DEP_2)
	v_sub_f32_e32 v27, v27, v65
	v_sub_f32_e32 v70, v67, v69
	;; [unrolled: 1-line block ×3, first 2 shown]
	s_delay_alu instid0(VALU_DEP_3) | instskip(NEXT) | instid1(VALU_DEP_3)
	v_add_f32_e32 v66, v26, v27
	v_sub_f32_e32 v64, v64, v70
	s_delay_alu instid0(VALU_DEP_1) | instskip(NEXT) | instid1(VALU_DEP_1)
	v_dual_add_f32 v64, v65, v64 :: v_dual_sub_f32 v65, v66, v26
	v_add_f32_e32 v64, v66, v64
	s_delay_alu instid0(VALU_DEP_2) | instskip(SKIP_1) | instid1(VALU_DEP_3)
	v_sub_f32_e32 v66, v66, v65
	v_sub_f32_e32 v27, v27, v65
	v_add_f32_e32 v68, v67, v64
	s_delay_alu instid0(VALU_DEP_1) | instskip(NEXT) | instid1(VALU_DEP_1)
	v_dual_sub_f32 v26, v26, v66 :: v_dual_sub_f32 v65, v68, v67
	v_dual_add_f32 v26, v27, v26 :: v_dual_sub_f32 v27, v64, v65
	s_delay_alu instid0(VALU_DEP_1) | instskip(NEXT) | instid1(VALU_DEP_1)
	v_add_f32_e32 v26, v26, v27
	v_add_f32_e32 v26, v68, v26
	s_delay_alu instid0(VALU_DEP_1) | instskip(NEXT) | instid1(VALU_DEP_1)
	v_cndmask_b32_e32 v26, v26, v29, vcc_lo
	v_add_f32_e32 v26, v28, v26
	s_delay_alu instid0(VALU_DEP_1) | instskip(NEXT) | instid1(VALU_DEP_1)
	v_cvt_f16_f32_e32 v26, v26
	v_mov_b32_e32 v100, v26
	v_cvt_f32_f16_e32 v27, v26
.LBB410_53:
	s_or_b32 exec_lo, exec_lo, s3
	v_cvt_f32_f16_e32 v64, v53
	s_delay_alu instid0(VALU_DEP_2) | instskip(SKIP_2) | instid1(VALU_DEP_3)
	v_max_f32_e32 v28, v27, v27
	v_cmp_u_f16_e32 vcc_lo, v26, v26
	v_cmp_u_f16_e64 s3, v53, v53
	v_min_f32_e32 v29, v28, v64
	s_delay_alu instid0(VALU_DEP_1) | instskip(NEXT) | instid1(VALU_DEP_1)
	v_dual_max_f32 v28, v28, v64 :: v_dual_cndmask_b32 v29, v29, v27
	v_cndmask_b32_e32 v28, v28, v27, vcc_lo
	s_delay_alu instid0(VALU_DEP_2) | instskip(NEXT) | instid1(VALU_DEP_2)
	v_cndmask_b32_e64 v29, v29, v64, s3
	v_cndmask_b32_e64 v28, v28, v64, s3
	s_delay_alu instid0(VALU_DEP_2) | instskip(NEXT) | instid1(VALU_DEP_2)
	v_cmp_class_f32_e64 s4, v29, 0x1f8
	v_cmp_neq_f32_e32 vcc_lo, v29, v28
	s_delay_alu instid0(VALU_DEP_2) | instskip(NEXT) | instid1(SALU_CYCLE_1)
	s_or_b32 s5, vcc_lo, s4
	s_and_saveexec_b32 s4, s5
	s_cbranch_execz .LBB410_55
; %bb.54:
	v_sub_f32_e32 v26, v29, v28
	s_mov_b32 s5, 0x3e9b6dac
	s_delay_alu instid0(VALU_DEP_1) | instskip(NEXT) | instid1(VALU_DEP_1)
	v_mul_f32_e32 v27, 0x3fb8aa3b, v26
	v_fma_f32 v29, 0x3fb8aa3b, v26, -v27
	v_rndne_f32_e32 v65, v27
	s_delay_alu instid0(VALU_DEP_1) | instskip(NEXT) | instid1(VALU_DEP_3)
	v_sub_f32_e32 v27, v27, v65
	v_fmamk_f32 v29, v26, 0x32a5705f, v29
	v_cmp_ngt_f32_e32 vcc_lo, 0xc2ce8ed0, v26
	s_delay_alu instid0(VALU_DEP_2) | instskip(SKIP_1) | instid1(VALU_DEP_2)
	v_add_f32_e32 v27, v27, v29
	v_cvt_i32_f32_e32 v29, v65
	v_exp_f32_e32 v27, v27
	s_waitcnt_depctr 0xfff
	v_ldexp_f32 v27, v27, v29
	s_delay_alu instid0(VALU_DEP_1) | instskip(SKIP_1) | instid1(VALU_DEP_2)
	v_cndmask_b32_e32 v27, 0, v27, vcc_lo
	v_cmp_nlt_f32_e32 vcc_lo, 0x42b17218, v26
	v_cndmask_b32_e32 v29, 0x7f800000, v27, vcc_lo
	s_delay_alu instid0(VALU_DEP_1) | instskip(NEXT) | instid1(VALU_DEP_1)
	v_add_f32_e32 v65, 1.0, v29
	v_cvt_f64_f32_e32 v[26:27], v65
	s_delay_alu instid0(VALU_DEP_1) | instskip(SKIP_1) | instid1(VALU_DEP_1)
	v_frexp_exp_i32_f64_e32 v26, v[26:27]
	v_frexp_mant_f32_e32 v27, v65
	v_cmp_gt_f32_e32 vcc_lo, 0x3f2aaaab, v27
	v_add_f32_e32 v27, -1.0, v65
	s_delay_alu instid0(VALU_DEP_1) | instskip(SKIP_1) | instid1(VALU_DEP_2)
	v_sub_f32_e32 v67, v27, v65
	v_sub_f32_e32 v27, v29, v27
	v_add_f32_e32 v67, 1.0, v67
	s_delay_alu instid0(VALU_DEP_1) | instskip(SKIP_1) | instid1(VALU_DEP_1)
	v_add_f32_e32 v27, v27, v67
	v_subrev_co_ci_u32_e32 v26, vcc_lo, 0, v26, vcc_lo
	v_sub_nc_u32_e32 v66, 0, v26
	v_cvt_f32_i32_e32 v26, v26
	s_delay_alu instid0(VALU_DEP_2) | instskip(SKIP_1) | instid1(VALU_DEP_2)
	v_ldexp_f32 v65, v65, v66
	v_ldexp_f32 v27, v27, v66
	v_add_f32_e32 v68, 1.0, v65
	s_delay_alu instid0(VALU_DEP_1) | instskip(NEXT) | instid1(VALU_DEP_1)
	v_dual_add_f32 v66, -1.0, v65 :: v_dual_add_f32 v67, -1.0, v68
	v_add_f32_e32 v69, 1.0, v66
	s_delay_alu instid0(VALU_DEP_2) | instskip(NEXT) | instid1(VALU_DEP_2)
	v_sub_f32_e32 v67, v65, v67
	v_sub_f32_e32 v65, v65, v69
	s_delay_alu instid0(VALU_DEP_2) | instskip(NEXT) | instid1(VALU_DEP_1)
	v_add_f32_e32 v67, v27, v67
	v_add_f32_e32 v69, v68, v67
	s_delay_alu instid0(VALU_DEP_3) | instskip(NEXT) | instid1(VALU_DEP_2)
	v_add_f32_e32 v27, v27, v65
	v_rcp_f32_e32 v65, v69
	s_delay_alu instid0(VALU_DEP_1) | instskip(SKIP_1) | instid1(VALU_DEP_1)
	v_add_f32_e32 v70, v66, v27
	v_sub_f32_e32 v68, v68, v69
	v_dual_sub_f32 v66, v66, v70 :: v_dual_add_f32 v67, v67, v68
	s_waitcnt_depctr 0xfff
	v_mul_f32_e32 v71, v70, v65
	s_delay_alu instid0(VALU_DEP_1) | instskip(NEXT) | instid1(VALU_DEP_1)
	v_dual_add_f32 v27, v27, v66 :: v_dual_mul_f32 v80, v69, v71
	v_fma_f32 v68, v71, v69, -v80
	s_delay_alu instid0(VALU_DEP_1) | instskip(NEXT) | instid1(VALU_DEP_1)
	v_fmac_f32_e32 v68, v71, v67
	v_add_f32_e32 v81, v80, v68
	s_delay_alu instid0(VALU_DEP_1) | instskip(SKIP_2) | instid1(VALU_DEP_3)
	v_sub_f32_e32 v82, v70, v81
	v_sub_f32_e32 v66, v81, v80
	v_cmp_eq_f32_e32 vcc_lo, 0x7f800000, v29
	v_sub_f32_e32 v70, v70, v82
	s_delay_alu instid0(VALU_DEP_3) | instskip(NEXT) | instid1(VALU_DEP_2)
	v_sub_f32_e32 v66, v66, v68
	v_sub_f32_e32 v70, v70, v81
	s_delay_alu instid0(VALU_DEP_1) | instskip(NEXT) | instid1(VALU_DEP_1)
	v_add_f32_e32 v27, v27, v70
	v_add_f32_e32 v27, v66, v27
	s_delay_alu instid0(VALU_DEP_1) | instskip(NEXT) | instid1(VALU_DEP_1)
	v_add_f32_e32 v66, v82, v27
	v_mul_f32_e32 v68, v65, v66
	s_delay_alu instid0(VALU_DEP_1) | instskip(NEXT) | instid1(VALU_DEP_1)
	v_dual_sub_f32 v81, v82, v66 :: v_dual_mul_f32 v70, v69, v68
	v_add_f32_e32 v27, v27, v81
	s_delay_alu instid0(VALU_DEP_2) | instskip(NEXT) | instid1(VALU_DEP_1)
	v_fma_f32 v69, v68, v69, -v70
	v_fmac_f32_e32 v69, v68, v67
	s_delay_alu instid0(VALU_DEP_1) | instskip(NEXT) | instid1(VALU_DEP_1)
	v_add_f32_e32 v67, v70, v69
	v_sub_f32_e32 v80, v66, v67
	v_sub_f32_e32 v70, v67, v70
	s_delay_alu instid0(VALU_DEP_2) | instskip(NEXT) | instid1(VALU_DEP_1)
	v_sub_f32_e32 v66, v66, v80
	v_sub_f32_e32 v66, v66, v67
	s_delay_alu instid0(VALU_DEP_3) | instskip(NEXT) | instid1(VALU_DEP_2)
	v_sub_f32_e32 v67, v70, v69
	v_add_f32_e32 v27, v27, v66
	v_add_f32_e32 v66, v71, v68
	s_delay_alu instid0(VALU_DEP_2) | instskip(NEXT) | instid1(VALU_DEP_2)
	v_add_f32_e32 v27, v67, v27
	v_sub_f32_e32 v67, v66, v71
	s_delay_alu instid0(VALU_DEP_2) | instskip(NEXT) | instid1(VALU_DEP_2)
	v_add_f32_e32 v27, v80, v27
	v_sub_f32_e32 v67, v68, v67
	s_delay_alu instid0(VALU_DEP_2) | instskip(NEXT) | instid1(VALU_DEP_1)
	v_mul_f32_e32 v27, v65, v27
	v_add_f32_e32 v27, v67, v27
	s_delay_alu instid0(VALU_DEP_1) | instskip(NEXT) | instid1(VALU_DEP_1)
	v_add_f32_e32 v65, v66, v27
	v_mul_f32_e32 v67, v65, v65
	s_delay_alu instid0(VALU_DEP_1) | instskip(SKIP_2) | instid1(VALU_DEP_3)
	v_fmaak_f32 v68, s5, v67, 0x3ecc95a3
	v_mul_f32_e32 v69, v65, v67
	v_cmp_gt_f32_e64 s5, 0x33800000, |v29|
	v_fmaak_f32 v67, v67, v68, 0x3f2aaada
	v_ldexp_f32 v68, v65, 1
	v_sub_f32_e32 v65, v65, v66
	s_delay_alu instid0(VALU_DEP_4) | instskip(NEXT) | instid1(VALU_DEP_3)
	s_or_b32 vcc_lo, vcc_lo, s5
	v_mul_f32_e32 v67, v69, v67
	v_mul_f32_e32 v69, 0x3f317218, v26
	s_delay_alu instid0(VALU_DEP_2) | instskip(NEXT) | instid1(VALU_DEP_1)
	v_dual_sub_f32 v27, v27, v65 :: v_dual_add_f32 v66, v68, v67
	v_ldexp_f32 v27, v27, 1
	s_delay_alu instid0(VALU_DEP_2) | instskip(NEXT) | instid1(VALU_DEP_4)
	v_sub_f32_e32 v65, v66, v68
	v_fma_f32 v68, 0x3f317218, v26, -v69
	s_delay_alu instid0(VALU_DEP_1) | instskip(NEXT) | instid1(VALU_DEP_1)
	v_dual_sub_f32 v65, v67, v65 :: v_dual_fmamk_f32 v26, v26, 0xb102e308, v68
	v_add_f32_e32 v27, v27, v65
	s_delay_alu instid0(VALU_DEP_2) | instskip(NEXT) | instid1(VALU_DEP_2)
	v_add_f32_e32 v65, v69, v26
	v_add_f32_e32 v67, v66, v27
	s_delay_alu instid0(VALU_DEP_2) | instskip(NEXT) | instid1(VALU_DEP_2)
	v_sub_f32_e32 v69, v65, v69
	v_add_f32_e32 v68, v65, v67
	v_sub_f32_e32 v66, v67, v66
	s_delay_alu instid0(VALU_DEP_3) | instskip(NEXT) | instid1(VALU_DEP_2)
	v_sub_f32_e32 v26, v26, v69
	v_dual_sub_f32 v70, v68, v65 :: v_dual_sub_f32 v27, v27, v66
	s_delay_alu instid0(VALU_DEP_1) | instskip(NEXT) | instid1(VALU_DEP_2)
	v_sub_f32_e32 v71, v68, v70
	v_dual_sub_f32 v66, v67, v70 :: v_dual_add_f32 v67, v26, v27
	s_delay_alu instid0(VALU_DEP_2) | instskip(NEXT) | instid1(VALU_DEP_1)
	v_sub_f32_e32 v65, v65, v71
	v_dual_add_f32 v65, v66, v65 :: v_dual_sub_f32 v66, v67, v26
	s_delay_alu instid0(VALU_DEP_1) | instskip(NEXT) | instid1(VALU_DEP_2)
	v_add_f32_e32 v65, v67, v65
	v_sub_f32_e32 v67, v67, v66
	v_sub_f32_e32 v27, v27, v66
	s_delay_alu instid0(VALU_DEP_2) | instskip(NEXT) | instid1(VALU_DEP_1)
	v_dual_add_f32 v69, v68, v65 :: v_dual_sub_f32 v26, v26, v67
	v_sub_f32_e32 v66, v69, v68
	s_delay_alu instid0(VALU_DEP_2) | instskip(NEXT) | instid1(VALU_DEP_2)
	v_add_f32_e32 v26, v27, v26
	v_sub_f32_e32 v27, v65, v66
	s_delay_alu instid0(VALU_DEP_1) | instskip(NEXT) | instid1(VALU_DEP_1)
	v_add_f32_e32 v26, v26, v27
	v_add_f32_e32 v26, v69, v26
	s_delay_alu instid0(VALU_DEP_1) | instskip(NEXT) | instid1(VALU_DEP_1)
	v_cndmask_b32_e32 v26, v26, v29, vcc_lo
	v_add_f32_e32 v26, v28, v26
	s_delay_alu instid0(VALU_DEP_1) | instskip(NEXT) | instid1(VALU_DEP_1)
	v_cvt_f16_f32_e32 v26, v26
	v_cvt_f32_f16_e32 v27, v26
	v_mov_b32_e32 v100, v26
.LBB410_55:
	s_or_b32 exec_lo, exec_lo, s4
	v_cvt_f32_f16_e32 v65, v24
	s_delay_alu instid0(VALU_DEP_3) | instskip(SKIP_2) | instid1(VALU_DEP_3)
	v_max_f32_e32 v28, v27, v27
	v_cmp_u_f16_e32 vcc_lo, v26, v26
	v_cmp_u_f16_e64 s4, v24, v24
	v_min_f32_e32 v29, v28, v65
	s_delay_alu instid0(VALU_DEP_1) | instskip(NEXT) | instid1(VALU_DEP_1)
	v_dual_max_f32 v28, v28, v65 :: v_dual_cndmask_b32 v29, v29, v27
	v_cndmask_b32_e32 v28, v28, v27, vcc_lo
	s_delay_alu instid0(VALU_DEP_2) | instskip(NEXT) | instid1(VALU_DEP_2)
	v_cndmask_b32_e64 v29, v29, v65, s4
	v_cndmask_b32_e64 v28, v28, v65, s4
	s_delay_alu instid0(VALU_DEP_2) | instskip(NEXT) | instid1(VALU_DEP_2)
	v_cmp_class_f32_e64 s5, v29, 0x1f8
	v_cmp_neq_f32_e32 vcc_lo, v29, v28
	s_delay_alu instid0(VALU_DEP_2) | instskip(NEXT) | instid1(SALU_CYCLE_1)
	s_or_b32 s6, vcc_lo, s5
	s_and_saveexec_b32 s5, s6
	s_cbranch_execz .LBB410_57
; %bb.56:
	v_sub_f32_e32 v26, v29, v28
	s_mov_b32 s6, 0x3e9b6dac
	s_delay_alu instid0(VALU_DEP_1) | instskip(NEXT) | instid1(VALU_DEP_1)
	v_mul_f32_e32 v27, 0x3fb8aa3b, v26
	v_fma_f32 v29, 0x3fb8aa3b, v26, -v27
	v_rndne_f32_e32 v66, v27
	s_delay_alu instid0(VALU_DEP_1) | instskip(NEXT) | instid1(VALU_DEP_3)
	v_sub_f32_e32 v27, v27, v66
	v_fmamk_f32 v29, v26, 0x32a5705f, v29
	v_cmp_ngt_f32_e32 vcc_lo, 0xc2ce8ed0, v26
	s_delay_alu instid0(VALU_DEP_2) | instskip(SKIP_1) | instid1(VALU_DEP_2)
	v_add_f32_e32 v27, v27, v29
	v_cvt_i32_f32_e32 v29, v66
	v_exp_f32_e32 v27, v27
	s_waitcnt_depctr 0xfff
	v_ldexp_f32 v27, v27, v29
	s_delay_alu instid0(VALU_DEP_1) | instskip(SKIP_1) | instid1(VALU_DEP_2)
	v_cndmask_b32_e32 v27, 0, v27, vcc_lo
	v_cmp_nlt_f32_e32 vcc_lo, 0x42b17218, v26
	v_cndmask_b32_e32 v29, 0x7f800000, v27, vcc_lo
	s_delay_alu instid0(VALU_DEP_1) | instskip(NEXT) | instid1(VALU_DEP_1)
	v_add_f32_e32 v66, 1.0, v29
	v_cvt_f64_f32_e32 v[26:27], v66
	s_delay_alu instid0(VALU_DEP_1) | instskip(SKIP_1) | instid1(VALU_DEP_1)
	v_frexp_exp_i32_f64_e32 v26, v[26:27]
	v_frexp_mant_f32_e32 v27, v66
	v_cmp_gt_f32_e32 vcc_lo, 0x3f2aaaab, v27
	v_add_f32_e32 v27, -1.0, v66
	s_delay_alu instid0(VALU_DEP_1) | instskip(NEXT) | instid1(VALU_DEP_1)
	v_sub_f32_e32 v68, v27, v66
	v_add_f32_e32 v68, 1.0, v68
	v_subrev_co_ci_u32_e32 v26, vcc_lo, 0, v26, vcc_lo
	s_delay_alu instid0(VALU_DEP_1) | instskip(SKIP_1) | instid1(VALU_DEP_2)
	v_sub_nc_u32_e32 v67, 0, v26
	v_cvt_f32_i32_e32 v26, v26
	v_ldexp_f32 v66, v66, v67
	v_sub_f32_e32 v27, v29, v27
	s_delay_alu instid0(VALU_DEP_1) | instskip(NEXT) | instid1(VALU_DEP_1)
	v_add_f32_e32 v27, v27, v68
	v_ldexp_f32 v27, v27, v67
	s_delay_alu instid0(VALU_DEP_4) | instskip(NEXT) | instid1(VALU_DEP_1)
	v_add_f32_e32 v69, 1.0, v66
	v_add_f32_e32 v68, -1.0, v69
	s_delay_alu instid0(VALU_DEP_1) | instskip(SKIP_1) | instid1(VALU_DEP_2)
	v_sub_f32_e32 v68, v66, v68
	v_cmp_eq_f32_e32 vcc_lo, 0x7f800000, v29
	v_dual_add_f32 v68, v27, v68 :: v_dual_add_f32 v67, -1.0, v66
	s_delay_alu instid0(VALU_DEP_1) | instskip(NEXT) | instid1(VALU_DEP_1)
	v_add_f32_e32 v70, 1.0, v67
	v_sub_f32_e32 v66, v66, v70
	s_delay_alu instid0(VALU_DEP_1) | instskip(NEXT) | instid1(VALU_DEP_1)
	v_dual_add_f32 v70, v69, v68 :: v_dual_add_f32 v27, v27, v66
	v_rcp_f32_e32 v66, v70
	v_sub_f32_e32 v69, v69, v70
	s_delay_alu instid0(VALU_DEP_1) | instskip(SKIP_3) | instid1(VALU_DEP_2)
	v_dual_add_f32 v68, v68, v69 :: v_dual_add_f32 v71, v67, v27
	s_waitcnt_depctr 0xfff
	v_mul_f32_e32 v80, v71, v66
	v_sub_f32_e32 v67, v67, v71
	v_mul_f32_e32 v81, v70, v80
	s_delay_alu instid0(VALU_DEP_1) | instskip(NEXT) | instid1(VALU_DEP_1)
	v_fma_f32 v69, v80, v70, -v81
	v_fmac_f32_e32 v69, v80, v68
	s_delay_alu instid0(VALU_DEP_1) | instskip(NEXT) | instid1(VALU_DEP_1)
	v_dual_add_f32 v82, v81, v69 :: v_dual_add_f32 v27, v27, v67
	v_sub_f32_e32 v83, v71, v82
	v_sub_f32_e32 v67, v82, v81
	s_delay_alu instid0(VALU_DEP_2) | instskip(NEXT) | instid1(VALU_DEP_2)
	v_sub_f32_e32 v71, v71, v83
	v_sub_f32_e32 v67, v67, v69
	s_delay_alu instid0(VALU_DEP_2) | instskip(NEXT) | instid1(VALU_DEP_1)
	v_sub_f32_e32 v71, v71, v82
	v_add_f32_e32 v27, v27, v71
	s_delay_alu instid0(VALU_DEP_1) | instskip(NEXT) | instid1(VALU_DEP_1)
	v_add_f32_e32 v27, v67, v27
	v_add_f32_e32 v67, v83, v27
	s_delay_alu instid0(VALU_DEP_1) | instskip(NEXT) | instid1(VALU_DEP_1)
	v_mul_f32_e32 v69, v66, v67
	v_dual_sub_f32 v82, v83, v67 :: v_dual_mul_f32 v71, v70, v69
	s_delay_alu instid0(VALU_DEP_1) | instskip(NEXT) | instid1(VALU_DEP_2)
	v_add_f32_e32 v27, v27, v82
	v_fma_f32 v70, v69, v70, -v71
	s_delay_alu instid0(VALU_DEP_1) | instskip(NEXT) | instid1(VALU_DEP_1)
	v_fmac_f32_e32 v70, v69, v68
	v_add_f32_e32 v68, v71, v70
	s_delay_alu instid0(VALU_DEP_1) | instskip(SKIP_1) | instid1(VALU_DEP_2)
	v_sub_f32_e32 v81, v67, v68
	v_sub_f32_e32 v71, v68, v71
	;; [unrolled: 1-line block ×3, first 2 shown]
	s_delay_alu instid0(VALU_DEP_1) | instskip(NEXT) | instid1(VALU_DEP_3)
	v_sub_f32_e32 v67, v67, v68
	v_sub_f32_e32 v68, v71, v70
	s_delay_alu instid0(VALU_DEP_2) | instskip(SKIP_1) | instid1(VALU_DEP_1)
	v_add_f32_e32 v27, v27, v67
	v_add_f32_e32 v67, v80, v69
	v_dual_add_f32 v27, v68, v27 :: v_dual_sub_f32 v68, v67, v80
	s_delay_alu instid0(VALU_DEP_1) | instskip(NEXT) | instid1(VALU_DEP_1)
	v_add_f32_e32 v27, v81, v27
	v_dual_sub_f32 v68, v69, v68 :: v_dual_mul_f32 v27, v66, v27
	s_delay_alu instid0(VALU_DEP_1) | instskip(NEXT) | instid1(VALU_DEP_1)
	v_add_f32_e32 v27, v68, v27
	v_add_f32_e32 v66, v67, v27
	s_delay_alu instid0(VALU_DEP_1) | instskip(NEXT) | instid1(VALU_DEP_1)
	v_mul_f32_e32 v68, v66, v66
	v_fmaak_f32 v69, s6, v68, 0x3ecc95a3
	v_mul_f32_e32 v70, v66, v68
	v_cmp_gt_f32_e64 s6, 0x33800000, |v29|
	s_delay_alu instid0(VALU_DEP_3) | instskip(SKIP_2) | instid1(VALU_DEP_4)
	v_fmaak_f32 v68, v68, v69, 0x3f2aaada
	v_ldexp_f32 v69, v66, 1
	v_sub_f32_e32 v66, v66, v67
	s_or_b32 vcc_lo, vcc_lo, s6
	s_delay_alu instid0(VALU_DEP_3) | instskip(SKIP_1) | instid1(VALU_DEP_3)
	v_mul_f32_e32 v68, v70, v68
	v_mul_f32_e32 v70, 0x3f317218, v26
	v_sub_f32_e32 v27, v27, v66
	s_delay_alu instid0(VALU_DEP_3) | instskip(NEXT) | instid1(VALU_DEP_2)
	v_add_f32_e32 v67, v69, v68
	v_ldexp_f32 v27, v27, 1
	s_delay_alu instid0(VALU_DEP_2) | instskip(SKIP_1) | instid1(VALU_DEP_2)
	v_sub_f32_e32 v66, v67, v69
	v_fma_f32 v69, 0x3f317218, v26, -v70
	v_sub_f32_e32 v66, v68, v66
	s_delay_alu instid0(VALU_DEP_1) | instskip(NEXT) | instid1(VALU_DEP_1)
	v_dual_fmamk_f32 v26, v26, 0xb102e308, v69 :: v_dual_add_f32 v27, v27, v66
	v_add_f32_e32 v66, v70, v26
	s_delay_alu instid0(VALU_DEP_2) | instskip(NEXT) | instid1(VALU_DEP_2)
	v_add_f32_e32 v68, v67, v27
	v_sub_f32_e32 v70, v66, v70
	s_delay_alu instid0(VALU_DEP_2) | instskip(NEXT) | instid1(VALU_DEP_2)
	v_add_f32_e32 v69, v66, v68
	v_dual_sub_f32 v67, v68, v67 :: v_dual_sub_f32 v26, v26, v70
	s_delay_alu instid0(VALU_DEP_2) | instskip(NEXT) | instid1(VALU_DEP_2)
	v_sub_f32_e32 v71, v69, v66
	v_sub_f32_e32 v27, v27, v67
	s_delay_alu instid0(VALU_DEP_2) | instskip(SKIP_1) | instid1(VALU_DEP_3)
	v_sub_f32_e32 v80, v69, v71
	v_sub_f32_e32 v67, v68, v71
	v_add_f32_e32 v68, v26, v27
	s_delay_alu instid0(VALU_DEP_3) | instskip(NEXT) | instid1(VALU_DEP_1)
	v_sub_f32_e32 v66, v66, v80
	v_add_f32_e32 v66, v67, v66
	s_delay_alu instid0(VALU_DEP_3) | instskip(NEXT) | instid1(VALU_DEP_2)
	v_sub_f32_e32 v67, v68, v26
	v_add_f32_e32 v66, v68, v66
	s_delay_alu instid0(VALU_DEP_2) | instskip(NEXT) | instid1(VALU_DEP_2)
	v_sub_f32_e32 v68, v68, v67
	v_dual_sub_f32 v27, v27, v67 :: v_dual_add_f32 v70, v69, v66
	s_delay_alu instid0(VALU_DEP_2) | instskip(NEXT) | instid1(VALU_DEP_1)
	v_sub_f32_e32 v26, v26, v68
	v_dual_sub_f32 v67, v70, v69 :: v_dual_add_f32 v26, v27, v26
	s_delay_alu instid0(VALU_DEP_1) | instskip(NEXT) | instid1(VALU_DEP_1)
	v_sub_f32_e32 v27, v66, v67
	v_add_f32_e32 v26, v26, v27
	s_delay_alu instid0(VALU_DEP_1) | instskip(NEXT) | instid1(VALU_DEP_1)
	v_add_f32_e32 v26, v70, v26
	v_cndmask_b32_e32 v26, v26, v29, vcc_lo
	s_delay_alu instid0(VALU_DEP_1) | instskip(NEXT) | instid1(VALU_DEP_1)
	v_add_f32_e32 v26, v28, v26
	v_cvt_f16_f32_e32 v26, v26
	s_delay_alu instid0(VALU_DEP_1)
	v_mov_b32_e32 v100, v26
	v_cvt_f32_f16_e32 v27, v26
.LBB410_57:
	s_or_b32 exec_lo, exec_lo, s5
	v_cvt_f32_f16_e32 v66, v52
	s_delay_alu instid0(VALU_DEP_2) | instskip(SKIP_2) | instid1(VALU_DEP_3)
	v_max_f32_e32 v28, v27, v27
	v_cmp_u_f16_e32 vcc_lo, v26, v26
	v_cmp_u_f16_e64 s5, v52, v52
	v_min_f32_e32 v29, v28, v66
	s_delay_alu instid0(VALU_DEP_1) | instskip(NEXT) | instid1(VALU_DEP_1)
	v_dual_max_f32 v28, v28, v66 :: v_dual_cndmask_b32 v29, v29, v27
	v_cndmask_b32_e32 v28, v28, v27, vcc_lo
	s_delay_alu instid0(VALU_DEP_2) | instskip(NEXT) | instid1(VALU_DEP_2)
	v_cndmask_b32_e64 v29, v29, v66, s5
	v_cndmask_b32_e64 v28, v28, v66, s5
	s_delay_alu instid0(VALU_DEP_2) | instskip(NEXT) | instid1(VALU_DEP_2)
	v_cmp_class_f32_e64 s6, v29, 0x1f8
	v_cmp_neq_f32_e32 vcc_lo, v29, v28
	s_delay_alu instid0(VALU_DEP_2) | instskip(NEXT) | instid1(SALU_CYCLE_1)
	s_or_b32 s7, vcc_lo, s6
	s_and_saveexec_b32 s6, s7
	s_cbranch_execz .LBB410_59
; %bb.58:
	v_sub_f32_e32 v26, v29, v28
	s_mov_b32 s7, 0x3e9b6dac
	s_delay_alu instid0(VALU_DEP_1) | instskip(NEXT) | instid1(VALU_DEP_1)
	v_mul_f32_e32 v27, 0x3fb8aa3b, v26
	v_fma_f32 v29, 0x3fb8aa3b, v26, -v27
	v_rndne_f32_e32 v67, v27
	s_delay_alu instid0(VALU_DEP_1) | instskip(NEXT) | instid1(VALU_DEP_3)
	v_sub_f32_e32 v27, v27, v67
	v_fmamk_f32 v29, v26, 0x32a5705f, v29
	v_cmp_ngt_f32_e32 vcc_lo, 0xc2ce8ed0, v26
	s_delay_alu instid0(VALU_DEP_2) | instskip(SKIP_1) | instid1(VALU_DEP_2)
	v_add_f32_e32 v27, v27, v29
	v_cvt_i32_f32_e32 v29, v67
	v_exp_f32_e32 v27, v27
	s_waitcnt_depctr 0xfff
	v_ldexp_f32 v27, v27, v29
	s_delay_alu instid0(VALU_DEP_1) | instskip(SKIP_1) | instid1(VALU_DEP_2)
	v_cndmask_b32_e32 v27, 0, v27, vcc_lo
	v_cmp_nlt_f32_e32 vcc_lo, 0x42b17218, v26
	v_cndmask_b32_e32 v29, 0x7f800000, v27, vcc_lo
	s_delay_alu instid0(VALU_DEP_1) | instskip(NEXT) | instid1(VALU_DEP_1)
	v_add_f32_e32 v67, 1.0, v29
	v_cvt_f64_f32_e32 v[26:27], v67
	s_delay_alu instid0(VALU_DEP_1) | instskip(SKIP_1) | instid1(VALU_DEP_1)
	v_frexp_exp_i32_f64_e32 v26, v[26:27]
	v_frexp_mant_f32_e32 v27, v67
	v_cmp_gt_f32_e32 vcc_lo, 0x3f2aaaab, v27
	v_add_f32_e32 v27, -1.0, v67
	s_delay_alu instid0(VALU_DEP_1) | instskip(SKIP_1) | instid1(VALU_DEP_2)
	v_sub_f32_e32 v69, v27, v67
	v_sub_f32_e32 v27, v29, v27
	v_add_f32_e32 v69, 1.0, v69
	s_delay_alu instid0(VALU_DEP_1) | instskip(SKIP_1) | instid1(VALU_DEP_1)
	v_add_f32_e32 v27, v27, v69
	v_subrev_co_ci_u32_e32 v26, vcc_lo, 0, v26, vcc_lo
	v_sub_nc_u32_e32 v68, 0, v26
	v_cvt_f32_i32_e32 v26, v26
	s_delay_alu instid0(VALU_DEP_2) | instskip(SKIP_1) | instid1(VALU_DEP_2)
	v_ldexp_f32 v67, v67, v68
	v_ldexp_f32 v27, v27, v68
	v_add_f32_e32 v70, 1.0, v67
	s_delay_alu instid0(VALU_DEP_1) | instskip(NEXT) | instid1(VALU_DEP_1)
	v_dual_add_f32 v68, -1.0, v67 :: v_dual_add_f32 v69, -1.0, v70
	v_add_f32_e32 v71, 1.0, v68
	s_delay_alu instid0(VALU_DEP_2) | instskip(NEXT) | instid1(VALU_DEP_2)
	v_sub_f32_e32 v69, v67, v69
	v_sub_f32_e32 v67, v67, v71
	s_delay_alu instid0(VALU_DEP_2) | instskip(NEXT) | instid1(VALU_DEP_2)
	v_add_f32_e32 v69, v27, v69
	v_add_f32_e32 v27, v27, v67
	s_delay_alu instid0(VALU_DEP_1) | instskip(NEXT) | instid1(VALU_DEP_1)
	v_dual_add_f32 v71, v70, v69 :: v_dual_add_f32 v80, v68, v27
	v_rcp_f32_e32 v67, v71
	v_sub_f32_e32 v70, v70, v71
	s_delay_alu instid0(VALU_DEP_1) | instskip(SKIP_3) | instid1(VALU_DEP_2)
	v_dual_sub_f32 v68, v68, v80 :: v_dual_add_f32 v69, v69, v70
	s_waitcnt_depctr 0xfff
	v_mul_f32_e32 v81, v80, v67
	v_add_f32_e32 v27, v27, v68
	v_mul_f32_e32 v82, v71, v81
	s_delay_alu instid0(VALU_DEP_1) | instskip(NEXT) | instid1(VALU_DEP_1)
	v_fma_f32 v70, v81, v71, -v82
	v_fmac_f32_e32 v70, v81, v69
	v_cmp_eq_f32_e32 vcc_lo, 0x7f800000, v29
	s_delay_alu instid0(VALU_DEP_2) | instskip(NEXT) | instid1(VALU_DEP_1)
	v_add_f32_e32 v83, v82, v70
	v_sub_f32_e32 v84, v80, v83
	v_sub_f32_e32 v68, v83, v82
	s_delay_alu instid0(VALU_DEP_2) | instskip(NEXT) | instid1(VALU_DEP_2)
	v_sub_f32_e32 v80, v80, v84
	v_sub_f32_e32 v68, v68, v70
	s_delay_alu instid0(VALU_DEP_2) | instskip(NEXT) | instid1(VALU_DEP_1)
	v_sub_f32_e32 v80, v80, v83
	v_add_f32_e32 v27, v27, v80
	s_delay_alu instid0(VALU_DEP_1) | instskip(NEXT) | instid1(VALU_DEP_1)
	v_add_f32_e32 v27, v68, v27
	v_add_f32_e32 v68, v84, v27
	s_delay_alu instid0(VALU_DEP_1) | instskip(NEXT) | instid1(VALU_DEP_1)
	v_mul_f32_e32 v70, v67, v68
	v_dual_sub_f32 v83, v84, v68 :: v_dual_mul_f32 v80, v71, v70
	s_delay_alu instid0(VALU_DEP_1) | instskip(NEXT) | instid1(VALU_DEP_2)
	v_add_f32_e32 v27, v27, v83
	v_fma_f32 v71, v70, v71, -v80
	s_delay_alu instid0(VALU_DEP_1) | instskip(NEXT) | instid1(VALU_DEP_1)
	v_fmac_f32_e32 v71, v70, v69
	v_add_f32_e32 v69, v80, v71
	s_delay_alu instid0(VALU_DEP_1) | instskip(SKIP_1) | instid1(VALU_DEP_2)
	v_sub_f32_e32 v82, v68, v69
	v_sub_f32_e32 v80, v69, v80
	;; [unrolled: 1-line block ×3, first 2 shown]
	s_delay_alu instid0(VALU_DEP_1) | instskip(NEXT) | instid1(VALU_DEP_3)
	v_sub_f32_e32 v68, v68, v69
	v_sub_f32_e32 v69, v80, v71
	s_delay_alu instid0(VALU_DEP_2) | instskip(NEXT) | instid1(VALU_DEP_1)
	v_dual_add_f32 v27, v27, v68 :: v_dual_add_f32 v68, v81, v70
	v_add_f32_e32 v27, v69, v27
	s_delay_alu instid0(VALU_DEP_2) | instskip(NEXT) | instid1(VALU_DEP_2)
	v_sub_f32_e32 v69, v68, v81
	v_add_f32_e32 v27, v82, v27
	s_delay_alu instid0(VALU_DEP_2) | instskip(NEXT) | instid1(VALU_DEP_2)
	v_sub_f32_e32 v69, v70, v69
	v_mul_f32_e32 v27, v67, v27
	s_delay_alu instid0(VALU_DEP_1) | instskip(NEXT) | instid1(VALU_DEP_1)
	v_add_f32_e32 v27, v69, v27
	v_add_f32_e32 v67, v68, v27
	s_delay_alu instid0(VALU_DEP_1) | instskip(NEXT) | instid1(VALU_DEP_1)
	v_mul_f32_e32 v69, v67, v67
	v_fmaak_f32 v70, s7, v69, 0x3ecc95a3
	v_mul_f32_e32 v71, v67, v69
	v_cmp_gt_f32_e64 s7, 0x33800000, |v29|
	s_delay_alu instid0(VALU_DEP_3) | instskip(SKIP_2) | instid1(VALU_DEP_4)
	v_fmaak_f32 v69, v69, v70, 0x3f2aaada
	v_ldexp_f32 v70, v67, 1
	v_sub_f32_e32 v67, v67, v68
	s_or_b32 vcc_lo, vcc_lo, s7
	s_delay_alu instid0(VALU_DEP_3) | instskip(SKIP_1) | instid1(VALU_DEP_2)
	v_mul_f32_e32 v69, v71, v69
	v_mul_f32_e32 v71, 0x3f317218, v26
	v_dual_sub_f32 v27, v27, v67 :: v_dual_add_f32 v68, v70, v69
	s_delay_alu instid0(VALU_DEP_1) | instskip(NEXT) | instid1(VALU_DEP_2)
	v_ldexp_f32 v27, v27, 1
	v_sub_f32_e32 v67, v68, v70
	s_delay_alu instid0(VALU_DEP_4) | instskip(NEXT) | instid1(VALU_DEP_1)
	v_fma_f32 v70, 0x3f317218, v26, -v71
	v_dual_sub_f32 v67, v69, v67 :: v_dual_fmamk_f32 v26, v26, 0xb102e308, v70
	s_delay_alu instid0(VALU_DEP_1) | instskip(NEXT) | instid1(VALU_DEP_2)
	v_add_f32_e32 v27, v27, v67
	v_add_f32_e32 v67, v71, v26
	s_delay_alu instid0(VALU_DEP_2) | instskip(NEXT) | instid1(VALU_DEP_2)
	v_add_f32_e32 v69, v68, v27
	v_sub_f32_e32 v71, v67, v71
	s_delay_alu instid0(VALU_DEP_2) | instskip(SKIP_1) | instid1(VALU_DEP_3)
	v_add_f32_e32 v70, v67, v69
	v_sub_f32_e32 v68, v69, v68
	v_sub_f32_e32 v26, v26, v71
	s_delay_alu instid0(VALU_DEP_2) | instskip(NEXT) | instid1(VALU_DEP_1)
	v_dual_sub_f32 v80, v70, v67 :: v_dual_sub_f32 v27, v27, v68
	v_sub_f32_e32 v81, v70, v80
	s_delay_alu instid0(VALU_DEP_2) | instskip(NEXT) | instid1(VALU_DEP_2)
	v_dual_sub_f32 v68, v69, v80 :: v_dual_add_f32 v69, v26, v27
	v_sub_f32_e32 v67, v67, v81
	s_delay_alu instid0(VALU_DEP_1) | instskip(NEXT) | instid1(VALU_DEP_1)
	v_dual_add_f32 v67, v68, v67 :: v_dual_sub_f32 v68, v69, v26
	v_add_f32_e32 v67, v69, v67
	s_delay_alu instid0(VALU_DEP_2) | instskip(SKIP_1) | instid1(VALU_DEP_3)
	v_sub_f32_e32 v69, v69, v68
	v_sub_f32_e32 v27, v27, v68
	v_add_f32_e32 v71, v70, v67
	s_delay_alu instid0(VALU_DEP_3) | instskip(NEXT) | instid1(VALU_DEP_2)
	v_sub_f32_e32 v26, v26, v69
	v_sub_f32_e32 v68, v71, v70
	s_delay_alu instid0(VALU_DEP_2) | instskip(NEXT) | instid1(VALU_DEP_2)
	v_add_f32_e32 v26, v27, v26
	v_sub_f32_e32 v27, v67, v68
	s_delay_alu instid0(VALU_DEP_1) | instskip(NEXT) | instid1(VALU_DEP_1)
	v_add_f32_e32 v26, v26, v27
	v_add_f32_e32 v26, v71, v26
	s_delay_alu instid0(VALU_DEP_1) | instskip(NEXT) | instid1(VALU_DEP_1)
	v_cndmask_b32_e32 v26, v26, v29, vcc_lo
	v_add_f32_e32 v26, v28, v26
	s_delay_alu instid0(VALU_DEP_1) | instskip(NEXT) | instid1(VALU_DEP_1)
	v_cvt_f16_f32_e32 v26, v26
	v_mov_b32_e32 v100, v26
	v_cvt_f32_f16_e32 v27, v26
.LBB410_59:
	s_or_b32 exec_lo, exec_lo, s6
	v_cvt_f32_f16_e32 v67, v25
	s_delay_alu instid0(VALU_DEP_2) | instskip(SKIP_2) | instid1(VALU_DEP_3)
	v_max_f32_e32 v28, v27, v27
	v_cmp_u_f16_e32 vcc_lo, v26, v26
	v_cmp_u_f16_e64 s6, v25, v25
	v_min_f32_e32 v29, v28, v67
	v_max_f32_e32 v28, v28, v67
	s_delay_alu instid0(VALU_DEP_2) | instskip(NEXT) | instid1(VALU_DEP_2)
	v_cndmask_b32_e32 v29, v29, v27, vcc_lo
	v_cndmask_b32_e32 v28, v28, v27, vcc_lo
	s_delay_alu instid0(VALU_DEP_2) | instskip(NEXT) | instid1(VALU_DEP_2)
	v_cndmask_b32_e64 v29, v29, v67, s6
	v_cndmask_b32_e64 v28, v28, v67, s6
	s_delay_alu instid0(VALU_DEP_2) | instskip(NEXT) | instid1(VALU_DEP_2)
	v_cmp_class_f32_e64 s7, v29, 0x1f8
	v_cmp_neq_f32_e32 vcc_lo, v29, v28
	s_delay_alu instid0(VALU_DEP_2) | instskip(NEXT) | instid1(SALU_CYCLE_1)
	s_or_b32 s8, vcc_lo, s7
	s_and_saveexec_b32 s7, s8
	s_cbranch_execz .LBB410_61
; %bb.60:
	v_sub_f32_e32 v26, v29, v28
	s_mov_b32 s8, 0x3e9b6dac
	s_delay_alu instid0(VALU_DEP_1) | instskip(NEXT) | instid1(VALU_DEP_1)
	v_mul_f32_e32 v27, 0x3fb8aa3b, v26
	v_fma_f32 v29, 0x3fb8aa3b, v26, -v27
	v_rndne_f32_e32 v68, v27
	s_delay_alu instid0(VALU_DEP_2) | instskip(NEXT) | instid1(VALU_DEP_2)
	v_fmamk_f32 v29, v26, 0x32a5705f, v29
	v_sub_f32_e32 v27, v27, v68
	s_delay_alu instid0(VALU_DEP_1) | instskip(SKIP_2) | instid1(VALU_DEP_3)
	v_add_f32_e32 v27, v27, v29
	v_cvt_i32_f32_e32 v29, v68
	v_cmp_ngt_f32_e32 vcc_lo, 0xc2ce8ed0, v26
	v_exp_f32_e32 v27, v27
	s_waitcnt_depctr 0xfff
	v_ldexp_f32 v27, v27, v29
	s_delay_alu instid0(VALU_DEP_1) | instskip(SKIP_1) | instid1(VALU_DEP_2)
	v_cndmask_b32_e32 v27, 0, v27, vcc_lo
	v_cmp_nlt_f32_e32 vcc_lo, 0x42b17218, v26
	v_cndmask_b32_e32 v29, 0x7f800000, v27, vcc_lo
	s_delay_alu instid0(VALU_DEP_1) | instskip(NEXT) | instid1(VALU_DEP_1)
	v_add_f32_e32 v68, 1.0, v29
	v_cvt_f64_f32_e32 v[26:27], v68
	s_delay_alu instid0(VALU_DEP_1) | instskip(SKIP_1) | instid1(VALU_DEP_1)
	v_frexp_exp_i32_f64_e32 v26, v[26:27]
	v_frexp_mant_f32_e32 v27, v68
	v_cmp_gt_f32_e32 vcc_lo, 0x3f2aaaab, v27
	v_add_f32_e32 v27, -1.0, v68
	s_delay_alu instid0(VALU_DEP_1) | instskip(NEXT) | instid1(VALU_DEP_1)
	v_sub_f32_e32 v70, v27, v68
	v_add_f32_e32 v70, 1.0, v70
	v_subrev_co_ci_u32_e32 v26, vcc_lo, 0, v26, vcc_lo
	s_delay_alu instid0(VALU_DEP_1) | instskip(SKIP_1) | instid1(VALU_DEP_2)
	v_sub_nc_u32_e32 v69, 0, v26
	v_cvt_f32_i32_e32 v26, v26
	v_ldexp_f32 v68, v68, v69
	v_sub_f32_e32 v27, v29, v27
	s_delay_alu instid0(VALU_DEP_1) | instskip(NEXT) | instid1(VALU_DEP_1)
	v_add_f32_e32 v27, v27, v70
	v_ldexp_f32 v27, v27, v69
	s_delay_alu instid0(VALU_DEP_4) | instskip(NEXT) | instid1(VALU_DEP_1)
	v_add_f32_e32 v71, 1.0, v68
	v_add_f32_e32 v70, -1.0, v71
	s_delay_alu instid0(VALU_DEP_1) | instskip(NEXT) | instid1(VALU_DEP_1)
	v_sub_f32_e32 v70, v68, v70
	v_dual_add_f32 v70, v27, v70 :: v_dual_add_f32 v69, -1.0, v68
	s_delay_alu instid0(VALU_DEP_1) | instskip(SKIP_1) | instid1(VALU_DEP_2)
	v_add_f32_e32 v80, 1.0, v69
	v_cmp_eq_f32_e32 vcc_lo, 0x7f800000, v29
	v_sub_f32_e32 v68, v68, v80
	s_delay_alu instid0(VALU_DEP_4) | instskip(NEXT) | instid1(VALU_DEP_1)
	v_add_f32_e32 v80, v71, v70
	v_sub_f32_e32 v71, v71, v80
	s_delay_alu instid0(VALU_DEP_3) | instskip(SKIP_1) | instid1(VALU_DEP_2)
	v_add_f32_e32 v27, v27, v68
	v_rcp_f32_e32 v68, v80
	v_add_f32_e32 v70, v70, v71
	s_delay_alu instid0(VALU_DEP_2) | instskip(NEXT) | instid1(VALU_DEP_1)
	v_add_f32_e32 v81, v69, v27
	v_sub_f32_e32 v69, v69, v81
	s_waitcnt_depctr 0xfff
	v_dual_mul_f32 v82, v81, v68 :: v_dual_add_f32 v27, v27, v69
	s_delay_alu instid0(VALU_DEP_1) | instskip(NEXT) | instid1(VALU_DEP_1)
	v_mul_f32_e32 v83, v80, v82
	v_fma_f32 v71, v82, v80, -v83
	s_delay_alu instid0(VALU_DEP_1) | instskip(NEXT) | instid1(VALU_DEP_1)
	v_fmac_f32_e32 v71, v82, v70
	v_add_f32_e32 v84, v83, v71
	s_delay_alu instid0(VALU_DEP_1) | instskip(SKIP_1) | instid1(VALU_DEP_2)
	v_sub_f32_e32 v85, v81, v84
	v_sub_f32_e32 v69, v84, v83
	;; [unrolled: 1-line block ×3, first 2 shown]
	s_delay_alu instid0(VALU_DEP_2) | instskip(NEXT) | instid1(VALU_DEP_2)
	v_sub_f32_e32 v69, v69, v71
	v_sub_f32_e32 v81, v81, v84
	s_delay_alu instid0(VALU_DEP_1) | instskip(NEXT) | instid1(VALU_DEP_1)
	v_add_f32_e32 v27, v27, v81
	v_add_f32_e32 v27, v69, v27
	s_delay_alu instid0(VALU_DEP_1) | instskip(NEXT) | instid1(VALU_DEP_1)
	v_add_f32_e32 v69, v85, v27
	v_mul_f32_e32 v71, v68, v69
	s_delay_alu instid0(VALU_DEP_1) | instskip(NEXT) | instid1(VALU_DEP_1)
	v_dual_sub_f32 v84, v85, v69 :: v_dual_mul_f32 v81, v80, v71
	v_add_f32_e32 v27, v27, v84
	s_delay_alu instid0(VALU_DEP_2) | instskip(NEXT) | instid1(VALU_DEP_1)
	v_fma_f32 v80, v71, v80, -v81
	v_fmac_f32_e32 v80, v71, v70
	s_delay_alu instid0(VALU_DEP_1) | instskip(NEXT) | instid1(VALU_DEP_1)
	v_add_f32_e32 v70, v81, v80
	v_sub_f32_e32 v83, v69, v70
	v_sub_f32_e32 v81, v70, v81
	s_delay_alu instid0(VALU_DEP_2) | instskip(NEXT) | instid1(VALU_DEP_1)
	v_sub_f32_e32 v69, v69, v83
	v_sub_f32_e32 v69, v69, v70
	s_delay_alu instid0(VALU_DEP_1) | instskip(SKIP_1) | instid1(VALU_DEP_1)
	v_dual_sub_f32 v70, v81, v80 :: v_dual_add_f32 v27, v27, v69
	v_add_f32_e32 v69, v82, v71
	v_dual_add_f32 v27, v70, v27 :: v_dual_sub_f32 v70, v69, v82
	s_delay_alu instid0(VALU_DEP_1) | instskip(NEXT) | instid1(VALU_DEP_1)
	v_add_f32_e32 v27, v83, v27
	v_dual_sub_f32 v70, v71, v70 :: v_dual_mul_f32 v27, v68, v27
	s_delay_alu instid0(VALU_DEP_1) | instskip(NEXT) | instid1(VALU_DEP_1)
	v_add_f32_e32 v27, v70, v27
	v_add_f32_e32 v68, v69, v27
	s_delay_alu instid0(VALU_DEP_1) | instskip(NEXT) | instid1(VALU_DEP_1)
	v_mul_f32_e32 v70, v68, v68
	v_fmaak_f32 v71, s8, v70, 0x3ecc95a3
	v_mul_f32_e32 v80, v68, v70
	v_cmp_gt_f32_e64 s8, 0x33800000, |v29|
	s_delay_alu instid0(VALU_DEP_3) | instskip(SKIP_2) | instid1(VALU_DEP_4)
	v_fmaak_f32 v70, v70, v71, 0x3f2aaada
	v_ldexp_f32 v71, v68, 1
	v_sub_f32_e32 v68, v68, v69
	s_or_b32 vcc_lo, vcc_lo, s8
	s_delay_alu instid0(VALU_DEP_3) | instskip(NEXT) | instid1(VALU_DEP_2)
	v_mul_f32_e32 v70, v80, v70
	v_dual_mul_f32 v80, 0x3f317218, v26 :: v_dual_sub_f32 v27, v27, v68
	s_delay_alu instid0(VALU_DEP_2) | instskip(NEXT) | instid1(VALU_DEP_2)
	v_add_f32_e32 v69, v71, v70
	v_ldexp_f32 v27, v27, 1
	s_delay_alu instid0(VALU_DEP_2) | instskip(NEXT) | instid1(VALU_DEP_4)
	v_sub_f32_e32 v68, v69, v71
	v_fma_f32 v71, 0x3f317218, v26, -v80
	s_delay_alu instid0(VALU_DEP_2) | instskip(NEXT) | instid1(VALU_DEP_1)
	v_sub_f32_e32 v68, v70, v68
	v_dual_fmamk_f32 v26, v26, 0xb102e308, v71 :: v_dual_add_f32 v27, v27, v68
	s_delay_alu instid0(VALU_DEP_1) | instskip(NEXT) | instid1(VALU_DEP_2)
	v_add_f32_e32 v68, v80, v26
	v_add_f32_e32 v70, v69, v27
	s_delay_alu instid0(VALU_DEP_2) | instskip(NEXT) | instid1(VALU_DEP_2)
	v_sub_f32_e32 v80, v68, v80
	v_add_f32_e32 v71, v68, v70
	v_sub_f32_e32 v69, v70, v69
	s_delay_alu instid0(VALU_DEP_3) | instskip(NEXT) | instid1(VALU_DEP_3)
	v_sub_f32_e32 v26, v26, v80
	v_sub_f32_e32 v81, v71, v68
	s_delay_alu instid0(VALU_DEP_3) | instskip(NEXT) | instid1(VALU_DEP_2)
	v_sub_f32_e32 v27, v27, v69
	v_sub_f32_e32 v82, v71, v81
	v_sub_f32_e32 v69, v70, v81
	s_delay_alu instid0(VALU_DEP_3) | instskip(NEXT) | instid1(VALU_DEP_3)
	v_add_f32_e32 v70, v26, v27
	v_sub_f32_e32 v68, v68, v82
	s_delay_alu instid0(VALU_DEP_1) | instskip(NEXT) | instid1(VALU_DEP_1)
	v_dual_add_f32 v68, v69, v68 :: v_dual_sub_f32 v69, v70, v26
	v_add_f32_e32 v68, v70, v68
	s_delay_alu instid0(VALU_DEP_2) | instskip(SKIP_1) | instid1(VALU_DEP_3)
	v_sub_f32_e32 v70, v70, v69
	v_sub_f32_e32 v27, v27, v69
	v_add_f32_e32 v80, v71, v68
	s_delay_alu instid0(VALU_DEP_1) | instskip(NEXT) | instid1(VALU_DEP_1)
	v_dual_sub_f32 v26, v26, v70 :: v_dual_sub_f32 v69, v80, v71
	v_dual_add_f32 v26, v27, v26 :: v_dual_sub_f32 v27, v68, v69
	s_delay_alu instid0(VALU_DEP_1) | instskip(NEXT) | instid1(VALU_DEP_1)
	v_add_f32_e32 v26, v26, v27
	v_add_f32_e32 v26, v80, v26
	s_delay_alu instid0(VALU_DEP_1) | instskip(NEXT) | instid1(VALU_DEP_1)
	v_cndmask_b32_e32 v26, v26, v29, vcc_lo
	v_add_f32_e32 v26, v28, v26
	s_delay_alu instid0(VALU_DEP_1) | instskip(NEXT) | instid1(VALU_DEP_1)
	v_cvt_f16_f32_e32 v26, v26
	v_mov_b32_e32 v100, v26
	v_cvt_f32_f16_e32 v27, v26
.LBB410_61:
	s_or_b32 exec_lo, exec_lo, s7
	v_cvt_f32_f16_e32 v68, v51
	s_delay_alu instid0(VALU_DEP_2) | instskip(SKIP_2) | instid1(VALU_DEP_3)
	v_max_f32_e32 v28, v27, v27
	v_cmp_u_f16_e32 vcc_lo, v26, v26
	v_cmp_u_f16_e64 s7, v51, v51
	v_min_f32_e32 v29, v28, v68
	s_delay_alu instid0(VALU_DEP_1) | instskip(NEXT) | instid1(VALU_DEP_1)
	v_dual_max_f32 v28, v28, v68 :: v_dual_cndmask_b32 v29, v29, v27
	v_cndmask_b32_e32 v28, v28, v27, vcc_lo
	s_delay_alu instid0(VALU_DEP_2) | instskip(NEXT) | instid1(VALU_DEP_2)
	v_cndmask_b32_e64 v29, v29, v68, s7
	v_cndmask_b32_e64 v28, v28, v68, s7
	s_delay_alu instid0(VALU_DEP_2) | instskip(NEXT) | instid1(VALU_DEP_2)
	v_cmp_class_f32_e64 s8, v29, 0x1f8
	v_cmp_neq_f32_e32 vcc_lo, v29, v28
	s_delay_alu instid0(VALU_DEP_2) | instskip(NEXT) | instid1(SALU_CYCLE_1)
	s_or_b32 s9, vcc_lo, s8
	s_and_saveexec_b32 s8, s9
	s_cbranch_execz .LBB410_63
; %bb.62:
	v_sub_f32_e32 v26, v29, v28
	s_mov_b32 s9, 0x3e9b6dac
	s_delay_alu instid0(VALU_DEP_1) | instskip(NEXT) | instid1(VALU_DEP_1)
	v_mul_f32_e32 v27, 0x3fb8aa3b, v26
	v_fma_f32 v29, 0x3fb8aa3b, v26, -v27
	v_rndne_f32_e32 v69, v27
	s_delay_alu instid0(VALU_DEP_1) | instskip(NEXT) | instid1(VALU_DEP_3)
	v_sub_f32_e32 v27, v27, v69
	v_fmamk_f32 v29, v26, 0x32a5705f, v29
	v_cmp_ngt_f32_e32 vcc_lo, 0xc2ce8ed0, v26
	s_delay_alu instid0(VALU_DEP_2) | instskip(SKIP_1) | instid1(VALU_DEP_2)
	v_add_f32_e32 v27, v27, v29
	v_cvt_i32_f32_e32 v29, v69
	v_exp_f32_e32 v27, v27
	s_waitcnt_depctr 0xfff
	v_ldexp_f32 v27, v27, v29
	s_delay_alu instid0(VALU_DEP_1) | instskip(SKIP_1) | instid1(VALU_DEP_2)
	v_cndmask_b32_e32 v27, 0, v27, vcc_lo
	v_cmp_nlt_f32_e32 vcc_lo, 0x42b17218, v26
	v_cndmask_b32_e32 v29, 0x7f800000, v27, vcc_lo
	s_delay_alu instid0(VALU_DEP_1) | instskip(NEXT) | instid1(VALU_DEP_1)
	v_add_f32_e32 v69, 1.0, v29
	v_cvt_f64_f32_e32 v[26:27], v69
	s_delay_alu instid0(VALU_DEP_1) | instskip(SKIP_1) | instid1(VALU_DEP_1)
	v_frexp_exp_i32_f64_e32 v26, v[26:27]
	v_frexp_mant_f32_e32 v27, v69
	v_cmp_gt_f32_e32 vcc_lo, 0x3f2aaaab, v27
	v_add_f32_e32 v27, -1.0, v69
	s_delay_alu instid0(VALU_DEP_1) | instskip(SKIP_1) | instid1(VALU_DEP_2)
	v_sub_f32_e32 v71, v27, v69
	v_sub_f32_e32 v27, v29, v27
	v_add_f32_e32 v71, 1.0, v71
	s_delay_alu instid0(VALU_DEP_1) | instskip(SKIP_1) | instid1(VALU_DEP_1)
	v_add_f32_e32 v27, v27, v71
	v_subrev_co_ci_u32_e32 v26, vcc_lo, 0, v26, vcc_lo
	v_sub_nc_u32_e32 v70, 0, v26
	v_cvt_f32_i32_e32 v26, v26
	s_delay_alu instid0(VALU_DEP_2) | instskip(SKIP_1) | instid1(VALU_DEP_2)
	v_ldexp_f32 v69, v69, v70
	v_ldexp_f32 v27, v27, v70
	v_add_f32_e32 v80, 1.0, v69
	s_delay_alu instid0(VALU_DEP_1) | instskip(NEXT) | instid1(VALU_DEP_1)
	v_dual_add_f32 v70, -1.0, v69 :: v_dual_add_f32 v71, -1.0, v80
	v_add_f32_e32 v81, 1.0, v70
	s_delay_alu instid0(VALU_DEP_2) | instskip(NEXT) | instid1(VALU_DEP_2)
	v_sub_f32_e32 v71, v69, v71
	v_sub_f32_e32 v69, v69, v81
	s_delay_alu instid0(VALU_DEP_2) | instskip(NEXT) | instid1(VALU_DEP_1)
	v_add_f32_e32 v71, v27, v71
	v_add_f32_e32 v81, v80, v71
	s_delay_alu instid0(VALU_DEP_3) | instskip(NEXT) | instid1(VALU_DEP_2)
	v_add_f32_e32 v27, v27, v69
	v_rcp_f32_e32 v69, v81
	s_delay_alu instid0(VALU_DEP_1) | instskip(SKIP_1) | instid1(VALU_DEP_1)
	v_add_f32_e32 v82, v70, v27
	v_sub_f32_e32 v80, v80, v81
	v_dual_sub_f32 v70, v70, v82 :: v_dual_add_f32 v71, v71, v80
	s_waitcnt_depctr 0xfff
	v_mul_f32_e32 v83, v82, v69
	s_delay_alu instid0(VALU_DEP_1) | instskip(NEXT) | instid1(VALU_DEP_1)
	v_dual_add_f32 v27, v27, v70 :: v_dual_mul_f32 v84, v81, v83
	v_fma_f32 v80, v83, v81, -v84
	s_delay_alu instid0(VALU_DEP_1) | instskip(NEXT) | instid1(VALU_DEP_1)
	v_fmac_f32_e32 v80, v83, v71
	v_add_f32_e32 v85, v84, v80
	s_delay_alu instid0(VALU_DEP_1) | instskip(SKIP_2) | instid1(VALU_DEP_3)
	v_sub_f32_e32 v86, v82, v85
	v_sub_f32_e32 v70, v85, v84
	v_cmp_eq_f32_e32 vcc_lo, 0x7f800000, v29
	v_sub_f32_e32 v82, v82, v86
	s_delay_alu instid0(VALU_DEP_3) | instskip(NEXT) | instid1(VALU_DEP_2)
	v_sub_f32_e32 v70, v70, v80
	v_sub_f32_e32 v82, v82, v85
	s_delay_alu instid0(VALU_DEP_1) | instskip(NEXT) | instid1(VALU_DEP_1)
	v_add_f32_e32 v27, v27, v82
	v_add_f32_e32 v27, v70, v27
	s_delay_alu instid0(VALU_DEP_1) | instskip(NEXT) | instid1(VALU_DEP_1)
	v_add_f32_e32 v70, v86, v27
	v_mul_f32_e32 v80, v69, v70
	s_delay_alu instid0(VALU_DEP_1) | instskip(NEXT) | instid1(VALU_DEP_1)
	v_dual_sub_f32 v85, v86, v70 :: v_dual_mul_f32 v82, v81, v80
	v_add_f32_e32 v27, v27, v85
	s_delay_alu instid0(VALU_DEP_2) | instskip(NEXT) | instid1(VALU_DEP_1)
	v_fma_f32 v81, v80, v81, -v82
	v_fmac_f32_e32 v81, v80, v71
	s_delay_alu instid0(VALU_DEP_1) | instskip(NEXT) | instid1(VALU_DEP_1)
	v_add_f32_e32 v71, v82, v81
	v_sub_f32_e32 v84, v70, v71
	v_sub_f32_e32 v82, v71, v82
	s_delay_alu instid0(VALU_DEP_2) | instskip(NEXT) | instid1(VALU_DEP_1)
	v_sub_f32_e32 v70, v70, v84
	v_sub_f32_e32 v70, v70, v71
	s_delay_alu instid0(VALU_DEP_3) | instskip(NEXT) | instid1(VALU_DEP_2)
	v_sub_f32_e32 v71, v82, v81
	v_add_f32_e32 v27, v27, v70
	v_add_f32_e32 v70, v83, v80
	s_delay_alu instid0(VALU_DEP_2) | instskip(NEXT) | instid1(VALU_DEP_2)
	v_add_f32_e32 v27, v71, v27
	v_sub_f32_e32 v71, v70, v83
	s_delay_alu instid0(VALU_DEP_2) | instskip(NEXT) | instid1(VALU_DEP_2)
	v_add_f32_e32 v27, v84, v27
	v_sub_f32_e32 v71, v80, v71
	s_delay_alu instid0(VALU_DEP_2) | instskip(NEXT) | instid1(VALU_DEP_1)
	v_mul_f32_e32 v27, v69, v27
	v_add_f32_e32 v27, v71, v27
	s_delay_alu instid0(VALU_DEP_1) | instskip(NEXT) | instid1(VALU_DEP_1)
	v_add_f32_e32 v69, v70, v27
	v_mul_f32_e32 v71, v69, v69
	s_delay_alu instid0(VALU_DEP_1) | instskip(SKIP_2) | instid1(VALU_DEP_3)
	v_fmaak_f32 v80, s9, v71, 0x3ecc95a3
	v_mul_f32_e32 v81, v69, v71
	v_cmp_gt_f32_e64 s9, 0x33800000, |v29|
	v_fmaak_f32 v71, v71, v80, 0x3f2aaada
	v_ldexp_f32 v80, v69, 1
	v_sub_f32_e32 v69, v69, v70
	s_delay_alu instid0(VALU_DEP_4) | instskip(NEXT) | instid1(VALU_DEP_3)
	s_or_b32 vcc_lo, vcc_lo, s9
	v_mul_f32_e32 v71, v81, v71
	v_mul_f32_e32 v81, 0x3f317218, v26
	s_delay_alu instid0(VALU_DEP_2) | instskip(NEXT) | instid1(VALU_DEP_1)
	v_dual_sub_f32 v27, v27, v69 :: v_dual_add_f32 v70, v80, v71
	v_ldexp_f32 v27, v27, 1
	s_delay_alu instid0(VALU_DEP_2) | instskip(NEXT) | instid1(VALU_DEP_4)
	v_sub_f32_e32 v69, v70, v80
	v_fma_f32 v80, 0x3f317218, v26, -v81
	s_delay_alu instid0(VALU_DEP_1) | instskip(NEXT) | instid1(VALU_DEP_1)
	v_dual_sub_f32 v69, v71, v69 :: v_dual_fmamk_f32 v26, v26, 0xb102e308, v80
	v_add_f32_e32 v27, v27, v69
	s_delay_alu instid0(VALU_DEP_2) | instskip(NEXT) | instid1(VALU_DEP_2)
	v_add_f32_e32 v69, v81, v26
	v_add_f32_e32 v71, v70, v27
	s_delay_alu instid0(VALU_DEP_2) | instskip(NEXT) | instid1(VALU_DEP_2)
	v_sub_f32_e32 v81, v69, v81
	v_add_f32_e32 v80, v69, v71
	v_sub_f32_e32 v70, v71, v70
	s_delay_alu instid0(VALU_DEP_3) | instskip(NEXT) | instid1(VALU_DEP_2)
	v_sub_f32_e32 v26, v26, v81
	v_dual_sub_f32 v82, v80, v69 :: v_dual_sub_f32 v27, v27, v70
	s_delay_alu instid0(VALU_DEP_1) | instskip(NEXT) | instid1(VALU_DEP_2)
	v_sub_f32_e32 v83, v80, v82
	v_dual_sub_f32 v70, v71, v82 :: v_dual_add_f32 v71, v26, v27
	s_delay_alu instid0(VALU_DEP_2) | instskip(NEXT) | instid1(VALU_DEP_1)
	v_sub_f32_e32 v69, v69, v83
	v_dual_add_f32 v69, v70, v69 :: v_dual_sub_f32 v70, v71, v26
	s_delay_alu instid0(VALU_DEP_1) | instskip(NEXT) | instid1(VALU_DEP_2)
	v_add_f32_e32 v69, v71, v69
	v_sub_f32_e32 v71, v71, v70
	v_sub_f32_e32 v27, v27, v70
	s_delay_alu instid0(VALU_DEP_2) | instskip(NEXT) | instid1(VALU_DEP_1)
	v_dual_add_f32 v81, v80, v69 :: v_dual_sub_f32 v26, v26, v71
	v_sub_f32_e32 v70, v81, v80
	s_delay_alu instid0(VALU_DEP_2) | instskip(NEXT) | instid1(VALU_DEP_2)
	v_add_f32_e32 v26, v27, v26
	v_sub_f32_e32 v27, v69, v70
	s_delay_alu instid0(VALU_DEP_1) | instskip(NEXT) | instid1(VALU_DEP_1)
	v_add_f32_e32 v26, v26, v27
	v_add_f32_e32 v26, v81, v26
	s_delay_alu instid0(VALU_DEP_1) | instskip(NEXT) | instid1(VALU_DEP_1)
	v_cndmask_b32_e32 v26, v26, v29, vcc_lo
	v_add_f32_e32 v26, v28, v26
	s_delay_alu instid0(VALU_DEP_1) | instskip(NEXT) | instid1(VALU_DEP_1)
	v_cvt_f16_f32_e32 v26, v26
	v_cvt_f32_f16_e32 v27, v26
	v_mov_b32_e32 v100, v26
.LBB410_63:
	s_or_b32 exec_lo, exec_lo, s8
	v_cvt_f32_f16_e32 v69, v22
	s_delay_alu instid0(VALU_DEP_3) | instskip(SKIP_2) | instid1(VALU_DEP_3)
	v_max_f32_e32 v28, v27, v27
	v_cmp_u_f16_e32 vcc_lo, v26, v26
	v_cmp_u_f16_e64 s8, v22, v22
	v_min_f32_e32 v29, v28, v69
	s_delay_alu instid0(VALU_DEP_1) | instskip(NEXT) | instid1(VALU_DEP_1)
	v_dual_max_f32 v28, v28, v69 :: v_dual_cndmask_b32 v29, v29, v27
	v_cndmask_b32_e32 v28, v28, v27, vcc_lo
	s_delay_alu instid0(VALU_DEP_2) | instskip(NEXT) | instid1(VALU_DEP_2)
	v_cndmask_b32_e64 v29, v29, v69, s8
	v_cndmask_b32_e64 v28, v28, v69, s8
	s_delay_alu instid0(VALU_DEP_2) | instskip(NEXT) | instid1(VALU_DEP_2)
	v_cmp_class_f32_e64 s9, v29, 0x1f8
	v_cmp_neq_f32_e32 vcc_lo, v29, v28
	s_delay_alu instid0(VALU_DEP_2) | instskip(NEXT) | instid1(SALU_CYCLE_1)
	s_or_b32 s10, vcc_lo, s9
	s_and_saveexec_b32 s9, s10
	s_cbranch_execz .LBB410_65
; %bb.64:
	v_sub_f32_e32 v26, v29, v28
	s_mov_b32 s10, 0x3e9b6dac
	s_delay_alu instid0(VALU_DEP_1) | instskip(NEXT) | instid1(VALU_DEP_1)
	v_mul_f32_e32 v27, 0x3fb8aa3b, v26
	v_fma_f32 v29, 0x3fb8aa3b, v26, -v27
	v_rndne_f32_e32 v70, v27
	s_delay_alu instid0(VALU_DEP_1) | instskip(NEXT) | instid1(VALU_DEP_3)
	v_sub_f32_e32 v27, v27, v70
	v_fmamk_f32 v29, v26, 0x32a5705f, v29
	v_cmp_ngt_f32_e32 vcc_lo, 0xc2ce8ed0, v26
	s_delay_alu instid0(VALU_DEP_2) | instskip(SKIP_1) | instid1(VALU_DEP_2)
	v_add_f32_e32 v27, v27, v29
	v_cvt_i32_f32_e32 v29, v70
	v_exp_f32_e32 v27, v27
	s_waitcnt_depctr 0xfff
	v_ldexp_f32 v27, v27, v29
	s_delay_alu instid0(VALU_DEP_1) | instskip(SKIP_1) | instid1(VALU_DEP_2)
	v_cndmask_b32_e32 v27, 0, v27, vcc_lo
	v_cmp_nlt_f32_e32 vcc_lo, 0x42b17218, v26
	v_cndmask_b32_e32 v29, 0x7f800000, v27, vcc_lo
	s_delay_alu instid0(VALU_DEP_1) | instskip(NEXT) | instid1(VALU_DEP_1)
	v_add_f32_e32 v70, 1.0, v29
	v_cvt_f64_f32_e32 v[26:27], v70
	s_delay_alu instid0(VALU_DEP_1) | instskip(SKIP_1) | instid1(VALU_DEP_1)
	v_frexp_exp_i32_f64_e32 v26, v[26:27]
	v_frexp_mant_f32_e32 v27, v70
	v_cmp_gt_f32_e32 vcc_lo, 0x3f2aaaab, v27
	v_add_f32_e32 v27, -1.0, v70
	s_delay_alu instid0(VALU_DEP_1) | instskip(NEXT) | instid1(VALU_DEP_1)
	v_sub_f32_e32 v80, v27, v70
	v_add_f32_e32 v80, 1.0, v80
	v_subrev_co_ci_u32_e32 v26, vcc_lo, 0, v26, vcc_lo
	s_delay_alu instid0(VALU_DEP_1) | instskip(SKIP_1) | instid1(VALU_DEP_2)
	v_sub_nc_u32_e32 v71, 0, v26
	v_cvt_f32_i32_e32 v26, v26
	v_ldexp_f32 v70, v70, v71
	v_sub_f32_e32 v27, v29, v27
	s_delay_alu instid0(VALU_DEP_1) | instskip(NEXT) | instid1(VALU_DEP_1)
	v_add_f32_e32 v27, v27, v80
	v_ldexp_f32 v27, v27, v71
	s_delay_alu instid0(VALU_DEP_4) | instskip(NEXT) | instid1(VALU_DEP_1)
	v_add_f32_e32 v81, 1.0, v70
	v_add_f32_e32 v80, -1.0, v81
	s_delay_alu instid0(VALU_DEP_1) | instskip(SKIP_1) | instid1(VALU_DEP_2)
	v_sub_f32_e32 v80, v70, v80
	v_cmp_eq_f32_e32 vcc_lo, 0x7f800000, v29
	v_dual_add_f32 v80, v27, v80 :: v_dual_add_f32 v71, -1.0, v70
	s_delay_alu instid0(VALU_DEP_1) | instskip(NEXT) | instid1(VALU_DEP_1)
	v_add_f32_e32 v82, 1.0, v71
	v_sub_f32_e32 v70, v70, v82
	s_delay_alu instid0(VALU_DEP_1) | instskip(NEXT) | instid1(VALU_DEP_1)
	v_dual_add_f32 v82, v81, v80 :: v_dual_add_f32 v27, v27, v70
	v_rcp_f32_e32 v70, v82
	v_sub_f32_e32 v81, v81, v82
	s_delay_alu instid0(VALU_DEP_1) | instskip(SKIP_3) | instid1(VALU_DEP_2)
	v_dual_add_f32 v80, v80, v81 :: v_dual_add_f32 v83, v71, v27
	s_waitcnt_depctr 0xfff
	v_mul_f32_e32 v84, v83, v70
	v_sub_f32_e32 v71, v71, v83
	v_mul_f32_e32 v85, v82, v84
	s_delay_alu instid0(VALU_DEP_1) | instskip(NEXT) | instid1(VALU_DEP_1)
	v_fma_f32 v81, v84, v82, -v85
	v_fmac_f32_e32 v81, v84, v80
	s_delay_alu instid0(VALU_DEP_1) | instskip(NEXT) | instid1(VALU_DEP_1)
	v_dual_add_f32 v86, v85, v81 :: v_dual_add_f32 v27, v27, v71
	v_sub_f32_e32 v87, v83, v86
	v_sub_f32_e32 v71, v86, v85
	s_delay_alu instid0(VALU_DEP_2) | instskip(NEXT) | instid1(VALU_DEP_2)
	v_sub_f32_e32 v83, v83, v87
	v_sub_f32_e32 v71, v71, v81
	s_delay_alu instid0(VALU_DEP_2) | instskip(NEXT) | instid1(VALU_DEP_1)
	v_sub_f32_e32 v83, v83, v86
	v_add_f32_e32 v27, v27, v83
	s_delay_alu instid0(VALU_DEP_1) | instskip(NEXT) | instid1(VALU_DEP_1)
	v_add_f32_e32 v27, v71, v27
	v_add_f32_e32 v71, v87, v27
	s_delay_alu instid0(VALU_DEP_1) | instskip(NEXT) | instid1(VALU_DEP_1)
	v_mul_f32_e32 v81, v70, v71
	v_dual_sub_f32 v86, v87, v71 :: v_dual_mul_f32 v83, v82, v81
	s_delay_alu instid0(VALU_DEP_1) | instskip(NEXT) | instid1(VALU_DEP_2)
	v_add_f32_e32 v27, v27, v86
	v_fma_f32 v82, v81, v82, -v83
	s_delay_alu instid0(VALU_DEP_1) | instskip(NEXT) | instid1(VALU_DEP_1)
	v_fmac_f32_e32 v82, v81, v80
	v_add_f32_e32 v80, v83, v82
	s_delay_alu instid0(VALU_DEP_1) | instskip(SKIP_1) | instid1(VALU_DEP_2)
	v_sub_f32_e32 v85, v71, v80
	v_sub_f32_e32 v83, v80, v83
	v_sub_f32_e32 v71, v71, v85
	s_delay_alu instid0(VALU_DEP_1) | instskip(NEXT) | instid1(VALU_DEP_3)
	v_sub_f32_e32 v71, v71, v80
	v_sub_f32_e32 v80, v83, v82
	s_delay_alu instid0(VALU_DEP_2) | instskip(SKIP_1) | instid1(VALU_DEP_1)
	v_add_f32_e32 v27, v27, v71
	v_add_f32_e32 v71, v84, v81
	v_dual_add_f32 v27, v80, v27 :: v_dual_sub_f32 v80, v71, v84
	s_delay_alu instid0(VALU_DEP_1) | instskip(NEXT) | instid1(VALU_DEP_1)
	v_add_f32_e32 v27, v85, v27
	v_dual_sub_f32 v80, v81, v80 :: v_dual_mul_f32 v27, v70, v27
	s_delay_alu instid0(VALU_DEP_1) | instskip(NEXT) | instid1(VALU_DEP_1)
	v_add_f32_e32 v27, v80, v27
	v_add_f32_e32 v70, v71, v27
	s_delay_alu instid0(VALU_DEP_1) | instskip(NEXT) | instid1(VALU_DEP_1)
	v_mul_f32_e32 v80, v70, v70
	v_fmaak_f32 v81, s10, v80, 0x3ecc95a3
	v_mul_f32_e32 v82, v70, v80
	v_cmp_gt_f32_e64 s10, 0x33800000, |v29|
	s_delay_alu instid0(VALU_DEP_3) | instskip(SKIP_2) | instid1(VALU_DEP_4)
	v_fmaak_f32 v80, v80, v81, 0x3f2aaada
	v_ldexp_f32 v81, v70, 1
	v_sub_f32_e32 v70, v70, v71
	s_or_b32 vcc_lo, vcc_lo, s10
	s_delay_alu instid0(VALU_DEP_3) | instskip(SKIP_1) | instid1(VALU_DEP_3)
	v_mul_f32_e32 v80, v82, v80
	v_mul_f32_e32 v82, 0x3f317218, v26
	v_sub_f32_e32 v27, v27, v70
	s_delay_alu instid0(VALU_DEP_3) | instskip(NEXT) | instid1(VALU_DEP_2)
	v_add_f32_e32 v71, v81, v80
	v_ldexp_f32 v27, v27, 1
	s_delay_alu instid0(VALU_DEP_2) | instskip(SKIP_1) | instid1(VALU_DEP_2)
	v_sub_f32_e32 v70, v71, v81
	v_fma_f32 v81, 0x3f317218, v26, -v82
	v_sub_f32_e32 v70, v80, v70
	s_delay_alu instid0(VALU_DEP_1) | instskip(NEXT) | instid1(VALU_DEP_1)
	v_dual_fmamk_f32 v26, v26, 0xb102e308, v81 :: v_dual_add_f32 v27, v27, v70
	v_add_f32_e32 v70, v82, v26
	s_delay_alu instid0(VALU_DEP_2) | instskip(NEXT) | instid1(VALU_DEP_2)
	v_add_f32_e32 v80, v71, v27
	v_sub_f32_e32 v82, v70, v82
	s_delay_alu instid0(VALU_DEP_2) | instskip(NEXT) | instid1(VALU_DEP_2)
	v_add_f32_e32 v81, v70, v80
	v_dual_sub_f32 v71, v80, v71 :: v_dual_sub_f32 v26, v26, v82
	s_delay_alu instid0(VALU_DEP_2) | instskip(NEXT) | instid1(VALU_DEP_2)
	v_sub_f32_e32 v83, v81, v70
	v_sub_f32_e32 v27, v27, v71
	s_delay_alu instid0(VALU_DEP_2) | instskip(SKIP_1) | instid1(VALU_DEP_3)
	v_sub_f32_e32 v84, v81, v83
	v_sub_f32_e32 v71, v80, v83
	v_add_f32_e32 v80, v26, v27
	s_delay_alu instid0(VALU_DEP_3) | instskip(NEXT) | instid1(VALU_DEP_1)
	v_sub_f32_e32 v70, v70, v84
	v_add_f32_e32 v70, v71, v70
	s_delay_alu instid0(VALU_DEP_3) | instskip(NEXT) | instid1(VALU_DEP_2)
	v_sub_f32_e32 v71, v80, v26
	v_add_f32_e32 v70, v80, v70
	s_delay_alu instid0(VALU_DEP_2) | instskip(NEXT) | instid1(VALU_DEP_2)
	v_sub_f32_e32 v80, v80, v71
	v_dual_sub_f32 v27, v27, v71 :: v_dual_add_f32 v82, v81, v70
	s_delay_alu instid0(VALU_DEP_2) | instskip(NEXT) | instid1(VALU_DEP_1)
	v_sub_f32_e32 v26, v26, v80
	v_dual_sub_f32 v71, v82, v81 :: v_dual_add_f32 v26, v27, v26
	s_delay_alu instid0(VALU_DEP_1) | instskip(NEXT) | instid1(VALU_DEP_1)
	v_sub_f32_e32 v27, v70, v71
	v_add_f32_e32 v26, v26, v27
	s_delay_alu instid0(VALU_DEP_1) | instskip(NEXT) | instid1(VALU_DEP_1)
	v_add_f32_e32 v26, v82, v26
	v_cndmask_b32_e32 v26, v26, v29, vcc_lo
	s_delay_alu instid0(VALU_DEP_1) | instskip(NEXT) | instid1(VALU_DEP_1)
	v_add_f32_e32 v26, v28, v26
	v_cvt_f16_f32_e32 v26, v26
	s_delay_alu instid0(VALU_DEP_1)
	v_mov_b32_e32 v100, v26
	v_cvt_f32_f16_e32 v27, v26
.LBB410_65:
	s_or_b32 exec_lo, exec_lo, s9
	v_cvt_f32_f16_e32 v70, v50
	s_delay_alu instid0(VALU_DEP_2) | instskip(SKIP_2) | instid1(VALU_DEP_3)
	v_max_f32_e32 v28, v27, v27
	v_cmp_u_f16_e32 vcc_lo, v26, v26
	v_cmp_u_f16_e64 s9, v50, v50
	v_min_f32_e32 v29, v28, v70
	s_delay_alu instid0(VALU_DEP_1) | instskip(NEXT) | instid1(VALU_DEP_1)
	v_dual_max_f32 v28, v28, v70 :: v_dual_cndmask_b32 v29, v29, v27
	v_cndmask_b32_e32 v28, v28, v27, vcc_lo
	s_delay_alu instid0(VALU_DEP_2) | instskip(NEXT) | instid1(VALU_DEP_2)
	v_cndmask_b32_e64 v29, v29, v70, s9
	v_cndmask_b32_e64 v28, v28, v70, s9
	s_delay_alu instid0(VALU_DEP_2) | instskip(NEXT) | instid1(VALU_DEP_2)
	v_cmp_class_f32_e64 s10, v29, 0x1f8
	v_cmp_neq_f32_e32 vcc_lo, v29, v28
	s_delay_alu instid0(VALU_DEP_2) | instskip(NEXT) | instid1(SALU_CYCLE_1)
	s_or_b32 s11, vcc_lo, s10
	s_and_saveexec_b32 s10, s11
	s_cbranch_execz .LBB410_67
; %bb.66:
	v_sub_f32_e32 v26, v29, v28
	s_mov_b32 s11, 0x3e9b6dac
	s_delay_alu instid0(VALU_DEP_1) | instskip(NEXT) | instid1(VALU_DEP_1)
	v_mul_f32_e32 v27, 0x3fb8aa3b, v26
	v_fma_f32 v29, 0x3fb8aa3b, v26, -v27
	v_rndne_f32_e32 v71, v27
	s_delay_alu instid0(VALU_DEP_1) | instskip(NEXT) | instid1(VALU_DEP_3)
	v_sub_f32_e32 v27, v27, v71
	v_fmamk_f32 v29, v26, 0x32a5705f, v29
	v_cmp_ngt_f32_e32 vcc_lo, 0xc2ce8ed0, v26
	s_delay_alu instid0(VALU_DEP_2) | instskip(SKIP_1) | instid1(VALU_DEP_2)
	v_add_f32_e32 v27, v27, v29
	v_cvt_i32_f32_e32 v29, v71
	v_exp_f32_e32 v27, v27
	s_waitcnt_depctr 0xfff
	v_ldexp_f32 v27, v27, v29
	s_delay_alu instid0(VALU_DEP_1) | instskip(SKIP_1) | instid1(VALU_DEP_2)
	v_cndmask_b32_e32 v27, 0, v27, vcc_lo
	v_cmp_nlt_f32_e32 vcc_lo, 0x42b17218, v26
	v_cndmask_b32_e32 v29, 0x7f800000, v27, vcc_lo
	s_delay_alu instid0(VALU_DEP_1) | instskip(NEXT) | instid1(VALU_DEP_1)
	v_add_f32_e32 v71, 1.0, v29
	v_cvt_f64_f32_e32 v[26:27], v71
	s_delay_alu instid0(VALU_DEP_1) | instskip(SKIP_1) | instid1(VALU_DEP_1)
	v_frexp_exp_i32_f64_e32 v26, v[26:27]
	v_frexp_mant_f32_e32 v27, v71
	v_cmp_gt_f32_e32 vcc_lo, 0x3f2aaaab, v27
	v_add_f32_e32 v27, -1.0, v71
	s_delay_alu instid0(VALU_DEP_1) | instskip(SKIP_1) | instid1(VALU_DEP_2)
	v_sub_f32_e32 v81, v27, v71
	v_sub_f32_e32 v27, v29, v27
	v_add_f32_e32 v81, 1.0, v81
	s_delay_alu instid0(VALU_DEP_1) | instskip(SKIP_1) | instid1(VALU_DEP_1)
	v_add_f32_e32 v27, v27, v81
	v_subrev_co_ci_u32_e32 v26, vcc_lo, 0, v26, vcc_lo
	v_sub_nc_u32_e32 v80, 0, v26
	v_cvt_f32_i32_e32 v26, v26
	s_delay_alu instid0(VALU_DEP_2) | instskip(SKIP_1) | instid1(VALU_DEP_2)
	v_ldexp_f32 v71, v71, v80
	v_ldexp_f32 v27, v27, v80
	v_add_f32_e32 v82, 1.0, v71
	s_delay_alu instid0(VALU_DEP_1) | instskip(NEXT) | instid1(VALU_DEP_1)
	v_dual_add_f32 v80, -1.0, v71 :: v_dual_add_f32 v81, -1.0, v82
	v_add_f32_e32 v83, 1.0, v80
	s_delay_alu instid0(VALU_DEP_2) | instskip(NEXT) | instid1(VALU_DEP_2)
	v_sub_f32_e32 v81, v71, v81
	v_sub_f32_e32 v71, v71, v83
	s_delay_alu instid0(VALU_DEP_2) | instskip(NEXT) | instid1(VALU_DEP_2)
	v_add_f32_e32 v81, v27, v81
	v_add_f32_e32 v27, v27, v71
	s_delay_alu instid0(VALU_DEP_1) | instskip(NEXT) | instid1(VALU_DEP_1)
	v_dual_add_f32 v83, v82, v81 :: v_dual_add_f32 v84, v80, v27
	v_rcp_f32_e32 v71, v83
	v_sub_f32_e32 v82, v82, v83
	s_delay_alu instid0(VALU_DEP_1) | instskip(SKIP_3) | instid1(VALU_DEP_2)
	v_dual_sub_f32 v80, v80, v84 :: v_dual_add_f32 v81, v81, v82
	s_waitcnt_depctr 0xfff
	v_mul_f32_e32 v85, v84, v71
	v_add_f32_e32 v27, v27, v80
	v_mul_f32_e32 v86, v83, v85
	s_delay_alu instid0(VALU_DEP_1) | instskip(NEXT) | instid1(VALU_DEP_1)
	v_fma_f32 v82, v85, v83, -v86
	v_fmac_f32_e32 v82, v85, v81
	v_cmp_eq_f32_e32 vcc_lo, 0x7f800000, v29
	s_delay_alu instid0(VALU_DEP_2) | instskip(NEXT) | instid1(VALU_DEP_1)
	v_add_f32_e32 v87, v86, v82
	v_sub_f32_e32 v96, v84, v87
	v_sub_f32_e32 v80, v87, v86
	s_delay_alu instid0(VALU_DEP_2) | instskip(NEXT) | instid1(VALU_DEP_2)
	v_sub_f32_e32 v84, v84, v96
	v_sub_f32_e32 v80, v80, v82
	s_delay_alu instid0(VALU_DEP_2) | instskip(NEXT) | instid1(VALU_DEP_1)
	v_sub_f32_e32 v84, v84, v87
	v_add_f32_e32 v27, v27, v84
	s_delay_alu instid0(VALU_DEP_1) | instskip(NEXT) | instid1(VALU_DEP_1)
	v_add_f32_e32 v27, v80, v27
	v_add_f32_e32 v80, v96, v27
	s_delay_alu instid0(VALU_DEP_1) | instskip(NEXT) | instid1(VALU_DEP_1)
	v_mul_f32_e32 v82, v71, v80
	v_dual_sub_f32 v87, v96, v80 :: v_dual_mul_f32 v84, v83, v82
	s_delay_alu instid0(VALU_DEP_1) | instskip(NEXT) | instid1(VALU_DEP_2)
	v_add_f32_e32 v27, v27, v87
	v_fma_f32 v83, v82, v83, -v84
	s_delay_alu instid0(VALU_DEP_1) | instskip(NEXT) | instid1(VALU_DEP_1)
	v_fmac_f32_e32 v83, v82, v81
	v_add_f32_e32 v81, v84, v83
	s_delay_alu instid0(VALU_DEP_1) | instskip(SKIP_1) | instid1(VALU_DEP_2)
	v_sub_f32_e32 v86, v80, v81
	v_sub_f32_e32 v84, v81, v84
	;; [unrolled: 1-line block ×3, first 2 shown]
	s_delay_alu instid0(VALU_DEP_1) | instskip(NEXT) | instid1(VALU_DEP_3)
	v_sub_f32_e32 v80, v80, v81
	v_sub_f32_e32 v81, v84, v83
	s_delay_alu instid0(VALU_DEP_2) | instskip(NEXT) | instid1(VALU_DEP_1)
	v_dual_add_f32 v27, v27, v80 :: v_dual_add_f32 v80, v85, v82
	v_add_f32_e32 v27, v81, v27
	s_delay_alu instid0(VALU_DEP_2) | instskip(NEXT) | instid1(VALU_DEP_2)
	v_sub_f32_e32 v81, v80, v85
	v_add_f32_e32 v27, v86, v27
	s_delay_alu instid0(VALU_DEP_2) | instskip(NEXT) | instid1(VALU_DEP_2)
	v_sub_f32_e32 v81, v82, v81
	v_mul_f32_e32 v27, v71, v27
	s_delay_alu instid0(VALU_DEP_1) | instskip(NEXT) | instid1(VALU_DEP_1)
	v_add_f32_e32 v27, v81, v27
	v_add_f32_e32 v71, v80, v27
	s_delay_alu instid0(VALU_DEP_1) | instskip(NEXT) | instid1(VALU_DEP_1)
	v_mul_f32_e32 v81, v71, v71
	v_fmaak_f32 v82, s11, v81, 0x3ecc95a3
	v_mul_f32_e32 v83, v71, v81
	v_cmp_gt_f32_e64 s11, 0x33800000, |v29|
	s_delay_alu instid0(VALU_DEP_3) | instskip(SKIP_2) | instid1(VALU_DEP_4)
	v_fmaak_f32 v81, v81, v82, 0x3f2aaada
	v_ldexp_f32 v82, v71, 1
	v_sub_f32_e32 v71, v71, v80
	s_or_b32 vcc_lo, vcc_lo, s11
	s_delay_alu instid0(VALU_DEP_3) | instskip(SKIP_1) | instid1(VALU_DEP_2)
	v_mul_f32_e32 v81, v83, v81
	v_mul_f32_e32 v83, 0x3f317218, v26
	v_dual_sub_f32 v27, v27, v71 :: v_dual_add_f32 v80, v82, v81
	s_delay_alu instid0(VALU_DEP_1) | instskip(NEXT) | instid1(VALU_DEP_2)
	v_ldexp_f32 v27, v27, 1
	v_sub_f32_e32 v71, v80, v82
	s_delay_alu instid0(VALU_DEP_4) | instskip(NEXT) | instid1(VALU_DEP_1)
	v_fma_f32 v82, 0x3f317218, v26, -v83
	v_dual_sub_f32 v71, v81, v71 :: v_dual_fmamk_f32 v26, v26, 0xb102e308, v82
	s_delay_alu instid0(VALU_DEP_1) | instskip(NEXT) | instid1(VALU_DEP_2)
	v_add_f32_e32 v27, v27, v71
	v_add_f32_e32 v71, v83, v26
	s_delay_alu instid0(VALU_DEP_2) | instskip(NEXT) | instid1(VALU_DEP_2)
	v_add_f32_e32 v81, v80, v27
	v_sub_f32_e32 v83, v71, v83
	s_delay_alu instid0(VALU_DEP_2) | instskip(SKIP_1) | instid1(VALU_DEP_3)
	v_add_f32_e32 v82, v71, v81
	v_sub_f32_e32 v80, v81, v80
	v_sub_f32_e32 v26, v26, v83
	s_delay_alu instid0(VALU_DEP_2) | instskip(NEXT) | instid1(VALU_DEP_1)
	v_dual_sub_f32 v84, v82, v71 :: v_dual_sub_f32 v27, v27, v80
	v_sub_f32_e32 v85, v82, v84
	s_delay_alu instid0(VALU_DEP_2) | instskip(NEXT) | instid1(VALU_DEP_2)
	v_dual_sub_f32 v80, v81, v84 :: v_dual_add_f32 v81, v26, v27
	v_sub_f32_e32 v71, v71, v85
	s_delay_alu instid0(VALU_DEP_1) | instskip(NEXT) | instid1(VALU_DEP_1)
	v_dual_add_f32 v71, v80, v71 :: v_dual_sub_f32 v80, v81, v26
	v_add_f32_e32 v71, v81, v71
	s_delay_alu instid0(VALU_DEP_2) | instskip(SKIP_1) | instid1(VALU_DEP_3)
	v_sub_f32_e32 v81, v81, v80
	v_sub_f32_e32 v27, v27, v80
	v_add_f32_e32 v83, v82, v71
	s_delay_alu instid0(VALU_DEP_3) | instskip(NEXT) | instid1(VALU_DEP_2)
	v_sub_f32_e32 v26, v26, v81
	v_sub_f32_e32 v80, v83, v82
	s_delay_alu instid0(VALU_DEP_2) | instskip(NEXT) | instid1(VALU_DEP_2)
	v_add_f32_e32 v26, v27, v26
	v_sub_f32_e32 v27, v71, v80
	s_delay_alu instid0(VALU_DEP_1) | instskip(NEXT) | instid1(VALU_DEP_1)
	v_add_f32_e32 v26, v26, v27
	v_add_f32_e32 v26, v83, v26
	s_delay_alu instid0(VALU_DEP_1) | instskip(NEXT) | instid1(VALU_DEP_1)
	v_cndmask_b32_e32 v26, v26, v29, vcc_lo
	v_add_f32_e32 v26, v28, v26
	s_delay_alu instid0(VALU_DEP_1) | instskip(NEXT) | instid1(VALU_DEP_1)
	v_cvt_f16_f32_e32 v26, v26
	v_mov_b32_e32 v100, v26
	v_cvt_f32_f16_e32 v27, v26
.LBB410_67:
	s_or_b32 exec_lo, exec_lo, s10
	v_cvt_f32_f16_e32 v71, v23
	s_delay_alu instid0(VALU_DEP_2) | instskip(SKIP_2) | instid1(VALU_DEP_3)
	v_max_f32_e32 v28, v27, v27
	v_cmp_u_f16_e32 vcc_lo, v26, v26
	v_cmp_u_f16_e64 s10, v23, v23
	v_min_f32_e32 v29, v28, v71
	v_max_f32_e32 v28, v28, v71
	s_delay_alu instid0(VALU_DEP_2) | instskip(NEXT) | instid1(VALU_DEP_2)
	v_cndmask_b32_e32 v29, v29, v27, vcc_lo
	v_cndmask_b32_e32 v28, v28, v27, vcc_lo
	s_delay_alu instid0(VALU_DEP_2) | instskip(NEXT) | instid1(VALU_DEP_2)
	v_cndmask_b32_e64 v29, v29, v71, s10
	v_cndmask_b32_e64 v28, v28, v71, s10
	s_delay_alu instid0(VALU_DEP_2) | instskip(NEXT) | instid1(VALU_DEP_2)
	v_cmp_class_f32_e64 s11, v29, 0x1f8
	v_cmp_neq_f32_e32 vcc_lo, v29, v28
	s_delay_alu instid0(VALU_DEP_2) | instskip(NEXT) | instid1(SALU_CYCLE_1)
	s_or_b32 s13, vcc_lo, s11
	s_and_saveexec_b32 s11, s13
	s_cbranch_execz .LBB410_69
; %bb.68:
	v_sub_f32_e32 v26, v29, v28
	s_mov_b32 s13, 0x3e9b6dac
	s_delay_alu instid0(VALU_DEP_1) | instskip(NEXT) | instid1(VALU_DEP_1)
	v_mul_f32_e32 v27, 0x3fb8aa3b, v26
	v_fma_f32 v29, 0x3fb8aa3b, v26, -v27
	v_rndne_f32_e32 v80, v27
	s_delay_alu instid0(VALU_DEP_2) | instskip(NEXT) | instid1(VALU_DEP_2)
	v_fmamk_f32 v29, v26, 0x32a5705f, v29
	v_sub_f32_e32 v27, v27, v80
	s_delay_alu instid0(VALU_DEP_1) | instskip(SKIP_2) | instid1(VALU_DEP_3)
	v_add_f32_e32 v27, v27, v29
	v_cvt_i32_f32_e32 v29, v80
	v_cmp_ngt_f32_e32 vcc_lo, 0xc2ce8ed0, v26
	v_exp_f32_e32 v27, v27
	s_waitcnt_depctr 0xfff
	v_ldexp_f32 v27, v27, v29
	s_delay_alu instid0(VALU_DEP_1) | instskip(SKIP_1) | instid1(VALU_DEP_2)
	v_cndmask_b32_e32 v27, 0, v27, vcc_lo
	v_cmp_nlt_f32_e32 vcc_lo, 0x42b17218, v26
	v_cndmask_b32_e32 v29, 0x7f800000, v27, vcc_lo
	s_delay_alu instid0(VALU_DEP_1) | instskip(NEXT) | instid1(VALU_DEP_1)
	v_add_f32_e32 v80, 1.0, v29
	v_cvt_f64_f32_e32 v[26:27], v80
	s_delay_alu instid0(VALU_DEP_1) | instskip(SKIP_1) | instid1(VALU_DEP_1)
	v_frexp_exp_i32_f64_e32 v26, v[26:27]
	v_frexp_mant_f32_e32 v27, v80
	v_cmp_gt_f32_e32 vcc_lo, 0x3f2aaaab, v27
	v_add_f32_e32 v27, -1.0, v80
	s_delay_alu instid0(VALU_DEP_1) | instskip(NEXT) | instid1(VALU_DEP_1)
	v_sub_f32_e32 v82, v27, v80
	v_add_f32_e32 v82, 1.0, v82
	v_subrev_co_ci_u32_e32 v26, vcc_lo, 0, v26, vcc_lo
	s_delay_alu instid0(VALU_DEP_1) | instskip(SKIP_1) | instid1(VALU_DEP_2)
	v_sub_nc_u32_e32 v81, 0, v26
	v_cvt_f32_i32_e32 v26, v26
	v_ldexp_f32 v80, v80, v81
	v_sub_f32_e32 v27, v29, v27
	s_delay_alu instid0(VALU_DEP_1) | instskip(NEXT) | instid1(VALU_DEP_1)
	v_add_f32_e32 v27, v27, v82
	v_ldexp_f32 v27, v27, v81
	s_delay_alu instid0(VALU_DEP_4) | instskip(NEXT) | instid1(VALU_DEP_1)
	v_add_f32_e32 v83, 1.0, v80
	v_add_f32_e32 v82, -1.0, v83
	s_delay_alu instid0(VALU_DEP_1) | instskip(NEXT) | instid1(VALU_DEP_1)
	v_sub_f32_e32 v82, v80, v82
	v_dual_add_f32 v82, v27, v82 :: v_dual_add_f32 v81, -1.0, v80
	s_delay_alu instid0(VALU_DEP_1) | instskip(SKIP_1) | instid1(VALU_DEP_2)
	v_add_f32_e32 v84, 1.0, v81
	v_cmp_eq_f32_e32 vcc_lo, 0x7f800000, v29
	v_sub_f32_e32 v80, v80, v84
	s_delay_alu instid0(VALU_DEP_4) | instskip(NEXT) | instid1(VALU_DEP_1)
	v_add_f32_e32 v84, v83, v82
	v_sub_f32_e32 v83, v83, v84
	s_delay_alu instid0(VALU_DEP_3) | instskip(SKIP_1) | instid1(VALU_DEP_2)
	v_add_f32_e32 v27, v27, v80
	v_rcp_f32_e32 v80, v84
	v_add_f32_e32 v82, v82, v83
	s_delay_alu instid0(VALU_DEP_2) | instskip(NEXT) | instid1(VALU_DEP_1)
	v_add_f32_e32 v85, v81, v27
	v_sub_f32_e32 v81, v81, v85
	s_waitcnt_depctr 0xfff
	v_dual_mul_f32 v86, v85, v80 :: v_dual_add_f32 v27, v27, v81
	s_delay_alu instid0(VALU_DEP_1) | instskip(NEXT) | instid1(VALU_DEP_1)
	v_mul_f32_e32 v87, v84, v86
	v_fma_f32 v83, v86, v84, -v87
	s_delay_alu instid0(VALU_DEP_1) | instskip(NEXT) | instid1(VALU_DEP_1)
	v_fmac_f32_e32 v83, v86, v82
	v_add_f32_e32 v96, v87, v83
	s_delay_alu instid0(VALU_DEP_1) | instskip(SKIP_1) | instid1(VALU_DEP_2)
	v_sub_f32_e32 v97, v85, v96
	v_sub_f32_e32 v81, v96, v87
	;; [unrolled: 1-line block ×3, first 2 shown]
	s_delay_alu instid0(VALU_DEP_2) | instskip(NEXT) | instid1(VALU_DEP_2)
	v_sub_f32_e32 v81, v81, v83
	v_sub_f32_e32 v85, v85, v96
	s_delay_alu instid0(VALU_DEP_1) | instskip(NEXT) | instid1(VALU_DEP_1)
	v_add_f32_e32 v27, v27, v85
	v_add_f32_e32 v27, v81, v27
	s_delay_alu instid0(VALU_DEP_1) | instskip(NEXT) | instid1(VALU_DEP_1)
	v_add_f32_e32 v81, v97, v27
	v_mul_f32_e32 v83, v80, v81
	s_delay_alu instid0(VALU_DEP_1) | instskip(NEXT) | instid1(VALU_DEP_1)
	v_dual_sub_f32 v96, v97, v81 :: v_dual_mul_f32 v85, v84, v83
	v_add_f32_e32 v27, v27, v96
	s_delay_alu instid0(VALU_DEP_2) | instskip(NEXT) | instid1(VALU_DEP_1)
	v_fma_f32 v84, v83, v84, -v85
	v_fmac_f32_e32 v84, v83, v82
	s_delay_alu instid0(VALU_DEP_1) | instskip(NEXT) | instid1(VALU_DEP_1)
	v_add_f32_e32 v82, v85, v84
	v_sub_f32_e32 v87, v81, v82
	v_sub_f32_e32 v85, v82, v85
	s_delay_alu instid0(VALU_DEP_2) | instskip(NEXT) | instid1(VALU_DEP_1)
	v_sub_f32_e32 v81, v81, v87
	v_sub_f32_e32 v81, v81, v82
	s_delay_alu instid0(VALU_DEP_1) | instskip(SKIP_1) | instid1(VALU_DEP_1)
	v_dual_sub_f32 v82, v85, v84 :: v_dual_add_f32 v27, v27, v81
	v_add_f32_e32 v81, v86, v83
	v_dual_add_f32 v27, v82, v27 :: v_dual_sub_f32 v82, v81, v86
	s_delay_alu instid0(VALU_DEP_1) | instskip(NEXT) | instid1(VALU_DEP_1)
	v_add_f32_e32 v27, v87, v27
	v_dual_sub_f32 v82, v83, v82 :: v_dual_mul_f32 v27, v80, v27
	s_delay_alu instid0(VALU_DEP_1) | instskip(NEXT) | instid1(VALU_DEP_1)
	v_add_f32_e32 v27, v82, v27
	v_add_f32_e32 v80, v81, v27
	s_delay_alu instid0(VALU_DEP_1) | instskip(NEXT) | instid1(VALU_DEP_1)
	v_mul_f32_e32 v82, v80, v80
	v_fmaak_f32 v83, s13, v82, 0x3ecc95a3
	v_mul_f32_e32 v84, v80, v82
	v_cmp_gt_f32_e64 s13, 0x33800000, |v29|
	s_delay_alu instid0(VALU_DEP_3) | instskip(SKIP_2) | instid1(VALU_DEP_4)
	v_fmaak_f32 v82, v82, v83, 0x3f2aaada
	v_ldexp_f32 v83, v80, 1
	v_sub_f32_e32 v80, v80, v81
	s_or_b32 vcc_lo, vcc_lo, s13
	s_delay_alu instid0(VALU_DEP_3) | instskip(NEXT) | instid1(VALU_DEP_2)
	v_mul_f32_e32 v82, v84, v82
	v_dual_mul_f32 v84, 0x3f317218, v26 :: v_dual_sub_f32 v27, v27, v80
	s_delay_alu instid0(VALU_DEP_2) | instskip(NEXT) | instid1(VALU_DEP_2)
	v_add_f32_e32 v81, v83, v82
	v_ldexp_f32 v27, v27, 1
	s_delay_alu instid0(VALU_DEP_2) | instskip(NEXT) | instid1(VALU_DEP_4)
	v_sub_f32_e32 v80, v81, v83
	v_fma_f32 v83, 0x3f317218, v26, -v84
	s_delay_alu instid0(VALU_DEP_2) | instskip(NEXT) | instid1(VALU_DEP_1)
	v_sub_f32_e32 v80, v82, v80
	v_dual_fmamk_f32 v26, v26, 0xb102e308, v83 :: v_dual_add_f32 v27, v27, v80
	s_delay_alu instid0(VALU_DEP_1) | instskip(NEXT) | instid1(VALU_DEP_2)
	v_add_f32_e32 v80, v84, v26
	v_add_f32_e32 v82, v81, v27
	s_delay_alu instid0(VALU_DEP_2) | instskip(NEXT) | instid1(VALU_DEP_2)
	v_sub_f32_e32 v84, v80, v84
	v_add_f32_e32 v83, v80, v82
	v_sub_f32_e32 v81, v82, v81
	s_delay_alu instid0(VALU_DEP_3) | instskip(NEXT) | instid1(VALU_DEP_3)
	v_sub_f32_e32 v26, v26, v84
	v_sub_f32_e32 v85, v83, v80
	s_delay_alu instid0(VALU_DEP_3) | instskip(NEXT) | instid1(VALU_DEP_2)
	v_sub_f32_e32 v27, v27, v81
	v_sub_f32_e32 v86, v83, v85
	;; [unrolled: 1-line block ×3, first 2 shown]
	s_delay_alu instid0(VALU_DEP_3) | instskip(NEXT) | instid1(VALU_DEP_3)
	v_add_f32_e32 v82, v26, v27
	v_sub_f32_e32 v80, v80, v86
	s_delay_alu instid0(VALU_DEP_1) | instskip(NEXT) | instid1(VALU_DEP_1)
	v_dual_add_f32 v80, v81, v80 :: v_dual_sub_f32 v81, v82, v26
	v_add_f32_e32 v80, v82, v80
	s_delay_alu instid0(VALU_DEP_2) | instskip(SKIP_1) | instid1(VALU_DEP_3)
	v_sub_f32_e32 v82, v82, v81
	v_sub_f32_e32 v27, v27, v81
	v_add_f32_e32 v84, v83, v80
	s_delay_alu instid0(VALU_DEP_1) | instskip(NEXT) | instid1(VALU_DEP_1)
	v_dual_sub_f32 v26, v26, v82 :: v_dual_sub_f32 v81, v84, v83
	v_dual_add_f32 v26, v27, v26 :: v_dual_sub_f32 v27, v80, v81
	s_delay_alu instid0(VALU_DEP_1) | instskip(NEXT) | instid1(VALU_DEP_1)
	v_add_f32_e32 v26, v26, v27
	v_add_f32_e32 v26, v84, v26
	s_delay_alu instid0(VALU_DEP_1) | instskip(NEXT) | instid1(VALU_DEP_1)
	v_cndmask_b32_e32 v26, v26, v29, vcc_lo
	v_add_f32_e32 v26, v28, v26
	s_delay_alu instid0(VALU_DEP_1) | instskip(NEXT) | instid1(VALU_DEP_1)
	v_cvt_f16_f32_e32 v26, v26
	v_mov_b32_e32 v100, v26
	v_cvt_f32_f16_e32 v27, v26
.LBB410_69:
	s_or_b32 exec_lo, exec_lo, s11
	v_cvt_f32_f16_e32 v80, v49
	s_delay_alu instid0(VALU_DEP_2) | instskip(SKIP_2) | instid1(VALU_DEP_3)
	v_max_f32_e32 v28, v27, v27
	v_cmp_u_f16_e32 vcc_lo, v26, v26
	v_cmp_u_f16_e64 s11, v49, v49
	v_min_f32_e32 v29, v28, v80
	s_delay_alu instid0(VALU_DEP_1) | instskip(NEXT) | instid1(VALU_DEP_1)
	v_dual_max_f32 v28, v28, v80 :: v_dual_cndmask_b32 v29, v29, v27
	v_cndmask_b32_e32 v28, v28, v27, vcc_lo
	s_delay_alu instid0(VALU_DEP_2) | instskip(NEXT) | instid1(VALU_DEP_2)
	v_cndmask_b32_e64 v29, v29, v80, s11
	v_cndmask_b32_e64 v28, v28, v80, s11
	s_delay_alu instid0(VALU_DEP_2) | instskip(NEXT) | instid1(VALU_DEP_2)
	v_cmp_class_f32_e64 s13, v29, 0x1f8
	v_cmp_neq_f32_e32 vcc_lo, v29, v28
	s_delay_alu instid0(VALU_DEP_2) | instskip(NEXT) | instid1(SALU_CYCLE_1)
	s_or_b32 s14, vcc_lo, s13
	s_and_saveexec_b32 s13, s14
	s_cbranch_execz .LBB410_71
; %bb.70:
	v_sub_f32_e32 v26, v29, v28
	s_mov_b32 s14, 0x3e9b6dac
	s_delay_alu instid0(VALU_DEP_1) | instskip(NEXT) | instid1(VALU_DEP_1)
	v_mul_f32_e32 v27, 0x3fb8aa3b, v26
	v_fma_f32 v29, 0x3fb8aa3b, v26, -v27
	v_rndne_f32_e32 v81, v27
	s_delay_alu instid0(VALU_DEP_1) | instskip(NEXT) | instid1(VALU_DEP_3)
	v_sub_f32_e32 v27, v27, v81
	v_fmamk_f32 v29, v26, 0x32a5705f, v29
	v_cmp_ngt_f32_e32 vcc_lo, 0xc2ce8ed0, v26
	s_delay_alu instid0(VALU_DEP_2) | instskip(SKIP_1) | instid1(VALU_DEP_2)
	v_add_f32_e32 v27, v27, v29
	v_cvt_i32_f32_e32 v29, v81
	v_exp_f32_e32 v27, v27
	s_waitcnt_depctr 0xfff
	v_ldexp_f32 v27, v27, v29
	s_delay_alu instid0(VALU_DEP_1) | instskip(SKIP_1) | instid1(VALU_DEP_2)
	v_cndmask_b32_e32 v27, 0, v27, vcc_lo
	v_cmp_nlt_f32_e32 vcc_lo, 0x42b17218, v26
	v_cndmask_b32_e32 v29, 0x7f800000, v27, vcc_lo
	s_delay_alu instid0(VALU_DEP_1) | instskip(NEXT) | instid1(VALU_DEP_1)
	v_add_f32_e32 v81, 1.0, v29
	v_cvt_f64_f32_e32 v[26:27], v81
	s_delay_alu instid0(VALU_DEP_1) | instskip(SKIP_1) | instid1(VALU_DEP_1)
	v_frexp_exp_i32_f64_e32 v26, v[26:27]
	v_frexp_mant_f32_e32 v27, v81
	v_cmp_gt_f32_e32 vcc_lo, 0x3f2aaaab, v27
	v_add_f32_e32 v27, -1.0, v81
	s_delay_alu instid0(VALU_DEP_1) | instskip(SKIP_1) | instid1(VALU_DEP_2)
	v_sub_f32_e32 v83, v27, v81
	v_sub_f32_e32 v27, v29, v27
	v_add_f32_e32 v83, 1.0, v83
	s_delay_alu instid0(VALU_DEP_1) | instskip(SKIP_1) | instid1(VALU_DEP_1)
	v_add_f32_e32 v27, v27, v83
	v_subrev_co_ci_u32_e32 v26, vcc_lo, 0, v26, vcc_lo
	v_sub_nc_u32_e32 v82, 0, v26
	v_cvt_f32_i32_e32 v26, v26
	s_delay_alu instid0(VALU_DEP_2) | instskip(SKIP_1) | instid1(VALU_DEP_2)
	v_ldexp_f32 v81, v81, v82
	v_ldexp_f32 v27, v27, v82
	v_add_f32_e32 v84, 1.0, v81
	s_delay_alu instid0(VALU_DEP_1) | instskip(NEXT) | instid1(VALU_DEP_1)
	v_dual_add_f32 v82, -1.0, v81 :: v_dual_add_f32 v83, -1.0, v84
	v_add_f32_e32 v85, 1.0, v82
	s_delay_alu instid0(VALU_DEP_2) | instskip(NEXT) | instid1(VALU_DEP_2)
	v_sub_f32_e32 v83, v81, v83
	v_sub_f32_e32 v81, v81, v85
	s_delay_alu instid0(VALU_DEP_2) | instskip(NEXT) | instid1(VALU_DEP_1)
	v_add_f32_e32 v83, v27, v83
	v_add_f32_e32 v85, v84, v83
	s_delay_alu instid0(VALU_DEP_3) | instskip(NEXT) | instid1(VALU_DEP_2)
	v_add_f32_e32 v27, v27, v81
	v_rcp_f32_e32 v81, v85
	s_delay_alu instid0(VALU_DEP_1) | instskip(SKIP_1) | instid1(VALU_DEP_1)
	v_add_f32_e32 v86, v82, v27
	v_sub_f32_e32 v84, v84, v85
	v_dual_sub_f32 v82, v82, v86 :: v_dual_add_f32 v83, v83, v84
	s_waitcnt_depctr 0xfff
	v_mul_f32_e32 v87, v86, v81
	s_delay_alu instid0(VALU_DEP_1) | instskip(NEXT) | instid1(VALU_DEP_1)
	v_dual_add_f32 v27, v27, v82 :: v_dual_mul_f32 v96, v85, v87
	v_fma_f32 v84, v87, v85, -v96
	s_delay_alu instid0(VALU_DEP_1) | instskip(NEXT) | instid1(VALU_DEP_1)
	v_fmac_f32_e32 v84, v87, v83
	v_add_f32_e32 v97, v96, v84
	s_delay_alu instid0(VALU_DEP_1) | instskip(SKIP_2) | instid1(VALU_DEP_3)
	v_sub_f32_e32 v98, v86, v97
	v_sub_f32_e32 v82, v97, v96
	v_cmp_eq_f32_e32 vcc_lo, 0x7f800000, v29
	v_sub_f32_e32 v86, v86, v98
	s_delay_alu instid0(VALU_DEP_3) | instskip(NEXT) | instid1(VALU_DEP_2)
	v_sub_f32_e32 v82, v82, v84
	v_sub_f32_e32 v86, v86, v97
	s_delay_alu instid0(VALU_DEP_1) | instskip(NEXT) | instid1(VALU_DEP_1)
	v_add_f32_e32 v27, v27, v86
	v_add_f32_e32 v27, v82, v27
	s_delay_alu instid0(VALU_DEP_1) | instskip(NEXT) | instid1(VALU_DEP_1)
	v_add_f32_e32 v82, v98, v27
	v_mul_f32_e32 v84, v81, v82
	s_delay_alu instid0(VALU_DEP_1) | instskip(NEXT) | instid1(VALU_DEP_1)
	v_dual_sub_f32 v97, v98, v82 :: v_dual_mul_f32 v86, v85, v84
	v_add_f32_e32 v27, v27, v97
	s_delay_alu instid0(VALU_DEP_2) | instskip(NEXT) | instid1(VALU_DEP_1)
	v_fma_f32 v85, v84, v85, -v86
	v_fmac_f32_e32 v85, v84, v83
	s_delay_alu instid0(VALU_DEP_1) | instskip(NEXT) | instid1(VALU_DEP_1)
	v_add_f32_e32 v83, v86, v85
	v_sub_f32_e32 v96, v82, v83
	v_sub_f32_e32 v86, v83, v86
	s_delay_alu instid0(VALU_DEP_2) | instskip(NEXT) | instid1(VALU_DEP_1)
	v_sub_f32_e32 v82, v82, v96
	v_sub_f32_e32 v82, v82, v83
	s_delay_alu instid0(VALU_DEP_3) | instskip(NEXT) | instid1(VALU_DEP_2)
	v_sub_f32_e32 v83, v86, v85
	v_add_f32_e32 v27, v27, v82
	v_add_f32_e32 v82, v87, v84
	s_delay_alu instid0(VALU_DEP_2) | instskip(NEXT) | instid1(VALU_DEP_2)
	v_add_f32_e32 v27, v83, v27
	v_sub_f32_e32 v83, v82, v87
	s_delay_alu instid0(VALU_DEP_2) | instskip(NEXT) | instid1(VALU_DEP_2)
	v_add_f32_e32 v27, v96, v27
	v_sub_f32_e32 v83, v84, v83
	s_delay_alu instid0(VALU_DEP_2) | instskip(NEXT) | instid1(VALU_DEP_1)
	v_mul_f32_e32 v27, v81, v27
	v_add_f32_e32 v27, v83, v27
	s_delay_alu instid0(VALU_DEP_1) | instskip(NEXT) | instid1(VALU_DEP_1)
	v_add_f32_e32 v81, v82, v27
	v_mul_f32_e32 v83, v81, v81
	s_delay_alu instid0(VALU_DEP_1) | instskip(SKIP_2) | instid1(VALU_DEP_3)
	v_fmaak_f32 v84, s14, v83, 0x3ecc95a3
	v_mul_f32_e32 v85, v81, v83
	v_cmp_gt_f32_e64 s14, 0x33800000, |v29|
	v_fmaak_f32 v83, v83, v84, 0x3f2aaada
	v_ldexp_f32 v84, v81, 1
	v_sub_f32_e32 v81, v81, v82
	s_delay_alu instid0(VALU_DEP_4) | instskip(NEXT) | instid1(VALU_DEP_3)
	s_or_b32 vcc_lo, vcc_lo, s14
	v_mul_f32_e32 v83, v85, v83
	v_mul_f32_e32 v85, 0x3f317218, v26
	s_delay_alu instid0(VALU_DEP_2) | instskip(NEXT) | instid1(VALU_DEP_1)
	v_dual_sub_f32 v27, v27, v81 :: v_dual_add_f32 v82, v84, v83
	v_ldexp_f32 v27, v27, 1
	s_delay_alu instid0(VALU_DEP_2) | instskip(NEXT) | instid1(VALU_DEP_4)
	v_sub_f32_e32 v81, v82, v84
	v_fma_f32 v84, 0x3f317218, v26, -v85
	s_delay_alu instid0(VALU_DEP_1) | instskip(NEXT) | instid1(VALU_DEP_1)
	v_dual_sub_f32 v81, v83, v81 :: v_dual_fmamk_f32 v26, v26, 0xb102e308, v84
	v_add_f32_e32 v27, v27, v81
	s_delay_alu instid0(VALU_DEP_2) | instskip(NEXT) | instid1(VALU_DEP_2)
	v_add_f32_e32 v81, v85, v26
	v_add_f32_e32 v83, v82, v27
	s_delay_alu instid0(VALU_DEP_2) | instskip(NEXT) | instid1(VALU_DEP_2)
	v_sub_f32_e32 v85, v81, v85
	v_add_f32_e32 v84, v81, v83
	v_sub_f32_e32 v82, v83, v82
	s_delay_alu instid0(VALU_DEP_3) | instskip(NEXT) | instid1(VALU_DEP_2)
	v_sub_f32_e32 v26, v26, v85
	v_dual_sub_f32 v86, v84, v81 :: v_dual_sub_f32 v27, v27, v82
	s_delay_alu instid0(VALU_DEP_1) | instskip(NEXT) | instid1(VALU_DEP_2)
	v_sub_f32_e32 v87, v84, v86
	v_dual_sub_f32 v82, v83, v86 :: v_dual_add_f32 v83, v26, v27
	s_delay_alu instid0(VALU_DEP_2) | instskip(NEXT) | instid1(VALU_DEP_1)
	v_sub_f32_e32 v81, v81, v87
	v_dual_add_f32 v81, v82, v81 :: v_dual_sub_f32 v82, v83, v26
	s_delay_alu instid0(VALU_DEP_1) | instskip(NEXT) | instid1(VALU_DEP_2)
	v_add_f32_e32 v81, v83, v81
	v_sub_f32_e32 v83, v83, v82
	v_sub_f32_e32 v27, v27, v82
	s_delay_alu instid0(VALU_DEP_2) | instskip(NEXT) | instid1(VALU_DEP_1)
	v_dual_add_f32 v85, v84, v81 :: v_dual_sub_f32 v26, v26, v83
	v_sub_f32_e32 v82, v85, v84
	s_delay_alu instid0(VALU_DEP_2) | instskip(NEXT) | instid1(VALU_DEP_2)
	v_add_f32_e32 v26, v27, v26
	v_sub_f32_e32 v27, v81, v82
	s_delay_alu instid0(VALU_DEP_1) | instskip(NEXT) | instid1(VALU_DEP_1)
	v_add_f32_e32 v26, v26, v27
	v_add_f32_e32 v26, v85, v26
	s_delay_alu instid0(VALU_DEP_1) | instskip(NEXT) | instid1(VALU_DEP_1)
	v_cndmask_b32_e32 v26, v26, v29, vcc_lo
	v_add_f32_e32 v26, v28, v26
	s_delay_alu instid0(VALU_DEP_1) | instskip(NEXT) | instid1(VALU_DEP_1)
	v_cvt_f16_f32_e32 v26, v26
	v_cvt_f32_f16_e32 v27, v26
	v_mov_b32_e32 v100, v26
.LBB410_71:
	s_or_b32 exec_lo, exec_lo, s13
	v_cvt_f32_f16_e32 v81, v20
	s_delay_alu instid0(VALU_DEP_3) | instskip(SKIP_2) | instid1(VALU_DEP_3)
	v_max_f32_e32 v28, v27, v27
	v_cmp_u_f16_e32 vcc_lo, v26, v26
	v_cmp_u_f16_e64 s13, v20, v20
	v_min_f32_e32 v29, v28, v81
	s_delay_alu instid0(VALU_DEP_1) | instskip(NEXT) | instid1(VALU_DEP_1)
	v_dual_max_f32 v28, v28, v81 :: v_dual_cndmask_b32 v29, v29, v27
	v_cndmask_b32_e32 v28, v28, v27, vcc_lo
	s_delay_alu instid0(VALU_DEP_2) | instskip(NEXT) | instid1(VALU_DEP_2)
	v_cndmask_b32_e64 v29, v29, v81, s13
	v_cndmask_b32_e64 v28, v28, v81, s13
	s_delay_alu instid0(VALU_DEP_2) | instskip(NEXT) | instid1(VALU_DEP_2)
	v_cmp_class_f32_e64 s14, v29, 0x1f8
	v_cmp_neq_f32_e32 vcc_lo, v29, v28
	s_delay_alu instid0(VALU_DEP_2) | instskip(NEXT) | instid1(SALU_CYCLE_1)
	s_or_b32 s15, vcc_lo, s14
	s_and_saveexec_b32 s14, s15
	s_cbranch_execz .LBB410_73
; %bb.72:
	v_sub_f32_e32 v26, v29, v28
	s_mov_b32 s15, 0x3e9b6dac
	s_delay_alu instid0(VALU_DEP_1) | instskip(NEXT) | instid1(VALU_DEP_1)
	v_mul_f32_e32 v27, 0x3fb8aa3b, v26
	v_fma_f32 v29, 0x3fb8aa3b, v26, -v27
	v_rndne_f32_e32 v82, v27
	s_delay_alu instid0(VALU_DEP_1) | instskip(NEXT) | instid1(VALU_DEP_3)
	v_sub_f32_e32 v27, v27, v82
	v_fmamk_f32 v29, v26, 0x32a5705f, v29
	v_cmp_ngt_f32_e32 vcc_lo, 0xc2ce8ed0, v26
	s_delay_alu instid0(VALU_DEP_2) | instskip(SKIP_1) | instid1(VALU_DEP_2)
	v_add_f32_e32 v27, v27, v29
	v_cvt_i32_f32_e32 v29, v82
	v_exp_f32_e32 v27, v27
	s_waitcnt_depctr 0xfff
	v_ldexp_f32 v27, v27, v29
	s_delay_alu instid0(VALU_DEP_1) | instskip(SKIP_1) | instid1(VALU_DEP_2)
	v_cndmask_b32_e32 v27, 0, v27, vcc_lo
	v_cmp_nlt_f32_e32 vcc_lo, 0x42b17218, v26
	v_cndmask_b32_e32 v29, 0x7f800000, v27, vcc_lo
	s_delay_alu instid0(VALU_DEP_1) | instskip(NEXT) | instid1(VALU_DEP_1)
	v_add_f32_e32 v82, 1.0, v29
	v_cvt_f64_f32_e32 v[26:27], v82
	s_delay_alu instid0(VALU_DEP_1) | instskip(SKIP_1) | instid1(VALU_DEP_1)
	v_frexp_exp_i32_f64_e32 v26, v[26:27]
	v_frexp_mant_f32_e32 v27, v82
	v_cmp_gt_f32_e32 vcc_lo, 0x3f2aaaab, v27
	v_add_f32_e32 v27, -1.0, v82
	s_delay_alu instid0(VALU_DEP_1) | instskip(NEXT) | instid1(VALU_DEP_1)
	v_sub_f32_e32 v84, v27, v82
	v_add_f32_e32 v84, 1.0, v84
	v_subrev_co_ci_u32_e32 v26, vcc_lo, 0, v26, vcc_lo
	s_delay_alu instid0(VALU_DEP_1) | instskip(SKIP_1) | instid1(VALU_DEP_2)
	v_sub_nc_u32_e32 v83, 0, v26
	v_cvt_f32_i32_e32 v26, v26
	v_ldexp_f32 v82, v82, v83
	v_sub_f32_e32 v27, v29, v27
	s_delay_alu instid0(VALU_DEP_1) | instskip(NEXT) | instid1(VALU_DEP_1)
	v_add_f32_e32 v27, v27, v84
	v_ldexp_f32 v27, v27, v83
	s_delay_alu instid0(VALU_DEP_4) | instskip(NEXT) | instid1(VALU_DEP_1)
	v_add_f32_e32 v85, 1.0, v82
	v_add_f32_e32 v84, -1.0, v85
	s_delay_alu instid0(VALU_DEP_1) | instskip(SKIP_1) | instid1(VALU_DEP_2)
	v_sub_f32_e32 v84, v82, v84
	v_cmp_eq_f32_e32 vcc_lo, 0x7f800000, v29
	v_dual_add_f32 v84, v27, v84 :: v_dual_add_f32 v83, -1.0, v82
	s_delay_alu instid0(VALU_DEP_1) | instskip(NEXT) | instid1(VALU_DEP_1)
	v_add_f32_e32 v86, 1.0, v83
	v_sub_f32_e32 v82, v82, v86
	s_delay_alu instid0(VALU_DEP_1) | instskip(NEXT) | instid1(VALU_DEP_1)
	v_dual_add_f32 v86, v85, v84 :: v_dual_add_f32 v27, v27, v82
	v_rcp_f32_e32 v82, v86
	v_sub_f32_e32 v85, v85, v86
	s_delay_alu instid0(VALU_DEP_1) | instskip(SKIP_3) | instid1(VALU_DEP_2)
	v_dual_add_f32 v84, v84, v85 :: v_dual_add_f32 v87, v83, v27
	s_waitcnt_depctr 0xfff
	v_mul_f32_e32 v96, v87, v82
	v_sub_f32_e32 v83, v83, v87
	v_mul_f32_e32 v97, v86, v96
	s_delay_alu instid0(VALU_DEP_1) | instskip(NEXT) | instid1(VALU_DEP_1)
	v_fma_f32 v85, v96, v86, -v97
	v_fmac_f32_e32 v85, v96, v84
	s_delay_alu instid0(VALU_DEP_1) | instskip(NEXT) | instid1(VALU_DEP_1)
	v_dual_add_f32 v98, v97, v85 :: v_dual_add_f32 v27, v27, v83
	v_dual_sub_f32 v100, v87, v98 :: v_dual_sub_f32 v83, v98, v97
	s_delay_alu instid0(VALU_DEP_1) | instskip(NEXT) | instid1(VALU_DEP_2)
	v_sub_f32_e32 v87, v87, v100
	v_sub_f32_e32 v83, v83, v85
	s_delay_alu instid0(VALU_DEP_2) | instskip(NEXT) | instid1(VALU_DEP_1)
	v_sub_f32_e32 v87, v87, v98
	v_add_f32_e32 v27, v27, v87
	s_delay_alu instid0(VALU_DEP_1) | instskip(NEXT) | instid1(VALU_DEP_1)
	v_add_f32_e32 v27, v83, v27
	v_add_f32_e32 v83, v100, v27
	s_delay_alu instid0(VALU_DEP_1) | instskip(NEXT) | instid1(VALU_DEP_1)
	v_mul_f32_e32 v85, v82, v83
	v_dual_sub_f32 v98, v100, v83 :: v_dual_mul_f32 v87, v86, v85
	s_delay_alu instid0(VALU_DEP_1) | instskip(NEXT) | instid1(VALU_DEP_2)
	v_add_f32_e32 v27, v27, v98
	v_fma_f32 v86, v85, v86, -v87
	s_delay_alu instid0(VALU_DEP_1) | instskip(NEXT) | instid1(VALU_DEP_1)
	v_fmac_f32_e32 v86, v85, v84
	v_add_f32_e32 v84, v87, v86
	s_delay_alu instid0(VALU_DEP_1) | instskip(SKIP_1) | instid1(VALU_DEP_2)
	v_sub_f32_e32 v97, v83, v84
	v_sub_f32_e32 v87, v84, v87
	;; [unrolled: 1-line block ×3, first 2 shown]
	s_delay_alu instid0(VALU_DEP_1) | instskip(NEXT) | instid1(VALU_DEP_3)
	v_sub_f32_e32 v83, v83, v84
	v_sub_f32_e32 v84, v87, v86
	s_delay_alu instid0(VALU_DEP_2) | instskip(SKIP_1) | instid1(VALU_DEP_1)
	v_add_f32_e32 v27, v27, v83
	v_add_f32_e32 v83, v96, v85
	v_dual_add_f32 v27, v84, v27 :: v_dual_sub_f32 v84, v83, v96
	s_delay_alu instid0(VALU_DEP_1) | instskip(NEXT) | instid1(VALU_DEP_1)
	v_add_f32_e32 v27, v97, v27
	v_dual_sub_f32 v84, v85, v84 :: v_dual_mul_f32 v27, v82, v27
	s_delay_alu instid0(VALU_DEP_1) | instskip(NEXT) | instid1(VALU_DEP_1)
	v_add_f32_e32 v27, v84, v27
	v_add_f32_e32 v82, v83, v27
	s_delay_alu instid0(VALU_DEP_1) | instskip(NEXT) | instid1(VALU_DEP_1)
	v_mul_f32_e32 v84, v82, v82
	v_fmaak_f32 v85, s15, v84, 0x3ecc95a3
	v_mul_f32_e32 v86, v82, v84
	v_cmp_gt_f32_e64 s15, 0x33800000, |v29|
	s_delay_alu instid0(VALU_DEP_3) | instskip(SKIP_2) | instid1(VALU_DEP_4)
	v_fmaak_f32 v84, v84, v85, 0x3f2aaada
	v_ldexp_f32 v85, v82, 1
	v_sub_f32_e32 v82, v82, v83
	s_or_b32 vcc_lo, vcc_lo, s15
	s_delay_alu instid0(VALU_DEP_3) | instskip(SKIP_1) | instid1(VALU_DEP_3)
	v_mul_f32_e32 v84, v86, v84
	v_mul_f32_e32 v86, 0x3f317218, v26
	v_sub_f32_e32 v27, v27, v82
	s_delay_alu instid0(VALU_DEP_3) | instskip(NEXT) | instid1(VALU_DEP_2)
	v_add_f32_e32 v83, v85, v84
	v_ldexp_f32 v27, v27, 1
	s_delay_alu instid0(VALU_DEP_2) | instskip(SKIP_1) | instid1(VALU_DEP_2)
	v_sub_f32_e32 v82, v83, v85
	v_fma_f32 v85, 0x3f317218, v26, -v86
	v_sub_f32_e32 v82, v84, v82
	s_delay_alu instid0(VALU_DEP_1) | instskip(NEXT) | instid1(VALU_DEP_1)
	v_dual_fmamk_f32 v26, v26, 0xb102e308, v85 :: v_dual_add_f32 v27, v27, v82
	v_add_f32_e32 v82, v86, v26
	s_delay_alu instid0(VALU_DEP_2) | instskip(NEXT) | instid1(VALU_DEP_2)
	v_add_f32_e32 v84, v83, v27
	v_sub_f32_e32 v86, v82, v86
	s_delay_alu instid0(VALU_DEP_2) | instskip(NEXT) | instid1(VALU_DEP_2)
	v_add_f32_e32 v85, v82, v84
	v_dual_sub_f32 v83, v84, v83 :: v_dual_sub_f32 v26, v26, v86
	s_delay_alu instid0(VALU_DEP_2) | instskip(NEXT) | instid1(VALU_DEP_2)
	v_sub_f32_e32 v87, v85, v82
	v_sub_f32_e32 v27, v27, v83
	s_delay_alu instid0(VALU_DEP_2) | instskip(SKIP_1) | instid1(VALU_DEP_3)
	v_sub_f32_e32 v96, v85, v87
	v_sub_f32_e32 v83, v84, v87
	v_add_f32_e32 v84, v26, v27
	s_delay_alu instid0(VALU_DEP_3) | instskip(NEXT) | instid1(VALU_DEP_1)
	v_sub_f32_e32 v82, v82, v96
	v_add_f32_e32 v82, v83, v82
	s_delay_alu instid0(VALU_DEP_3) | instskip(NEXT) | instid1(VALU_DEP_2)
	v_sub_f32_e32 v83, v84, v26
	v_add_f32_e32 v82, v84, v82
	s_delay_alu instid0(VALU_DEP_2) | instskip(NEXT) | instid1(VALU_DEP_1)
	v_sub_f32_e32 v84, v84, v83
	v_dual_sub_f32 v27, v27, v83 :: v_dual_sub_f32 v26, v26, v84
	s_delay_alu instid0(VALU_DEP_1) | instskip(NEXT) | instid1(VALU_DEP_4)
	v_add_f32_e32 v26, v27, v26
	v_add_f32_e32 v86, v85, v82
	s_delay_alu instid0(VALU_DEP_1) | instskip(NEXT) | instid1(VALU_DEP_1)
	v_sub_f32_e32 v83, v86, v85
	v_sub_f32_e32 v27, v82, v83
	s_delay_alu instid0(VALU_DEP_1) | instskip(NEXT) | instid1(VALU_DEP_1)
	v_add_f32_e32 v26, v26, v27
	v_add_f32_e32 v26, v86, v26
	s_delay_alu instid0(VALU_DEP_1) | instskip(NEXT) | instid1(VALU_DEP_1)
	v_cndmask_b32_e32 v26, v26, v29, vcc_lo
	v_add_f32_e32 v26, v28, v26
	s_delay_alu instid0(VALU_DEP_1) | instskip(NEXT) | instid1(VALU_DEP_1)
	v_cvt_f16_f32_e32 v26, v26
	v_cvt_f32_f16_e32 v27, v26
	v_mov_b32_e32 v100, v26
.LBB410_73:
	s_or_b32 exec_lo, exec_lo, s14
	v_cvt_f32_f16_e32 v82, v48
	s_delay_alu instid0(VALU_DEP_3) | instskip(SKIP_2) | instid1(VALU_DEP_3)
	v_max_f32_e32 v28, v27, v27
	v_cmp_u_f16_e32 vcc_lo, v26, v26
	v_cmp_u_f16_e64 s14, v48, v48
	v_min_f32_e32 v29, v28, v82
	s_delay_alu instid0(VALU_DEP_1) | instskip(NEXT) | instid1(VALU_DEP_1)
	v_dual_max_f32 v28, v28, v82 :: v_dual_cndmask_b32 v29, v29, v27
	v_cndmask_b32_e32 v28, v28, v27, vcc_lo
	s_delay_alu instid0(VALU_DEP_2) | instskip(NEXT) | instid1(VALU_DEP_2)
	v_cndmask_b32_e64 v29, v29, v82, s14
	v_cndmask_b32_e64 v28, v28, v82, s14
	s_delay_alu instid0(VALU_DEP_2) | instskip(NEXT) | instid1(VALU_DEP_2)
	v_cmp_class_f32_e64 s15, v29, 0x1f8
	v_cmp_neq_f32_e32 vcc_lo, v29, v28
	s_delay_alu instid0(VALU_DEP_2) | instskip(NEXT) | instid1(SALU_CYCLE_1)
	s_or_b32 s16, vcc_lo, s15
	s_and_saveexec_b32 s15, s16
	s_cbranch_execz .LBB410_75
; %bb.74:
	v_sub_f32_e32 v26, v29, v28
	s_mov_b32 s16, 0x3e9b6dac
	s_delay_alu instid0(VALU_DEP_1) | instskip(NEXT) | instid1(VALU_DEP_1)
	v_mul_f32_e32 v27, 0x3fb8aa3b, v26
	v_fma_f32 v29, 0x3fb8aa3b, v26, -v27
	v_rndne_f32_e32 v83, v27
	s_delay_alu instid0(VALU_DEP_1) | instskip(NEXT) | instid1(VALU_DEP_3)
	v_sub_f32_e32 v27, v27, v83
	v_fmamk_f32 v29, v26, 0x32a5705f, v29
	v_cmp_ngt_f32_e32 vcc_lo, 0xc2ce8ed0, v26
	s_delay_alu instid0(VALU_DEP_2) | instskip(SKIP_1) | instid1(VALU_DEP_2)
	v_add_f32_e32 v27, v27, v29
	v_cvt_i32_f32_e32 v29, v83
	v_exp_f32_e32 v27, v27
	s_waitcnt_depctr 0xfff
	v_ldexp_f32 v27, v27, v29
	s_delay_alu instid0(VALU_DEP_1) | instskip(SKIP_1) | instid1(VALU_DEP_2)
	v_cndmask_b32_e32 v27, 0, v27, vcc_lo
	v_cmp_nlt_f32_e32 vcc_lo, 0x42b17218, v26
	v_cndmask_b32_e32 v29, 0x7f800000, v27, vcc_lo
	s_delay_alu instid0(VALU_DEP_1) | instskip(NEXT) | instid1(VALU_DEP_1)
	v_add_f32_e32 v83, 1.0, v29
	v_cvt_f64_f32_e32 v[26:27], v83
	s_delay_alu instid0(VALU_DEP_1) | instskip(SKIP_1) | instid1(VALU_DEP_1)
	v_frexp_exp_i32_f64_e32 v26, v[26:27]
	v_frexp_mant_f32_e32 v27, v83
	v_cmp_gt_f32_e32 vcc_lo, 0x3f2aaaab, v27
	v_add_f32_e32 v27, -1.0, v83
	s_delay_alu instid0(VALU_DEP_1) | instskip(SKIP_1) | instid1(VALU_DEP_2)
	v_sub_f32_e32 v85, v27, v83
	v_sub_f32_e32 v27, v29, v27
	v_add_f32_e32 v85, 1.0, v85
	s_delay_alu instid0(VALU_DEP_1) | instskip(SKIP_1) | instid1(VALU_DEP_1)
	v_add_f32_e32 v27, v27, v85
	v_subrev_co_ci_u32_e32 v26, vcc_lo, 0, v26, vcc_lo
	v_sub_nc_u32_e32 v84, 0, v26
	v_cvt_f32_i32_e32 v26, v26
	s_delay_alu instid0(VALU_DEP_2) | instskip(SKIP_1) | instid1(VALU_DEP_2)
	v_ldexp_f32 v83, v83, v84
	v_ldexp_f32 v27, v27, v84
	v_add_f32_e32 v86, 1.0, v83
	s_delay_alu instid0(VALU_DEP_1) | instskip(NEXT) | instid1(VALU_DEP_1)
	v_dual_add_f32 v84, -1.0, v83 :: v_dual_add_f32 v85, -1.0, v86
	v_add_f32_e32 v87, 1.0, v84
	s_delay_alu instid0(VALU_DEP_2) | instskip(NEXT) | instid1(VALU_DEP_2)
	v_sub_f32_e32 v85, v83, v85
	v_sub_f32_e32 v83, v83, v87
	s_delay_alu instid0(VALU_DEP_2) | instskip(NEXT) | instid1(VALU_DEP_2)
	v_add_f32_e32 v85, v27, v85
	v_add_f32_e32 v27, v27, v83
	s_delay_alu instid0(VALU_DEP_1) | instskip(NEXT) | instid1(VALU_DEP_1)
	v_dual_add_f32 v87, v86, v85 :: v_dual_add_f32 v96, v84, v27
	v_rcp_f32_e32 v83, v87
	v_sub_f32_e32 v86, v86, v87
	s_delay_alu instid0(VALU_DEP_1) | instskip(NEXT) | instid1(VALU_DEP_1)
	v_dual_sub_f32 v84, v84, v96 :: v_dual_add_f32 v85, v85, v86
	v_add_f32_e32 v27, v27, v84
	s_waitcnt_depctr 0xfff
	v_mul_f32_e32 v97, v96, v83
	s_delay_alu instid0(VALU_DEP_1) | instskip(NEXT) | instid1(VALU_DEP_1)
	v_mul_f32_e32 v98, v87, v97
	v_fma_f32 v86, v97, v87, -v98
	s_delay_alu instid0(VALU_DEP_1) | instskip(SKIP_1) | instid1(VALU_DEP_2)
	v_fmac_f32_e32 v86, v97, v85
	v_cmp_eq_f32_e32 vcc_lo, 0x7f800000, v29
	v_add_f32_e32 v100, v98, v86
	s_delay_alu instid0(VALU_DEP_1) | instskip(SKIP_1) | instid1(VALU_DEP_2)
	v_sub_f32_e32 v101, v96, v100
	v_sub_f32_e32 v84, v100, v98
	;; [unrolled: 1-line block ×3, first 2 shown]
	s_delay_alu instid0(VALU_DEP_2) | instskip(NEXT) | instid1(VALU_DEP_2)
	v_sub_f32_e32 v84, v84, v86
	v_sub_f32_e32 v96, v96, v100
	s_delay_alu instid0(VALU_DEP_1) | instskip(NEXT) | instid1(VALU_DEP_1)
	v_add_f32_e32 v27, v27, v96
	v_add_f32_e32 v27, v84, v27
	s_delay_alu instid0(VALU_DEP_1) | instskip(NEXT) | instid1(VALU_DEP_1)
	v_add_f32_e32 v84, v101, v27
	v_mul_f32_e32 v86, v83, v84
	v_sub_f32_e32 v100, v101, v84
	s_delay_alu instid0(VALU_DEP_2) | instskip(NEXT) | instid1(VALU_DEP_2)
	v_mul_f32_e32 v96, v87, v86
	v_add_f32_e32 v27, v27, v100
	s_delay_alu instid0(VALU_DEP_2) | instskip(NEXT) | instid1(VALU_DEP_1)
	v_fma_f32 v87, v86, v87, -v96
	v_fmac_f32_e32 v87, v86, v85
	s_delay_alu instid0(VALU_DEP_1) | instskip(NEXT) | instid1(VALU_DEP_1)
	v_add_f32_e32 v85, v96, v87
	v_sub_f32_e32 v98, v84, v85
	v_sub_f32_e32 v96, v85, v96
	s_delay_alu instid0(VALU_DEP_2) | instskip(NEXT) | instid1(VALU_DEP_1)
	v_sub_f32_e32 v84, v84, v98
	v_sub_f32_e32 v84, v84, v85
	s_delay_alu instid0(VALU_DEP_3) | instskip(NEXT) | instid1(VALU_DEP_2)
	v_sub_f32_e32 v85, v96, v87
	v_dual_add_f32 v27, v27, v84 :: v_dual_add_f32 v84, v97, v86
	s_delay_alu instid0(VALU_DEP_1) | instskip(NEXT) | instid1(VALU_DEP_2)
	v_add_f32_e32 v27, v85, v27
	v_sub_f32_e32 v85, v84, v97
	s_delay_alu instid0(VALU_DEP_2) | instskip(NEXT) | instid1(VALU_DEP_2)
	v_add_f32_e32 v27, v98, v27
	v_sub_f32_e32 v85, v86, v85
	s_delay_alu instid0(VALU_DEP_2) | instskip(NEXT) | instid1(VALU_DEP_1)
	v_mul_f32_e32 v27, v83, v27
	v_add_f32_e32 v27, v85, v27
	s_delay_alu instid0(VALU_DEP_1) | instskip(NEXT) | instid1(VALU_DEP_1)
	v_add_f32_e32 v83, v84, v27
	v_mul_f32_e32 v85, v83, v83
	s_delay_alu instid0(VALU_DEP_1) | instskip(SKIP_2) | instid1(VALU_DEP_3)
	v_fmaak_f32 v86, s16, v85, 0x3ecc95a3
	v_mul_f32_e32 v87, v83, v85
	v_cmp_gt_f32_e64 s16, 0x33800000, |v29|
	v_fmaak_f32 v85, v85, v86, 0x3f2aaada
	v_ldexp_f32 v86, v83, 1
	v_sub_f32_e32 v83, v83, v84
	s_delay_alu instid0(VALU_DEP_4) | instskip(NEXT) | instid1(VALU_DEP_3)
	s_or_b32 vcc_lo, vcc_lo, s16
	v_mul_f32_e32 v85, v87, v85
	v_mul_f32_e32 v87, 0x3f317218, v26
	s_delay_alu instid0(VALU_DEP_2) | instskip(NEXT) | instid1(VALU_DEP_1)
	v_dual_sub_f32 v27, v27, v83 :: v_dual_add_f32 v84, v86, v85
	v_ldexp_f32 v27, v27, 1
	s_delay_alu instid0(VALU_DEP_2) | instskip(NEXT) | instid1(VALU_DEP_4)
	v_sub_f32_e32 v83, v84, v86
	v_fma_f32 v86, 0x3f317218, v26, -v87
	s_delay_alu instid0(VALU_DEP_1) | instskip(NEXT) | instid1(VALU_DEP_1)
	v_dual_sub_f32 v83, v85, v83 :: v_dual_fmamk_f32 v26, v26, 0xb102e308, v86
	v_add_f32_e32 v27, v27, v83
	s_delay_alu instid0(VALU_DEP_2) | instskip(NEXT) | instid1(VALU_DEP_2)
	v_add_f32_e32 v83, v87, v26
	v_add_f32_e32 v85, v84, v27
	s_delay_alu instid0(VALU_DEP_2) | instskip(NEXT) | instid1(VALU_DEP_2)
	v_sub_f32_e32 v87, v83, v87
	v_add_f32_e32 v86, v83, v85
	v_sub_f32_e32 v84, v85, v84
	s_delay_alu instid0(VALU_DEP_3) | instskip(NEXT) | instid1(VALU_DEP_2)
	v_sub_f32_e32 v26, v26, v87
	v_dual_sub_f32 v96, v86, v83 :: v_dual_sub_f32 v27, v27, v84
	s_delay_alu instid0(VALU_DEP_1) | instskip(NEXT) | instid1(VALU_DEP_2)
	v_sub_f32_e32 v97, v86, v96
	v_dual_sub_f32 v84, v85, v96 :: v_dual_add_f32 v85, v26, v27
	s_delay_alu instid0(VALU_DEP_2) | instskip(NEXT) | instid1(VALU_DEP_1)
	v_sub_f32_e32 v83, v83, v97
	v_dual_add_f32 v83, v84, v83 :: v_dual_sub_f32 v84, v85, v26
	s_delay_alu instid0(VALU_DEP_1) | instskip(NEXT) | instid1(VALU_DEP_2)
	v_add_f32_e32 v83, v85, v83
	v_sub_f32_e32 v85, v85, v84
	v_sub_f32_e32 v27, v27, v84
	s_delay_alu instid0(VALU_DEP_3) | instskip(NEXT) | instid1(VALU_DEP_3)
	v_add_f32_e32 v87, v86, v83
	v_sub_f32_e32 v26, v26, v85
	s_delay_alu instid0(VALU_DEP_2) | instskip(NEXT) | instid1(VALU_DEP_2)
	v_sub_f32_e32 v84, v87, v86
	v_add_f32_e32 v26, v27, v26
	s_delay_alu instid0(VALU_DEP_2) | instskip(NEXT) | instid1(VALU_DEP_1)
	v_sub_f32_e32 v27, v83, v84
	v_add_f32_e32 v26, v26, v27
	s_delay_alu instid0(VALU_DEP_1) | instskip(NEXT) | instid1(VALU_DEP_1)
	v_add_f32_e32 v26, v87, v26
	v_cndmask_b32_e32 v26, v26, v29, vcc_lo
	s_delay_alu instid0(VALU_DEP_1) | instskip(NEXT) | instid1(VALU_DEP_1)
	v_add_f32_e32 v26, v28, v26
	v_cvt_f16_f32_e32 v26, v26
	s_delay_alu instid0(VALU_DEP_1)
	v_mov_b32_e32 v100, v26
	v_cvt_f32_f16_e32 v27, v26
.LBB410_75:
	s_or_b32 exec_lo, exec_lo, s15
	v_cvt_f32_f16_e32 v83, v21
	s_delay_alu instid0(VALU_DEP_2) | instskip(SKIP_2) | instid1(VALU_DEP_3)
	v_max_f32_e32 v28, v27, v27
	v_cmp_u_f16_e32 vcc_lo, v26, v26
	v_cmp_u_f16_e64 s15, v21, v21
	v_min_f32_e32 v29, v28, v83
	v_max_f32_e32 v28, v28, v83
	s_delay_alu instid0(VALU_DEP_2) | instskip(NEXT) | instid1(VALU_DEP_2)
	v_cndmask_b32_e32 v29, v29, v27, vcc_lo
	v_cndmask_b32_e32 v28, v28, v27, vcc_lo
	s_delay_alu instid0(VALU_DEP_2) | instskip(NEXT) | instid1(VALU_DEP_2)
	v_cndmask_b32_e64 v29, v29, v83, s15
	v_cndmask_b32_e64 v28, v28, v83, s15
	s_delay_alu instid0(VALU_DEP_2) | instskip(NEXT) | instid1(VALU_DEP_2)
	v_cmp_class_f32_e64 s16, v29, 0x1f8
	v_cmp_neq_f32_e32 vcc_lo, v29, v28
	s_delay_alu instid0(VALU_DEP_2) | instskip(NEXT) | instid1(SALU_CYCLE_1)
	s_or_b32 s17, vcc_lo, s16
	s_and_saveexec_b32 s16, s17
	s_cbranch_execz .LBB410_77
; %bb.76:
	v_sub_f32_e32 v26, v29, v28
	s_mov_b32 s17, 0x3e9b6dac
	s_delay_alu instid0(VALU_DEP_1) | instskip(NEXT) | instid1(VALU_DEP_1)
	v_mul_f32_e32 v27, 0x3fb8aa3b, v26
	v_fma_f32 v29, 0x3fb8aa3b, v26, -v27
	v_rndne_f32_e32 v84, v27
	s_delay_alu instid0(VALU_DEP_2) | instskip(NEXT) | instid1(VALU_DEP_2)
	v_fmamk_f32 v29, v26, 0x32a5705f, v29
	v_sub_f32_e32 v27, v27, v84
	s_delay_alu instid0(VALU_DEP_1) | instskip(SKIP_2) | instid1(VALU_DEP_3)
	v_add_f32_e32 v27, v27, v29
	v_cvt_i32_f32_e32 v29, v84
	v_cmp_ngt_f32_e32 vcc_lo, 0xc2ce8ed0, v26
	v_exp_f32_e32 v27, v27
	s_waitcnt_depctr 0xfff
	v_ldexp_f32 v27, v27, v29
	s_delay_alu instid0(VALU_DEP_1) | instskip(SKIP_1) | instid1(VALU_DEP_2)
	v_cndmask_b32_e32 v27, 0, v27, vcc_lo
	v_cmp_nlt_f32_e32 vcc_lo, 0x42b17218, v26
	v_cndmask_b32_e32 v29, 0x7f800000, v27, vcc_lo
	s_delay_alu instid0(VALU_DEP_1) | instskip(NEXT) | instid1(VALU_DEP_1)
	v_add_f32_e32 v84, 1.0, v29
	v_cvt_f64_f32_e32 v[26:27], v84
	s_delay_alu instid0(VALU_DEP_1) | instskip(SKIP_1) | instid1(VALU_DEP_1)
	v_frexp_exp_i32_f64_e32 v26, v[26:27]
	v_frexp_mant_f32_e32 v27, v84
	v_cmp_gt_f32_e32 vcc_lo, 0x3f2aaaab, v27
	v_add_f32_e32 v27, -1.0, v84
	s_delay_alu instid0(VALU_DEP_1) | instskip(NEXT) | instid1(VALU_DEP_1)
	v_sub_f32_e32 v86, v27, v84
	v_add_f32_e32 v86, 1.0, v86
	v_subrev_co_ci_u32_e32 v26, vcc_lo, 0, v26, vcc_lo
	s_delay_alu instid0(VALU_DEP_1) | instskip(SKIP_1) | instid1(VALU_DEP_2)
	v_sub_nc_u32_e32 v85, 0, v26
	v_cvt_f32_i32_e32 v26, v26
	v_ldexp_f32 v84, v84, v85
	v_sub_f32_e32 v27, v29, v27
	s_delay_alu instid0(VALU_DEP_1) | instskip(NEXT) | instid1(VALU_DEP_1)
	v_add_f32_e32 v27, v27, v86
	v_ldexp_f32 v27, v27, v85
	s_delay_alu instid0(VALU_DEP_4) | instskip(NEXT) | instid1(VALU_DEP_1)
	v_add_f32_e32 v87, 1.0, v84
	v_add_f32_e32 v86, -1.0, v87
	s_delay_alu instid0(VALU_DEP_1) | instskip(NEXT) | instid1(VALU_DEP_1)
	v_sub_f32_e32 v86, v84, v86
	v_dual_add_f32 v86, v27, v86 :: v_dual_add_f32 v85, -1.0, v84
	s_delay_alu instid0(VALU_DEP_1) | instskip(SKIP_1) | instid1(VALU_DEP_2)
	v_add_f32_e32 v96, 1.0, v85
	v_cmp_eq_f32_e32 vcc_lo, 0x7f800000, v29
	v_sub_f32_e32 v84, v84, v96
	s_delay_alu instid0(VALU_DEP_4) | instskip(NEXT) | instid1(VALU_DEP_2)
	v_add_f32_e32 v96, v87, v86
	v_add_f32_e32 v27, v27, v84
	s_delay_alu instid0(VALU_DEP_2) | instskip(SKIP_1) | instid1(VALU_DEP_1)
	v_rcp_f32_e32 v84, v96
	v_sub_f32_e32 v87, v87, v96
	v_add_f32_e32 v86, v86, v87
	s_delay_alu instid0(VALU_DEP_3) | instskip(SKIP_2) | instid1(VALU_DEP_1)
	v_add_f32_e32 v97, v85, v27
	s_waitcnt_depctr 0xfff
	v_mul_f32_e32 v98, v97, v84
	v_dual_sub_f32 v85, v85, v97 :: v_dual_mul_f32 v100, v96, v98
	s_delay_alu instid0(VALU_DEP_1) | instskip(NEXT) | instid1(VALU_DEP_2)
	v_add_f32_e32 v27, v27, v85
	v_fma_f32 v87, v98, v96, -v100
	s_delay_alu instid0(VALU_DEP_1) | instskip(NEXT) | instid1(VALU_DEP_1)
	v_fmac_f32_e32 v87, v98, v86
	v_add_f32_e32 v101, v100, v87
	s_delay_alu instid0(VALU_DEP_1) | instskip(SKIP_1) | instid1(VALU_DEP_2)
	v_sub_f32_e32 v102, v97, v101
	v_sub_f32_e32 v85, v101, v100
	v_sub_f32_e32 v97, v97, v102
	s_delay_alu instid0(VALU_DEP_2) | instskip(NEXT) | instid1(VALU_DEP_2)
	v_sub_f32_e32 v85, v85, v87
	v_sub_f32_e32 v97, v97, v101
	s_delay_alu instid0(VALU_DEP_1) | instskip(NEXT) | instid1(VALU_DEP_1)
	v_add_f32_e32 v27, v27, v97
	v_add_f32_e32 v27, v85, v27
	s_delay_alu instid0(VALU_DEP_1) | instskip(NEXT) | instid1(VALU_DEP_1)
	v_add_f32_e32 v85, v102, v27
	v_mul_f32_e32 v87, v84, v85
	v_sub_f32_e32 v101, v102, v85
	s_delay_alu instid0(VALU_DEP_2) | instskip(NEXT) | instid1(VALU_DEP_2)
	v_mul_f32_e32 v97, v96, v87
	v_add_f32_e32 v27, v27, v101
	s_delay_alu instid0(VALU_DEP_2) | instskip(NEXT) | instid1(VALU_DEP_1)
	v_fma_f32 v96, v87, v96, -v97
	v_fmac_f32_e32 v96, v87, v86
	s_delay_alu instid0(VALU_DEP_1) | instskip(NEXT) | instid1(VALU_DEP_1)
	v_add_f32_e32 v86, v97, v96
	v_dual_sub_f32 v100, v85, v86 :: v_dual_sub_f32 v97, v86, v97
	s_delay_alu instid0(VALU_DEP_1) | instskip(NEXT) | instid1(VALU_DEP_1)
	v_sub_f32_e32 v85, v85, v100
	v_sub_f32_e32 v85, v85, v86
	s_delay_alu instid0(VALU_DEP_1) | instskip(SKIP_1) | instid1(VALU_DEP_1)
	v_dual_sub_f32 v86, v97, v96 :: v_dual_add_f32 v27, v27, v85
	v_add_f32_e32 v85, v98, v87
	v_dual_add_f32 v27, v86, v27 :: v_dual_sub_f32 v86, v85, v98
	s_delay_alu instid0(VALU_DEP_1) | instskip(NEXT) | instid1(VALU_DEP_1)
	v_dual_add_f32 v27, v100, v27 :: v_dual_sub_f32 v86, v87, v86
	v_mul_f32_e32 v27, v84, v27
	s_delay_alu instid0(VALU_DEP_1) | instskip(NEXT) | instid1(VALU_DEP_1)
	v_add_f32_e32 v27, v86, v27
	v_add_f32_e32 v84, v85, v27
	s_delay_alu instid0(VALU_DEP_1) | instskip(NEXT) | instid1(VALU_DEP_1)
	v_mul_f32_e32 v86, v84, v84
	v_fmaak_f32 v87, s17, v86, 0x3ecc95a3
	v_mul_f32_e32 v96, v84, v86
	v_cmp_gt_f32_e64 s17, 0x33800000, |v29|
	s_delay_alu instid0(VALU_DEP_3) | instskip(SKIP_2) | instid1(VALU_DEP_4)
	v_fmaak_f32 v86, v86, v87, 0x3f2aaada
	v_ldexp_f32 v87, v84, 1
	v_sub_f32_e32 v84, v84, v85
	s_or_b32 vcc_lo, vcc_lo, s17
	s_delay_alu instid0(VALU_DEP_3) | instskip(NEXT) | instid1(VALU_DEP_2)
	v_mul_f32_e32 v86, v96, v86
	v_dual_mul_f32 v96, 0x3f317218, v26 :: v_dual_sub_f32 v27, v27, v84
	s_delay_alu instid0(VALU_DEP_2) | instskip(NEXT) | instid1(VALU_DEP_2)
	v_add_f32_e32 v85, v87, v86
	v_ldexp_f32 v27, v27, 1
	s_delay_alu instid0(VALU_DEP_2) | instskip(NEXT) | instid1(VALU_DEP_4)
	v_sub_f32_e32 v84, v85, v87
	v_fma_f32 v87, 0x3f317218, v26, -v96
	s_delay_alu instid0(VALU_DEP_2) | instskip(NEXT) | instid1(VALU_DEP_1)
	v_sub_f32_e32 v84, v86, v84
	v_dual_fmamk_f32 v26, v26, 0xb102e308, v87 :: v_dual_add_f32 v27, v27, v84
	s_delay_alu instid0(VALU_DEP_1) | instskip(NEXT) | instid1(VALU_DEP_2)
	v_add_f32_e32 v84, v96, v26
	v_add_f32_e32 v86, v85, v27
	s_delay_alu instid0(VALU_DEP_2) | instskip(NEXT) | instid1(VALU_DEP_2)
	v_sub_f32_e32 v96, v84, v96
	v_add_f32_e32 v87, v84, v86
	v_sub_f32_e32 v85, v86, v85
	s_delay_alu instid0(VALU_DEP_3) | instskip(NEXT) | instid1(VALU_DEP_3)
	v_sub_f32_e32 v26, v26, v96
	v_sub_f32_e32 v97, v87, v84
	s_delay_alu instid0(VALU_DEP_3) | instskip(NEXT) | instid1(VALU_DEP_2)
	v_sub_f32_e32 v27, v27, v85
	v_sub_f32_e32 v98, v87, v97
	;; [unrolled: 1-line block ×3, first 2 shown]
	s_delay_alu instid0(VALU_DEP_3) | instskip(NEXT) | instid1(VALU_DEP_3)
	v_add_f32_e32 v86, v26, v27
	v_sub_f32_e32 v84, v84, v98
	s_delay_alu instid0(VALU_DEP_1) | instskip(NEXT) | instid1(VALU_DEP_1)
	v_dual_add_f32 v84, v85, v84 :: v_dual_sub_f32 v85, v86, v26
	v_add_f32_e32 v84, v86, v84
	s_delay_alu instid0(VALU_DEP_2) | instskip(SKIP_1) | instid1(VALU_DEP_3)
	v_sub_f32_e32 v86, v86, v85
	v_sub_f32_e32 v27, v27, v85
	v_add_f32_e32 v96, v87, v84
	s_delay_alu instid0(VALU_DEP_1) | instskip(NEXT) | instid1(VALU_DEP_1)
	v_dual_sub_f32 v26, v26, v86 :: v_dual_sub_f32 v85, v96, v87
	v_dual_add_f32 v26, v27, v26 :: v_dual_sub_f32 v27, v84, v85
	s_delay_alu instid0(VALU_DEP_1) | instskip(NEXT) | instid1(VALU_DEP_1)
	v_add_f32_e32 v26, v26, v27
	v_add_f32_e32 v26, v96, v26
	s_delay_alu instid0(VALU_DEP_1) | instskip(NEXT) | instid1(VALU_DEP_1)
	v_cndmask_b32_e32 v26, v26, v29, vcc_lo
	v_add_f32_e32 v26, v28, v26
	s_delay_alu instid0(VALU_DEP_1) | instskip(NEXT) | instid1(VALU_DEP_1)
	v_cvt_f16_f32_e32 v26, v26
	v_cvt_f32_f16_e32 v27, v26
	v_mov_b32_e32 v100, v26
.LBB410_77:
	s_or_b32 exec_lo, exec_lo, s16
	v_cvt_f32_f16_e32 v84, v39
	s_delay_alu instid0(VALU_DEP_3) | instskip(SKIP_2) | instid1(VALU_DEP_3)
	v_max_f32_e32 v28, v27, v27
	v_cmp_u_f16_e32 vcc_lo, v26, v26
	v_cmp_u_f16_e64 s16, v39, v39
	v_min_f32_e32 v29, v28, v84
	s_delay_alu instid0(VALU_DEP_1) | instskip(NEXT) | instid1(VALU_DEP_1)
	v_dual_max_f32 v28, v28, v84 :: v_dual_cndmask_b32 v29, v29, v27
	v_cndmask_b32_e32 v28, v28, v27, vcc_lo
	s_delay_alu instid0(VALU_DEP_2) | instskip(NEXT) | instid1(VALU_DEP_2)
	v_cndmask_b32_e64 v29, v29, v84, s16
	v_cndmask_b32_e64 v28, v28, v84, s16
	s_delay_alu instid0(VALU_DEP_2) | instskip(NEXT) | instid1(VALU_DEP_2)
	v_cmp_class_f32_e64 s17, v29, 0x1f8
	v_cmp_neq_f32_e32 vcc_lo, v29, v28
	s_delay_alu instid0(VALU_DEP_2) | instskip(NEXT) | instid1(SALU_CYCLE_1)
	s_or_b32 s18, vcc_lo, s17
	s_and_saveexec_b32 s17, s18
	s_cbranch_execz .LBB410_79
; %bb.78:
	v_sub_f32_e32 v26, v29, v28
	s_mov_b32 s18, 0x3e9b6dac
	s_delay_alu instid0(VALU_DEP_1) | instskip(NEXT) | instid1(VALU_DEP_1)
	v_mul_f32_e32 v27, 0x3fb8aa3b, v26
	v_fma_f32 v29, 0x3fb8aa3b, v26, -v27
	v_rndne_f32_e32 v85, v27
	s_delay_alu instid0(VALU_DEP_1) | instskip(NEXT) | instid1(VALU_DEP_3)
	v_sub_f32_e32 v27, v27, v85
	v_fmamk_f32 v29, v26, 0x32a5705f, v29
	v_cmp_ngt_f32_e32 vcc_lo, 0xc2ce8ed0, v26
	s_delay_alu instid0(VALU_DEP_2) | instskip(SKIP_1) | instid1(VALU_DEP_2)
	v_add_f32_e32 v27, v27, v29
	v_cvt_i32_f32_e32 v29, v85
	v_exp_f32_e32 v27, v27
	s_waitcnt_depctr 0xfff
	v_ldexp_f32 v27, v27, v29
	s_delay_alu instid0(VALU_DEP_1) | instskip(SKIP_1) | instid1(VALU_DEP_2)
	v_cndmask_b32_e32 v27, 0, v27, vcc_lo
	v_cmp_nlt_f32_e32 vcc_lo, 0x42b17218, v26
	v_cndmask_b32_e32 v29, 0x7f800000, v27, vcc_lo
	s_delay_alu instid0(VALU_DEP_1) | instskip(NEXT) | instid1(VALU_DEP_1)
	v_add_f32_e32 v85, 1.0, v29
	v_cvt_f64_f32_e32 v[26:27], v85
	s_delay_alu instid0(VALU_DEP_1) | instskip(SKIP_1) | instid1(VALU_DEP_1)
	v_frexp_exp_i32_f64_e32 v26, v[26:27]
	v_frexp_mant_f32_e32 v27, v85
	v_cmp_gt_f32_e32 vcc_lo, 0x3f2aaaab, v27
	v_add_f32_e32 v27, -1.0, v85
	s_delay_alu instid0(VALU_DEP_1) | instskip(SKIP_1) | instid1(VALU_DEP_2)
	v_sub_f32_e32 v87, v27, v85
	v_sub_f32_e32 v27, v29, v27
	v_add_f32_e32 v87, 1.0, v87
	s_delay_alu instid0(VALU_DEP_1) | instskip(SKIP_1) | instid1(VALU_DEP_1)
	v_add_f32_e32 v27, v27, v87
	v_subrev_co_ci_u32_e32 v26, vcc_lo, 0, v26, vcc_lo
	v_sub_nc_u32_e32 v86, 0, v26
	v_cvt_f32_i32_e32 v26, v26
	s_delay_alu instid0(VALU_DEP_2) | instskip(SKIP_1) | instid1(VALU_DEP_2)
	v_ldexp_f32 v85, v85, v86
	v_ldexp_f32 v27, v27, v86
	v_add_f32_e32 v96, 1.0, v85
	s_delay_alu instid0(VALU_DEP_1) | instskip(NEXT) | instid1(VALU_DEP_1)
	v_dual_add_f32 v86, -1.0, v85 :: v_dual_add_f32 v87, -1.0, v96
	v_add_f32_e32 v97, 1.0, v86
	s_delay_alu instid0(VALU_DEP_2) | instskip(NEXT) | instid1(VALU_DEP_2)
	v_sub_f32_e32 v87, v85, v87
	v_sub_f32_e32 v85, v85, v97
	s_delay_alu instid0(VALU_DEP_2) | instskip(NEXT) | instid1(VALU_DEP_1)
	v_add_f32_e32 v87, v27, v87
	v_add_f32_e32 v97, v96, v87
	s_delay_alu instid0(VALU_DEP_3) | instskip(NEXT) | instid1(VALU_DEP_2)
	v_add_f32_e32 v27, v27, v85
	v_rcp_f32_e32 v85, v97
	s_delay_alu instid0(VALU_DEP_1) | instskip(SKIP_2) | instid1(VALU_DEP_2)
	v_add_f32_e32 v98, v86, v27
	v_sub_f32_e32 v96, v96, v97
	v_cmp_eq_f32_e32 vcc_lo, 0x7f800000, v29
	v_dual_sub_f32 v86, v86, v98 :: v_dual_add_f32 v87, v87, v96
	s_waitcnt_depctr 0xfff
	v_dual_mul_f32 v100, v98, v85 :: v_dual_add_f32 v27, v27, v86
	s_delay_alu instid0(VALU_DEP_1) | instskip(NEXT) | instid1(VALU_DEP_1)
	v_mul_f32_e32 v101, v97, v100
	v_fma_f32 v96, v100, v97, -v101
	s_delay_alu instid0(VALU_DEP_1) | instskip(NEXT) | instid1(VALU_DEP_1)
	v_fmac_f32_e32 v96, v100, v87
	v_add_f32_e32 v102, v101, v96
	s_delay_alu instid0(VALU_DEP_1) | instskip(SKIP_1) | instid1(VALU_DEP_2)
	v_sub_f32_e32 v103, v98, v102
	v_sub_f32_e32 v86, v102, v101
	;; [unrolled: 1-line block ×3, first 2 shown]
	s_delay_alu instid0(VALU_DEP_2) | instskip(NEXT) | instid1(VALU_DEP_2)
	v_sub_f32_e32 v86, v86, v96
	v_sub_f32_e32 v98, v98, v102
	s_delay_alu instid0(VALU_DEP_1) | instskip(NEXT) | instid1(VALU_DEP_1)
	v_add_f32_e32 v27, v27, v98
	v_add_f32_e32 v27, v86, v27
	s_delay_alu instid0(VALU_DEP_1) | instskip(NEXT) | instid1(VALU_DEP_1)
	v_add_f32_e32 v86, v103, v27
	v_mul_f32_e32 v96, v85, v86
	v_sub_f32_e32 v102, v103, v86
	s_delay_alu instid0(VALU_DEP_1) | instskip(NEXT) | instid1(VALU_DEP_1)
	v_dual_mul_f32 v98, v97, v96 :: v_dual_add_f32 v27, v27, v102
	v_fma_f32 v97, v96, v97, -v98
	s_delay_alu instid0(VALU_DEP_1) | instskip(NEXT) | instid1(VALU_DEP_1)
	v_fmac_f32_e32 v97, v96, v87
	v_add_f32_e32 v87, v98, v97
	s_delay_alu instid0(VALU_DEP_1) | instskip(NEXT) | instid1(VALU_DEP_1)
	v_dual_sub_f32 v101, v86, v87 :: v_dual_sub_f32 v98, v87, v98
	v_sub_f32_e32 v86, v86, v101
	s_delay_alu instid0(VALU_DEP_1) | instskip(NEXT) | instid1(VALU_DEP_3)
	v_sub_f32_e32 v86, v86, v87
	v_sub_f32_e32 v87, v98, v97
	s_delay_alu instid0(VALU_DEP_2) | instskip(NEXT) | instid1(VALU_DEP_1)
	v_dual_add_f32 v27, v27, v86 :: v_dual_add_f32 v86, v100, v96
	v_add_f32_e32 v27, v87, v27
	s_delay_alu instid0(VALU_DEP_2) | instskip(NEXT) | instid1(VALU_DEP_2)
	v_sub_f32_e32 v87, v86, v100
	v_add_f32_e32 v27, v101, v27
	s_delay_alu instid0(VALU_DEP_2) | instskip(NEXT) | instid1(VALU_DEP_2)
	v_sub_f32_e32 v87, v96, v87
	v_mul_f32_e32 v27, v85, v27
	s_delay_alu instid0(VALU_DEP_1) | instskip(NEXT) | instid1(VALU_DEP_1)
	v_add_f32_e32 v27, v87, v27
	v_add_f32_e32 v85, v86, v27
	s_delay_alu instid0(VALU_DEP_1) | instskip(NEXT) | instid1(VALU_DEP_1)
	v_mul_f32_e32 v87, v85, v85
	v_fmaak_f32 v96, s18, v87, 0x3ecc95a3
	v_mul_f32_e32 v97, v85, v87
	v_cmp_gt_f32_e64 s18, 0x33800000, |v29|
	s_delay_alu instid0(VALU_DEP_3) | instskip(SKIP_2) | instid1(VALU_DEP_4)
	v_fmaak_f32 v87, v87, v96, 0x3f2aaada
	v_ldexp_f32 v96, v85, 1
	v_sub_f32_e32 v85, v85, v86
	s_or_b32 vcc_lo, vcc_lo, s18
	s_delay_alu instid0(VALU_DEP_3) | instskip(SKIP_1) | instid1(VALU_DEP_2)
	v_mul_f32_e32 v87, v97, v87
	v_mul_f32_e32 v97, 0x3f317218, v26
	v_dual_sub_f32 v27, v27, v85 :: v_dual_add_f32 v86, v96, v87
	s_delay_alu instid0(VALU_DEP_1) | instskip(NEXT) | instid1(VALU_DEP_2)
	v_ldexp_f32 v27, v27, 1
	v_sub_f32_e32 v85, v86, v96
	s_delay_alu instid0(VALU_DEP_4) | instskip(NEXT) | instid1(VALU_DEP_1)
	v_fma_f32 v96, 0x3f317218, v26, -v97
	v_dual_sub_f32 v85, v87, v85 :: v_dual_fmamk_f32 v26, v26, 0xb102e308, v96
	s_delay_alu instid0(VALU_DEP_1) | instskip(NEXT) | instid1(VALU_DEP_2)
	v_add_f32_e32 v27, v27, v85
	v_add_f32_e32 v85, v97, v26
	s_delay_alu instid0(VALU_DEP_2) | instskip(NEXT) | instid1(VALU_DEP_2)
	v_add_f32_e32 v87, v86, v27
	v_sub_f32_e32 v97, v85, v97
	s_delay_alu instid0(VALU_DEP_2) | instskip(SKIP_1) | instid1(VALU_DEP_3)
	v_add_f32_e32 v96, v85, v87
	v_sub_f32_e32 v86, v87, v86
	v_sub_f32_e32 v26, v26, v97
	s_delay_alu instid0(VALU_DEP_2) | instskip(NEXT) | instid1(VALU_DEP_1)
	v_dual_sub_f32 v98, v96, v85 :: v_dual_sub_f32 v27, v27, v86
	v_sub_f32_e32 v100, v96, v98
	s_delay_alu instid0(VALU_DEP_2) | instskip(NEXT) | instid1(VALU_DEP_2)
	v_dual_sub_f32 v86, v87, v98 :: v_dual_add_f32 v87, v26, v27
	v_sub_f32_e32 v85, v85, v100
	s_delay_alu instid0(VALU_DEP_1) | instskip(NEXT) | instid1(VALU_DEP_1)
	v_dual_add_f32 v85, v86, v85 :: v_dual_sub_f32 v86, v87, v26
	v_add_f32_e32 v85, v87, v85
	s_delay_alu instid0(VALU_DEP_2) | instskip(SKIP_1) | instid1(VALU_DEP_2)
	v_sub_f32_e32 v87, v87, v86
	v_sub_f32_e32 v27, v27, v86
	v_dual_add_f32 v97, v96, v85 :: v_dual_sub_f32 v26, v26, v87
	s_delay_alu instid0(VALU_DEP_1) | instskip(NEXT) | instid1(VALU_DEP_2)
	v_sub_f32_e32 v86, v97, v96
	v_add_f32_e32 v26, v27, v26
	s_delay_alu instid0(VALU_DEP_2) | instskip(NEXT) | instid1(VALU_DEP_1)
	v_sub_f32_e32 v27, v85, v86
	v_add_f32_e32 v26, v26, v27
	s_delay_alu instid0(VALU_DEP_1) | instskip(NEXT) | instid1(VALU_DEP_1)
	v_add_f32_e32 v26, v97, v26
	v_cndmask_b32_e32 v26, v26, v29, vcc_lo
	s_delay_alu instid0(VALU_DEP_1) | instskip(NEXT) | instid1(VALU_DEP_1)
	v_add_f32_e32 v26, v28, v26
	v_cvt_f16_f32_e32 v26, v26
	s_delay_alu instid0(VALU_DEP_1)
	v_cvt_f32_f16_e32 v27, v26
	v_mov_b32_e32 v100, v26
.LBB410_79:
	s_or_b32 exec_lo, exec_lo, s17
	v_cvt_f32_f16_e32 v85, v18
	s_delay_alu instid0(VALU_DEP_3) | instskip(SKIP_2) | instid1(VALU_DEP_3)
	v_max_f32_e32 v28, v27, v27
	v_cmp_u_f16_e32 vcc_lo, v26, v26
	v_cmp_u_f16_e64 s17, v18, v18
	v_min_f32_e32 v29, v28, v85
	s_delay_alu instid0(VALU_DEP_1) | instskip(NEXT) | instid1(VALU_DEP_1)
	v_dual_max_f32 v28, v28, v85 :: v_dual_cndmask_b32 v29, v29, v27
	v_cndmask_b32_e32 v28, v28, v27, vcc_lo
	s_delay_alu instid0(VALU_DEP_2) | instskip(NEXT) | instid1(VALU_DEP_2)
	v_cndmask_b32_e64 v29, v29, v85, s17
	v_cndmask_b32_e64 v28, v28, v85, s17
	s_delay_alu instid0(VALU_DEP_2) | instskip(NEXT) | instid1(VALU_DEP_2)
	v_cmp_class_f32_e64 s18, v29, 0x1f8
	v_cmp_neq_f32_e32 vcc_lo, v29, v28
	s_delay_alu instid0(VALU_DEP_2) | instskip(NEXT) | instid1(SALU_CYCLE_1)
	s_or_b32 s19, vcc_lo, s18
	s_and_saveexec_b32 s18, s19
	s_cbranch_execz .LBB410_81
; %bb.80:
	v_sub_f32_e32 v26, v29, v28
	s_mov_b32 s19, 0x3e9b6dac
	s_delay_alu instid0(VALU_DEP_1) | instskip(NEXT) | instid1(VALU_DEP_1)
	v_mul_f32_e32 v27, 0x3fb8aa3b, v26
	v_fma_f32 v29, 0x3fb8aa3b, v26, -v27
	v_rndne_f32_e32 v86, v27
	s_delay_alu instid0(VALU_DEP_1) | instskip(NEXT) | instid1(VALU_DEP_3)
	v_sub_f32_e32 v27, v27, v86
	v_fmamk_f32 v29, v26, 0x32a5705f, v29
	v_cmp_ngt_f32_e32 vcc_lo, 0xc2ce8ed0, v26
	s_delay_alu instid0(VALU_DEP_2) | instskip(SKIP_1) | instid1(VALU_DEP_2)
	v_add_f32_e32 v27, v27, v29
	v_cvt_i32_f32_e32 v29, v86
	v_exp_f32_e32 v27, v27
	s_waitcnt_depctr 0xfff
	v_ldexp_f32 v27, v27, v29
	s_delay_alu instid0(VALU_DEP_1) | instskip(SKIP_1) | instid1(VALU_DEP_2)
	v_cndmask_b32_e32 v27, 0, v27, vcc_lo
	v_cmp_nlt_f32_e32 vcc_lo, 0x42b17218, v26
	v_cndmask_b32_e32 v29, 0x7f800000, v27, vcc_lo
	s_delay_alu instid0(VALU_DEP_1) | instskip(NEXT) | instid1(VALU_DEP_1)
	v_add_f32_e32 v86, 1.0, v29
	v_cvt_f64_f32_e32 v[26:27], v86
	s_delay_alu instid0(VALU_DEP_1) | instskip(SKIP_1) | instid1(VALU_DEP_1)
	v_frexp_exp_i32_f64_e32 v26, v[26:27]
	v_frexp_mant_f32_e32 v27, v86
	v_cmp_gt_f32_e32 vcc_lo, 0x3f2aaaab, v27
	v_add_f32_e32 v27, -1.0, v86
	s_delay_alu instid0(VALU_DEP_1) | instskip(NEXT) | instid1(VALU_DEP_1)
	v_sub_f32_e32 v96, v27, v86
	v_add_f32_e32 v96, 1.0, v96
	v_subrev_co_ci_u32_e32 v26, vcc_lo, 0, v26, vcc_lo
	s_delay_alu instid0(VALU_DEP_1) | instskip(SKIP_1) | instid1(VALU_DEP_2)
	v_sub_nc_u32_e32 v87, 0, v26
	v_cvt_f32_i32_e32 v26, v26
	v_ldexp_f32 v86, v86, v87
	v_sub_f32_e32 v27, v29, v27
	s_delay_alu instid0(VALU_DEP_1) | instskip(NEXT) | instid1(VALU_DEP_1)
	v_add_f32_e32 v27, v27, v96
	v_ldexp_f32 v27, v27, v87
	s_delay_alu instid0(VALU_DEP_4) | instskip(NEXT) | instid1(VALU_DEP_1)
	v_add_f32_e32 v97, 1.0, v86
	v_add_f32_e32 v96, -1.0, v97
	s_delay_alu instid0(VALU_DEP_1) | instskip(SKIP_1) | instid1(VALU_DEP_2)
	v_sub_f32_e32 v96, v86, v96
	v_cmp_eq_f32_e32 vcc_lo, 0x7f800000, v29
	v_dual_add_f32 v96, v27, v96 :: v_dual_add_f32 v87, -1.0, v86
	s_delay_alu instid0(VALU_DEP_1) | instskip(NEXT) | instid1(VALU_DEP_1)
	v_add_f32_e32 v98, 1.0, v87
	v_sub_f32_e32 v86, v86, v98
	s_delay_alu instid0(VALU_DEP_3) | instskip(NEXT) | instid1(VALU_DEP_1)
	v_add_f32_e32 v98, v97, v96
	v_sub_f32_e32 v97, v97, v98
	s_delay_alu instid0(VALU_DEP_3) | instskip(SKIP_1) | instid1(VALU_DEP_2)
	v_add_f32_e32 v27, v27, v86
	v_rcp_f32_e32 v86, v98
	v_add_f32_e32 v96, v96, v97
	s_delay_alu instid0(VALU_DEP_2) | instskip(SKIP_2) | instid1(VALU_DEP_1)
	v_add_f32_e32 v100, v87, v27
	s_waitcnt_depctr 0xfff
	v_mul_f32_e32 v101, v100, v86
	v_mul_f32_e32 v102, v98, v101
	s_delay_alu instid0(VALU_DEP_1) | instskip(NEXT) | instid1(VALU_DEP_1)
	v_fma_f32 v97, v101, v98, -v102
	v_fmac_f32_e32 v97, v101, v96
	s_delay_alu instid0(VALU_DEP_1) | instskip(NEXT) | instid1(VALU_DEP_1)
	v_add_f32_e32 v103, v102, v97
	v_dual_sub_f32 v87, v87, v100 :: v_dual_sub_f32 v112, v100, v103
	s_delay_alu instid0(VALU_DEP_1) | instskip(NEXT) | instid1(VALU_DEP_1)
	v_sub_f32_e32 v100, v100, v112
	v_sub_f32_e32 v100, v100, v103
	s_delay_alu instid0(VALU_DEP_3) | instskip(SKIP_1) | instid1(VALU_DEP_2)
	v_add_f32_e32 v27, v27, v87
	v_sub_f32_e32 v87, v103, v102
	v_add_f32_e32 v27, v27, v100
	s_delay_alu instid0(VALU_DEP_2) | instskip(NEXT) | instid1(VALU_DEP_1)
	v_sub_f32_e32 v87, v87, v97
	v_add_f32_e32 v27, v87, v27
	s_delay_alu instid0(VALU_DEP_1) | instskip(NEXT) | instid1(VALU_DEP_1)
	v_add_f32_e32 v87, v112, v27
	v_mul_f32_e32 v97, v86, v87
	s_delay_alu instid0(VALU_DEP_1) | instskip(NEXT) | instid1(VALU_DEP_1)
	v_dual_mul_f32 v100, v98, v97 :: v_dual_sub_f32 v103, v112, v87
	v_fma_f32 v98, v97, v98, -v100
	s_delay_alu instid0(VALU_DEP_1) | instskip(NEXT) | instid1(VALU_DEP_1)
	v_dual_add_f32 v27, v27, v103 :: v_dual_fmac_f32 v98, v97, v96
	v_add_f32_e32 v96, v100, v98
	s_delay_alu instid0(VALU_DEP_1) | instskip(NEXT) | instid1(VALU_DEP_1)
	v_sub_f32_e32 v102, v87, v96
	v_dual_sub_f32 v100, v96, v100 :: v_dual_sub_f32 v87, v87, v102
	s_delay_alu instid0(VALU_DEP_1) | instskip(NEXT) | instid1(VALU_DEP_1)
	v_dual_sub_f32 v87, v87, v96 :: v_dual_sub_f32 v96, v100, v98
	v_add_f32_e32 v27, v27, v87
	v_add_f32_e32 v87, v101, v97
	s_delay_alu instid0(VALU_DEP_1) | instskip(NEXT) | instid1(VALU_DEP_1)
	v_dual_add_f32 v27, v96, v27 :: v_dual_sub_f32 v96, v87, v101
	v_dual_add_f32 v27, v102, v27 :: v_dual_sub_f32 v96, v97, v96
	s_delay_alu instid0(VALU_DEP_1) | instskip(NEXT) | instid1(VALU_DEP_1)
	v_mul_f32_e32 v27, v86, v27
	v_add_f32_e32 v27, v96, v27
	s_delay_alu instid0(VALU_DEP_1) | instskip(NEXT) | instid1(VALU_DEP_1)
	v_add_f32_e32 v86, v87, v27
	v_mul_f32_e32 v96, v86, v86
	s_delay_alu instid0(VALU_DEP_1) | instskip(SKIP_2) | instid1(VALU_DEP_3)
	v_fmaak_f32 v97, s19, v96, 0x3ecc95a3
	v_mul_f32_e32 v98, v86, v96
	v_cmp_gt_f32_e64 s19, 0x33800000, |v29|
	v_fmaak_f32 v96, v96, v97, 0x3f2aaada
	v_ldexp_f32 v97, v86, 1
	s_delay_alu instid0(VALU_DEP_3) | instskip(NEXT) | instid1(VALU_DEP_2)
	s_or_b32 vcc_lo, vcc_lo, s19
	v_mul_f32_e32 v96, v98, v96
	v_sub_f32_e32 v86, v86, v87
	s_delay_alu instid0(VALU_DEP_2) | instskip(NEXT) | instid1(VALU_DEP_2)
	v_dual_mul_f32 v98, 0x3f317218, v26 :: v_dual_add_f32 v87, v97, v96
	v_sub_f32_e32 v27, v27, v86
	s_delay_alu instid0(VALU_DEP_2) | instskip(NEXT) | instid1(VALU_DEP_3)
	v_sub_f32_e32 v86, v87, v97
	v_fma_f32 v97, 0x3f317218, v26, -v98
	s_delay_alu instid0(VALU_DEP_3) | instskip(NEXT) | instid1(VALU_DEP_3)
	v_ldexp_f32 v27, v27, 1
	v_sub_f32_e32 v86, v96, v86
	s_delay_alu instid0(VALU_DEP_1) | instskip(NEXT) | instid1(VALU_DEP_1)
	v_dual_fmamk_f32 v26, v26, 0xb102e308, v97 :: v_dual_add_f32 v27, v27, v86
	v_add_f32_e32 v96, v87, v27
	s_delay_alu instid0(VALU_DEP_1) | instskip(NEXT) | instid1(VALU_DEP_1)
	v_dual_add_f32 v86, v98, v26 :: v_dual_sub_f32 v87, v96, v87
	v_add_f32_e32 v97, v86, v96
	s_delay_alu instid0(VALU_DEP_2) | instskip(NEXT) | instid1(VALU_DEP_2)
	v_dual_sub_f32 v98, v86, v98 :: v_dual_sub_f32 v27, v27, v87
	v_sub_f32_e32 v100, v97, v86
	s_delay_alu instid0(VALU_DEP_1) | instskip(NEXT) | instid1(VALU_DEP_1)
	v_dual_sub_f32 v101, v97, v100 :: v_dual_sub_f32 v26, v26, v98
	v_dual_sub_f32 v87, v96, v100 :: v_dual_sub_f32 v86, v86, v101
	s_delay_alu instid0(VALU_DEP_2) | instskip(NEXT) | instid1(VALU_DEP_2)
	v_add_f32_e32 v96, v26, v27
	v_add_f32_e32 v86, v87, v86
	s_delay_alu instid0(VALU_DEP_2) | instskip(NEXT) | instid1(VALU_DEP_2)
	v_sub_f32_e32 v87, v96, v26
	v_add_f32_e32 v86, v96, v86
	s_delay_alu instid0(VALU_DEP_2) | instskip(NEXT) | instid1(VALU_DEP_1)
	v_sub_f32_e32 v96, v96, v87
	v_sub_f32_e32 v26, v26, v96
	s_delay_alu instid0(VALU_DEP_3) | instskip(NEXT) | instid1(VALU_DEP_1)
	v_dual_add_f32 v98, v97, v86 :: v_dual_sub_f32 v27, v27, v87
	v_dual_sub_f32 v87, v98, v97 :: v_dual_add_f32 v26, v27, v26
	s_delay_alu instid0(VALU_DEP_1) | instskip(NEXT) | instid1(VALU_DEP_1)
	v_sub_f32_e32 v27, v86, v87
	v_add_f32_e32 v26, v26, v27
	s_delay_alu instid0(VALU_DEP_1) | instskip(NEXT) | instid1(VALU_DEP_1)
	v_add_f32_e32 v26, v98, v26
	v_cndmask_b32_e32 v26, v26, v29, vcc_lo
	s_delay_alu instid0(VALU_DEP_1) | instskip(NEXT) | instid1(VALU_DEP_1)
	v_add_f32_e32 v26, v28, v26
	v_cvt_f16_f32_e32 v26, v26
	s_delay_alu instid0(VALU_DEP_1)
	v_cvt_f32_f16_e32 v27, v26
	v_mov_b32_e32 v100, v26
.LBB410_81:
	s_or_b32 exec_lo, exec_lo, s18
	v_cvt_f32_f16_e32 v86, v38
	s_delay_alu instid0(VALU_DEP_3) | instskip(SKIP_2) | instid1(VALU_DEP_3)
	v_max_f32_e32 v28, v27, v27
	v_cmp_u_f16_e32 vcc_lo, v26, v26
	v_cmp_u_f16_e64 s18, v38, v38
	v_min_f32_e32 v29, v28, v86
	s_delay_alu instid0(VALU_DEP_1) | instskip(NEXT) | instid1(VALU_DEP_1)
	v_dual_max_f32 v28, v28, v86 :: v_dual_cndmask_b32 v29, v29, v27
	v_cndmask_b32_e32 v28, v28, v27, vcc_lo
	s_delay_alu instid0(VALU_DEP_2) | instskip(NEXT) | instid1(VALU_DEP_2)
	v_cndmask_b32_e64 v29, v29, v86, s18
	v_cndmask_b32_e64 v28, v28, v86, s18
	s_delay_alu instid0(VALU_DEP_2) | instskip(NEXT) | instid1(VALU_DEP_2)
	v_cmp_class_f32_e64 s19, v29, 0x1f8
	v_cmp_neq_f32_e32 vcc_lo, v29, v28
	s_delay_alu instid0(VALU_DEP_2) | instskip(NEXT) | instid1(SALU_CYCLE_1)
	s_or_b32 s20, vcc_lo, s19
	s_and_saveexec_b32 s19, s20
	s_cbranch_execz .LBB410_83
; %bb.82:
	v_sub_f32_e32 v26, v29, v28
	s_mov_b32 s20, 0x3e9b6dac
	s_delay_alu instid0(VALU_DEP_1) | instskip(NEXT) | instid1(VALU_DEP_1)
	v_mul_f32_e32 v27, 0x3fb8aa3b, v26
	v_fma_f32 v29, 0x3fb8aa3b, v26, -v27
	v_rndne_f32_e32 v87, v27
	s_delay_alu instid0(VALU_DEP_1) | instskip(NEXT) | instid1(VALU_DEP_3)
	v_sub_f32_e32 v27, v27, v87
	v_fmamk_f32 v29, v26, 0x32a5705f, v29
	v_cmp_ngt_f32_e32 vcc_lo, 0xc2ce8ed0, v26
	s_delay_alu instid0(VALU_DEP_2) | instskip(SKIP_1) | instid1(VALU_DEP_2)
	v_add_f32_e32 v27, v27, v29
	v_cvt_i32_f32_e32 v29, v87
	v_exp_f32_e32 v27, v27
	s_waitcnt_depctr 0xfff
	v_ldexp_f32 v27, v27, v29
	s_delay_alu instid0(VALU_DEP_1) | instskip(SKIP_1) | instid1(VALU_DEP_2)
	v_cndmask_b32_e32 v27, 0, v27, vcc_lo
	v_cmp_nlt_f32_e32 vcc_lo, 0x42b17218, v26
	v_cndmask_b32_e32 v29, 0x7f800000, v27, vcc_lo
	s_delay_alu instid0(VALU_DEP_1) | instskip(NEXT) | instid1(VALU_DEP_1)
	v_add_f32_e32 v87, 1.0, v29
	v_cvt_f64_f32_e32 v[26:27], v87
	s_delay_alu instid0(VALU_DEP_1) | instskip(SKIP_1) | instid1(VALU_DEP_1)
	v_frexp_exp_i32_f64_e32 v26, v[26:27]
	v_frexp_mant_f32_e32 v27, v87
	v_cmp_gt_f32_e32 vcc_lo, 0x3f2aaaab, v27
	v_add_f32_e32 v27, -1.0, v87
	s_delay_alu instid0(VALU_DEP_1) | instskip(SKIP_1) | instid1(VALU_DEP_2)
	v_sub_f32_e32 v97, v27, v87
	v_sub_f32_e32 v27, v29, v27
	v_add_f32_e32 v97, 1.0, v97
	s_delay_alu instid0(VALU_DEP_1) | instskip(SKIP_1) | instid1(VALU_DEP_1)
	v_add_f32_e32 v27, v27, v97
	v_subrev_co_ci_u32_e32 v26, vcc_lo, 0, v26, vcc_lo
	v_sub_nc_u32_e32 v96, 0, v26
	v_cvt_f32_i32_e32 v26, v26
	s_delay_alu instid0(VALU_DEP_2) | instskip(SKIP_1) | instid1(VALU_DEP_2)
	v_ldexp_f32 v87, v87, v96
	v_ldexp_f32 v27, v27, v96
	v_add_f32_e32 v98, 1.0, v87
	s_delay_alu instid0(VALU_DEP_1) | instskip(NEXT) | instid1(VALU_DEP_1)
	v_dual_add_f32 v96, -1.0, v87 :: v_dual_add_f32 v97, -1.0, v98
	v_dual_add_f32 v100, 1.0, v96 :: v_dual_sub_f32 v97, v87, v97
	s_delay_alu instid0(VALU_DEP_1) | instskip(NEXT) | instid1(VALU_DEP_2)
	v_sub_f32_e32 v87, v87, v100
	v_add_f32_e32 v97, v27, v97
	s_delay_alu instid0(VALU_DEP_1) | instskip(NEXT) | instid1(VALU_DEP_1)
	v_dual_add_f32 v27, v27, v87 :: v_dual_add_f32 v100, v98, v97
	v_rcp_f32_e32 v87, v100
	s_delay_alu instid0(VALU_DEP_1) | instskip(SKIP_1) | instid1(VALU_DEP_2)
	v_dual_add_f32 v101, v96, v27 :: v_dual_sub_f32 v98, v98, v100
	v_cmp_eq_f32_e32 vcc_lo, 0x7f800000, v29
	v_dual_sub_f32 v96, v96, v101 :: v_dual_add_f32 v97, v97, v98
	s_waitcnt_depctr 0xfff
	v_dual_mul_f32 v102, v101, v87 :: v_dual_add_f32 v27, v27, v96
	s_delay_alu instid0(VALU_DEP_1) | instskip(NEXT) | instid1(VALU_DEP_1)
	v_mul_f32_e32 v103, v100, v102
	v_fma_f32 v98, v102, v100, -v103
	s_delay_alu instid0(VALU_DEP_1) | instskip(NEXT) | instid1(VALU_DEP_1)
	v_fmac_f32_e32 v98, v102, v97
	v_add_f32_e32 v112, v103, v98
	s_delay_alu instid0(VALU_DEP_1) | instskip(NEXT) | instid1(VALU_DEP_1)
	v_dual_sub_f32 v113, v101, v112 :: v_dual_sub_f32 v96, v112, v103
	v_dual_sub_f32 v101, v101, v113 :: v_dual_sub_f32 v96, v96, v98
	s_delay_alu instid0(VALU_DEP_1) | instskip(NEXT) | instid1(VALU_DEP_1)
	v_sub_f32_e32 v101, v101, v112
	v_add_f32_e32 v27, v27, v101
	s_delay_alu instid0(VALU_DEP_1) | instskip(NEXT) | instid1(VALU_DEP_1)
	v_add_f32_e32 v27, v96, v27
	v_add_f32_e32 v96, v113, v27
	s_delay_alu instid0(VALU_DEP_1) | instskip(NEXT) | instid1(VALU_DEP_1)
	v_mul_f32_e32 v98, v87, v96
	v_dual_sub_f32 v112, v113, v96 :: v_dual_mul_f32 v101, v100, v98
	s_delay_alu instid0(VALU_DEP_1) | instskip(NEXT) | instid1(VALU_DEP_2)
	v_add_f32_e32 v27, v27, v112
	v_fma_f32 v100, v98, v100, -v101
	s_delay_alu instid0(VALU_DEP_1) | instskip(NEXT) | instid1(VALU_DEP_1)
	v_fmac_f32_e32 v100, v98, v97
	v_add_f32_e32 v97, v101, v100
	s_delay_alu instid0(VALU_DEP_1) | instskip(NEXT) | instid1(VALU_DEP_1)
	v_sub_f32_e32 v103, v96, v97
	v_dual_sub_f32 v101, v97, v101 :: v_dual_sub_f32 v96, v96, v103
	s_delay_alu instid0(VALU_DEP_1) | instskip(NEXT) | instid1(VALU_DEP_1)
	v_dual_sub_f32 v96, v96, v97 :: v_dual_sub_f32 v97, v101, v100
	v_dual_add_f32 v27, v27, v96 :: v_dual_add_f32 v96, v102, v98
	s_delay_alu instid0(VALU_DEP_1) | instskip(NEXT) | instid1(VALU_DEP_2)
	v_add_f32_e32 v27, v97, v27
	v_sub_f32_e32 v97, v96, v102
	s_delay_alu instid0(VALU_DEP_2) | instskip(NEXT) | instid1(VALU_DEP_2)
	v_add_f32_e32 v27, v103, v27
	v_sub_f32_e32 v97, v98, v97
	s_delay_alu instid0(VALU_DEP_2) | instskip(NEXT) | instid1(VALU_DEP_1)
	v_mul_f32_e32 v27, v87, v27
	v_add_f32_e32 v27, v97, v27
	s_delay_alu instid0(VALU_DEP_1) | instskip(NEXT) | instid1(VALU_DEP_1)
	v_add_f32_e32 v87, v96, v27
	v_mul_f32_e32 v97, v87, v87
	s_delay_alu instid0(VALU_DEP_1) | instskip(SKIP_2) | instid1(VALU_DEP_3)
	v_fmaak_f32 v98, s20, v97, 0x3ecc95a3
	v_mul_f32_e32 v100, v87, v97
	v_cmp_gt_f32_e64 s20, 0x33800000, |v29|
	v_fmaak_f32 v97, v97, v98, 0x3f2aaada
	v_ldexp_f32 v98, v87, 1
	v_sub_f32_e32 v87, v87, v96
	s_delay_alu instid0(VALU_DEP_4) | instskip(NEXT) | instid1(VALU_DEP_3)
	s_or_b32 vcc_lo, vcc_lo, s20
	v_dual_mul_f32 v97, v100, v97 :: v_dual_mul_f32 v100, 0x3f317218, v26
	s_delay_alu instid0(VALU_DEP_1) | instskip(NEXT) | instid1(VALU_DEP_1)
	v_dual_sub_f32 v27, v27, v87 :: v_dual_add_f32 v96, v98, v97
	v_ldexp_f32 v27, v27, 1
	s_delay_alu instid0(VALU_DEP_2) | instskip(NEXT) | instid1(VALU_DEP_4)
	v_sub_f32_e32 v87, v96, v98
	v_fma_f32 v98, 0x3f317218, v26, -v100
	s_delay_alu instid0(VALU_DEP_1) | instskip(NEXT) | instid1(VALU_DEP_1)
	v_dual_sub_f32 v87, v97, v87 :: v_dual_fmamk_f32 v26, v26, 0xb102e308, v98
	v_add_f32_e32 v27, v27, v87
	s_delay_alu instid0(VALU_DEP_2) | instskip(NEXT) | instid1(VALU_DEP_1)
	v_add_f32_e32 v87, v100, v26
	v_dual_add_f32 v97, v96, v27 :: v_dual_sub_f32 v100, v87, v100
	s_delay_alu instid0(VALU_DEP_1) | instskip(SKIP_1) | instid1(VALU_DEP_3)
	v_add_f32_e32 v98, v87, v97
	v_sub_f32_e32 v96, v97, v96
	v_sub_f32_e32 v26, v26, v100
	s_delay_alu instid0(VALU_DEP_3) | instskip(NEXT) | instid1(VALU_DEP_1)
	v_sub_f32_e32 v101, v98, v87
	v_dual_sub_f32 v27, v27, v96 :: v_dual_sub_f32 v102, v98, v101
	s_delay_alu instid0(VALU_DEP_1) | instskip(NEXT) | instid1(VALU_DEP_2)
	v_dual_sub_f32 v96, v97, v101 :: v_dual_add_f32 v97, v26, v27
	v_sub_f32_e32 v87, v87, v102
	s_delay_alu instid0(VALU_DEP_1) | instskip(NEXT) | instid1(VALU_DEP_1)
	v_dual_add_f32 v87, v96, v87 :: v_dual_sub_f32 v96, v97, v26
	v_add_f32_e32 v87, v97, v87
	s_delay_alu instid0(VALU_DEP_2) | instskip(NEXT) | instid1(VALU_DEP_2)
	v_sub_f32_e32 v97, v97, v96
	v_dual_sub_f32 v27, v27, v96 :: v_dual_add_f32 v100, v98, v87
	s_delay_alu instid0(VALU_DEP_2) | instskip(NEXT) | instid1(VALU_DEP_2)
	v_sub_f32_e32 v26, v26, v97
	v_sub_f32_e32 v96, v100, v98
	s_delay_alu instid0(VALU_DEP_2) | instskip(NEXT) | instid1(VALU_DEP_2)
	v_add_f32_e32 v26, v27, v26
	v_sub_f32_e32 v27, v87, v96
	s_delay_alu instid0(VALU_DEP_1) | instskip(NEXT) | instid1(VALU_DEP_1)
	v_add_f32_e32 v26, v26, v27
	v_add_f32_e32 v26, v100, v26
	s_delay_alu instid0(VALU_DEP_1) | instskip(NEXT) | instid1(VALU_DEP_1)
	v_cndmask_b32_e32 v26, v26, v29, vcc_lo
	v_add_f32_e32 v26, v28, v26
	s_delay_alu instid0(VALU_DEP_1) | instskip(NEXT) | instid1(VALU_DEP_1)
	v_cvt_f16_f32_e32 v26, v26
	v_mov_b32_e32 v100, v26
	v_cvt_f32_f16_e32 v27, v26
.LBB410_83:
	s_or_b32 exec_lo, exec_lo, s19
	v_cvt_f32_f16_e32 v87, v19
	s_delay_alu instid0(VALU_DEP_2) | instskip(SKIP_2) | instid1(VALU_DEP_3)
	v_max_f32_e32 v28, v27, v27
	v_cmp_u_f16_e32 vcc_lo, v26, v26
	v_cmp_u_f16_e64 s19, v19, v19
	v_min_f32_e32 v29, v28, v87
	v_max_f32_e32 v28, v28, v87
	s_delay_alu instid0(VALU_DEP_2) | instskip(NEXT) | instid1(VALU_DEP_2)
	v_cndmask_b32_e32 v29, v29, v27, vcc_lo
	v_cndmask_b32_e32 v28, v28, v27, vcc_lo
	s_delay_alu instid0(VALU_DEP_2) | instskip(NEXT) | instid1(VALU_DEP_2)
	v_cndmask_b32_e64 v29, v29, v87, s19
	v_cndmask_b32_e64 v28, v28, v87, s19
	s_delay_alu instid0(VALU_DEP_2) | instskip(NEXT) | instid1(VALU_DEP_2)
	v_cmp_class_f32_e64 s20, v29, 0x1f8
	v_cmp_neq_f32_e32 vcc_lo, v29, v28
	s_delay_alu instid0(VALU_DEP_2) | instskip(NEXT) | instid1(SALU_CYCLE_1)
	s_or_b32 s21, vcc_lo, s20
	s_and_saveexec_b32 s20, s21
	s_cbranch_execz .LBB410_85
; %bb.84:
	v_sub_f32_e32 v26, v29, v28
	s_mov_b32 s21, 0x3e9b6dac
	s_delay_alu instid0(VALU_DEP_1) | instskip(NEXT) | instid1(VALU_DEP_1)
	v_mul_f32_e32 v27, 0x3fb8aa3b, v26
	v_fma_f32 v29, 0x3fb8aa3b, v26, -v27
	v_rndne_f32_e32 v96, v27
	s_delay_alu instid0(VALU_DEP_2) | instskip(NEXT) | instid1(VALU_DEP_2)
	v_fmamk_f32 v29, v26, 0x32a5705f, v29
	v_sub_f32_e32 v27, v27, v96
	s_delay_alu instid0(VALU_DEP_1) | instskip(SKIP_2) | instid1(VALU_DEP_3)
	v_add_f32_e32 v27, v27, v29
	v_cvt_i32_f32_e32 v29, v96
	v_cmp_ngt_f32_e32 vcc_lo, 0xc2ce8ed0, v26
	v_exp_f32_e32 v27, v27
	s_waitcnt_depctr 0xfff
	v_ldexp_f32 v27, v27, v29
	s_delay_alu instid0(VALU_DEP_1) | instskip(SKIP_1) | instid1(VALU_DEP_2)
	v_cndmask_b32_e32 v27, 0, v27, vcc_lo
	v_cmp_nlt_f32_e32 vcc_lo, 0x42b17218, v26
	v_cndmask_b32_e32 v29, 0x7f800000, v27, vcc_lo
	s_delay_alu instid0(VALU_DEP_1) | instskip(NEXT) | instid1(VALU_DEP_1)
	v_add_f32_e32 v96, 1.0, v29
	v_cvt_f64_f32_e32 v[26:27], v96
	s_delay_alu instid0(VALU_DEP_1) | instskip(SKIP_1) | instid1(VALU_DEP_1)
	v_frexp_exp_i32_f64_e32 v26, v[26:27]
	v_frexp_mant_f32_e32 v27, v96
	v_cmp_gt_f32_e32 vcc_lo, 0x3f2aaaab, v27
	v_add_f32_e32 v27, -1.0, v96
	s_delay_alu instid0(VALU_DEP_1) | instskip(NEXT) | instid1(VALU_DEP_1)
	v_sub_f32_e32 v98, v27, v96
	v_add_f32_e32 v98, 1.0, v98
	v_subrev_co_ci_u32_e32 v26, vcc_lo, 0, v26, vcc_lo
	s_delay_alu instid0(VALU_DEP_1) | instskip(SKIP_1) | instid1(VALU_DEP_2)
	v_sub_nc_u32_e32 v97, 0, v26
	v_cvt_f32_i32_e32 v26, v26
	v_ldexp_f32 v96, v96, v97
	s_delay_alu instid0(VALU_DEP_1) | instskip(NEXT) | instid1(VALU_DEP_1)
	v_dual_sub_f32 v27, v29, v27 :: v_dual_add_f32 v100, 1.0, v96
	v_dual_add_f32 v27, v27, v98 :: v_dual_add_f32 v98, -1.0, v100
	s_delay_alu instid0(VALU_DEP_1) | instskip(SKIP_1) | instid1(VALU_DEP_3)
	v_ldexp_f32 v27, v27, v97
	v_cmp_eq_f32_e32 vcc_lo, 0x7f800000, v29
	v_dual_sub_f32 v98, v96, v98 :: v_dual_add_f32 v97, -1.0, v96
	s_delay_alu instid0(VALU_DEP_1) | instskip(NEXT) | instid1(VALU_DEP_1)
	v_dual_add_f32 v98, v27, v98 :: v_dual_add_f32 v101, 1.0, v97
	v_sub_f32_e32 v96, v96, v101
	s_delay_alu instid0(VALU_DEP_2) | instskip(NEXT) | instid1(VALU_DEP_1)
	v_add_f32_e32 v101, v100, v98
	v_sub_f32_e32 v100, v100, v101
	s_delay_alu instid0(VALU_DEP_1) | instskip(NEXT) | instid1(VALU_DEP_4)
	v_add_f32_e32 v98, v98, v100
	v_add_f32_e32 v27, v27, v96
	v_rcp_f32_e32 v96, v101
	s_delay_alu instid0(VALU_DEP_1) | instskip(NEXT) | instid1(VALU_DEP_1)
	v_add_f32_e32 v102, v97, v27
	v_sub_f32_e32 v97, v97, v102
	s_waitcnt_depctr 0xfff
	v_mul_f32_e32 v103, v102, v96
	s_delay_alu instid0(VALU_DEP_1) | instskip(NEXT) | instid1(VALU_DEP_1)
	v_dual_mul_f32 v112, v101, v103 :: v_dual_add_f32 v27, v27, v97
	v_fma_f32 v100, v103, v101, -v112
	s_delay_alu instid0(VALU_DEP_1) | instskip(NEXT) | instid1(VALU_DEP_1)
	v_fmac_f32_e32 v100, v103, v98
	v_add_f32_e32 v113, v112, v100
	s_delay_alu instid0(VALU_DEP_1) | instskip(NEXT) | instid1(VALU_DEP_1)
	v_sub_f32_e32 v114, v102, v113
	v_dual_sub_f32 v102, v102, v114 :: v_dual_sub_f32 v97, v113, v112
	s_delay_alu instid0(VALU_DEP_1) | instskip(NEXT) | instid1(VALU_DEP_1)
	v_dual_sub_f32 v102, v102, v113 :: v_dual_sub_f32 v97, v97, v100
	v_add_f32_e32 v27, v27, v102
	s_delay_alu instid0(VALU_DEP_1) | instskip(NEXT) | instid1(VALU_DEP_1)
	v_add_f32_e32 v27, v97, v27
	v_add_f32_e32 v97, v114, v27
	s_delay_alu instid0(VALU_DEP_1) | instskip(NEXT) | instid1(VALU_DEP_1)
	v_mul_f32_e32 v100, v96, v97
	v_dual_sub_f32 v113, v114, v97 :: v_dual_mul_f32 v102, v101, v100
	s_delay_alu instid0(VALU_DEP_1) | instskip(NEXT) | instid1(VALU_DEP_1)
	v_fma_f32 v101, v100, v101, -v102
	v_fmac_f32_e32 v101, v100, v98
	s_delay_alu instid0(VALU_DEP_1) | instskip(NEXT) | instid1(VALU_DEP_1)
	v_add_f32_e32 v98, v102, v101
	v_sub_f32_e32 v112, v97, v98
	v_dual_sub_f32 v102, v98, v102 :: v_dual_add_f32 v27, v27, v113
	s_delay_alu instid0(VALU_DEP_2) | instskip(NEXT) | instid1(VALU_DEP_1)
	v_sub_f32_e32 v97, v97, v112
	v_dual_sub_f32 v97, v97, v98 :: v_dual_sub_f32 v98, v102, v101
	s_delay_alu instid0(VALU_DEP_1) | instskip(SKIP_1) | instid1(VALU_DEP_2)
	v_add_f32_e32 v27, v27, v97
	v_add_f32_e32 v97, v103, v100
	;; [unrolled: 1-line block ×3, first 2 shown]
	s_delay_alu instid0(VALU_DEP_2) | instskip(NEXT) | instid1(VALU_DEP_2)
	v_sub_f32_e32 v98, v97, v103
	v_add_f32_e32 v27, v112, v27
	s_delay_alu instid0(VALU_DEP_2) | instskip(NEXT) | instid1(VALU_DEP_2)
	v_sub_f32_e32 v98, v100, v98
	v_mul_f32_e32 v27, v96, v27
	s_delay_alu instid0(VALU_DEP_1) | instskip(NEXT) | instid1(VALU_DEP_1)
	v_add_f32_e32 v27, v98, v27
	v_add_f32_e32 v96, v97, v27
	s_delay_alu instid0(VALU_DEP_1) | instskip(NEXT) | instid1(VALU_DEP_1)
	v_mul_f32_e32 v98, v96, v96
	v_fmaak_f32 v100, s21, v98, 0x3ecc95a3
	v_mul_f32_e32 v101, v96, v98
	v_cmp_gt_f32_e64 s21, 0x33800000, |v29|
	s_delay_alu instid0(VALU_DEP_3) | instskip(SKIP_1) | instid1(VALU_DEP_3)
	v_fmaak_f32 v98, v98, v100, 0x3f2aaada
	v_ldexp_f32 v100, v96, 1
	s_or_b32 vcc_lo, vcc_lo, s21
	s_delay_alu instid0(VALU_DEP_2) | instskip(SKIP_1) | instid1(VALU_DEP_2)
	v_mul_f32_e32 v98, v101, v98
	v_sub_f32_e32 v96, v96, v97
	v_add_f32_e32 v97, v100, v98
	s_delay_alu instid0(VALU_DEP_2) | instskip(NEXT) | instid1(VALU_DEP_2)
	v_sub_f32_e32 v27, v27, v96
	v_sub_f32_e32 v96, v97, v100
	s_delay_alu instid0(VALU_DEP_2) | instskip(NEXT) | instid1(VALU_DEP_2)
	v_ldexp_f32 v27, v27, 1
	v_sub_f32_e32 v96, v98, v96
	s_delay_alu instid0(VALU_DEP_1) | instskip(NEXT) | instid1(VALU_DEP_1)
	v_add_f32_e32 v27, v27, v96
	v_dual_mul_f32 v101, 0x3f317218, v26 :: v_dual_add_f32 v98, v97, v27
	s_delay_alu instid0(VALU_DEP_1) | instskip(NEXT) | instid1(VALU_DEP_2)
	v_fma_f32 v100, 0x3f317218, v26, -v101
	v_sub_f32_e32 v97, v98, v97
	s_delay_alu instid0(VALU_DEP_2) | instskip(NEXT) | instid1(VALU_DEP_1)
	v_fmamk_f32 v26, v26, 0xb102e308, v100
	v_add_f32_e32 v96, v101, v26
	s_delay_alu instid0(VALU_DEP_1) | instskip(SKIP_1) | instid1(VALU_DEP_2)
	v_add_f32_e32 v100, v96, v98
	v_sub_f32_e32 v101, v96, v101
	v_sub_f32_e32 v102, v100, v96
	s_delay_alu instid0(VALU_DEP_2) | instskip(SKIP_1) | instid1(VALU_DEP_3)
	v_sub_f32_e32 v26, v26, v101
	v_sub_f32_e32 v27, v27, v97
	;; [unrolled: 1-line block ×4, first 2 shown]
	s_delay_alu instid0(VALU_DEP_1) | instskip(NEXT) | instid1(VALU_DEP_4)
	v_sub_f32_e32 v96, v96, v103
	v_add_f32_e32 v98, v26, v27
	s_delay_alu instid0(VALU_DEP_1) | instskip(NEXT) | instid1(VALU_DEP_1)
	v_dual_add_f32 v96, v97, v96 :: v_dual_sub_f32 v97, v98, v26
	v_dual_add_f32 v96, v98, v96 :: v_dual_sub_f32 v27, v27, v97
	s_delay_alu instid0(VALU_DEP_1) | instskip(NEXT) | instid1(VALU_DEP_1)
	v_dual_sub_f32 v98, v98, v97 :: v_dual_add_f32 v101, v100, v96
	v_dual_sub_f32 v26, v26, v98 :: v_dual_sub_f32 v97, v101, v100
	s_delay_alu instid0(VALU_DEP_1) | instskip(NEXT) | instid1(VALU_DEP_1)
	v_dual_add_f32 v26, v27, v26 :: v_dual_sub_f32 v27, v96, v97
	v_add_f32_e32 v26, v26, v27
	s_delay_alu instid0(VALU_DEP_1) | instskip(NEXT) | instid1(VALU_DEP_1)
	v_add_f32_e32 v26, v101, v26
	v_cndmask_b32_e32 v26, v26, v29, vcc_lo
	s_delay_alu instid0(VALU_DEP_1) | instskip(NEXT) | instid1(VALU_DEP_1)
	v_add_f32_e32 v26, v28, v26
	v_cvt_f16_f32_e32 v26, v26
	s_delay_alu instid0(VALU_DEP_1)
	v_cvt_f32_f16_e32 v27, v26
	v_mov_b32_e32 v100, v26
.LBB410_85:
	s_or_b32 exec_lo, exec_lo, s20
	v_cvt_f32_f16_e32 v96, v37
	s_delay_alu instid0(VALU_DEP_3) | instskip(SKIP_2) | instid1(VALU_DEP_3)
	v_max_f32_e32 v28, v27, v27
	v_cmp_u_f16_e32 vcc_lo, v26, v26
	v_cmp_u_f16_e64 s20, v37, v37
	v_min_f32_e32 v29, v28, v96
	s_delay_alu instid0(VALU_DEP_1) | instskip(NEXT) | instid1(VALU_DEP_1)
	v_dual_max_f32 v28, v28, v96 :: v_dual_cndmask_b32 v29, v29, v27
	v_cndmask_b32_e32 v28, v28, v27, vcc_lo
	s_delay_alu instid0(VALU_DEP_2) | instskip(NEXT) | instid1(VALU_DEP_2)
	v_cndmask_b32_e64 v29, v29, v96, s20
	v_cndmask_b32_e64 v28, v28, v96, s20
	s_delay_alu instid0(VALU_DEP_2) | instskip(NEXT) | instid1(VALU_DEP_2)
	v_cmp_class_f32_e64 s21, v29, 0x1f8
	v_cmp_neq_f32_e32 vcc_lo, v29, v28
	s_delay_alu instid0(VALU_DEP_2) | instskip(NEXT) | instid1(SALU_CYCLE_1)
	s_or_b32 s22, vcc_lo, s21
	s_and_saveexec_b32 s21, s22
	s_cbranch_execz .LBB410_87
; %bb.86:
	v_sub_f32_e32 v26, v29, v28
	s_mov_b32 s22, 0x3e9b6dac
	s_delay_alu instid0(VALU_DEP_1) | instskip(NEXT) | instid1(VALU_DEP_1)
	v_mul_f32_e32 v27, 0x3fb8aa3b, v26
	v_fma_f32 v29, 0x3fb8aa3b, v26, -v27
	v_rndne_f32_e32 v97, v27
	s_delay_alu instid0(VALU_DEP_1) | instskip(NEXT) | instid1(VALU_DEP_3)
	v_sub_f32_e32 v27, v27, v97
	v_fmamk_f32 v29, v26, 0x32a5705f, v29
	v_cmp_ngt_f32_e32 vcc_lo, 0xc2ce8ed0, v26
	s_delay_alu instid0(VALU_DEP_2) | instskip(SKIP_1) | instid1(VALU_DEP_2)
	v_add_f32_e32 v27, v27, v29
	v_cvt_i32_f32_e32 v29, v97
	v_exp_f32_e32 v27, v27
	s_waitcnt_depctr 0xfff
	v_ldexp_f32 v27, v27, v29
	s_delay_alu instid0(VALU_DEP_1) | instskip(SKIP_1) | instid1(VALU_DEP_2)
	v_cndmask_b32_e32 v27, 0, v27, vcc_lo
	v_cmp_nlt_f32_e32 vcc_lo, 0x42b17218, v26
	v_cndmask_b32_e32 v29, 0x7f800000, v27, vcc_lo
	s_delay_alu instid0(VALU_DEP_1) | instskip(NEXT) | instid1(VALU_DEP_1)
	v_add_f32_e32 v97, 1.0, v29
	v_cvt_f64_f32_e32 v[26:27], v97
	s_delay_alu instid0(VALU_DEP_1) | instskip(SKIP_1) | instid1(VALU_DEP_1)
	v_frexp_exp_i32_f64_e32 v26, v[26:27]
	v_frexp_mant_f32_e32 v27, v97
	v_cmp_gt_f32_e32 vcc_lo, 0x3f2aaaab, v27
	v_add_f32_e32 v27, -1.0, v97
	s_delay_alu instid0(VALU_DEP_1) | instskip(NEXT) | instid1(VALU_DEP_1)
	v_dual_sub_f32 v100, v27, v97 :: v_dual_sub_f32 v27, v29, v27
	v_add_f32_e32 v100, 1.0, v100
	s_delay_alu instid0(VALU_DEP_1) | instskip(SKIP_1) | instid1(VALU_DEP_1)
	v_add_f32_e32 v27, v27, v100
	v_subrev_co_ci_u32_e32 v26, vcc_lo, 0, v26, vcc_lo
	v_sub_nc_u32_e32 v98, 0, v26
	v_cvt_f32_i32_e32 v26, v26
	s_delay_alu instid0(VALU_DEP_2) | instskip(SKIP_1) | instid1(VALU_DEP_2)
	v_ldexp_f32 v97, v97, v98
	v_ldexp_f32 v27, v27, v98
	v_add_f32_e32 v101, 1.0, v97
	v_add_f32_e32 v98, -1.0, v97
	v_cmp_eq_f32_e32 vcc_lo, 0x7f800000, v29
	s_delay_alu instid0(VALU_DEP_3) | instskip(NEXT) | instid1(VALU_DEP_3)
	v_add_f32_e32 v100, -1.0, v101
	v_add_f32_e32 v102, 1.0, v98
	s_delay_alu instid0(VALU_DEP_2) | instskip(NEXT) | instid1(VALU_DEP_1)
	v_sub_f32_e32 v100, v97, v100
	v_dual_sub_f32 v97, v97, v102 :: v_dual_add_f32 v100, v27, v100
	s_delay_alu instid0(VALU_DEP_1) | instskip(NEXT) | instid1(VALU_DEP_1)
	v_add_f32_e32 v102, v101, v100
	v_sub_f32_e32 v101, v101, v102
	s_delay_alu instid0(VALU_DEP_1) | instskip(NEXT) | instid1(VALU_DEP_4)
	v_add_f32_e32 v100, v100, v101
	v_add_f32_e32 v27, v27, v97
	v_rcp_f32_e32 v97, v102
	s_delay_alu instid0(VALU_DEP_1) | instskip(SKIP_2) | instid1(VALU_DEP_1)
	v_add_f32_e32 v103, v98, v27
	s_waitcnt_depctr 0xfff
	v_mul_f32_e32 v112, v103, v97
	v_mul_f32_e32 v113, v102, v112
	s_delay_alu instid0(VALU_DEP_1) | instskip(NEXT) | instid1(VALU_DEP_1)
	v_fma_f32 v101, v112, v102, -v113
	v_fmac_f32_e32 v101, v112, v100
	s_delay_alu instid0(VALU_DEP_1) | instskip(SKIP_1) | instid1(VALU_DEP_1)
	v_add_f32_e32 v114, v113, v101
	v_sub_f32_e32 v98, v98, v103
	v_dual_add_f32 v27, v27, v98 :: v_dual_sub_f32 v98, v114, v113
	s_delay_alu instid0(VALU_DEP_1) | instskip(NEXT) | instid1(VALU_DEP_1)
	v_dual_sub_f32 v115, v103, v114 :: v_dual_sub_f32 v98, v98, v101
	v_sub_f32_e32 v103, v103, v115
	s_delay_alu instid0(VALU_DEP_1) | instskip(NEXT) | instid1(VALU_DEP_1)
	v_sub_f32_e32 v103, v103, v114
	v_add_f32_e32 v27, v27, v103
	s_delay_alu instid0(VALU_DEP_1) | instskip(NEXT) | instid1(VALU_DEP_1)
	v_add_f32_e32 v27, v98, v27
	v_add_f32_e32 v98, v115, v27
	s_delay_alu instid0(VALU_DEP_1) | instskip(SKIP_1) | instid1(VALU_DEP_2)
	v_sub_f32_e32 v114, v115, v98
	v_mul_f32_e32 v101, v97, v98
	v_add_f32_e32 v27, v27, v114
	s_delay_alu instid0(VALU_DEP_2) | instskip(NEXT) | instid1(VALU_DEP_1)
	v_mul_f32_e32 v103, v102, v101
	v_fma_f32 v102, v101, v102, -v103
	s_delay_alu instid0(VALU_DEP_1) | instskip(NEXT) | instid1(VALU_DEP_1)
	v_fmac_f32_e32 v102, v101, v100
	v_add_f32_e32 v100, v103, v102
	s_delay_alu instid0(VALU_DEP_1) | instskip(SKIP_1) | instid1(VALU_DEP_1)
	v_sub_f32_e32 v103, v100, v103
	v_sub_f32_e32 v113, v98, v100
	v_sub_f32_e32 v98, v98, v113
	s_delay_alu instid0(VALU_DEP_1) | instskip(NEXT) | instid1(VALU_DEP_4)
	v_sub_f32_e32 v98, v98, v100
	v_sub_f32_e32 v100, v103, v102
	s_delay_alu instid0(VALU_DEP_2) | instskip(NEXT) | instid1(VALU_DEP_1)
	v_dual_add_f32 v27, v27, v98 :: v_dual_add_f32 v98, v112, v101
	v_dual_add_f32 v27, v100, v27 :: v_dual_sub_f32 v100, v98, v112
	s_delay_alu instid0(VALU_DEP_1) | instskip(NEXT) | instid1(VALU_DEP_2)
	v_add_f32_e32 v27, v113, v27
	v_sub_f32_e32 v100, v101, v100
	s_delay_alu instid0(VALU_DEP_2) | instskip(NEXT) | instid1(VALU_DEP_1)
	v_mul_f32_e32 v27, v97, v27
	v_add_f32_e32 v27, v100, v27
	s_delay_alu instid0(VALU_DEP_1) | instskip(NEXT) | instid1(VALU_DEP_1)
	v_add_f32_e32 v97, v98, v27
	v_mul_f32_e32 v100, v97, v97
	s_delay_alu instid0(VALU_DEP_1) | instskip(SKIP_2) | instid1(VALU_DEP_3)
	v_fmaak_f32 v101, s22, v100, 0x3ecc95a3
	v_mul_f32_e32 v102, v97, v100
	v_cmp_gt_f32_e64 s22, 0x33800000, |v29|
	v_fmaak_f32 v100, v100, v101, 0x3f2aaada
	v_ldexp_f32 v101, v97, 1
	v_sub_f32_e32 v97, v97, v98
	s_delay_alu instid0(VALU_DEP_4) | instskip(NEXT) | instid1(VALU_DEP_3)
	s_or_b32 vcc_lo, vcc_lo, s22
	v_mul_f32_e32 v100, v102, v100
	s_delay_alu instid0(VALU_DEP_2) | instskip(NEXT) | instid1(VALU_DEP_2)
	v_dual_mul_f32 v102, 0x3f317218, v26 :: v_dual_sub_f32 v27, v27, v97
	v_add_f32_e32 v98, v101, v100
	s_delay_alu instid0(VALU_DEP_2) | instskip(NEXT) | instid1(VALU_DEP_2)
	v_ldexp_f32 v27, v27, 1
	v_sub_f32_e32 v97, v98, v101
	s_delay_alu instid0(VALU_DEP_4) | instskip(NEXT) | instid1(VALU_DEP_1)
	v_fma_f32 v101, 0x3f317218, v26, -v102
	v_dual_fmamk_f32 v26, v26, 0xb102e308, v101 :: v_dual_sub_f32 v97, v100, v97
	s_delay_alu instid0(VALU_DEP_1) | instskip(NEXT) | instid1(VALU_DEP_2)
	v_add_f32_e32 v27, v27, v97
	v_add_f32_e32 v97, v102, v26
	s_delay_alu instid0(VALU_DEP_2) | instskip(NEXT) | instid1(VALU_DEP_2)
	v_add_f32_e32 v100, v98, v27
	v_sub_f32_e32 v102, v97, v102
	s_delay_alu instid0(VALU_DEP_2) | instskip(NEXT) | instid1(VALU_DEP_2)
	v_sub_f32_e32 v98, v100, v98
	v_sub_f32_e32 v26, v26, v102
	s_delay_alu instid0(VALU_DEP_2) | instskip(SKIP_1) | instid1(VALU_DEP_1)
	v_sub_f32_e32 v27, v27, v98
	v_add_f32_e32 v101, v97, v100
	v_sub_f32_e32 v103, v101, v97
	s_delay_alu instid0(VALU_DEP_1) | instskip(NEXT) | instid1(VALU_DEP_4)
	v_sub_f32_e32 v98, v100, v103
	v_add_f32_e32 v100, v26, v27
	v_sub_f32_e32 v112, v101, v103
	s_delay_alu instid0(VALU_DEP_1) | instskip(NEXT) | instid1(VALU_DEP_1)
	v_sub_f32_e32 v97, v97, v112
	v_dual_add_f32 v97, v98, v97 :: v_dual_sub_f32 v98, v100, v26
	s_delay_alu instid0(VALU_DEP_1) | instskip(NEXT) | instid1(VALU_DEP_2)
	v_add_f32_e32 v97, v100, v97
	v_sub_f32_e32 v100, v100, v98
	s_delay_alu instid0(VALU_DEP_2) | instskip(NEXT) | instid1(VALU_DEP_2)
	v_dual_add_f32 v102, v101, v97 :: v_dual_sub_f32 v27, v27, v98
	v_sub_f32_e32 v26, v26, v100
	s_delay_alu instid0(VALU_DEP_2) | instskip(NEXT) | instid1(VALU_DEP_2)
	v_sub_f32_e32 v98, v102, v101
	v_add_f32_e32 v26, v27, v26
	s_delay_alu instid0(VALU_DEP_2) | instskip(NEXT) | instid1(VALU_DEP_1)
	v_sub_f32_e32 v27, v97, v98
	v_add_f32_e32 v26, v26, v27
	s_delay_alu instid0(VALU_DEP_1) | instskip(NEXT) | instid1(VALU_DEP_1)
	v_add_f32_e32 v26, v102, v26
	v_cndmask_b32_e32 v26, v26, v29, vcc_lo
	s_delay_alu instid0(VALU_DEP_1) | instskip(NEXT) | instid1(VALU_DEP_1)
	v_add_f32_e32 v26, v28, v26
	v_cvt_f16_f32_e32 v26, v26
	s_delay_alu instid0(VALU_DEP_1)
	v_mov_b32_e32 v100, v26
	v_cvt_f32_f16_e32 v27, v26
.LBB410_87:
	s_or_b32 exec_lo, exec_lo, s21
	v_cvt_f32_f16_e32 v97, v36
	s_delay_alu instid0(VALU_DEP_2) | instskip(SKIP_2) | instid1(VALU_DEP_3)
	v_max_f32_e32 v28, v27, v27
	v_cmp_u_f16_e32 vcc_lo, v26, v26
	v_cmp_u_f16_e64 s21, v36, v36
	v_min_f32_e32 v29, v28, v97
	s_delay_alu instid0(VALU_DEP_1) | instskip(NEXT) | instid1(VALU_DEP_1)
	v_dual_max_f32 v28, v28, v97 :: v_dual_cndmask_b32 v29, v29, v27
	v_cndmask_b32_e32 v28, v28, v27, vcc_lo
	s_delay_alu instid0(VALU_DEP_2) | instskip(NEXT) | instid1(VALU_DEP_2)
	v_cndmask_b32_e64 v29, v29, v97, s21
	v_cndmask_b32_e64 v28, v28, v97, s21
	s_delay_alu instid0(VALU_DEP_2) | instskip(NEXT) | instid1(VALU_DEP_2)
	v_cmp_class_f32_e64 s22, v29, 0x1f8
	v_cmp_neq_f32_e32 vcc_lo, v29, v28
	s_delay_alu instid0(VALU_DEP_2) | instskip(NEXT) | instid1(SALU_CYCLE_1)
	s_or_b32 s24, vcc_lo, s22
	s_and_saveexec_b32 s22, s24
	s_cbranch_execz .LBB410_89
; %bb.88:
	v_sub_f32_e32 v26, v29, v28
	s_mov_b32 s24, 0x3e9b6dac
	s_delay_alu instid0(VALU_DEP_1) | instskip(NEXT) | instid1(VALU_DEP_1)
	v_mul_f32_e32 v27, 0x3fb8aa3b, v26
	v_fma_f32 v29, 0x3fb8aa3b, v26, -v27
	v_rndne_f32_e32 v98, v27
	s_delay_alu instid0(VALU_DEP_1) | instskip(NEXT) | instid1(VALU_DEP_3)
	v_sub_f32_e32 v27, v27, v98
	v_fmamk_f32 v29, v26, 0x32a5705f, v29
	v_cmp_ngt_f32_e32 vcc_lo, 0xc2ce8ed0, v26
	s_delay_alu instid0(VALU_DEP_2) | instskip(SKIP_1) | instid1(VALU_DEP_2)
	v_add_f32_e32 v27, v27, v29
	v_cvt_i32_f32_e32 v29, v98
	v_exp_f32_e32 v27, v27
	s_waitcnt_depctr 0xfff
	v_ldexp_f32 v27, v27, v29
	s_delay_alu instid0(VALU_DEP_1) | instskip(SKIP_1) | instid1(VALU_DEP_2)
	v_cndmask_b32_e32 v27, 0, v27, vcc_lo
	v_cmp_nlt_f32_e32 vcc_lo, 0x42b17218, v26
	v_cndmask_b32_e32 v29, 0x7f800000, v27, vcc_lo
	s_delay_alu instid0(VALU_DEP_1) | instskip(NEXT) | instid1(VALU_DEP_1)
	v_add_f32_e32 v98, 1.0, v29
	v_cvt_f64_f32_e32 v[26:27], v98
	s_delay_alu instid0(VALU_DEP_1) | instskip(SKIP_1) | instid1(VALU_DEP_1)
	v_frexp_exp_i32_f64_e32 v26, v[26:27]
	v_frexp_mant_f32_e32 v27, v98
	v_cmp_gt_f32_e32 vcc_lo, 0x3f2aaaab, v27
	v_add_f32_e32 v27, -1.0, v98
	s_delay_alu instid0(VALU_DEP_1) | instskip(SKIP_2) | instid1(VALU_DEP_1)
	v_sub_f32_e32 v101, v27, v98
	v_sub_f32_e32 v27, v29, v27
	v_subrev_co_ci_u32_e32 v26, vcc_lo, 0, v26, vcc_lo
	v_sub_nc_u32_e32 v100, 0, v26
	v_cvt_f32_i32_e32 v26, v26
	s_delay_alu instid0(VALU_DEP_2) | instskip(NEXT) | instid1(VALU_DEP_1)
	v_ldexp_f32 v98, v98, v100
	v_dual_add_f32 v102, 1.0, v98 :: v_dual_add_f32 v101, 1.0, v101
	s_delay_alu instid0(VALU_DEP_1) | instskip(NEXT) | instid1(VALU_DEP_2)
	v_add_f32_e32 v27, v27, v101
	v_add_f32_e32 v101, -1.0, v102
	s_delay_alu instid0(VALU_DEP_2) | instskip(NEXT) | instid1(VALU_DEP_2)
	v_ldexp_f32 v27, v27, v100
	v_dual_add_f32 v100, -1.0, v98 :: v_dual_sub_f32 v101, v98, v101
	s_delay_alu instid0(VALU_DEP_1) | instskip(NEXT) | instid1(VALU_DEP_1)
	v_add_f32_e32 v103, 1.0, v100
	v_dual_add_f32 v101, v27, v101 :: v_dual_sub_f32 v98, v98, v103
	s_delay_alu instid0(VALU_DEP_1) | instskip(NEXT) | instid1(VALU_DEP_2)
	v_add_f32_e32 v103, v102, v101
	v_add_f32_e32 v27, v27, v98
	s_delay_alu instid0(VALU_DEP_2) | instskip(SKIP_1) | instid1(VALU_DEP_1)
	v_rcp_f32_e32 v98, v103
	v_sub_f32_e32 v102, v102, v103
	v_dual_add_f32 v112, v100, v27 :: v_dual_add_f32 v101, v101, v102
	s_delay_alu instid0(VALU_DEP_1) | instskip(SKIP_3) | instid1(VALU_DEP_2)
	v_sub_f32_e32 v100, v100, v112
	s_waitcnt_depctr 0xfff
	v_mul_f32_e32 v113, v112, v98
	v_add_f32_e32 v27, v27, v100
	v_mul_f32_e32 v114, v103, v113
	s_delay_alu instid0(VALU_DEP_1) | instskip(NEXT) | instid1(VALU_DEP_1)
	v_fma_f32 v102, v113, v103, -v114
	v_fmac_f32_e32 v102, v113, v101
	v_cmp_eq_f32_e32 vcc_lo, 0x7f800000, v29
	s_delay_alu instid0(VALU_DEP_2) | instskip(NEXT) | instid1(VALU_DEP_1)
	v_add_f32_e32 v115, v114, v102
	v_sub_f32_e32 v116, v112, v115
	v_sub_f32_e32 v100, v115, v114
	s_delay_alu instid0(VALU_DEP_2) | instskip(NEXT) | instid1(VALU_DEP_2)
	v_sub_f32_e32 v112, v112, v116
	v_sub_f32_e32 v100, v100, v102
	s_delay_alu instid0(VALU_DEP_2) | instskip(NEXT) | instid1(VALU_DEP_1)
	v_sub_f32_e32 v112, v112, v115
	v_add_f32_e32 v27, v27, v112
	s_delay_alu instid0(VALU_DEP_1) | instskip(NEXT) | instid1(VALU_DEP_1)
	v_add_f32_e32 v27, v100, v27
	v_add_f32_e32 v100, v116, v27
	s_delay_alu instid0(VALU_DEP_1) | instskip(NEXT) | instid1(VALU_DEP_1)
	v_mul_f32_e32 v102, v98, v100
	v_dual_sub_f32 v115, v116, v100 :: v_dual_mul_f32 v112, v103, v102
	s_delay_alu instid0(VALU_DEP_1) | instskip(NEXT) | instid1(VALU_DEP_2)
	v_add_f32_e32 v27, v27, v115
	v_fma_f32 v103, v102, v103, -v112
	s_delay_alu instid0(VALU_DEP_1) | instskip(NEXT) | instid1(VALU_DEP_1)
	v_fmac_f32_e32 v103, v102, v101
	v_add_f32_e32 v101, v112, v103
	s_delay_alu instid0(VALU_DEP_1) | instskip(SKIP_1) | instid1(VALU_DEP_2)
	v_sub_f32_e32 v114, v100, v101
	v_sub_f32_e32 v112, v101, v112
	;; [unrolled: 1-line block ×3, first 2 shown]
	s_delay_alu instid0(VALU_DEP_1) | instskip(NEXT) | instid1(VALU_DEP_1)
	v_sub_f32_e32 v100, v100, v101
	v_dual_add_f32 v27, v27, v100 :: v_dual_add_f32 v100, v113, v102
	s_delay_alu instid0(VALU_DEP_4) | instskip(NEXT) | instid1(VALU_DEP_1)
	v_sub_f32_e32 v101, v112, v103
	v_add_f32_e32 v27, v101, v27
	s_delay_alu instid0(VALU_DEP_3) | instskip(NEXT) | instid1(VALU_DEP_2)
	v_sub_f32_e32 v101, v100, v113
	v_add_f32_e32 v27, v114, v27
	s_delay_alu instid0(VALU_DEP_2) | instskip(NEXT) | instid1(VALU_DEP_2)
	v_sub_f32_e32 v101, v102, v101
	v_mul_f32_e32 v27, v98, v27
	s_delay_alu instid0(VALU_DEP_1) | instskip(NEXT) | instid1(VALU_DEP_1)
	v_add_f32_e32 v27, v101, v27
	v_add_f32_e32 v98, v100, v27
	s_delay_alu instid0(VALU_DEP_1) | instskip(NEXT) | instid1(VALU_DEP_1)
	v_mul_f32_e32 v101, v98, v98
	v_fmaak_f32 v102, s24, v101, 0x3ecc95a3
	v_mul_f32_e32 v103, v98, v101
	v_cmp_gt_f32_e64 s24, 0x33800000, |v29|
	s_delay_alu instid0(VALU_DEP_3) | instskip(SKIP_2) | instid1(VALU_DEP_4)
	v_fmaak_f32 v101, v101, v102, 0x3f2aaada
	v_ldexp_f32 v102, v98, 1
	v_sub_f32_e32 v98, v98, v100
	s_or_b32 vcc_lo, vcc_lo, s24
	s_delay_alu instid0(VALU_DEP_3) | instskip(SKIP_1) | instid1(VALU_DEP_2)
	v_mul_f32_e32 v101, v103, v101
	v_mul_f32_e32 v103, 0x3f317218, v26
	v_dual_sub_f32 v27, v27, v98 :: v_dual_add_f32 v100, v102, v101
	s_delay_alu instid0(VALU_DEP_1) | instskip(NEXT) | instid1(VALU_DEP_2)
	v_ldexp_f32 v27, v27, 1
	v_sub_f32_e32 v98, v100, v102
	s_delay_alu instid0(VALU_DEP_4) | instskip(NEXT) | instid1(VALU_DEP_2)
	v_fma_f32 v102, 0x3f317218, v26, -v103
	v_sub_f32_e32 v98, v101, v98
	s_delay_alu instid0(VALU_DEP_1) | instskip(NEXT) | instid1(VALU_DEP_1)
	v_dual_fmamk_f32 v26, v26, 0xb102e308, v102 :: v_dual_add_f32 v27, v27, v98
	v_dual_add_f32 v98, v103, v26 :: v_dual_add_f32 v101, v100, v27
	s_delay_alu instid0(VALU_DEP_1) | instskip(NEXT) | instid1(VALU_DEP_2)
	v_sub_f32_e32 v103, v98, v103
	v_add_f32_e32 v102, v98, v101
	v_sub_f32_e32 v100, v101, v100
	s_delay_alu instid0(VALU_DEP_3) | instskip(NEXT) | instid1(VALU_DEP_2)
	v_sub_f32_e32 v26, v26, v103
	v_dual_sub_f32 v112, v102, v98 :: v_dual_sub_f32 v27, v27, v100
	s_delay_alu instid0(VALU_DEP_1) | instskip(SKIP_1) | instid1(VALU_DEP_1)
	v_dual_sub_f32 v100, v101, v112 :: v_dual_add_f32 v101, v26, v27
	v_sub_f32_e32 v113, v102, v112
	v_sub_f32_e32 v98, v98, v113
	s_delay_alu instid0(VALU_DEP_1) | instskip(NEXT) | instid1(VALU_DEP_4)
	v_add_f32_e32 v98, v100, v98
	v_sub_f32_e32 v100, v101, v26
	s_delay_alu instid0(VALU_DEP_1) | instskip(NEXT) | instid1(VALU_DEP_1)
	v_dual_add_f32 v98, v101, v98 :: v_dual_sub_f32 v27, v27, v100
	v_add_f32_e32 v103, v102, v98
	s_delay_alu instid0(VALU_DEP_1) | instskip(NEXT) | instid1(VALU_DEP_1)
	v_dual_sub_f32 v101, v101, v100 :: v_dual_sub_f32 v100, v103, v102
	v_sub_f32_e32 v26, v26, v101
	s_delay_alu instid0(VALU_DEP_1) | instskip(NEXT) | instid1(VALU_DEP_1)
	v_dual_add_f32 v26, v27, v26 :: v_dual_sub_f32 v27, v98, v100
	v_add_f32_e32 v26, v26, v27
	s_delay_alu instid0(VALU_DEP_1) | instskip(NEXT) | instid1(VALU_DEP_1)
	v_add_f32_e32 v26, v103, v26
	v_cndmask_b32_e32 v26, v26, v29, vcc_lo
	s_delay_alu instid0(VALU_DEP_1) | instskip(NEXT) | instid1(VALU_DEP_1)
	v_add_f32_e32 v26, v28, v26
	v_cvt_f16_f32_e32 v26, v26
	s_delay_alu instid0(VALU_DEP_1)
	v_cvt_f32_f16_e32 v27, v26
	v_mov_b32_e32 v100, v26
.LBB410_89:
	s_or_b32 exec_lo, exec_lo, s22
	v_cvt_f32_f16_e32 v98, v35
	s_delay_alu instid0(VALU_DEP_3) | instskip(SKIP_2) | instid1(VALU_DEP_3)
	v_max_f32_e32 v28, v27, v27
	v_cmp_u_f16_e32 vcc_lo, v26, v26
	v_cmp_u_f16_e64 s22, v35, v35
	v_min_f32_e32 v29, v28, v98
	v_max_f32_e32 v28, v28, v98
	s_delay_alu instid0(VALU_DEP_2) | instskip(NEXT) | instid1(VALU_DEP_2)
	v_cndmask_b32_e32 v26, v29, v27, vcc_lo
	v_cndmask_b32_e32 v28, v28, v27, vcc_lo
	s_delay_alu instid0(VALU_DEP_2) | instskip(NEXT) | instid1(VALU_DEP_2)
	v_cndmask_b32_e64 v27, v26, v98, s22
	v_cndmask_b32_e64 v26, v28, v98, s22
	s_delay_alu instid0(VALU_DEP_2) | instskip(NEXT) | instid1(VALU_DEP_2)
	v_cmp_class_f32_e64 s24, v27, 0x1f8
	v_cmp_neq_f32_e32 vcc_lo, v27, v26
	s_delay_alu instid0(VALU_DEP_2) | instskip(NEXT) | instid1(SALU_CYCLE_1)
	s_or_b32 s25, vcc_lo, s24
	s_and_saveexec_b32 s24, s25
	s_cbranch_execz .LBB410_91
; %bb.90:
	v_sub_f32_e32 v27, v27, v26
	s_mov_b32 s25, 0x3e9b6dac
	s_delay_alu instid0(VALU_DEP_1) | instskip(NEXT) | instid1(VALU_DEP_1)
	v_mul_f32_e32 v28, 0x3fb8aa3b, v27
	v_fma_f32 v29, 0x3fb8aa3b, v27, -v28
	v_rndne_f32_e32 v100, v28
	s_delay_alu instid0(VALU_DEP_1) | instskip(SKIP_1) | instid1(VALU_DEP_4)
	v_sub_f32_e32 v28, v28, v100
	v_cmp_ngt_f32_e32 vcc_lo, 0xc2ce8ed0, v27
	v_fmamk_f32 v29, v27, 0x32a5705f, v29
	s_delay_alu instid0(VALU_DEP_1) | instskip(SKIP_1) | instid1(VALU_DEP_2)
	v_add_f32_e32 v28, v28, v29
	v_cvt_i32_f32_e32 v29, v100
	v_exp_f32_e32 v28, v28
	s_waitcnt_depctr 0xfff
	v_ldexp_f32 v28, v28, v29
	s_delay_alu instid0(VALU_DEP_1) | instskip(SKIP_1) | instid1(VALU_DEP_2)
	v_cndmask_b32_e32 v28, 0, v28, vcc_lo
	v_cmp_nlt_f32_e32 vcc_lo, 0x42b17218, v27
	v_cndmask_b32_e32 v29, 0x7f800000, v28, vcc_lo
	s_delay_alu instid0(VALU_DEP_1) | instskip(NEXT) | instid1(VALU_DEP_1)
	v_add_f32_e32 v100, 1.0, v29
	v_cvt_f64_f32_e32 v[27:28], v100
	s_delay_alu instid0(VALU_DEP_1) | instskip(SKIP_1) | instid1(VALU_DEP_1)
	v_frexp_exp_i32_f64_e32 v27, v[27:28]
	v_frexp_mant_f32_e32 v28, v100
	v_cmp_gt_f32_e32 vcc_lo, 0x3f2aaaab, v28
	v_add_f32_e32 v28, -1.0, v100
	s_delay_alu instid0(VALU_DEP_1) | instskip(NEXT) | instid1(VALU_DEP_1)
	v_sub_f32_e32 v102, v28, v100
	v_add_f32_e32 v102, 1.0, v102
	v_sub_f32_e32 v28, v29, v28
	v_subrev_co_ci_u32_e32 v27, vcc_lo, 0, v27, vcc_lo
	v_cmp_eq_f32_e32 vcc_lo, 0x7f800000, v29
	s_delay_alu instid0(VALU_DEP_2) | instskip(SKIP_1) | instid1(VALU_DEP_2)
	v_sub_nc_u32_e32 v101, 0, v27
	v_cvt_f32_i32_e32 v27, v27
	v_ldexp_f32 v100, v100, v101
	s_delay_alu instid0(VALU_DEP_1) | instskip(NEXT) | instid1(VALU_DEP_1)
	v_dual_add_f32 v103, 1.0, v100 :: v_dual_add_f32 v28, v28, v102
	v_add_f32_e32 v102, -1.0, v103
	s_delay_alu instid0(VALU_DEP_2) | instskip(NEXT) | instid1(VALU_DEP_2)
	v_ldexp_f32 v28, v28, v101
	v_dual_add_f32 v101, -1.0, v100 :: v_dual_sub_f32 v102, v100, v102
	s_delay_alu instid0(VALU_DEP_1) | instskip(NEXT) | instid1(VALU_DEP_2)
	v_add_f32_e32 v112, 1.0, v101
	v_add_f32_e32 v102, v28, v102
	s_delay_alu instid0(VALU_DEP_2) | instskip(NEXT) | instid1(VALU_DEP_2)
	v_sub_f32_e32 v100, v100, v112
	v_add_f32_e32 v112, v103, v102
	s_delay_alu instid0(VALU_DEP_2) | instskip(NEXT) | instid1(VALU_DEP_2)
	v_add_f32_e32 v28, v28, v100
	v_rcp_f32_e32 v100, v112
	v_sub_f32_e32 v103, v103, v112
	s_delay_alu instid0(VALU_DEP_1) | instskip(NEXT) | instid1(VALU_DEP_1)
	v_dual_add_f32 v113, v101, v28 :: v_dual_add_f32 v102, v102, v103
	v_sub_f32_e32 v101, v101, v113
	s_waitcnt_depctr 0xfff
	v_mul_f32_e32 v114, v113, v100
	v_add_f32_e32 v28, v28, v101
	s_delay_alu instid0(VALU_DEP_2) | instskip(NEXT) | instid1(VALU_DEP_1)
	v_mul_f32_e32 v115, v112, v114
	v_fma_f32 v103, v114, v112, -v115
	s_delay_alu instid0(VALU_DEP_1) | instskip(NEXT) | instid1(VALU_DEP_1)
	v_fmac_f32_e32 v103, v114, v102
	v_add_f32_e32 v116, v115, v103
	s_delay_alu instid0(VALU_DEP_1) | instskip(SKIP_1) | instid1(VALU_DEP_2)
	v_sub_f32_e32 v117, v113, v116
	v_sub_f32_e32 v101, v116, v115
	;; [unrolled: 1-line block ×3, first 2 shown]
	s_delay_alu instid0(VALU_DEP_2) | instskip(NEXT) | instid1(VALU_DEP_2)
	v_sub_f32_e32 v101, v101, v103
	v_sub_f32_e32 v113, v113, v116
	s_delay_alu instid0(VALU_DEP_1) | instskip(NEXT) | instid1(VALU_DEP_1)
	v_add_f32_e32 v28, v28, v113
	v_add_f32_e32 v28, v101, v28
	s_delay_alu instid0(VALU_DEP_1) | instskip(NEXT) | instid1(VALU_DEP_1)
	v_add_f32_e32 v101, v117, v28
	v_mul_f32_e32 v103, v100, v101
	s_delay_alu instid0(VALU_DEP_1) | instskip(NEXT) | instid1(VALU_DEP_1)
	v_dual_sub_f32 v116, v117, v101 :: v_dual_mul_f32 v113, v112, v103
	v_add_f32_e32 v28, v28, v116
	s_delay_alu instid0(VALU_DEP_2) | instskip(NEXT) | instid1(VALU_DEP_1)
	v_fma_f32 v112, v103, v112, -v113
	v_fmac_f32_e32 v112, v103, v102
	s_delay_alu instid0(VALU_DEP_1) | instskip(NEXT) | instid1(VALU_DEP_1)
	v_add_f32_e32 v102, v113, v112
	v_sub_f32_e32 v115, v101, v102
	v_sub_f32_e32 v113, v102, v113
	s_delay_alu instid0(VALU_DEP_2) | instskip(NEXT) | instid1(VALU_DEP_1)
	v_sub_f32_e32 v101, v101, v115
	v_sub_f32_e32 v101, v101, v102
	s_delay_alu instid0(VALU_DEP_1) | instskip(NEXT) | instid1(VALU_DEP_4)
	v_dual_add_f32 v28, v28, v101 :: v_dual_add_f32 v101, v114, v103
	v_sub_f32_e32 v102, v113, v112
	s_delay_alu instid0(VALU_DEP_1) | instskip(NEXT) | instid1(VALU_DEP_3)
	v_add_f32_e32 v28, v102, v28
	v_sub_f32_e32 v102, v101, v114
	s_delay_alu instid0(VALU_DEP_2) | instskip(NEXT) | instid1(VALU_DEP_2)
	v_add_f32_e32 v28, v115, v28
	v_sub_f32_e32 v102, v103, v102
	s_delay_alu instid0(VALU_DEP_2) | instskip(NEXT) | instid1(VALU_DEP_1)
	v_mul_f32_e32 v28, v100, v28
	v_add_f32_e32 v28, v102, v28
	s_delay_alu instid0(VALU_DEP_1) | instskip(NEXT) | instid1(VALU_DEP_1)
	v_add_f32_e32 v100, v101, v28
	v_mul_f32_e32 v102, v100, v100
	s_delay_alu instid0(VALU_DEP_1) | instskip(SKIP_2) | instid1(VALU_DEP_3)
	v_fmaak_f32 v103, s25, v102, 0x3ecc95a3
	v_mul_f32_e32 v112, v100, v102
	v_cmp_gt_f32_e64 s25, 0x33800000, |v29|
	v_fmaak_f32 v102, v102, v103, 0x3f2aaada
	v_ldexp_f32 v103, v100, 1
	v_sub_f32_e32 v100, v100, v101
	s_delay_alu instid0(VALU_DEP_4) | instskip(NEXT) | instid1(VALU_DEP_3)
	s_or_b32 vcc_lo, vcc_lo, s25
	v_mul_f32_e32 v102, v112, v102
	v_mul_f32_e32 v112, 0x3f317218, v27
	s_delay_alu instid0(VALU_DEP_2) | instskip(NEXT) | instid1(VALU_DEP_1)
	v_dual_sub_f32 v28, v28, v100 :: v_dual_add_f32 v101, v103, v102
	v_ldexp_f32 v28, v28, 1
	s_delay_alu instid0(VALU_DEP_2) | instskip(NEXT) | instid1(VALU_DEP_4)
	v_sub_f32_e32 v100, v101, v103
	v_fma_f32 v103, 0x3f317218, v27, -v112
	s_delay_alu instid0(VALU_DEP_1) | instskip(NEXT) | instid1(VALU_DEP_1)
	v_dual_sub_f32 v100, v102, v100 :: v_dual_fmamk_f32 v27, v27, 0xb102e308, v103
	v_add_f32_e32 v28, v28, v100
	s_delay_alu instid0(VALU_DEP_2) | instskip(NEXT) | instid1(VALU_DEP_2)
	v_add_f32_e32 v100, v112, v27
	v_add_f32_e32 v102, v101, v28
	s_delay_alu instid0(VALU_DEP_2) | instskip(NEXT) | instid1(VALU_DEP_2)
	v_sub_f32_e32 v112, v100, v112
	v_add_f32_e32 v103, v100, v102
	v_sub_f32_e32 v101, v102, v101
	s_delay_alu instid0(VALU_DEP_3) | instskip(NEXT) | instid1(VALU_DEP_2)
	v_sub_f32_e32 v27, v27, v112
	v_dual_sub_f32 v113, v103, v100 :: v_dual_sub_f32 v28, v28, v101
	s_delay_alu instid0(VALU_DEP_1) | instskip(NEXT) | instid1(VALU_DEP_2)
	v_sub_f32_e32 v114, v103, v113
	v_dual_sub_f32 v101, v102, v113 :: v_dual_add_f32 v102, v27, v28
	s_delay_alu instid0(VALU_DEP_2) | instskip(NEXT) | instid1(VALU_DEP_1)
	v_sub_f32_e32 v100, v100, v114
	v_dual_add_f32 v100, v101, v100 :: v_dual_sub_f32 v101, v102, v27
	s_delay_alu instid0(VALU_DEP_1) | instskip(NEXT) | instid1(VALU_DEP_2)
	v_add_f32_e32 v100, v102, v100
	v_sub_f32_e32 v102, v102, v101
	v_sub_f32_e32 v28, v28, v101
	s_delay_alu instid0(VALU_DEP_3) | instskip(NEXT) | instid1(VALU_DEP_3)
	v_add_f32_e32 v112, v103, v100
	v_sub_f32_e32 v27, v27, v102
	s_delay_alu instid0(VALU_DEP_2) | instskip(NEXT) | instid1(VALU_DEP_2)
	v_sub_f32_e32 v101, v112, v103
	v_add_f32_e32 v27, v28, v27
	s_delay_alu instid0(VALU_DEP_2) | instskip(NEXT) | instid1(VALU_DEP_1)
	v_sub_f32_e32 v28, v100, v101
	v_add_f32_e32 v27, v27, v28
	s_delay_alu instid0(VALU_DEP_1) | instskip(NEXT) | instid1(VALU_DEP_1)
	v_add_f32_e32 v27, v112, v27
	v_cndmask_b32_e32 v27, v27, v29, vcc_lo
	s_delay_alu instid0(VALU_DEP_1) | instskip(NEXT) | instid1(VALU_DEP_1)
	v_add_f32_e32 v26, v26, v27
	v_cvt_f16_f32_e32 v100, v26
.LBB410_91:
	s_or_b32 exec_lo, exec_lo, s24
	v_lshrrev_b32_e32 v26, 5, v0
	v_cmp_gt_u32_e32 vcc_lo, 32, v0
	s_delay_alu instid0(VALU_DEP_2)
	v_add_lshl_u32 v26, v26, v0, 1
	ds_store_b16 v26, v100
	s_waitcnt lgkmcnt(0)
	s_barrier
	buffer_gl0_inv
	s_and_saveexec_b32 s26, vcc_lo
	s_cbranch_execz .LBB410_119
; %bb.92:
	v_lshrrev_b32_e32 v26, 3, v0
	s_delay_alu instid0(VALU_DEP_1) | instskip(NEXT) | instid1(VALU_DEP_1)
	v_and_b32_e32 v26, 0x7e, v26
	v_lshl_or_b32 v26, v0, 2, v26
	ds_load_u16 v101, v26
	ds_load_u16 v28, v26 offset:2
	s_waitcnt lgkmcnt(1)
	v_cvt_f32_f16_e32 v27, v101
	s_waitcnt lgkmcnt(0)
	v_cvt_f32_f16_e32 v102, v28
	v_cmp_u_f16_e64 s24, v101, v101
	v_cmp_u_f16_e64 s25, v28, v28
	s_delay_alu instid0(VALU_DEP_3) | instskip(SKIP_1) | instid1(VALU_DEP_2)
	v_min_f32_e32 v29, v27, v102
	v_max_f32_e32 v103, v27, v102
	v_cndmask_b32_e64 v29, v29, v27, s24
	s_delay_alu instid0(VALU_DEP_2) | instskip(NEXT) | instid1(VALU_DEP_2)
	v_cndmask_b32_e64 v103, v103, v27, s24
	v_cndmask_b32_e64 v29, v29, v102, s25
	s_delay_alu instid0(VALU_DEP_2) | instskip(NEXT) | instid1(VALU_DEP_2)
	v_cndmask_b32_e64 v28, v103, v102, s25
	v_cmp_class_f32_e64 s27, v29, 0x1f8
	s_delay_alu instid0(VALU_DEP_2) | instskip(NEXT) | instid1(VALU_DEP_1)
	v_cmp_neq_f32_e64 s25, v29, v28
	s_or_b32 s25, s25, s27
	s_delay_alu instid0(SALU_CYCLE_1)
	s_and_saveexec_b32 s27, s25
	s_cbranch_execz .LBB410_94
; %bb.93:
	v_sub_f32_e32 v29, v29, v28
	s_delay_alu instid0(VALU_DEP_1) | instskip(SKIP_1) | instid1(VALU_DEP_2)
	v_mul_f32_e32 v101, 0x3fb8aa3b, v29
	v_cmp_ngt_f32_e64 s25, 0xc2ce8ed0, v29
	v_fma_f32 v102, 0x3fb8aa3b, v29, -v101
	v_rndne_f32_e32 v103, v101
	s_delay_alu instid0(VALU_DEP_2) | instskip(NEXT) | instid1(VALU_DEP_2)
	v_fmamk_f32 v102, v29, 0x32a5705f, v102
	v_sub_f32_e32 v101, v101, v103
	s_delay_alu instid0(VALU_DEP_1) | instskip(SKIP_1) | instid1(VALU_DEP_2)
	v_add_f32_e32 v101, v101, v102
	v_cvt_i32_f32_e32 v102, v103
	v_exp_f32_e32 v101, v101
	s_waitcnt_depctr 0xfff
	v_ldexp_f32 v101, v101, v102
	s_delay_alu instid0(VALU_DEP_1) | instskip(SKIP_1) | instid1(VALU_DEP_1)
	v_cndmask_b32_e64 v101, 0, v101, s25
	v_cmp_nlt_f32_e64 s25, 0x42b17218, v29
	v_cndmask_b32_e64 v29, 0x7f800000, v101, s25
	s_delay_alu instid0(VALU_DEP_1) | instskip(SKIP_1) | instid1(VALU_DEP_2)
	v_add_f32_e32 v103, 1.0, v29
	v_cmp_gt_f32_e64 vcc_hi, 0x33800000, |v29|
	v_cvt_f64_f32_e32 v[101:102], v103
	s_delay_alu instid0(VALU_DEP_1) | instskip(SKIP_1) | instid1(VALU_DEP_1)
	v_frexp_exp_i32_f64_e32 v101, v[101:102]
	v_frexp_mant_f32_e32 v102, v103
	v_cmp_gt_f32_e64 s25, 0x3f2aaaab, v102
	v_add_f32_e32 v102, -1.0, v103
	s_delay_alu instid0(VALU_DEP_1) | instskip(NEXT) | instid1(VALU_DEP_3)
	v_dual_sub_f32 v113, v102, v103 :: v_dual_sub_f32 v102, v29, v102
	v_subrev_co_ci_u32_e64 v101, s25, 0, v101, s25
	s_mov_b32 s25, 0x3e9b6dac
	s_delay_alu instid0(VALU_DEP_1) | instskip(SKIP_1) | instid1(VALU_DEP_2)
	v_sub_nc_u32_e32 v112, 0, v101
	v_cvt_f32_i32_e32 v101, v101
	v_ldexp_f32 v103, v103, v112
	s_delay_alu instid0(VALU_DEP_1) | instskip(NEXT) | instid1(VALU_DEP_1)
	v_dual_add_f32 v113, 1.0, v113 :: v_dual_add_f32 v114, 1.0, v103
	v_add_f32_e32 v102, v102, v113
	s_delay_alu instid0(VALU_DEP_1) | instskip(NEXT) | instid1(VALU_DEP_3)
	v_ldexp_f32 v102, v102, v112
	v_dual_add_f32 v112, -1.0, v103 :: v_dual_add_f32 v113, -1.0, v114
	s_delay_alu instid0(VALU_DEP_1) | instskip(NEXT) | instid1(VALU_DEP_2)
	v_add_f32_e32 v115, 1.0, v112
	v_sub_f32_e32 v113, v103, v113
	s_delay_alu instid0(VALU_DEP_2) | instskip(NEXT) | instid1(VALU_DEP_2)
	v_sub_f32_e32 v103, v103, v115
	v_add_f32_e32 v113, v102, v113
	s_delay_alu instid0(VALU_DEP_2) | instskip(NEXT) | instid1(VALU_DEP_1)
	v_add_f32_e32 v102, v102, v103
	v_dual_add_f32 v116, v112, v102 :: v_dual_add_f32 v115, v114, v113
	s_delay_alu instid0(VALU_DEP_1) | instskip(NEXT) | instid1(VALU_DEP_2)
	v_sub_f32_e32 v112, v112, v116
	v_rcp_f32_e32 v103, v115
	v_sub_f32_e32 v114, v114, v115
	s_delay_alu instid0(VALU_DEP_1) | instskip(SKIP_2) | instid1(VALU_DEP_1)
	v_dual_add_f32 v102, v102, v112 :: v_dual_add_f32 v113, v113, v114
	s_waitcnt_depctr 0xfff
	v_mul_f32_e32 v117, v116, v103
	v_mul_f32_e32 v118, v115, v117
	s_delay_alu instid0(VALU_DEP_1) | instskip(NEXT) | instid1(VALU_DEP_1)
	v_fma_f32 v114, v117, v115, -v118
	v_fmac_f32_e32 v114, v117, v113
	s_delay_alu instid0(VALU_DEP_1) | instskip(NEXT) | instid1(VALU_DEP_1)
	v_add_f32_e32 v119, v118, v114
	v_sub_f32_e32 v128, v116, v119
	v_sub_f32_e32 v112, v119, v118
	s_delay_alu instid0(VALU_DEP_2) | instskip(NEXT) | instid1(VALU_DEP_2)
	v_sub_f32_e32 v116, v116, v128
	v_sub_f32_e32 v112, v112, v114
	s_delay_alu instid0(VALU_DEP_2) | instskip(NEXT) | instid1(VALU_DEP_1)
	v_sub_f32_e32 v116, v116, v119
	v_add_f32_e32 v102, v102, v116
	s_delay_alu instid0(VALU_DEP_1) | instskip(NEXT) | instid1(VALU_DEP_1)
	v_add_f32_e32 v102, v112, v102
	v_add_f32_e32 v112, v128, v102
	s_delay_alu instid0(VALU_DEP_1) | instskip(NEXT) | instid1(VALU_DEP_1)
	v_mul_f32_e32 v114, v103, v112
	v_dual_sub_f32 v119, v128, v112 :: v_dual_mul_f32 v116, v115, v114
	s_delay_alu instid0(VALU_DEP_1) | instskip(NEXT) | instid1(VALU_DEP_2)
	v_add_f32_e32 v102, v102, v119
	v_fma_f32 v115, v114, v115, -v116
	s_delay_alu instid0(VALU_DEP_1) | instskip(NEXT) | instid1(VALU_DEP_1)
	v_fmac_f32_e32 v115, v114, v113
	v_add_f32_e32 v113, v116, v115
	s_delay_alu instid0(VALU_DEP_1) | instskip(NEXT) | instid1(VALU_DEP_1)
	v_sub_f32_e32 v118, v112, v113
	v_sub_f32_e32 v112, v112, v118
	s_delay_alu instid0(VALU_DEP_1) | instskip(NEXT) | instid1(VALU_DEP_1)
	v_sub_f32_e32 v112, v112, v113
	v_add_f32_e32 v102, v102, v112
	v_add_f32_e32 v112, v117, v114
	v_sub_f32_e32 v116, v113, v116
	s_delay_alu instid0(VALU_DEP_1) | instskip(NEXT) | instid1(VALU_DEP_1)
	v_sub_f32_e32 v113, v116, v115
	v_dual_add_f32 v102, v113, v102 :: v_dual_sub_f32 v113, v112, v117
	s_delay_alu instid0(VALU_DEP_1) | instskip(NEXT) | instid1(VALU_DEP_1)
	v_add_f32_e32 v102, v118, v102
	v_dual_sub_f32 v113, v114, v113 :: v_dual_mul_f32 v102, v103, v102
	s_delay_alu instid0(VALU_DEP_1) | instskip(NEXT) | instid1(VALU_DEP_1)
	v_add_f32_e32 v102, v113, v102
	v_add_f32_e32 v103, v112, v102
	s_delay_alu instid0(VALU_DEP_1) | instskip(NEXT) | instid1(VALU_DEP_1)
	v_mul_f32_e32 v113, v103, v103
	v_fmaak_f32 v114, s25, v113, 0x3ecc95a3
	v_mul_f32_e32 v115, v103, v113
	v_cmp_eq_f32_e64 s25, 0x7f800000, v29
	s_delay_alu instid0(VALU_DEP_3) | instskip(SKIP_2) | instid1(VALU_DEP_4)
	v_fmaak_f32 v113, v113, v114, 0x3f2aaada
	v_ldexp_f32 v114, v103, 1
	v_sub_f32_e32 v103, v103, v112
	s_or_b32 s25, s25, vcc_hi
	s_delay_alu instid0(VALU_DEP_3) | instskip(NEXT) | instid1(VALU_DEP_2)
	v_mul_f32_e32 v113, v115, v113
	v_dual_mul_f32 v115, 0x3f317218, v101 :: v_dual_sub_f32 v102, v102, v103
	s_delay_alu instid0(VALU_DEP_2) | instskip(NEXT) | instid1(VALU_DEP_2)
	v_add_f32_e32 v112, v114, v113
	v_ldexp_f32 v102, v102, 1
	s_delay_alu instid0(VALU_DEP_2) | instskip(NEXT) | instid1(VALU_DEP_4)
	v_sub_f32_e32 v103, v112, v114
	v_fma_f32 v114, 0x3f317218, v101, -v115
	s_delay_alu instid0(VALU_DEP_2) | instskip(NEXT) | instid1(VALU_DEP_1)
	v_sub_f32_e32 v103, v113, v103
	v_dual_fmamk_f32 v101, v101, 0xb102e308, v114 :: v_dual_add_f32 v102, v102, v103
	s_delay_alu instid0(VALU_DEP_1) | instskip(NEXT) | instid1(VALU_DEP_1)
	v_add_f32_e32 v103, v115, v101
	v_sub_f32_e32 v115, v103, v115
	s_delay_alu instid0(VALU_DEP_1) | instskip(NEXT) | instid1(VALU_DEP_4)
	v_sub_f32_e32 v101, v101, v115
	v_add_f32_e32 v113, v112, v102
	s_delay_alu instid0(VALU_DEP_1) | instskip(NEXT) | instid1(VALU_DEP_1)
	v_sub_f32_e32 v112, v113, v112
	v_sub_f32_e32 v102, v102, v112
	v_add_f32_e32 v114, v103, v113
	s_delay_alu instid0(VALU_DEP_1) | instskip(NEXT) | instid1(VALU_DEP_1)
	v_sub_f32_e32 v116, v114, v103
	v_sub_f32_e32 v112, v113, v116
	s_delay_alu instid0(VALU_DEP_4) | instskip(SKIP_1) | instid1(VALU_DEP_1)
	v_add_f32_e32 v113, v101, v102
	v_sub_f32_e32 v117, v114, v116
	v_sub_f32_e32 v103, v103, v117
	s_delay_alu instid0(VALU_DEP_1) | instskip(NEXT) | instid1(VALU_DEP_1)
	v_dual_add_f32 v103, v112, v103 :: v_dual_sub_f32 v112, v113, v101
	v_dual_add_f32 v103, v113, v103 :: v_dual_sub_f32 v102, v102, v112
	v_sub_f32_e32 v113, v113, v112
	s_delay_alu instid0(VALU_DEP_2) | instskip(NEXT) | instid1(VALU_DEP_1)
	v_add_f32_e32 v115, v114, v103
	v_dual_sub_f32 v101, v101, v113 :: v_dual_sub_f32 v112, v115, v114
	s_delay_alu instid0(VALU_DEP_1) | instskip(NEXT) | instid1(VALU_DEP_1)
	v_dual_add_f32 v101, v102, v101 :: v_dual_sub_f32 v102, v103, v112
	v_add_f32_e32 v101, v101, v102
	s_delay_alu instid0(VALU_DEP_1) | instskip(NEXT) | instid1(VALU_DEP_1)
	v_add_f32_e32 v101, v115, v101
	v_cndmask_b32_e64 v29, v101, v29, s25
	s_delay_alu instid0(VALU_DEP_1) | instskip(NEXT) | instid1(VALU_DEP_1)
	v_add_f32_e32 v28, v28, v29
	v_cvt_f16_f32_e32 v101, v28
.LBB410_94:
	s_or_b32 exec_lo, exec_lo, s27
	v_mbcnt_lo_u32_b32 v28, -1, 0
	s_delay_alu instid0(VALU_DEP_2) | instskip(SKIP_1) | instid1(VALU_DEP_2)
	v_and_b32_e32 v102, 0xffff, v101
	s_mov_b32 s27, exec_lo
	v_and_b32_e32 v29, 15, v28
	s_delay_alu instid0(VALU_DEP_2) | instskip(NEXT) | instid1(VALU_DEP_2)
	v_mov_b32_dpp v103, v102 row_shr:1 row_mask:0xf bank_mask:0xf
	v_cmpx_ne_u32_e32 0, v29
	s_cbranch_execz .LBB410_98
; %bb.95:
	s_delay_alu instid0(VALU_DEP_2) | instskip(SKIP_2) | instid1(VALU_DEP_2)
	v_cvt_f32_f16_e32 v102, v103
	v_cvt_f32_f16_e32 v112, v101
	v_cmp_u_f16_e64 s25, v103, v103
	v_min_f32_e32 v113, v102, v112
	v_max_f32_e32 v114, v102, v112
	s_delay_alu instid0(VALU_DEP_2) | instskip(NEXT) | instid1(VALU_DEP_2)
	v_cndmask_b32_e64 v113, v113, v102, s25
	v_cndmask_b32_e64 v114, v114, v102, s25
	v_cmp_u_f16_e64 s25, v101, v101
	s_delay_alu instid0(VALU_DEP_1) | instskip(NEXT) | instid1(VALU_DEP_3)
	v_cndmask_b32_e64 v102, v113, v112, s25
	v_cndmask_b32_e64 v101, v114, v112, s25
	s_delay_alu instid0(VALU_DEP_2) | instskip(NEXT) | instid1(VALU_DEP_2)
	v_cmp_class_f32_e64 vcc_hi, v102, 0x1f8
	v_cmp_neq_f32_e64 s25, v102, v101
	s_delay_alu instid0(VALU_DEP_1) | instskip(NEXT) | instid1(SALU_CYCLE_1)
	s_or_b32 s25, s25, vcc_hi
	s_and_saveexec_b32 vcc_hi, s25
	s_cbranch_execz .LBB410_97
; %bb.96:
	v_sub_f32_e32 v102, v102, v101
	s_delay_alu instid0(VALU_DEP_1) | instskip(NEXT) | instid1(VALU_DEP_1)
	v_mul_f32_e32 v103, 0x3fb8aa3b, v102
	v_fma_f32 v112, 0x3fb8aa3b, v102, -v103
	v_rndne_f32_e32 v113, v103
	s_delay_alu instid0(VALU_DEP_1) | instskip(NEXT) | instid1(VALU_DEP_1)
	v_dual_fmamk_f32 v112, v102, 0x32a5705f, v112 :: v_dual_sub_f32 v103, v103, v113
	v_add_f32_e32 v103, v103, v112
	v_cvt_i32_f32_e32 v112, v113
	v_cmp_ngt_f32_e64 s25, 0xc2ce8ed0, v102
	s_delay_alu instid0(VALU_DEP_3) | instskip(SKIP_2) | instid1(VALU_DEP_1)
	v_exp_f32_e32 v103, v103
	s_waitcnt_depctr 0xfff
	v_ldexp_f32 v103, v103, v112
	v_cndmask_b32_e64 v103, 0, v103, s25
	v_cmp_nlt_f32_e64 s25, 0x42b17218, v102
	s_delay_alu instid0(VALU_DEP_1) | instskip(NEXT) | instid1(VALU_DEP_1)
	v_cndmask_b32_e64 v112, 0x7f800000, v103, s25
	v_add_f32_e32 v113, 1.0, v112
	v_cmp_gt_f32_e64 s30, 0x33800000, |v112|
	s_delay_alu instid0(VALU_DEP_2) | instskip(NEXT) | instid1(VALU_DEP_1)
	v_cvt_f64_f32_e32 v[102:103], v113
	v_frexp_exp_i32_f64_e32 v102, v[102:103]
	v_frexp_mant_f32_e32 v103, v113
	s_delay_alu instid0(VALU_DEP_1) | instskip(SKIP_1) | instid1(VALU_DEP_1)
	v_cmp_gt_f32_e64 s25, 0x3f2aaaab, v103
	v_add_f32_e32 v103, -1.0, v113
	v_sub_f32_e32 v115, v103, v113
	s_delay_alu instid0(VALU_DEP_3) | instskip(SKIP_1) | instid1(VALU_DEP_1)
	v_subrev_co_ci_u32_e64 v102, s25, 0, v102, s25
	s_mov_b32 s25, 0x3e9b6dac
	v_sub_nc_u32_e32 v114, 0, v102
	v_cvt_f32_i32_e32 v102, v102
	s_delay_alu instid0(VALU_DEP_2) | instskip(NEXT) | instid1(VALU_DEP_1)
	v_ldexp_f32 v113, v113, v114
	v_dual_sub_f32 v103, v112, v103 :: v_dual_add_f32 v116, 1.0, v113
	v_add_f32_e32 v115, 1.0, v115
	s_delay_alu instid0(VALU_DEP_1) | instskip(NEXT) | instid1(VALU_DEP_3)
	v_add_f32_e32 v103, v103, v115
	v_add_f32_e32 v115, -1.0, v116
	s_delay_alu instid0(VALU_DEP_2) | instskip(NEXT) | instid1(VALU_DEP_2)
	v_ldexp_f32 v103, v103, v114
	v_dual_add_f32 v114, -1.0, v113 :: v_dual_sub_f32 v115, v113, v115
	s_delay_alu instid0(VALU_DEP_1) | instskip(NEXT) | instid1(VALU_DEP_2)
	v_add_f32_e32 v117, 1.0, v114
	v_add_f32_e32 v115, v103, v115
	s_delay_alu instid0(VALU_DEP_2) | instskip(NEXT) | instid1(VALU_DEP_2)
	v_sub_f32_e32 v113, v113, v117
	v_add_f32_e32 v117, v116, v115
	s_delay_alu instid0(VALU_DEP_2) | instskip(NEXT) | instid1(VALU_DEP_2)
	v_add_f32_e32 v103, v103, v113
	v_rcp_f32_e32 v113, v117
	v_sub_f32_e32 v116, v116, v117
	s_delay_alu instid0(VALU_DEP_1) | instskip(NEXT) | instid1(VALU_DEP_1)
	v_dual_add_f32 v118, v114, v103 :: v_dual_add_f32 v115, v115, v116
	v_sub_f32_e32 v114, v114, v118
	s_waitcnt_depctr 0xfff
	v_mul_f32_e32 v119, v118, v113
	s_delay_alu instid0(VALU_DEP_1) | instskip(NEXT) | instid1(VALU_DEP_1)
	v_dual_add_f32 v103, v103, v114 :: v_dual_mul_f32 v128, v117, v119
	v_fma_f32 v116, v119, v117, -v128
	s_delay_alu instid0(VALU_DEP_1) | instskip(NEXT) | instid1(VALU_DEP_1)
	v_fmac_f32_e32 v116, v119, v115
	v_add_f32_e32 v129, v128, v116
	s_delay_alu instid0(VALU_DEP_1) | instskip(SKIP_1) | instid1(VALU_DEP_2)
	v_sub_f32_e32 v130, v118, v129
	v_sub_f32_e32 v114, v129, v128
	;; [unrolled: 1-line block ×3, first 2 shown]
	s_delay_alu instid0(VALU_DEP_2) | instskip(NEXT) | instid1(VALU_DEP_2)
	v_sub_f32_e32 v114, v114, v116
	v_sub_f32_e32 v118, v118, v129
	s_delay_alu instid0(VALU_DEP_1) | instskip(NEXT) | instid1(VALU_DEP_1)
	v_add_f32_e32 v103, v103, v118
	v_add_f32_e32 v103, v114, v103
	s_delay_alu instid0(VALU_DEP_1) | instskip(NEXT) | instid1(VALU_DEP_1)
	v_add_f32_e32 v114, v130, v103
	v_mul_f32_e32 v116, v113, v114
	s_delay_alu instid0(VALU_DEP_1) | instskip(NEXT) | instid1(VALU_DEP_1)
	v_dual_sub_f32 v129, v130, v114 :: v_dual_mul_f32 v118, v117, v116
	v_add_f32_e32 v103, v103, v129
	s_delay_alu instid0(VALU_DEP_2) | instskip(NEXT) | instid1(VALU_DEP_1)
	v_fma_f32 v117, v116, v117, -v118
	v_fmac_f32_e32 v117, v116, v115
	s_delay_alu instid0(VALU_DEP_1) | instskip(NEXT) | instid1(VALU_DEP_1)
	v_add_f32_e32 v115, v118, v117
	v_sub_f32_e32 v128, v114, v115
	v_sub_f32_e32 v118, v115, v118
	s_delay_alu instid0(VALU_DEP_2) | instskip(NEXT) | instid1(VALU_DEP_1)
	v_sub_f32_e32 v114, v114, v128
	v_sub_f32_e32 v114, v114, v115
	s_delay_alu instid0(VALU_DEP_3) | instskip(NEXT) | instid1(VALU_DEP_2)
	v_sub_f32_e32 v115, v118, v117
	v_add_f32_e32 v103, v103, v114
	v_add_f32_e32 v114, v119, v116
	s_delay_alu instid0(VALU_DEP_2) | instskip(NEXT) | instid1(VALU_DEP_2)
	v_add_f32_e32 v103, v115, v103
	v_sub_f32_e32 v115, v114, v119
	s_delay_alu instid0(VALU_DEP_2) | instskip(NEXT) | instid1(VALU_DEP_2)
	v_add_f32_e32 v103, v128, v103
	v_sub_f32_e32 v115, v116, v115
	s_delay_alu instid0(VALU_DEP_2) | instskip(NEXT) | instid1(VALU_DEP_1)
	v_mul_f32_e32 v103, v113, v103
	v_add_f32_e32 v103, v115, v103
	s_delay_alu instid0(VALU_DEP_1) | instskip(NEXT) | instid1(VALU_DEP_1)
	v_add_f32_e32 v113, v114, v103
	v_mul_f32_e32 v115, v113, v113
	s_delay_alu instid0(VALU_DEP_1) | instskip(SKIP_2) | instid1(VALU_DEP_3)
	v_fmaak_f32 v116, s25, v115, 0x3ecc95a3
	v_mul_f32_e32 v117, v113, v115
	v_cmp_eq_f32_e64 s25, 0x7f800000, v112
	v_fmaak_f32 v115, v115, v116, 0x3f2aaada
	v_ldexp_f32 v116, v113, 1
	v_sub_f32_e32 v113, v113, v114
	s_delay_alu instid0(VALU_DEP_4) | instskip(NEXT) | instid1(VALU_DEP_3)
	s_or_b32 s25, s25, s30
	v_mul_f32_e32 v115, v117, v115
	v_mul_f32_e32 v117, 0x3f317218, v102
	s_delay_alu instid0(VALU_DEP_2) | instskip(NEXT) | instid1(VALU_DEP_1)
	v_dual_sub_f32 v103, v103, v113 :: v_dual_add_f32 v114, v116, v115
	v_ldexp_f32 v103, v103, 1
	s_delay_alu instid0(VALU_DEP_2) | instskip(NEXT) | instid1(VALU_DEP_4)
	v_sub_f32_e32 v113, v114, v116
	v_fma_f32 v116, 0x3f317218, v102, -v117
	s_delay_alu instid0(VALU_DEP_1) | instskip(NEXT) | instid1(VALU_DEP_1)
	v_dual_sub_f32 v113, v115, v113 :: v_dual_fmamk_f32 v102, v102, 0xb102e308, v116
	v_add_f32_e32 v103, v103, v113
	s_delay_alu instid0(VALU_DEP_2) | instskip(NEXT) | instid1(VALU_DEP_2)
	v_add_f32_e32 v113, v117, v102
	v_add_f32_e32 v115, v114, v103
	s_delay_alu instid0(VALU_DEP_2) | instskip(NEXT) | instid1(VALU_DEP_2)
	v_sub_f32_e32 v117, v113, v117
	v_add_f32_e32 v116, v113, v115
	v_sub_f32_e32 v114, v115, v114
	s_delay_alu instid0(VALU_DEP_3) | instskip(NEXT) | instid1(VALU_DEP_2)
	v_sub_f32_e32 v102, v102, v117
	v_dual_sub_f32 v118, v116, v113 :: v_dual_sub_f32 v103, v103, v114
	s_delay_alu instid0(VALU_DEP_1) | instskip(NEXT) | instid1(VALU_DEP_2)
	v_sub_f32_e32 v119, v116, v118
	v_dual_sub_f32 v114, v115, v118 :: v_dual_add_f32 v115, v102, v103
	s_delay_alu instid0(VALU_DEP_2) | instskip(NEXT) | instid1(VALU_DEP_1)
	v_sub_f32_e32 v113, v113, v119
	v_dual_add_f32 v113, v114, v113 :: v_dual_sub_f32 v114, v115, v102
	s_delay_alu instid0(VALU_DEP_1) | instskip(NEXT) | instid1(VALU_DEP_2)
	v_add_f32_e32 v113, v115, v113
	v_sub_f32_e32 v115, v115, v114
	v_sub_f32_e32 v103, v103, v114
	s_delay_alu instid0(VALU_DEP_2) | instskip(NEXT) | instid1(VALU_DEP_1)
	v_dual_add_f32 v117, v116, v113 :: v_dual_sub_f32 v102, v102, v115
	v_sub_f32_e32 v114, v117, v116
	s_delay_alu instid0(VALU_DEP_2) | instskip(NEXT) | instid1(VALU_DEP_2)
	v_add_f32_e32 v102, v103, v102
	v_sub_f32_e32 v103, v113, v114
	s_delay_alu instid0(VALU_DEP_1) | instskip(NEXT) | instid1(VALU_DEP_1)
	v_add_f32_e32 v102, v102, v103
	v_add_f32_e32 v102, v117, v102
	s_delay_alu instid0(VALU_DEP_1) | instskip(NEXT) | instid1(VALU_DEP_1)
	v_cndmask_b32_e64 v102, v102, v112, s25
	v_add_f32_e32 v101, v101, v102
	s_delay_alu instid0(VALU_DEP_1)
	v_cvt_f16_f32_e32 v103, v101
.LBB410_97:
	s_or_b32 exec_lo, exec_lo, vcc_hi
	s_delay_alu instid0(VALU_DEP_1)
	v_dual_mov_b32 v101, v103 :: v_dual_and_b32 v102, 0xffff, v103
.LBB410_98:
	s_or_b32 exec_lo, exec_lo, s27
	s_delay_alu instid0(VALU_DEP_1)
	v_mov_b32_dpp v103, v102 row_shr:2 row_mask:0xf bank_mask:0xf
	s_mov_b32 s27, exec_lo
	v_cmpx_lt_u32_e32 1, v29
	s_cbranch_execz .LBB410_102
; %bb.99:
	s_delay_alu instid0(VALU_DEP_2) | instskip(SKIP_2) | instid1(VALU_DEP_2)
	v_cvt_f32_f16_e32 v102, v103
	v_cvt_f32_f16_e32 v112, v101
	v_cmp_u_f16_e64 s25, v103, v103
	v_min_f32_e32 v113, v102, v112
	v_max_f32_e32 v114, v102, v112
	s_delay_alu instid0(VALU_DEP_2) | instskip(NEXT) | instid1(VALU_DEP_2)
	v_cndmask_b32_e64 v113, v113, v102, s25
	v_cndmask_b32_e64 v114, v114, v102, s25
	v_cmp_u_f16_e64 s25, v101, v101
	s_delay_alu instid0(VALU_DEP_1) | instskip(NEXT) | instid1(VALU_DEP_3)
	v_cndmask_b32_e64 v102, v113, v112, s25
	v_cndmask_b32_e64 v101, v114, v112, s25
	s_delay_alu instid0(VALU_DEP_2) | instskip(NEXT) | instid1(VALU_DEP_2)
	v_cmp_class_f32_e64 vcc_hi, v102, 0x1f8
	v_cmp_neq_f32_e64 s25, v102, v101
	s_delay_alu instid0(VALU_DEP_1) | instskip(NEXT) | instid1(SALU_CYCLE_1)
	s_or_b32 s25, s25, vcc_hi
	s_and_saveexec_b32 vcc_hi, s25
	s_cbranch_execz .LBB410_101
; %bb.100:
	v_sub_f32_e32 v102, v102, v101
	s_delay_alu instid0(VALU_DEP_1) | instskip(NEXT) | instid1(VALU_DEP_1)
	v_mul_f32_e32 v103, 0x3fb8aa3b, v102
	v_fma_f32 v112, 0x3fb8aa3b, v102, -v103
	v_rndne_f32_e32 v113, v103
	s_delay_alu instid0(VALU_DEP_1) | instskip(NEXT) | instid1(VALU_DEP_1)
	v_dual_fmamk_f32 v112, v102, 0x32a5705f, v112 :: v_dual_sub_f32 v103, v103, v113
	v_add_f32_e32 v103, v103, v112
	v_cvt_i32_f32_e32 v112, v113
	v_cmp_ngt_f32_e64 s25, 0xc2ce8ed0, v102
	s_delay_alu instid0(VALU_DEP_3) | instskip(SKIP_2) | instid1(VALU_DEP_1)
	v_exp_f32_e32 v103, v103
	s_waitcnt_depctr 0xfff
	v_ldexp_f32 v103, v103, v112
	v_cndmask_b32_e64 v103, 0, v103, s25
	v_cmp_nlt_f32_e64 s25, 0x42b17218, v102
	s_delay_alu instid0(VALU_DEP_1) | instskip(NEXT) | instid1(VALU_DEP_1)
	v_cndmask_b32_e64 v112, 0x7f800000, v103, s25
	v_add_f32_e32 v113, 1.0, v112
	v_cmp_gt_f32_e64 s30, 0x33800000, |v112|
	s_delay_alu instid0(VALU_DEP_2) | instskip(NEXT) | instid1(VALU_DEP_1)
	v_cvt_f64_f32_e32 v[102:103], v113
	v_frexp_exp_i32_f64_e32 v102, v[102:103]
	v_frexp_mant_f32_e32 v103, v113
	s_delay_alu instid0(VALU_DEP_1) | instskip(SKIP_1) | instid1(VALU_DEP_1)
	v_cmp_gt_f32_e64 s25, 0x3f2aaaab, v103
	v_add_f32_e32 v103, -1.0, v113
	v_sub_f32_e32 v115, v103, v113
	s_delay_alu instid0(VALU_DEP_3) | instskip(SKIP_1) | instid1(VALU_DEP_1)
	v_subrev_co_ci_u32_e64 v102, s25, 0, v102, s25
	s_mov_b32 s25, 0x3e9b6dac
	v_sub_nc_u32_e32 v114, 0, v102
	v_cvt_f32_i32_e32 v102, v102
	s_delay_alu instid0(VALU_DEP_2) | instskip(NEXT) | instid1(VALU_DEP_1)
	v_ldexp_f32 v113, v113, v114
	v_dual_sub_f32 v103, v112, v103 :: v_dual_add_f32 v116, 1.0, v113
	v_add_f32_e32 v115, 1.0, v115
	s_delay_alu instid0(VALU_DEP_1) | instskip(NEXT) | instid1(VALU_DEP_3)
	v_add_f32_e32 v103, v103, v115
	v_add_f32_e32 v115, -1.0, v116
	s_delay_alu instid0(VALU_DEP_2) | instskip(NEXT) | instid1(VALU_DEP_2)
	v_ldexp_f32 v103, v103, v114
	v_dual_add_f32 v114, -1.0, v113 :: v_dual_sub_f32 v115, v113, v115
	s_delay_alu instid0(VALU_DEP_1) | instskip(NEXT) | instid1(VALU_DEP_2)
	v_add_f32_e32 v117, 1.0, v114
	v_add_f32_e32 v115, v103, v115
	s_delay_alu instid0(VALU_DEP_2) | instskip(NEXT) | instid1(VALU_DEP_2)
	v_sub_f32_e32 v113, v113, v117
	v_add_f32_e32 v117, v116, v115
	s_delay_alu instid0(VALU_DEP_2) | instskip(NEXT) | instid1(VALU_DEP_2)
	v_add_f32_e32 v103, v103, v113
	v_rcp_f32_e32 v113, v117
	v_sub_f32_e32 v116, v116, v117
	s_delay_alu instid0(VALU_DEP_1) | instskip(NEXT) | instid1(VALU_DEP_1)
	v_dual_add_f32 v118, v114, v103 :: v_dual_add_f32 v115, v115, v116
	v_sub_f32_e32 v114, v114, v118
	s_waitcnt_depctr 0xfff
	v_mul_f32_e32 v119, v118, v113
	s_delay_alu instid0(VALU_DEP_1) | instskip(NEXT) | instid1(VALU_DEP_1)
	v_dual_add_f32 v103, v103, v114 :: v_dual_mul_f32 v128, v117, v119
	v_fma_f32 v116, v119, v117, -v128
	s_delay_alu instid0(VALU_DEP_1) | instskip(NEXT) | instid1(VALU_DEP_1)
	v_fmac_f32_e32 v116, v119, v115
	v_add_f32_e32 v129, v128, v116
	s_delay_alu instid0(VALU_DEP_1) | instskip(SKIP_1) | instid1(VALU_DEP_2)
	v_sub_f32_e32 v130, v118, v129
	v_sub_f32_e32 v114, v129, v128
	v_sub_f32_e32 v118, v118, v130
	s_delay_alu instid0(VALU_DEP_2) | instskip(NEXT) | instid1(VALU_DEP_2)
	v_sub_f32_e32 v114, v114, v116
	v_sub_f32_e32 v118, v118, v129
	s_delay_alu instid0(VALU_DEP_1) | instskip(NEXT) | instid1(VALU_DEP_1)
	v_add_f32_e32 v103, v103, v118
	v_add_f32_e32 v103, v114, v103
	s_delay_alu instid0(VALU_DEP_1) | instskip(NEXT) | instid1(VALU_DEP_1)
	v_add_f32_e32 v114, v130, v103
	v_mul_f32_e32 v116, v113, v114
	s_delay_alu instid0(VALU_DEP_1) | instskip(NEXT) | instid1(VALU_DEP_1)
	v_dual_sub_f32 v129, v130, v114 :: v_dual_mul_f32 v118, v117, v116
	v_add_f32_e32 v103, v103, v129
	s_delay_alu instid0(VALU_DEP_2) | instskip(NEXT) | instid1(VALU_DEP_1)
	v_fma_f32 v117, v116, v117, -v118
	v_fmac_f32_e32 v117, v116, v115
	s_delay_alu instid0(VALU_DEP_1) | instskip(NEXT) | instid1(VALU_DEP_1)
	v_add_f32_e32 v115, v118, v117
	v_sub_f32_e32 v128, v114, v115
	v_sub_f32_e32 v118, v115, v118
	s_delay_alu instid0(VALU_DEP_2) | instskip(NEXT) | instid1(VALU_DEP_1)
	v_sub_f32_e32 v114, v114, v128
	v_sub_f32_e32 v114, v114, v115
	s_delay_alu instid0(VALU_DEP_3) | instskip(NEXT) | instid1(VALU_DEP_2)
	v_sub_f32_e32 v115, v118, v117
	v_add_f32_e32 v103, v103, v114
	v_add_f32_e32 v114, v119, v116
	s_delay_alu instid0(VALU_DEP_2) | instskip(NEXT) | instid1(VALU_DEP_2)
	v_add_f32_e32 v103, v115, v103
	v_sub_f32_e32 v115, v114, v119
	s_delay_alu instid0(VALU_DEP_2) | instskip(NEXT) | instid1(VALU_DEP_2)
	v_add_f32_e32 v103, v128, v103
	v_sub_f32_e32 v115, v116, v115
	s_delay_alu instid0(VALU_DEP_2) | instskip(NEXT) | instid1(VALU_DEP_1)
	v_mul_f32_e32 v103, v113, v103
	v_add_f32_e32 v103, v115, v103
	s_delay_alu instid0(VALU_DEP_1) | instskip(NEXT) | instid1(VALU_DEP_1)
	v_add_f32_e32 v113, v114, v103
	v_mul_f32_e32 v115, v113, v113
	s_delay_alu instid0(VALU_DEP_1) | instskip(SKIP_2) | instid1(VALU_DEP_3)
	v_fmaak_f32 v116, s25, v115, 0x3ecc95a3
	v_mul_f32_e32 v117, v113, v115
	v_cmp_eq_f32_e64 s25, 0x7f800000, v112
	v_fmaak_f32 v115, v115, v116, 0x3f2aaada
	v_ldexp_f32 v116, v113, 1
	v_sub_f32_e32 v113, v113, v114
	s_delay_alu instid0(VALU_DEP_4) | instskip(NEXT) | instid1(VALU_DEP_3)
	s_or_b32 s25, s25, s30
	v_mul_f32_e32 v115, v117, v115
	v_mul_f32_e32 v117, 0x3f317218, v102
	s_delay_alu instid0(VALU_DEP_2) | instskip(NEXT) | instid1(VALU_DEP_1)
	v_dual_sub_f32 v103, v103, v113 :: v_dual_add_f32 v114, v116, v115
	v_ldexp_f32 v103, v103, 1
	s_delay_alu instid0(VALU_DEP_2) | instskip(NEXT) | instid1(VALU_DEP_4)
	v_sub_f32_e32 v113, v114, v116
	v_fma_f32 v116, 0x3f317218, v102, -v117
	s_delay_alu instid0(VALU_DEP_1) | instskip(NEXT) | instid1(VALU_DEP_1)
	v_dual_sub_f32 v113, v115, v113 :: v_dual_fmamk_f32 v102, v102, 0xb102e308, v116
	v_add_f32_e32 v103, v103, v113
	s_delay_alu instid0(VALU_DEP_2) | instskip(NEXT) | instid1(VALU_DEP_2)
	v_add_f32_e32 v113, v117, v102
	v_add_f32_e32 v115, v114, v103
	s_delay_alu instid0(VALU_DEP_2) | instskip(NEXT) | instid1(VALU_DEP_2)
	v_sub_f32_e32 v117, v113, v117
	v_add_f32_e32 v116, v113, v115
	v_sub_f32_e32 v114, v115, v114
	s_delay_alu instid0(VALU_DEP_3) | instskip(NEXT) | instid1(VALU_DEP_2)
	v_sub_f32_e32 v102, v102, v117
	v_dual_sub_f32 v118, v116, v113 :: v_dual_sub_f32 v103, v103, v114
	s_delay_alu instid0(VALU_DEP_1) | instskip(NEXT) | instid1(VALU_DEP_2)
	v_sub_f32_e32 v119, v116, v118
	v_dual_sub_f32 v114, v115, v118 :: v_dual_add_f32 v115, v102, v103
	s_delay_alu instid0(VALU_DEP_2) | instskip(NEXT) | instid1(VALU_DEP_1)
	v_sub_f32_e32 v113, v113, v119
	v_dual_add_f32 v113, v114, v113 :: v_dual_sub_f32 v114, v115, v102
	s_delay_alu instid0(VALU_DEP_1) | instskip(NEXT) | instid1(VALU_DEP_2)
	v_add_f32_e32 v113, v115, v113
	v_sub_f32_e32 v115, v115, v114
	v_sub_f32_e32 v103, v103, v114
	s_delay_alu instid0(VALU_DEP_2) | instskip(NEXT) | instid1(VALU_DEP_1)
	v_dual_add_f32 v117, v116, v113 :: v_dual_sub_f32 v102, v102, v115
	v_sub_f32_e32 v114, v117, v116
	s_delay_alu instid0(VALU_DEP_2) | instskip(NEXT) | instid1(VALU_DEP_2)
	v_add_f32_e32 v102, v103, v102
	v_sub_f32_e32 v103, v113, v114
	s_delay_alu instid0(VALU_DEP_1) | instskip(NEXT) | instid1(VALU_DEP_1)
	v_add_f32_e32 v102, v102, v103
	v_add_f32_e32 v102, v117, v102
	s_delay_alu instid0(VALU_DEP_1) | instskip(NEXT) | instid1(VALU_DEP_1)
	v_cndmask_b32_e64 v102, v102, v112, s25
	v_add_f32_e32 v101, v101, v102
	s_delay_alu instid0(VALU_DEP_1)
	v_cvt_f16_f32_e32 v103, v101
.LBB410_101:
	s_or_b32 exec_lo, exec_lo, vcc_hi
	s_delay_alu instid0(VALU_DEP_1)
	v_dual_mov_b32 v101, v103 :: v_dual_and_b32 v102, 0xffff, v103
.LBB410_102:
	s_or_b32 exec_lo, exec_lo, s27
	s_delay_alu instid0(VALU_DEP_1)
	v_mov_b32_dpp v103, v102 row_shr:4 row_mask:0xf bank_mask:0xf
	s_mov_b32 s27, exec_lo
	v_cmpx_lt_u32_e32 3, v29
	s_cbranch_execz .LBB410_106
; %bb.103:
	s_delay_alu instid0(VALU_DEP_2) | instskip(SKIP_2) | instid1(VALU_DEP_2)
	v_cvt_f32_f16_e32 v102, v103
	v_cvt_f32_f16_e32 v112, v101
	v_cmp_u_f16_e64 s25, v103, v103
	v_min_f32_e32 v113, v102, v112
	v_max_f32_e32 v114, v102, v112
	s_delay_alu instid0(VALU_DEP_2) | instskip(NEXT) | instid1(VALU_DEP_2)
	v_cndmask_b32_e64 v113, v113, v102, s25
	v_cndmask_b32_e64 v114, v114, v102, s25
	v_cmp_u_f16_e64 s25, v101, v101
	s_delay_alu instid0(VALU_DEP_1) | instskip(NEXT) | instid1(VALU_DEP_3)
	v_cndmask_b32_e64 v102, v113, v112, s25
	v_cndmask_b32_e64 v101, v114, v112, s25
	s_delay_alu instid0(VALU_DEP_2) | instskip(NEXT) | instid1(VALU_DEP_2)
	v_cmp_class_f32_e64 vcc_hi, v102, 0x1f8
	v_cmp_neq_f32_e64 s25, v102, v101
	s_delay_alu instid0(VALU_DEP_1) | instskip(NEXT) | instid1(SALU_CYCLE_1)
	s_or_b32 s25, s25, vcc_hi
	s_and_saveexec_b32 vcc_hi, s25
	s_cbranch_execz .LBB410_105
; %bb.104:
	v_sub_f32_e32 v102, v102, v101
	s_delay_alu instid0(VALU_DEP_1) | instskip(NEXT) | instid1(VALU_DEP_1)
	v_mul_f32_e32 v103, 0x3fb8aa3b, v102
	v_fma_f32 v112, 0x3fb8aa3b, v102, -v103
	v_rndne_f32_e32 v113, v103
	s_delay_alu instid0(VALU_DEP_1) | instskip(NEXT) | instid1(VALU_DEP_1)
	v_dual_fmamk_f32 v112, v102, 0x32a5705f, v112 :: v_dual_sub_f32 v103, v103, v113
	v_add_f32_e32 v103, v103, v112
	v_cvt_i32_f32_e32 v112, v113
	v_cmp_ngt_f32_e64 s25, 0xc2ce8ed0, v102
	s_delay_alu instid0(VALU_DEP_3) | instskip(SKIP_2) | instid1(VALU_DEP_1)
	v_exp_f32_e32 v103, v103
	s_waitcnt_depctr 0xfff
	v_ldexp_f32 v103, v103, v112
	v_cndmask_b32_e64 v103, 0, v103, s25
	v_cmp_nlt_f32_e64 s25, 0x42b17218, v102
	s_delay_alu instid0(VALU_DEP_1) | instskip(NEXT) | instid1(VALU_DEP_1)
	v_cndmask_b32_e64 v112, 0x7f800000, v103, s25
	v_add_f32_e32 v113, 1.0, v112
	v_cmp_gt_f32_e64 s30, 0x33800000, |v112|
	s_delay_alu instid0(VALU_DEP_2) | instskip(NEXT) | instid1(VALU_DEP_1)
	v_cvt_f64_f32_e32 v[102:103], v113
	v_frexp_exp_i32_f64_e32 v102, v[102:103]
	v_frexp_mant_f32_e32 v103, v113
	s_delay_alu instid0(VALU_DEP_1) | instskip(SKIP_1) | instid1(VALU_DEP_1)
	v_cmp_gt_f32_e64 s25, 0x3f2aaaab, v103
	v_add_f32_e32 v103, -1.0, v113
	v_sub_f32_e32 v115, v103, v113
	s_delay_alu instid0(VALU_DEP_3) | instskip(SKIP_1) | instid1(VALU_DEP_1)
	v_subrev_co_ci_u32_e64 v102, s25, 0, v102, s25
	s_mov_b32 s25, 0x3e9b6dac
	v_sub_nc_u32_e32 v114, 0, v102
	v_cvt_f32_i32_e32 v102, v102
	s_delay_alu instid0(VALU_DEP_2) | instskip(NEXT) | instid1(VALU_DEP_1)
	v_ldexp_f32 v113, v113, v114
	v_dual_sub_f32 v103, v112, v103 :: v_dual_add_f32 v116, 1.0, v113
	v_add_f32_e32 v115, 1.0, v115
	s_delay_alu instid0(VALU_DEP_1) | instskip(NEXT) | instid1(VALU_DEP_3)
	v_add_f32_e32 v103, v103, v115
	v_add_f32_e32 v115, -1.0, v116
	s_delay_alu instid0(VALU_DEP_2) | instskip(NEXT) | instid1(VALU_DEP_2)
	v_ldexp_f32 v103, v103, v114
	v_dual_add_f32 v114, -1.0, v113 :: v_dual_sub_f32 v115, v113, v115
	s_delay_alu instid0(VALU_DEP_1) | instskip(NEXT) | instid1(VALU_DEP_2)
	v_add_f32_e32 v117, 1.0, v114
	v_add_f32_e32 v115, v103, v115
	s_delay_alu instid0(VALU_DEP_2) | instskip(NEXT) | instid1(VALU_DEP_2)
	v_sub_f32_e32 v113, v113, v117
	v_add_f32_e32 v117, v116, v115
	s_delay_alu instid0(VALU_DEP_2) | instskip(NEXT) | instid1(VALU_DEP_2)
	v_add_f32_e32 v103, v103, v113
	v_rcp_f32_e32 v113, v117
	v_sub_f32_e32 v116, v116, v117
	s_delay_alu instid0(VALU_DEP_1) | instskip(NEXT) | instid1(VALU_DEP_1)
	v_dual_add_f32 v118, v114, v103 :: v_dual_add_f32 v115, v115, v116
	v_sub_f32_e32 v114, v114, v118
	s_waitcnt_depctr 0xfff
	v_mul_f32_e32 v119, v118, v113
	s_delay_alu instid0(VALU_DEP_1) | instskip(NEXT) | instid1(VALU_DEP_1)
	v_dual_add_f32 v103, v103, v114 :: v_dual_mul_f32 v128, v117, v119
	v_fma_f32 v116, v119, v117, -v128
	s_delay_alu instid0(VALU_DEP_1) | instskip(NEXT) | instid1(VALU_DEP_1)
	v_fmac_f32_e32 v116, v119, v115
	v_add_f32_e32 v129, v128, v116
	s_delay_alu instid0(VALU_DEP_1) | instskip(SKIP_1) | instid1(VALU_DEP_2)
	v_sub_f32_e32 v130, v118, v129
	v_sub_f32_e32 v114, v129, v128
	;; [unrolled: 1-line block ×3, first 2 shown]
	s_delay_alu instid0(VALU_DEP_2) | instskip(NEXT) | instid1(VALU_DEP_2)
	v_sub_f32_e32 v114, v114, v116
	v_sub_f32_e32 v118, v118, v129
	s_delay_alu instid0(VALU_DEP_1) | instskip(NEXT) | instid1(VALU_DEP_1)
	v_add_f32_e32 v103, v103, v118
	v_add_f32_e32 v103, v114, v103
	s_delay_alu instid0(VALU_DEP_1) | instskip(NEXT) | instid1(VALU_DEP_1)
	v_add_f32_e32 v114, v130, v103
	v_mul_f32_e32 v116, v113, v114
	s_delay_alu instid0(VALU_DEP_1) | instskip(NEXT) | instid1(VALU_DEP_1)
	v_dual_sub_f32 v129, v130, v114 :: v_dual_mul_f32 v118, v117, v116
	v_add_f32_e32 v103, v103, v129
	s_delay_alu instid0(VALU_DEP_2) | instskip(NEXT) | instid1(VALU_DEP_1)
	v_fma_f32 v117, v116, v117, -v118
	v_fmac_f32_e32 v117, v116, v115
	s_delay_alu instid0(VALU_DEP_1) | instskip(NEXT) | instid1(VALU_DEP_1)
	v_add_f32_e32 v115, v118, v117
	v_sub_f32_e32 v128, v114, v115
	v_sub_f32_e32 v118, v115, v118
	s_delay_alu instid0(VALU_DEP_2) | instskip(NEXT) | instid1(VALU_DEP_1)
	v_sub_f32_e32 v114, v114, v128
	v_sub_f32_e32 v114, v114, v115
	s_delay_alu instid0(VALU_DEP_3) | instskip(NEXT) | instid1(VALU_DEP_2)
	v_sub_f32_e32 v115, v118, v117
	v_add_f32_e32 v103, v103, v114
	v_add_f32_e32 v114, v119, v116
	s_delay_alu instid0(VALU_DEP_2) | instskip(NEXT) | instid1(VALU_DEP_2)
	v_add_f32_e32 v103, v115, v103
	v_sub_f32_e32 v115, v114, v119
	s_delay_alu instid0(VALU_DEP_2) | instskip(NEXT) | instid1(VALU_DEP_2)
	v_add_f32_e32 v103, v128, v103
	v_sub_f32_e32 v115, v116, v115
	s_delay_alu instid0(VALU_DEP_2) | instskip(NEXT) | instid1(VALU_DEP_1)
	v_mul_f32_e32 v103, v113, v103
	v_add_f32_e32 v103, v115, v103
	s_delay_alu instid0(VALU_DEP_1) | instskip(NEXT) | instid1(VALU_DEP_1)
	v_add_f32_e32 v113, v114, v103
	v_mul_f32_e32 v115, v113, v113
	s_delay_alu instid0(VALU_DEP_1) | instskip(SKIP_2) | instid1(VALU_DEP_3)
	v_fmaak_f32 v116, s25, v115, 0x3ecc95a3
	v_mul_f32_e32 v117, v113, v115
	v_cmp_eq_f32_e64 s25, 0x7f800000, v112
	v_fmaak_f32 v115, v115, v116, 0x3f2aaada
	v_ldexp_f32 v116, v113, 1
	v_sub_f32_e32 v113, v113, v114
	s_delay_alu instid0(VALU_DEP_4) | instskip(NEXT) | instid1(VALU_DEP_3)
	s_or_b32 s25, s25, s30
	v_mul_f32_e32 v115, v117, v115
	v_mul_f32_e32 v117, 0x3f317218, v102
	s_delay_alu instid0(VALU_DEP_2) | instskip(NEXT) | instid1(VALU_DEP_1)
	v_dual_sub_f32 v103, v103, v113 :: v_dual_add_f32 v114, v116, v115
	v_ldexp_f32 v103, v103, 1
	s_delay_alu instid0(VALU_DEP_2) | instskip(NEXT) | instid1(VALU_DEP_4)
	v_sub_f32_e32 v113, v114, v116
	v_fma_f32 v116, 0x3f317218, v102, -v117
	s_delay_alu instid0(VALU_DEP_1) | instskip(NEXT) | instid1(VALU_DEP_1)
	v_dual_sub_f32 v113, v115, v113 :: v_dual_fmamk_f32 v102, v102, 0xb102e308, v116
	v_add_f32_e32 v103, v103, v113
	s_delay_alu instid0(VALU_DEP_2) | instskip(NEXT) | instid1(VALU_DEP_2)
	v_add_f32_e32 v113, v117, v102
	v_add_f32_e32 v115, v114, v103
	s_delay_alu instid0(VALU_DEP_2) | instskip(NEXT) | instid1(VALU_DEP_2)
	v_sub_f32_e32 v117, v113, v117
	v_add_f32_e32 v116, v113, v115
	v_sub_f32_e32 v114, v115, v114
	s_delay_alu instid0(VALU_DEP_3) | instskip(NEXT) | instid1(VALU_DEP_2)
	v_sub_f32_e32 v102, v102, v117
	v_dual_sub_f32 v118, v116, v113 :: v_dual_sub_f32 v103, v103, v114
	s_delay_alu instid0(VALU_DEP_1) | instskip(NEXT) | instid1(VALU_DEP_2)
	v_sub_f32_e32 v119, v116, v118
	v_dual_sub_f32 v114, v115, v118 :: v_dual_add_f32 v115, v102, v103
	s_delay_alu instid0(VALU_DEP_2) | instskip(NEXT) | instid1(VALU_DEP_1)
	v_sub_f32_e32 v113, v113, v119
	v_dual_add_f32 v113, v114, v113 :: v_dual_sub_f32 v114, v115, v102
	s_delay_alu instid0(VALU_DEP_1) | instskip(NEXT) | instid1(VALU_DEP_2)
	v_add_f32_e32 v113, v115, v113
	v_sub_f32_e32 v115, v115, v114
	v_sub_f32_e32 v103, v103, v114
	s_delay_alu instid0(VALU_DEP_2) | instskip(NEXT) | instid1(VALU_DEP_1)
	v_dual_add_f32 v117, v116, v113 :: v_dual_sub_f32 v102, v102, v115
	v_sub_f32_e32 v114, v117, v116
	s_delay_alu instid0(VALU_DEP_2) | instskip(NEXT) | instid1(VALU_DEP_2)
	v_add_f32_e32 v102, v103, v102
	v_sub_f32_e32 v103, v113, v114
	s_delay_alu instid0(VALU_DEP_1) | instskip(NEXT) | instid1(VALU_DEP_1)
	v_add_f32_e32 v102, v102, v103
	v_add_f32_e32 v102, v117, v102
	s_delay_alu instid0(VALU_DEP_1) | instskip(NEXT) | instid1(VALU_DEP_1)
	v_cndmask_b32_e64 v102, v102, v112, s25
	v_add_f32_e32 v101, v101, v102
	s_delay_alu instid0(VALU_DEP_1)
	v_cvt_f16_f32_e32 v103, v101
.LBB410_105:
	s_or_b32 exec_lo, exec_lo, vcc_hi
	s_delay_alu instid0(VALU_DEP_1)
	v_dual_mov_b32 v101, v103 :: v_dual_and_b32 v102, 0xffff, v103
.LBB410_106:
	s_or_b32 exec_lo, exec_lo, s27
	s_delay_alu instid0(VALU_DEP_1)
	v_mov_b32_dpp v103, v102 row_shr:8 row_mask:0xf bank_mask:0xf
	s_mov_b32 s27, exec_lo
	v_cmpx_lt_u32_e32 7, v29
	s_cbranch_execz .LBB410_110
; %bb.107:
	s_delay_alu instid0(VALU_DEP_2) | instskip(SKIP_2) | instid1(VALU_DEP_2)
	v_cvt_f32_f16_e32 v29, v103
	v_cvt_f32_f16_e32 v102, v101
	v_cmp_u_f16_e64 s25, v103, v103
	v_min_f32_e32 v112, v29, v102
	v_max_f32_e32 v113, v29, v102
	s_delay_alu instid0(VALU_DEP_2) | instskip(NEXT) | instid1(VALU_DEP_2)
	v_cndmask_b32_e64 v112, v112, v29, s25
	v_cndmask_b32_e64 v29, v113, v29, s25
	v_cmp_u_f16_e64 s25, v101, v101
	s_delay_alu instid0(VALU_DEP_1) | instskip(NEXT) | instid1(VALU_DEP_3)
	v_cndmask_b32_e64 v101, v112, v102, s25
	v_cndmask_b32_e64 v29, v29, v102, s25
	s_delay_alu instid0(VALU_DEP_2) | instskip(NEXT) | instid1(VALU_DEP_2)
	v_cmp_class_f32_e64 vcc_hi, v101, 0x1f8
	v_cmp_neq_f32_e64 s25, v101, v29
	s_delay_alu instid0(VALU_DEP_1) | instskip(NEXT) | instid1(SALU_CYCLE_1)
	s_or_b32 s25, s25, vcc_hi
	s_and_saveexec_b32 vcc_hi, s25
	s_cbranch_execz .LBB410_109
; %bb.108:
	v_sub_f32_e32 v101, v101, v29
	s_delay_alu instid0(VALU_DEP_1) | instskip(NEXT) | instid1(VALU_DEP_1)
	v_mul_f32_e32 v102, 0x3fb8aa3b, v101
	v_fma_f32 v103, 0x3fb8aa3b, v101, -v102
	v_rndne_f32_e32 v112, v102
	s_delay_alu instid0(VALU_DEP_1) | instskip(SKIP_1) | instid1(VALU_DEP_2)
	v_dual_sub_f32 v102, v102, v112 :: v_dual_fmamk_f32 v103, v101, 0x32a5705f, v103
	v_cmp_ngt_f32_e64 s25, 0xc2ce8ed0, v101
	v_add_f32_e32 v102, v102, v103
	v_cvt_i32_f32_e32 v103, v112
	s_delay_alu instid0(VALU_DEP_2) | instskip(SKIP_2) | instid1(VALU_DEP_1)
	v_exp_f32_e32 v102, v102
	s_waitcnt_depctr 0xfff
	v_ldexp_f32 v102, v102, v103
	v_cndmask_b32_e64 v102, 0, v102, s25
	v_cmp_nlt_f32_e64 s25, 0x42b17218, v101
	s_delay_alu instid0(VALU_DEP_1) | instskip(NEXT) | instid1(VALU_DEP_1)
	v_cndmask_b32_e64 v103, 0x7f800000, v102, s25
	v_add_f32_e32 v112, 1.0, v103
	v_cmp_gt_f32_e64 s30, 0x33800000, |v103|
	s_delay_alu instid0(VALU_DEP_2) | instskip(NEXT) | instid1(VALU_DEP_1)
	v_cvt_f64_f32_e32 v[101:102], v112
	v_frexp_exp_i32_f64_e32 v101, v[101:102]
	v_frexp_mant_f32_e32 v102, v112
	s_delay_alu instid0(VALU_DEP_1) | instskip(SKIP_1) | instid1(VALU_DEP_1)
	v_cmp_gt_f32_e64 s25, 0x3f2aaaab, v102
	v_add_f32_e32 v102, -1.0, v112
	v_sub_f32_e32 v114, v102, v112
	v_sub_f32_e32 v102, v103, v102
	s_delay_alu instid0(VALU_DEP_4) | instskip(SKIP_1) | instid1(VALU_DEP_1)
	v_subrev_co_ci_u32_e64 v101, s25, 0, v101, s25
	s_mov_b32 s25, 0x3e9b6dac
	v_sub_nc_u32_e32 v113, 0, v101
	v_cvt_f32_i32_e32 v101, v101
	s_delay_alu instid0(VALU_DEP_2) | instskip(NEXT) | instid1(VALU_DEP_1)
	v_ldexp_f32 v112, v112, v113
	v_dual_add_f32 v115, 1.0, v112 :: v_dual_add_f32 v114, 1.0, v114
	s_delay_alu instid0(VALU_DEP_1) | instskip(NEXT) | instid1(VALU_DEP_2)
	v_add_f32_e32 v102, v102, v114
	v_add_f32_e32 v114, -1.0, v115
	s_delay_alu instid0(VALU_DEP_2) | instskip(NEXT) | instid1(VALU_DEP_2)
	v_ldexp_f32 v102, v102, v113
	v_dual_add_f32 v113, -1.0, v112 :: v_dual_sub_f32 v114, v112, v114
	s_delay_alu instid0(VALU_DEP_1) | instskip(NEXT) | instid1(VALU_DEP_2)
	v_add_f32_e32 v116, 1.0, v113
	v_add_f32_e32 v114, v102, v114
	s_delay_alu instid0(VALU_DEP_2) | instskip(NEXT) | instid1(VALU_DEP_2)
	v_sub_f32_e32 v112, v112, v116
	v_add_f32_e32 v116, v115, v114
	s_delay_alu instid0(VALU_DEP_2) | instskip(NEXT) | instid1(VALU_DEP_2)
	v_add_f32_e32 v102, v102, v112
	v_rcp_f32_e32 v112, v116
	v_sub_f32_e32 v115, v115, v116
	s_delay_alu instid0(VALU_DEP_1) | instskip(NEXT) | instid1(VALU_DEP_1)
	v_dual_add_f32 v117, v113, v102 :: v_dual_add_f32 v114, v114, v115
	v_sub_f32_e32 v113, v113, v117
	s_waitcnt_depctr 0xfff
	v_mul_f32_e32 v118, v117, v112
	s_delay_alu instid0(VALU_DEP_1) | instskip(NEXT) | instid1(VALU_DEP_1)
	v_dual_add_f32 v102, v102, v113 :: v_dual_mul_f32 v119, v116, v118
	v_fma_f32 v115, v118, v116, -v119
	s_delay_alu instid0(VALU_DEP_1) | instskip(NEXT) | instid1(VALU_DEP_1)
	v_fmac_f32_e32 v115, v118, v114
	v_add_f32_e32 v128, v119, v115
	s_delay_alu instid0(VALU_DEP_1) | instskip(SKIP_1) | instid1(VALU_DEP_2)
	v_sub_f32_e32 v129, v117, v128
	v_sub_f32_e32 v113, v128, v119
	;; [unrolled: 1-line block ×3, first 2 shown]
	s_delay_alu instid0(VALU_DEP_2) | instskip(NEXT) | instid1(VALU_DEP_2)
	v_sub_f32_e32 v113, v113, v115
	v_sub_f32_e32 v117, v117, v128
	s_delay_alu instid0(VALU_DEP_1) | instskip(NEXT) | instid1(VALU_DEP_1)
	v_add_f32_e32 v102, v102, v117
	v_add_f32_e32 v102, v113, v102
	s_delay_alu instid0(VALU_DEP_1) | instskip(NEXT) | instid1(VALU_DEP_1)
	v_add_f32_e32 v113, v129, v102
	v_mul_f32_e32 v115, v112, v113
	s_delay_alu instid0(VALU_DEP_1) | instskip(NEXT) | instid1(VALU_DEP_1)
	v_dual_sub_f32 v128, v129, v113 :: v_dual_mul_f32 v117, v116, v115
	v_add_f32_e32 v102, v102, v128
	s_delay_alu instid0(VALU_DEP_2) | instskip(NEXT) | instid1(VALU_DEP_1)
	v_fma_f32 v116, v115, v116, -v117
	v_fmac_f32_e32 v116, v115, v114
	s_delay_alu instid0(VALU_DEP_1) | instskip(NEXT) | instid1(VALU_DEP_1)
	v_add_f32_e32 v114, v117, v116
	v_sub_f32_e32 v119, v113, v114
	v_sub_f32_e32 v117, v114, v117
	s_delay_alu instid0(VALU_DEP_2) | instskip(NEXT) | instid1(VALU_DEP_1)
	v_sub_f32_e32 v113, v113, v119
	v_sub_f32_e32 v113, v113, v114
	s_delay_alu instid0(VALU_DEP_3) | instskip(NEXT) | instid1(VALU_DEP_2)
	v_sub_f32_e32 v114, v117, v116
	v_add_f32_e32 v102, v102, v113
	v_add_f32_e32 v113, v118, v115
	s_delay_alu instid0(VALU_DEP_2) | instskip(NEXT) | instid1(VALU_DEP_2)
	v_add_f32_e32 v102, v114, v102
	v_sub_f32_e32 v114, v113, v118
	s_delay_alu instid0(VALU_DEP_2) | instskip(NEXT) | instid1(VALU_DEP_2)
	v_add_f32_e32 v102, v119, v102
	v_sub_f32_e32 v114, v115, v114
	s_delay_alu instid0(VALU_DEP_2) | instskip(NEXT) | instid1(VALU_DEP_1)
	v_mul_f32_e32 v102, v112, v102
	v_add_f32_e32 v102, v114, v102
	s_delay_alu instid0(VALU_DEP_1) | instskip(NEXT) | instid1(VALU_DEP_1)
	v_add_f32_e32 v112, v113, v102
	v_mul_f32_e32 v114, v112, v112
	s_delay_alu instid0(VALU_DEP_1) | instskip(SKIP_2) | instid1(VALU_DEP_3)
	v_fmaak_f32 v115, s25, v114, 0x3ecc95a3
	v_mul_f32_e32 v116, v112, v114
	v_cmp_eq_f32_e64 s25, 0x7f800000, v103
	v_fmaak_f32 v114, v114, v115, 0x3f2aaada
	v_ldexp_f32 v115, v112, 1
	v_sub_f32_e32 v112, v112, v113
	s_delay_alu instid0(VALU_DEP_4) | instskip(NEXT) | instid1(VALU_DEP_3)
	s_or_b32 s25, s25, s30
	v_mul_f32_e32 v114, v116, v114
	v_mul_f32_e32 v116, 0x3f317218, v101
	s_delay_alu instid0(VALU_DEP_2) | instskip(NEXT) | instid1(VALU_DEP_1)
	v_dual_sub_f32 v102, v102, v112 :: v_dual_add_f32 v113, v115, v114
	v_ldexp_f32 v102, v102, 1
	s_delay_alu instid0(VALU_DEP_2) | instskip(NEXT) | instid1(VALU_DEP_4)
	v_sub_f32_e32 v112, v113, v115
	v_fma_f32 v115, 0x3f317218, v101, -v116
	s_delay_alu instid0(VALU_DEP_1) | instskip(NEXT) | instid1(VALU_DEP_1)
	v_dual_sub_f32 v112, v114, v112 :: v_dual_fmamk_f32 v101, v101, 0xb102e308, v115
	v_add_f32_e32 v102, v102, v112
	s_delay_alu instid0(VALU_DEP_2) | instskip(NEXT) | instid1(VALU_DEP_2)
	v_add_f32_e32 v112, v116, v101
	v_add_f32_e32 v114, v113, v102
	s_delay_alu instid0(VALU_DEP_2) | instskip(NEXT) | instid1(VALU_DEP_2)
	v_sub_f32_e32 v116, v112, v116
	v_add_f32_e32 v115, v112, v114
	v_sub_f32_e32 v113, v114, v113
	s_delay_alu instid0(VALU_DEP_3) | instskip(NEXT) | instid1(VALU_DEP_2)
	v_sub_f32_e32 v101, v101, v116
	v_dual_sub_f32 v117, v115, v112 :: v_dual_sub_f32 v102, v102, v113
	s_delay_alu instid0(VALU_DEP_1) | instskip(NEXT) | instid1(VALU_DEP_2)
	v_sub_f32_e32 v118, v115, v117
	v_dual_sub_f32 v113, v114, v117 :: v_dual_add_f32 v114, v101, v102
	s_delay_alu instid0(VALU_DEP_2) | instskip(NEXT) | instid1(VALU_DEP_1)
	v_sub_f32_e32 v112, v112, v118
	v_dual_add_f32 v112, v113, v112 :: v_dual_sub_f32 v113, v114, v101
	s_delay_alu instid0(VALU_DEP_1) | instskip(NEXT) | instid1(VALU_DEP_2)
	v_add_f32_e32 v112, v114, v112
	v_sub_f32_e32 v114, v114, v113
	v_sub_f32_e32 v102, v102, v113
	s_delay_alu instid0(VALU_DEP_2) | instskip(NEXT) | instid1(VALU_DEP_1)
	v_dual_add_f32 v116, v115, v112 :: v_dual_sub_f32 v101, v101, v114
	v_sub_f32_e32 v113, v116, v115
	s_delay_alu instid0(VALU_DEP_2) | instskip(NEXT) | instid1(VALU_DEP_2)
	v_add_f32_e32 v101, v102, v101
	v_sub_f32_e32 v102, v112, v113
	s_delay_alu instid0(VALU_DEP_1) | instskip(NEXT) | instid1(VALU_DEP_1)
	v_add_f32_e32 v101, v101, v102
	v_add_f32_e32 v101, v116, v101
	s_delay_alu instid0(VALU_DEP_1) | instskip(NEXT) | instid1(VALU_DEP_1)
	v_cndmask_b32_e64 v101, v101, v103, s25
	v_add_f32_e32 v29, v29, v101
	s_delay_alu instid0(VALU_DEP_1)
	v_cvt_f16_f32_e32 v103, v29
.LBB410_109:
	s_or_b32 exec_lo, exec_lo, vcc_hi
	s_delay_alu instid0(VALU_DEP_1)
	v_dual_mov_b32 v101, v103 :: v_dual_and_b32 v102, 0xffff, v103
.LBB410_110:
	s_or_b32 exec_lo, exec_lo, s27
	ds_swizzle_b32 v102, v102 offset:swizzle(BROADCAST,32,15)
	v_and_b32_e32 v29, 16, v28
	s_mov_b32 s27, exec_lo
	s_delay_alu instid0(VALU_DEP_1)
	v_cmpx_ne_u32_e32 0, v29
	s_cbranch_execz .LBB410_114
; %bb.111:
	s_waitcnt lgkmcnt(0)
	v_cvt_f32_f16_e32 v29, v102
	v_cvt_f32_f16_e32 v103, v101
	v_cmp_u_f16_e64 s25, v102, v102
	s_delay_alu instid0(VALU_DEP_2) | instskip(SKIP_1) | instid1(VALU_DEP_2)
	v_min_f32_e32 v112, v29, v103
	v_max_f32_e32 v113, v29, v103
	v_cndmask_b32_e64 v112, v112, v29, s25
	s_delay_alu instid0(VALU_DEP_2) | instskip(SKIP_1) | instid1(VALU_DEP_1)
	v_cndmask_b32_e64 v29, v113, v29, s25
	v_cmp_u_f16_e64 s25, v101, v101
	v_cndmask_b32_e64 v101, v112, v103, s25
	s_delay_alu instid0(VALU_DEP_3) | instskip(NEXT) | instid1(VALU_DEP_2)
	v_cndmask_b32_e64 v29, v29, v103, s25
	v_cmp_class_f32_e64 vcc_hi, v101, 0x1f8
	s_delay_alu instid0(VALU_DEP_2) | instskip(NEXT) | instid1(VALU_DEP_1)
	v_cmp_neq_f32_e64 s25, v101, v29
	s_or_b32 s25, s25, vcc_hi
	s_delay_alu instid0(SALU_CYCLE_1)
	s_and_saveexec_b32 vcc_hi, s25
	s_cbranch_execz .LBB410_113
; %bb.112:
	v_sub_f32_e32 v101, v101, v29
	s_delay_alu instid0(VALU_DEP_1) | instskip(NEXT) | instid1(VALU_DEP_1)
	v_mul_f32_e32 v102, 0x3fb8aa3b, v101
	v_fma_f32 v103, 0x3fb8aa3b, v101, -v102
	v_rndne_f32_e32 v112, v102
	s_delay_alu instid0(VALU_DEP_1) | instskip(SKIP_1) | instid1(VALU_DEP_2)
	v_dual_sub_f32 v102, v102, v112 :: v_dual_fmamk_f32 v103, v101, 0x32a5705f, v103
	v_cmp_ngt_f32_e64 s25, 0xc2ce8ed0, v101
	v_add_f32_e32 v102, v102, v103
	v_cvt_i32_f32_e32 v103, v112
	s_delay_alu instid0(VALU_DEP_2) | instskip(SKIP_2) | instid1(VALU_DEP_1)
	v_exp_f32_e32 v102, v102
	s_waitcnt_depctr 0xfff
	v_ldexp_f32 v102, v102, v103
	v_cndmask_b32_e64 v102, 0, v102, s25
	v_cmp_nlt_f32_e64 s25, 0x42b17218, v101
	s_delay_alu instid0(VALU_DEP_1) | instskip(NEXT) | instid1(VALU_DEP_1)
	v_cndmask_b32_e64 v103, 0x7f800000, v102, s25
	v_add_f32_e32 v112, 1.0, v103
	v_cmp_gt_f32_e64 s30, 0x33800000, |v103|
	s_delay_alu instid0(VALU_DEP_2) | instskip(NEXT) | instid1(VALU_DEP_1)
	v_cvt_f64_f32_e32 v[101:102], v112
	v_frexp_exp_i32_f64_e32 v101, v[101:102]
	v_frexp_mant_f32_e32 v102, v112
	s_delay_alu instid0(VALU_DEP_1) | instskip(SKIP_1) | instid1(VALU_DEP_1)
	v_cmp_gt_f32_e64 s25, 0x3f2aaaab, v102
	v_add_f32_e32 v102, -1.0, v112
	v_sub_f32_e32 v114, v102, v112
	v_sub_f32_e32 v102, v103, v102
	s_delay_alu instid0(VALU_DEP_4) | instskip(SKIP_1) | instid1(VALU_DEP_1)
	v_subrev_co_ci_u32_e64 v101, s25, 0, v101, s25
	s_mov_b32 s25, 0x3e9b6dac
	v_sub_nc_u32_e32 v113, 0, v101
	v_cvt_f32_i32_e32 v101, v101
	s_delay_alu instid0(VALU_DEP_2) | instskip(NEXT) | instid1(VALU_DEP_1)
	v_ldexp_f32 v112, v112, v113
	v_dual_add_f32 v115, 1.0, v112 :: v_dual_add_f32 v114, 1.0, v114
	s_delay_alu instid0(VALU_DEP_1) | instskip(NEXT) | instid1(VALU_DEP_2)
	v_add_f32_e32 v102, v102, v114
	v_add_f32_e32 v114, -1.0, v115
	s_delay_alu instid0(VALU_DEP_2) | instskip(NEXT) | instid1(VALU_DEP_2)
	v_ldexp_f32 v102, v102, v113
	v_dual_add_f32 v113, -1.0, v112 :: v_dual_sub_f32 v114, v112, v114
	s_delay_alu instid0(VALU_DEP_1) | instskip(NEXT) | instid1(VALU_DEP_2)
	v_add_f32_e32 v116, 1.0, v113
	v_add_f32_e32 v114, v102, v114
	s_delay_alu instid0(VALU_DEP_2) | instskip(NEXT) | instid1(VALU_DEP_2)
	v_sub_f32_e32 v112, v112, v116
	v_add_f32_e32 v116, v115, v114
	s_delay_alu instid0(VALU_DEP_2) | instskip(NEXT) | instid1(VALU_DEP_2)
	v_add_f32_e32 v102, v102, v112
	v_rcp_f32_e32 v112, v116
	v_sub_f32_e32 v115, v115, v116
	s_delay_alu instid0(VALU_DEP_1) | instskip(NEXT) | instid1(VALU_DEP_1)
	v_dual_add_f32 v117, v113, v102 :: v_dual_add_f32 v114, v114, v115
	v_sub_f32_e32 v113, v113, v117
	s_waitcnt_depctr 0xfff
	v_mul_f32_e32 v118, v117, v112
	s_delay_alu instid0(VALU_DEP_1) | instskip(NEXT) | instid1(VALU_DEP_1)
	v_dual_add_f32 v102, v102, v113 :: v_dual_mul_f32 v119, v116, v118
	v_fma_f32 v115, v118, v116, -v119
	s_delay_alu instid0(VALU_DEP_1) | instskip(NEXT) | instid1(VALU_DEP_1)
	v_fmac_f32_e32 v115, v118, v114
	v_add_f32_e32 v128, v119, v115
	s_delay_alu instid0(VALU_DEP_1) | instskip(SKIP_1) | instid1(VALU_DEP_2)
	v_sub_f32_e32 v129, v117, v128
	v_sub_f32_e32 v113, v128, v119
	;; [unrolled: 1-line block ×3, first 2 shown]
	s_delay_alu instid0(VALU_DEP_2) | instskip(NEXT) | instid1(VALU_DEP_2)
	v_sub_f32_e32 v113, v113, v115
	v_sub_f32_e32 v117, v117, v128
	s_delay_alu instid0(VALU_DEP_1) | instskip(NEXT) | instid1(VALU_DEP_1)
	v_add_f32_e32 v102, v102, v117
	v_add_f32_e32 v102, v113, v102
	s_delay_alu instid0(VALU_DEP_1) | instskip(NEXT) | instid1(VALU_DEP_1)
	v_add_f32_e32 v113, v129, v102
	v_mul_f32_e32 v115, v112, v113
	s_delay_alu instid0(VALU_DEP_1) | instskip(NEXT) | instid1(VALU_DEP_1)
	v_dual_sub_f32 v128, v129, v113 :: v_dual_mul_f32 v117, v116, v115
	v_add_f32_e32 v102, v102, v128
	s_delay_alu instid0(VALU_DEP_2) | instskip(NEXT) | instid1(VALU_DEP_1)
	v_fma_f32 v116, v115, v116, -v117
	v_fmac_f32_e32 v116, v115, v114
	s_delay_alu instid0(VALU_DEP_1) | instskip(NEXT) | instid1(VALU_DEP_1)
	v_add_f32_e32 v114, v117, v116
	v_sub_f32_e32 v119, v113, v114
	v_sub_f32_e32 v117, v114, v117
	s_delay_alu instid0(VALU_DEP_2) | instskip(NEXT) | instid1(VALU_DEP_1)
	v_sub_f32_e32 v113, v113, v119
	v_sub_f32_e32 v113, v113, v114
	s_delay_alu instid0(VALU_DEP_3) | instskip(NEXT) | instid1(VALU_DEP_2)
	v_sub_f32_e32 v114, v117, v116
	v_add_f32_e32 v102, v102, v113
	v_add_f32_e32 v113, v118, v115
	s_delay_alu instid0(VALU_DEP_2) | instskip(NEXT) | instid1(VALU_DEP_2)
	v_add_f32_e32 v102, v114, v102
	v_sub_f32_e32 v114, v113, v118
	s_delay_alu instid0(VALU_DEP_2) | instskip(NEXT) | instid1(VALU_DEP_2)
	v_add_f32_e32 v102, v119, v102
	v_sub_f32_e32 v114, v115, v114
	s_delay_alu instid0(VALU_DEP_2) | instskip(NEXT) | instid1(VALU_DEP_1)
	v_mul_f32_e32 v102, v112, v102
	v_add_f32_e32 v102, v114, v102
	s_delay_alu instid0(VALU_DEP_1) | instskip(NEXT) | instid1(VALU_DEP_1)
	v_add_f32_e32 v112, v113, v102
	v_mul_f32_e32 v114, v112, v112
	s_delay_alu instid0(VALU_DEP_1) | instskip(SKIP_2) | instid1(VALU_DEP_3)
	v_fmaak_f32 v115, s25, v114, 0x3ecc95a3
	v_mul_f32_e32 v116, v112, v114
	v_cmp_eq_f32_e64 s25, 0x7f800000, v103
	v_fmaak_f32 v114, v114, v115, 0x3f2aaada
	v_ldexp_f32 v115, v112, 1
	v_sub_f32_e32 v112, v112, v113
	s_delay_alu instid0(VALU_DEP_4) | instskip(NEXT) | instid1(VALU_DEP_3)
	s_or_b32 s25, s25, s30
	v_mul_f32_e32 v114, v116, v114
	v_mul_f32_e32 v116, 0x3f317218, v101
	s_delay_alu instid0(VALU_DEP_2) | instskip(NEXT) | instid1(VALU_DEP_1)
	v_dual_sub_f32 v102, v102, v112 :: v_dual_add_f32 v113, v115, v114
	v_ldexp_f32 v102, v102, 1
	s_delay_alu instid0(VALU_DEP_2) | instskip(NEXT) | instid1(VALU_DEP_4)
	v_sub_f32_e32 v112, v113, v115
	v_fma_f32 v115, 0x3f317218, v101, -v116
	s_delay_alu instid0(VALU_DEP_1) | instskip(NEXT) | instid1(VALU_DEP_1)
	v_dual_sub_f32 v112, v114, v112 :: v_dual_fmamk_f32 v101, v101, 0xb102e308, v115
	v_add_f32_e32 v102, v102, v112
	s_delay_alu instid0(VALU_DEP_2) | instskip(NEXT) | instid1(VALU_DEP_2)
	v_add_f32_e32 v112, v116, v101
	v_add_f32_e32 v114, v113, v102
	s_delay_alu instid0(VALU_DEP_2) | instskip(NEXT) | instid1(VALU_DEP_2)
	v_sub_f32_e32 v116, v112, v116
	v_add_f32_e32 v115, v112, v114
	v_sub_f32_e32 v113, v114, v113
	s_delay_alu instid0(VALU_DEP_3) | instskip(NEXT) | instid1(VALU_DEP_2)
	v_sub_f32_e32 v101, v101, v116
	v_dual_sub_f32 v117, v115, v112 :: v_dual_sub_f32 v102, v102, v113
	s_delay_alu instid0(VALU_DEP_1) | instskip(NEXT) | instid1(VALU_DEP_2)
	v_sub_f32_e32 v118, v115, v117
	v_dual_sub_f32 v113, v114, v117 :: v_dual_add_f32 v114, v101, v102
	s_delay_alu instid0(VALU_DEP_2) | instskip(NEXT) | instid1(VALU_DEP_1)
	v_sub_f32_e32 v112, v112, v118
	v_dual_add_f32 v112, v113, v112 :: v_dual_sub_f32 v113, v114, v101
	s_delay_alu instid0(VALU_DEP_1) | instskip(NEXT) | instid1(VALU_DEP_2)
	v_add_f32_e32 v112, v114, v112
	v_sub_f32_e32 v114, v114, v113
	v_sub_f32_e32 v102, v102, v113
	s_delay_alu instid0(VALU_DEP_2) | instskip(NEXT) | instid1(VALU_DEP_1)
	v_dual_add_f32 v116, v115, v112 :: v_dual_sub_f32 v101, v101, v114
	v_sub_f32_e32 v113, v116, v115
	s_delay_alu instid0(VALU_DEP_2) | instskip(NEXT) | instid1(VALU_DEP_2)
	v_add_f32_e32 v101, v102, v101
	v_sub_f32_e32 v102, v112, v113
	s_delay_alu instid0(VALU_DEP_1) | instskip(NEXT) | instid1(VALU_DEP_1)
	v_add_f32_e32 v101, v101, v102
	v_add_f32_e32 v101, v116, v101
	s_delay_alu instid0(VALU_DEP_1) | instskip(NEXT) | instid1(VALU_DEP_1)
	v_cndmask_b32_e64 v101, v101, v103, s25
	v_add_f32_e32 v29, v29, v101
	s_delay_alu instid0(VALU_DEP_1)
	v_cvt_f16_f32_e32 v102, v29
.LBB410_113:
	s_or_b32 exec_lo, exec_lo, vcc_hi
	s_delay_alu instid0(VALU_DEP_1)
	v_mov_b32_e32 v101, v102
.LBB410_114:
	s_or_b32 exec_lo, exec_lo, s27
	v_add_nc_u32_e32 v29, -1, v28
	s_delay_alu instid0(VALU_DEP_1) | instskip(NEXT) | instid1(VALU_DEP_1)
	v_cmp_gt_i32_e64 s25, 0, v29
	v_cndmask_b32_e64 v28, v29, v28, s25
	v_and_b32_e32 v29, 0xffff, v101
	s_delay_alu instid0(VALU_DEP_2)
	v_lshlrev_b32_e32 v28, 2, v28
	ds_bpermute_b32 v28, v28, v29
	v_max_f32_e32 v29, v27, v27
	s_waitcnt lgkmcnt(0)
	v_cvt_f32_f16_e32 v101, v28
	v_cmp_u_f16_e64 s25, v28, v28
	s_delay_alu instid0(VALU_DEP_2) | instskip(SKIP_1) | instid1(VALU_DEP_2)
	v_min_f32_e32 v102, v101, v29
	v_max_f32_e32 v29, v101, v29
	v_cndmask_b32_e64 v102, v102, v101, s25
	s_delay_alu instid0(VALU_DEP_2) | instskip(NEXT) | instid1(VALU_DEP_2)
	v_cndmask_b32_e64 v101, v29, v101, s25
	v_cndmask_b32_e64 v29, v102, v27, s24
	s_delay_alu instid0(VALU_DEP_2) | instskip(NEXT) | instid1(VALU_DEP_2)
	v_cndmask_b32_e64 v27, v101, v27, s24
	v_cmp_class_f32_e64 s25, v29, 0x1f8
	s_delay_alu instid0(VALU_DEP_2) | instskip(NEXT) | instid1(VALU_DEP_1)
	v_cmp_neq_f32_e64 s24, v29, v27
	s_or_b32 s24, s24, s25
	s_delay_alu instid0(SALU_CYCLE_1)
	s_and_saveexec_b32 s25, s24
	s_cbranch_execz .LBB410_116
; %bb.115:
	v_sub_f32_e32 v28, v29, v27
	s_delay_alu instid0(VALU_DEP_1) | instskip(SKIP_1) | instid1(VALU_DEP_2)
	v_mul_f32_e32 v29, 0x3fb8aa3b, v28
	v_cmp_ngt_f32_e64 s24, 0xc2ce8ed0, v28
	v_fma_f32 v101, 0x3fb8aa3b, v28, -v29
	v_rndne_f32_e32 v102, v29
	s_delay_alu instid0(VALU_DEP_2) | instskip(NEXT) | instid1(VALU_DEP_2)
	v_fmamk_f32 v101, v28, 0x32a5705f, v101
	v_sub_f32_e32 v29, v29, v102
	s_delay_alu instid0(VALU_DEP_1) | instskip(SKIP_1) | instid1(VALU_DEP_2)
	v_add_f32_e32 v29, v29, v101
	v_cvt_i32_f32_e32 v101, v102
	v_exp_f32_e32 v29, v29
	s_waitcnt_depctr 0xfff
	v_ldexp_f32 v29, v29, v101
	s_delay_alu instid0(VALU_DEP_1) | instskip(SKIP_1) | instid1(VALU_DEP_1)
	v_cndmask_b32_e64 v29, 0, v29, s24
	v_cmp_nlt_f32_e64 s24, 0x42b17218, v28
	v_cndmask_b32_e64 v101, 0x7f800000, v29, s24
	s_delay_alu instid0(VALU_DEP_1) | instskip(SKIP_1) | instid1(VALU_DEP_2)
	v_add_f32_e32 v102, 1.0, v101
	v_cmp_gt_f32_e64 s27, 0x33800000, |v101|
	v_cvt_f64_f32_e32 v[28:29], v102
	s_delay_alu instid0(VALU_DEP_1) | instskip(SKIP_1) | instid1(VALU_DEP_1)
	v_frexp_exp_i32_f64_e32 v28, v[28:29]
	v_frexp_mant_f32_e32 v29, v102
	v_cmp_gt_f32_e64 s24, 0x3f2aaaab, v29
	v_add_f32_e32 v29, -1.0, v102
	s_delay_alu instid0(VALU_DEP_1) | instskip(NEXT) | instid1(VALU_DEP_1)
	v_sub_f32_e32 v112, v29, v102
	v_dual_sub_f32 v29, v101, v29 :: v_dual_add_f32 v112, 1.0, v112
	s_delay_alu instid0(VALU_DEP_1) | instskip(SKIP_2) | instid1(VALU_DEP_1)
	v_add_f32_e32 v29, v29, v112
	v_subrev_co_ci_u32_e64 v28, s24, 0, v28, s24
	s_mov_b32 s24, 0x3e9b6dac
	v_sub_nc_u32_e32 v103, 0, v28
	v_cvt_f32_i32_e32 v28, v28
	s_delay_alu instid0(VALU_DEP_2) | instskip(SKIP_1) | instid1(VALU_DEP_2)
	v_ldexp_f32 v102, v102, v103
	v_ldexp_f32 v29, v29, v103
	v_add_f32_e32 v113, 1.0, v102
	s_delay_alu instid0(VALU_DEP_1) | instskip(NEXT) | instid1(VALU_DEP_1)
	v_add_f32_e32 v112, -1.0, v113
	v_sub_f32_e32 v112, v102, v112
	s_delay_alu instid0(VALU_DEP_1) | instskip(NEXT) | instid1(VALU_DEP_1)
	v_dual_add_f32 v112, v29, v112 :: v_dual_add_f32 v103, -1.0, v102
	v_add_f32_e32 v114, 1.0, v103
	s_delay_alu instid0(VALU_DEP_1) | instskip(NEXT) | instid1(VALU_DEP_3)
	v_sub_f32_e32 v102, v102, v114
	v_add_f32_e32 v114, v113, v112
	s_delay_alu instid0(VALU_DEP_1) | instskip(NEXT) | instid1(VALU_DEP_3)
	v_sub_f32_e32 v113, v113, v114
	v_add_f32_e32 v29, v29, v102
	v_rcp_f32_e32 v102, v114
	s_delay_alu instid0(VALU_DEP_2) | instskip(NEXT) | instid1(VALU_DEP_2)
	v_add_f32_e32 v112, v112, v113
	v_add_f32_e32 v115, v103, v29
	s_delay_alu instid0(VALU_DEP_1) | instskip(SKIP_2) | instid1(VALU_DEP_1)
	v_sub_f32_e32 v103, v103, v115
	s_waitcnt_depctr 0xfff
	v_dual_mul_f32 v116, v115, v102 :: v_dual_add_f32 v29, v29, v103
	v_mul_f32_e32 v117, v114, v116
	s_delay_alu instid0(VALU_DEP_1) | instskip(NEXT) | instid1(VALU_DEP_1)
	v_fma_f32 v113, v116, v114, -v117
	v_fmac_f32_e32 v113, v116, v112
	s_delay_alu instid0(VALU_DEP_1) | instskip(NEXT) | instid1(VALU_DEP_1)
	v_add_f32_e32 v118, v117, v113
	v_sub_f32_e32 v119, v115, v118
	s_delay_alu instid0(VALU_DEP_1) | instskip(SKIP_1) | instid1(VALU_DEP_2)
	v_sub_f32_e32 v115, v115, v119
	v_sub_f32_e32 v103, v118, v117
	;; [unrolled: 1-line block ×3, first 2 shown]
	s_delay_alu instid0(VALU_DEP_2) | instskip(NEXT) | instid1(VALU_DEP_2)
	v_sub_f32_e32 v103, v103, v113
	v_add_f32_e32 v29, v29, v115
	s_delay_alu instid0(VALU_DEP_1) | instskip(NEXT) | instid1(VALU_DEP_1)
	v_add_f32_e32 v29, v103, v29
	v_add_f32_e32 v103, v119, v29
	s_delay_alu instid0(VALU_DEP_1) | instskip(NEXT) | instid1(VALU_DEP_1)
	v_mul_f32_e32 v113, v102, v103
	v_mul_f32_e32 v115, v114, v113
	s_delay_alu instid0(VALU_DEP_1) | instskip(NEXT) | instid1(VALU_DEP_1)
	v_fma_f32 v114, v113, v114, -v115
	v_fmac_f32_e32 v114, v113, v112
	v_sub_f32_e32 v118, v119, v103
	s_delay_alu instid0(VALU_DEP_2) | instskip(NEXT) | instid1(VALU_DEP_2)
	v_add_f32_e32 v112, v115, v114
	v_add_f32_e32 v29, v29, v118
	s_delay_alu instid0(VALU_DEP_2) | instskip(SKIP_1) | instid1(VALU_DEP_2)
	v_sub_f32_e32 v117, v103, v112
	v_sub_f32_e32 v115, v112, v115
	;; [unrolled: 1-line block ×3, first 2 shown]
	s_delay_alu instid0(VALU_DEP_1) | instskip(NEXT) | instid1(VALU_DEP_1)
	v_sub_f32_e32 v103, v103, v112
	v_dual_sub_f32 v112, v115, v114 :: v_dual_add_f32 v29, v29, v103
	v_add_f32_e32 v103, v116, v113
	s_delay_alu instid0(VALU_DEP_1) | instskip(NEXT) | instid1(VALU_DEP_1)
	v_dual_add_f32 v29, v112, v29 :: v_dual_sub_f32 v112, v103, v116
	v_add_f32_e32 v29, v117, v29
	s_delay_alu instid0(VALU_DEP_1) | instskip(NEXT) | instid1(VALU_DEP_1)
	v_dual_sub_f32 v112, v113, v112 :: v_dual_mul_f32 v29, v102, v29
	v_add_f32_e32 v29, v112, v29
	s_delay_alu instid0(VALU_DEP_1) | instskip(NEXT) | instid1(VALU_DEP_1)
	v_add_f32_e32 v102, v103, v29
	v_mul_f32_e32 v112, v102, v102
	s_delay_alu instid0(VALU_DEP_1) | instskip(SKIP_2) | instid1(VALU_DEP_3)
	v_fmaak_f32 v113, s24, v112, 0x3ecc95a3
	v_mul_f32_e32 v114, v102, v112
	v_cmp_eq_f32_e64 s24, 0x7f800000, v101
	v_fmaak_f32 v112, v112, v113, 0x3f2aaada
	v_ldexp_f32 v113, v102, 1
	v_sub_f32_e32 v102, v102, v103
	s_delay_alu instid0(VALU_DEP_4) | instskip(NEXT) | instid1(VALU_DEP_3)
	s_or_b32 s24, s24, s27
	v_mul_f32_e32 v112, v114, v112
	s_delay_alu instid0(VALU_DEP_2) | instskip(NEXT) | instid1(VALU_DEP_2)
	v_dual_mul_f32 v114, 0x3f317218, v28 :: v_dual_sub_f32 v29, v29, v102
	v_add_f32_e32 v103, v113, v112
	s_delay_alu instid0(VALU_DEP_2) | instskip(NEXT) | instid1(VALU_DEP_2)
	v_ldexp_f32 v29, v29, 1
	v_sub_f32_e32 v102, v103, v113
	s_delay_alu instid0(VALU_DEP_4) | instskip(NEXT) | instid1(VALU_DEP_2)
	v_fma_f32 v113, 0x3f317218, v28, -v114
	v_sub_f32_e32 v102, v112, v102
	s_delay_alu instid0(VALU_DEP_1) | instskip(NEXT) | instid1(VALU_DEP_1)
	v_dual_fmamk_f32 v28, v28, 0xb102e308, v113 :: v_dual_add_f32 v29, v29, v102
	v_add_f32_e32 v102, v114, v28
	s_delay_alu instid0(VALU_DEP_2) | instskip(NEXT) | instid1(VALU_DEP_2)
	v_add_f32_e32 v112, v103, v29
	v_sub_f32_e32 v114, v102, v114
	s_delay_alu instid0(VALU_DEP_2) | instskip(SKIP_1) | instid1(VALU_DEP_3)
	v_add_f32_e32 v113, v102, v112
	v_sub_f32_e32 v103, v112, v103
	v_sub_f32_e32 v28, v28, v114
	s_delay_alu instid0(VALU_DEP_3) | instskip(NEXT) | instid1(VALU_DEP_3)
	v_sub_f32_e32 v115, v113, v102
	v_sub_f32_e32 v29, v29, v103
	s_delay_alu instid0(VALU_DEP_2) | instskip(SKIP_1) | instid1(VALU_DEP_3)
	v_sub_f32_e32 v116, v113, v115
	v_sub_f32_e32 v103, v112, v115
	v_add_f32_e32 v112, v28, v29
	s_delay_alu instid0(VALU_DEP_3) | instskip(NEXT) | instid1(VALU_DEP_1)
	v_sub_f32_e32 v102, v102, v116
	v_dual_add_f32 v102, v103, v102 :: v_dual_sub_f32 v103, v112, v28
	s_delay_alu instid0(VALU_DEP_1) | instskip(NEXT) | instid1(VALU_DEP_2)
	v_add_f32_e32 v102, v112, v102
	v_sub_f32_e32 v112, v112, v103
	v_sub_f32_e32 v29, v29, v103
	s_delay_alu instid0(VALU_DEP_3) | instskip(NEXT) | instid1(VALU_DEP_1)
	v_add_f32_e32 v114, v113, v102
	v_dual_sub_f32 v28, v28, v112 :: v_dual_sub_f32 v103, v114, v113
	s_delay_alu instid0(VALU_DEP_1) | instskip(NEXT) | instid1(VALU_DEP_1)
	v_dual_add_f32 v28, v29, v28 :: v_dual_sub_f32 v29, v102, v103
	v_add_f32_e32 v28, v28, v29
	s_delay_alu instid0(VALU_DEP_1) | instskip(NEXT) | instid1(VALU_DEP_1)
	v_add_f32_e32 v28, v114, v28
	v_cndmask_b32_e64 v28, v28, v101, s24
	s_delay_alu instid0(VALU_DEP_1) | instskip(NEXT) | instid1(VALU_DEP_1)
	v_add_f32_e32 v27, v27, v28
	v_cvt_f16_f32_e32 v28, v27
.LBB410_116:
	s_or_b32 exec_lo, exec_lo, s25
	v_cmp_eq_u32_e64 s24, 0, v0
	; wave barrier
	s_delay_alu instid0(VALU_DEP_1)
	v_cndmask_b32_e64 v28, v28, v100, s24
	ds_store_b16 v26, v28
	; wave barrier
	ds_load_u16 v27, v26 offset:2
	v_cvt_f32_f16_e32 v29, v28
	v_cmp_u_f16_e64 s24, v28, v28
	s_waitcnt lgkmcnt(0)
	v_cvt_f32_f16_e32 v101, v27
	s_delay_alu instid0(VALU_DEP_1) | instskip(SKIP_1) | instid1(VALU_DEP_2)
	v_min_f32_e32 v102, v29, v101
	v_max_f32_e32 v103, v29, v101
	v_cndmask_b32_e64 v102, v102, v29, s24
	s_delay_alu instid0(VALU_DEP_2) | instskip(SKIP_1) | instid1(VALU_DEP_1)
	v_cndmask_b32_e64 v103, v103, v29, s24
	v_cmp_u_f16_e64 s24, v27, v27
	v_cndmask_b32_e64 v29, v102, v101, s24
	s_delay_alu instid0(VALU_DEP_3) | instskip(NEXT) | instid1(VALU_DEP_2)
	v_cndmask_b32_e64 v27, v103, v101, s24
	v_cmp_class_f32_e64 s25, v29, 0x1f8
	s_delay_alu instid0(VALU_DEP_2) | instskip(NEXT) | instid1(VALU_DEP_1)
	v_cmp_neq_f32_e64 s24, v29, v27
	s_or_b32 s24, s24, s25
	s_delay_alu instid0(SALU_CYCLE_1)
	s_and_saveexec_b32 s25, s24
	s_cbranch_execz .LBB410_118
; %bb.117:
	v_sub_f32_e32 v28, v29, v27
	s_delay_alu instid0(VALU_DEP_1) | instskip(SKIP_1) | instid1(VALU_DEP_2)
	v_mul_f32_e32 v29, 0x3fb8aa3b, v28
	v_cmp_ngt_f32_e64 s24, 0xc2ce8ed0, v28
	v_fma_f32 v101, 0x3fb8aa3b, v28, -v29
	v_rndne_f32_e32 v102, v29
	s_delay_alu instid0(VALU_DEP_2) | instskip(NEXT) | instid1(VALU_DEP_2)
	v_fmamk_f32 v101, v28, 0x32a5705f, v101
	v_sub_f32_e32 v29, v29, v102
	s_delay_alu instid0(VALU_DEP_1) | instskip(SKIP_1) | instid1(VALU_DEP_2)
	v_add_f32_e32 v29, v29, v101
	v_cvt_i32_f32_e32 v101, v102
	v_exp_f32_e32 v29, v29
	s_waitcnt_depctr 0xfff
	v_ldexp_f32 v29, v29, v101
	s_delay_alu instid0(VALU_DEP_1) | instskip(SKIP_1) | instid1(VALU_DEP_1)
	v_cndmask_b32_e64 v29, 0, v29, s24
	v_cmp_nlt_f32_e64 s24, 0x42b17218, v28
	v_cndmask_b32_e64 v101, 0x7f800000, v29, s24
	s_delay_alu instid0(VALU_DEP_1) | instskip(SKIP_1) | instid1(VALU_DEP_2)
	v_add_f32_e32 v102, 1.0, v101
	v_cmp_gt_f32_e64 s27, 0x33800000, |v101|
	v_cvt_f64_f32_e32 v[28:29], v102
	s_delay_alu instid0(VALU_DEP_1) | instskip(SKIP_1) | instid1(VALU_DEP_1)
	v_frexp_exp_i32_f64_e32 v28, v[28:29]
	v_frexp_mant_f32_e32 v29, v102
	v_cmp_gt_f32_e64 s24, 0x3f2aaaab, v29
	v_add_f32_e32 v29, -1.0, v102
	s_delay_alu instid0(VALU_DEP_1) | instskip(NEXT) | instid1(VALU_DEP_1)
	v_sub_f32_e32 v112, v29, v102
	v_dual_sub_f32 v29, v101, v29 :: v_dual_add_f32 v112, 1.0, v112
	s_delay_alu instid0(VALU_DEP_1) | instskip(SKIP_2) | instid1(VALU_DEP_1)
	v_add_f32_e32 v29, v29, v112
	v_subrev_co_ci_u32_e64 v28, s24, 0, v28, s24
	s_mov_b32 s24, 0x3e9b6dac
	v_sub_nc_u32_e32 v103, 0, v28
	v_cvt_f32_i32_e32 v28, v28
	s_delay_alu instid0(VALU_DEP_2) | instskip(SKIP_1) | instid1(VALU_DEP_2)
	v_ldexp_f32 v102, v102, v103
	v_ldexp_f32 v29, v29, v103
	v_add_f32_e32 v113, 1.0, v102
	s_delay_alu instid0(VALU_DEP_1) | instskip(NEXT) | instid1(VALU_DEP_1)
	v_add_f32_e32 v112, -1.0, v113
	v_sub_f32_e32 v112, v102, v112
	s_delay_alu instid0(VALU_DEP_1) | instskip(NEXT) | instid1(VALU_DEP_1)
	v_dual_add_f32 v112, v29, v112 :: v_dual_add_f32 v103, -1.0, v102
	v_add_f32_e32 v114, 1.0, v103
	s_delay_alu instid0(VALU_DEP_1) | instskip(NEXT) | instid1(VALU_DEP_3)
	v_sub_f32_e32 v102, v102, v114
	v_add_f32_e32 v114, v113, v112
	s_delay_alu instid0(VALU_DEP_1) | instskip(NEXT) | instid1(VALU_DEP_3)
	v_sub_f32_e32 v113, v113, v114
	v_add_f32_e32 v29, v29, v102
	v_rcp_f32_e32 v102, v114
	s_delay_alu instid0(VALU_DEP_2) | instskip(NEXT) | instid1(VALU_DEP_2)
	v_add_f32_e32 v112, v112, v113
	v_add_f32_e32 v115, v103, v29
	s_delay_alu instid0(VALU_DEP_1) | instskip(SKIP_2) | instid1(VALU_DEP_1)
	v_sub_f32_e32 v103, v103, v115
	s_waitcnt_depctr 0xfff
	v_dual_mul_f32 v116, v115, v102 :: v_dual_add_f32 v29, v29, v103
	v_mul_f32_e32 v117, v114, v116
	s_delay_alu instid0(VALU_DEP_1) | instskip(NEXT) | instid1(VALU_DEP_1)
	v_fma_f32 v113, v116, v114, -v117
	v_fmac_f32_e32 v113, v116, v112
	s_delay_alu instid0(VALU_DEP_1) | instskip(NEXT) | instid1(VALU_DEP_1)
	v_add_f32_e32 v118, v117, v113
	v_sub_f32_e32 v119, v115, v118
	s_delay_alu instid0(VALU_DEP_1) | instskip(SKIP_1) | instid1(VALU_DEP_2)
	v_sub_f32_e32 v115, v115, v119
	v_sub_f32_e32 v103, v118, v117
	;; [unrolled: 1-line block ×3, first 2 shown]
	s_delay_alu instid0(VALU_DEP_2) | instskip(NEXT) | instid1(VALU_DEP_2)
	v_sub_f32_e32 v103, v103, v113
	v_add_f32_e32 v29, v29, v115
	s_delay_alu instid0(VALU_DEP_1) | instskip(NEXT) | instid1(VALU_DEP_1)
	v_add_f32_e32 v29, v103, v29
	v_add_f32_e32 v103, v119, v29
	s_delay_alu instid0(VALU_DEP_1) | instskip(NEXT) | instid1(VALU_DEP_1)
	v_mul_f32_e32 v113, v102, v103
	v_mul_f32_e32 v115, v114, v113
	s_delay_alu instid0(VALU_DEP_1) | instskip(NEXT) | instid1(VALU_DEP_1)
	v_fma_f32 v114, v113, v114, -v115
	v_fmac_f32_e32 v114, v113, v112
	v_sub_f32_e32 v118, v119, v103
	s_delay_alu instid0(VALU_DEP_2) | instskip(NEXT) | instid1(VALU_DEP_2)
	v_add_f32_e32 v112, v115, v114
	v_add_f32_e32 v29, v29, v118
	s_delay_alu instid0(VALU_DEP_2) | instskip(SKIP_1) | instid1(VALU_DEP_2)
	v_sub_f32_e32 v117, v103, v112
	v_sub_f32_e32 v115, v112, v115
	;; [unrolled: 1-line block ×3, first 2 shown]
	s_delay_alu instid0(VALU_DEP_1) | instskip(NEXT) | instid1(VALU_DEP_1)
	v_sub_f32_e32 v103, v103, v112
	v_dual_sub_f32 v112, v115, v114 :: v_dual_add_f32 v29, v29, v103
	v_add_f32_e32 v103, v116, v113
	s_delay_alu instid0(VALU_DEP_1) | instskip(NEXT) | instid1(VALU_DEP_1)
	v_dual_add_f32 v29, v112, v29 :: v_dual_sub_f32 v112, v103, v116
	v_add_f32_e32 v29, v117, v29
	s_delay_alu instid0(VALU_DEP_1) | instskip(NEXT) | instid1(VALU_DEP_1)
	v_dual_sub_f32 v112, v113, v112 :: v_dual_mul_f32 v29, v102, v29
	v_add_f32_e32 v29, v112, v29
	s_delay_alu instid0(VALU_DEP_1) | instskip(NEXT) | instid1(VALU_DEP_1)
	v_add_f32_e32 v102, v103, v29
	v_mul_f32_e32 v112, v102, v102
	s_delay_alu instid0(VALU_DEP_1) | instskip(SKIP_2) | instid1(VALU_DEP_3)
	v_fmaak_f32 v113, s24, v112, 0x3ecc95a3
	v_mul_f32_e32 v114, v102, v112
	v_cmp_eq_f32_e64 s24, 0x7f800000, v101
	v_fmaak_f32 v112, v112, v113, 0x3f2aaada
	v_ldexp_f32 v113, v102, 1
	v_sub_f32_e32 v102, v102, v103
	s_delay_alu instid0(VALU_DEP_4) | instskip(NEXT) | instid1(VALU_DEP_3)
	s_or_b32 s24, s24, s27
	v_mul_f32_e32 v112, v114, v112
	s_delay_alu instid0(VALU_DEP_2) | instskip(NEXT) | instid1(VALU_DEP_2)
	v_dual_mul_f32 v114, 0x3f317218, v28 :: v_dual_sub_f32 v29, v29, v102
	v_add_f32_e32 v103, v113, v112
	s_delay_alu instid0(VALU_DEP_2) | instskip(NEXT) | instid1(VALU_DEP_2)
	v_ldexp_f32 v29, v29, 1
	v_sub_f32_e32 v102, v103, v113
	s_delay_alu instid0(VALU_DEP_4) | instskip(NEXT) | instid1(VALU_DEP_2)
	v_fma_f32 v113, 0x3f317218, v28, -v114
	v_sub_f32_e32 v102, v112, v102
	s_delay_alu instid0(VALU_DEP_1) | instskip(NEXT) | instid1(VALU_DEP_1)
	v_dual_fmamk_f32 v28, v28, 0xb102e308, v113 :: v_dual_add_f32 v29, v29, v102
	v_add_f32_e32 v102, v114, v28
	s_delay_alu instid0(VALU_DEP_2) | instskip(NEXT) | instid1(VALU_DEP_2)
	v_add_f32_e32 v112, v103, v29
	v_sub_f32_e32 v114, v102, v114
	s_delay_alu instid0(VALU_DEP_2) | instskip(SKIP_1) | instid1(VALU_DEP_3)
	v_add_f32_e32 v113, v102, v112
	v_sub_f32_e32 v103, v112, v103
	v_sub_f32_e32 v28, v28, v114
	s_delay_alu instid0(VALU_DEP_3) | instskip(NEXT) | instid1(VALU_DEP_3)
	v_sub_f32_e32 v115, v113, v102
	v_sub_f32_e32 v29, v29, v103
	s_delay_alu instid0(VALU_DEP_2) | instskip(SKIP_1) | instid1(VALU_DEP_3)
	v_sub_f32_e32 v116, v113, v115
	v_sub_f32_e32 v103, v112, v115
	v_add_f32_e32 v112, v28, v29
	s_delay_alu instid0(VALU_DEP_3) | instskip(NEXT) | instid1(VALU_DEP_1)
	v_sub_f32_e32 v102, v102, v116
	v_dual_add_f32 v102, v103, v102 :: v_dual_sub_f32 v103, v112, v28
	s_delay_alu instid0(VALU_DEP_1) | instskip(NEXT) | instid1(VALU_DEP_2)
	v_add_f32_e32 v102, v112, v102
	v_sub_f32_e32 v112, v112, v103
	v_sub_f32_e32 v29, v29, v103
	s_delay_alu instid0(VALU_DEP_3) | instskip(NEXT) | instid1(VALU_DEP_1)
	v_add_f32_e32 v114, v113, v102
	v_dual_sub_f32 v28, v28, v112 :: v_dual_sub_f32 v103, v114, v113
	s_delay_alu instid0(VALU_DEP_1) | instskip(NEXT) | instid1(VALU_DEP_1)
	v_dual_add_f32 v28, v29, v28 :: v_dual_sub_f32 v29, v102, v103
	v_add_f32_e32 v28, v28, v29
	s_delay_alu instid0(VALU_DEP_1) | instskip(NEXT) | instid1(VALU_DEP_1)
	v_add_f32_e32 v28, v114, v28
	v_cndmask_b32_e64 v28, v28, v101, s24
	s_delay_alu instid0(VALU_DEP_1) | instskip(NEXT) | instid1(VALU_DEP_1)
	v_add_f32_e32 v27, v27, v28
	v_cvt_f16_f32_e32 v28, v27
.LBB410_118:
	s_or_b32 exec_lo, exec_lo, s25
	ds_store_b16 v26, v28 offset:2
.LBB410_119:
	s_or_b32 exec_lo, exec_lo, s26
	v_cmp_eq_u32_e64 s25, 0, v0
	v_cmp_ne_u32_e64 s24, 0, v0
	s_waitcnt lgkmcnt(0)
	s_barrier
	buffer_gl0_inv
	s_and_saveexec_b32 s26, s24
	s_cbranch_execz .LBB410_121
; %bb.120:
	v_add_nc_u32_e32 v26, -1, v0
	s_delay_alu instid0(VALU_DEP_1) | instskip(NEXT) | instid1(VALU_DEP_1)
	v_lshrrev_b32_e32 v27, 5, v26
	v_add_lshl_u32 v26, v27, v26, 1
	ds_load_u16 v100, v26
.LBB410_121:
	s_or_b32 exec_lo, exec_lo, s26
	s_and_saveexec_b32 s27, vcc_lo
	s_cbranch_execz .LBB410_188
; %bb.122:
	v_mov_b32_e32 v28, 0
	v_mbcnt_lo_u32_b32 v102, -1, 0
	s_mov_b32 vcc_hi, 0
	ds_load_u16 v101, v28 offset:128
	v_cmp_eq_u32_e64 s26, 0, v102
	s_delay_alu instid0(VALU_DEP_1)
	s_and_saveexec_b32 s30, s26
	s_cbranch_execz .LBB410_124
; %bb.123:
	s_add_i32 vcc_lo, s12, 32
	s_waitcnt lgkmcnt(0)
	v_or_b32_e32 v29, 0x10000, v101
	s_lshl_b64 vcc, vcc, 2
	s_delay_alu instid0(SALU_CYCLE_1)
	v_add_co_u32 v26, vcc_lo, v14, vcc_lo
	v_add_co_ci_u32_e32 v27, vcc_lo, vcc_hi, v15, vcc_lo
	flat_store_b32 v[26:27], v29
.LBB410_124:
	s_or_b32 exec_lo, exec_lo, s30
	v_xad_u32 v26, v102, -1, s12
	s_mov_b32 vcc_hi, exec_lo
	s_delay_alu instid0(VALU_DEP_1) | instskip(NEXT) | instid1(VALU_DEP_1)
	v_add_nc_u32_e32 v27, 32, v26
	v_lshlrev_b64 v[27:28], 2, v[27:28]
	s_delay_alu instid0(VALU_DEP_1) | instskip(NEXT) | instid1(VALU_DEP_2)
	v_add_co_u32 v27, vcc_lo, v14, v27
	v_add_co_ci_u32_e32 v28, vcc_lo, v15, v28, vcc_lo
	flat_load_b32 v131, v[27:28] glc
	s_waitcnt vmcnt(0) lgkmcnt(0)
	v_lshrrev_b32_e32 v113, 16, v131
	s_delay_alu instid0(VALU_DEP_1) | instskip(NEXT) | instid1(VALU_DEP_1)
	v_and_b32_e32 v29, 0xff, v113
	v_cmpx_eq_u16_e32 0, v29
	s_cbranch_execz .LBB410_130
; %bb.125:
	s_mov_b32 s31, 1
	s_mov_b32 s30, 0
	.p2align	6
.LBB410_126:                            ; =>This Loop Header: Depth=1
                                        ;     Child Loop BB410_127 Depth 2
	s_max_u32 vcc_lo, s31, 1
.LBB410_127:                            ;   Parent Loop BB410_126 Depth=1
                                        ; =>  This Inner Loop Header: Depth=2
	s_delay_alu instid0(SALU_CYCLE_1)
	s_add_i32 vcc_lo, vcc_lo, -1
	s_sleep 1
	s_cmp_eq_u32 vcc_lo, 0
	s_cbranch_scc0 .LBB410_127
; %bb.128:                              ;   in Loop: Header=BB410_126 Depth=1
	flat_load_b32 v131, v[27:28] glc
	s_cmp_lt_u32 s31, 32
	s_cselect_b32 s34, -1, 0
	s_delay_alu instid0(SALU_CYCLE_1) | instskip(SKIP_3) | instid1(VALU_DEP_1)
	s_cmp_lg_u32 s34, 0
	s_addc_u32 s31, s31, 0
	s_waitcnt vmcnt(0) lgkmcnt(0)
	v_lshrrev_b32_e32 v113, 16, v131
	v_and_b32_e32 v29, 0xff, v113
	s_delay_alu instid0(VALU_DEP_1) | instskip(SKIP_1) | instid1(SALU_CYCLE_1)
	v_cmp_ne_u16_e32 vcc_lo, 0, v29
	s_or_b32 s30, vcc_lo, s30
	s_and_not1_b32 exec_lo, exec_lo, s30
	s_cbranch_execnz .LBB410_126
; %bb.129:
	s_or_b32 exec_lo, exec_lo, s30
.LBB410_130:
	s_delay_alu instid0(SALU_CYCLE_1)
	s_or_b32 exec_lo, exec_lo, vcc_hi
	v_cmp_ne_u32_e32 vcc_lo, 31, v102
	v_and_b32_e32 v29, 0xff, v113
	v_and_b32_e32 v28, 0xffff, v131
	v_lshlrev_b32_e64 v112, v102, -1
	v_add_co_ci_u32_e32 v27, vcc_lo, 0, v102, vcc_lo
	s_delay_alu instid0(VALU_DEP_4) | instskip(SKIP_1) | instid1(VALU_DEP_2)
	v_cmp_eq_u16_e32 vcc_lo, 2, v29
	s_mov_b32 vcc_hi, exec_lo
	v_lshlrev_b32_e32 v103, 2, v27
	v_and_or_b32 v27, vcc_lo, v112, 0x80000000
	ds_bpermute_b32 v29, v103, v28
	v_ctz_i32_b32_e32 v27, v27
	s_delay_alu instid0(VALU_DEP_1)
	v_cmpx_lt_u32_e64 v102, v27
	s_cbranch_execz .LBB410_134
; %bb.131:
	s_waitcnt lgkmcnt(0)
	v_cvt_f32_f16_e32 v28, v29
	v_cvt_f32_f16_e64 v115, v131
	v_cmp_u_f16_e32 vcc_lo, v29, v29
	s_delay_alu instid0(VALU_DEP_2) | instskip(SKIP_1) | instid1(VALU_DEP_2)
	v_min_f32_e32 v114, v28, v115
	v_max_f32_e32 v116, v28, v115
	v_cndmask_b32_e32 v114, v114, v28, vcc_lo
	s_delay_alu instid0(VALU_DEP_2) | instskip(SKIP_1) | instid1(VALU_DEP_3)
	v_cndmask_b32_e32 v28, v116, v28, vcc_lo
	v_cmp_u_f16_e64 vcc_lo, v131, v131
	v_cndmask_b32_e32 v114, v114, v115, vcc_lo
	s_delay_alu instid0(VALU_DEP_3) | instskip(NEXT) | instid1(VALU_DEP_2)
	v_cndmask_b32_e32 v28, v28, v115, vcc_lo
	v_cmp_class_f32_e64 s30, v114, 0x1f8
	s_delay_alu instid0(VALU_DEP_2) | instskip(NEXT) | instid1(VALU_DEP_2)
	v_cmp_neq_f32_e32 vcc_lo, v114, v28
	s_or_b32 vcc_lo, vcc_lo, s30
	s_delay_alu instid0(SALU_CYCLE_1)
	s_and_saveexec_b32 s30, vcc_lo
	s_cbranch_execz .LBB410_133
; %bb.132:
	v_sub_f32_e32 v29, v114, v28
	s_mov_b32 s31, 0x3e9b6dac
	s_delay_alu instid0(VALU_DEP_1) | instskip(SKIP_1) | instid1(VALU_DEP_2)
	v_mul_f32_e32 v114, 0x3fb8aa3b, v29
	v_cmp_ngt_f32_e32 vcc_lo, 0xc2ce8ed0, v29
	v_fma_f32 v115, 0x3fb8aa3b, v29, -v114
	v_rndne_f32_e32 v116, v114
	s_delay_alu instid0(VALU_DEP_1) | instskip(NEXT) | instid1(VALU_DEP_1)
	v_dual_fmamk_f32 v115, v29, 0x32a5705f, v115 :: v_dual_sub_f32 v114, v114, v116
	v_add_f32_e32 v114, v114, v115
	v_cvt_i32_f32_e32 v115, v116
	s_delay_alu instid0(VALU_DEP_2) | instskip(SKIP_2) | instid1(VALU_DEP_1)
	v_exp_f32_e32 v114, v114
	s_waitcnt_depctr 0xfff
	v_ldexp_f32 v114, v114, v115
	v_cndmask_b32_e32 v114, 0, v114, vcc_lo
	v_cmp_nlt_f32_e32 vcc_lo, 0x42b17218, v29
	s_delay_alu instid0(VALU_DEP_2) | instskip(NEXT) | instid1(VALU_DEP_1)
	v_cndmask_b32_e32 v29, 0x7f800000, v114, vcc_lo
	v_add_f32_e32 v116, 1.0, v29
	s_delay_alu instid0(VALU_DEP_1) | instskip(NEXT) | instid1(VALU_DEP_1)
	v_cvt_f64_f32_e32 v[114:115], v116
	v_frexp_exp_i32_f64_e32 v114, v[114:115]
	v_frexp_mant_f32_e32 v115, v116
	s_delay_alu instid0(VALU_DEP_1) | instskip(SKIP_1) | instid1(VALU_DEP_1)
	v_cmp_gt_f32_e32 vcc_lo, 0x3f2aaaab, v115
	v_add_f32_e32 v115, -1.0, v116
	v_dual_sub_f32 v118, v115, v116 :: v_dual_sub_f32 v115, v29, v115
	v_subrev_co_ci_u32_e32 v114, vcc_lo, 0, v114, vcc_lo
	v_cmp_eq_f32_e32 vcc_lo, 0x7f800000, v29
	s_delay_alu instid0(VALU_DEP_2) | instskip(SKIP_1) | instid1(VALU_DEP_2)
	v_sub_nc_u32_e32 v117, 0, v114
	v_cvt_f32_i32_e32 v114, v114
	v_ldexp_f32 v116, v116, v117
	s_delay_alu instid0(VALU_DEP_1) | instskip(NEXT) | instid1(VALU_DEP_1)
	v_dual_add_f32 v118, 1.0, v118 :: v_dual_add_f32 v119, 1.0, v116
	v_dual_add_f32 v115, v115, v118 :: v_dual_add_f32 v118, -1.0, v119
	s_delay_alu instid0(VALU_DEP_1) | instskip(NEXT) | instid1(VALU_DEP_2)
	v_ldexp_f32 v115, v115, v117
	v_dual_add_f32 v117, -1.0, v116 :: v_dual_sub_f32 v118, v116, v118
	s_delay_alu instid0(VALU_DEP_1) | instskip(NEXT) | instid1(VALU_DEP_2)
	v_add_f32_e32 v128, 1.0, v117
	v_add_f32_e32 v118, v115, v118
	s_delay_alu instid0(VALU_DEP_2) | instskip(NEXT) | instid1(VALU_DEP_1)
	v_sub_f32_e32 v116, v116, v128
	v_add_f32_e32 v115, v115, v116
	s_delay_alu instid0(VALU_DEP_1) | instskip(NEXT) | instid1(VALU_DEP_1)
	v_dual_add_f32 v129, v117, v115 :: v_dual_add_f32 v128, v119, v118
	v_sub_f32_e32 v117, v117, v129
	s_delay_alu instid0(VALU_DEP_2) | instskip(SKIP_1) | instid1(VALU_DEP_1)
	v_rcp_f32_e32 v116, v128
	v_sub_f32_e32 v119, v119, v128
	v_dual_add_f32 v115, v115, v117 :: v_dual_add_f32 v118, v118, v119
	s_waitcnt_depctr 0xfff
	v_mul_f32_e32 v130, v129, v116
	s_delay_alu instid0(VALU_DEP_1) | instskip(NEXT) | instid1(VALU_DEP_1)
	v_mul_f32_e32 v131, v128, v130
	v_fma_f32 v119, v130, v128, -v131
	s_delay_alu instid0(VALU_DEP_1) | instskip(NEXT) | instid1(VALU_DEP_1)
	v_fmac_f32_e32 v119, v130, v118
	v_add_f32_e32 v132, v131, v119
	s_delay_alu instid0(VALU_DEP_1) | instskip(NEXT) | instid1(VALU_DEP_1)
	v_sub_f32_e32 v133, v129, v132
	v_sub_f32_e32 v129, v129, v133
	;; [unrolled: 1-line block ×3, first 2 shown]
	s_delay_alu instid0(VALU_DEP_2) | instskip(NEXT) | instid1(VALU_DEP_2)
	v_sub_f32_e32 v129, v129, v132
	v_sub_f32_e32 v117, v117, v119
	s_delay_alu instid0(VALU_DEP_2) | instskip(NEXT) | instid1(VALU_DEP_1)
	v_add_f32_e32 v115, v115, v129
	v_add_f32_e32 v115, v117, v115
	s_delay_alu instid0(VALU_DEP_1) | instskip(NEXT) | instid1(VALU_DEP_1)
	v_add_f32_e32 v117, v133, v115
	v_mul_f32_e32 v119, v116, v117
	s_delay_alu instid0(VALU_DEP_1) | instskip(NEXT) | instid1(VALU_DEP_1)
	v_dual_sub_f32 v132, v133, v117 :: v_dual_mul_f32 v129, v128, v119
	v_add_f32_e32 v115, v115, v132
	s_delay_alu instid0(VALU_DEP_2) | instskip(NEXT) | instid1(VALU_DEP_1)
	v_fma_f32 v128, v119, v128, -v129
	v_fmac_f32_e32 v128, v119, v118
	s_delay_alu instid0(VALU_DEP_1) | instskip(NEXT) | instid1(VALU_DEP_1)
	v_add_f32_e32 v118, v129, v128
	v_sub_f32_e32 v131, v117, v118
	v_sub_f32_e32 v129, v118, v129
	s_delay_alu instid0(VALU_DEP_2) | instskip(NEXT) | instid1(VALU_DEP_1)
	v_sub_f32_e32 v117, v117, v131
	v_sub_f32_e32 v117, v117, v118
	s_delay_alu instid0(VALU_DEP_1) | instskip(SKIP_1) | instid1(VALU_DEP_1)
	v_dual_sub_f32 v118, v129, v128 :: v_dual_add_f32 v115, v115, v117
	v_add_f32_e32 v117, v130, v119
	v_dual_add_f32 v115, v118, v115 :: v_dual_sub_f32 v118, v117, v130
	s_delay_alu instid0(VALU_DEP_1) | instskip(NEXT) | instid1(VALU_DEP_1)
	v_add_f32_e32 v115, v131, v115
	v_dual_sub_f32 v118, v119, v118 :: v_dual_mul_f32 v115, v116, v115
	s_delay_alu instid0(VALU_DEP_1) | instskip(NEXT) | instid1(VALU_DEP_1)
	v_add_f32_e32 v115, v118, v115
	v_add_f32_e32 v116, v117, v115
	s_delay_alu instid0(VALU_DEP_1) | instskip(NEXT) | instid1(VALU_DEP_1)
	v_mul_f32_e32 v118, v116, v116
	v_fmaak_f32 v119, s31, v118, 0x3ecc95a3
	v_mul_f32_e32 v128, v116, v118
	v_cmp_gt_f32_e64 s31, 0x33800000, |v29|
	s_delay_alu instid0(VALU_DEP_3) | instskip(SKIP_2) | instid1(VALU_DEP_4)
	v_fmaak_f32 v118, v118, v119, 0x3f2aaada
	v_ldexp_f32 v119, v116, 1
	v_sub_f32_e32 v116, v116, v117
	s_or_b32 vcc_lo, vcc_lo, s31
	s_delay_alu instid0(VALU_DEP_3) | instskip(NEXT) | instid1(VALU_DEP_2)
	v_mul_f32_e32 v118, v128, v118
	v_dual_mul_f32 v128, 0x3f317218, v114 :: v_dual_sub_f32 v115, v115, v116
	s_delay_alu instid0(VALU_DEP_2) | instskip(NEXT) | instid1(VALU_DEP_2)
	v_add_f32_e32 v117, v119, v118
	v_ldexp_f32 v115, v115, 1
	s_delay_alu instid0(VALU_DEP_2) | instskip(NEXT) | instid1(VALU_DEP_4)
	v_sub_f32_e32 v116, v117, v119
	v_fma_f32 v119, 0x3f317218, v114, -v128
	s_delay_alu instid0(VALU_DEP_2) | instskip(NEXT) | instid1(VALU_DEP_1)
	v_sub_f32_e32 v116, v118, v116
	v_dual_fmamk_f32 v114, v114, 0xb102e308, v119 :: v_dual_add_f32 v115, v115, v116
	s_delay_alu instid0(VALU_DEP_1) | instskip(NEXT) | instid1(VALU_DEP_1)
	v_add_f32_e32 v116, v128, v114
	v_sub_f32_e32 v128, v116, v128
	s_delay_alu instid0(VALU_DEP_1) | instskip(NEXT) | instid1(VALU_DEP_4)
	v_sub_f32_e32 v114, v114, v128
	v_add_f32_e32 v118, v117, v115
	s_delay_alu instid0(VALU_DEP_1) | instskip(NEXT) | instid1(VALU_DEP_1)
	v_sub_f32_e32 v117, v118, v117
	v_sub_f32_e32 v115, v115, v117
	v_add_f32_e32 v119, v116, v118
	s_delay_alu instid0(VALU_DEP_1) | instskip(NEXT) | instid1(VALU_DEP_1)
	v_sub_f32_e32 v129, v119, v116
	v_sub_f32_e32 v117, v118, v129
	s_delay_alu instid0(VALU_DEP_4) | instskip(SKIP_1) | instid1(VALU_DEP_1)
	v_add_f32_e32 v118, v114, v115
	v_sub_f32_e32 v130, v119, v129
	v_sub_f32_e32 v116, v116, v130
	s_delay_alu instid0(VALU_DEP_1) | instskip(NEXT) | instid1(VALU_DEP_1)
	v_dual_add_f32 v116, v117, v116 :: v_dual_sub_f32 v117, v118, v114
	v_dual_add_f32 v116, v118, v116 :: v_dual_sub_f32 v115, v115, v117
	v_sub_f32_e32 v118, v118, v117
	s_delay_alu instid0(VALU_DEP_2) | instskip(NEXT) | instid1(VALU_DEP_1)
	v_add_f32_e32 v128, v119, v116
	v_dual_sub_f32 v114, v114, v118 :: v_dual_sub_f32 v117, v128, v119
	s_delay_alu instid0(VALU_DEP_1) | instskip(NEXT) | instid1(VALU_DEP_1)
	v_dual_add_f32 v114, v115, v114 :: v_dual_sub_f32 v115, v116, v117
	v_add_f32_e32 v114, v114, v115
	s_delay_alu instid0(VALU_DEP_1) | instskip(NEXT) | instid1(VALU_DEP_1)
	v_add_f32_e32 v114, v128, v114
	v_cndmask_b32_e32 v29, v114, v29, vcc_lo
	s_delay_alu instid0(VALU_DEP_1) | instskip(NEXT) | instid1(VALU_DEP_1)
	v_add_f32_e32 v28, v28, v29
	v_cvt_f16_f32_e32 v29, v28
.LBB410_133:
	s_or_b32 exec_lo, exec_lo, s30
	s_delay_alu instid0(VALU_DEP_1)
	v_dual_mov_b32 v131, v29 :: v_dual_and_b32 v28, 0xffff, v29
.LBB410_134:
	s_or_b32 exec_lo, exec_lo, vcc_hi
	v_cmp_gt_u32_e32 vcc_lo, 30, v102
	v_add_nc_u32_e32 v115, 2, v102
	s_mov_b32 vcc_hi, exec_lo
	s_waitcnt lgkmcnt(0)
	v_cndmask_b32_e64 v29, 0, 1, vcc_lo
	s_delay_alu instid0(VALU_DEP_1) | instskip(NEXT) | instid1(VALU_DEP_1)
	v_lshlrev_b32_e32 v29, 1, v29
	v_add_lshl_u32 v114, v29, v102, 2
	ds_bpermute_b32 v29, v114, v28
	v_cmpx_le_u32_e64 v115, v27
	s_cbranch_execz .LBB410_138
; %bb.135:
	s_waitcnt lgkmcnt(0)
	v_cvt_f32_f16_e32 v28, v29
	v_cvt_f32_f16_e64 v117, v131
	v_cmp_u_f16_e32 vcc_lo, v29, v29
	s_delay_alu instid0(VALU_DEP_2) | instskip(SKIP_1) | instid1(VALU_DEP_2)
	v_min_f32_e32 v116, v28, v117
	v_max_f32_e32 v118, v28, v117
	v_cndmask_b32_e32 v116, v116, v28, vcc_lo
	s_delay_alu instid0(VALU_DEP_2) | instskip(SKIP_1) | instid1(VALU_DEP_3)
	v_cndmask_b32_e32 v28, v118, v28, vcc_lo
	v_cmp_u_f16_e64 vcc_lo, v131, v131
	v_cndmask_b32_e32 v116, v116, v117, vcc_lo
	s_delay_alu instid0(VALU_DEP_3) | instskip(NEXT) | instid1(VALU_DEP_2)
	v_cndmask_b32_e32 v28, v28, v117, vcc_lo
	v_cmp_class_f32_e64 s30, v116, 0x1f8
	s_delay_alu instid0(VALU_DEP_2) | instskip(NEXT) | instid1(VALU_DEP_2)
	v_cmp_neq_f32_e32 vcc_lo, v116, v28
	s_or_b32 vcc_lo, vcc_lo, s30
	s_delay_alu instid0(SALU_CYCLE_1)
	s_and_saveexec_b32 s30, vcc_lo
	s_cbranch_execz .LBB410_137
; %bb.136:
	v_sub_f32_e32 v29, v116, v28
	s_mov_b32 s31, 0x3e9b6dac
	s_delay_alu instid0(VALU_DEP_1) | instskip(SKIP_1) | instid1(VALU_DEP_2)
	v_mul_f32_e32 v116, 0x3fb8aa3b, v29
	v_cmp_ngt_f32_e32 vcc_lo, 0xc2ce8ed0, v29
	v_fma_f32 v117, 0x3fb8aa3b, v29, -v116
	v_rndne_f32_e32 v118, v116
	s_delay_alu instid0(VALU_DEP_1) | instskip(NEXT) | instid1(VALU_DEP_1)
	v_dual_fmamk_f32 v117, v29, 0x32a5705f, v117 :: v_dual_sub_f32 v116, v116, v118
	v_add_f32_e32 v116, v116, v117
	v_cvt_i32_f32_e32 v117, v118
	s_delay_alu instid0(VALU_DEP_2) | instskip(SKIP_2) | instid1(VALU_DEP_1)
	v_exp_f32_e32 v116, v116
	s_waitcnt_depctr 0xfff
	v_ldexp_f32 v116, v116, v117
	v_cndmask_b32_e32 v116, 0, v116, vcc_lo
	v_cmp_nlt_f32_e32 vcc_lo, 0x42b17218, v29
	s_delay_alu instid0(VALU_DEP_2) | instskip(NEXT) | instid1(VALU_DEP_1)
	v_cndmask_b32_e32 v29, 0x7f800000, v116, vcc_lo
	v_add_f32_e32 v118, 1.0, v29
	s_delay_alu instid0(VALU_DEP_1) | instskip(NEXT) | instid1(VALU_DEP_1)
	v_cvt_f64_f32_e32 v[116:117], v118
	v_frexp_exp_i32_f64_e32 v116, v[116:117]
	v_frexp_mant_f32_e32 v117, v118
	s_delay_alu instid0(VALU_DEP_1) | instskip(SKIP_1) | instid1(VALU_DEP_1)
	v_cmp_gt_f32_e32 vcc_lo, 0x3f2aaaab, v117
	v_add_f32_e32 v117, -1.0, v118
	v_sub_f32_e32 v128, v117, v118
	s_delay_alu instid0(VALU_DEP_1) | instskip(NEXT) | instid1(VALU_DEP_1)
	v_dual_sub_f32 v117, v29, v117 :: v_dual_add_f32 v128, 1.0, v128
	v_add_f32_e32 v117, v117, v128
	v_subrev_co_ci_u32_e32 v116, vcc_lo, 0, v116, vcc_lo
	s_delay_alu instid0(VALU_DEP_1) | instskip(SKIP_1) | instid1(VALU_DEP_2)
	v_sub_nc_u32_e32 v119, 0, v116
	v_cvt_f32_i32_e32 v116, v116
	v_ldexp_f32 v118, v118, v119
	v_ldexp_f32 v117, v117, v119
	s_delay_alu instid0(VALU_DEP_2) | instskip(NEXT) | instid1(VALU_DEP_1)
	v_add_f32_e32 v119, -1.0, v118
	v_dual_add_f32 v129, 1.0, v118 :: v_dual_add_f32 v130, 1.0, v119
	s_delay_alu instid0(VALU_DEP_1) | instskip(SKIP_1) | instid1(VALU_DEP_2)
	v_add_f32_e32 v128, -1.0, v129
	v_cmp_eq_f32_e32 vcc_lo, 0x7f800000, v29
	v_sub_f32_e32 v128, v118, v128
	s_delay_alu instid0(VALU_DEP_4) | instskip(NEXT) | instid1(VALU_DEP_2)
	v_sub_f32_e32 v118, v118, v130
	v_add_f32_e32 v128, v117, v128
	s_delay_alu instid0(VALU_DEP_2) | instskip(NEXT) | instid1(VALU_DEP_1)
	v_add_f32_e32 v117, v117, v118
	v_dual_add_f32 v131, v119, v117 :: v_dual_add_f32 v130, v129, v128
	s_delay_alu instid0(VALU_DEP_1) | instskip(NEXT) | instid1(VALU_DEP_2)
	v_sub_f32_e32 v119, v119, v131
	v_rcp_f32_e32 v118, v130
	v_sub_f32_e32 v129, v129, v130
	s_delay_alu instid0(VALU_DEP_1) | instskip(SKIP_2) | instid1(VALU_DEP_1)
	v_dual_add_f32 v117, v117, v119 :: v_dual_add_f32 v128, v128, v129
	s_waitcnt_depctr 0xfff
	v_mul_f32_e32 v132, v131, v118
	v_mul_f32_e32 v133, v130, v132
	s_delay_alu instid0(VALU_DEP_1) | instskip(NEXT) | instid1(VALU_DEP_1)
	v_fma_f32 v129, v132, v130, -v133
	v_fmac_f32_e32 v129, v132, v128
	s_delay_alu instid0(VALU_DEP_1) | instskip(NEXT) | instid1(VALU_DEP_1)
	v_add_f32_e32 v134, v133, v129
	v_sub_f32_e32 v135, v131, v134
	s_delay_alu instid0(VALU_DEP_1) | instskip(SKIP_1) | instid1(VALU_DEP_2)
	v_sub_f32_e32 v131, v131, v135
	v_sub_f32_e32 v119, v134, v133
	;; [unrolled: 1-line block ×3, first 2 shown]
	s_delay_alu instid0(VALU_DEP_2) | instskip(NEXT) | instid1(VALU_DEP_2)
	v_sub_f32_e32 v119, v119, v129
	v_add_f32_e32 v117, v117, v131
	s_delay_alu instid0(VALU_DEP_1) | instskip(NEXT) | instid1(VALU_DEP_1)
	v_add_f32_e32 v117, v119, v117
	v_add_f32_e32 v119, v135, v117
	s_delay_alu instid0(VALU_DEP_1) | instskip(NEXT) | instid1(VALU_DEP_1)
	v_mul_f32_e32 v129, v118, v119
	v_dual_sub_f32 v134, v135, v119 :: v_dual_mul_f32 v131, v130, v129
	s_delay_alu instid0(VALU_DEP_1) | instskip(NEXT) | instid1(VALU_DEP_2)
	v_add_f32_e32 v117, v117, v134
	v_fma_f32 v130, v129, v130, -v131
	s_delay_alu instid0(VALU_DEP_1) | instskip(NEXT) | instid1(VALU_DEP_1)
	v_fmac_f32_e32 v130, v129, v128
	v_add_f32_e32 v128, v131, v130
	s_delay_alu instid0(VALU_DEP_1) | instskip(SKIP_1) | instid1(VALU_DEP_2)
	v_sub_f32_e32 v133, v119, v128
	v_sub_f32_e32 v131, v128, v131
	;; [unrolled: 1-line block ×3, first 2 shown]
	s_delay_alu instid0(VALU_DEP_1) | instskip(NEXT) | instid1(VALU_DEP_1)
	v_sub_f32_e32 v119, v119, v128
	v_dual_sub_f32 v128, v131, v130 :: v_dual_add_f32 v117, v117, v119
	v_add_f32_e32 v119, v132, v129
	s_delay_alu instid0(VALU_DEP_1) | instskip(NEXT) | instid1(VALU_DEP_1)
	v_dual_add_f32 v117, v128, v117 :: v_dual_sub_f32 v128, v119, v132
	v_add_f32_e32 v117, v133, v117
	s_delay_alu instid0(VALU_DEP_1) | instskip(NEXT) | instid1(VALU_DEP_1)
	v_dual_sub_f32 v128, v129, v128 :: v_dual_mul_f32 v117, v118, v117
	v_add_f32_e32 v117, v128, v117
	s_delay_alu instid0(VALU_DEP_1) | instskip(NEXT) | instid1(VALU_DEP_1)
	v_add_f32_e32 v118, v119, v117
	v_mul_f32_e32 v128, v118, v118
	s_delay_alu instid0(VALU_DEP_1) | instskip(SKIP_2) | instid1(VALU_DEP_3)
	v_fmaak_f32 v129, s31, v128, 0x3ecc95a3
	v_mul_f32_e32 v130, v118, v128
	v_cmp_gt_f32_e64 s31, 0x33800000, |v29|
	v_fmaak_f32 v128, v128, v129, 0x3f2aaada
	v_ldexp_f32 v129, v118, 1
	v_sub_f32_e32 v118, v118, v119
	s_delay_alu instid0(VALU_DEP_4) | instskip(NEXT) | instid1(VALU_DEP_3)
	s_or_b32 vcc_lo, vcc_lo, s31
	v_mul_f32_e32 v128, v130, v128
	s_delay_alu instid0(VALU_DEP_2) | instskip(NEXT) | instid1(VALU_DEP_2)
	v_dual_mul_f32 v130, 0x3f317218, v116 :: v_dual_sub_f32 v117, v117, v118
	v_add_f32_e32 v119, v129, v128
	s_delay_alu instid0(VALU_DEP_2) | instskip(NEXT) | instid1(VALU_DEP_2)
	v_ldexp_f32 v117, v117, 1
	v_sub_f32_e32 v118, v119, v129
	s_delay_alu instid0(VALU_DEP_4) | instskip(NEXT) | instid1(VALU_DEP_2)
	v_fma_f32 v129, 0x3f317218, v116, -v130
	v_sub_f32_e32 v118, v128, v118
	s_delay_alu instid0(VALU_DEP_1) | instskip(NEXT) | instid1(VALU_DEP_1)
	v_dual_fmamk_f32 v116, v116, 0xb102e308, v129 :: v_dual_add_f32 v117, v117, v118
	v_add_f32_e32 v118, v130, v116
	s_delay_alu instid0(VALU_DEP_1) | instskip(NEXT) | instid1(VALU_DEP_1)
	v_sub_f32_e32 v130, v118, v130
	v_sub_f32_e32 v116, v116, v130
	s_delay_alu instid0(VALU_DEP_4) | instskip(NEXT) | instid1(VALU_DEP_1)
	v_add_f32_e32 v128, v119, v117
	v_sub_f32_e32 v119, v128, v119
	s_delay_alu instid0(VALU_DEP_1) | instskip(SKIP_1) | instid1(VALU_DEP_1)
	v_sub_f32_e32 v117, v117, v119
	v_add_f32_e32 v129, v118, v128
	v_sub_f32_e32 v131, v129, v118
	s_delay_alu instid0(VALU_DEP_1) | instskip(NEXT) | instid1(VALU_DEP_4)
	v_sub_f32_e32 v119, v128, v131
	v_add_f32_e32 v128, v116, v117
	v_sub_f32_e32 v132, v129, v131
	s_delay_alu instid0(VALU_DEP_1) | instskip(NEXT) | instid1(VALU_DEP_1)
	v_sub_f32_e32 v118, v118, v132
	v_dual_add_f32 v118, v119, v118 :: v_dual_sub_f32 v119, v128, v116
	s_delay_alu instid0(VALU_DEP_1) | instskip(SKIP_1) | instid1(VALU_DEP_2)
	v_dual_add_f32 v118, v128, v118 :: v_dual_sub_f32 v117, v117, v119
	v_sub_f32_e32 v128, v128, v119
	v_add_f32_e32 v130, v129, v118
	s_delay_alu instid0(VALU_DEP_1) | instskip(NEXT) | instid1(VALU_DEP_1)
	v_dual_sub_f32 v116, v116, v128 :: v_dual_sub_f32 v119, v130, v129
	v_dual_add_f32 v116, v117, v116 :: v_dual_sub_f32 v117, v118, v119
	s_delay_alu instid0(VALU_DEP_1) | instskip(NEXT) | instid1(VALU_DEP_1)
	v_add_f32_e32 v116, v116, v117
	v_add_f32_e32 v116, v130, v116
	s_delay_alu instid0(VALU_DEP_1) | instskip(NEXT) | instid1(VALU_DEP_1)
	v_cndmask_b32_e32 v29, v116, v29, vcc_lo
	v_add_f32_e32 v28, v28, v29
	s_delay_alu instid0(VALU_DEP_1)
	v_cvt_f16_f32_e32 v29, v28
.LBB410_137:
	s_or_b32 exec_lo, exec_lo, s30
	s_delay_alu instid0(VALU_DEP_1)
	v_dual_mov_b32 v131, v29 :: v_dual_and_b32 v28, 0xffff, v29
.LBB410_138:
	s_or_b32 exec_lo, exec_lo, vcc_hi
	v_cmp_gt_u32_e32 vcc_lo, 28, v102
	v_add_nc_u32_e32 v117, 4, v102
	s_mov_b32 vcc_hi, exec_lo
	s_waitcnt lgkmcnt(0)
	v_cndmask_b32_e64 v29, 0, 1, vcc_lo
	s_delay_alu instid0(VALU_DEP_1) | instskip(NEXT) | instid1(VALU_DEP_1)
	v_lshlrev_b32_e32 v29, 2, v29
	v_add_lshl_u32 v116, v29, v102, 2
	ds_bpermute_b32 v29, v116, v28
	v_cmpx_le_u32_e64 v117, v27
	s_cbranch_execz .LBB410_142
; %bb.139:
	s_waitcnt lgkmcnt(0)
	v_cvt_f32_f16_e32 v28, v29
	v_cvt_f32_f16_e64 v119, v131
	v_cmp_u_f16_e32 vcc_lo, v29, v29
	s_delay_alu instid0(VALU_DEP_2) | instskip(SKIP_1) | instid1(VALU_DEP_2)
	v_min_f32_e32 v118, v28, v119
	v_max_f32_e32 v128, v28, v119
	v_cndmask_b32_e32 v118, v118, v28, vcc_lo
	s_delay_alu instid0(VALU_DEP_2) | instskip(SKIP_1) | instid1(VALU_DEP_3)
	v_cndmask_b32_e32 v28, v128, v28, vcc_lo
	v_cmp_u_f16_e64 vcc_lo, v131, v131
	v_cndmask_b32_e32 v118, v118, v119, vcc_lo
	s_delay_alu instid0(VALU_DEP_3) | instskip(NEXT) | instid1(VALU_DEP_2)
	v_cndmask_b32_e32 v28, v28, v119, vcc_lo
	v_cmp_class_f32_e64 s30, v118, 0x1f8
	s_delay_alu instid0(VALU_DEP_2) | instskip(NEXT) | instid1(VALU_DEP_2)
	v_cmp_neq_f32_e32 vcc_lo, v118, v28
	s_or_b32 vcc_lo, vcc_lo, s30
	s_delay_alu instid0(SALU_CYCLE_1)
	s_and_saveexec_b32 s30, vcc_lo
	s_cbranch_execz .LBB410_141
; %bb.140:
	v_sub_f32_e32 v29, v118, v28
	s_mov_b32 s31, 0x3e9b6dac
	s_delay_alu instid0(VALU_DEP_1) | instskip(SKIP_1) | instid1(VALU_DEP_2)
	v_mul_f32_e32 v118, 0x3fb8aa3b, v29
	v_cmp_ngt_f32_e32 vcc_lo, 0xc2ce8ed0, v29
	v_fma_f32 v119, 0x3fb8aa3b, v29, -v118
	v_rndne_f32_e32 v128, v118
	s_delay_alu instid0(VALU_DEP_1) | instskip(NEXT) | instid1(VALU_DEP_1)
	v_dual_fmamk_f32 v119, v29, 0x32a5705f, v119 :: v_dual_sub_f32 v118, v118, v128
	v_add_f32_e32 v118, v118, v119
	v_cvt_i32_f32_e32 v119, v128
	s_delay_alu instid0(VALU_DEP_2) | instskip(SKIP_2) | instid1(VALU_DEP_1)
	v_exp_f32_e32 v118, v118
	s_waitcnt_depctr 0xfff
	v_ldexp_f32 v118, v118, v119
	v_cndmask_b32_e32 v118, 0, v118, vcc_lo
	v_cmp_nlt_f32_e32 vcc_lo, 0x42b17218, v29
	s_delay_alu instid0(VALU_DEP_2) | instskip(NEXT) | instid1(VALU_DEP_1)
	v_cndmask_b32_e32 v29, 0x7f800000, v118, vcc_lo
	v_add_f32_e32 v128, 1.0, v29
	s_delay_alu instid0(VALU_DEP_1) | instskip(NEXT) | instid1(VALU_DEP_1)
	v_cvt_f64_f32_e32 v[118:119], v128
	v_frexp_exp_i32_f64_e32 v118, v[118:119]
	v_frexp_mant_f32_e32 v119, v128
	s_delay_alu instid0(VALU_DEP_1) | instskip(SKIP_1) | instid1(VALU_DEP_1)
	v_cmp_gt_f32_e32 vcc_lo, 0x3f2aaaab, v119
	v_add_f32_e32 v119, -1.0, v128
	v_dual_sub_f32 v130, v119, v128 :: v_dual_sub_f32 v119, v29, v119
	v_subrev_co_ci_u32_e32 v118, vcc_lo, 0, v118, vcc_lo
	v_cmp_eq_f32_e32 vcc_lo, 0x7f800000, v29
	s_delay_alu instid0(VALU_DEP_2) | instskip(SKIP_1) | instid1(VALU_DEP_2)
	v_sub_nc_u32_e32 v129, 0, v118
	v_cvt_f32_i32_e32 v118, v118
	v_ldexp_f32 v128, v128, v129
	s_delay_alu instid0(VALU_DEP_1) | instskip(NEXT) | instid1(VALU_DEP_1)
	v_dual_add_f32 v130, 1.0, v130 :: v_dual_add_f32 v131, 1.0, v128
	v_dual_add_f32 v119, v119, v130 :: v_dual_add_f32 v130, -1.0, v131
	s_delay_alu instid0(VALU_DEP_1) | instskip(NEXT) | instid1(VALU_DEP_2)
	v_ldexp_f32 v119, v119, v129
	v_dual_add_f32 v129, -1.0, v128 :: v_dual_sub_f32 v130, v128, v130
	s_delay_alu instid0(VALU_DEP_1) | instskip(NEXT) | instid1(VALU_DEP_2)
	v_add_f32_e32 v132, 1.0, v129
	v_add_f32_e32 v130, v119, v130
	s_delay_alu instid0(VALU_DEP_2) | instskip(NEXT) | instid1(VALU_DEP_1)
	v_sub_f32_e32 v128, v128, v132
	v_add_f32_e32 v119, v119, v128
	s_delay_alu instid0(VALU_DEP_1) | instskip(NEXT) | instid1(VALU_DEP_1)
	v_dual_add_f32 v133, v129, v119 :: v_dual_add_f32 v132, v131, v130
	v_sub_f32_e32 v129, v129, v133
	s_delay_alu instid0(VALU_DEP_2) | instskip(SKIP_1) | instid1(VALU_DEP_1)
	v_rcp_f32_e32 v128, v132
	v_sub_f32_e32 v131, v131, v132
	v_dual_add_f32 v119, v119, v129 :: v_dual_add_f32 v130, v130, v131
	s_waitcnt_depctr 0xfff
	v_mul_f32_e32 v134, v133, v128
	s_delay_alu instid0(VALU_DEP_1) | instskip(NEXT) | instid1(VALU_DEP_1)
	v_mul_f32_e32 v135, v132, v134
	v_fma_f32 v131, v134, v132, -v135
	s_delay_alu instid0(VALU_DEP_1) | instskip(NEXT) | instid1(VALU_DEP_1)
	v_fmac_f32_e32 v131, v134, v130
	v_add_f32_e32 v144, v135, v131
	s_delay_alu instid0(VALU_DEP_1) | instskip(NEXT) | instid1(VALU_DEP_1)
	v_sub_f32_e32 v145, v133, v144
	v_sub_f32_e32 v133, v133, v145
	;; [unrolled: 1-line block ×3, first 2 shown]
	s_delay_alu instid0(VALU_DEP_2) | instskip(NEXT) | instid1(VALU_DEP_2)
	v_sub_f32_e32 v133, v133, v144
	v_sub_f32_e32 v129, v129, v131
	s_delay_alu instid0(VALU_DEP_2) | instskip(NEXT) | instid1(VALU_DEP_1)
	v_add_f32_e32 v119, v119, v133
	v_add_f32_e32 v119, v129, v119
	s_delay_alu instid0(VALU_DEP_1) | instskip(NEXT) | instid1(VALU_DEP_1)
	v_add_f32_e32 v129, v145, v119
	v_mul_f32_e32 v131, v128, v129
	s_delay_alu instid0(VALU_DEP_1) | instskip(NEXT) | instid1(VALU_DEP_1)
	v_dual_sub_f32 v144, v145, v129 :: v_dual_mul_f32 v133, v132, v131
	v_add_f32_e32 v119, v119, v144
	s_delay_alu instid0(VALU_DEP_2) | instskip(NEXT) | instid1(VALU_DEP_1)
	v_fma_f32 v132, v131, v132, -v133
	v_fmac_f32_e32 v132, v131, v130
	s_delay_alu instid0(VALU_DEP_1) | instskip(NEXT) | instid1(VALU_DEP_1)
	v_add_f32_e32 v130, v133, v132
	v_sub_f32_e32 v135, v129, v130
	v_sub_f32_e32 v133, v130, v133
	s_delay_alu instid0(VALU_DEP_2) | instskip(NEXT) | instid1(VALU_DEP_1)
	v_sub_f32_e32 v129, v129, v135
	v_sub_f32_e32 v129, v129, v130
	s_delay_alu instid0(VALU_DEP_1) | instskip(SKIP_1) | instid1(VALU_DEP_1)
	v_dual_sub_f32 v130, v133, v132 :: v_dual_add_f32 v119, v119, v129
	v_add_f32_e32 v129, v134, v131
	v_dual_add_f32 v119, v130, v119 :: v_dual_sub_f32 v130, v129, v134
	s_delay_alu instid0(VALU_DEP_1) | instskip(NEXT) | instid1(VALU_DEP_1)
	v_add_f32_e32 v119, v135, v119
	v_dual_sub_f32 v130, v131, v130 :: v_dual_mul_f32 v119, v128, v119
	s_delay_alu instid0(VALU_DEP_1) | instskip(NEXT) | instid1(VALU_DEP_1)
	v_add_f32_e32 v119, v130, v119
	v_add_f32_e32 v128, v129, v119
	s_delay_alu instid0(VALU_DEP_1) | instskip(NEXT) | instid1(VALU_DEP_1)
	v_mul_f32_e32 v130, v128, v128
	v_fmaak_f32 v131, s31, v130, 0x3ecc95a3
	v_mul_f32_e32 v132, v128, v130
	v_cmp_gt_f32_e64 s31, 0x33800000, |v29|
	s_delay_alu instid0(VALU_DEP_3) | instskip(SKIP_2) | instid1(VALU_DEP_4)
	v_fmaak_f32 v130, v130, v131, 0x3f2aaada
	v_ldexp_f32 v131, v128, 1
	v_sub_f32_e32 v128, v128, v129
	s_or_b32 vcc_lo, vcc_lo, s31
	s_delay_alu instid0(VALU_DEP_3) | instskip(NEXT) | instid1(VALU_DEP_2)
	v_mul_f32_e32 v130, v132, v130
	v_dual_mul_f32 v132, 0x3f317218, v118 :: v_dual_sub_f32 v119, v119, v128
	s_delay_alu instid0(VALU_DEP_2) | instskip(NEXT) | instid1(VALU_DEP_2)
	v_add_f32_e32 v129, v131, v130
	v_ldexp_f32 v119, v119, 1
	s_delay_alu instid0(VALU_DEP_2) | instskip(NEXT) | instid1(VALU_DEP_4)
	v_sub_f32_e32 v128, v129, v131
	v_fma_f32 v131, 0x3f317218, v118, -v132
	s_delay_alu instid0(VALU_DEP_2) | instskip(NEXT) | instid1(VALU_DEP_1)
	v_sub_f32_e32 v128, v130, v128
	v_dual_fmamk_f32 v118, v118, 0xb102e308, v131 :: v_dual_add_f32 v119, v119, v128
	s_delay_alu instid0(VALU_DEP_1) | instskip(NEXT) | instid1(VALU_DEP_1)
	v_add_f32_e32 v128, v132, v118
	v_sub_f32_e32 v132, v128, v132
	s_delay_alu instid0(VALU_DEP_1) | instskip(NEXT) | instid1(VALU_DEP_4)
	v_sub_f32_e32 v118, v118, v132
	v_add_f32_e32 v130, v129, v119
	s_delay_alu instid0(VALU_DEP_1) | instskip(NEXT) | instid1(VALU_DEP_1)
	v_sub_f32_e32 v129, v130, v129
	v_sub_f32_e32 v119, v119, v129
	v_add_f32_e32 v131, v128, v130
	s_delay_alu instid0(VALU_DEP_1) | instskip(NEXT) | instid1(VALU_DEP_1)
	v_sub_f32_e32 v133, v131, v128
	v_sub_f32_e32 v129, v130, v133
	s_delay_alu instid0(VALU_DEP_4) | instskip(SKIP_1) | instid1(VALU_DEP_1)
	v_add_f32_e32 v130, v118, v119
	v_sub_f32_e32 v134, v131, v133
	v_sub_f32_e32 v128, v128, v134
	s_delay_alu instid0(VALU_DEP_1) | instskip(NEXT) | instid1(VALU_DEP_1)
	v_dual_add_f32 v128, v129, v128 :: v_dual_sub_f32 v129, v130, v118
	v_dual_add_f32 v128, v130, v128 :: v_dual_sub_f32 v119, v119, v129
	v_sub_f32_e32 v130, v130, v129
	s_delay_alu instid0(VALU_DEP_2) | instskip(NEXT) | instid1(VALU_DEP_1)
	v_add_f32_e32 v132, v131, v128
	v_dual_sub_f32 v118, v118, v130 :: v_dual_sub_f32 v129, v132, v131
	s_delay_alu instid0(VALU_DEP_1) | instskip(NEXT) | instid1(VALU_DEP_1)
	v_dual_add_f32 v118, v119, v118 :: v_dual_sub_f32 v119, v128, v129
	v_add_f32_e32 v118, v118, v119
	s_delay_alu instid0(VALU_DEP_1) | instskip(NEXT) | instid1(VALU_DEP_1)
	v_add_f32_e32 v118, v132, v118
	v_cndmask_b32_e32 v29, v118, v29, vcc_lo
	s_delay_alu instid0(VALU_DEP_1) | instskip(NEXT) | instid1(VALU_DEP_1)
	v_add_f32_e32 v28, v28, v29
	v_cvt_f16_f32_e32 v29, v28
.LBB410_141:
	s_or_b32 exec_lo, exec_lo, s30
	s_delay_alu instid0(VALU_DEP_1)
	v_dual_mov_b32 v131, v29 :: v_dual_and_b32 v28, 0xffff, v29
.LBB410_142:
	s_or_b32 exec_lo, exec_lo, vcc_hi
	v_cmp_gt_u32_e32 vcc_lo, 24, v102
	v_add_nc_u32_e32 v119, 8, v102
	s_mov_b32 vcc_hi, exec_lo
	s_waitcnt lgkmcnt(0)
	v_cndmask_b32_e64 v29, 0, 1, vcc_lo
	s_delay_alu instid0(VALU_DEP_1) | instskip(NEXT) | instid1(VALU_DEP_1)
	v_lshlrev_b32_e32 v29, 3, v29
	v_add_lshl_u32 v118, v29, v102, 2
	ds_bpermute_b32 v29, v118, v28
	v_cmpx_le_u32_e64 v119, v27
	s_cbranch_execz .LBB410_146
; %bb.143:
	s_waitcnt lgkmcnt(0)
	v_cvt_f32_f16_e32 v28, v29
	v_cvt_f32_f16_e64 v129, v131
	v_cmp_u_f16_e32 vcc_lo, v29, v29
	s_delay_alu instid0(VALU_DEP_2) | instskip(SKIP_1) | instid1(VALU_DEP_2)
	v_min_f32_e32 v128, v28, v129
	v_max_f32_e32 v130, v28, v129
	v_cndmask_b32_e32 v128, v128, v28, vcc_lo
	s_delay_alu instid0(VALU_DEP_2) | instskip(SKIP_1) | instid1(VALU_DEP_3)
	v_cndmask_b32_e32 v28, v130, v28, vcc_lo
	v_cmp_u_f16_e64 vcc_lo, v131, v131
	v_cndmask_b32_e32 v128, v128, v129, vcc_lo
	s_delay_alu instid0(VALU_DEP_3) | instskip(NEXT) | instid1(VALU_DEP_2)
	v_cndmask_b32_e32 v28, v28, v129, vcc_lo
	v_cmp_class_f32_e64 s30, v128, 0x1f8
	s_delay_alu instid0(VALU_DEP_2) | instskip(NEXT) | instid1(VALU_DEP_2)
	v_cmp_neq_f32_e32 vcc_lo, v128, v28
	s_or_b32 vcc_lo, vcc_lo, s30
	s_delay_alu instid0(SALU_CYCLE_1)
	s_and_saveexec_b32 s30, vcc_lo
	s_cbranch_execz .LBB410_145
; %bb.144:
	v_sub_f32_e32 v29, v128, v28
	s_mov_b32 s31, 0x3e9b6dac
	s_delay_alu instid0(VALU_DEP_1) | instskip(SKIP_1) | instid1(VALU_DEP_2)
	v_mul_f32_e32 v128, 0x3fb8aa3b, v29
	v_cmp_ngt_f32_e32 vcc_lo, 0xc2ce8ed0, v29
	v_fma_f32 v129, 0x3fb8aa3b, v29, -v128
	v_rndne_f32_e32 v130, v128
	s_delay_alu instid0(VALU_DEP_1) | instskip(NEXT) | instid1(VALU_DEP_1)
	v_dual_fmamk_f32 v129, v29, 0x32a5705f, v129 :: v_dual_sub_f32 v128, v128, v130
	v_add_f32_e32 v128, v128, v129
	v_cvt_i32_f32_e32 v129, v130
	s_delay_alu instid0(VALU_DEP_2) | instskip(SKIP_2) | instid1(VALU_DEP_1)
	v_exp_f32_e32 v128, v128
	s_waitcnt_depctr 0xfff
	v_ldexp_f32 v128, v128, v129
	v_cndmask_b32_e32 v128, 0, v128, vcc_lo
	v_cmp_nlt_f32_e32 vcc_lo, 0x42b17218, v29
	s_delay_alu instid0(VALU_DEP_2) | instskip(NEXT) | instid1(VALU_DEP_1)
	v_cndmask_b32_e32 v29, 0x7f800000, v128, vcc_lo
	v_add_f32_e32 v130, 1.0, v29
	s_delay_alu instid0(VALU_DEP_1) | instskip(NEXT) | instid1(VALU_DEP_1)
	v_cvt_f64_f32_e32 v[128:129], v130
	v_frexp_exp_i32_f64_e32 v128, v[128:129]
	v_frexp_mant_f32_e32 v129, v130
	s_delay_alu instid0(VALU_DEP_1) | instskip(SKIP_1) | instid1(VALU_DEP_1)
	v_cmp_gt_f32_e32 vcc_lo, 0x3f2aaaab, v129
	v_add_f32_e32 v129, -1.0, v130
	v_sub_f32_e32 v132, v129, v130
	s_delay_alu instid0(VALU_DEP_1) | instskip(NEXT) | instid1(VALU_DEP_1)
	v_dual_sub_f32 v129, v29, v129 :: v_dual_add_f32 v132, 1.0, v132
	v_add_f32_e32 v129, v129, v132
	v_subrev_co_ci_u32_e32 v128, vcc_lo, 0, v128, vcc_lo
	s_delay_alu instid0(VALU_DEP_1) | instskip(SKIP_1) | instid1(VALU_DEP_2)
	v_sub_nc_u32_e32 v131, 0, v128
	v_cvt_f32_i32_e32 v128, v128
	v_ldexp_f32 v130, v130, v131
	v_ldexp_f32 v129, v129, v131
	s_delay_alu instid0(VALU_DEP_2) | instskip(NEXT) | instid1(VALU_DEP_1)
	v_add_f32_e32 v131, -1.0, v130
	v_dual_add_f32 v133, 1.0, v130 :: v_dual_add_f32 v134, 1.0, v131
	s_delay_alu instid0(VALU_DEP_1) | instskip(SKIP_1) | instid1(VALU_DEP_2)
	v_add_f32_e32 v132, -1.0, v133
	v_cmp_eq_f32_e32 vcc_lo, 0x7f800000, v29
	v_sub_f32_e32 v132, v130, v132
	s_delay_alu instid0(VALU_DEP_4) | instskip(NEXT) | instid1(VALU_DEP_2)
	v_sub_f32_e32 v130, v130, v134
	v_add_f32_e32 v132, v129, v132
	s_delay_alu instid0(VALU_DEP_2) | instskip(NEXT) | instid1(VALU_DEP_1)
	v_add_f32_e32 v129, v129, v130
	v_dual_add_f32 v135, v131, v129 :: v_dual_add_f32 v134, v133, v132
	s_delay_alu instid0(VALU_DEP_1) | instskip(NEXT) | instid1(VALU_DEP_2)
	v_sub_f32_e32 v131, v131, v135
	v_rcp_f32_e32 v130, v134
	v_sub_f32_e32 v133, v133, v134
	s_delay_alu instid0(VALU_DEP_1) | instskip(SKIP_2) | instid1(VALU_DEP_1)
	v_dual_add_f32 v129, v129, v131 :: v_dual_add_f32 v132, v132, v133
	s_waitcnt_depctr 0xfff
	v_mul_f32_e32 v144, v135, v130
	v_mul_f32_e32 v145, v134, v144
	s_delay_alu instid0(VALU_DEP_1) | instskip(NEXT) | instid1(VALU_DEP_1)
	v_fma_f32 v133, v144, v134, -v145
	v_fmac_f32_e32 v133, v144, v132
	s_delay_alu instid0(VALU_DEP_1) | instskip(NEXT) | instid1(VALU_DEP_1)
	v_add_f32_e32 v146, v145, v133
	v_sub_f32_e32 v147, v135, v146
	s_delay_alu instid0(VALU_DEP_1) | instskip(SKIP_1) | instid1(VALU_DEP_2)
	v_sub_f32_e32 v135, v135, v147
	v_sub_f32_e32 v131, v146, v145
	v_sub_f32_e32 v135, v135, v146
	s_delay_alu instid0(VALU_DEP_2) | instskip(NEXT) | instid1(VALU_DEP_2)
	v_sub_f32_e32 v131, v131, v133
	v_add_f32_e32 v129, v129, v135
	s_delay_alu instid0(VALU_DEP_1) | instskip(NEXT) | instid1(VALU_DEP_1)
	v_add_f32_e32 v129, v131, v129
	v_add_f32_e32 v131, v147, v129
	s_delay_alu instid0(VALU_DEP_1) | instskip(NEXT) | instid1(VALU_DEP_1)
	v_mul_f32_e32 v133, v130, v131
	v_dual_sub_f32 v146, v147, v131 :: v_dual_mul_f32 v135, v134, v133
	s_delay_alu instid0(VALU_DEP_1) | instskip(NEXT) | instid1(VALU_DEP_2)
	v_add_f32_e32 v129, v129, v146
	v_fma_f32 v134, v133, v134, -v135
	s_delay_alu instid0(VALU_DEP_1) | instskip(NEXT) | instid1(VALU_DEP_1)
	v_fmac_f32_e32 v134, v133, v132
	v_add_f32_e32 v132, v135, v134
	s_delay_alu instid0(VALU_DEP_1) | instskip(SKIP_1) | instid1(VALU_DEP_2)
	v_sub_f32_e32 v145, v131, v132
	v_sub_f32_e32 v135, v132, v135
	;; [unrolled: 1-line block ×3, first 2 shown]
	s_delay_alu instid0(VALU_DEP_1) | instskip(NEXT) | instid1(VALU_DEP_1)
	v_sub_f32_e32 v131, v131, v132
	v_dual_sub_f32 v132, v135, v134 :: v_dual_add_f32 v129, v129, v131
	v_add_f32_e32 v131, v144, v133
	s_delay_alu instid0(VALU_DEP_1) | instskip(NEXT) | instid1(VALU_DEP_1)
	v_dual_add_f32 v129, v132, v129 :: v_dual_sub_f32 v132, v131, v144
	v_add_f32_e32 v129, v145, v129
	s_delay_alu instid0(VALU_DEP_1) | instskip(NEXT) | instid1(VALU_DEP_1)
	v_dual_sub_f32 v132, v133, v132 :: v_dual_mul_f32 v129, v130, v129
	v_add_f32_e32 v129, v132, v129
	s_delay_alu instid0(VALU_DEP_1) | instskip(NEXT) | instid1(VALU_DEP_1)
	v_add_f32_e32 v130, v131, v129
	v_mul_f32_e32 v132, v130, v130
	s_delay_alu instid0(VALU_DEP_1) | instskip(SKIP_2) | instid1(VALU_DEP_3)
	v_fmaak_f32 v133, s31, v132, 0x3ecc95a3
	v_mul_f32_e32 v134, v130, v132
	v_cmp_gt_f32_e64 s31, 0x33800000, |v29|
	v_fmaak_f32 v132, v132, v133, 0x3f2aaada
	v_ldexp_f32 v133, v130, 1
	v_sub_f32_e32 v130, v130, v131
	s_delay_alu instid0(VALU_DEP_4) | instskip(NEXT) | instid1(VALU_DEP_3)
	s_or_b32 vcc_lo, vcc_lo, s31
	v_mul_f32_e32 v132, v134, v132
	s_delay_alu instid0(VALU_DEP_2) | instskip(NEXT) | instid1(VALU_DEP_2)
	v_dual_mul_f32 v134, 0x3f317218, v128 :: v_dual_sub_f32 v129, v129, v130
	v_add_f32_e32 v131, v133, v132
	s_delay_alu instid0(VALU_DEP_2) | instskip(NEXT) | instid1(VALU_DEP_2)
	v_ldexp_f32 v129, v129, 1
	v_sub_f32_e32 v130, v131, v133
	s_delay_alu instid0(VALU_DEP_4) | instskip(NEXT) | instid1(VALU_DEP_2)
	v_fma_f32 v133, 0x3f317218, v128, -v134
	v_sub_f32_e32 v130, v132, v130
	s_delay_alu instid0(VALU_DEP_1) | instskip(NEXT) | instid1(VALU_DEP_1)
	v_dual_fmamk_f32 v128, v128, 0xb102e308, v133 :: v_dual_add_f32 v129, v129, v130
	v_add_f32_e32 v130, v134, v128
	s_delay_alu instid0(VALU_DEP_1) | instskip(NEXT) | instid1(VALU_DEP_1)
	v_sub_f32_e32 v134, v130, v134
	v_sub_f32_e32 v128, v128, v134
	s_delay_alu instid0(VALU_DEP_4) | instskip(NEXT) | instid1(VALU_DEP_1)
	v_add_f32_e32 v132, v131, v129
	v_sub_f32_e32 v131, v132, v131
	s_delay_alu instid0(VALU_DEP_1) | instskip(SKIP_1) | instid1(VALU_DEP_1)
	v_sub_f32_e32 v129, v129, v131
	v_add_f32_e32 v133, v130, v132
	v_sub_f32_e32 v135, v133, v130
	s_delay_alu instid0(VALU_DEP_1) | instskip(NEXT) | instid1(VALU_DEP_4)
	v_sub_f32_e32 v131, v132, v135
	v_add_f32_e32 v132, v128, v129
	v_sub_f32_e32 v144, v133, v135
	s_delay_alu instid0(VALU_DEP_1) | instskip(NEXT) | instid1(VALU_DEP_1)
	v_sub_f32_e32 v130, v130, v144
	v_dual_add_f32 v130, v131, v130 :: v_dual_sub_f32 v131, v132, v128
	s_delay_alu instid0(VALU_DEP_1) | instskip(SKIP_1) | instid1(VALU_DEP_2)
	v_dual_add_f32 v130, v132, v130 :: v_dual_sub_f32 v129, v129, v131
	v_sub_f32_e32 v132, v132, v131
	v_add_f32_e32 v134, v133, v130
	s_delay_alu instid0(VALU_DEP_1) | instskip(NEXT) | instid1(VALU_DEP_1)
	v_dual_sub_f32 v128, v128, v132 :: v_dual_sub_f32 v131, v134, v133
	v_dual_add_f32 v128, v129, v128 :: v_dual_sub_f32 v129, v130, v131
	s_delay_alu instid0(VALU_DEP_1) | instskip(NEXT) | instid1(VALU_DEP_1)
	v_add_f32_e32 v128, v128, v129
	v_add_f32_e32 v128, v134, v128
	s_delay_alu instid0(VALU_DEP_1) | instskip(NEXT) | instid1(VALU_DEP_1)
	v_cndmask_b32_e32 v29, v128, v29, vcc_lo
	v_add_f32_e32 v28, v28, v29
	s_delay_alu instid0(VALU_DEP_1)
	v_cvt_f16_f32_e32 v29, v28
.LBB410_145:
	s_or_b32 exec_lo, exec_lo, s30
	s_delay_alu instid0(VALU_DEP_1)
	v_dual_mov_b32 v131, v29 :: v_dual_and_b32 v28, 0xffff, v29
.LBB410_146:
	s_or_b32 exec_lo, exec_lo, vcc_hi
	v_cmp_gt_u32_e32 vcc_lo, 16, v102
	v_add_nc_u32_e32 v130, 16, v102
	s_mov_b32 vcc_hi, exec_lo
	s_waitcnt lgkmcnt(0)
	v_cndmask_b32_e64 v29, 0, 1, vcc_lo
	s_delay_alu instid0(VALU_DEP_1) | instskip(NEXT) | instid1(VALU_DEP_1)
	v_lshlrev_b32_e32 v29, 4, v29
	v_add_lshl_u32 v129, v29, v102, 2
	ds_bpermute_b32 v28, v129, v28
	v_cmpx_le_u32_e64 v130, v27
	s_cbranch_execz .LBB410_150
; %bb.147:
	s_waitcnt lgkmcnt(0)
	v_cvt_f32_f16_e32 v27, v28
	v_cvt_f32_f16_e64 v128, v131
	v_cmp_u_f16_e32 vcc_lo, v28, v28
	s_delay_alu instid0(VALU_DEP_2) | instskip(NEXT) | instid1(VALU_DEP_1)
	v_min_f32_e32 v29, v27, v128
	v_dual_max_f32 v132, v27, v128 :: v_dual_cndmask_b32 v29, v29, v27
	s_delay_alu instid0(VALU_DEP_1) | instskip(SKIP_1) | instid1(VALU_DEP_3)
	v_cndmask_b32_e32 v27, v132, v27, vcc_lo
	v_cmp_u_f16_e64 vcc_lo, v131, v131
	v_cndmask_b32_e32 v29, v29, v128, vcc_lo
	s_delay_alu instid0(VALU_DEP_3) | instskip(NEXT) | instid1(VALU_DEP_2)
	v_cndmask_b32_e32 v27, v27, v128, vcc_lo
	v_cmp_class_f32_e64 s30, v29, 0x1f8
	s_delay_alu instid0(VALU_DEP_2) | instskip(NEXT) | instid1(VALU_DEP_2)
	v_cmp_neq_f32_e32 vcc_lo, v29, v27
	s_or_b32 vcc_lo, vcc_lo, s30
	s_delay_alu instid0(SALU_CYCLE_1)
	s_and_saveexec_b32 s30, vcc_lo
	s_cbranch_execz .LBB410_149
; %bb.148:
	v_sub_f32_e32 v28, v29, v27
	s_mov_b32 s31, 0x3e9b6dac
	s_delay_alu instid0(VALU_DEP_1) | instskip(SKIP_1) | instid1(VALU_DEP_2)
	v_mul_f32_e32 v29, 0x3fb8aa3b, v28
	v_cmp_ngt_f32_e32 vcc_lo, 0xc2ce8ed0, v28
	v_fma_f32 v128, 0x3fb8aa3b, v28, -v29
	v_rndne_f32_e32 v131, v29
	s_delay_alu instid0(VALU_DEP_1) | instskip(NEXT) | instid1(VALU_DEP_1)
	v_dual_fmamk_f32 v128, v28, 0x32a5705f, v128 :: v_dual_sub_f32 v29, v29, v131
	v_add_f32_e32 v29, v29, v128
	v_cvt_i32_f32_e32 v128, v131
	s_delay_alu instid0(VALU_DEP_2) | instskip(SKIP_2) | instid1(VALU_DEP_1)
	v_exp_f32_e32 v29, v29
	s_waitcnt_depctr 0xfff
	v_ldexp_f32 v29, v29, v128
	v_cndmask_b32_e32 v29, 0, v29, vcc_lo
	v_cmp_nlt_f32_e32 vcc_lo, 0x42b17218, v28
	s_delay_alu instid0(VALU_DEP_2) | instskip(NEXT) | instid1(VALU_DEP_1)
	v_cndmask_b32_e32 v128, 0x7f800000, v29, vcc_lo
	v_add_f32_e32 v131, 1.0, v128
	s_delay_alu instid0(VALU_DEP_1) | instskip(NEXT) | instid1(VALU_DEP_1)
	v_cvt_f64_f32_e32 v[28:29], v131
	v_frexp_exp_i32_f64_e32 v28, v[28:29]
	v_frexp_mant_f32_e32 v29, v131
	s_delay_alu instid0(VALU_DEP_1) | instskip(SKIP_1) | instid1(VALU_DEP_1)
	v_cmp_gt_f32_e32 vcc_lo, 0x3f2aaaab, v29
	v_add_f32_e32 v29, -1.0, v131
	v_sub_f32_e32 v133, v29, v131
	s_delay_alu instid0(VALU_DEP_1) | instskip(SKIP_2) | instid1(VALU_DEP_2)
	v_add_f32_e32 v133, 1.0, v133
	v_subrev_co_ci_u32_e32 v28, vcc_lo, 0, v28, vcc_lo
	v_cmp_eq_f32_e32 vcc_lo, 0x7f800000, v128
	v_sub_nc_u32_e32 v132, 0, v28
	v_cvt_f32_i32_e32 v28, v28
	s_delay_alu instid0(VALU_DEP_2) | instskip(NEXT) | instid1(VALU_DEP_1)
	v_ldexp_f32 v131, v131, v132
	v_dual_add_f32 v134, 1.0, v131 :: v_dual_sub_f32 v29, v128, v29
	s_delay_alu instid0(VALU_DEP_1) | instskip(NEXT) | instid1(VALU_DEP_2)
	v_add_f32_e32 v29, v29, v133
	v_add_f32_e32 v133, -1.0, v134
	s_delay_alu instid0(VALU_DEP_2) | instskip(NEXT) | instid1(VALU_DEP_2)
	v_ldexp_f32 v29, v29, v132
	v_dual_add_f32 v132, -1.0, v131 :: v_dual_sub_f32 v133, v131, v133
	s_delay_alu instid0(VALU_DEP_1) | instskip(NEXT) | instid1(VALU_DEP_2)
	v_add_f32_e32 v135, 1.0, v132
	v_add_f32_e32 v133, v29, v133
	s_delay_alu instid0(VALU_DEP_2) | instskip(NEXT) | instid1(VALU_DEP_2)
	v_sub_f32_e32 v131, v131, v135
	v_add_f32_e32 v135, v134, v133
	s_delay_alu instid0(VALU_DEP_2) | instskip(NEXT) | instid1(VALU_DEP_2)
	v_add_f32_e32 v29, v29, v131
	v_rcp_f32_e32 v131, v135
	v_sub_f32_e32 v134, v134, v135
	s_delay_alu instid0(VALU_DEP_1) | instskip(NEXT) | instid1(VALU_DEP_1)
	v_dual_add_f32 v144, v132, v29 :: v_dual_add_f32 v133, v133, v134
	v_sub_f32_e32 v132, v132, v144
	s_waitcnt_depctr 0xfff
	v_mul_f32_e32 v145, v144, v131
	s_delay_alu instid0(VALU_DEP_1) | instskip(NEXT) | instid1(VALU_DEP_1)
	v_dual_add_f32 v29, v29, v132 :: v_dual_mul_f32 v146, v135, v145
	v_fma_f32 v134, v145, v135, -v146
	s_delay_alu instid0(VALU_DEP_1) | instskip(NEXT) | instid1(VALU_DEP_1)
	v_fmac_f32_e32 v134, v145, v133
	v_add_f32_e32 v147, v146, v134
	s_delay_alu instid0(VALU_DEP_1) | instskip(SKIP_1) | instid1(VALU_DEP_2)
	v_sub_f32_e32 v148, v144, v147
	v_sub_f32_e32 v132, v147, v146
	;; [unrolled: 1-line block ×3, first 2 shown]
	s_delay_alu instid0(VALU_DEP_2) | instskip(NEXT) | instid1(VALU_DEP_2)
	v_sub_f32_e32 v132, v132, v134
	v_sub_f32_e32 v144, v144, v147
	s_delay_alu instid0(VALU_DEP_1) | instskip(NEXT) | instid1(VALU_DEP_1)
	v_add_f32_e32 v29, v29, v144
	v_add_f32_e32 v29, v132, v29
	s_delay_alu instid0(VALU_DEP_1) | instskip(NEXT) | instid1(VALU_DEP_1)
	v_add_f32_e32 v132, v148, v29
	v_mul_f32_e32 v134, v131, v132
	s_delay_alu instid0(VALU_DEP_1) | instskip(NEXT) | instid1(VALU_DEP_1)
	v_dual_sub_f32 v147, v148, v132 :: v_dual_mul_f32 v144, v135, v134
	v_add_f32_e32 v29, v29, v147
	s_delay_alu instid0(VALU_DEP_2) | instskip(NEXT) | instid1(VALU_DEP_1)
	v_fma_f32 v135, v134, v135, -v144
	v_fmac_f32_e32 v135, v134, v133
	s_delay_alu instid0(VALU_DEP_1) | instskip(NEXT) | instid1(VALU_DEP_1)
	v_add_f32_e32 v133, v144, v135
	v_sub_f32_e32 v146, v132, v133
	v_sub_f32_e32 v144, v133, v144
	s_delay_alu instid0(VALU_DEP_2) | instskip(NEXT) | instid1(VALU_DEP_1)
	v_sub_f32_e32 v132, v132, v146
	v_sub_f32_e32 v132, v132, v133
	s_delay_alu instid0(VALU_DEP_3) | instskip(NEXT) | instid1(VALU_DEP_2)
	v_sub_f32_e32 v133, v144, v135
	v_add_f32_e32 v29, v29, v132
	v_add_f32_e32 v132, v145, v134
	s_delay_alu instid0(VALU_DEP_2) | instskip(NEXT) | instid1(VALU_DEP_2)
	v_add_f32_e32 v29, v133, v29
	v_sub_f32_e32 v133, v132, v145
	s_delay_alu instid0(VALU_DEP_2) | instskip(NEXT) | instid1(VALU_DEP_2)
	v_add_f32_e32 v29, v146, v29
	v_sub_f32_e32 v133, v134, v133
	s_delay_alu instid0(VALU_DEP_2) | instskip(NEXT) | instid1(VALU_DEP_1)
	v_mul_f32_e32 v29, v131, v29
	v_add_f32_e32 v29, v133, v29
	s_delay_alu instid0(VALU_DEP_1) | instskip(NEXT) | instid1(VALU_DEP_1)
	v_add_f32_e32 v131, v132, v29
	v_mul_f32_e32 v133, v131, v131
	s_delay_alu instid0(VALU_DEP_1) | instskip(SKIP_2) | instid1(VALU_DEP_3)
	v_fmaak_f32 v134, s31, v133, 0x3ecc95a3
	v_mul_f32_e32 v135, v131, v133
	v_cmp_gt_f32_e64 s31, 0x33800000, |v128|
	v_fmaak_f32 v133, v133, v134, 0x3f2aaada
	v_ldexp_f32 v134, v131, 1
	v_sub_f32_e32 v131, v131, v132
	s_delay_alu instid0(VALU_DEP_4) | instskip(NEXT) | instid1(VALU_DEP_3)
	s_or_b32 vcc_lo, vcc_lo, s31
	v_mul_f32_e32 v133, v135, v133
	v_mul_f32_e32 v135, 0x3f317218, v28
	s_delay_alu instid0(VALU_DEP_2) | instskip(NEXT) | instid1(VALU_DEP_1)
	v_dual_sub_f32 v29, v29, v131 :: v_dual_add_f32 v132, v134, v133
	v_ldexp_f32 v29, v29, 1
	s_delay_alu instid0(VALU_DEP_2) | instskip(NEXT) | instid1(VALU_DEP_4)
	v_sub_f32_e32 v131, v132, v134
	v_fma_f32 v134, 0x3f317218, v28, -v135
	s_delay_alu instid0(VALU_DEP_1) | instskip(NEXT) | instid1(VALU_DEP_1)
	v_dual_sub_f32 v131, v133, v131 :: v_dual_fmamk_f32 v28, v28, 0xb102e308, v134
	v_add_f32_e32 v29, v29, v131
	s_delay_alu instid0(VALU_DEP_2) | instskip(NEXT) | instid1(VALU_DEP_2)
	v_add_f32_e32 v131, v135, v28
	v_add_f32_e32 v133, v132, v29
	s_delay_alu instid0(VALU_DEP_2) | instskip(NEXT) | instid1(VALU_DEP_2)
	v_sub_f32_e32 v135, v131, v135
	v_add_f32_e32 v134, v131, v133
	v_sub_f32_e32 v132, v133, v132
	s_delay_alu instid0(VALU_DEP_3) | instskip(NEXT) | instid1(VALU_DEP_2)
	v_sub_f32_e32 v28, v28, v135
	v_dual_sub_f32 v144, v134, v131 :: v_dual_sub_f32 v29, v29, v132
	s_delay_alu instid0(VALU_DEP_1) | instskip(NEXT) | instid1(VALU_DEP_2)
	v_sub_f32_e32 v145, v134, v144
	v_dual_sub_f32 v132, v133, v144 :: v_dual_add_f32 v133, v28, v29
	s_delay_alu instid0(VALU_DEP_2) | instskip(NEXT) | instid1(VALU_DEP_1)
	v_sub_f32_e32 v131, v131, v145
	v_dual_add_f32 v131, v132, v131 :: v_dual_sub_f32 v132, v133, v28
	s_delay_alu instid0(VALU_DEP_1) | instskip(NEXT) | instid1(VALU_DEP_2)
	v_add_f32_e32 v131, v133, v131
	v_sub_f32_e32 v133, v133, v132
	v_sub_f32_e32 v29, v29, v132
	s_delay_alu instid0(VALU_DEP_2) | instskip(NEXT) | instid1(VALU_DEP_1)
	v_dual_add_f32 v135, v134, v131 :: v_dual_sub_f32 v28, v28, v133
	v_sub_f32_e32 v132, v135, v134
	s_delay_alu instid0(VALU_DEP_2) | instskip(NEXT) | instid1(VALU_DEP_2)
	v_add_f32_e32 v28, v29, v28
	v_sub_f32_e32 v29, v131, v132
	s_delay_alu instid0(VALU_DEP_1) | instskip(NEXT) | instid1(VALU_DEP_1)
	v_add_f32_e32 v28, v28, v29
	v_add_f32_e32 v28, v135, v28
	s_delay_alu instid0(VALU_DEP_1) | instskip(NEXT) | instid1(VALU_DEP_1)
	v_cndmask_b32_e32 v28, v28, v128, vcc_lo
	v_add_f32_e32 v27, v27, v28
	s_delay_alu instid0(VALU_DEP_1)
	v_cvt_f16_f32_e32 v28, v27
.LBB410_149:
	s_or_b32 exec_lo, exec_lo, s30
	s_delay_alu instid0(VALU_DEP_1)
	v_mov_b32_e32 v131, v28
.LBB410_150:
	s_or_b32 exec_lo, exec_lo, vcc_hi
	v_mov_b32_e32 v27, 0
	s_mov_b32 s30, 0x3e9b6dac
	s_branch .LBB410_152
.LBB410_151:                            ;   in Loop: Header=BB410_152 Depth=1
	s_or_b32 exec_lo, exec_lo, vcc_hi
	v_subrev_nc_u32_e32 v26, 32, v26
.LBB410_152:                            ; =>This Loop Header: Depth=1
                                        ;     Child Loop BB410_155 Depth 2
                                        ;       Child Loop BB410_156 Depth 3
	s_waitcnt lgkmcnt(0)
	v_and_b32_e32 v28, 0xff, v113
	v_mov_b32_e32 v128, v131
	s_delay_alu instid0(VALU_DEP_2) | instskip(SKIP_2) | instid1(VALU_DEP_1)
	v_cmp_ne_u16_e32 vcc_lo, 2, v28
	v_cndmask_b32_e64 v28, 0, 1, vcc_lo
	;;#ASMSTART
	;;#ASMEND
	v_cmp_ne_u32_e32 vcc_lo, 0, v28
	s_cmp_lg_u32 vcc_lo, exec_lo
	s_cbranch_scc1 .LBB410_181
; %bb.153:                              ;   in Loop: Header=BB410_152 Depth=1
	v_lshlrev_b64 v[28:29], 2, v[26:27]
	s_mov_b32 vcc_hi, exec_lo
	s_delay_alu instid0(VALU_DEP_1) | instskip(NEXT) | instid1(VALU_DEP_2)
	v_add_co_u32 v28, vcc_lo, v14, v28
	v_add_co_ci_u32_e32 v29, vcc_lo, v15, v29, vcc_lo
	flat_load_b32 v131, v[28:29] glc
	s_waitcnt vmcnt(0) lgkmcnt(0)
	v_lshrrev_b32_e32 v113, 16, v131
	s_delay_alu instid0(VALU_DEP_1) | instskip(NEXT) | instid1(VALU_DEP_1)
	v_and_b32_e32 v132, 0xff, v113
	v_cmpx_eq_u16_e64 0, v132
	s_cbranch_execz .LBB410_159
; %bb.154:                              ;   in Loop: Header=BB410_152 Depth=1
	s_mov_b32 s34, 1
	s_mov_b32 s31, 0
	.p2align	6
.LBB410_155:                            ;   Parent Loop BB410_152 Depth=1
                                        ; =>  This Loop Header: Depth=2
                                        ;       Child Loop BB410_156 Depth 3
	s_max_u32 vcc_lo, s34, 1
.LBB410_156:                            ;   Parent Loop BB410_152 Depth=1
                                        ;     Parent Loop BB410_155 Depth=2
                                        ; =>    This Inner Loop Header: Depth=3
	s_delay_alu instid0(SALU_CYCLE_1)
	s_add_i32 vcc_lo, vcc_lo, -1
	s_sleep 1
	s_cmp_eq_u32 vcc_lo, 0
	s_cbranch_scc0 .LBB410_156
; %bb.157:                              ;   in Loop: Header=BB410_155 Depth=2
	flat_load_b32 v131, v[28:29] glc
	s_cmp_lt_u32 s34, 32
	s_cselect_b32 s35, -1, 0
	s_delay_alu instid0(SALU_CYCLE_1) | instskip(SKIP_3) | instid1(VALU_DEP_1)
	s_cmp_lg_u32 s35, 0
	s_addc_u32 s34, s34, 0
	s_waitcnt vmcnt(0) lgkmcnt(0)
	v_lshrrev_b32_e32 v113, 16, v131
	v_and_b32_e32 v132, 0xff, v113
	s_delay_alu instid0(VALU_DEP_1) | instskip(NEXT) | instid1(VALU_DEP_1)
	v_cmp_ne_u16_e64 vcc_lo, 0, v132
	s_or_b32 s31, vcc_lo, s31
	s_delay_alu instid0(SALU_CYCLE_1)
	s_and_not1_b32 exec_lo, exec_lo, s31
	s_cbranch_execnz .LBB410_155
; %bb.158:                              ;   in Loop: Header=BB410_152 Depth=1
	s_or_b32 exec_lo, exec_lo, s31
.LBB410_159:                            ;   in Loop: Header=BB410_152 Depth=1
	s_delay_alu instid0(SALU_CYCLE_1)
	s_or_b32 exec_lo, exec_lo, vcc_hi
	v_and_b32_e32 v29, 0xffff, v131
	v_and_b32_e32 v28, 0xff, v113
	ds_bpermute_b32 v132, v103, v29
	v_cmp_eq_u16_e32 vcc_lo, 2, v28
	s_mov_b32 vcc_hi, exec_lo
	v_and_or_b32 v28, vcc_lo, v112, 0x80000000
	s_delay_alu instid0(VALU_DEP_1) | instskip(NEXT) | instid1(VALU_DEP_1)
	v_ctz_i32_b32_e32 v28, v28
	v_cmpx_lt_u32_e64 v102, v28
	s_cbranch_execz .LBB410_163
; %bb.160:                              ;   in Loop: Header=BB410_152 Depth=1
	s_waitcnt lgkmcnt(0)
	v_cvt_f32_f16_e64 v29, v132
	v_cvt_f32_f16_e64 v133, v131
	v_cmp_u_f16_e64 vcc_lo, v132, v132
	s_delay_alu instid0(VALU_DEP_2) | instskip(SKIP_1) | instid1(VALU_DEP_2)
	v_min_f32_e32 v134, v29, v133
	v_max_f32_e32 v135, v29, v133
	v_cndmask_b32_e32 v134, v134, v29, vcc_lo
	s_delay_alu instid0(VALU_DEP_2) | instskip(SKIP_1) | instid1(VALU_DEP_3)
	v_cndmask_b32_e32 v29, v135, v29, vcc_lo
	v_cmp_u_f16_e64 vcc_lo, v131, v131
	v_cndmask_b32_e32 v131, v134, v133, vcc_lo
	s_delay_alu instid0(VALU_DEP_3) | instskip(NEXT) | instid1(VALU_DEP_2)
	v_cndmask_b32_e32 v29, v29, v133, vcc_lo
	v_cmp_class_f32_e64 s31, v131, 0x1f8
	s_delay_alu instid0(VALU_DEP_2) | instskip(NEXT) | instid1(VALU_DEP_2)
	v_cmp_neq_f32_e32 vcc_lo, v131, v29
	s_or_b32 vcc_lo, vcc_lo, s31
	s_delay_alu instid0(SALU_CYCLE_1)
	s_and_saveexec_b32 s31, vcc_lo
	s_cbranch_execz .LBB410_162
; %bb.161:                              ;   in Loop: Header=BB410_152 Depth=1
	v_sub_f32_e32 v131, v131, v29
	s_delay_alu instid0(VALU_DEP_1) | instskip(NEXT) | instid1(VALU_DEP_1)
	v_mul_f32_e32 v132, 0x3fb8aa3b, v131
	v_fma_f32 v133, 0x3fb8aa3b, v131, -v132
	v_rndne_f32_e32 v134, v132
	s_delay_alu instid0(VALU_DEP_1) | instskip(SKIP_1) | instid1(VALU_DEP_4)
	v_sub_f32_e32 v132, v132, v134
	v_cmp_ngt_f32_e32 vcc_lo, 0xc2ce8ed0, v131
	v_fmac_f32_e32 v133, 0x32a5705f, v131
	s_delay_alu instid0(VALU_DEP_1) | instskip(SKIP_1) | instid1(VALU_DEP_2)
	v_add_f32_e32 v132, v132, v133
	v_cvt_i32_f32_e32 v133, v134
	v_exp_f32_e32 v132, v132
	s_waitcnt_depctr 0xfff
	v_ldexp_f32 v132, v132, v133
	s_delay_alu instid0(VALU_DEP_1) | instskip(SKIP_1) | instid1(VALU_DEP_2)
	v_cndmask_b32_e32 v132, 0, v132, vcc_lo
	v_cmp_nlt_f32_e32 vcc_lo, 0x42b17218, v131
	v_cndmask_b32_e32 v133, 0x7f800000, v132, vcc_lo
	s_delay_alu instid0(VALU_DEP_1) | instskip(NEXT) | instid1(VALU_DEP_1)
	v_add_f32_e32 v134, 1.0, v133
	v_add_f32_e32 v131, -1.0, v134
	s_delay_alu instid0(VALU_DEP_1) | instskip(SKIP_1) | instid1(VALU_DEP_2)
	v_dual_sub_f32 v132, v131, v134 :: v_dual_sub_f32 v131, v133, v131
	v_cmp_gt_f32_e64 s34, 0x33800000, |v133|
	v_add_f32_e32 v132, 1.0, v132
	s_delay_alu instid0(VALU_DEP_1) | instskip(SKIP_1) | instid1(VALU_DEP_1)
	v_add_f32_e32 v135, v131, v132
	v_frexp_mant_f32_e32 v131, v134
	v_cmp_gt_f32_e32 vcc_lo, 0x3f2aaaab, v131
	v_cvt_f64_f32_e32 v[131:132], v134
	s_delay_alu instid0(VALU_DEP_1) | instskip(NEXT) | instid1(VALU_DEP_1)
	v_frexp_exp_i32_f64_e32 v131, v[131:132]
	v_subrev_co_ci_u32_e32 v131, vcc_lo, 0, v131, vcc_lo
	v_cmp_eq_f32_e32 vcc_lo, 0x7f800000, v133
	s_delay_alu instid0(VALU_DEP_2) | instskip(SKIP_2) | instid1(VALU_DEP_2)
	v_sub_nc_u32_e32 v132, 0, v131
	v_cvt_f32_i32_e32 v131, v131
	s_or_b32 vcc_lo, vcc_lo, s34
	v_ldexp_f32 v134, v134, v132
	v_ldexp_f32 v132, v135, v132
	s_delay_alu instid0(VALU_DEP_2) | instskip(NEXT) | instid1(VALU_DEP_1)
	v_add_f32_e32 v135, -1.0, v134
	v_add_f32_e32 v144, 1.0, v135
	s_delay_alu instid0(VALU_DEP_1) | instskip(NEXT) | instid1(VALU_DEP_1)
	v_sub_f32_e32 v144, v134, v144
	v_add_f32_e32 v144, v132, v144
	s_delay_alu instid0(VALU_DEP_1) | instskip(NEXT) | instid1(VALU_DEP_1)
	v_add_f32_e32 v145, v135, v144
	v_sub_f32_e32 v135, v135, v145
	s_delay_alu instid0(VALU_DEP_1) | instskip(NEXT) | instid1(VALU_DEP_1)
	v_dual_add_f32 v135, v144, v135 :: v_dual_add_f32 v144, 1.0, v134
	v_add_f32_e32 v146, -1.0, v144
	s_delay_alu instid0(VALU_DEP_1) | instskip(NEXT) | instid1(VALU_DEP_1)
	v_sub_f32_e32 v134, v134, v146
	v_add_f32_e32 v132, v132, v134
	s_delay_alu instid0(VALU_DEP_1) | instskip(NEXT) | instid1(VALU_DEP_1)
	v_add_f32_e32 v134, v144, v132
	v_sub_f32_e32 v144, v144, v134
	s_delay_alu instid0(VALU_DEP_1) | instskip(SKIP_3) | instid1(VALU_DEP_1)
	v_add_f32_e32 v132, v132, v144
	v_rcp_f32_e32 v144, v134
	s_waitcnt_depctr 0xfff
	v_mul_f32_e32 v146, v145, v144
	v_mul_f32_e32 v147, v134, v146
	s_delay_alu instid0(VALU_DEP_1) | instskip(NEXT) | instid1(VALU_DEP_1)
	v_fma_f32 v148, v146, v134, -v147
	v_fmac_f32_e32 v148, v146, v132
	s_delay_alu instid0(VALU_DEP_1) | instskip(NEXT) | instid1(VALU_DEP_1)
	v_add_f32_e32 v149, v147, v148
	v_sub_f32_e32 v147, v149, v147
	v_sub_f32_e32 v150, v145, v149
	s_delay_alu instid0(VALU_DEP_1) | instskip(NEXT) | instid1(VALU_DEP_1)
	v_sub_f32_e32 v145, v145, v150
	v_sub_f32_e32 v145, v145, v149
	s_delay_alu instid0(VALU_DEP_1) | instskip(SKIP_1) | instid1(VALU_DEP_1)
	v_add_f32_e32 v135, v135, v145
	v_sub_f32_e32 v145, v147, v148
	v_add_f32_e32 v135, v145, v135
	s_delay_alu instid0(VALU_DEP_1) | instskip(NEXT) | instid1(VALU_DEP_1)
	v_add_f32_e32 v145, v150, v135
	v_mul_f32_e32 v147, v144, v145
	s_delay_alu instid0(VALU_DEP_1) | instskip(NEXT) | instid1(VALU_DEP_1)
	v_mul_f32_e32 v148, v134, v147
	v_fma_f32 v134, v147, v134, -v148
	s_delay_alu instid0(VALU_DEP_1) | instskip(SKIP_1) | instid1(VALU_DEP_1)
	v_fmac_f32_e32 v134, v147, v132
	v_sub_f32_e32 v132, v150, v145
	v_dual_add_f32 v132, v135, v132 :: v_dual_add_f32 v135, v148, v134
	s_delay_alu instid0(VALU_DEP_1) | instskip(NEXT) | instid1(VALU_DEP_1)
	v_sub_f32_e32 v149, v145, v135
	v_dual_sub_f32 v145, v145, v149 :: v_dual_sub_f32 v148, v135, v148
	s_delay_alu instid0(VALU_DEP_1) | instskip(NEXT) | instid1(VALU_DEP_1)
	v_dual_sub_f32 v135, v145, v135 :: v_dual_sub_f32 v134, v148, v134
	v_add_f32_e32 v132, v132, v135
	s_delay_alu instid0(VALU_DEP_1) | instskip(SKIP_1) | instid1(VALU_DEP_1)
	v_add_f32_e32 v132, v134, v132
	v_add_f32_e32 v134, v146, v147
	v_dual_sub_f32 v135, v134, v146 :: v_dual_mul_f32 v146, 0x3f317218, v131
	s_delay_alu instid0(VALU_DEP_1) | instskip(NEXT) | instid1(VALU_DEP_2)
	v_sub_f32_e32 v135, v147, v135
	v_fma_f32 v147, 0x3f317218, v131, -v146
	s_delay_alu instid0(VALU_DEP_1) | instskip(NEXT) | instid1(VALU_DEP_1)
	v_dual_add_f32 v132, v149, v132 :: v_dual_fmac_f32 v147, 0xb102e308, v131
	v_mul_f32_e32 v132, v144, v132
	s_delay_alu instid0(VALU_DEP_1) | instskip(NEXT) | instid1(VALU_DEP_1)
	v_add_f32_e32 v132, v135, v132
	v_add_f32_e32 v135, v134, v132
	s_delay_alu instid0(VALU_DEP_1) | instskip(NEXT) | instid1(VALU_DEP_1)
	v_sub_f32_e32 v131, v135, v134
	v_sub_f32_e32 v131, v132, v131
	v_add_f32_e32 v132, v146, v147
	s_delay_alu instid0(VALU_DEP_1) | instskip(SKIP_2) | instid1(VALU_DEP_2)
	v_sub_f32_e32 v134, v132, v146
	v_mul_f32_e32 v144, v135, v135
	v_ldexp_f32 v146, v135, 1
	v_dual_sub_f32 v134, v147, v134 :: v_dual_fmaak_f32 v145, s30, v144, 0x3ecc95a3
	v_mul_f32_e32 v135, v135, v144
	v_ldexp_f32 v131, v131, 1
	s_delay_alu instid0(VALU_DEP_3) | instskip(NEXT) | instid1(VALU_DEP_1)
	v_fmaak_f32 v145, v144, v145, 0x3f2aaada
	v_mul_f32_e32 v135, v135, v145
	s_delay_alu instid0(VALU_DEP_1) | instskip(NEXT) | instid1(VALU_DEP_1)
	v_add_f32_e32 v144, v146, v135
	v_sub_f32_e32 v145, v144, v146
	s_delay_alu instid0(VALU_DEP_1) | instskip(NEXT) | instid1(VALU_DEP_1)
	v_sub_f32_e32 v135, v135, v145
	v_add_f32_e32 v131, v131, v135
	s_delay_alu instid0(VALU_DEP_1) | instskip(NEXT) | instid1(VALU_DEP_1)
	v_add_f32_e32 v135, v144, v131
	v_sub_f32_e32 v144, v135, v144
	s_delay_alu instid0(VALU_DEP_1) | instskip(NEXT) | instid1(VALU_DEP_1)
	v_dual_sub_f32 v131, v131, v144 :: v_dual_add_f32 v144, v132, v135
	v_sub_f32_e32 v145, v144, v132
	s_delay_alu instid0(VALU_DEP_1) | instskip(NEXT) | instid1(VALU_DEP_1)
	v_sub_f32_e32 v146, v144, v145
	v_dual_sub_f32 v135, v135, v145 :: v_dual_sub_f32 v132, v132, v146
	s_delay_alu instid0(VALU_DEP_1) | instskip(NEXT) | instid1(VALU_DEP_1)
	v_dual_add_f32 v132, v135, v132 :: v_dual_add_f32 v135, v134, v131
	v_add_f32_e32 v132, v135, v132
	v_sub_f32_e32 v145, v135, v134
	s_delay_alu instid0(VALU_DEP_1) | instskip(NEXT) | instid1(VALU_DEP_1)
	v_sub_f32_e32 v146, v135, v145
	v_dual_sub_f32 v131, v131, v145 :: v_dual_sub_f32 v134, v134, v146
	s_delay_alu instid0(VALU_DEP_1) | instskip(NEXT) | instid1(VALU_DEP_1)
	v_dual_add_f32 v131, v131, v134 :: v_dual_add_f32 v134, v144, v132
	v_sub_f32_e32 v135, v134, v144
	s_delay_alu instid0(VALU_DEP_1) | instskip(NEXT) | instid1(VALU_DEP_1)
	v_sub_f32_e32 v132, v132, v135
	v_add_f32_e32 v131, v131, v132
	s_delay_alu instid0(VALU_DEP_1) | instskip(NEXT) | instid1(VALU_DEP_1)
	v_add_f32_e32 v131, v134, v131
	v_cndmask_b32_e32 v131, v131, v133, vcc_lo
	s_delay_alu instid0(VALU_DEP_1) | instskip(NEXT) | instid1(VALU_DEP_1)
	v_add_f32_e32 v29, v29, v131
	v_cvt_f16_f32_e64 v132, v29
.LBB410_162:                            ;   in Loop: Header=BB410_152 Depth=1
	s_or_b32 exec_lo, exec_lo, s31
	s_delay_alu instid0(VALU_DEP_1)
	v_and_b32_e32 v29, 0xffff, v132
	v_mov_b32_e32 v131, v132
.LBB410_163:                            ;   in Loop: Header=BB410_152 Depth=1
	s_or_b32 exec_lo, exec_lo, vcc_hi
	s_waitcnt lgkmcnt(0)
	ds_bpermute_b32 v132, v114, v29
	s_mov_b32 vcc_hi, exec_lo
	v_cmpx_le_u32_e64 v115, v28
	s_cbranch_execz .LBB410_167
; %bb.164:                              ;   in Loop: Header=BB410_152 Depth=1
	s_waitcnt lgkmcnt(0)
	v_cvt_f32_f16_e64 v29, v132
	v_cvt_f32_f16_e64 v133, v131
	v_cmp_u_f16_e64 vcc_lo, v132, v132
	s_delay_alu instid0(VALU_DEP_2) | instskip(SKIP_1) | instid1(VALU_DEP_2)
	v_min_f32_e32 v134, v29, v133
	v_max_f32_e32 v135, v29, v133
	v_cndmask_b32_e32 v134, v134, v29, vcc_lo
	s_delay_alu instid0(VALU_DEP_2) | instskip(SKIP_1) | instid1(VALU_DEP_3)
	v_cndmask_b32_e32 v29, v135, v29, vcc_lo
	v_cmp_u_f16_e64 vcc_lo, v131, v131
	v_cndmask_b32_e32 v131, v134, v133, vcc_lo
	s_delay_alu instid0(VALU_DEP_3) | instskip(NEXT) | instid1(VALU_DEP_2)
	v_cndmask_b32_e32 v29, v29, v133, vcc_lo
	v_cmp_class_f32_e64 s31, v131, 0x1f8
	s_delay_alu instid0(VALU_DEP_2) | instskip(NEXT) | instid1(VALU_DEP_2)
	v_cmp_neq_f32_e32 vcc_lo, v131, v29
	s_or_b32 vcc_lo, vcc_lo, s31
	s_delay_alu instid0(SALU_CYCLE_1)
	s_and_saveexec_b32 s31, vcc_lo
	s_cbranch_execz .LBB410_166
; %bb.165:                              ;   in Loop: Header=BB410_152 Depth=1
	v_sub_f32_e32 v131, v131, v29
	s_delay_alu instid0(VALU_DEP_1) | instskip(NEXT) | instid1(VALU_DEP_1)
	v_mul_f32_e32 v132, 0x3fb8aa3b, v131
	v_fma_f32 v133, 0x3fb8aa3b, v131, -v132
	v_rndne_f32_e32 v134, v132
	s_delay_alu instid0(VALU_DEP_1) | instskip(SKIP_1) | instid1(VALU_DEP_4)
	v_sub_f32_e32 v132, v132, v134
	v_cmp_ngt_f32_e32 vcc_lo, 0xc2ce8ed0, v131
	v_fmac_f32_e32 v133, 0x32a5705f, v131
	s_delay_alu instid0(VALU_DEP_1) | instskip(SKIP_1) | instid1(VALU_DEP_2)
	v_add_f32_e32 v132, v132, v133
	v_cvt_i32_f32_e32 v133, v134
	v_exp_f32_e32 v132, v132
	s_waitcnt_depctr 0xfff
	v_ldexp_f32 v132, v132, v133
	s_delay_alu instid0(VALU_DEP_1) | instskip(SKIP_1) | instid1(VALU_DEP_2)
	v_cndmask_b32_e32 v132, 0, v132, vcc_lo
	v_cmp_nlt_f32_e32 vcc_lo, 0x42b17218, v131
	v_cndmask_b32_e32 v133, 0x7f800000, v132, vcc_lo
	s_delay_alu instid0(VALU_DEP_1) | instskip(NEXT) | instid1(VALU_DEP_1)
	v_add_f32_e32 v134, 1.0, v133
	v_add_f32_e32 v131, -1.0, v134
	s_delay_alu instid0(VALU_DEP_1) | instskip(SKIP_1) | instid1(VALU_DEP_2)
	v_dual_sub_f32 v132, v131, v134 :: v_dual_sub_f32 v131, v133, v131
	v_cmp_gt_f32_e64 s34, 0x33800000, |v133|
	v_add_f32_e32 v132, 1.0, v132
	s_delay_alu instid0(VALU_DEP_1) | instskip(SKIP_1) | instid1(VALU_DEP_1)
	v_add_f32_e32 v135, v131, v132
	v_frexp_mant_f32_e32 v131, v134
	v_cmp_gt_f32_e32 vcc_lo, 0x3f2aaaab, v131
	v_cvt_f64_f32_e32 v[131:132], v134
	s_delay_alu instid0(VALU_DEP_1) | instskip(NEXT) | instid1(VALU_DEP_1)
	v_frexp_exp_i32_f64_e32 v131, v[131:132]
	v_subrev_co_ci_u32_e32 v131, vcc_lo, 0, v131, vcc_lo
	v_cmp_eq_f32_e32 vcc_lo, 0x7f800000, v133
	s_delay_alu instid0(VALU_DEP_2) | instskip(SKIP_2) | instid1(VALU_DEP_2)
	v_sub_nc_u32_e32 v132, 0, v131
	v_cvt_f32_i32_e32 v131, v131
	s_or_b32 vcc_lo, vcc_lo, s34
	v_ldexp_f32 v134, v134, v132
	v_ldexp_f32 v132, v135, v132
	s_delay_alu instid0(VALU_DEP_2) | instskip(NEXT) | instid1(VALU_DEP_1)
	v_add_f32_e32 v135, -1.0, v134
	v_add_f32_e32 v144, 1.0, v135
	s_delay_alu instid0(VALU_DEP_1) | instskip(NEXT) | instid1(VALU_DEP_1)
	v_sub_f32_e32 v144, v134, v144
	v_add_f32_e32 v144, v132, v144
	s_delay_alu instid0(VALU_DEP_1) | instskip(NEXT) | instid1(VALU_DEP_1)
	v_add_f32_e32 v145, v135, v144
	v_sub_f32_e32 v135, v135, v145
	s_delay_alu instid0(VALU_DEP_1) | instskip(NEXT) | instid1(VALU_DEP_1)
	v_dual_add_f32 v135, v144, v135 :: v_dual_add_f32 v144, 1.0, v134
	v_add_f32_e32 v146, -1.0, v144
	s_delay_alu instid0(VALU_DEP_1) | instskip(NEXT) | instid1(VALU_DEP_1)
	v_sub_f32_e32 v134, v134, v146
	v_add_f32_e32 v132, v132, v134
	s_delay_alu instid0(VALU_DEP_1) | instskip(NEXT) | instid1(VALU_DEP_1)
	v_add_f32_e32 v134, v144, v132
	v_sub_f32_e32 v144, v144, v134
	s_delay_alu instid0(VALU_DEP_1) | instskip(SKIP_3) | instid1(VALU_DEP_1)
	v_add_f32_e32 v132, v132, v144
	v_rcp_f32_e32 v144, v134
	s_waitcnt_depctr 0xfff
	v_mul_f32_e32 v146, v145, v144
	v_mul_f32_e32 v147, v134, v146
	s_delay_alu instid0(VALU_DEP_1) | instskip(NEXT) | instid1(VALU_DEP_1)
	v_fma_f32 v148, v146, v134, -v147
	v_fmac_f32_e32 v148, v146, v132
	s_delay_alu instid0(VALU_DEP_1) | instskip(NEXT) | instid1(VALU_DEP_1)
	v_add_f32_e32 v149, v147, v148
	v_sub_f32_e32 v147, v149, v147
	v_sub_f32_e32 v150, v145, v149
	s_delay_alu instid0(VALU_DEP_1) | instskip(NEXT) | instid1(VALU_DEP_1)
	v_sub_f32_e32 v145, v145, v150
	v_sub_f32_e32 v145, v145, v149
	s_delay_alu instid0(VALU_DEP_1) | instskip(SKIP_1) | instid1(VALU_DEP_1)
	v_add_f32_e32 v135, v135, v145
	v_sub_f32_e32 v145, v147, v148
	v_add_f32_e32 v135, v145, v135
	s_delay_alu instid0(VALU_DEP_1) | instskip(NEXT) | instid1(VALU_DEP_1)
	v_add_f32_e32 v145, v150, v135
	v_mul_f32_e32 v147, v144, v145
	s_delay_alu instid0(VALU_DEP_1) | instskip(NEXT) | instid1(VALU_DEP_1)
	v_mul_f32_e32 v148, v134, v147
	v_fma_f32 v134, v147, v134, -v148
	s_delay_alu instid0(VALU_DEP_1) | instskip(SKIP_1) | instid1(VALU_DEP_1)
	v_fmac_f32_e32 v134, v147, v132
	v_sub_f32_e32 v132, v150, v145
	v_dual_add_f32 v132, v135, v132 :: v_dual_add_f32 v135, v148, v134
	s_delay_alu instid0(VALU_DEP_1) | instskip(NEXT) | instid1(VALU_DEP_1)
	v_sub_f32_e32 v149, v145, v135
	v_dual_sub_f32 v145, v145, v149 :: v_dual_sub_f32 v148, v135, v148
	s_delay_alu instid0(VALU_DEP_1) | instskip(NEXT) | instid1(VALU_DEP_1)
	v_dual_sub_f32 v135, v145, v135 :: v_dual_sub_f32 v134, v148, v134
	v_add_f32_e32 v132, v132, v135
	s_delay_alu instid0(VALU_DEP_1) | instskip(SKIP_1) | instid1(VALU_DEP_1)
	v_add_f32_e32 v132, v134, v132
	v_add_f32_e32 v134, v146, v147
	v_dual_sub_f32 v135, v134, v146 :: v_dual_mul_f32 v146, 0x3f317218, v131
	s_delay_alu instid0(VALU_DEP_1) | instskip(NEXT) | instid1(VALU_DEP_2)
	v_sub_f32_e32 v135, v147, v135
	v_fma_f32 v147, 0x3f317218, v131, -v146
	s_delay_alu instid0(VALU_DEP_1) | instskip(NEXT) | instid1(VALU_DEP_1)
	v_dual_add_f32 v132, v149, v132 :: v_dual_fmac_f32 v147, 0xb102e308, v131
	v_mul_f32_e32 v132, v144, v132
	s_delay_alu instid0(VALU_DEP_1) | instskip(NEXT) | instid1(VALU_DEP_1)
	v_add_f32_e32 v132, v135, v132
	v_add_f32_e32 v135, v134, v132
	s_delay_alu instid0(VALU_DEP_1) | instskip(NEXT) | instid1(VALU_DEP_1)
	v_sub_f32_e32 v131, v135, v134
	v_sub_f32_e32 v131, v132, v131
	v_add_f32_e32 v132, v146, v147
	s_delay_alu instid0(VALU_DEP_1) | instskip(SKIP_2) | instid1(VALU_DEP_2)
	v_sub_f32_e32 v134, v132, v146
	v_mul_f32_e32 v144, v135, v135
	v_ldexp_f32 v146, v135, 1
	v_dual_sub_f32 v134, v147, v134 :: v_dual_fmaak_f32 v145, s30, v144, 0x3ecc95a3
	v_mul_f32_e32 v135, v135, v144
	v_ldexp_f32 v131, v131, 1
	s_delay_alu instid0(VALU_DEP_3) | instskip(NEXT) | instid1(VALU_DEP_1)
	v_fmaak_f32 v145, v144, v145, 0x3f2aaada
	v_mul_f32_e32 v135, v135, v145
	s_delay_alu instid0(VALU_DEP_1) | instskip(NEXT) | instid1(VALU_DEP_1)
	v_add_f32_e32 v144, v146, v135
	v_sub_f32_e32 v145, v144, v146
	s_delay_alu instid0(VALU_DEP_1) | instskip(NEXT) | instid1(VALU_DEP_1)
	v_sub_f32_e32 v135, v135, v145
	v_add_f32_e32 v131, v131, v135
	s_delay_alu instid0(VALU_DEP_1) | instskip(NEXT) | instid1(VALU_DEP_1)
	v_add_f32_e32 v135, v144, v131
	v_sub_f32_e32 v144, v135, v144
	s_delay_alu instid0(VALU_DEP_1) | instskip(NEXT) | instid1(VALU_DEP_1)
	v_dual_sub_f32 v131, v131, v144 :: v_dual_add_f32 v144, v132, v135
	v_sub_f32_e32 v145, v144, v132
	s_delay_alu instid0(VALU_DEP_1) | instskip(NEXT) | instid1(VALU_DEP_1)
	v_sub_f32_e32 v146, v144, v145
	v_dual_sub_f32 v135, v135, v145 :: v_dual_sub_f32 v132, v132, v146
	s_delay_alu instid0(VALU_DEP_1) | instskip(NEXT) | instid1(VALU_DEP_1)
	v_dual_add_f32 v132, v135, v132 :: v_dual_add_f32 v135, v134, v131
	v_add_f32_e32 v132, v135, v132
	v_sub_f32_e32 v145, v135, v134
	s_delay_alu instid0(VALU_DEP_1) | instskip(NEXT) | instid1(VALU_DEP_1)
	v_sub_f32_e32 v146, v135, v145
	v_dual_sub_f32 v131, v131, v145 :: v_dual_sub_f32 v134, v134, v146
	s_delay_alu instid0(VALU_DEP_1) | instskip(NEXT) | instid1(VALU_DEP_1)
	v_dual_add_f32 v131, v131, v134 :: v_dual_add_f32 v134, v144, v132
	v_sub_f32_e32 v135, v134, v144
	s_delay_alu instid0(VALU_DEP_1) | instskip(NEXT) | instid1(VALU_DEP_1)
	v_sub_f32_e32 v132, v132, v135
	v_add_f32_e32 v131, v131, v132
	s_delay_alu instid0(VALU_DEP_1) | instskip(NEXT) | instid1(VALU_DEP_1)
	v_add_f32_e32 v131, v134, v131
	v_cndmask_b32_e32 v131, v131, v133, vcc_lo
	s_delay_alu instid0(VALU_DEP_1) | instskip(NEXT) | instid1(VALU_DEP_1)
	v_add_f32_e32 v29, v29, v131
	v_cvt_f16_f32_e64 v132, v29
.LBB410_166:                            ;   in Loop: Header=BB410_152 Depth=1
	s_or_b32 exec_lo, exec_lo, s31
	s_delay_alu instid0(VALU_DEP_1)
	v_and_b32_e32 v29, 0xffff, v132
	v_mov_b32_e32 v131, v132
.LBB410_167:                            ;   in Loop: Header=BB410_152 Depth=1
	s_or_b32 exec_lo, exec_lo, vcc_hi
	s_waitcnt lgkmcnt(0)
	ds_bpermute_b32 v132, v116, v29
	s_mov_b32 vcc_hi, exec_lo
	v_cmpx_le_u32_e64 v117, v28
	s_cbranch_execz .LBB410_171
; %bb.168:                              ;   in Loop: Header=BB410_152 Depth=1
	s_waitcnt lgkmcnt(0)
	v_cvt_f32_f16_e64 v29, v132
	v_cvt_f32_f16_e64 v133, v131
	v_cmp_u_f16_e64 vcc_lo, v132, v132
	s_delay_alu instid0(VALU_DEP_2) | instskip(SKIP_1) | instid1(VALU_DEP_2)
	v_min_f32_e32 v134, v29, v133
	v_max_f32_e32 v135, v29, v133
	v_cndmask_b32_e32 v134, v134, v29, vcc_lo
	s_delay_alu instid0(VALU_DEP_2) | instskip(SKIP_1) | instid1(VALU_DEP_3)
	v_cndmask_b32_e32 v29, v135, v29, vcc_lo
	v_cmp_u_f16_e64 vcc_lo, v131, v131
	v_cndmask_b32_e32 v131, v134, v133, vcc_lo
	s_delay_alu instid0(VALU_DEP_3) | instskip(NEXT) | instid1(VALU_DEP_2)
	v_cndmask_b32_e32 v29, v29, v133, vcc_lo
	v_cmp_class_f32_e64 s31, v131, 0x1f8
	s_delay_alu instid0(VALU_DEP_2) | instskip(NEXT) | instid1(VALU_DEP_2)
	v_cmp_neq_f32_e32 vcc_lo, v131, v29
	s_or_b32 vcc_lo, vcc_lo, s31
	s_delay_alu instid0(SALU_CYCLE_1)
	s_and_saveexec_b32 s31, vcc_lo
	s_cbranch_execz .LBB410_170
; %bb.169:                              ;   in Loop: Header=BB410_152 Depth=1
	v_sub_f32_e32 v131, v131, v29
	s_delay_alu instid0(VALU_DEP_1) | instskip(NEXT) | instid1(VALU_DEP_1)
	v_mul_f32_e32 v132, 0x3fb8aa3b, v131
	v_fma_f32 v133, 0x3fb8aa3b, v131, -v132
	v_rndne_f32_e32 v134, v132
	s_delay_alu instid0(VALU_DEP_1) | instskip(SKIP_1) | instid1(VALU_DEP_4)
	v_sub_f32_e32 v132, v132, v134
	v_cmp_ngt_f32_e32 vcc_lo, 0xc2ce8ed0, v131
	v_fmac_f32_e32 v133, 0x32a5705f, v131
	s_delay_alu instid0(VALU_DEP_1) | instskip(SKIP_1) | instid1(VALU_DEP_2)
	v_add_f32_e32 v132, v132, v133
	v_cvt_i32_f32_e32 v133, v134
	v_exp_f32_e32 v132, v132
	s_waitcnt_depctr 0xfff
	v_ldexp_f32 v132, v132, v133
	s_delay_alu instid0(VALU_DEP_1) | instskip(SKIP_1) | instid1(VALU_DEP_2)
	v_cndmask_b32_e32 v132, 0, v132, vcc_lo
	v_cmp_nlt_f32_e32 vcc_lo, 0x42b17218, v131
	v_cndmask_b32_e32 v133, 0x7f800000, v132, vcc_lo
	s_delay_alu instid0(VALU_DEP_1) | instskip(NEXT) | instid1(VALU_DEP_1)
	v_add_f32_e32 v134, 1.0, v133
	v_add_f32_e32 v131, -1.0, v134
	s_delay_alu instid0(VALU_DEP_1) | instskip(SKIP_1) | instid1(VALU_DEP_2)
	v_dual_sub_f32 v132, v131, v134 :: v_dual_sub_f32 v131, v133, v131
	v_cmp_gt_f32_e64 s34, 0x33800000, |v133|
	v_add_f32_e32 v132, 1.0, v132
	s_delay_alu instid0(VALU_DEP_1) | instskip(SKIP_1) | instid1(VALU_DEP_1)
	v_add_f32_e32 v135, v131, v132
	v_frexp_mant_f32_e32 v131, v134
	v_cmp_gt_f32_e32 vcc_lo, 0x3f2aaaab, v131
	v_cvt_f64_f32_e32 v[131:132], v134
	s_delay_alu instid0(VALU_DEP_1) | instskip(NEXT) | instid1(VALU_DEP_1)
	v_frexp_exp_i32_f64_e32 v131, v[131:132]
	v_subrev_co_ci_u32_e32 v131, vcc_lo, 0, v131, vcc_lo
	v_cmp_eq_f32_e32 vcc_lo, 0x7f800000, v133
	s_delay_alu instid0(VALU_DEP_2) | instskip(SKIP_2) | instid1(VALU_DEP_2)
	v_sub_nc_u32_e32 v132, 0, v131
	v_cvt_f32_i32_e32 v131, v131
	s_or_b32 vcc_lo, vcc_lo, s34
	v_ldexp_f32 v134, v134, v132
	v_ldexp_f32 v132, v135, v132
	s_delay_alu instid0(VALU_DEP_2) | instskip(NEXT) | instid1(VALU_DEP_1)
	v_add_f32_e32 v135, -1.0, v134
	v_add_f32_e32 v144, 1.0, v135
	s_delay_alu instid0(VALU_DEP_1) | instskip(NEXT) | instid1(VALU_DEP_1)
	v_sub_f32_e32 v144, v134, v144
	v_add_f32_e32 v144, v132, v144
	s_delay_alu instid0(VALU_DEP_1) | instskip(NEXT) | instid1(VALU_DEP_1)
	v_add_f32_e32 v145, v135, v144
	v_sub_f32_e32 v135, v135, v145
	s_delay_alu instid0(VALU_DEP_1) | instskip(NEXT) | instid1(VALU_DEP_1)
	v_dual_add_f32 v135, v144, v135 :: v_dual_add_f32 v144, 1.0, v134
	v_add_f32_e32 v146, -1.0, v144
	s_delay_alu instid0(VALU_DEP_1) | instskip(NEXT) | instid1(VALU_DEP_1)
	v_sub_f32_e32 v134, v134, v146
	v_add_f32_e32 v132, v132, v134
	s_delay_alu instid0(VALU_DEP_1) | instskip(NEXT) | instid1(VALU_DEP_1)
	v_add_f32_e32 v134, v144, v132
	v_sub_f32_e32 v144, v144, v134
	s_delay_alu instid0(VALU_DEP_1) | instskip(SKIP_3) | instid1(VALU_DEP_1)
	v_add_f32_e32 v132, v132, v144
	v_rcp_f32_e32 v144, v134
	s_waitcnt_depctr 0xfff
	v_mul_f32_e32 v146, v145, v144
	v_mul_f32_e32 v147, v134, v146
	s_delay_alu instid0(VALU_DEP_1) | instskip(NEXT) | instid1(VALU_DEP_1)
	v_fma_f32 v148, v146, v134, -v147
	v_fmac_f32_e32 v148, v146, v132
	s_delay_alu instid0(VALU_DEP_1) | instskip(NEXT) | instid1(VALU_DEP_1)
	v_add_f32_e32 v149, v147, v148
	v_sub_f32_e32 v147, v149, v147
	v_sub_f32_e32 v150, v145, v149
	s_delay_alu instid0(VALU_DEP_1) | instskip(NEXT) | instid1(VALU_DEP_1)
	v_sub_f32_e32 v145, v145, v150
	v_sub_f32_e32 v145, v145, v149
	s_delay_alu instid0(VALU_DEP_1) | instskip(SKIP_1) | instid1(VALU_DEP_1)
	v_add_f32_e32 v135, v135, v145
	v_sub_f32_e32 v145, v147, v148
	v_add_f32_e32 v135, v145, v135
	s_delay_alu instid0(VALU_DEP_1) | instskip(NEXT) | instid1(VALU_DEP_1)
	v_add_f32_e32 v145, v150, v135
	v_mul_f32_e32 v147, v144, v145
	s_delay_alu instid0(VALU_DEP_1) | instskip(NEXT) | instid1(VALU_DEP_1)
	v_mul_f32_e32 v148, v134, v147
	v_fma_f32 v134, v147, v134, -v148
	s_delay_alu instid0(VALU_DEP_1) | instskip(SKIP_1) | instid1(VALU_DEP_1)
	v_fmac_f32_e32 v134, v147, v132
	v_sub_f32_e32 v132, v150, v145
	v_dual_add_f32 v132, v135, v132 :: v_dual_add_f32 v135, v148, v134
	s_delay_alu instid0(VALU_DEP_1) | instskip(NEXT) | instid1(VALU_DEP_1)
	v_sub_f32_e32 v149, v145, v135
	v_dual_sub_f32 v145, v145, v149 :: v_dual_sub_f32 v148, v135, v148
	s_delay_alu instid0(VALU_DEP_1) | instskip(NEXT) | instid1(VALU_DEP_1)
	v_dual_sub_f32 v135, v145, v135 :: v_dual_sub_f32 v134, v148, v134
	v_add_f32_e32 v132, v132, v135
	s_delay_alu instid0(VALU_DEP_1) | instskip(SKIP_1) | instid1(VALU_DEP_1)
	v_add_f32_e32 v132, v134, v132
	v_add_f32_e32 v134, v146, v147
	v_dual_sub_f32 v135, v134, v146 :: v_dual_mul_f32 v146, 0x3f317218, v131
	s_delay_alu instid0(VALU_DEP_1) | instskip(NEXT) | instid1(VALU_DEP_2)
	v_sub_f32_e32 v135, v147, v135
	v_fma_f32 v147, 0x3f317218, v131, -v146
	s_delay_alu instid0(VALU_DEP_1) | instskip(NEXT) | instid1(VALU_DEP_1)
	v_dual_add_f32 v132, v149, v132 :: v_dual_fmac_f32 v147, 0xb102e308, v131
	v_mul_f32_e32 v132, v144, v132
	s_delay_alu instid0(VALU_DEP_1) | instskip(NEXT) | instid1(VALU_DEP_1)
	v_add_f32_e32 v132, v135, v132
	v_add_f32_e32 v135, v134, v132
	s_delay_alu instid0(VALU_DEP_1) | instskip(NEXT) | instid1(VALU_DEP_1)
	v_sub_f32_e32 v131, v135, v134
	v_sub_f32_e32 v131, v132, v131
	v_add_f32_e32 v132, v146, v147
	s_delay_alu instid0(VALU_DEP_1) | instskip(SKIP_2) | instid1(VALU_DEP_2)
	v_sub_f32_e32 v134, v132, v146
	v_mul_f32_e32 v144, v135, v135
	v_ldexp_f32 v146, v135, 1
	v_dual_sub_f32 v134, v147, v134 :: v_dual_fmaak_f32 v145, s30, v144, 0x3ecc95a3
	v_mul_f32_e32 v135, v135, v144
	v_ldexp_f32 v131, v131, 1
	s_delay_alu instid0(VALU_DEP_3) | instskip(NEXT) | instid1(VALU_DEP_1)
	v_fmaak_f32 v145, v144, v145, 0x3f2aaada
	v_mul_f32_e32 v135, v135, v145
	s_delay_alu instid0(VALU_DEP_1) | instskip(NEXT) | instid1(VALU_DEP_1)
	v_add_f32_e32 v144, v146, v135
	v_sub_f32_e32 v145, v144, v146
	s_delay_alu instid0(VALU_DEP_1) | instskip(NEXT) | instid1(VALU_DEP_1)
	v_sub_f32_e32 v135, v135, v145
	v_add_f32_e32 v131, v131, v135
	s_delay_alu instid0(VALU_DEP_1) | instskip(NEXT) | instid1(VALU_DEP_1)
	v_add_f32_e32 v135, v144, v131
	v_sub_f32_e32 v144, v135, v144
	s_delay_alu instid0(VALU_DEP_1) | instskip(NEXT) | instid1(VALU_DEP_1)
	v_dual_sub_f32 v131, v131, v144 :: v_dual_add_f32 v144, v132, v135
	v_sub_f32_e32 v145, v144, v132
	s_delay_alu instid0(VALU_DEP_1) | instskip(NEXT) | instid1(VALU_DEP_1)
	v_sub_f32_e32 v146, v144, v145
	v_dual_sub_f32 v135, v135, v145 :: v_dual_sub_f32 v132, v132, v146
	s_delay_alu instid0(VALU_DEP_1) | instskip(NEXT) | instid1(VALU_DEP_1)
	v_dual_add_f32 v132, v135, v132 :: v_dual_add_f32 v135, v134, v131
	v_add_f32_e32 v132, v135, v132
	v_sub_f32_e32 v145, v135, v134
	s_delay_alu instid0(VALU_DEP_1) | instskip(NEXT) | instid1(VALU_DEP_1)
	v_sub_f32_e32 v146, v135, v145
	v_dual_sub_f32 v131, v131, v145 :: v_dual_sub_f32 v134, v134, v146
	s_delay_alu instid0(VALU_DEP_1) | instskip(NEXT) | instid1(VALU_DEP_1)
	v_dual_add_f32 v131, v131, v134 :: v_dual_add_f32 v134, v144, v132
	v_sub_f32_e32 v135, v134, v144
	s_delay_alu instid0(VALU_DEP_1) | instskip(NEXT) | instid1(VALU_DEP_1)
	v_sub_f32_e32 v132, v132, v135
	v_add_f32_e32 v131, v131, v132
	s_delay_alu instid0(VALU_DEP_1) | instskip(NEXT) | instid1(VALU_DEP_1)
	v_add_f32_e32 v131, v134, v131
	v_cndmask_b32_e32 v131, v131, v133, vcc_lo
	s_delay_alu instid0(VALU_DEP_1) | instskip(NEXT) | instid1(VALU_DEP_1)
	v_add_f32_e32 v29, v29, v131
	v_cvt_f16_f32_e64 v132, v29
.LBB410_170:                            ;   in Loop: Header=BB410_152 Depth=1
	s_or_b32 exec_lo, exec_lo, s31
	s_delay_alu instid0(VALU_DEP_1)
	v_and_b32_e32 v29, 0xffff, v132
	v_mov_b32_e32 v131, v132
.LBB410_171:                            ;   in Loop: Header=BB410_152 Depth=1
	s_or_b32 exec_lo, exec_lo, vcc_hi
	s_waitcnt lgkmcnt(0)
	ds_bpermute_b32 v132, v118, v29
	s_mov_b32 vcc_hi, exec_lo
	v_cmpx_le_u32_e64 v119, v28
	s_cbranch_execz .LBB410_175
; %bb.172:                              ;   in Loop: Header=BB410_152 Depth=1
	s_waitcnt lgkmcnt(0)
	v_cvt_f32_f16_e64 v29, v132
	v_cvt_f32_f16_e64 v133, v131
	v_cmp_u_f16_e64 vcc_lo, v132, v132
	s_delay_alu instid0(VALU_DEP_2) | instskip(SKIP_1) | instid1(VALU_DEP_2)
	v_min_f32_e32 v134, v29, v133
	v_max_f32_e32 v135, v29, v133
	v_cndmask_b32_e32 v134, v134, v29, vcc_lo
	s_delay_alu instid0(VALU_DEP_2) | instskip(SKIP_1) | instid1(VALU_DEP_3)
	v_cndmask_b32_e32 v29, v135, v29, vcc_lo
	v_cmp_u_f16_e64 vcc_lo, v131, v131
	v_cndmask_b32_e32 v131, v134, v133, vcc_lo
	s_delay_alu instid0(VALU_DEP_3) | instskip(NEXT) | instid1(VALU_DEP_2)
	v_cndmask_b32_e32 v29, v29, v133, vcc_lo
	v_cmp_class_f32_e64 s31, v131, 0x1f8
	s_delay_alu instid0(VALU_DEP_2) | instskip(NEXT) | instid1(VALU_DEP_2)
	v_cmp_neq_f32_e32 vcc_lo, v131, v29
	s_or_b32 vcc_lo, vcc_lo, s31
	s_delay_alu instid0(SALU_CYCLE_1)
	s_and_saveexec_b32 s31, vcc_lo
	s_cbranch_execz .LBB410_174
; %bb.173:                              ;   in Loop: Header=BB410_152 Depth=1
	v_sub_f32_e32 v131, v131, v29
	s_delay_alu instid0(VALU_DEP_1) | instskip(NEXT) | instid1(VALU_DEP_1)
	v_mul_f32_e32 v132, 0x3fb8aa3b, v131
	v_fma_f32 v133, 0x3fb8aa3b, v131, -v132
	v_rndne_f32_e32 v134, v132
	s_delay_alu instid0(VALU_DEP_1) | instskip(SKIP_1) | instid1(VALU_DEP_4)
	v_sub_f32_e32 v132, v132, v134
	v_cmp_ngt_f32_e32 vcc_lo, 0xc2ce8ed0, v131
	v_fmac_f32_e32 v133, 0x32a5705f, v131
	s_delay_alu instid0(VALU_DEP_1) | instskip(SKIP_1) | instid1(VALU_DEP_2)
	v_add_f32_e32 v132, v132, v133
	v_cvt_i32_f32_e32 v133, v134
	v_exp_f32_e32 v132, v132
	s_waitcnt_depctr 0xfff
	v_ldexp_f32 v132, v132, v133
	s_delay_alu instid0(VALU_DEP_1) | instskip(SKIP_1) | instid1(VALU_DEP_2)
	v_cndmask_b32_e32 v132, 0, v132, vcc_lo
	v_cmp_nlt_f32_e32 vcc_lo, 0x42b17218, v131
	v_cndmask_b32_e32 v133, 0x7f800000, v132, vcc_lo
	s_delay_alu instid0(VALU_DEP_1) | instskip(NEXT) | instid1(VALU_DEP_1)
	v_add_f32_e32 v134, 1.0, v133
	v_add_f32_e32 v131, -1.0, v134
	s_delay_alu instid0(VALU_DEP_1) | instskip(SKIP_1) | instid1(VALU_DEP_2)
	v_dual_sub_f32 v132, v131, v134 :: v_dual_sub_f32 v131, v133, v131
	v_cmp_gt_f32_e64 s34, 0x33800000, |v133|
	v_add_f32_e32 v132, 1.0, v132
	s_delay_alu instid0(VALU_DEP_1) | instskip(SKIP_1) | instid1(VALU_DEP_1)
	v_add_f32_e32 v135, v131, v132
	v_frexp_mant_f32_e32 v131, v134
	v_cmp_gt_f32_e32 vcc_lo, 0x3f2aaaab, v131
	v_cvt_f64_f32_e32 v[131:132], v134
	s_delay_alu instid0(VALU_DEP_1) | instskip(NEXT) | instid1(VALU_DEP_1)
	v_frexp_exp_i32_f64_e32 v131, v[131:132]
	v_subrev_co_ci_u32_e32 v131, vcc_lo, 0, v131, vcc_lo
	v_cmp_eq_f32_e32 vcc_lo, 0x7f800000, v133
	s_delay_alu instid0(VALU_DEP_2) | instskip(SKIP_2) | instid1(VALU_DEP_2)
	v_sub_nc_u32_e32 v132, 0, v131
	v_cvt_f32_i32_e32 v131, v131
	s_or_b32 vcc_lo, vcc_lo, s34
	v_ldexp_f32 v134, v134, v132
	v_ldexp_f32 v132, v135, v132
	s_delay_alu instid0(VALU_DEP_2) | instskip(NEXT) | instid1(VALU_DEP_1)
	v_add_f32_e32 v135, -1.0, v134
	v_add_f32_e32 v144, 1.0, v135
	s_delay_alu instid0(VALU_DEP_1) | instskip(NEXT) | instid1(VALU_DEP_1)
	v_sub_f32_e32 v144, v134, v144
	v_add_f32_e32 v144, v132, v144
	s_delay_alu instid0(VALU_DEP_1) | instskip(NEXT) | instid1(VALU_DEP_1)
	v_add_f32_e32 v145, v135, v144
	v_sub_f32_e32 v135, v135, v145
	s_delay_alu instid0(VALU_DEP_1) | instskip(NEXT) | instid1(VALU_DEP_1)
	v_dual_add_f32 v135, v144, v135 :: v_dual_add_f32 v144, 1.0, v134
	v_add_f32_e32 v146, -1.0, v144
	s_delay_alu instid0(VALU_DEP_1) | instskip(NEXT) | instid1(VALU_DEP_1)
	v_sub_f32_e32 v134, v134, v146
	v_add_f32_e32 v132, v132, v134
	s_delay_alu instid0(VALU_DEP_1) | instskip(NEXT) | instid1(VALU_DEP_1)
	v_add_f32_e32 v134, v144, v132
	v_sub_f32_e32 v144, v144, v134
	s_delay_alu instid0(VALU_DEP_1) | instskip(SKIP_3) | instid1(VALU_DEP_1)
	v_add_f32_e32 v132, v132, v144
	v_rcp_f32_e32 v144, v134
	s_waitcnt_depctr 0xfff
	v_mul_f32_e32 v146, v145, v144
	v_mul_f32_e32 v147, v134, v146
	s_delay_alu instid0(VALU_DEP_1) | instskip(NEXT) | instid1(VALU_DEP_1)
	v_fma_f32 v148, v146, v134, -v147
	v_fmac_f32_e32 v148, v146, v132
	s_delay_alu instid0(VALU_DEP_1) | instskip(NEXT) | instid1(VALU_DEP_1)
	v_add_f32_e32 v149, v147, v148
	v_sub_f32_e32 v147, v149, v147
	v_sub_f32_e32 v150, v145, v149
	s_delay_alu instid0(VALU_DEP_1) | instskip(NEXT) | instid1(VALU_DEP_1)
	v_sub_f32_e32 v145, v145, v150
	v_sub_f32_e32 v145, v145, v149
	s_delay_alu instid0(VALU_DEP_1) | instskip(SKIP_1) | instid1(VALU_DEP_1)
	v_add_f32_e32 v135, v135, v145
	v_sub_f32_e32 v145, v147, v148
	v_add_f32_e32 v135, v145, v135
	s_delay_alu instid0(VALU_DEP_1) | instskip(NEXT) | instid1(VALU_DEP_1)
	v_add_f32_e32 v145, v150, v135
	v_mul_f32_e32 v147, v144, v145
	s_delay_alu instid0(VALU_DEP_1) | instskip(NEXT) | instid1(VALU_DEP_1)
	v_mul_f32_e32 v148, v134, v147
	v_fma_f32 v134, v147, v134, -v148
	s_delay_alu instid0(VALU_DEP_1) | instskip(SKIP_1) | instid1(VALU_DEP_1)
	v_fmac_f32_e32 v134, v147, v132
	v_sub_f32_e32 v132, v150, v145
	v_dual_add_f32 v132, v135, v132 :: v_dual_add_f32 v135, v148, v134
	s_delay_alu instid0(VALU_DEP_1) | instskip(NEXT) | instid1(VALU_DEP_1)
	v_sub_f32_e32 v149, v145, v135
	v_dual_sub_f32 v145, v145, v149 :: v_dual_sub_f32 v148, v135, v148
	s_delay_alu instid0(VALU_DEP_1) | instskip(NEXT) | instid1(VALU_DEP_1)
	v_dual_sub_f32 v135, v145, v135 :: v_dual_sub_f32 v134, v148, v134
	v_add_f32_e32 v132, v132, v135
	s_delay_alu instid0(VALU_DEP_1) | instskip(SKIP_1) | instid1(VALU_DEP_1)
	v_add_f32_e32 v132, v134, v132
	v_add_f32_e32 v134, v146, v147
	v_dual_sub_f32 v135, v134, v146 :: v_dual_mul_f32 v146, 0x3f317218, v131
	s_delay_alu instid0(VALU_DEP_1) | instskip(NEXT) | instid1(VALU_DEP_2)
	v_sub_f32_e32 v135, v147, v135
	v_fma_f32 v147, 0x3f317218, v131, -v146
	s_delay_alu instid0(VALU_DEP_1) | instskip(NEXT) | instid1(VALU_DEP_1)
	v_dual_add_f32 v132, v149, v132 :: v_dual_fmac_f32 v147, 0xb102e308, v131
	v_mul_f32_e32 v132, v144, v132
	s_delay_alu instid0(VALU_DEP_1) | instskip(NEXT) | instid1(VALU_DEP_1)
	v_add_f32_e32 v132, v135, v132
	v_add_f32_e32 v135, v134, v132
	s_delay_alu instid0(VALU_DEP_1) | instskip(NEXT) | instid1(VALU_DEP_1)
	v_sub_f32_e32 v131, v135, v134
	v_sub_f32_e32 v131, v132, v131
	v_add_f32_e32 v132, v146, v147
	s_delay_alu instid0(VALU_DEP_1) | instskip(SKIP_2) | instid1(VALU_DEP_2)
	v_sub_f32_e32 v134, v132, v146
	v_mul_f32_e32 v144, v135, v135
	v_ldexp_f32 v146, v135, 1
	v_dual_sub_f32 v134, v147, v134 :: v_dual_fmaak_f32 v145, s30, v144, 0x3ecc95a3
	v_mul_f32_e32 v135, v135, v144
	v_ldexp_f32 v131, v131, 1
	s_delay_alu instid0(VALU_DEP_3) | instskip(NEXT) | instid1(VALU_DEP_1)
	v_fmaak_f32 v145, v144, v145, 0x3f2aaada
	v_mul_f32_e32 v135, v135, v145
	s_delay_alu instid0(VALU_DEP_1) | instskip(NEXT) | instid1(VALU_DEP_1)
	v_add_f32_e32 v144, v146, v135
	v_sub_f32_e32 v145, v144, v146
	s_delay_alu instid0(VALU_DEP_1) | instskip(NEXT) | instid1(VALU_DEP_1)
	v_sub_f32_e32 v135, v135, v145
	v_add_f32_e32 v131, v131, v135
	s_delay_alu instid0(VALU_DEP_1) | instskip(NEXT) | instid1(VALU_DEP_1)
	v_add_f32_e32 v135, v144, v131
	v_sub_f32_e32 v144, v135, v144
	s_delay_alu instid0(VALU_DEP_1) | instskip(NEXT) | instid1(VALU_DEP_1)
	v_dual_sub_f32 v131, v131, v144 :: v_dual_add_f32 v144, v132, v135
	v_sub_f32_e32 v145, v144, v132
	s_delay_alu instid0(VALU_DEP_1) | instskip(NEXT) | instid1(VALU_DEP_1)
	v_sub_f32_e32 v146, v144, v145
	v_dual_sub_f32 v135, v135, v145 :: v_dual_sub_f32 v132, v132, v146
	s_delay_alu instid0(VALU_DEP_1) | instskip(NEXT) | instid1(VALU_DEP_1)
	v_dual_add_f32 v132, v135, v132 :: v_dual_add_f32 v135, v134, v131
	v_add_f32_e32 v132, v135, v132
	v_sub_f32_e32 v145, v135, v134
	s_delay_alu instid0(VALU_DEP_1) | instskip(NEXT) | instid1(VALU_DEP_1)
	v_sub_f32_e32 v146, v135, v145
	v_dual_sub_f32 v131, v131, v145 :: v_dual_sub_f32 v134, v134, v146
	s_delay_alu instid0(VALU_DEP_1) | instskip(NEXT) | instid1(VALU_DEP_1)
	v_dual_add_f32 v131, v131, v134 :: v_dual_add_f32 v134, v144, v132
	v_sub_f32_e32 v135, v134, v144
	s_delay_alu instid0(VALU_DEP_1) | instskip(NEXT) | instid1(VALU_DEP_1)
	v_sub_f32_e32 v132, v132, v135
	v_add_f32_e32 v131, v131, v132
	s_delay_alu instid0(VALU_DEP_1) | instskip(NEXT) | instid1(VALU_DEP_1)
	v_add_f32_e32 v131, v134, v131
	v_cndmask_b32_e32 v131, v131, v133, vcc_lo
	s_delay_alu instid0(VALU_DEP_1) | instskip(NEXT) | instid1(VALU_DEP_1)
	v_add_f32_e32 v29, v29, v131
	v_cvt_f16_f32_e64 v132, v29
.LBB410_174:                            ;   in Loop: Header=BB410_152 Depth=1
	s_or_b32 exec_lo, exec_lo, s31
	s_delay_alu instid0(VALU_DEP_1)
	v_and_b32_e32 v29, 0xffff, v132
	v_mov_b32_e32 v131, v132
.LBB410_175:                            ;   in Loop: Header=BB410_152 Depth=1
	s_or_b32 exec_lo, exec_lo, vcc_hi
	ds_bpermute_b32 v29, v129, v29
	s_mov_b32 vcc_hi, exec_lo
	v_cmpx_le_u32_e64 v130, v28
	s_cbranch_execz .LBB410_179
; %bb.176:                              ;   in Loop: Header=BB410_152 Depth=1
	s_waitcnt lgkmcnt(0)
	v_cvt_f32_f16_e32 v28, v29
	v_cvt_f32_f16_e64 v132, v131
	v_cmp_u_f16_e32 vcc_lo, v29, v29
	s_delay_alu instid0(VALU_DEP_2) | instskip(SKIP_1) | instid1(VALU_DEP_2)
	v_min_f32_e32 v133, v28, v132
	v_max_f32_e32 v134, v28, v132
	v_cndmask_b32_e32 v133, v133, v28, vcc_lo
	s_delay_alu instid0(VALU_DEP_2) | instskip(SKIP_1) | instid1(VALU_DEP_3)
	v_cndmask_b32_e32 v28, v134, v28, vcc_lo
	v_cmp_u_f16_e64 vcc_lo, v131, v131
	v_cndmask_b32_e32 v131, v133, v132, vcc_lo
	s_delay_alu instid0(VALU_DEP_3) | instskip(NEXT) | instid1(VALU_DEP_2)
	v_cndmask_b32_e32 v28, v28, v132, vcc_lo
	v_cmp_class_f32_e64 s31, v131, 0x1f8
	s_delay_alu instid0(VALU_DEP_2) | instskip(NEXT) | instid1(VALU_DEP_2)
	v_cmp_neq_f32_e32 vcc_lo, v131, v28
	s_or_b32 vcc_lo, vcc_lo, s31
	s_delay_alu instid0(SALU_CYCLE_1)
	s_and_saveexec_b32 s31, vcc_lo
	s_cbranch_execz .LBB410_178
; %bb.177:                              ;   in Loop: Header=BB410_152 Depth=1
	v_sub_f32_e32 v29, v131, v28
	s_delay_alu instid0(VALU_DEP_1) | instskip(SKIP_1) | instid1(VALU_DEP_2)
	v_mul_f32_e32 v131, 0x3fb8aa3b, v29
	v_cmp_ngt_f32_e32 vcc_lo, 0xc2ce8ed0, v29
	v_fma_f32 v132, 0x3fb8aa3b, v29, -v131
	v_rndne_f32_e32 v133, v131
	s_delay_alu instid0(VALU_DEP_2) | instskip(NEXT) | instid1(VALU_DEP_2)
	v_fmac_f32_e32 v132, 0x32a5705f, v29
	v_sub_f32_e32 v131, v131, v133
	s_delay_alu instid0(VALU_DEP_1) | instskip(SKIP_1) | instid1(VALU_DEP_2)
	v_add_f32_e32 v131, v131, v132
	v_cvt_i32_f32_e32 v132, v133
	v_exp_f32_e32 v131, v131
	s_waitcnt_depctr 0xfff
	v_ldexp_f32 v131, v131, v132
	s_delay_alu instid0(VALU_DEP_1) | instskip(SKIP_1) | instid1(VALU_DEP_2)
	v_cndmask_b32_e32 v131, 0, v131, vcc_lo
	v_cmp_nlt_f32_e32 vcc_lo, 0x42b17218, v29
	v_cndmask_b32_e32 v29, 0x7f800000, v131, vcc_lo
	s_delay_alu instid0(VALU_DEP_1) | instskip(NEXT) | instid1(VALU_DEP_1)
	v_add_f32_e32 v133, 1.0, v29
	v_cvt_f64_f32_e32 v[131:132], v133
	s_delay_alu instid0(VALU_DEP_1) | instskip(SKIP_1) | instid1(VALU_DEP_1)
	v_frexp_exp_i32_f64_e32 v131, v[131:132]
	v_frexp_mant_f32_e32 v132, v133
	v_cmp_gt_f32_e32 vcc_lo, 0x3f2aaaab, v132
	v_add_f32_e32 v132, -1.0, v133
	s_delay_alu instid0(VALU_DEP_1) | instskip(NEXT) | instid1(VALU_DEP_1)
	v_dual_sub_f32 v135, v132, v133 :: v_dual_sub_f32 v132, v29, v132
	v_add_f32_e32 v135, 1.0, v135
	s_delay_alu instid0(VALU_DEP_1) | instskip(SKIP_1) | instid1(VALU_DEP_1)
	v_add_f32_e32 v132, v132, v135
	v_subrev_co_ci_u32_e32 v131, vcc_lo, 0, v131, vcc_lo
	v_sub_nc_u32_e32 v134, 0, v131
	v_cvt_f32_i32_e32 v131, v131
	s_delay_alu instid0(VALU_DEP_2) | instskip(SKIP_1) | instid1(VALU_DEP_2)
	v_ldexp_f32 v133, v133, v134
	v_ldexp_f32 v132, v132, v134
	v_add_f32_e32 v144, 1.0, v133
	v_add_f32_e32 v134, -1.0, v133
	v_cmp_eq_f32_e32 vcc_lo, 0x7f800000, v29
	v_cmp_gt_f32_e64 s34, 0x33800000, |v29|
	s_delay_alu instid0(VALU_DEP_4) | instskip(NEXT) | instid1(VALU_DEP_4)
	v_add_f32_e32 v135, -1.0, v144
	v_add_f32_e32 v145, 1.0, v134
	s_delay_alu instid0(VALU_DEP_3) | instskip(NEXT) | instid1(VALU_DEP_2)
	s_or_b32 vcc_lo, vcc_lo, s34
	v_sub_f32_e32 v135, v133, v135
	s_delay_alu instid0(VALU_DEP_2) | instskip(NEXT) | instid1(VALU_DEP_2)
	v_sub_f32_e32 v133, v133, v145
	v_add_f32_e32 v135, v132, v135
	s_delay_alu instid0(VALU_DEP_2) | instskip(NEXT) | instid1(VALU_DEP_1)
	v_add_f32_e32 v132, v132, v133
	v_add_f32_e32 v146, v134, v132
	s_delay_alu instid0(VALU_DEP_1) | instskip(NEXT) | instid1(VALU_DEP_1)
	v_dual_sub_f32 v134, v134, v146 :: v_dual_add_f32 v145, v144, v135
	v_add_f32_e32 v132, v132, v134
	s_delay_alu instid0(VALU_DEP_2) | instskip(SKIP_1) | instid1(VALU_DEP_1)
	v_rcp_f32_e32 v133, v145
	v_sub_f32_e32 v144, v144, v145
	v_add_f32_e32 v135, v135, v144
	s_waitcnt_depctr 0xfff
	v_mul_f32_e32 v147, v146, v133
	s_delay_alu instid0(VALU_DEP_1) | instskip(NEXT) | instid1(VALU_DEP_1)
	v_mul_f32_e32 v148, v145, v147
	v_fma_f32 v144, v147, v145, -v148
	s_delay_alu instid0(VALU_DEP_1) | instskip(NEXT) | instid1(VALU_DEP_1)
	v_fmac_f32_e32 v144, v147, v135
	v_add_f32_e32 v149, v148, v144
	s_delay_alu instid0(VALU_DEP_1) | instskip(SKIP_1) | instid1(VALU_DEP_2)
	v_sub_f32_e32 v150, v146, v149
	v_sub_f32_e32 v134, v149, v148
	;; [unrolled: 1-line block ×3, first 2 shown]
	s_delay_alu instid0(VALU_DEP_1) | instskip(NEXT) | instid1(VALU_DEP_3)
	v_sub_f32_e32 v146, v146, v149
	v_sub_f32_e32 v134, v134, v144
	s_delay_alu instid0(VALU_DEP_2) | instskip(NEXT) | instid1(VALU_DEP_1)
	v_add_f32_e32 v132, v132, v146
	v_add_f32_e32 v132, v134, v132
	s_delay_alu instid0(VALU_DEP_1) | instskip(NEXT) | instid1(VALU_DEP_1)
	v_add_f32_e32 v134, v150, v132
	v_mul_f32_e32 v144, v133, v134
	s_delay_alu instid0(VALU_DEP_1) | instskip(NEXT) | instid1(VALU_DEP_1)
	v_dual_sub_f32 v149, v150, v134 :: v_dual_mul_f32 v146, v145, v144
	v_add_f32_e32 v132, v132, v149
	s_delay_alu instid0(VALU_DEP_2) | instskip(NEXT) | instid1(VALU_DEP_1)
	v_fma_f32 v145, v144, v145, -v146
	v_fmac_f32_e32 v145, v144, v135
	s_delay_alu instid0(VALU_DEP_1) | instskip(NEXT) | instid1(VALU_DEP_1)
	v_add_f32_e32 v135, v146, v145
	v_sub_f32_e32 v148, v134, v135
	s_delay_alu instid0(VALU_DEP_1) | instskip(NEXT) | instid1(VALU_DEP_1)
	v_sub_f32_e32 v134, v134, v148
	v_sub_f32_e32 v134, v134, v135
	s_delay_alu instid0(VALU_DEP_1) | instskip(SKIP_2) | instid1(VALU_DEP_1)
	v_add_f32_e32 v132, v132, v134
	v_add_f32_e32 v134, v147, v144
	v_sub_f32_e32 v146, v135, v146
	v_sub_f32_e32 v135, v146, v145
	s_delay_alu instid0(VALU_DEP_1) | instskip(NEXT) | instid1(VALU_DEP_1)
	v_dual_add_f32 v132, v135, v132 :: v_dual_sub_f32 v135, v134, v147
	v_add_f32_e32 v132, v148, v132
	s_delay_alu instid0(VALU_DEP_1) | instskip(NEXT) | instid1(VALU_DEP_1)
	v_dual_sub_f32 v135, v144, v135 :: v_dual_mul_f32 v132, v133, v132
	v_add_f32_e32 v132, v135, v132
	s_delay_alu instid0(VALU_DEP_1) | instskip(NEXT) | instid1(VALU_DEP_1)
	v_add_f32_e32 v133, v134, v132
	v_mul_f32_e32 v135, v133, v133
	s_delay_alu instid0(VALU_DEP_1) | instskip(SKIP_1) | instid1(VALU_DEP_2)
	v_fmaak_f32 v144, s30, v135, 0x3ecc95a3
	v_mul_f32_e32 v145, v133, v135
	v_fmaak_f32 v135, v135, v144, 0x3f2aaada
	v_ldexp_f32 v144, v133, 1
	s_delay_alu instid0(VALU_DEP_2) | instskip(SKIP_1) | instid1(VALU_DEP_2)
	v_mul_f32_e32 v135, v145, v135
	v_mul_f32_e32 v145, 0x3f317218, v131
	v_dual_sub_f32 v133, v133, v134 :: v_dual_add_f32 v134, v144, v135
	s_delay_alu instid0(VALU_DEP_1) | instskip(NEXT) | instid1(VALU_DEP_3)
	v_dual_sub_f32 v132, v132, v133 :: v_dual_sub_f32 v133, v134, v144
	v_fma_f32 v144, 0x3f317218, v131, -v145
	s_delay_alu instid0(VALU_DEP_2) | instskip(NEXT) | instid1(VALU_DEP_2)
	v_ldexp_f32 v132, v132, 1
	v_dual_sub_f32 v133, v135, v133 :: v_dual_fmac_f32 v144, 0xb102e308, v131
	s_delay_alu instid0(VALU_DEP_1) | instskip(NEXT) | instid1(VALU_DEP_1)
	v_dual_add_f32 v131, v132, v133 :: v_dual_add_f32 v132, v145, v144
	v_add_f32_e32 v133, v134, v131
	s_delay_alu instid0(VALU_DEP_1) | instskip(NEXT) | instid1(VALU_DEP_1)
	v_add_f32_e32 v135, v132, v133
	v_sub_f32_e32 v146, v135, v132
	s_delay_alu instid0(VALU_DEP_1) | instskip(SKIP_1) | instid1(VALU_DEP_1)
	v_sub_f32_e32 v147, v135, v146
	v_sub_f32_e32 v134, v133, v134
	;; [unrolled: 1-line block ×4, first 2 shown]
	s_delay_alu instid0(VALU_DEP_1) | instskip(NEXT) | instid1(VALU_DEP_1)
	v_dual_sub_f32 v133, v133, v146 :: v_dual_sub_f32 v144, v144, v145
	v_add_f32_e32 v134, v144, v131
	v_sub_f32_e32 v132, v132, v147
	s_delay_alu instid0(VALU_DEP_1) | instskip(NEXT) | instid1(VALU_DEP_3)
	v_add_f32_e32 v132, v133, v132
	v_sub_f32_e32 v133, v134, v144
	s_delay_alu instid0(VALU_DEP_1) | instskip(NEXT) | instid1(VALU_DEP_1)
	v_dual_sub_f32 v131, v131, v133 :: v_dual_add_f32 v132, v134, v132
	v_dual_sub_f32 v134, v134, v133 :: v_dual_add_f32 v145, v135, v132
	s_delay_alu instid0(VALU_DEP_1) | instskip(NEXT) | instid1(VALU_DEP_1)
	v_dual_sub_f32 v133, v145, v135 :: v_dual_sub_f32 v134, v144, v134
	v_dual_sub_f32 v132, v132, v133 :: v_dual_add_f32 v131, v131, v134
	s_delay_alu instid0(VALU_DEP_1) | instskip(NEXT) | instid1(VALU_DEP_1)
	v_add_f32_e32 v131, v131, v132
	v_add_f32_e32 v131, v145, v131
	s_delay_alu instid0(VALU_DEP_1) | instskip(NEXT) | instid1(VALU_DEP_1)
	v_cndmask_b32_e32 v29, v131, v29, vcc_lo
	v_add_f32_e32 v28, v28, v29
	s_delay_alu instid0(VALU_DEP_1)
	v_cvt_f16_f32_e32 v29, v28
.LBB410_178:                            ;   in Loop: Header=BB410_152 Depth=1
	s_or_b32 exec_lo, exec_lo, s31
	s_delay_alu instid0(VALU_DEP_1)
	v_mov_b32_e32 v131, v29
.LBB410_179:                            ;   in Loop: Header=BB410_152 Depth=1
	s_or_b32 exec_lo, exec_lo, vcc_hi
	s_delay_alu instid0(VALU_DEP_1) | instskip(SKIP_4) | instid1(VALU_DEP_2)
	v_cvt_f32_f16_e64 v28, v131
	s_waitcnt lgkmcnt(1)
	v_cvt_f32_f16_e64 v132, v128
	v_cmp_u_f16_e64 vcc_lo, v131, v131
	s_waitcnt lgkmcnt(0)
	v_min_f32_e32 v29, v28, v132
	v_max_f32_e32 v133, v28, v132
	s_delay_alu instid0(VALU_DEP_2) | instskip(NEXT) | instid1(VALU_DEP_2)
	v_cndmask_b32_e32 v29, v29, v28, vcc_lo
	v_cndmask_b32_e32 v28, v133, v28, vcc_lo
	v_cmp_u_f16_e64 vcc_lo, v128, v128
	s_delay_alu instid0(VALU_DEP_3) | instskip(NEXT) | instid1(VALU_DEP_3)
	v_cndmask_b32_e32 v29, v29, v132, vcc_lo
	v_cndmask_b32_e32 v28, v28, v132, vcc_lo
	s_delay_alu instid0(VALU_DEP_1) | instskip(SKIP_1) | instid1(VALU_DEP_1)
	v_cmp_neq_f32_e32 vcc_lo, v29, v28
	v_cmp_class_f32_e64 vcc_hi, v29, 0x1f8
	s_or_b32 vcc_lo, vcc_lo, vcc_hi
	s_delay_alu instid0(SALU_CYCLE_1) | instskip(NEXT) | instid1(SALU_CYCLE_1)
	s_and_saveexec_b32 vcc_hi, vcc_lo
	s_xor_b32 vcc_hi, exec_lo, vcc_hi
	s_cbranch_execz .LBB410_151
; %bb.180:                              ;   in Loop: Header=BB410_152 Depth=1
	v_sub_f32_e32 v29, v29, v28
	s_delay_alu instid0(VALU_DEP_1) | instskip(SKIP_1) | instid1(VALU_DEP_2)
	v_mul_f32_e32 v131, 0x3fb8aa3b, v29
	v_cmp_ngt_f32_e32 vcc_lo, 0xc2ce8ed0, v29
	v_fma_f32 v132, 0x3fb8aa3b, v29, -v131
	v_rndne_f32_e32 v133, v131
	s_delay_alu instid0(VALU_DEP_2) | instskip(NEXT) | instid1(VALU_DEP_2)
	v_fmac_f32_e32 v132, 0x32a5705f, v29
	v_sub_f32_e32 v131, v131, v133
	s_delay_alu instid0(VALU_DEP_1) | instskip(SKIP_1) | instid1(VALU_DEP_2)
	v_add_f32_e32 v131, v131, v132
	v_cvt_i32_f32_e32 v132, v133
	v_exp_f32_e32 v131, v131
	s_waitcnt_depctr 0xfff
	v_ldexp_f32 v131, v131, v132
	s_delay_alu instid0(VALU_DEP_1) | instskip(SKIP_1) | instid1(VALU_DEP_2)
	v_cndmask_b32_e32 v131, 0, v131, vcc_lo
	v_cmp_nlt_f32_e32 vcc_lo, 0x42b17218, v29
	v_cndmask_b32_e32 v29, 0x7f800000, v131, vcc_lo
	s_delay_alu instid0(VALU_DEP_1) | instskip(NEXT) | instid1(VALU_DEP_1)
	v_add_f32_e32 v133, 1.0, v29
	v_cvt_f64_f32_e32 v[131:132], v133
	s_delay_alu instid0(VALU_DEP_1) | instskip(SKIP_1) | instid1(VALU_DEP_1)
	v_frexp_exp_i32_f64_e32 v131, v[131:132]
	v_frexp_mant_f32_e32 v132, v133
	v_cmp_gt_f32_e32 vcc_lo, 0x3f2aaaab, v132
	v_add_f32_e32 v132, -1.0, v133
	s_delay_alu instid0(VALU_DEP_1) | instskip(NEXT) | instid1(VALU_DEP_1)
	v_dual_sub_f32 v135, v132, v133 :: v_dual_sub_f32 v132, v29, v132
	v_add_f32_e32 v135, 1.0, v135
	s_delay_alu instid0(VALU_DEP_1) | instskip(SKIP_1) | instid1(VALU_DEP_1)
	v_add_f32_e32 v132, v132, v135
	v_subrev_co_ci_u32_e32 v131, vcc_lo, 0, v131, vcc_lo
	v_sub_nc_u32_e32 v134, 0, v131
	v_cvt_f32_i32_e32 v131, v131
	s_delay_alu instid0(VALU_DEP_2) | instskip(SKIP_1) | instid1(VALU_DEP_2)
	v_ldexp_f32 v133, v133, v134
	v_ldexp_f32 v132, v132, v134
	v_add_f32_e32 v144, 1.0, v133
	v_add_f32_e32 v134, -1.0, v133
	v_cmp_eq_f32_e32 vcc_lo, 0x7f800000, v29
	v_cmp_gt_f32_e64 s31, 0x33800000, |v29|
	s_delay_alu instid0(VALU_DEP_4) | instskip(NEXT) | instid1(VALU_DEP_4)
	v_add_f32_e32 v135, -1.0, v144
	v_add_f32_e32 v145, 1.0, v134
	s_delay_alu instid0(VALU_DEP_3) | instskip(NEXT) | instid1(VALU_DEP_2)
	s_or_b32 vcc_lo, vcc_lo, s31
	v_sub_f32_e32 v135, v133, v135
	s_delay_alu instid0(VALU_DEP_2) | instskip(NEXT) | instid1(VALU_DEP_2)
	v_sub_f32_e32 v133, v133, v145
	v_add_f32_e32 v135, v132, v135
	s_delay_alu instid0(VALU_DEP_2) | instskip(NEXT) | instid1(VALU_DEP_1)
	v_add_f32_e32 v132, v132, v133
	v_add_f32_e32 v146, v134, v132
	s_delay_alu instid0(VALU_DEP_1) | instskip(NEXT) | instid1(VALU_DEP_1)
	v_dual_sub_f32 v134, v134, v146 :: v_dual_add_f32 v145, v144, v135
	v_add_f32_e32 v132, v132, v134
	s_delay_alu instid0(VALU_DEP_2) | instskip(SKIP_1) | instid1(VALU_DEP_1)
	v_rcp_f32_e32 v133, v145
	v_sub_f32_e32 v144, v144, v145
	v_add_f32_e32 v135, v135, v144
	s_waitcnt_depctr 0xfff
	v_mul_f32_e32 v147, v146, v133
	s_delay_alu instid0(VALU_DEP_1) | instskip(NEXT) | instid1(VALU_DEP_1)
	v_mul_f32_e32 v148, v145, v147
	v_fma_f32 v144, v147, v145, -v148
	s_delay_alu instid0(VALU_DEP_1) | instskip(NEXT) | instid1(VALU_DEP_1)
	v_fmac_f32_e32 v144, v147, v135
	v_add_f32_e32 v149, v148, v144
	s_delay_alu instid0(VALU_DEP_1) | instskip(SKIP_1) | instid1(VALU_DEP_2)
	v_sub_f32_e32 v150, v146, v149
	v_sub_f32_e32 v134, v149, v148
	v_sub_f32_e32 v146, v146, v150
	s_delay_alu instid0(VALU_DEP_1) | instskip(NEXT) | instid1(VALU_DEP_3)
	v_sub_f32_e32 v146, v146, v149
	v_sub_f32_e32 v134, v134, v144
	s_delay_alu instid0(VALU_DEP_2) | instskip(NEXT) | instid1(VALU_DEP_1)
	v_add_f32_e32 v132, v132, v146
	v_add_f32_e32 v132, v134, v132
	s_delay_alu instid0(VALU_DEP_1) | instskip(NEXT) | instid1(VALU_DEP_1)
	v_add_f32_e32 v134, v150, v132
	v_mul_f32_e32 v144, v133, v134
	s_delay_alu instid0(VALU_DEP_1) | instskip(NEXT) | instid1(VALU_DEP_1)
	v_dual_sub_f32 v149, v150, v134 :: v_dual_mul_f32 v146, v145, v144
	v_add_f32_e32 v132, v132, v149
	s_delay_alu instid0(VALU_DEP_2) | instskip(NEXT) | instid1(VALU_DEP_1)
	v_fma_f32 v145, v144, v145, -v146
	v_fmac_f32_e32 v145, v144, v135
	s_delay_alu instid0(VALU_DEP_1) | instskip(NEXT) | instid1(VALU_DEP_1)
	v_add_f32_e32 v135, v146, v145
	v_sub_f32_e32 v148, v134, v135
	s_delay_alu instid0(VALU_DEP_1) | instskip(NEXT) | instid1(VALU_DEP_1)
	v_sub_f32_e32 v134, v134, v148
	v_sub_f32_e32 v134, v134, v135
	s_delay_alu instid0(VALU_DEP_1) | instskip(SKIP_2) | instid1(VALU_DEP_1)
	v_add_f32_e32 v132, v132, v134
	v_add_f32_e32 v134, v147, v144
	v_sub_f32_e32 v146, v135, v146
	v_sub_f32_e32 v135, v146, v145
	s_delay_alu instid0(VALU_DEP_1) | instskip(NEXT) | instid1(VALU_DEP_1)
	v_dual_add_f32 v132, v135, v132 :: v_dual_sub_f32 v135, v134, v147
	v_add_f32_e32 v132, v148, v132
	s_delay_alu instid0(VALU_DEP_1) | instskip(NEXT) | instid1(VALU_DEP_1)
	v_dual_sub_f32 v135, v144, v135 :: v_dual_mul_f32 v132, v133, v132
	v_add_f32_e32 v132, v135, v132
	s_delay_alu instid0(VALU_DEP_1) | instskip(NEXT) | instid1(VALU_DEP_1)
	v_add_f32_e32 v133, v134, v132
	v_mul_f32_e32 v135, v133, v133
	s_delay_alu instid0(VALU_DEP_1) | instskip(SKIP_1) | instid1(VALU_DEP_2)
	v_fmaak_f32 v144, s30, v135, 0x3ecc95a3
	v_mul_f32_e32 v145, v133, v135
	v_fmaak_f32 v135, v135, v144, 0x3f2aaada
	v_ldexp_f32 v144, v133, 1
	s_delay_alu instid0(VALU_DEP_2) | instskip(SKIP_1) | instid1(VALU_DEP_2)
	v_mul_f32_e32 v135, v145, v135
	v_mul_f32_e32 v145, 0x3f317218, v131
	v_dual_sub_f32 v133, v133, v134 :: v_dual_add_f32 v134, v144, v135
	s_delay_alu instid0(VALU_DEP_1) | instskip(NEXT) | instid1(VALU_DEP_3)
	v_dual_sub_f32 v132, v132, v133 :: v_dual_sub_f32 v133, v134, v144
	v_fma_f32 v144, 0x3f317218, v131, -v145
	s_delay_alu instid0(VALU_DEP_2) | instskip(NEXT) | instid1(VALU_DEP_2)
	v_ldexp_f32 v132, v132, 1
	v_dual_sub_f32 v133, v135, v133 :: v_dual_fmac_f32 v144, 0xb102e308, v131
	s_delay_alu instid0(VALU_DEP_1) | instskip(NEXT) | instid1(VALU_DEP_1)
	v_dual_add_f32 v131, v132, v133 :: v_dual_add_f32 v132, v145, v144
	v_add_f32_e32 v133, v134, v131
	s_delay_alu instid0(VALU_DEP_1) | instskip(NEXT) | instid1(VALU_DEP_1)
	v_add_f32_e32 v135, v132, v133
	v_sub_f32_e32 v146, v135, v132
	s_delay_alu instid0(VALU_DEP_1) | instskip(SKIP_1) | instid1(VALU_DEP_1)
	v_sub_f32_e32 v147, v135, v146
	v_sub_f32_e32 v134, v133, v134
	;; [unrolled: 1-line block ×4, first 2 shown]
	s_delay_alu instid0(VALU_DEP_1) | instskip(NEXT) | instid1(VALU_DEP_1)
	v_dual_sub_f32 v133, v133, v146 :: v_dual_sub_f32 v144, v144, v145
	v_add_f32_e32 v134, v144, v131
	v_sub_f32_e32 v132, v132, v147
	s_delay_alu instid0(VALU_DEP_1) | instskip(NEXT) | instid1(VALU_DEP_3)
	v_add_f32_e32 v132, v133, v132
	v_sub_f32_e32 v133, v134, v144
	s_delay_alu instid0(VALU_DEP_1) | instskip(NEXT) | instid1(VALU_DEP_1)
	v_dual_sub_f32 v131, v131, v133 :: v_dual_add_f32 v132, v134, v132
	v_dual_sub_f32 v134, v134, v133 :: v_dual_add_f32 v145, v135, v132
	s_delay_alu instid0(VALU_DEP_1) | instskip(NEXT) | instid1(VALU_DEP_1)
	v_dual_sub_f32 v133, v145, v135 :: v_dual_sub_f32 v134, v144, v134
	v_dual_sub_f32 v132, v132, v133 :: v_dual_add_f32 v131, v131, v134
	s_delay_alu instid0(VALU_DEP_1) | instskip(NEXT) | instid1(VALU_DEP_1)
	v_add_f32_e32 v131, v131, v132
	v_add_f32_e32 v131, v145, v131
	s_delay_alu instid0(VALU_DEP_1) | instskip(NEXT) | instid1(VALU_DEP_1)
	v_cndmask_b32_e32 v29, v131, v29, vcc_lo
	v_add_f32_e32 v28, v28, v29
	s_delay_alu instid0(VALU_DEP_1)
	v_cvt_f16_f32_e64 v131, v28
	s_branch .LBB410_151
.LBB410_181:                            ;   in Loop: Header=BB410_152 Depth=1
                                        ; implicit-def: $vgpr131
                                        ; implicit-def: $vgpr113
	s_cbranch_execz .LBB410_152
; %bb.182:
	s_and_saveexec_b32 vcc_hi, s26
	s_cbranch_execz .LBB410_186
; %bb.183:
	v_cvt_f32_f16_e64 v26, v128
	v_cvt_f32_f16_e32 v27, v101
	v_cmp_u_f16_e64 vcc_lo, v128, v128
	s_delay_alu instid0(VALU_DEP_2) | instskip(NEXT) | instid1(VALU_DEP_1)
	v_min_f32_e32 v28, v26, v27
	v_dual_max_f32 v29, v26, v27 :: v_dual_cndmask_b32 v28, v28, v26
	s_delay_alu instid0(VALU_DEP_1) | instskip(SKIP_1) | instid1(VALU_DEP_3)
	v_cndmask_b32_e32 v26, v29, v26, vcc_lo
	v_cmp_u_f16_e32 vcc_lo, v101, v101
	v_cndmask_b32_e32 v28, v28, v27, vcc_lo
	s_delay_alu instid0(VALU_DEP_3) | instskip(NEXT) | instid1(VALU_DEP_2)
	v_dual_cndmask_b32 v26, v26, v27 :: v_dual_mov_b32 v27, v128
	v_cmp_class_f32_e64 s26, v28, 0x1f8
	s_delay_alu instid0(VALU_DEP_2) | instskip(NEXT) | instid1(VALU_DEP_2)
	v_cmp_neq_f32_e32 vcc_lo, v28, v26
	s_or_b32 vcc_lo, vcc_lo, s26
	s_delay_alu instid0(SALU_CYCLE_1)
	s_and_saveexec_b32 s26, vcc_lo
	s_cbranch_execz .LBB410_185
; %bb.184:
	v_sub_f32_e32 v27, v28, v26
	s_mov_b32 s30, 0x3e9b6dac
	s_delay_alu instid0(VALU_DEP_1) | instskip(SKIP_1) | instid1(VALU_DEP_2)
	v_mul_f32_e32 v28, 0x3fb8aa3b, v27
	v_cmp_ngt_f32_e32 vcc_lo, 0xc2ce8ed0, v27
	v_fma_f32 v29, 0x3fb8aa3b, v27, -v28
	v_rndne_f32_e32 v101, v28
	s_delay_alu instid0(VALU_DEP_1) | instskip(NEXT) | instid1(VALU_DEP_1)
	v_dual_fmamk_f32 v29, v27, 0x32a5705f, v29 :: v_dual_sub_f32 v28, v28, v101
	v_add_f32_e32 v28, v28, v29
	v_cvt_i32_f32_e32 v29, v101
	s_delay_alu instid0(VALU_DEP_2) | instskip(SKIP_2) | instid1(VALU_DEP_1)
	v_exp_f32_e32 v28, v28
	s_waitcnt_depctr 0xfff
	v_ldexp_f32 v28, v28, v29
	v_cndmask_b32_e32 v28, 0, v28, vcc_lo
	v_cmp_nlt_f32_e32 vcc_lo, 0x42b17218, v27
	s_delay_alu instid0(VALU_DEP_2) | instskip(NEXT) | instid1(VALU_DEP_1)
	v_cndmask_b32_e32 v29, 0x7f800000, v28, vcc_lo
	v_add_f32_e32 v101, 1.0, v29
	s_delay_alu instid0(VALU_DEP_1) | instskip(NEXT) | instid1(VALU_DEP_1)
	v_cvt_f64_f32_e32 v[27:28], v101
	v_frexp_exp_i32_f64_e32 v27, v[27:28]
	v_frexp_mant_f32_e32 v28, v101
	s_delay_alu instid0(VALU_DEP_1) | instskip(SKIP_1) | instid1(VALU_DEP_1)
	v_cmp_gt_f32_e32 vcc_lo, 0x3f2aaaab, v28
	v_add_f32_e32 v28, -1.0, v101
	v_dual_sub_f32 v103, v28, v101 :: v_dual_sub_f32 v28, v29, v28
	s_delay_alu instid0(VALU_DEP_1) | instskip(SKIP_2) | instid1(VALU_DEP_2)
	v_add_f32_e32 v103, 1.0, v103
	v_subrev_co_ci_u32_e32 v27, vcc_lo, 0, v27, vcc_lo
	v_cmp_eq_f32_e32 vcc_lo, 0x7f800000, v29
	v_sub_nc_u32_e32 v102, 0, v27
	v_cvt_f32_i32_e32 v27, v27
	s_delay_alu instid0(VALU_DEP_2) | instskip(NEXT) | instid1(VALU_DEP_1)
	v_ldexp_f32 v101, v101, v102
	v_add_f32_e32 v112, 1.0, v101
	s_delay_alu instid0(VALU_DEP_1) | instskip(NEXT) | instid1(VALU_DEP_1)
	v_dual_add_f32 v28, v28, v103 :: v_dual_add_f32 v103, -1.0, v112
	v_ldexp_f32 v28, v28, v102
	s_delay_alu instid0(VALU_DEP_2) | instskip(NEXT) | instid1(VALU_DEP_1)
	v_dual_sub_f32 v103, v101, v103 :: v_dual_add_f32 v102, -1.0, v101
	v_add_f32_e32 v103, v28, v103
	s_delay_alu instid0(VALU_DEP_2) | instskip(NEXT) | instid1(VALU_DEP_1)
	v_add_f32_e32 v113, 1.0, v102
	v_sub_f32_e32 v101, v101, v113
	s_delay_alu instid0(VALU_DEP_1) | instskip(NEXT) | instid1(VALU_DEP_1)
	v_add_f32_e32 v28, v28, v101
	v_dual_add_f32 v114, v102, v28 :: v_dual_add_f32 v113, v112, v103
	s_delay_alu instid0(VALU_DEP_1) | instskip(NEXT) | instid1(VALU_DEP_2)
	v_sub_f32_e32 v102, v102, v114
	v_rcp_f32_e32 v101, v113
	v_sub_f32_e32 v112, v112, v113
	s_delay_alu instid0(VALU_DEP_1) | instskip(SKIP_2) | instid1(VALU_DEP_1)
	v_dual_add_f32 v28, v28, v102 :: v_dual_add_f32 v103, v103, v112
	s_waitcnt_depctr 0xfff
	v_mul_f32_e32 v115, v114, v101
	v_mul_f32_e32 v116, v113, v115
	s_delay_alu instid0(VALU_DEP_1) | instskip(NEXT) | instid1(VALU_DEP_1)
	v_fma_f32 v112, v115, v113, -v116
	v_fmac_f32_e32 v112, v115, v103
	s_delay_alu instid0(VALU_DEP_1) | instskip(NEXT) | instid1(VALU_DEP_1)
	v_add_f32_e32 v117, v116, v112
	v_sub_f32_e32 v118, v114, v117
	s_delay_alu instid0(VALU_DEP_1) | instskip(SKIP_1) | instid1(VALU_DEP_2)
	v_sub_f32_e32 v114, v114, v118
	v_sub_f32_e32 v102, v117, v116
	;; [unrolled: 1-line block ×3, first 2 shown]
	s_delay_alu instid0(VALU_DEP_2) | instskip(NEXT) | instid1(VALU_DEP_2)
	v_sub_f32_e32 v102, v102, v112
	v_add_f32_e32 v28, v28, v114
	s_delay_alu instid0(VALU_DEP_1) | instskip(NEXT) | instid1(VALU_DEP_1)
	v_add_f32_e32 v28, v102, v28
	v_add_f32_e32 v102, v118, v28
	s_delay_alu instid0(VALU_DEP_1) | instskip(NEXT) | instid1(VALU_DEP_1)
	v_mul_f32_e32 v112, v101, v102
	v_dual_sub_f32 v117, v118, v102 :: v_dual_mul_f32 v114, v113, v112
	s_delay_alu instid0(VALU_DEP_1) | instskip(NEXT) | instid1(VALU_DEP_2)
	v_add_f32_e32 v28, v28, v117
	v_fma_f32 v113, v112, v113, -v114
	s_delay_alu instid0(VALU_DEP_1) | instskip(NEXT) | instid1(VALU_DEP_1)
	v_fmac_f32_e32 v113, v112, v103
	v_add_f32_e32 v103, v114, v113
	s_delay_alu instid0(VALU_DEP_1) | instskip(SKIP_1) | instid1(VALU_DEP_2)
	v_sub_f32_e32 v116, v102, v103
	v_sub_f32_e32 v114, v103, v114
	;; [unrolled: 1-line block ×3, first 2 shown]
	s_delay_alu instid0(VALU_DEP_1) | instskip(NEXT) | instid1(VALU_DEP_1)
	v_sub_f32_e32 v102, v102, v103
	v_dual_sub_f32 v103, v114, v113 :: v_dual_add_f32 v28, v28, v102
	v_add_f32_e32 v102, v115, v112
	s_delay_alu instid0(VALU_DEP_1) | instskip(NEXT) | instid1(VALU_DEP_1)
	v_dual_add_f32 v28, v103, v28 :: v_dual_sub_f32 v103, v102, v115
	v_add_f32_e32 v28, v116, v28
	s_delay_alu instid0(VALU_DEP_1) | instskip(NEXT) | instid1(VALU_DEP_1)
	v_dual_sub_f32 v103, v112, v103 :: v_dual_mul_f32 v28, v101, v28
	v_add_f32_e32 v28, v103, v28
	s_delay_alu instid0(VALU_DEP_1) | instskip(NEXT) | instid1(VALU_DEP_1)
	v_add_f32_e32 v101, v102, v28
	v_mul_f32_e32 v103, v101, v101
	s_delay_alu instid0(VALU_DEP_1) | instskip(SKIP_2) | instid1(VALU_DEP_3)
	v_fmaak_f32 v112, s30, v103, 0x3ecc95a3
	v_mul_f32_e32 v113, v101, v103
	v_cmp_gt_f32_e64 s30, 0x33800000, |v29|
	v_fmaak_f32 v103, v103, v112, 0x3f2aaada
	v_ldexp_f32 v112, v101, 1
	v_sub_f32_e32 v101, v101, v102
	s_delay_alu instid0(VALU_DEP_4) | instskip(NEXT) | instid1(VALU_DEP_3)
	s_or_b32 vcc_lo, vcc_lo, s30
	v_mul_f32_e32 v103, v113, v103
	s_delay_alu instid0(VALU_DEP_2) | instskip(NEXT) | instid1(VALU_DEP_2)
	v_dual_mul_f32 v113, 0x3f317218, v27 :: v_dual_sub_f32 v28, v28, v101
	v_add_f32_e32 v102, v112, v103
	s_delay_alu instid0(VALU_DEP_2) | instskip(NEXT) | instid1(VALU_DEP_2)
	v_ldexp_f32 v28, v28, 1
	v_sub_f32_e32 v101, v102, v112
	s_delay_alu instid0(VALU_DEP_4) | instskip(NEXT) | instid1(VALU_DEP_2)
	v_fma_f32 v112, 0x3f317218, v27, -v113
	v_sub_f32_e32 v101, v103, v101
	s_delay_alu instid0(VALU_DEP_1) | instskip(NEXT) | instid1(VALU_DEP_1)
	v_dual_fmamk_f32 v27, v27, 0xb102e308, v112 :: v_dual_add_f32 v28, v28, v101
	v_add_f32_e32 v101, v113, v27
	s_delay_alu instid0(VALU_DEP_2) | instskip(NEXT) | instid1(VALU_DEP_2)
	v_add_f32_e32 v103, v102, v28
	v_sub_f32_e32 v113, v101, v113
	s_delay_alu instid0(VALU_DEP_2) | instskip(SKIP_1) | instid1(VALU_DEP_3)
	v_add_f32_e32 v112, v101, v103
	v_sub_f32_e32 v102, v103, v102
	v_sub_f32_e32 v27, v27, v113
	s_delay_alu instid0(VALU_DEP_3) | instskip(NEXT) | instid1(VALU_DEP_3)
	v_sub_f32_e32 v114, v112, v101
	v_sub_f32_e32 v28, v28, v102
	s_delay_alu instid0(VALU_DEP_2) | instskip(SKIP_1) | instid1(VALU_DEP_3)
	v_sub_f32_e32 v115, v112, v114
	v_sub_f32_e32 v102, v103, v114
	v_add_f32_e32 v103, v27, v28
	s_delay_alu instid0(VALU_DEP_3) | instskip(NEXT) | instid1(VALU_DEP_1)
	v_sub_f32_e32 v101, v101, v115
	v_dual_add_f32 v101, v102, v101 :: v_dual_sub_f32 v102, v103, v27
	s_delay_alu instid0(VALU_DEP_1) | instskip(NEXT) | instid1(VALU_DEP_2)
	v_add_f32_e32 v101, v103, v101
	v_sub_f32_e32 v103, v103, v102
	v_sub_f32_e32 v28, v28, v102
	s_delay_alu instid0(VALU_DEP_3) | instskip(NEXT) | instid1(VALU_DEP_1)
	v_add_f32_e32 v113, v112, v101
	v_dual_sub_f32 v27, v27, v103 :: v_dual_sub_f32 v102, v113, v112
	s_delay_alu instid0(VALU_DEP_1) | instskip(NEXT) | instid1(VALU_DEP_1)
	v_dual_add_f32 v27, v28, v27 :: v_dual_sub_f32 v28, v101, v102
	v_add_f32_e32 v27, v27, v28
	s_delay_alu instid0(VALU_DEP_1) | instskip(NEXT) | instid1(VALU_DEP_1)
	v_add_f32_e32 v27, v113, v27
	v_cndmask_b32_e32 v27, v27, v29, vcc_lo
	s_delay_alu instid0(VALU_DEP_1) | instskip(NEXT) | instid1(VALU_DEP_1)
	v_add_f32_e32 v26, v26, v27
	v_cvt_f16_f32_e32 v27, v26
.LBB410_185:
	s_or_b32 exec_lo, exec_lo, s26
	s_add_i32 s30, s12, 32
	s_mov_b32 s31, 0
	s_delay_alu instid0(VALU_DEP_1) | instskip(SKIP_1) | instid1(SALU_CYCLE_1)
	v_and_b32_e32 v28, 0xffff, v27
	s_lshl_b64 s[30:31], s[30:31], 2
	v_add_co_u32 v26, vcc_lo, v14, s30
	v_add_co_ci_u32_e32 v27, vcc_lo, s31, v15, vcc_lo
	s_delay_alu instid0(VALU_DEP_3)
	v_or_b32_e32 v28, 0x20000, v28
	flat_store_b32 v[26:27], v28
.LBB410_186:
	s_or_b32 exec_lo, exec_lo, vcc_hi
	s_delay_alu instid0(SALU_CYCLE_1)
	s_and_b32 exec_lo, exec_lo, s25
	s_cbranch_execz .LBB410_188
; %bb.187:
	v_mov_b32_e32 v26, 0
	ds_store_b16 v26, v128
.LBB410_188:
	s_or_b32 exec_lo, exec_lo, s27
	v_mov_b32_e32 v26, 0
	s_waitcnt lgkmcnt(0)
	s_waitcnt_vscnt null, 0x0
	s_barrier
	buffer_gl0_inv
	ds_load_u16 v101, v26
	v_mov_b32_e32 v26, v12
	s_and_saveexec_b32 s12, s24
	s_cbranch_execz .LBB410_192
; %bb.189:
	v_cvt_f32_f16_e32 v27, v100
	v_max_f32_e32 v26, v99, v99
	v_cmp_u_f16_e32 vcc_lo, v100, v100
	s_delay_alu instid0(VALU_DEP_2) | instskip(SKIP_1) | instid1(VALU_DEP_2)
	v_min_f32_e32 v28, v27, v26
	v_max_f32_e32 v26, v27, v26
	v_cndmask_b32_e32 v28, v28, v27, vcc_lo
	s_delay_alu instid0(VALU_DEP_2) | instskip(NEXT) | instid1(VALU_DEP_2)
	v_cndmask_b32_e32 v26, v26, v27, vcc_lo
	v_cndmask_b32_e64 v28, v28, v99, s23
	s_delay_alu instid0(VALU_DEP_2) | instskip(NEXT) | instid1(VALU_DEP_2)
	v_cndmask_b32_e64 v26, v26, v99, s23
	v_cmp_class_f32_e64 s23, v28, 0x1f8
	s_delay_alu instid0(VALU_DEP_2) | instskip(NEXT) | instid1(VALU_DEP_2)
	v_cmp_neq_f32_e32 vcc_lo, v28, v26
	s_or_b32 s24, vcc_lo, s23
	s_delay_alu instid0(SALU_CYCLE_1)
	s_and_saveexec_b32 s23, s24
	s_cbranch_execz .LBB410_191
; %bb.190:
	v_sub_f32_e32 v27, v28, v26
	s_mov_b32 s24, 0x3e9b6dac
	s_delay_alu instid0(VALU_DEP_1) | instskip(SKIP_1) | instid1(VALU_DEP_2)
	v_mul_f32_e32 v28, 0x3fb8aa3b, v27
	v_cmp_ngt_f32_e32 vcc_lo, 0xc2ce8ed0, v27
	v_fma_f32 v29, 0x3fb8aa3b, v27, -v28
	v_rndne_f32_e32 v99, v28
	s_delay_alu instid0(VALU_DEP_1) | instskip(NEXT) | instid1(VALU_DEP_1)
	v_dual_fmamk_f32 v29, v27, 0x32a5705f, v29 :: v_dual_sub_f32 v28, v28, v99
	v_add_f32_e32 v28, v28, v29
	v_cvt_i32_f32_e32 v29, v99
	s_delay_alu instid0(VALU_DEP_2) | instskip(SKIP_2) | instid1(VALU_DEP_1)
	v_exp_f32_e32 v28, v28
	s_waitcnt_depctr 0xfff
	v_ldexp_f32 v28, v28, v29
	v_cndmask_b32_e32 v28, 0, v28, vcc_lo
	v_cmp_nlt_f32_e32 vcc_lo, 0x42b17218, v27
	s_delay_alu instid0(VALU_DEP_2) | instskip(NEXT) | instid1(VALU_DEP_1)
	v_cndmask_b32_e32 v29, 0x7f800000, v28, vcc_lo
	v_add_f32_e32 v99, 1.0, v29
	s_delay_alu instid0(VALU_DEP_1) | instskip(NEXT) | instid1(VALU_DEP_1)
	v_cvt_f64_f32_e32 v[27:28], v99
	v_frexp_exp_i32_f64_e32 v27, v[27:28]
	v_frexp_mant_f32_e32 v28, v99
	s_delay_alu instid0(VALU_DEP_1) | instskip(SKIP_1) | instid1(VALU_DEP_1)
	v_cmp_gt_f32_e32 vcc_lo, 0x3f2aaaab, v28
	v_add_f32_e32 v28, -1.0, v99
	v_sub_f32_e32 v102, v28, v99
	v_sub_f32_e32 v28, v29, v28
	s_delay_alu instid0(VALU_DEP_2) | instskip(SKIP_2) | instid1(VALU_DEP_2)
	v_add_f32_e32 v102, 1.0, v102
	v_subrev_co_ci_u32_e32 v27, vcc_lo, 0, v27, vcc_lo
	v_cmp_eq_f32_e32 vcc_lo, 0x7f800000, v29
	v_sub_nc_u32_e32 v100, 0, v27
	v_cvt_f32_i32_e32 v27, v27
	s_delay_alu instid0(VALU_DEP_2) | instskip(NEXT) | instid1(VALU_DEP_1)
	v_ldexp_f32 v99, v99, v100
	v_dual_add_f32 v103, 1.0, v99 :: v_dual_add_f32 v28, v28, v102
	s_delay_alu instid0(VALU_DEP_1) | instskip(NEXT) | instid1(VALU_DEP_2)
	v_add_f32_e32 v102, -1.0, v103
	v_ldexp_f32 v28, v28, v100
	v_add_f32_e32 v100, -1.0, v99
	s_delay_alu instid0(VALU_DEP_3) | instskip(NEXT) | instid1(VALU_DEP_2)
	v_sub_f32_e32 v102, v99, v102
	v_add_f32_e32 v112, 1.0, v100
	s_delay_alu instid0(VALU_DEP_1) | instskip(NEXT) | instid1(VALU_DEP_1)
	v_dual_add_f32 v102, v28, v102 :: v_dual_sub_f32 v99, v99, v112
	v_add_f32_e32 v112, v103, v102
	s_delay_alu instid0(VALU_DEP_2) | instskip(NEXT) | instid1(VALU_DEP_2)
	v_add_f32_e32 v28, v28, v99
	v_rcp_f32_e32 v99, v112
	v_sub_f32_e32 v103, v103, v112
	s_delay_alu instid0(VALU_DEP_1) | instskip(SKIP_2) | instid1(VALU_DEP_1)
	v_dual_add_f32 v113, v100, v28 :: v_dual_add_f32 v102, v102, v103
	s_waitcnt_depctr 0xfff
	v_mul_f32_e32 v114, v113, v99
	v_mul_f32_e32 v115, v112, v114
	s_delay_alu instid0(VALU_DEP_1) | instskip(NEXT) | instid1(VALU_DEP_1)
	v_fma_f32 v103, v114, v112, -v115
	v_dual_fmac_f32 v103, v114, v102 :: v_dual_sub_f32 v100, v100, v113
	s_delay_alu instid0(VALU_DEP_1) | instskip(NEXT) | instid1(VALU_DEP_2)
	v_add_f32_e32 v116, v115, v103
	v_add_f32_e32 v28, v28, v100
	s_delay_alu instid0(VALU_DEP_2) | instskip(NEXT) | instid1(VALU_DEP_1)
	v_dual_sub_f32 v117, v113, v116 :: v_dual_sub_f32 v100, v116, v115
	v_dual_sub_f32 v113, v113, v117 :: v_dual_sub_f32 v100, v100, v103
	s_delay_alu instid0(VALU_DEP_1) | instskip(NEXT) | instid1(VALU_DEP_1)
	v_sub_f32_e32 v113, v113, v116
	v_add_f32_e32 v28, v28, v113
	s_delay_alu instid0(VALU_DEP_1) | instskip(NEXT) | instid1(VALU_DEP_1)
	v_add_f32_e32 v28, v100, v28
	v_add_f32_e32 v100, v117, v28
	s_delay_alu instid0(VALU_DEP_1) | instskip(NEXT) | instid1(VALU_DEP_1)
	v_mul_f32_e32 v103, v99, v100
	v_dual_mul_f32 v113, v112, v103 :: v_dual_sub_f32 v116, v117, v100
	s_delay_alu instid0(VALU_DEP_1) | instskip(NEXT) | instid1(VALU_DEP_2)
	v_fma_f32 v112, v103, v112, -v113
	v_add_f32_e32 v28, v28, v116
	s_delay_alu instid0(VALU_DEP_2) | instskip(NEXT) | instid1(VALU_DEP_1)
	v_fmac_f32_e32 v112, v103, v102
	v_add_f32_e32 v102, v113, v112
	s_delay_alu instid0(VALU_DEP_1) | instskip(NEXT) | instid1(VALU_DEP_1)
	v_sub_f32_e32 v115, v100, v102
	v_dual_sub_f32 v113, v102, v113 :: v_dual_sub_f32 v100, v100, v115
	s_delay_alu instid0(VALU_DEP_1) | instskip(NEXT) | instid1(VALU_DEP_2)
	v_sub_f32_e32 v100, v100, v102
	v_sub_f32_e32 v102, v113, v112
	s_delay_alu instid0(VALU_DEP_2) | instskip(SKIP_1) | instid1(VALU_DEP_2)
	v_add_f32_e32 v28, v28, v100
	v_add_f32_e32 v100, v114, v103
	;; [unrolled: 1-line block ×3, first 2 shown]
	s_delay_alu instid0(VALU_DEP_2) | instskip(NEXT) | instid1(VALU_DEP_2)
	v_sub_f32_e32 v102, v100, v114
	v_add_f32_e32 v28, v115, v28
	s_delay_alu instid0(VALU_DEP_2) | instskip(NEXT) | instid1(VALU_DEP_2)
	v_sub_f32_e32 v102, v103, v102
	v_mul_f32_e32 v28, v99, v28
	s_delay_alu instid0(VALU_DEP_1) | instskip(NEXT) | instid1(VALU_DEP_1)
	v_add_f32_e32 v28, v102, v28
	v_add_f32_e32 v99, v100, v28
	s_delay_alu instid0(VALU_DEP_1) | instskip(NEXT) | instid1(VALU_DEP_1)
	v_mul_f32_e32 v102, v99, v99
	v_fmaak_f32 v103, s24, v102, 0x3ecc95a3
	v_mul_f32_e32 v112, v99, v102
	v_cmp_gt_f32_e64 s24, 0x33800000, |v29|
	s_delay_alu instid0(VALU_DEP_3) | instskip(SKIP_2) | instid1(VALU_DEP_4)
	v_fmaak_f32 v102, v102, v103, 0x3f2aaada
	v_ldexp_f32 v103, v99, 1
	v_sub_f32_e32 v99, v99, v100
	s_or_b32 vcc_lo, vcc_lo, s24
	s_delay_alu instid0(VALU_DEP_3) | instskip(SKIP_1) | instid1(VALU_DEP_3)
	v_mul_f32_e32 v102, v112, v102
	v_mul_f32_e32 v112, 0x3f317218, v27
	v_sub_f32_e32 v28, v28, v99
	s_delay_alu instid0(VALU_DEP_3) | instskip(NEXT) | instid1(VALU_DEP_2)
	v_add_f32_e32 v100, v103, v102
	v_ldexp_f32 v28, v28, 1
	s_delay_alu instid0(VALU_DEP_2) | instskip(SKIP_1) | instid1(VALU_DEP_2)
	v_sub_f32_e32 v99, v100, v103
	v_fma_f32 v103, 0x3f317218, v27, -v112
	v_sub_f32_e32 v99, v102, v99
	s_delay_alu instid0(VALU_DEP_1) | instskip(NEXT) | instid1(VALU_DEP_1)
	v_dual_fmamk_f32 v27, v27, 0xb102e308, v103 :: v_dual_add_f32 v28, v28, v99
	v_add_f32_e32 v99, v112, v27
	s_delay_alu instid0(VALU_DEP_2) | instskip(NEXT) | instid1(VALU_DEP_2)
	v_add_f32_e32 v102, v100, v28
	v_sub_f32_e32 v112, v99, v112
	s_delay_alu instid0(VALU_DEP_2) | instskip(NEXT) | instid1(VALU_DEP_2)
	v_dual_add_f32 v103, v99, v102 :: v_dual_sub_f32 v100, v102, v100
	v_sub_f32_e32 v27, v27, v112
	s_delay_alu instid0(VALU_DEP_2) | instskip(NEXT) | instid1(VALU_DEP_1)
	v_dual_sub_f32 v113, v103, v99 :: v_dual_sub_f32 v28, v28, v100
	v_sub_f32_e32 v114, v103, v113
	v_sub_f32_e32 v100, v102, v113
	s_delay_alu instid0(VALU_DEP_3) | instskip(NEXT) | instid1(VALU_DEP_3)
	v_add_f32_e32 v102, v27, v28
	v_sub_f32_e32 v99, v99, v114
	s_delay_alu instid0(VALU_DEP_1) | instskip(NEXT) | instid1(VALU_DEP_3)
	v_add_f32_e32 v99, v100, v99
	v_sub_f32_e32 v100, v102, v27
	s_delay_alu instid0(VALU_DEP_2) | instskip(NEXT) | instid1(VALU_DEP_2)
	v_add_f32_e32 v99, v102, v99
	v_sub_f32_e32 v102, v102, v100
	v_sub_f32_e32 v28, v28, v100
	s_delay_alu instid0(VALU_DEP_3) | instskip(NEXT) | instid1(VALU_DEP_1)
	v_add_f32_e32 v112, v103, v99
	v_dual_sub_f32 v27, v27, v102 :: v_dual_sub_f32 v100, v112, v103
	s_delay_alu instid0(VALU_DEP_1) | instskip(NEXT) | instid1(VALU_DEP_1)
	v_dual_add_f32 v27, v28, v27 :: v_dual_sub_f32 v28, v99, v100
	v_add_f32_e32 v27, v27, v28
	s_delay_alu instid0(VALU_DEP_1) | instskip(NEXT) | instid1(VALU_DEP_1)
	v_add_f32_e32 v27, v112, v27
	v_cndmask_b32_e32 v27, v27, v29, vcc_lo
	s_delay_alu instid0(VALU_DEP_1) | instskip(NEXT) | instid1(VALU_DEP_1)
	v_add_f32_e32 v26, v26, v27
	v_cvt_f16_f32_e32 v100, v26
	s_delay_alu instid0(VALU_DEP_1)
	v_cvt_f32_f16_e32 v27, v100
.LBB410_191:
	s_or_b32 exec_lo, exec_lo, s23
	s_delay_alu instid0(VALU_DEP_1)
	v_dual_mov_b32 v99, v27 :: v_dual_mov_b32 v26, v100
.LBB410_192:
	s_or_b32 exec_lo, exec_lo, s12
	s_waitcnt lgkmcnt(0)
	v_cvt_f32_f16_e32 v100, v101
	v_cmp_u_f16_e32 vcc_lo, v101, v101
	v_max_f32_e32 v27, v99, v99
	s_delay_alu instid0(VALU_DEP_1) | instskip(NEXT) | instid1(VALU_DEP_1)
	v_min_f32_e32 v28, v100, v27
	v_cndmask_b32_e32 v28, v28, v100, vcc_lo
	v_max_f32_e32 v27, v100, v27
	s_delay_alu instid0(VALU_DEP_1) | instskip(SKIP_1) | instid1(VALU_DEP_4)
	v_cndmask_b32_e32 v29, v27, v100, vcc_lo
	v_cmp_u_f16_e32 vcc_lo, v26, v26
	v_cndmask_b32_e32 v27, v28, v99, vcc_lo
	s_delay_alu instid0(VALU_DEP_3) | instskip(NEXT) | instid1(VALU_DEP_2)
	v_cndmask_b32_e32 v26, v29, v99, vcc_lo
	v_cmp_class_f32_e64 s12, v27, 0x1f8
	s_delay_alu instid0(VALU_DEP_2) | instskip(NEXT) | instid1(VALU_DEP_2)
	v_cmp_neq_f32_e32 vcc_lo, v27, v26
	s_or_b32 s23, vcc_lo, s12
	s_delay_alu instid0(SALU_CYCLE_1)
	s_and_saveexec_b32 s12, s23
	s_cbranch_execz .LBB410_194
; %bb.193:
	v_sub_f32_e32 v27, v27, v26
	s_mov_b32 s23, 0x3e9b6dac
	s_delay_alu instid0(VALU_DEP_1) | instskip(NEXT) | instid1(VALU_DEP_1)
	v_mul_f32_e32 v28, 0x3fb8aa3b, v27
	v_fma_f32 v29, 0x3fb8aa3b, v27, -v28
	v_rndne_f32_e32 v99, v28
	s_delay_alu instid0(VALU_DEP_1) | instskip(SKIP_1) | instid1(VALU_DEP_4)
	v_sub_f32_e32 v28, v28, v99
	v_cmp_ngt_f32_e32 vcc_lo, 0xc2ce8ed0, v27
	v_fmamk_f32 v29, v27, 0x32a5705f, v29
	s_delay_alu instid0(VALU_DEP_1) | instskip(SKIP_1) | instid1(VALU_DEP_2)
	v_add_f32_e32 v28, v28, v29
	v_cvt_i32_f32_e32 v29, v99
	v_exp_f32_e32 v28, v28
	s_waitcnt_depctr 0xfff
	v_ldexp_f32 v28, v28, v29
	s_delay_alu instid0(VALU_DEP_1) | instskip(SKIP_1) | instid1(VALU_DEP_2)
	v_cndmask_b32_e32 v28, 0, v28, vcc_lo
	v_cmp_nlt_f32_e32 vcc_lo, 0x42b17218, v27
	v_cndmask_b32_e32 v29, 0x7f800000, v28, vcc_lo
	s_delay_alu instid0(VALU_DEP_1) | instskip(NEXT) | instid1(VALU_DEP_1)
	v_add_f32_e32 v99, 1.0, v29
	v_cvt_f64_f32_e32 v[27:28], v99
	s_delay_alu instid0(VALU_DEP_1) | instskip(SKIP_1) | instid1(VALU_DEP_1)
	v_frexp_exp_i32_f64_e32 v27, v[27:28]
	v_frexp_mant_f32_e32 v28, v99
	v_cmp_gt_f32_e32 vcc_lo, 0x3f2aaaab, v28
	v_add_f32_e32 v28, -1.0, v99
	s_delay_alu instid0(VALU_DEP_1) | instskip(SKIP_2) | instid1(VALU_DEP_2)
	v_dual_sub_f32 v101, v28, v99 :: v_dual_sub_f32 v28, v29, v28
	v_subrev_co_ci_u32_e32 v27, vcc_lo, 0, v27, vcc_lo
	v_cmp_eq_f32_e32 vcc_lo, 0x7f800000, v29
	v_sub_nc_u32_e32 v100, 0, v27
	v_cvt_f32_i32_e32 v27, v27
	s_delay_alu instid0(VALU_DEP_2) | instskip(NEXT) | instid1(VALU_DEP_1)
	v_ldexp_f32 v99, v99, v100
	v_dual_add_f32 v101, 1.0, v101 :: v_dual_add_f32 v102, 1.0, v99
	s_delay_alu instid0(VALU_DEP_1) | instskip(NEXT) | instid1(VALU_DEP_1)
	v_dual_add_f32 v28, v28, v101 :: v_dual_add_f32 v101, -1.0, v102
	v_ldexp_f32 v28, v28, v100
	s_delay_alu instid0(VALU_DEP_2) | instskip(NEXT) | instid1(VALU_DEP_1)
	v_dual_add_f32 v100, -1.0, v99 :: v_dual_sub_f32 v101, v99, v101
	v_add_f32_e32 v103, 1.0, v100
	s_delay_alu instid0(VALU_DEP_2) | instskip(NEXT) | instid1(VALU_DEP_2)
	v_add_f32_e32 v101, v28, v101
	v_sub_f32_e32 v99, v99, v103
	s_delay_alu instid0(VALU_DEP_1) | instskip(NEXT) | instid1(VALU_DEP_1)
	v_dual_add_f32 v103, v102, v101 :: v_dual_add_f32 v28, v28, v99
	v_rcp_f32_e32 v99, v103
	v_sub_f32_e32 v102, v102, v103
	s_delay_alu instid0(VALU_DEP_1) | instskip(NEXT) | instid1(VALU_DEP_1)
	v_dual_add_f32 v112, v100, v28 :: v_dual_add_f32 v101, v101, v102
	v_sub_f32_e32 v100, v100, v112
	s_waitcnt_depctr 0xfff
	v_mul_f32_e32 v113, v112, v99
	v_add_f32_e32 v28, v28, v100
	s_delay_alu instid0(VALU_DEP_2) | instskip(NEXT) | instid1(VALU_DEP_1)
	v_mul_f32_e32 v114, v103, v113
	v_fma_f32 v102, v113, v103, -v114
	s_delay_alu instid0(VALU_DEP_1) | instskip(NEXT) | instid1(VALU_DEP_1)
	v_fmac_f32_e32 v102, v113, v101
	v_add_f32_e32 v115, v114, v102
	s_delay_alu instid0(VALU_DEP_1) | instskip(SKIP_1) | instid1(VALU_DEP_2)
	v_sub_f32_e32 v116, v112, v115
	v_sub_f32_e32 v100, v115, v114
	;; [unrolled: 1-line block ×3, first 2 shown]
	s_delay_alu instid0(VALU_DEP_2) | instskip(NEXT) | instid1(VALU_DEP_2)
	v_sub_f32_e32 v100, v100, v102
	v_sub_f32_e32 v112, v112, v115
	s_delay_alu instid0(VALU_DEP_1) | instskip(NEXT) | instid1(VALU_DEP_1)
	v_add_f32_e32 v28, v28, v112
	v_add_f32_e32 v28, v100, v28
	s_delay_alu instid0(VALU_DEP_1) | instskip(NEXT) | instid1(VALU_DEP_1)
	v_add_f32_e32 v100, v116, v28
	v_mul_f32_e32 v102, v99, v100
	s_delay_alu instid0(VALU_DEP_1) | instskip(NEXT) | instid1(VALU_DEP_1)
	v_mul_f32_e32 v112, v103, v102
	v_fma_f32 v103, v102, v103, -v112
	s_delay_alu instid0(VALU_DEP_1) | instskip(SKIP_1) | instid1(VALU_DEP_2)
	v_fmac_f32_e32 v103, v102, v101
	v_sub_f32_e32 v115, v116, v100
	v_add_f32_e32 v101, v112, v103
	s_delay_alu instid0(VALU_DEP_2) | instskip(NEXT) | instid1(VALU_DEP_2)
	v_add_f32_e32 v28, v28, v115
	v_sub_f32_e32 v114, v100, v101
	v_sub_f32_e32 v112, v101, v112
	s_delay_alu instid0(VALU_DEP_2) | instskip(NEXT) | instid1(VALU_DEP_1)
	v_sub_f32_e32 v100, v100, v114
	v_sub_f32_e32 v100, v100, v101
	s_delay_alu instid0(VALU_DEP_3) | instskip(NEXT) | instid1(VALU_DEP_2)
	v_sub_f32_e32 v101, v112, v103
	v_add_f32_e32 v28, v28, v100
	v_add_f32_e32 v100, v113, v102
	s_delay_alu instid0(VALU_DEP_1) | instskip(NEXT) | instid1(VALU_DEP_1)
	v_dual_add_f32 v28, v101, v28 :: v_dual_sub_f32 v101, v100, v113
	v_add_f32_e32 v28, v114, v28
	s_delay_alu instid0(VALU_DEP_1) | instskip(NEXT) | instid1(VALU_DEP_1)
	v_dual_sub_f32 v101, v102, v101 :: v_dual_mul_f32 v28, v99, v28
	v_add_f32_e32 v28, v101, v28
	s_delay_alu instid0(VALU_DEP_1) | instskip(NEXT) | instid1(VALU_DEP_1)
	v_add_f32_e32 v99, v100, v28
	v_mul_f32_e32 v101, v99, v99
	s_delay_alu instid0(VALU_DEP_1) | instskip(SKIP_2) | instid1(VALU_DEP_3)
	v_fmaak_f32 v102, s23, v101, 0x3ecc95a3
	v_mul_f32_e32 v103, v99, v101
	v_cmp_gt_f32_e64 s23, 0x33800000, |v29|
	v_fmaak_f32 v101, v101, v102, 0x3f2aaada
	v_ldexp_f32 v102, v99, 1
	v_sub_f32_e32 v99, v99, v100
	s_delay_alu instid0(VALU_DEP_4) | instskip(NEXT) | instid1(VALU_DEP_3)
	s_or_b32 vcc_lo, vcc_lo, s23
	v_mul_f32_e32 v101, v103, v101
	v_mul_f32_e32 v103, 0x3f317218, v27
	s_delay_alu instid0(VALU_DEP_3) | instskip(NEXT) | instid1(VALU_DEP_3)
	v_sub_f32_e32 v28, v28, v99
	v_add_f32_e32 v100, v102, v101
	s_delay_alu instid0(VALU_DEP_2) | instskip(NEXT) | instid1(VALU_DEP_2)
	v_ldexp_f32 v28, v28, 1
	v_sub_f32_e32 v99, v100, v102
	v_fma_f32 v102, 0x3f317218, v27, -v103
	s_delay_alu instid0(VALU_DEP_2) | instskip(NEXT) | instid1(VALU_DEP_1)
	v_sub_f32_e32 v99, v101, v99
	v_dual_fmamk_f32 v27, v27, 0xb102e308, v102 :: v_dual_add_f32 v28, v28, v99
	s_delay_alu instid0(VALU_DEP_1) | instskip(NEXT) | instid1(VALU_DEP_2)
	v_add_f32_e32 v99, v103, v27
	v_add_f32_e32 v101, v100, v28
	s_delay_alu instid0(VALU_DEP_2) | instskip(NEXT) | instid1(VALU_DEP_2)
	v_sub_f32_e32 v103, v99, v103
	v_add_f32_e32 v102, v99, v101
	s_delay_alu instid0(VALU_DEP_2) | instskip(NEXT) | instid1(VALU_DEP_2)
	v_sub_f32_e32 v27, v27, v103
	v_sub_f32_e32 v112, v102, v99
	;; [unrolled: 1-line block ×3, first 2 shown]
	s_delay_alu instid0(VALU_DEP_2) | instskip(NEXT) | instid1(VALU_DEP_2)
	v_sub_f32_e32 v113, v102, v112
	v_sub_f32_e32 v28, v28, v100
	s_delay_alu instid0(VALU_DEP_2) | instskip(NEXT) | instid1(VALU_DEP_2)
	v_dual_sub_f32 v100, v101, v112 :: v_dual_sub_f32 v99, v99, v113
	v_add_f32_e32 v101, v27, v28
	s_delay_alu instid0(VALU_DEP_2) | instskip(NEXT) | instid1(VALU_DEP_2)
	v_add_f32_e32 v99, v100, v99
	v_sub_f32_e32 v100, v101, v27
	s_delay_alu instid0(VALU_DEP_2) | instskip(NEXT) | instid1(VALU_DEP_2)
	v_add_f32_e32 v99, v101, v99
	v_sub_f32_e32 v101, v101, v100
	s_delay_alu instid0(VALU_DEP_2) | instskip(NEXT) | instid1(VALU_DEP_2)
	v_dual_sub_f32 v28, v28, v100 :: v_dual_add_f32 v103, v102, v99
	v_sub_f32_e32 v27, v27, v101
	s_delay_alu instid0(VALU_DEP_1) | instskip(NEXT) | instid1(VALU_DEP_1)
	v_dual_sub_f32 v100, v103, v102 :: v_dual_add_f32 v27, v28, v27
	v_sub_f32_e32 v28, v99, v100
	s_delay_alu instid0(VALU_DEP_1) | instskip(NEXT) | instid1(VALU_DEP_1)
	v_add_f32_e32 v27, v27, v28
	v_add_f32_e32 v27, v103, v27
	s_delay_alu instid0(VALU_DEP_1) | instskip(NEXT) | instid1(VALU_DEP_1)
	v_cndmask_b32_e32 v27, v27, v29, vcc_lo
	v_add_f32_e32 v26, v26, v27
	s_delay_alu instid0(VALU_DEP_1) | instskip(NEXT) | instid1(VALU_DEP_1)
	v_cvt_f16_f32_e32 v101, v26
	v_cvt_f32_f16_e32 v100, v101
.LBB410_194:
	s_or_b32 exec_lo, exec_lo, s12
	s_delay_alu instid0(VALU_DEP_1) | instskip(SKIP_1) | instid1(VALU_DEP_2)
	v_dual_max_f32 v26, v34, v34 :: v_dual_max_f32 v27, v100, v100
	v_cmp_u_f16_e32 vcc_lo, v101, v101
	v_dual_mov_b32 v99, v101 :: v_dual_min_f32 v28, v27, v26
	s_delay_alu instid0(VALU_DEP_1) | instskip(NEXT) | instid1(VALU_DEP_1)
	v_dual_max_f32 v26, v27, v26 :: v_dual_cndmask_b32 v27, v28, v100
	v_cndmask_b32_e32 v26, v26, v100, vcc_lo
	s_delay_alu instid0(VALU_DEP_2) | instskip(NEXT) | instid1(VALU_DEP_2)
	v_cndmask_b32_e64 v28, v27, v34, s1
	v_cndmask_b32_e64 v27, v26, v34, s1
	v_mov_b32_e32 v26, v101
	s_delay_alu instid0(VALU_DEP_3) | instskip(NEXT) | instid1(VALU_DEP_3)
	v_cmp_class_f32_e64 s1, v28, 0x1f8
	v_cmp_neq_f32_e32 vcc_lo, v28, v27
	s_delay_alu instid0(VALU_DEP_2) | instskip(NEXT) | instid1(SALU_CYCLE_1)
	s_or_b32 s12, vcc_lo, s1
	s_and_saveexec_b32 s1, s12
	s_cbranch_execz .LBB410_196
; %bb.195:
	v_sub_f32_e32 v26, v28, v27
	s_mov_b32 s12, 0x3e9b6dac
	s_delay_alu instid0(VALU_DEP_1) | instskip(SKIP_1) | instid1(VALU_DEP_2)
	v_mul_f32_e32 v28, 0x3fb8aa3b, v26
	v_cmp_ngt_f32_e32 vcc_lo, 0xc2ce8ed0, v26
	v_fma_f32 v29, 0x3fb8aa3b, v26, -v28
	v_rndne_f32_e32 v99, v28
	s_delay_alu instid0(VALU_DEP_1) | instskip(NEXT) | instid1(VALU_DEP_1)
	v_dual_fmamk_f32 v29, v26, 0x32a5705f, v29 :: v_dual_sub_f32 v28, v28, v99
	v_add_f32_e32 v28, v28, v29
	v_cvt_i32_f32_e32 v29, v99
	s_delay_alu instid0(VALU_DEP_2) | instskip(SKIP_2) | instid1(VALU_DEP_1)
	v_exp_f32_e32 v28, v28
	s_waitcnt_depctr 0xfff
	v_ldexp_f32 v28, v28, v29
	v_cndmask_b32_e32 v28, 0, v28, vcc_lo
	v_cmp_nlt_f32_e32 vcc_lo, 0x42b17218, v26
	s_delay_alu instid0(VALU_DEP_2) | instskip(NEXT) | instid1(VALU_DEP_1)
	v_cndmask_b32_e32 v26, 0x7f800000, v28, vcc_lo
	v_add_f32_e32 v99, 1.0, v26
	s_delay_alu instid0(VALU_DEP_1) | instskip(NEXT) | instid1(VALU_DEP_1)
	v_cvt_f64_f32_e32 v[28:29], v99
	v_frexp_exp_i32_f64_e32 v28, v[28:29]
	v_frexp_mant_f32_e32 v29, v99
	s_delay_alu instid0(VALU_DEP_1) | instskip(SKIP_1) | instid1(VALU_DEP_1)
	v_cmp_gt_f32_e32 vcc_lo, 0x3f2aaaab, v29
	v_add_f32_e32 v29, -1.0, v99
	v_sub_f32_e32 v102, v29, v99
	s_delay_alu instid0(VALU_DEP_1) | instskip(SKIP_1) | instid1(VALU_DEP_1)
	v_add_f32_e32 v102, 1.0, v102
	v_subrev_co_ci_u32_e32 v28, vcc_lo, 0, v28, vcc_lo
	v_sub_nc_u32_e32 v100, 0, v28
	v_cvt_f32_i32_e32 v28, v28
	s_delay_alu instid0(VALU_DEP_2) | instskip(NEXT) | instid1(VALU_DEP_1)
	v_ldexp_f32 v99, v99, v100
	v_add_f32_e32 v103, 1.0, v99
	v_sub_f32_e32 v29, v26, v29
	v_cmp_eq_f32_e32 vcc_lo, 0x7f800000, v26
	s_delay_alu instid0(VALU_DEP_2) | instskip(NEXT) | instid1(VALU_DEP_1)
	v_add_f32_e32 v29, v29, v102
	v_ldexp_f32 v29, v29, v100
	v_add_f32_e32 v100, -1.0, v99
	v_add_f32_e32 v102, -1.0, v103
	s_delay_alu instid0(VALU_DEP_2) | instskip(NEXT) | instid1(VALU_DEP_2)
	v_add_f32_e32 v112, 1.0, v100
	v_sub_f32_e32 v102, v99, v102
	s_delay_alu instid0(VALU_DEP_1) | instskip(NEXT) | instid1(VALU_DEP_1)
	v_dual_sub_f32 v99, v99, v112 :: v_dual_add_f32 v102, v29, v102
	v_dual_add_f32 v29, v29, v99 :: v_dual_add_f32 v112, v103, v102
	s_delay_alu instid0(VALU_DEP_1) | instskip(SKIP_1) | instid1(VALU_DEP_1)
	v_rcp_f32_e32 v99, v112
	v_sub_f32_e32 v103, v103, v112
	v_dual_add_f32 v113, v100, v29 :: v_dual_add_f32 v102, v102, v103
	s_delay_alu instid0(VALU_DEP_1) | instskip(SKIP_3) | instid1(VALU_DEP_2)
	v_sub_f32_e32 v100, v100, v113
	s_waitcnt_depctr 0xfff
	v_mul_f32_e32 v114, v113, v99
	v_add_f32_e32 v29, v29, v100
	v_mul_f32_e32 v115, v112, v114
	s_delay_alu instid0(VALU_DEP_1) | instskip(NEXT) | instid1(VALU_DEP_1)
	v_fma_f32 v103, v114, v112, -v115
	v_fmac_f32_e32 v103, v114, v102
	s_delay_alu instid0(VALU_DEP_1) | instskip(NEXT) | instid1(VALU_DEP_1)
	v_add_f32_e32 v116, v115, v103
	v_sub_f32_e32 v117, v113, v116
	s_delay_alu instid0(VALU_DEP_1) | instskip(NEXT) | instid1(VALU_DEP_1)
	v_sub_f32_e32 v113, v113, v117
	v_dual_sub_f32 v113, v113, v116 :: v_dual_sub_f32 v100, v116, v115
	s_delay_alu instid0(VALU_DEP_1) | instskip(NEXT) | instid1(VALU_DEP_1)
	v_dual_add_f32 v29, v29, v113 :: v_dual_sub_f32 v100, v100, v103
	v_add_f32_e32 v29, v100, v29
	s_delay_alu instid0(VALU_DEP_1) | instskip(NEXT) | instid1(VALU_DEP_1)
	v_add_f32_e32 v100, v117, v29
	v_mul_f32_e32 v103, v99, v100
	s_delay_alu instid0(VALU_DEP_1) | instskip(NEXT) | instid1(VALU_DEP_1)
	v_dual_mul_f32 v113, v112, v103 :: v_dual_sub_f32 v116, v117, v100
	v_fma_f32 v112, v103, v112, -v113
	s_delay_alu instid0(VALU_DEP_1) | instskip(NEXT) | instid1(VALU_DEP_1)
	v_dual_add_f32 v29, v29, v116 :: v_dual_fmac_f32 v112, v103, v102
	v_add_f32_e32 v102, v113, v112
	s_delay_alu instid0(VALU_DEP_1) | instskip(NEXT) | instid1(VALU_DEP_1)
	v_sub_f32_e32 v115, v100, v102
	v_dual_sub_f32 v113, v102, v113 :: v_dual_sub_f32 v100, v100, v115
	s_delay_alu instid0(VALU_DEP_1) | instskip(NEXT) | instid1(VALU_DEP_1)
	v_sub_f32_e32 v100, v100, v102
	v_dual_add_f32 v29, v29, v100 :: v_dual_add_f32 v100, v114, v103
	s_delay_alu instid0(VALU_DEP_3) | instskip(NEXT) | instid1(VALU_DEP_1)
	v_sub_f32_e32 v102, v113, v112
	v_dual_add_f32 v29, v102, v29 :: v_dual_sub_f32 v102, v100, v114
	s_delay_alu instid0(VALU_DEP_1) | instskip(NEXT) | instid1(VALU_DEP_2)
	v_add_f32_e32 v29, v115, v29
	v_sub_f32_e32 v102, v103, v102
	s_delay_alu instid0(VALU_DEP_2) | instskip(NEXT) | instid1(VALU_DEP_1)
	v_mul_f32_e32 v29, v99, v29
	v_add_f32_e32 v29, v102, v29
	s_delay_alu instid0(VALU_DEP_1) | instskip(NEXT) | instid1(VALU_DEP_1)
	v_add_f32_e32 v99, v100, v29
	v_mul_f32_e32 v102, v99, v99
	s_delay_alu instid0(VALU_DEP_1) | instskip(SKIP_2) | instid1(VALU_DEP_3)
	v_fmaak_f32 v103, s12, v102, 0x3ecc95a3
	v_mul_f32_e32 v112, v99, v102
	v_cmp_gt_f32_e64 s12, 0x33800000, |v26|
	v_fmaak_f32 v102, v102, v103, 0x3f2aaada
	v_ldexp_f32 v103, v99, 1
	v_sub_f32_e32 v99, v99, v100
	s_delay_alu instid0(VALU_DEP_4) | instskip(NEXT) | instid1(VALU_DEP_1)
	s_or_b32 vcc_lo, vcc_lo, s12
	v_sub_f32_e32 v29, v29, v99
	s_delay_alu instid0(VALU_DEP_1) | instskip(SKIP_1) | instid1(VALU_DEP_1)
	v_ldexp_f32 v29, v29, 1
	v_mul_f32_e32 v102, v112, v102
	v_add_f32_e32 v100, v103, v102
	s_delay_alu instid0(VALU_DEP_1) | instskip(NEXT) | instid1(VALU_DEP_1)
	v_sub_f32_e32 v99, v100, v103
	v_sub_f32_e32 v99, v102, v99
	s_delay_alu instid0(VALU_DEP_1) | instskip(NEXT) | instid1(VALU_DEP_1)
	v_add_f32_e32 v29, v29, v99
	v_add_f32_e32 v102, v100, v29
	v_mul_f32_e32 v112, 0x3f317218, v28
	s_delay_alu instid0(VALU_DEP_1) | instskip(NEXT) | instid1(VALU_DEP_1)
	v_fma_f32 v103, 0x3f317218, v28, -v112
	v_fmamk_f32 v28, v28, 0xb102e308, v103
	s_delay_alu instid0(VALU_DEP_1) | instskip(NEXT) | instid1(VALU_DEP_1)
	v_add_f32_e32 v99, v112, v28
	v_add_f32_e32 v103, v99, v102
	s_delay_alu instid0(VALU_DEP_1) | instskip(NEXT) | instid1(VALU_DEP_1)
	v_sub_f32_e32 v113, v103, v99
	v_sub_f32_e32 v114, v103, v113
	;; [unrolled: 1-line block ×3, first 2 shown]
	s_delay_alu instid0(VALU_DEP_1) | instskip(SKIP_1) | instid1(VALU_DEP_4)
	v_dual_sub_f32 v29, v29, v100 :: v_dual_sub_f32 v100, v102, v113
	v_sub_f32_e32 v112, v99, v112
	v_sub_f32_e32 v99, v99, v114
	s_delay_alu instid0(VALU_DEP_1) | instskip(NEXT) | instid1(VALU_DEP_3)
	v_add_f32_e32 v99, v100, v99
	v_sub_f32_e32 v28, v28, v112
	s_delay_alu instid0(VALU_DEP_1) | instskip(NEXT) | instid1(VALU_DEP_1)
	v_add_f32_e32 v102, v28, v29
	v_add_f32_e32 v99, v102, v99
	v_sub_f32_e32 v100, v102, v28
	s_delay_alu instid0(VALU_DEP_1) | instskip(SKIP_1) | instid1(VALU_DEP_2)
	v_dual_add_f32 v112, v103, v99 :: v_dual_sub_f32 v29, v29, v100
	v_sub_f32_e32 v102, v102, v100
	v_sub_f32_e32 v100, v112, v103
	s_delay_alu instid0(VALU_DEP_2) | instskip(NEXT) | instid1(VALU_DEP_1)
	v_sub_f32_e32 v28, v28, v102
	v_add_f32_e32 v28, v29, v28
	s_delay_alu instid0(VALU_DEP_3) | instskip(NEXT) | instid1(VALU_DEP_1)
	v_sub_f32_e32 v29, v99, v100
	v_add_f32_e32 v28, v28, v29
	s_delay_alu instid0(VALU_DEP_1) | instskip(NEXT) | instid1(VALU_DEP_1)
	v_add_f32_e32 v28, v112, v28
	v_cndmask_b32_e32 v26, v28, v26, vcc_lo
	s_delay_alu instid0(VALU_DEP_1) | instskip(NEXT) | instid1(VALU_DEP_1)
	v_add_f32_e32 v26, v27, v26
	v_cvt_f16_f32_e32 v99, v26
	s_delay_alu instid0(VALU_DEP_1)
	v_cvt_f32_f16_e32 v100, v99
	v_mov_b32_e32 v26, v99
.LBB410_196:
	s_or_b32 exec_lo, exec_lo, s1
	s_delay_alu instid0(VALU_DEP_2) | instskip(SKIP_1) | instid1(VALU_DEP_2)
	v_dual_max_f32 v27, v55, v55 :: v_dual_max_f32 v28, v100, v100
	v_cmp_u_f16_e32 vcc_lo, v99, v99
	v_min_f32_e32 v29, v28, v27
	s_delay_alu instid0(VALU_DEP_1) | instskip(NEXT) | instid1(VALU_DEP_1)
	v_dual_max_f32 v27, v28, v27 :: v_dual_cndmask_b32 v28, v29, v100
	v_cndmask_b32_e32 v27, v27, v100, vcc_lo
	s_delay_alu instid0(VALU_DEP_2) | instskip(NEXT) | instid1(VALU_DEP_2)
	v_cndmask_b32_e64 v29, v28, v55, s2
	v_cndmask_b32_e64 v28, v27, v55, s2
	v_mov_b32_e32 v27, v26
	s_delay_alu instid0(VALU_DEP_3) | instskip(NEXT) | instid1(VALU_DEP_3)
	v_cmp_class_f32_e64 s1, v29, 0x1f8
	v_cmp_neq_f32_e32 vcc_lo, v29, v28
	s_delay_alu instid0(VALU_DEP_2) | instskip(NEXT) | instid1(SALU_CYCLE_1)
	s_or_b32 s2, vcc_lo, s1
	s_and_saveexec_b32 s1, s2
	s_cbranch_execz .LBB410_198
; %bb.197:
	v_sub_f32_e32 v27, v29, v28
	s_mov_b32 s2, 0x3e9b6dac
	s_delay_alu instid0(VALU_DEP_1) | instskip(SKIP_1) | instid1(VALU_DEP_2)
	v_mul_f32_e32 v29, 0x3fb8aa3b, v27
	v_cmp_ngt_f32_e32 vcc_lo, 0xc2ce8ed0, v27
	v_fma_f32 v55, 0x3fb8aa3b, v27, -v29
	v_rndne_f32_e32 v99, v29
	s_delay_alu instid0(VALU_DEP_2) | instskip(NEXT) | instid1(VALU_DEP_2)
	v_fmamk_f32 v55, v27, 0x32a5705f, v55
	v_sub_f32_e32 v29, v29, v99
	s_delay_alu instid0(VALU_DEP_1) | instskip(SKIP_1) | instid1(VALU_DEP_2)
	v_add_f32_e32 v29, v29, v55
	v_cvt_i32_f32_e32 v55, v99
	v_exp_f32_e32 v29, v29
	s_waitcnt_depctr 0xfff
	v_ldexp_f32 v29, v29, v55
	s_delay_alu instid0(VALU_DEP_1) | instskip(SKIP_1) | instid1(VALU_DEP_2)
	v_cndmask_b32_e32 v29, 0, v29, vcc_lo
	v_cmp_nlt_f32_e32 vcc_lo, 0x42b17218, v27
	v_cndmask_b32_e32 v27, 0x7f800000, v29, vcc_lo
	s_delay_alu instid0(VALU_DEP_1) | instskip(NEXT) | instid1(VALU_DEP_1)
	v_add_f32_e32 v29, 1.0, v27
	v_cvt_f64_f32_e32 v[99:100], v29
	s_delay_alu instid0(VALU_DEP_1) | instskip(SKIP_1) | instid1(VALU_DEP_1)
	v_frexp_exp_i32_f64_e32 v55, v[99:100]
	v_frexp_mant_f32_e32 v99, v29
	v_cmp_gt_f32_e32 vcc_lo, 0x3f2aaaab, v99
	v_add_f32_e32 v99, -1.0, v29
	s_delay_alu instid0(VALU_DEP_1) | instskip(NEXT) | instid1(VALU_DEP_1)
	v_sub_f32_e32 v102, v99, v29
	v_add_f32_e32 v102, 1.0, v102
	v_subrev_co_ci_u32_e32 v55, vcc_lo, 0, v55, vcc_lo
	s_delay_alu instid0(VALU_DEP_1) | instskip(SKIP_1) | instid1(VALU_DEP_2)
	v_sub_nc_u32_e32 v100, 0, v55
	v_cvt_f32_i32_e32 v55, v55
	v_ldexp_f32 v29, v29, v100
	v_sub_f32_e32 v99, v27, v99
	s_delay_alu instid0(VALU_DEP_2) | instskip(NEXT) | instid1(VALU_DEP_1)
	v_add_f32_e32 v103, 1.0, v29
	v_dual_add_f32 v99, v99, v102 :: v_dual_add_f32 v102, -1.0, v103
	s_delay_alu instid0(VALU_DEP_1) | instskip(SKIP_1) | instid1(VALU_DEP_3)
	v_ldexp_f32 v99, v99, v100
	v_add_f32_e32 v100, -1.0, v29
	v_sub_f32_e32 v102, v29, v102
	v_cmp_eq_f32_e32 vcc_lo, 0x7f800000, v27
	s_delay_alu instid0(VALU_DEP_3) | instskip(NEXT) | instid1(VALU_DEP_1)
	v_add_f32_e32 v112, 1.0, v100
	v_dual_add_f32 v102, v99, v102 :: v_dual_sub_f32 v29, v29, v112
	s_delay_alu instid0(VALU_DEP_1) | instskip(NEXT) | instid1(VALU_DEP_2)
	v_add_f32_e32 v112, v103, v102
	v_add_f32_e32 v29, v99, v29
	s_delay_alu instid0(VALU_DEP_2) | instskip(NEXT) | instid1(VALU_DEP_1)
	v_rcp_f32_e32 v99, v112
	v_add_f32_e32 v113, v100, v29
	s_delay_alu instid0(VALU_DEP_1) | instskip(SKIP_3) | instid1(VALU_DEP_2)
	v_sub_f32_e32 v100, v100, v113
	s_waitcnt_depctr 0xfff
	v_dual_mul_f32 v114, v113, v99 :: v_dual_sub_f32 v103, v103, v112
	v_add_f32_e32 v29, v29, v100
	v_dual_mul_f32 v115, v112, v114 :: v_dual_add_f32 v102, v102, v103
	s_delay_alu instid0(VALU_DEP_1) | instskip(NEXT) | instid1(VALU_DEP_1)
	v_fma_f32 v103, v114, v112, -v115
	v_fmac_f32_e32 v103, v114, v102
	s_delay_alu instid0(VALU_DEP_1) | instskip(NEXT) | instid1(VALU_DEP_1)
	v_add_f32_e32 v116, v115, v103
	v_dual_sub_f32 v117, v113, v116 :: v_dual_sub_f32 v100, v116, v115
	s_delay_alu instid0(VALU_DEP_1) | instskip(NEXT) | instid1(VALU_DEP_1)
	v_dual_sub_f32 v113, v113, v117 :: v_dual_sub_f32 v100, v100, v103
	v_sub_f32_e32 v113, v113, v116
	s_delay_alu instid0(VALU_DEP_1) | instskip(NEXT) | instid1(VALU_DEP_1)
	v_add_f32_e32 v29, v29, v113
	v_add_f32_e32 v29, v100, v29
	s_delay_alu instid0(VALU_DEP_1) | instskip(NEXT) | instid1(VALU_DEP_1)
	v_add_f32_e32 v100, v117, v29
	v_mul_f32_e32 v103, v99, v100
	s_delay_alu instid0(VALU_DEP_1) | instskip(NEXT) | instid1(VALU_DEP_1)
	v_dual_sub_f32 v116, v117, v100 :: v_dual_mul_f32 v113, v112, v103
	v_fma_f32 v112, v103, v112, -v113
	s_delay_alu instid0(VALU_DEP_1) | instskip(NEXT) | instid1(VALU_DEP_1)
	v_fmac_f32_e32 v112, v103, v102
	v_add_f32_e32 v102, v113, v112
	s_delay_alu instid0(VALU_DEP_1) | instskip(NEXT) | instid1(VALU_DEP_1)
	v_sub_f32_e32 v115, v100, v102
	v_dual_sub_f32 v113, v102, v113 :: v_dual_sub_f32 v100, v100, v115
	s_delay_alu instid0(VALU_DEP_1) | instskip(NEXT) | instid1(VALU_DEP_2)
	v_sub_f32_e32 v100, v100, v102
	v_sub_f32_e32 v102, v113, v112
	v_add_f32_e32 v29, v29, v116
	s_delay_alu instid0(VALU_DEP_1) | instskip(NEXT) | instid1(VALU_DEP_1)
	v_dual_add_f32 v29, v29, v100 :: v_dual_add_f32 v100, v114, v103
	v_dual_add_f32 v29, v102, v29 :: v_dual_sub_f32 v102, v100, v114
	s_delay_alu instid0(VALU_DEP_1) | instskip(NEXT) | instid1(VALU_DEP_2)
	v_add_f32_e32 v29, v115, v29
	v_sub_f32_e32 v102, v103, v102
	s_delay_alu instid0(VALU_DEP_2) | instskip(NEXT) | instid1(VALU_DEP_1)
	v_mul_f32_e32 v29, v99, v29
	v_add_f32_e32 v29, v102, v29
	s_delay_alu instid0(VALU_DEP_1) | instskip(NEXT) | instid1(VALU_DEP_1)
	v_add_f32_e32 v99, v100, v29
	v_mul_f32_e32 v102, v99, v99
	s_delay_alu instid0(VALU_DEP_1) | instskip(SKIP_2) | instid1(VALU_DEP_3)
	v_fmaak_f32 v103, s2, v102, 0x3ecc95a3
	v_mul_f32_e32 v112, v99, v102
	v_cmp_gt_f32_e64 s2, 0x33800000, |v27|
	v_fmaak_f32 v102, v102, v103, 0x3f2aaada
	v_ldexp_f32 v103, v99, 1
	v_sub_f32_e32 v99, v99, v100
	s_delay_alu instid0(VALU_DEP_4) | instskip(NEXT) | instid1(VALU_DEP_3)
	s_or_b32 vcc_lo, vcc_lo, s2
	v_mul_f32_e32 v102, v112, v102
	v_mul_f32_e32 v112, 0x3f317218, v55
	s_delay_alu instid0(VALU_DEP_2) | instskip(NEXT) | instid1(VALU_DEP_1)
	v_dual_sub_f32 v29, v29, v99 :: v_dual_add_f32 v100, v103, v102
	v_ldexp_f32 v29, v29, 1
	s_delay_alu instid0(VALU_DEP_2) | instskip(NEXT) | instid1(VALU_DEP_4)
	v_sub_f32_e32 v99, v100, v103
	v_fma_f32 v103, 0x3f317218, v55, -v112
	s_delay_alu instid0(VALU_DEP_2) | instskip(NEXT) | instid1(VALU_DEP_2)
	v_sub_f32_e32 v99, v102, v99
	v_fmamk_f32 v55, v55, 0xb102e308, v103
	s_delay_alu instid0(VALU_DEP_2) | instskip(NEXT) | instid1(VALU_DEP_2)
	v_add_f32_e32 v29, v29, v99
	v_add_f32_e32 v99, v112, v55
	s_delay_alu instid0(VALU_DEP_2) | instskip(NEXT) | instid1(VALU_DEP_2)
	v_add_f32_e32 v102, v100, v29
	v_sub_f32_e32 v112, v99, v112
	s_delay_alu instid0(VALU_DEP_2) | instskip(NEXT) | instid1(VALU_DEP_2)
	v_dual_add_f32 v103, v99, v102 :: v_dual_sub_f32 v100, v102, v100
	v_sub_f32_e32 v55, v55, v112
	s_delay_alu instid0(VALU_DEP_2) | instskip(NEXT) | instid1(VALU_DEP_1)
	v_sub_f32_e32 v113, v103, v99
	v_dual_sub_f32 v29, v29, v100 :: v_dual_sub_f32 v114, v103, v113
	v_sub_f32_e32 v100, v102, v113
	s_delay_alu instid0(VALU_DEP_2) | instskip(NEXT) | instid1(VALU_DEP_3)
	v_add_f32_e32 v102, v55, v29
	v_sub_f32_e32 v99, v99, v114
	s_delay_alu instid0(VALU_DEP_1) | instskip(NEXT) | instid1(VALU_DEP_3)
	v_add_f32_e32 v99, v100, v99
	v_sub_f32_e32 v100, v102, v55
	s_delay_alu instid0(VALU_DEP_2) | instskip(NEXT) | instid1(VALU_DEP_2)
	v_add_f32_e32 v99, v102, v99
	v_sub_f32_e32 v102, v102, v100
	s_delay_alu instid0(VALU_DEP_2) | instskip(NEXT) | instid1(VALU_DEP_1)
	v_dual_sub_f32 v29, v29, v100 :: v_dual_add_f32 v112, v103, v99
	v_dual_sub_f32 v55, v55, v102 :: v_dual_sub_f32 v100, v112, v103
	s_delay_alu instid0(VALU_DEP_1) | instskip(NEXT) | instid1(VALU_DEP_2)
	v_add_f32_e32 v29, v29, v55
	v_sub_f32_e32 v55, v99, v100
	s_delay_alu instid0(VALU_DEP_1) | instskip(NEXT) | instid1(VALU_DEP_1)
	v_add_f32_e32 v29, v29, v55
	v_add_f32_e32 v29, v112, v29
	s_delay_alu instid0(VALU_DEP_1) | instskip(NEXT) | instid1(VALU_DEP_1)
	v_cndmask_b32_e32 v27, v29, v27, vcc_lo
	v_add_f32_e32 v27, v28, v27
	s_delay_alu instid0(VALU_DEP_1) | instskip(NEXT) | instid1(VALU_DEP_1)
	v_cvt_f16_f32_e32 v99, v27
	v_cvt_f32_f16_e32 v100, v99
	v_mov_b32_e32 v27, v99
.LBB410_198:
	s_or_b32 exec_lo, exec_lo, s1
	v_max_f32_e32 v28, v64, v64
	s_delay_alu instid0(VALU_DEP_3) | instskip(SKIP_1) | instid1(VALU_DEP_2)
	v_max_f32_e32 v29, v100, v100
	v_cmp_u_f16_e32 vcc_lo, v99, v99
	v_min_f32_e32 v55, v29, v28
	v_max_f32_e32 v28, v29, v28
	s_delay_alu instid0(VALU_DEP_2) | instskip(NEXT) | instid1(VALU_DEP_2)
	v_cndmask_b32_e32 v29, v55, v100, vcc_lo
	v_cndmask_b32_e32 v28, v28, v100, vcc_lo
	s_delay_alu instid0(VALU_DEP_2) | instskip(NEXT) | instid1(VALU_DEP_2)
	v_cndmask_b32_e64 v55, v29, v64, s3
	v_cndmask_b32_e64 v29, v28, v64, s3
	v_mov_b32_e32 v28, v27
	s_delay_alu instid0(VALU_DEP_3) | instskip(NEXT) | instid1(VALU_DEP_3)
	v_cmp_class_f32_e64 s1, v55, 0x1f8
	v_cmp_neq_f32_e32 vcc_lo, v55, v29
	s_delay_alu instid0(VALU_DEP_2) | instskip(NEXT) | instid1(SALU_CYCLE_1)
	s_or_b32 s2, vcc_lo, s1
	s_and_saveexec_b32 s1, s2
	s_cbranch_execz .LBB410_200
; %bb.199:
	v_sub_f32_e32 v28, v55, v29
	s_mov_b32 s2, 0x3e9b6dac
	s_delay_alu instid0(VALU_DEP_1) | instskip(SKIP_1) | instid1(VALU_DEP_2)
	v_mul_f32_e32 v55, 0x3fb8aa3b, v28
	v_cmp_ngt_f32_e32 vcc_lo, 0xc2ce8ed0, v28
	v_fma_f32 v64, 0x3fb8aa3b, v28, -v55
	v_rndne_f32_e32 v99, v55
	s_delay_alu instid0(VALU_DEP_1) | instskip(NEXT) | instid1(VALU_DEP_1)
	v_dual_fmamk_f32 v64, v28, 0x32a5705f, v64 :: v_dual_sub_f32 v55, v55, v99
	v_add_f32_e32 v55, v55, v64
	v_cvt_i32_f32_e32 v64, v99
	s_delay_alu instid0(VALU_DEP_2) | instskip(SKIP_2) | instid1(VALU_DEP_1)
	v_exp_f32_e32 v55, v55
	s_waitcnt_depctr 0xfff
	v_ldexp_f32 v55, v55, v64
	v_cndmask_b32_e32 v55, 0, v55, vcc_lo
	v_cmp_nlt_f32_e32 vcc_lo, 0x42b17218, v28
	s_delay_alu instid0(VALU_DEP_2) | instskip(NEXT) | instid1(VALU_DEP_1)
	v_cndmask_b32_e32 v28, 0x7f800000, v55, vcc_lo
	v_add_f32_e32 v55, 1.0, v28
	s_delay_alu instid0(VALU_DEP_1) | instskip(NEXT) | instid1(VALU_DEP_1)
	v_cvt_f64_f32_e32 v[99:100], v55
	v_frexp_exp_i32_f64_e32 v64, v[99:100]
	v_frexp_mant_f32_e32 v99, v55
	s_delay_alu instid0(VALU_DEP_1) | instskip(SKIP_1) | instid1(VALU_DEP_1)
	v_cmp_gt_f32_e32 vcc_lo, 0x3f2aaaab, v99
	v_add_f32_e32 v99, -1.0, v55
	v_sub_f32_e32 v102, v99, v55
	s_delay_alu instid0(VALU_DEP_1) | instskip(NEXT) | instid1(VALU_DEP_1)
	v_dual_sub_f32 v99, v28, v99 :: v_dual_add_f32 v102, 1.0, v102
	v_add_f32_e32 v99, v99, v102
	v_subrev_co_ci_u32_e32 v64, vcc_lo, 0, v64, vcc_lo
	v_cmp_eq_f32_e32 vcc_lo, 0x7f800000, v28
	s_delay_alu instid0(VALU_DEP_2) | instskip(SKIP_1) | instid1(VALU_DEP_2)
	v_sub_nc_u32_e32 v100, 0, v64
	v_cvt_f32_i32_e32 v64, v64
	v_ldexp_f32 v55, v55, v100
	v_ldexp_f32 v99, v99, v100
	s_delay_alu instid0(VALU_DEP_2) | instskip(NEXT) | instid1(VALU_DEP_1)
	v_add_f32_e32 v100, -1.0, v55
	v_dual_add_f32 v103, 1.0, v55 :: v_dual_add_f32 v112, 1.0, v100
	s_delay_alu instid0(VALU_DEP_1) | instskip(NEXT) | instid1(VALU_DEP_1)
	v_add_f32_e32 v102, -1.0, v103
	v_sub_f32_e32 v102, v55, v102
	s_delay_alu instid0(VALU_DEP_3) | instskip(NEXT) | instid1(VALU_DEP_2)
	v_sub_f32_e32 v55, v55, v112
	v_add_f32_e32 v102, v99, v102
	s_delay_alu instid0(VALU_DEP_2) | instskip(NEXT) | instid1(VALU_DEP_1)
	v_add_f32_e32 v55, v99, v55
	v_add_f32_e32 v113, v100, v55
	s_delay_alu instid0(VALU_DEP_1) | instskip(NEXT) | instid1(VALU_DEP_4)
	v_sub_f32_e32 v100, v100, v113
	v_add_f32_e32 v112, v103, v102
	s_delay_alu instid0(VALU_DEP_1) | instskip(SKIP_1) | instid1(VALU_DEP_1)
	v_rcp_f32_e32 v99, v112
	v_sub_f32_e32 v103, v103, v112
	v_add_f32_e32 v102, v102, v103
	s_waitcnt_depctr 0xfff
	v_mul_f32_e32 v114, v113, v99
	s_delay_alu instid0(VALU_DEP_1) | instskip(NEXT) | instid1(VALU_DEP_1)
	v_mul_f32_e32 v115, v112, v114
	v_fma_f32 v103, v114, v112, -v115
	s_delay_alu instid0(VALU_DEP_1) | instskip(SKIP_1) | instid1(VALU_DEP_2)
	v_fmac_f32_e32 v103, v114, v102
	v_add_f32_e32 v55, v55, v100
	v_add_f32_e32 v116, v115, v103
	s_delay_alu instid0(VALU_DEP_1) | instskip(NEXT) | instid1(VALU_DEP_1)
	v_dual_sub_f32 v117, v113, v116 :: v_dual_sub_f32 v100, v116, v115
	v_dual_sub_f32 v113, v113, v117 :: v_dual_sub_f32 v100, v100, v103
	s_delay_alu instid0(VALU_DEP_1) | instskip(NEXT) | instid1(VALU_DEP_1)
	v_sub_f32_e32 v113, v113, v116
	v_add_f32_e32 v55, v55, v113
	s_delay_alu instid0(VALU_DEP_1) | instskip(NEXT) | instid1(VALU_DEP_1)
	v_add_f32_e32 v55, v100, v55
	v_add_f32_e32 v100, v117, v55
	s_delay_alu instid0(VALU_DEP_1) | instskip(NEXT) | instid1(VALU_DEP_1)
	v_mul_f32_e32 v103, v99, v100
	v_dual_sub_f32 v116, v117, v100 :: v_dual_mul_f32 v113, v112, v103
	s_delay_alu instid0(VALU_DEP_1) | instskip(NEXT) | instid1(VALU_DEP_1)
	v_fma_f32 v112, v103, v112, -v113
	v_fmac_f32_e32 v112, v103, v102
	s_delay_alu instid0(VALU_DEP_1) | instskip(NEXT) | instid1(VALU_DEP_1)
	v_add_f32_e32 v102, v113, v112
	v_sub_f32_e32 v115, v100, v102
	s_delay_alu instid0(VALU_DEP_1) | instskip(NEXT) | instid1(VALU_DEP_1)
	v_dual_sub_f32 v113, v102, v113 :: v_dual_sub_f32 v100, v100, v115
	v_sub_f32_e32 v100, v100, v102
	s_delay_alu instid0(VALU_DEP_2) | instskip(SKIP_1) | instid1(VALU_DEP_1)
	v_sub_f32_e32 v102, v113, v112
	v_add_f32_e32 v55, v55, v116
	v_dual_add_f32 v55, v55, v100 :: v_dual_add_f32 v100, v114, v103
	s_delay_alu instid0(VALU_DEP_1) | instskip(NEXT) | instid1(VALU_DEP_1)
	v_dual_add_f32 v55, v102, v55 :: v_dual_sub_f32 v102, v100, v114
	v_add_f32_e32 v55, v115, v55
	s_delay_alu instid0(VALU_DEP_2) | instskip(NEXT) | instid1(VALU_DEP_2)
	v_sub_f32_e32 v102, v103, v102
	v_mul_f32_e32 v55, v99, v55
	s_delay_alu instid0(VALU_DEP_1) | instskip(NEXT) | instid1(VALU_DEP_1)
	v_add_f32_e32 v55, v102, v55
	v_add_f32_e32 v99, v100, v55
	s_delay_alu instid0(VALU_DEP_1) | instskip(NEXT) | instid1(VALU_DEP_1)
	v_mul_f32_e32 v102, v99, v99
	v_fmaak_f32 v103, s2, v102, 0x3ecc95a3
	v_mul_f32_e32 v112, v99, v102
	v_cmp_gt_f32_e64 s2, 0x33800000, |v28|
	s_delay_alu instid0(VALU_DEP_3) | instskip(SKIP_2) | instid1(VALU_DEP_4)
	v_fmaak_f32 v102, v102, v103, 0x3f2aaada
	v_ldexp_f32 v103, v99, 1
	v_sub_f32_e32 v99, v99, v100
	s_or_b32 vcc_lo, vcc_lo, s2
	s_delay_alu instid0(VALU_DEP_3) | instskip(SKIP_1) | instid1(VALU_DEP_2)
	v_mul_f32_e32 v102, v112, v102
	v_mul_f32_e32 v112, 0x3f317218, v64
	v_add_f32_e32 v100, v103, v102
	v_sub_f32_e32 v55, v55, v99
	s_delay_alu instid0(VALU_DEP_2) | instskip(NEXT) | instid1(VALU_DEP_4)
	v_sub_f32_e32 v99, v100, v103
	v_fma_f32 v103, 0x3f317218, v64, -v112
	s_delay_alu instid0(VALU_DEP_1) | instskip(NEXT) | instid1(VALU_DEP_4)
	v_fmamk_f32 v64, v64, 0xb102e308, v103
	v_ldexp_f32 v55, v55, 1
	s_delay_alu instid0(VALU_DEP_4) | instskip(NEXT) | instid1(VALU_DEP_1)
	v_sub_f32_e32 v99, v102, v99
	v_add_f32_e32 v55, v55, v99
	s_delay_alu instid0(VALU_DEP_4) | instskip(NEXT) | instid1(VALU_DEP_2)
	v_add_f32_e32 v99, v112, v64
	v_add_f32_e32 v102, v100, v55
	s_delay_alu instid0(VALU_DEP_2) | instskip(NEXT) | instid1(VALU_DEP_2)
	v_sub_f32_e32 v112, v99, v112
	v_sub_f32_e32 v100, v102, v100
	s_delay_alu instid0(VALU_DEP_2) | instskip(NEXT) | instid1(VALU_DEP_2)
	v_sub_f32_e32 v64, v64, v112
	v_sub_f32_e32 v55, v55, v100
	v_add_f32_e32 v103, v99, v102
	s_delay_alu instid0(VALU_DEP_1) | instskip(NEXT) | instid1(VALU_DEP_1)
	v_sub_f32_e32 v113, v103, v99
	v_sub_f32_e32 v100, v102, v113
	s_delay_alu instid0(VALU_DEP_4) | instskip(SKIP_1) | instid1(VALU_DEP_1)
	v_add_f32_e32 v102, v64, v55
	v_sub_f32_e32 v114, v103, v113
	v_sub_f32_e32 v99, v99, v114
	s_delay_alu instid0(VALU_DEP_1) | instskip(NEXT) | instid1(VALU_DEP_1)
	v_dual_add_f32 v99, v100, v99 :: v_dual_sub_f32 v100, v102, v64
	v_add_f32_e32 v99, v102, v99
	s_delay_alu instid0(VALU_DEP_2) | instskip(NEXT) | instid1(VALU_DEP_2)
	v_sub_f32_e32 v102, v102, v100
	v_add_f32_e32 v112, v103, v99
	s_delay_alu instid0(VALU_DEP_2) | instskip(NEXT) | instid1(VALU_DEP_1)
	v_dual_sub_f32 v64, v64, v102 :: v_dual_sub_f32 v55, v55, v100
	v_dual_sub_f32 v100, v112, v103 :: v_dual_add_f32 v55, v55, v64
	s_delay_alu instid0(VALU_DEP_1) | instskip(NEXT) | instid1(VALU_DEP_1)
	v_sub_f32_e32 v64, v99, v100
	v_add_f32_e32 v55, v55, v64
	s_delay_alu instid0(VALU_DEP_1) | instskip(NEXT) | instid1(VALU_DEP_1)
	v_add_f32_e32 v55, v112, v55
	v_cndmask_b32_e32 v28, v55, v28, vcc_lo
	s_delay_alu instid0(VALU_DEP_1) | instskip(NEXT) | instid1(VALU_DEP_1)
	v_add_f32_e32 v28, v29, v28
	v_cvt_f16_f32_e32 v99, v28
	s_delay_alu instid0(VALU_DEP_1)
	v_cvt_f32_f16_e32 v100, v99
	v_mov_b32_e32 v28, v99
.LBB410_200:
	s_or_b32 exec_lo, exec_lo, s1
	v_max_f32_e32 v29, v65, v65
	s_delay_alu instid0(VALU_DEP_3) | instskip(SKIP_1) | instid1(VALU_DEP_2)
	v_max_f32_e32 v55, v100, v100
	v_cmp_u_f16_e32 vcc_lo, v99, v99
	v_min_f32_e32 v64, v55, v29
	v_max_f32_e32 v29, v55, v29
	s_delay_alu instid0(VALU_DEP_1) | instskip(NEXT) | instid1(VALU_DEP_3)
	v_cndmask_b32_e32 v29, v29, v100, vcc_lo
	v_cndmask_b32_e32 v55, v64, v100, vcc_lo
	s_delay_alu instid0(VALU_DEP_1) | instskip(NEXT) | instid1(VALU_DEP_3)
	v_cndmask_b32_e64 v64, v55, v65, s4
	v_cndmask_b32_e64 v55, v29, v65, s4
	v_mov_b32_e32 v29, v28
	s_delay_alu instid0(VALU_DEP_3) | instskip(NEXT) | instid1(VALU_DEP_3)
	v_cmp_class_f32_e64 s1, v64, 0x1f8
	v_cmp_neq_f32_e32 vcc_lo, v64, v55
	s_delay_alu instid0(VALU_DEP_2) | instskip(NEXT) | instid1(SALU_CYCLE_1)
	s_or_b32 s2, vcc_lo, s1
	s_and_saveexec_b32 s1, s2
	s_cbranch_execz .LBB410_202
; %bb.201:
	v_sub_f32_e32 v29, v64, v55
	s_mov_b32 s2, 0x3e9b6dac
	s_delay_alu instid0(VALU_DEP_1) | instskip(SKIP_1) | instid1(VALU_DEP_2)
	v_mul_f32_e32 v64, 0x3fb8aa3b, v29
	v_cmp_ngt_f32_e32 vcc_lo, 0xc2ce8ed0, v29
	v_fma_f32 v65, 0x3fb8aa3b, v29, -v64
	v_rndne_f32_e32 v99, v64
	s_delay_alu instid0(VALU_DEP_1) | instskip(NEXT) | instid1(VALU_DEP_1)
	v_dual_fmamk_f32 v65, v29, 0x32a5705f, v65 :: v_dual_sub_f32 v64, v64, v99
	v_add_f32_e32 v64, v64, v65
	v_cvt_i32_f32_e32 v65, v99
	s_delay_alu instid0(VALU_DEP_2) | instskip(SKIP_2) | instid1(VALU_DEP_1)
	v_exp_f32_e32 v64, v64
	s_waitcnt_depctr 0xfff
	v_ldexp_f32 v64, v64, v65
	v_cndmask_b32_e32 v64, 0, v64, vcc_lo
	v_cmp_nlt_f32_e32 vcc_lo, 0x42b17218, v29
	s_delay_alu instid0(VALU_DEP_2) | instskip(NEXT) | instid1(VALU_DEP_1)
	v_cndmask_b32_e32 v29, 0x7f800000, v64, vcc_lo
	v_add_f32_e32 v99, 1.0, v29
	s_delay_alu instid0(VALU_DEP_1) | instskip(NEXT) | instid1(VALU_DEP_1)
	v_cvt_f64_f32_e32 v[64:65], v99
	v_frexp_exp_i32_f64_e32 v64, v[64:65]
	v_frexp_mant_f32_e32 v65, v99
	s_delay_alu instid0(VALU_DEP_1) | instskip(SKIP_1) | instid1(VALU_DEP_1)
	v_cmp_gt_f32_e32 vcc_lo, 0x3f2aaaab, v65
	v_add_f32_e32 v65, -1.0, v99
	v_sub_f32_e32 v102, v65, v99
	s_delay_alu instid0(VALU_DEP_1) | instskip(SKIP_2) | instid1(VALU_DEP_2)
	v_add_f32_e32 v102, 1.0, v102
	v_subrev_co_ci_u32_e32 v64, vcc_lo, 0, v64, vcc_lo
	v_cmp_eq_f32_e32 vcc_lo, 0x7f800000, v29
	v_sub_nc_u32_e32 v100, 0, v64
	v_cvt_f32_i32_e32 v64, v64
	s_delay_alu instid0(VALU_DEP_2) | instskip(NEXT) | instid1(VALU_DEP_1)
	v_ldexp_f32 v99, v99, v100
	v_add_f32_e32 v103, 1.0, v99
	v_sub_f32_e32 v65, v29, v65
	s_delay_alu instid0(VALU_DEP_1) | instskip(NEXT) | instid1(VALU_DEP_1)
	v_dual_add_f32 v65, v65, v102 :: v_dual_add_f32 v102, -1.0, v103
	v_ldexp_f32 v65, v65, v100
	v_add_f32_e32 v100, -1.0, v99
	s_delay_alu instid0(VALU_DEP_3) | instskip(NEXT) | instid1(VALU_DEP_2)
	v_sub_f32_e32 v102, v99, v102
	v_add_f32_e32 v112, 1.0, v100
	s_delay_alu instid0(VALU_DEP_1) | instskip(NEXT) | instid1(VALU_DEP_1)
	v_dual_add_f32 v102, v65, v102 :: v_dual_sub_f32 v99, v99, v112
	v_add_f32_e32 v65, v65, v99
	s_delay_alu instid0(VALU_DEP_1) | instskip(NEXT) | instid1(VALU_DEP_1)
	v_dual_add_f32 v113, v100, v65 :: v_dual_add_f32 v112, v103, v102
	v_sub_f32_e32 v100, v100, v113
	s_delay_alu instid0(VALU_DEP_2) | instskip(SKIP_1) | instid1(VALU_DEP_1)
	v_rcp_f32_e32 v99, v112
	v_sub_f32_e32 v103, v103, v112
	v_add_f32_e32 v102, v102, v103
	s_waitcnt_depctr 0xfff
	v_mul_f32_e32 v114, v113, v99
	s_delay_alu instid0(VALU_DEP_1) | instskip(NEXT) | instid1(VALU_DEP_1)
	v_mul_f32_e32 v115, v112, v114
	v_fma_f32 v103, v114, v112, -v115
	s_delay_alu instid0(VALU_DEP_1) | instskip(NEXT) | instid1(VALU_DEP_1)
	v_fmac_f32_e32 v103, v114, v102
	v_add_f32_e32 v116, v115, v103
	s_delay_alu instid0(VALU_DEP_1) | instskip(NEXT) | instid1(VALU_DEP_1)
	v_sub_f32_e32 v117, v113, v116
	v_sub_f32_e32 v113, v113, v117
	v_dual_add_f32 v65, v65, v100 :: v_dual_sub_f32 v100, v116, v115
	s_delay_alu instid0(VALU_DEP_1) | instskip(NEXT) | instid1(VALU_DEP_1)
	v_dual_sub_f32 v113, v113, v116 :: v_dual_sub_f32 v100, v100, v103
	v_add_f32_e32 v65, v65, v113
	s_delay_alu instid0(VALU_DEP_1) | instskip(NEXT) | instid1(VALU_DEP_1)
	v_add_f32_e32 v65, v100, v65
	v_add_f32_e32 v100, v117, v65
	s_delay_alu instid0(VALU_DEP_1) | instskip(NEXT) | instid1(VALU_DEP_1)
	v_mul_f32_e32 v103, v99, v100
	v_dual_mul_f32 v113, v112, v103 :: v_dual_sub_f32 v116, v117, v100
	s_delay_alu instid0(VALU_DEP_1) | instskip(NEXT) | instid1(VALU_DEP_1)
	v_fma_f32 v112, v103, v112, -v113
	v_fmac_f32_e32 v112, v103, v102
	s_delay_alu instid0(VALU_DEP_1) | instskip(NEXT) | instid1(VALU_DEP_1)
	v_add_f32_e32 v102, v113, v112
	v_sub_f32_e32 v115, v100, v102
	s_delay_alu instid0(VALU_DEP_1) | instskip(NEXT) | instid1(VALU_DEP_1)
	v_dual_sub_f32 v100, v100, v115 :: v_dual_add_f32 v65, v65, v116
	v_sub_f32_e32 v100, v100, v102
	s_delay_alu instid0(VALU_DEP_1) | instskip(SKIP_1) | instid1(VALU_DEP_1)
	v_dual_add_f32 v65, v65, v100 :: v_dual_add_f32 v100, v114, v103
	v_sub_f32_e32 v113, v102, v113
	v_sub_f32_e32 v102, v113, v112
	s_delay_alu instid0(VALU_DEP_1) | instskip(NEXT) | instid1(VALU_DEP_1)
	v_dual_add_f32 v65, v102, v65 :: v_dual_sub_f32 v102, v100, v114
	v_sub_f32_e32 v102, v103, v102
	s_delay_alu instid0(VALU_DEP_2) | instskip(NEXT) | instid1(VALU_DEP_1)
	v_add_f32_e32 v65, v115, v65
	v_mul_f32_e32 v65, v99, v65
	s_delay_alu instid0(VALU_DEP_1) | instskip(NEXT) | instid1(VALU_DEP_1)
	v_add_f32_e32 v65, v102, v65
	v_add_f32_e32 v99, v100, v65
	s_delay_alu instid0(VALU_DEP_1) | instskip(NEXT) | instid1(VALU_DEP_1)
	v_mul_f32_e32 v102, v99, v99
	v_fmaak_f32 v103, s2, v102, 0x3ecc95a3
	v_mul_f32_e32 v112, v99, v102
	v_cmp_gt_f32_e64 s2, 0x33800000, |v29|
	s_delay_alu instid0(VALU_DEP_3) | instskip(SKIP_2) | instid1(VALU_DEP_4)
	v_fmaak_f32 v102, v102, v103, 0x3f2aaada
	v_ldexp_f32 v103, v99, 1
	v_sub_f32_e32 v99, v99, v100
	s_or_b32 vcc_lo, vcc_lo, s2
	s_delay_alu instid0(VALU_DEP_1) | instskip(NEXT) | instid1(VALU_DEP_1)
	v_sub_f32_e32 v65, v65, v99
	v_ldexp_f32 v65, v65, 1
	v_mul_f32_e32 v102, v112, v102
	s_delay_alu instid0(VALU_DEP_1) | instskip(NEXT) | instid1(VALU_DEP_1)
	v_add_f32_e32 v100, v103, v102
	v_dual_mul_f32 v112, 0x3f317218, v64 :: v_dual_sub_f32 v99, v100, v103
	s_delay_alu instid0(VALU_DEP_1) | instskip(NEXT) | instid1(VALU_DEP_1)
	v_fma_f32 v103, 0x3f317218, v64, -v112
	v_dual_sub_f32 v99, v102, v99 :: v_dual_fmamk_f32 v64, v64, 0xb102e308, v103
	s_delay_alu instid0(VALU_DEP_1) | instskip(NEXT) | instid1(VALU_DEP_1)
	v_add_f32_e32 v65, v65, v99
	v_add_f32_e32 v102, v100, v65
	s_delay_alu instid0(VALU_DEP_3) | instskip(NEXT) | instid1(VALU_DEP_1)
	v_add_f32_e32 v99, v112, v64
	v_dual_sub_f32 v100, v102, v100 :: v_dual_add_f32 v103, v99, v102
	s_delay_alu instid0(VALU_DEP_1) | instskip(NEXT) | instid1(VALU_DEP_2)
	v_sub_f32_e32 v65, v65, v100
	v_sub_f32_e32 v113, v103, v99
	s_delay_alu instid0(VALU_DEP_1) | instskip(SKIP_1) | instid1(VALU_DEP_1)
	v_sub_f32_e32 v100, v102, v113
	v_sub_f32_e32 v112, v99, v112
	v_sub_f32_e32 v64, v64, v112
	v_sub_f32_e32 v114, v103, v113
	s_delay_alu instid0(VALU_DEP_1) | instskip(NEXT) | instid1(VALU_DEP_1)
	v_dual_add_f32 v102, v64, v65 :: v_dual_sub_f32 v99, v99, v114
	v_dual_add_f32 v99, v100, v99 :: v_dual_sub_f32 v100, v102, v64
	s_delay_alu instid0(VALU_DEP_1) | instskip(NEXT) | instid1(VALU_DEP_2)
	v_add_f32_e32 v99, v102, v99
	v_sub_f32_e32 v102, v102, v100
	s_delay_alu instid0(VALU_DEP_1) | instskip(NEXT) | instid1(VALU_DEP_3)
	v_sub_f32_e32 v64, v64, v102
	v_dual_add_f32 v112, v103, v99 :: v_dual_sub_f32 v65, v65, v100
	s_delay_alu instid0(VALU_DEP_1) | instskip(NEXT) | instid1(VALU_DEP_2)
	v_sub_f32_e32 v100, v112, v103
	v_add_f32_e32 v64, v65, v64
	s_delay_alu instid0(VALU_DEP_2) | instskip(NEXT) | instid1(VALU_DEP_1)
	v_sub_f32_e32 v65, v99, v100
	v_add_f32_e32 v64, v64, v65
	s_delay_alu instid0(VALU_DEP_1) | instskip(NEXT) | instid1(VALU_DEP_1)
	v_add_f32_e32 v64, v112, v64
	v_cndmask_b32_e32 v29, v64, v29, vcc_lo
	s_delay_alu instid0(VALU_DEP_1) | instskip(NEXT) | instid1(VALU_DEP_1)
	v_add_f32_e32 v29, v55, v29
	v_cvt_f16_f32_e32 v99, v29
	s_delay_alu instid0(VALU_DEP_1)
	v_mov_b32_e32 v29, v99
	v_cvt_f32_f16_e32 v100, v99
.LBB410_202:
	s_or_b32 exec_lo, exec_lo, s1
	s_delay_alu instid0(VALU_DEP_1) | instskip(SKIP_1) | instid1(VALU_DEP_2)
	v_dual_max_f32 v55, v66, v66 :: v_dual_max_f32 v64, v100, v100
	v_cmp_u_f16_e32 vcc_lo, v99, v99
	v_min_f32_e32 v65, v64, v55
	s_delay_alu instid0(VALU_DEP_1) | instskip(NEXT) | instid1(VALU_DEP_1)
	v_dual_max_f32 v55, v64, v55 :: v_dual_cndmask_b32 v64, v65, v100
	v_cndmask_b32_e32 v55, v55, v100, vcc_lo
	s_delay_alu instid0(VALU_DEP_2) | instskip(NEXT) | instid1(VALU_DEP_2)
	v_cndmask_b32_e64 v65, v64, v66, s5
	v_cndmask_b32_e64 v64, v55, v66, s5
	v_mov_b32_e32 v55, v29
	s_delay_alu instid0(VALU_DEP_3) | instskip(NEXT) | instid1(VALU_DEP_3)
	v_cmp_class_f32_e64 s1, v65, 0x1f8
	v_cmp_neq_f32_e32 vcc_lo, v65, v64
	s_delay_alu instid0(VALU_DEP_2) | instskip(NEXT) | instid1(SALU_CYCLE_1)
	s_or_b32 s2, vcc_lo, s1
	s_and_saveexec_b32 s1, s2
	s_cbranch_execz .LBB410_204
; %bb.203:
	v_sub_f32_e32 v55, v65, v64
	s_mov_b32 s2, 0x3e9b6dac
	s_delay_alu instid0(VALU_DEP_1) | instskip(SKIP_1) | instid1(VALU_DEP_2)
	v_mul_f32_e32 v65, 0x3fb8aa3b, v55
	v_cmp_ngt_f32_e32 vcc_lo, 0xc2ce8ed0, v55
	v_fma_f32 v66, 0x3fb8aa3b, v55, -v65
	v_rndne_f32_e32 v99, v65
	s_delay_alu instid0(VALU_DEP_1) | instskip(NEXT) | instid1(VALU_DEP_1)
	v_dual_fmamk_f32 v66, v55, 0x32a5705f, v66 :: v_dual_sub_f32 v65, v65, v99
	v_add_f32_e32 v65, v65, v66
	v_cvt_i32_f32_e32 v66, v99
	s_delay_alu instid0(VALU_DEP_2) | instskip(SKIP_2) | instid1(VALU_DEP_1)
	v_exp_f32_e32 v65, v65
	s_waitcnt_depctr 0xfff
	v_ldexp_f32 v65, v65, v66
	v_cndmask_b32_e32 v65, 0, v65, vcc_lo
	v_cmp_nlt_f32_e32 vcc_lo, 0x42b17218, v55
	s_delay_alu instid0(VALU_DEP_2) | instskip(NEXT) | instid1(VALU_DEP_1)
	v_cndmask_b32_e32 v55, 0x7f800000, v65, vcc_lo
	v_add_f32_e32 v99, 1.0, v55
	s_delay_alu instid0(VALU_DEP_1) | instskip(NEXT) | instid1(VALU_DEP_1)
	v_cvt_f64_f32_e32 v[65:66], v99
	v_frexp_exp_i32_f64_e32 v65, v[65:66]
	v_frexp_mant_f32_e32 v66, v99
	s_delay_alu instid0(VALU_DEP_1) | instskip(SKIP_1) | instid1(VALU_DEP_1)
	v_cmp_gt_f32_e32 vcc_lo, 0x3f2aaaab, v66
	v_add_f32_e32 v66, -1.0, v99
	v_sub_f32_e32 v102, v66, v99
	v_sub_f32_e32 v66, v55, v66
	s_delay_alu instid0(VALU_DEP_2) | instskip(NEXT) | instid1(VALU_DEP_1)
	v_add_f32_e32 v102, 1.0, v102
	v_add_f32_e32 v66, v66, v102
	v_subrev_co_ci_u32_e32 v65, vcc_lo, 0, v65, vcc_lo
	v_cmp_eq_f32_e32 vcc_lo, 0x7f800000, v55
	s_delay_alu instid0(VALU_DEP_2) | instskip(SKIP_1) | instid1(VALU_DEP_2)
	v_sub_nc_u32_e32 v100, 0, v65
	v_cvt_f32_i32_e32 v65, v65
	v_ldexp_f32 v99, v99, v100
	v_ldexp_f32 v66, v66, v100
	s_delay_alu instid0(VALU_DEP_2) | instskip(SKIP_1) | instid1(VALU_DEP_1)
	v_add_f32_e32 v103, 1.0, v99
	v_add_f32_e32 v100, -1.0, v99
	v_add_f32_e32 v112, 1.0, v100
	s_delay_alu instid0(VALU_DEP_3) | instskip(NEXT) | instid1(VALU_DEP_1)
	v_add_f32_e32 v102, -1.0, v103
	v_sub_f32_e32 v102, v99, v102
	s_delay_alu instid0(VALU_DEP_1) | instskip(NEXT) | instid1(VALU_DEP_1)
	v_dual_sub_f32 v99, v99, v112 :: v_dual_add_f32 v102, v66, v102
	v_add_f32_e32 v112, v103, v102
	s_delay_alu instid0(VALU_DEP_2) | instskip(NEXT) | instid1(VALU_DEP_2)
	v_add_f32_e32 v66, v66, v99
	v_rcp_f32_e32 v99, v112
	v_sub_f32_e32 v103, v103, v112
	s_delay_alu instid0(VALU_DEP_1) | instskip(NEXT) | instid1(VALU_DEP_1)
	v_dual_add_f32 v113, v100, v66 :: v_dual_add_f32 v102, v102, v103
	v_sub_f32_e32 v100, v100, v113
	s_waitcnt_depctr 0xfff
	v_mul_f32_e32 v114, v113, v99
	s_delay_alu instid0(VALU_DEP_1) | instskip(NEXT) | instid1(VALU_DEP_1)
	v_mul_f32_e32 v115, v112, v114
	v_fma_f32 v103, v114, v112, -v115
	s_delay_alu instid0(VALU_DEP_1) | instskip(NEXT) | instid1(VALU_DEP_1)
	v_fmac_f32_e32 v103, v114, v102
	v_add_f32_e32 v116, v115, v103
	s_delay_alu instid0(VALU_DEP_1) | instskip(NEXT) | instid1(VALU_DEP_1)
	v_sub_f32_e32 v117, v113, v116
	v_dual_sub_f32 v113, v113, v117 :: v_dual_add_f32 v66, v66, v100
	s_delay_alu instid0(VALU_DEP_1) | instskip(NEXT) | instid1(VALU_DEP_1)
	v_dual_sub_f32 v100, v116, v115 :: v_dual_sub_f32 v113, v113, v116
	v_sub_f32_e32 v100, v100, v103
	s_delay_alu instid0(VALU_DEP_2) | instskip(NEXT) | instid1(VALU_DEP_1)
	v_add_f32_e32 v66, v66, v113
	v_add_f32_e32 v66, v100, v66
	s_delay_alu instid0(VALU_DEP_1) | instskip(NEXT) | instid1(VALU_DEP_1)
	v_add_f32_e32 v100, v117, v66
	v_mul_f32_e32 v103, v99, v100
	s_delay_alu instid0(VALU_DEP_1) | instskip(NEXT) | instid1(VALU_DEP_1)
	v_dual_sub_f32 v116, v117, v100 :: v_dual_mul_f32 v113, v112, v103
	v_add_f32_e32 v66, v66, v116
	s_delay_alu instid0(VALU_DEP_2) | instskip(NEXT) | instid1(VALU_DEP_1)
	v_fma_f32 v112, v103, v112, -v113
	v_fmac_f32_e32 v112, v103, v102
	s_delay_alu instid0(VALU_DEP_1) | instskip(NEXT) | instid1(VALU_DEP_1)
	v_add_f32_e32 v102, v113, v112
	v_sub_f32_e32 v115, v100, v102
	s_delay_alu instid0(VALU_DEP_1) | instskip(NEXT) | instid1(VALU_DEP_1)
	v_dual_sub_f32 v113, v102, v113 :: v_dual_sub_f32 v100, v100, v115
	v_sub_f32_e32 v100, v100, v102
	s_delay_alu instid0(VALU_DEP_2) | instskip(NEXT) | instid1(VALU_DEP_2)
	v_sub_f32_e32 v102, v113, v112
	v_add_f32_e32 v66, v66, v100
	v_add_f32_e32 v100, v114, v103
	s_delay_alu instid0(VALU_DEP_2) | instskip(NEXT) | instid1(VALU_DEP_2)
	v_add_f32_e32 v66, v102, v66
	v_sub_f32_e32 v102, v100, v114
	s_delay_alu instid0(VALU_DEP_2) | instskip(NEXT) | instid1(VALU_DEP_2)
	v_add_f32_e32 v66, v115, v66
	v_sub_f32_e32 v102, v103, v102
	s_delay_alu instid0(VALU_DEP_2) | instskip(NEXT) | instid1(VALU_DEP_1)
	v_mul_f32_e32 v66, v99, v66
	v_add_f32_e32 v66, v102, v66
	s_delay_alu instid0(VALU_DEP_1) | instskip(NEXT) | instid1(VALU_DEP_1)
	v_add_f32_e32 v99, v100, v66
	v_mul_f32_e32 v102, v99, v99
	s_delay_alu instid0(VALU_DEP_1) | instskip(SKIP_2) | instid1(VALU_DEP_3)
	v_fmaak_f32 v103, s2, v102, 0x3ecc95a3
	v_mul_f32_e32 v112, v99, v102
	v_cmp_gt_f32_e64 s2, 0x33800000, |v55|
	v_fmaak_f32 v102, v102, v103, 0x3f2aaada
	v_ldexp_f32 v103, v99, 1
	v_sub_f32_e32 v99, v99, v100
	s_delay_alu instid0(VALU_DEP_4) | instskip(NEXT) | instid1(VALU_DEP_3)
	s_or_b32 vcc_lo, vcc_lo, s2
	v_mul_f32_e32 v102, v112, v102
	v_mul_f32_e32 v112, 0x3f317218, v65
	s_delay_alu instid0(VALU_DEP_3) | instskip(NEXT) | instid1(VALU_DEP_3)
	v_sub_f32_e32 v66, v66, v99
	v_add_f32_e32 v100, v103, v102
	s_delay_alu instid0(VALU_DEP_2) | instskip(NEXT) | instid1(VALU_DEP_2)
	v_ldexp_f32 v66, v66, 1
	v_sub_f32_e32 v99, v100, v103
	v_fma_f32 v103, 0x3f317218, v65, -v112
	s_delay_alu instid0(VALU_DEP_2) | instskip(NEXT) | instid1(VALU_DEP_1)
	v_sub_f32_e32 v99, v102, v99
	v_dual_fmamk_f32 v65, v65, 0xb102e308, v103 :: v_dual_add_f32 v66, v66, v99
	s_delay_alu instid0(VALU_DEP_1) | instskip(NEXT) | instid1(VALU_DEP_2)
	v_add_f32_e32 v99, v112, v65
	v_add_f32_e32 v102, v100, v66
	s_delay_alu instid0(VALU_DEP_2) | instskip(NEXT) | instid1(VALU_DEP_2)
	v_sub_f32_e32 v112, v99, v112
	v_dual_add_f32 v103, v99, v102 :: v_dual_sub_f32 v100, v102, v100
	s_delay_alu instid0(VALU_DEP_2) | instskip(NEXT) | instid1(VALU_DEP_2)
	v_sub_f32_e32 v65, v65, v112
	v_dual_sub_f32 v113, v103, v99 :: v_dual_sub_f32 v66, v66, v100
	s_delay_alu instid0(VALU_DEP_1) | instskip(SKIP_1) | instid1(VALU_DEP_3)
	v_sub_f32_e32 v114, v103, v113
	v_sub_f32_e32 v100, v102, v113
	v_add_f32_e32 v102, v65, v66
	s_delay_alu instid0(VALU_DEP_3) | instskip(NEXT) | instid1(VALU_DEP_1)
	v_sub_f32_e32 v99, v99, v114
	v_dual_add_f32 v99, v100, v99 :: v_dual_sub_f32 v100, v102, v65
	s_delay_alu instid0(VALU_DEP_1) | instskip(NEXT) | instid1(VALU_DEP_2)
	v_add_f32_e32 v99, v102, v99
	v_sub_f32_e32 v102, v102, v100
	v_sub_f32_e32 v66, v66, v100
	s_delay_alu instid0(VALU_DEP_2) | instskip(NEXT) | instid1(VALU_DEP_1)
	v_dual_add_f32 v112, v103, v99 :: v_dual_sub_f32 v65, v65, v102
	v_dual_sub_f32 v100, v112, v103 :: v_dual_add_f32 v65, v66, v65
	s_delay_alu instid0(VALU_DEP_1) | instskip(NEXT) | instid1(VALU_DEP_1)
	v_sub_f32_e32 v66, v99, v100
	v_add_f32_e32 v65, v65, v66
	s_delay_alu instid0(VALU_DEP_1) | instskip(NEXT) | instid1(VALU_DEP_1)
	v_add_f32_e32 v65, v112, v65
	v_cndmask_b32_e32 v55, v65, v55, vcc_lo
	s_delay_alu instid0(VALU_DEP_1) | instskip(NEXT) | instid1(VALU_DEP_1)
	v_add_f32_e32 v55, v64, v55
	v_cvt_f16_f32_e32 v99, v55
	s_delay_alu instid0(VALU_DEP_1)
	v_cvt_f32_f16_e32 v100, v99
	v_mov_b32_e32 v55, v99
.LBB410_204:
	s_or_b32 exec_lo, exec_lo, s1
	s_delay_alu instid0(VALU_DEP_2) | instskip(SKIP_1) | instid1(VALU_DEP_2)
	v_dual_max_f32 v64, v67, v67 :: v_dual_max_f32 v65, v100, v100
	v_cmp_u_f16_e32 vcc_lo, v99, v99
	v_min_f32_e32 v66, v65, v64
	v_max_f32_e32 v64, v65, v64
	s_delay_alu instid0(VALU_DEP_2) | instskip(NEXT) | instid1(VALU_DEP_2)
	v_cndmask_b32_e32 v65, v66, v100, vcc_lo
	v_cndmask_b32_e32 v64, v64, v100, vcc_lo
	s_delay_alu instid0(VALU_DEP_2) | instskip(NEXT) | instid1(VALU_DEP_2)
	v_cndmask_b32_e64 v66, v65, v67, s6
	v_cndmask_b32_e64 v65, v64, v67, s6
	v_mov_b32_e32 v64, v55
	s_delay_alu instid0(VALU_DEP_3) | instskip(NEXT) | instid1(VALU_DEP_3)
	v_cmp_class_f32_e64 s1, v66, 0x1f8
	v_cmp_neq_f32_e32 vcc_lo, v66, v65
	s_delay_alu instid0(VALU_DEP_2) | instskip(NEXT) | instid1(SALU_CYCLE_1)
	s_or_b32 s2, vcc_lo, s1
	s_and_saveexec_b32 s1, s2
	s_cbranch_execz .LBB410_206
; %bb.205:
	v_sub_f32_e32 v64, v66, v65
	s_mov_b32 s2, 0x3e9b6dac
	s_delay_alu instid0(VALU_DEP_1) | instskip(SKIP_1) | instid1(VALU_DEP_2)
	v_mul_f32_e32 v66, 0x3fb8aa3b, v64
	v_cmp_ngt_f32_e32 vcc_lo, 0xc2ce8ed0, v64
	v_fma_f32 v67, 0x3fb8aa3b, v64, -v66
	v_rndne_f32_e32 v99, v66
	s_delay_alu instid0(VALU_DEP_1) | instskip(NEXT) | instid1(VALU_DEP_1)
	v_dual_fmamk_f32 v67, v64, 0x32a5705f, v67 :: v_dual_sub_f32 v66, v66, v99
	v_add_f32_e32 v66, v66, v67
	v_cvt_i32_f32_e32 v67, v99
	s_delay_alu instid0(VALU_DEP_2) | instskip(SKIP_2) | instid1(VALU_DEP_1)
	v_exp_f32_e32 v66, v66
	s_waitcnt_depctr 0xfff
	v_ldexp_f32 v66, v66, v67
	v_cndmask_b32_e32 v66, 0, v66, vcc_lo
	v_cmp_nlt_f32_e32 vcc_lo, 0x42b17218, v64
	s_delay_alu instid0(VALU_DEP_2) | instskip(NEXT) | instid1(VALU_DEP_1)
	v_cndmask_b32_e32 v64, 0x7f800000, v66, vcc_lo
	v_add_f32_e32 v99, 1.0, v64
	s_delay_alu instid0(VALU_DEP_1) | instskip(NEXT) | instid1(VALU_DEP_1)
	v_cvt_f64_f32_e32 v[66:67], v99
	v_frexp_exp_i32_f64_e32 v66, v[66:67]
	v_frexp_mant_f32_e32 v67, v99
	s_delay_alu instid0(VALU_DEP_1) | instskip(SKIP_1) | instid1(VALU_DEP_1)
	v_cmp_gt_f32_e32 vcc_lo, 0x3f2aaaab, v67
	v_add_f32_e32 v67, -1.0, v99
	v_sub_f32_e32 v102, v67, v99
	s_delay_alu instid0(VALU_DEP_1) | instskip(SKIP_1) | instid1(VALU_DEP_1)
	v_dual_sub_f32 v67, v64, v67 :: v_dual_add_f32 v102, 1.0, v102
	v_subrev_co_ci_u32_e32 v66, vcc_lo, 0, v66, vcc_lo
	v_sub_nc_u32_e32 v100, 0, v66
	v_cvt_f32_i32_e32 v66, v66
	s_delay_alu instid0(VALU_DEP_2) | instskip(NEXT) | instid1(VALU_DEP_1)
	v_ldexp_f32 v99, v99, v100
	v_add_f32_e32 v103, 1.0, v99
	s_delay_alu instid0(VALU_DEP_1) | instskip(NEXT) | instid1(VALU_DEP_1)
	v_dual_add_f32 v67, v67, v102 :: v_dual_add_f32 v102, -1.0, v103
	v_ldexp_f32 v67, v67, v100
	v_add_f32_e32 v100, -1.0, v99
	s_delay_alu instid0(VALU_DEP_3) | instskip(NEXT) | instid1(VALU_DEP_2)
	v_sub_f32_e32 v102, v99, v102
	v_add_f32_e32 v112, 1.0, v100
	s_delay_alu instid0(VALU_DEP_2) | instskip(NEXT) | instid1(VALU_DEP_2)
	v_add_f32_e32 v102, v67, v102
	v_sub_f32_e32 v99, v99, v112
	v_cmp_eq_f32_e32 vcc_lo, 0x7f800000, v64
	s_delay_alu instid0(VALU_DEP_3) | instskip(NEXT) | instid1(VALU_DEP_3)
	v_add_f32_e32 v112, v103, v102
	v_add_f32_e32 v67, v67, v99
	s_delay_alu instid0(VALU_DEP_2) | instskip(SKIP_1) | instid1(VALU_DEP_2)
	v_rcp_f32_e32 v99, v112
	v_sub_f32_e32 v103, v103, v112
	v_add_f32_e32 v113, v100, v67
	s_delay_alu instid0(VALU_DEP_2) | instskip(NEXT) | instid1(VALU_DEP_2)
	v_add_f32_e32 v102, v102, v103
	v_sub_f32_e32 v100, v100, v113
	s_waitcnt_depctr 0xfff
	v_dual_mul_f32 v114, v113, v99 :: v_dual_add_f32 v67, v67, v100
	s_delay_alu instid0(VALU_DEP_1) | instskip(NEXT) | instid1(VALU_DEP_1)
	v_mul_f32_e32 v115, v112, v114
	v_fma_f32 v103, v114, v112, -v115
	s_delay_alu instid0(VALU_DEP_1) | instskip(NEXT) | instid1(VALU_DEP_1)
	v_fmac_f32_e32 v103, v114, v102
	v_add_f32_e32 v116, v115, v103
	s_delay_alu instid0(VALU_DEP_1) | instskip(NEXT) | instid1(VALU_DEP_1)
	v_sub_f32_e32 v117, v113, v116
	v_sub_f32_e32 v113, v113, v117
	s_delay_alu instid0(VALU_DEP_1) | instskip(NEXT) | instid1(VALU_DEP_1)
	v_dual_sub_f32 v113, v113, v116 :: v_dual_sub_f32 v100, v116, v115
	v_dual_add_f32 v67, v67, v113 :: v_dual_sub_f32 v100, v100, v103
	s_delay_alu instid0(VALU_DEP_1) | instskip(NEXT) | instid1(VALU_DEP_1)
	v_add_f32_e32 v67, v100, v67
	v_add_f32_e32 v100, v117, v67
	s_delay_alu instid0(VALU_DEP_1) | instskip(NEXT) | instid1(VALU_DEP_1)
	v_mul_f32_e32 v103, v99, v100
	v_dual_sub_f32 v116, v117, v100 :: v_dual_mul_f32 v113, v112, v103
	s_delay_alu instid0(VALU_DEP_1) | instskip(NEXT) | instid1(VALU_DEP_1)
	v_fma_f32 v112, v103, v112, -v113
	v_fmac_f32_e32 v112, v103, v102
	s_delay_alu instid0(VALU_DEP_3) | instskip(NEXT) | instid1(VALU_DEP_2)
	v_add_f32_e32 v67, v67, v116
	v_add_f32_e32 v102, v113, v112
	s_delay_alu instid0(VALU_DEP_1) | instskip(NEXT) | instid1(VALU_DEP_1)
	v_sub_f32_e32 v115, v100, v102
	v_dual_sub_f32 v113, v102, v113 :: v_dual_sub_f32 v100, v100, v115
	s_delay_alu instid0(VALU_DEP_1) | instskip(NEXT) | instid1(VALU_DEP_2)
	v_sub_f32_e32 v100, v100, v102
	v_sub_f32_e32 v102, v113, v112
	s_delay_alu instid0(VALU_DEP_2) | instskip(NEXT) | instid1(VALU_DEP_1)
	v_dual_add_f32 v67, v67, v100 :: v_dual_add_f32 v100, v114, v103
	v_dual_add_f32 v67, v102, v67 :: v_dual_sub_f32 v102, v100, v114
	s_delay_alu instid0(VALU_DEP_1) | instskip(NEXT) | instid1(VALU_DEP_2)
	v_add_f32_e32 v67, v115, v67
	v_sub_f32_e32 v102, v103, v102
	s_delay_alu instid0(VALU_DEP_2) | instskip(NEXT) | instid1(VALU_DEP_1)
	v_mul_f32_e32 v67, v99, v67
	v_add_f32_e32 v67, v102, v67
	s_delay_alu instid0(VALU_DEP_1) | instskip(NEXT) | instid1(VALU_DEP_1)
	v_add_f32_e32 v99, v100, v67
	v_mul_f32_e32 v102, v99, v99
	s_delay_alu instid0(VALU_DEP_1) | instskip(SKIP_2) | instid1(VALU_DEP_3)
	v_fmaak_f32 v103, s2, v102, 0x3ecc95a3
	v_mul_f32_e32 v112, v99, v102
	v_cmp_gt_f32_e64 s2, 0x33800000, |v64|
	v_fmaak_f32 v102, v102, v103, 0x3f2aaada
	v_ldexp_f32 v103, v99, 1
	v_sub_f32_e32 v99, v99, v100
	s_delay_alu instid0(VALU_DEP_4) | instskip(NEXT) | instid1(VALU_DEP_1)
	s_or_b32 vcc_lo, vcc_lo, s2
	v_dual_mul_f32 v102, v112, v102 :: v_dual_sub_f32 v67, v67, v99
	s_delay_alu instid0(VALU_DEP_1) | instskip(SKIP_1) | instid1(VALU_DEP_3)
	v_add_f32_e32 v100, v103, v102
	v_mul_f32_e32 v112, 0x3f317218, v66
	v_ldexp_f32 v67, v67, 1
	s_delay_alu instid0(VALU_DEP_3) | instskip(NEXT) | instid1(VALU_DEP_3)
	v_sub_f32_e32 v99, v100, v103
	v_fma_f32 v103, 0x3f317218, v66, -v112
	s_delay_alu instid0(VALU_DEP_2) | instskip(NEXT) | instid1(VALU_DEP_1)
	v_sub_f32_e32 v99, v102, v99
	v_dual_fmamk_f32 v66, v66, 0xb102e308, v103 :: v_dual_add_f32 v67, v67, v99
	s_delay_alu instid0(VALU_DEP_1) | instskip(NEXT) | instid1(VALU_DEP_2)
	v_add_f32_e32 v99, v112, v66
	v_add_f32_e32 v102, v100, v67
	s_delay_alu instid0(VALU_DEP_2) | instskip(NEXT) | instid1(VALU_DEP_1)
	v_sub_f32_e32 v112, v99, v112
	v_dual_add_f32 v103, v99, v102 :: v_dual_sub_f32 v66, v66, v112
	s_delay_alu instid0(VALU_DEP_1) | instskip(NEXT) | instid1(VALU_DEP_1)
	v_sub_f32_e32 v113, v103, v99
	v_sub_f32_e32 v114, v103, v113
	s_delay_alu instid0(VALU_DEP_1) | instskip(NEXT) | instid1(VALU_DEP_1)
	v_dual_sub_f32 v99, v99, v114 :: v_dual_sub_f32 v100, v102, v100
	v_dual_sub_f32 v67, v67, v100 :: v_dual_sub_f32 v100, v102, v113
	s_delay_alu instid0(VALU_DEP_1) | instskip(NEXT) | instid1(VALU_DEP_1)
	v_add_f32_e32 v102, v66, v67
	v_dual_add_f32 v99, v100, v99 :: v_dual_sub_f32 v100, v102, v66
	s_delay_alu instid0(VALU_DEP_1) | instskip(NEXT) | instid1(VALU_DEP_2)
	v_sub_f32_e32 v67, v67, v100
	v_add_f32_e32 v99, v102, v99
	v_sub_f32_e32 v102, v102, v100
	s_delay_alu instid0(VALU_DEP_2) | instskip(NEXT) | instid1(VALU_DEP_1)
	v_add_f32_e32 v112, v103, v99
	v_sub_f32_e32 v100, v112, v103
	s_delay_alu instid0(VALU_DEP_3) | instskip(NEXT) | instid1(VALU_DEP_1)
	v_sub_f32_e32 v66, v66, v102
	v_add_f32_e32 v66, v67, v66
	s_delay_alu instid0(VALU_DEP_3) | instskip(NEXT) | instid1(VALU_DEP_1)
	v_sub_f32_e32 v67, v99, v100
	v_add_f32_e32 v66, v66, v67
	s_delay_alu instid0(VALU_DEP_1) | instskip(NEXT) | instid1(VALU_DEP_1)
	v_add_f32_e32 v66, v112, v66
	v_cndmask_b32_e32 v64, v66, v64, vcc_lo
	s_delay_alu instid0(VALU_DEP_1) | instskip(NEXT) | instid1(VALU_DEP_1)
	v_add_f32_e32 v64, v65, v64
	v_cvt_f16_f32_e32 v99, v64
	s_delay_alu instid0(VALU_DEP_1)
	v_cvt_f32_f16_e32 v100, v99
	v_mov_b32_e32 v64, v99
.LBB410_206:
	s_or_b32 exec_lo, exec_lo, s1
	v_max_f32_e32 v65, v68, v68
	s_delay_alu instid0(VALU_DEP_3) | instskip(SKIP_1) | instid1(VALU_DEP_2)
	v_max_f32_e32 v66, v100, v100
	v_cmp_u_f16_e32 vcc_lo, v99, v99
	v_min_f32_e32 v67, v66, v65
	s_delay_alu instid0(VALU_DEP_1) | instskip(NEXT) | instid1(VALU_DEP_1)
	v_dual_max_f32 v65, v66, v65 :: v_dual_cndmask_b32 v66, v67, v100
	v_cndmask_b32_e32 v65, v65, v100, vcc_lo
	s_delay_alu instid0(VALU_DEP_2) | instskip(NEXT) | instid1(VALU_DEP_2)
	v_cndmask_b32_e64 v67, v66, v68, s7
	v_cndmask_b32_e64 v66, v65, v68, s7
	v_mov_b32_e32 v65, v64
	s_delay_alu instid0(VALU_DEP_3) | instskip(NEXT) | instid1(VALU_DEP_3)
	v_cmp_class_f32_e64 s1, v67, 0x1f8
	v_cmp_neq_f32_e32 vcc_lo, v67, v66
	s_delay_alu instid0(VALU_DEP_2) | instskip(NEXT) | instid1(SALU_CYCLE_1)
	s_or_b32 s2, vcc_lo, s1
	s_and_saveexec_b32 s1, s2
	s_cbranch_execz .LBB410_208
; %bb.207:
	v_sub_f32_e32 v65, v67, v66
	s_mov_b32 s2, 0x3e9b6dac
	s_delay_alu instid0(VALU_DEP_1) | instskip(SKIP_1) | instid1(VALU_DEP_2)
	v_mul_f32_e32 v67, 0x3fb8aa3b, v65
	v_cmp_ngt_f32_e32 vcc_lo, 0xc2ce8ed0, v65
	v_fma_f32 v68, 0x3fb8aa3b, v65, -v67
	v_rndne_f32_e32 v99, v67
	s_delay_alu instid0(VALU_DEP_1) | instskip(NEXT) | instid1(VALU_DEP_1)
	v_dual_fmamk_f32 v68, v65, 0x32a5705f, v68 :: v_dual_sub_f32 v67, v67, v99
	v_add_f32_e32 v67, v67, v68
	v_cvt_i32_f32_e32 v68, v99
	s_delay_alu instid0(VALU_DEP_2) | instskip(SKIP_2) | instid1(VALU_DEP_1)
	v_exp_f32_e32 v67, v67
	s_waitcnt_depctr 0xfff
	v_ldexp_f32 v67, v67, v68
	v_cndmask_b32_e32 v67, 0, v67, vcc_lo
	v_cmp_nlt_f32_e32 vcc_lo, 0x42b17218, v65
	s_delay_alu instid0(VALU_DEP_2) | instskip(NEXT) | instid1(VALU_DEP_1)
	v_cndmask_b32_e32 v65, 0x7f800000, v67, vcc_lo
	v_add_f32_e32 v99, 1.0, v65
	s_delay_alu instid0(VALU_DEP_1) | instskip(NEXT) | instid1(VALU_DEP_1)
	v_cvt_f64_f32_e32 v[67:68], v99
	v_frexp_exp_i32_f64_e32 v67, v[67:68]
	v_frexp_mant_f32_e32 v68, v99
	s_delay_alu instid0(VALU_DEP_1) | instskip(SKIP_1) | instid1(VALU_DEP_1)
	v_cmp_gt_f32_e32 vcc_lo, 0x3f2aaaab, v68
	v_add_f32_e32 v68, -1.0, v99
	v_sub_f32_e32 v102, v68, v99
	v_sub_f32_e32 v68, v65, v68
	s_delay_alu instid0(VALU_DEP_2) | instskip(NEXT) | instid1(VALU_DEP_1)
	v_add_f32_e32 v102, 1.0, v102
	v_add_f32_e32 v68, v68, v102
	v_subrev_co_ci_u32_e32 v67, vcc_lo, 0, v67, vcc_lo
	v_cmp_eq_f32_e32 vcc_lo, 0x7f800000, v65
	s_delay_alu instid0(VALU_DEP_2) | instskip(SKIP_1) | instid1(VALU_DEP_2)
	v_sub_nc_u32_e32 v100, 0, v67
	v_cvt_f32_i32_e32 v67, v67
	v_ldexp_f32 v99, v99, v100
	v_ldexp_f32 v68, v68, v100
	s_delay_alu instid0(VALU_DEP_2) | instskip(SKIP_1) | instid1(VALU_DEP_2)
	v_add_f32_e32 v103, 1.0, v99
	v_add_f32_e32 v100, -1.0, v99
	v_add_f32_e32 v102, -1.0, v103
	s_delay_alu instid0(VALU_DEP_2) | instskip(NEXT) | instid1(VALU_DEP_2)
	v_add_f32_e32 v112, 1.0, v100
	v_sub_f32_e32 v102, v99, v102
	s_delay_alu instid0(VALU_DEP_1) | instskip(NEXT) | instid1(VALU_DEP_1)
	v_dual_sub_f32 v99, v99, v112 :: v_dual_add_f32 v102, v68, v102
	v_add_f32_e32 v68, v68, v99
	s_delay_alu instid0(VALU_DEP_1) | instskip(NEXT) | instid1(VALU_DEP_1)
	v_dual_add_f32 v112, v103, v102 :: v_dual_add_f32 v113, v100, v68
	v_rcp_f32_e32 v99, v112
	v_sub_f32_e32 v103, v103, v112
	s_delay_alu instid0(VALU_DEP_1) | instskip(SKIP_2) | instid1(VALU_DEP_1)
	v_add_f32_e32 v102, v102, v103
	s_waitcnt_depctr 0xfff
	v_mul_f32_e32 v114, v113, v99
	v_mul_f32_e32 v115, v112, v114
	s_delay_alu instid0(VALU_DEP_1) | instskip(NEXT) | instid1(VALU_DEP_1)
	v_fma_f32 v103, v114, v112, -v115
	v_fmac_f32_e32 v103, v114, v102
	s_delay_alu instid0(VALU_DEP_1) | instskip(NEXT) | instid1(VALU_DEP_1)
	v_add_f32_e32 v116, v115, v103
	v_dual_sub_f32 v100, v100, v113 :: v_dual_sub_f32 v117, v113, v116
	s_delay_alu instid0(VALU_DEP_1) | instskip(NEXT) | instid1(VALU_DEP_1)
	v_sub_f32_e32 v113, v113, v117
	v_sub_f32_e32 v113, v113, v116
	s_delay_alu instid0(VALU_DEP_3) | instskip(SKIP_1) | instid1(VALU_DEP_2)
	v_add_f32_e32 v68, v68, v100
	v_sub_f32_e32 v100, v116, v115
	v_add_f32_e32 v68, v68, v113
	s_delay_alu instid0(VALU_DEP_2) | instskip(NEXT) | instid1(VALU_DEP_1)
	v_sub_f32_e32 v100, v100, v103
	v_add_f32_e32 v68, v100, v68
	s_delay_alu instid0(VALU_DEP_1) | instskip(NEXT) | instid1(VALU_DEP_1)
	v_add_f32_e32 v100, v117, v68
	v_mul_f32_e32 v103, v99, v100
	s_delay_alu instid0(VALU_DEP_1) | instskip(NEXT) | instid1(VALU_DEP_1)
	v_dual_mul_f32 v113, v112, v103 :: v_dual_sub_f32 v116, v117, v100
	v_fma_f32 v112, v103, v112, -v113
	s_delay_alu instid0(VALU_DEP_2) | instskip(NEXT) | instid1(VALU_DEP_2)
	v_add_f32_e32 v68, v68, v116
	v_fmac_f32_e32 v112, v103, v102
	s_delay_alu instid0(VALU_DEP_1) | instskip(NEXT) | instid1(VALU_DEP_1)
	v_add_f32_e32 v102, v113, v112
	v_sub_f32_e32 v115, v100, v102
	s_delay_alu instid0(VALU_DEP_1) | instskip(NEXT) | instid1(VALU_DEP_1)
	v_dual_sub_f32 v113, v102, v113 :: v_dual_sub_f32 v100, v100, v115
	v_sub_f32_e32 v100, v100, v102
	s_delay_alu instid0(VALU_DEP_2) | instskip(NEXT) | instid1(VALU_DEP_2)
	v_sub_f32_e32 v102, v113, v112
	v_add_f32_e32 v68, v68, v100
	v_add_f32_e32 v100, v114, v103
	s_delay_alu instid0(VALU_DEP_2) | instskip(NEXT) | instid1(VALU_DEP_2)
	v_add_f32_e32 v68, v102, v68
	v_sub_f32_e32 v102, v100, v114
	s_delay_alu instid0(VALU_DEP_2) | instskip(NEXT) | instid1(VALU_DEP_2)
	v_add_f32_e32 v68, v115, v68
	v_sub_f32_e32 v102, v103, v102
	s_delay_alu instid0(VALU_DEP_2) | instskip(NEXT) | instid1(VALU_DEP_1)
	v_mul_f32_e32 v68, v99, v68
	v_add_f32_e32 v68, v102, v68
	s_delay_alu instid0(VALU_DEP_1) | instskip(NEXT) | instid1(VALU_DEP_1)
	v_add_f32_e32 v99, v100, v68
	v_mul_f32_e32 v102, v99, v99
	s_delay_alu instid0(VALU_DEP_1) | instskip(SKIP_2) | instid1(VALU_DEP_3)
	v_fmaak_f32 v103, s2, v102, 0x3ecc95a3
	v_mul_f32_e32 v112, v99, v102
	v_cmp_gt_f32_e64 s2, 0x33800000, |v65|
	v_fmaak_f32 v102, v102, v103, 0x3f2aaada
	v_ldexp_f32 v103, v99, 1
	v_sub_f32_e32 v99, v99, v100
	s_delay_alu instid0(VALU_DEP_4) | instskip(NEXT) | instid1(VALU_DEP_3)
	s_or_b32 vcc_lo, vcc_lo, s2
	v_mul_f32_e32 v102, v112, v102
	v_mul_f32_e32 v112, 0x3f317218, v67
	s_delay_alu instid0(VALU_DEP_3) | instskip(NEXT) | instid1(VALU_DEP_3)
	v_sub_f32_e32 v68, v68, v99
	v_add_f32_e32 v100, v103, v102
	s_delay_alu instid0(VALU_DEP_2) | instskip(NEXT) | instid1(VALU_DEP_2)
	v_ldexp_f32 v68, v68, 1
	v_sub_f32_e32 v99, v100, v103
	v_fma_f32 v103, 0x3f317218, v67, -v112
	s_delay_alu instid0(VALU_DEP_2) | instskip(NEXT) | instid1(VALU_DEP_1)
	v_sub_f32_e32 v99, v102, v99
	v_dual_fmamk_f32 v67, v67, 0xb102e308, v103 :: v_dual_add_f32 v68, v68, v99
	s_delay_alu instid0(VALU_DEP_1) | instskip(NEXT) | instid1(VALU_DEP_2)
	v_add_f32_e32 v99, v112, v67
	v_add_f32_e32 v102, v100, v68
	s_delay_alu instid0(VALU_DEP_2) | instskip(NEXT) | instid1(VALU_DEP_2)
	v_sub_f32_e32 v112, v99, v112
	v_dual_add_f32 v103, v99, v102 :: v_dual_sub_f32 v100, v102, v100
	s_delay_alu instid0(VALU_DEP_2) | instskip(NEXT) | instid1(VALU_DEP_2)
	v_sub_f32_e32 v67, v67, v112
	v_dual_sub_f32 v113, v103, v99 :: v_dual_sub_f32 v68, v68, v100
	s_delay_alu instid0(VALU_DEP_1) | instskip(SKIP_1) | instid1(VALU_DEP_3)
	v_sub_f32_e32 v114, v103, v113
	v_sub_f32_e32 v100, v102, v113
	v_add_f32_e32 v102, v67, v68
	s_delay_alu instid0(VALU_DEP_3) | instskip(NEXT) | instid1(VALU_DEP_1)
	v_sub_f32_e32 v99, v99, v114
	v_add_f32_e32 v99, v100, v99
	s_delay_alu instid0(VALU_DEP_3) | instskip(NEXT) | instid1(VALU_DEP_2)
	v_sub_f32_e32 v100, v102, v67
	v_add_f32_e32 v99, v102, v99
	s_delay_alu instid0(VALU_DEP_2) | instskip(SKIP_1) | instid1(VALU_DEP_3)
	v_sub_f32_e32 v102, v102, v100
	v_sub_f32_e32 v68, v68, v100
	v_add_f32_e32 v112, v103, v99
	s_delay_alu instid0(VALU_DEP_1) | instskip(NEXT) | instid1(VALU_DEP_1)
	v_dual_sub_f32 v67, v67, v102 :: v_dual_sub_f32 v100, v112, v103
	v_dual_add_f32 v67, v68, v67 :: v_dual_sub_f32 v68, v99, v100
	s_delay_alu instid0(VALU_DEP_1) | instskip(NEXT) | instid1(VALU_DEP_1)
	v_add_f32_e32 v67, v67, v68
	v_add_f32_e32 v67, v112, v67
	s_delay_alu instid0(VALU_DEP_1) | instskip(NEXT) | instid1(VALU_DEP_1)
	v_cndmask_b32_e32 v65, v67, v65, vcc_lo
	v_add_f32_e32 v65, v66, v65
	s_delay_alu instid0(VALU_DEP_1) | instskip(NEXT) | instid1(VALU_DEP_1)
	v_cvt_f16_f32_e32 v99, v65
	v_mov_b32_e32 v65, v99
	v_cvt_f32_f16_e32 v100, v99
.LBB410_208:
	s_or_b32 exec_lo, exec_lo, s1
	s_delay_alu instid0(VALU_DEP_1) | instskip(SKIP_1) | instid1(VALU_DEP_2)
	v_dual_max_f32 v66, v69, v69 :: v_dual_max_f32 v67, v100, v100
	v_cmp_u_f16_e32 vcc_lo, v99, v99
	v_min_f32_e32 v68, v67, v66
	s_delay_alu instid0(VALU_DEP_1) | instskip(NEXT) | instid1(VALU_DEP_1)
	v_dual_max_f32 v66, v67, v66 :: v_dual_cndmask_b32 v67, v68, v100
	v_cndmask_b32_e32 v66, v66, v100, vcc_lo
	s_delay_alu instid0(VALU_DEP_2) | instskip(NEXT) | instid1(VALU_DEP_2)
	v_cndmask_b32_e64 v68, v67, v69, s8
	v_cndmask_b32_e64 v67, v66, v69, s8
	v_mov_b32_e32 v66, v65
	s_delay_alu instid0(VALU_DEP_3) | instskip(NEXT) | instid1(VALU_DEP_3)
	v_cmp_class_f32_e64 s1, v68, 0x1f8
	v_cmp_neq_f32_e32 vcc_lo, v68, v67
	s_delay_alu instid0(VALU_DEP_2) | instskip(NEXT) | instid1(SALU_CYCLE_1)
	s_or_b32 s2, vcc_lo, s1
	s_and_saveexec_b32 s1, s2
	s_cbranch_execz .LBB410_210
; %bb.209:
	v_sub_f32_e32 v66, v68, v67
	s_mov_b32 s2, 0x3e9b6dac
	s_delay_alu instid0(VALU_DEP_1) | instskip(SKIP_1) | instid1(VALU_DEP_2)
	v_mul_f32_e32 v68, 0x3fb8aa3b, v66
	v_cmp_ngt_f32_e32 vcc_lo, 0xc2ce8ed0, v66
	v_fma_f32 v69, 0x3fb8aa3b, v66, -v68
	v_rndne_f32_e32 v99, v68
	s_delay_alu instid0(VALU_DEP_1) | instskip(NEXT) | instid1(VALU_DEP_1)
	v_dual_fmamk_f32 v69, v66, 0x32a5705f, v69 :: v_dual_sub_f32 v68, v68, v99
	v_add_f32_e32 v68, v68, v69
	v_cvt_i32_f32_e32 v69, v99
	s_delay_alu instid0(VALU_DEP_2) | instskip(SKIP_2) | instid1(VALU_DEP_1)
	v_exp_f32_e32 v68, v68
	s_waitcnt_depctr 0xfff
	v_ldexp_f32 v68, v68, v69
	v_cndmask_b32_e32 v68, 0, v68, vcc_lo
	v_cmp_nlt_f32_e32 vcc_lo, 0x42b17218, v66
	s_delay_alu instid0(VALU_DEP_2) | instskip(NEXT) | instid1(VALU_DEP_1)
	v_cndmask_b32_e32 v66, 0x7f800000, v68, vcc_lo
	v_add_f32_e32 v99, 1.0, v66
	s_delay_alu instid0(VALU_DEP_1) | instskip(NEXT) | instid1(VALU_DEP_1)
	v_cvt_f64_f32_e32 v[68:69], v99
	v_frexp_exp_i32_f64_e32 v68, v[68:69]
	v_frexp_mant_f32_e32 v69, v99
	s_delay_alu instid0(VALU_DEP_1) | instskip(SKIP_1) | instid1(VALU_DEP_1)
	v_cmp_gt_f32_e32 vcc_lo, 0x3f2aaaab, v69
	v_add_f32_e32 v69, -1.0, v99
	v_sub_f32_e32 v102, v69, v99
	s_delay_alu instid0(VALU_DEP_1) | instskip(SKIP_1) | instid1(VALU_DEP_1)
	v_add_f32_e32 v102, 1.0, v102
	v_subrev_co_ci_u32_e32 v68, vcc_lo, 0, v68, vcc_lo
	v_sub_nc_u32_e32 v100, 0, v68
	v_cvt_f32_i32_e32 v68, v68
	s_delay_alu instid0(VALU_DEP_2) | instskip(NEXT) | instid1(VALU_DEP_1)
	v_ldexp_f32 v99, v99, v100
	v_add_f32_e32 v103, 1.0, v99
	v_sub_f32_e32 v69, v66, v69
	v_cmp_eq_f32_e32 vcc_lo, 0x7f800000, v66
	s_delay_alu instid0(VALU_DEP_2) | instskip(NEXT) | instid1(VALU_DEP_1)
	v_add_f32_e32 v69, v69, v102
	v_ldexp_f32 v69, v69, v100
	v_add_f32_e32 v100, -1.0, v99
	v_add_f32_e32 v102, -1.0, v103
	s_delay_alu instid0(VALU_DEP_2) | instskip(NEXT) | instid1(VALU_DEP_2)
	v_add_f32_e32 v112, 1.0, v100
	v_sub_f32_e32 v102, v99, v102
	s_delay_alu instid0(VALU_DEP_1) | instskip(NEXT) | instid1(VALU_DEP_1)
	v_dual_sub_f32 v99, v99, v112 :: v_dual_add_f32 v102, v69, v102
	v_dual_add_f32 v69, v69, v99 :: v_dual_add_f32 v112, v103, v102
	s_delay_alu instid0(VALU_DEP_1) | instskip(SKIP_1) | instid1(VALU_DEP_1)
	v_rcp_f32_e32 v99, v112
	v_sub_f32_e32 v103, v103, v112
	v_dual_add_f32 v113, v100, v69 :: v_dual_add_f32 v102, v102, v103
	s_delay_alu instid0(VALU_DEP_1) | instskip(SKIP_3) | instid1(VALU_DEP_2)
	v_sub_f32_e32 v100, v100, v113
	s_waitcnt_depctr 0xfff
	v_mul_f32_e32 v114, v113, v99
	v_add_f32_e32 v69, v69, v100
	v_mul_f32_e32 v115, v112, v114
	s_delay_alu instid0(VALU_DEP_1) | instskip(NEXT) | instid1(VALU_DEP_1)
	v_fma_f32 v103, v114, v112, -v115
	v_fmac_f32_e32 v103, v114, v102
	s_delay_alu instid0(VALU_DEP_1) | instskip(NEXT) | instid1(VALU_DEP_1)
	v_add_f32_e32 v116, v115, v103
	v_sub_f32_e32 v117, v113, v116
	s_delay_alu instid0(VALU_DEP_1) | instskip(NEXT) | instid1(VALU_DEP_1)
	v_sub_f32_e32 v113, v113, v117
	v_dual_sub_f32 v113, v113, v116 :: v_dual_sub_f32 v100, v116, v115
	s_delay_alu instid0(VALU_DEP_1) | instskip(NEXT) | instid1(VALU_DEP_1)
	v_dual_add_f32 v69, v69, v113 :: v_dual_sub_f32 v100, v100, v103
	v_add_f32_e32 v69, v100, v69
	s_delay_alu instid0(VALU_DEP_1) | instskip(NEXT) | instid1(VALU_DEP_1)
	v_add_f32_e32 v100, v117, v69
	v_mul_f32_e32 v103, v99, v100
	s_delay_alu instid0(VALU_DEP_1) | instskip(NEXT) | instid1(VALU_DEP_1)
	v_dual_mul_f32 v113, v112, v103 :: v_dual_sub_f32 v116, v117, v100
	v_fma_f32 v112, v103, v112, -v113
	s_delay_alu instid0(VALU_DEP_1) | instskip(NEXT) | instid1(VALU_DEP_1)
	v_dual_add_f32 v69, v69, v116 :: v_dual_fmac_f32 v112, v103, v102
	v_add_f32_e32 v102, v113, v112
	s_delay_alu instid0(VALU_DEP_1) | instskip(NEXT) | instid1(VALU_DEP_1)
	v_sub_f32_e32 v115, v100, v102
	v_dual_sub_f32 v113, v102, v113 :: v_dual_sub_f32 v100, v100, v115
	s_delay_alu instid0(VALU_DEP_1) | instskip(NEXT) | instid1(VALU_DEP_1)
	v_sub_f32_e32 v100, v100, v102
	v_dual_add_f32 v69, v69, v100 :: v_dual_add_f32 v100, v114, v103
	s_delay_alu instid0(VALU_DEP_3) | instskip(NEXT) | instid1(VALU_DEP_1)
	v_sub_f32_e32 v102, v113, v112
	v_dual_add_f32 v69, v102, v69 :: v_dual_sub_f32 v102, v100, v114
	s_delay_alu instid0(VALU_DEP_1) | instskip(NEXT) | instid1(VALU_DEP_2)
	v_add_f32_e32 v69, v115, v69
	v_sub_f32_e32 v102, v103, v102
	s_delay_alu instid0(VALU_DEP_2) | instskip(NEXT) | instid1(VALU_DEP_1)
	v_mul_f32_e32 v69, v99, v69
	v_add_f32_e32 v69, v102, v69
	s_delay_alu instid0(VALU_DEP_1) | instskip(NEXT) | instid1(VALU_DEP_1)
	v_add_f32_e32 v99, v100, v69
	v_mul_f32_e32 v102, v99, v99
	s_delay_alu instid0(VALU_DEP_1) | instskip(SKIP_2) | instid1(VALU_DEP_3)
	v_fmaak_f32 v103, s2, v102, 0x3ecc95a3
	v_mul_f32_e32 v112, v99, v102
	v_cmp_gt_f32_e64 s2, 0x33800000, |v66|
	v_fmaak_f32 v102, v102, v103, 0x3f2aaada
	v_ldexp_f32 v103, v99, 1
	v_sub_f32_e32 v99, v99, v100
	s_delay_alu instid0(VALU_DEP_4) | instskip(NEXT) | instid1(VALU_DEP_1)
	s_or_b32 vcc_lo, vcc_lo, s2
	v_sub_f32_e32 v69, v69, v99
	s_delay_alu instid0(VALU_DEP_1) | instskip(SKIP_1) | instid1(VALU_DEP_1)
	v_ldexp_f32 v69, v69, 1
	v_mul_f32_e32 v102, v112, v102
	v_add_f32_e32 v100, v103, v102
	s_delay_alu instid0(VALU_DEP_1) | instskip(NEXT) | instid1(VALU_DEP_1)
	v_sub_f32_e32 v99, v100, v103
	v_sub_f32_e32 v99, v102, v99
	s_delay_alu instid0(VALU_DEP_1) | instskip(NEXT) | instid1(VALU_DEP_1)
	v_add_f32_e32 v69, v69, v99
	v_add_f32_e32 v102, v100, v69
	v_mul_f32_e32 v112, 0x3f317218, v68
	s_delay_alu instid0(VALU_DEP_1) | instskip(NEXT) | instid1(VALU_DEP_1)
	v_fma_f32 v103, 0x3f317218, v68, -v112
	v_fmamk_f32 v68, v68, 0xb102e308, v103
	s_delay_alu instid0(VALU_DEP_1) | instskip(NEXT) | instid1(VALU_DEP_1)
	v_add_f32_e32 v99, v112, v68
	v_add_f32_e32 v103, v99, v102
	s_delay_alu instid0(VALU_DEP_1) | instskip(NEXT) | instid1(VALU_DEP_1)
	v_sub_f32_e32 v113, v103, v99
	v_sub_f32_e32 v114, v103, v113
	v_sub_f32_e32 v100, v102, v100
	s_delay_alu instid0(VALU_DEP_1) | instskip(SKIP_1) | instid1(VALU_DEP_4)
	v_dual_sub_f32 v69, v69, v100 :: v_dual_sub_f32 v100, v102, v113
	v_sub_f32_e32 v112, v99, v112
	v_sub_f32_e32 v99, v99, v114
	s_delay_alu instid0(VALU_DEP_1) | instskip(NEXT) | instid1(VALU_DEP_3)
	v_add_f32_e32 v99, v100, v99
	v_sub_f32_e32 v68, v68, v112
	s_delay_alu instid0(VALU_DEP_1) | instskip(NEXT) | instid1(VALU_DEP_1)
	v_add_f32_e32 v102, v68, v69
	v_add_f32_e32 v99, v102, v99
	v_sub_f32_e32 v100, v102, v68
	s_delay_alu instid0(VALU_DEP_1) | instskip(SKIP_1) | instid1(VALU_DEP_2)
	v_dual_add_f32 v112, v103, v99 :: v_dual_sub_f32 v69, v69, v100
	v_sub_f32_e32 v102, v102, v100
	v_sub_f32_e32 v100, v112, v103
	s_delay_alu instid0(VALU_DEP_2) | instskip(NEXT) | instid1(VALU_DEP_1)
	v_sub_f32_e32 v68, v68, v102
	v_add_f32_e32 v68, v69, v68
	s_delay_alu instid0(VALU_DEP_3) | instskip(NEXT) | instid1(VALU_DEP_1)
	v_sub_f32_e32 v69, v99, v100
	v_add_f32_e32 v68, v68, v69
	s_delay_alu instid0(VALU_DEP_1) | instskip(NEXT) | instid1(VALU_DEP_1)
	v_add_f32_e32 v68, v112, v68
	v_cndmask_b32_e32 v66, v68, v66, vcc_lo
	s_delay_alu instid0(VALU_DEP_1) | instskip(NEXT) | instid1(VALU_DEP_1)
	v_add_f32_e32 v66, v67, v66
	v_cvt_f16_f32_e32 v99, v66
	s_delay_alu instid0(VALU_DEP_1)
	v_cvt_f32_f16_e32 v100, v99
	v_mov_b32_e32 v66, v99
.LBB410_210:
	s_or_b32 exec_lo, exec_lo, s1
	s_delay_alu instid0(VALU_DEP_2) | instskip(SKIP_1) | instid1(VALU_DEP_2)
	v_dual_max_f32 v67, v70, v70 :: v_dual_max_f32 v68, v100, v100
	v_cmp_u_f16_e32 vcc_lo, v99, v99
	v_min_f32_e32 v69, v68, v67
	s_delay_alu instid0(VALU_DEP_1) | instskip(NEXT) | instid1(VALU_DEP_1)
	v_dual_max_f32 v67, v68, v67 :: v_dual_cndmask_b32 v68, v69, v100
	v_cndmask_b32_e32 v67, v67, v100, vcc_lo
	s_delay_alu instid0(VALU_DEP_2) | instskip(NEXT) | instid1(VALU_DEP_2)
	v_cndmask_b32_e64 v69, v68, v70, s9
	v_cndmask_b32_e64 v68, v67, v70, s9
	v_mov_b32_e32 v67, v66
	s_delay_alu instid0(VALU_DEP_3) | instskip(NEXT) | instid1(VALU_DEP_3)
	v_cmp_class_f32_e64 s1, v69, 0x1f8
	v_cmp_neq_f32_e32 vcc_lo, v69, v68
	s_delay_alu instid0(VALU_DEP_2) | instskip(NEXT) | instid1(SALU_CYCLE_1)
	s_or_b32 s2, vcc_lo, s1
	s_and_saveexec_b32 s1, s2
	s_cbranch_execz .LBB410_212
; %bb.211:
	v_sub_f32_e32 v67, v69, v68
	s_mov_b32 s2, 0x3e9b6dac
	s_delay_alu instid0(VALU_DEP_1) | instskip(SKIP_1) | instid1(VALU_DEP_2)
	v_mul_f32_e32 v69, 0x3fb8aa3b, v67
	v_cmp_ngt_f32_e32 vcc_lo, 0xc2ce8ed0, v67
	v_fma_f32 v70, 0x3fb8aa3b, v67, -v69
	v_rndne_f32_e32 v99, v69
	s_delay_alu instid0(VALU_DEP_1) | instskip(NEXT) | instid1(VALU_DEP_1)
	v_dual_fmamk_f32 v70, v67, 0x32a5705f, v70 :: v_dual_sub_f32 v69, v69, v99
	v_add_f32_e32 v69, v69, v70
	v_cvt_i32_f32_e32 v70, v99
	s_delay_alu instid0(VALU_DEP_2) | instskip(SKIP_2) | instid1(VALU_DEP_1)
	v_exp_f32_e32 v69, v69
	s_waitcnt_depctr 0xfff
	v_ldexp_f32 v69, v69, v70
	v_cndmask_b32_e32 v69, 0, v69, vcc_lo
	v_cmp_nlt_f32_e32 vcc_lo, 0x42b17218, v67
	s_delay_alu instid0(VALU_DEP_2) | instskip(NEXT) | instid1(VALU_DEP_1)
	v_cndmask_b32_e32 v67, 0x7f800000, v69, vcc_lo
	v_add_f32_e32 v99, 1.0, v67
	s_delay_alu instid0(VALU_DEP_1) | instskip(NEXT) | instid1(VALU_DEP_1)
	v_cvt_f64_f32_e32 v[69:70], v99
	v_frexp_exp_i32_f64_e32 v69, v[69:70]
	v_frexp_mant_f32_e32 v70, v99
	s_delay_alu instid0(VALU_DEP_1) | instskip(SKIP_1) | instid1(VALU_DEP_1)
	v_cmp_gt_f32_e32 vcc_lo, 0x3f2aaaab, v70
	v_add_f32_e32 v70, -1.0, v99
	v_sub_f32_e32 v102, v70, v99
	v_sub_f32_e32 v70, v67, v70
	s_delay_alu instid0(VALU_DEP_2) | instskip(NEXT) | instid1(VALU_DEP_1)
	v_add_f32_e32 v102, 1.0, v102
	v_add_f32_e32 v70, v70, v102
	v_subrev_co_ci_u32_e32 v69, vcc_lo, 0, v69, vcc_lo
	v_cmp_eq_f32_e32 vcc_lo, 0x7f800000, v67
	s_delay_alu instid0(VALU_DEP_2) | instskip(SKIP_1) | instid1(VALU_DEP_2)
	v_sub_nc_u32_e32 v100, 0, v69
	v_cvt_f32_i32_e32 v69, v69
	v_ldexp_f32 v99, v99, v100
	v_ldexp_f32 v70, v70, v100
	s_delay_alu instid0(VALU_DEP_2) | instskip(SKIP_1) | instid1(VALU_DEP_1)
	v_add_f32_e32 v103, 1.0, v99
	v_add_f32_e32 v100, -1.0, v99
	v_add_f32_e32 v112, 1.0, v100
	s_delay_alu instid0(VALU_DEP_3) | instskip(NEXT) | instid1(VALU_DEP_1)
	v_add_f32_e32 v102, -1.0, v103
	v_sub_f32_e32 v102, v99, v102
	s_delay_alu instid0(VALU_DEP_1) | instskip(NEXT) | instid1(VALU_DEP_1)
	v_dual_sub_f32 v99, v99, v112 :: v_dual_add_f32 v102, v70, v102
	v_add_f32_e32 v112, v103, v102
	s_delay_alu instid0(VALU_DEP_2) | instskip(NEXT) | instid1(VALU_DEP_2)
	v_add_f32_e32 v70, v70, v99
	v_rcp_f32_e32 v99, v112
	v_sub_f32_e32 v103, v103, v112
	s_delay_alu instid0(VALU_DEP_1) | instskip(NEXT) | instid1(VALU_DEP_1)
	v_dual_add_f32 v113, v100, v70 :: v_dual_add_f32 v102, v102, v103
	v_sub_f32_e32 v100, v100, v113
	s_waitcnt_depctr 0xfff
	v_mul_f32_e32 v114, v113, v99
	s_delay_alu instid0(VALU_DEP_1) | instskip(NEXT) | instid1(VALU_DEP_1)
	v_mul_f32_e32 v115, v112, v114
	v_fma_f32 v103, v114, v112, -v115
	s_delay_alu instid0(VALU_DEP_1) | instskip(NEXT) | instid1(VALU_DEP_1)
	v_fmac_f32_e32 v103, v114, v102
	v_add_f32_e32 v116, v115, v103
	s_delay_alu instid0(VALU_DEP_1) | instskip(NEXT) | instid1(VALU_DEP_1)
	v_sub_f32_e32 v117, v113, v116
	v_dual_sub_f32 v113, v113, v117 :: v_dual_add_f32 v70, v70, v100
	s_delay_alu instid0(VALU_DEP_1) | instskip(NEXT) | instid1(VALU_DEP_1)
	v_dual_sub_f32 v100, v116, v115 :: v_dual_sub_f32 v113, v113, v116
	v_sub_f32_e32 v100, v100, v103
	s_delay_alu instid0(VALU_DEP_2) | instskip(NEXT) | instid1(VALU_DEP_1)
	v_add_f32_e32 v70, v70, v113
	v_add_f32_e32 v70, v100, v70
	s_delay_alu instid0(VALU_DEP_1) | instskip(NEXT) | instid1(VALU_DEP_1)
	v_add_f32_e32 v100, v117, v70
	v_mul_f32_e32 v103, v99, v100
	s_delay_alu instid0(VALU_DEP_1) | instskip(NEXT) | instid1(VALU_DEP_1)
	v_dual_sub_f32 v116, v117, v100 :: v_dual_mul_f32 v113, v112, v103
	v_add_f32_e32 v70, v70, v116
	s_delay_alu instid0(VALU_DEP_2) | instskip(NEXT) | instid1(VALU_DEP_1)
	v_fma_f32 v112, v103, v112, -v113
	v_fmac_f32_e32 v112, v103, v102
	s_delay_alu instid0(VALU_DEP_1) | instskip(NEXT) | instid1(VALU_DEP_1)
	v_add_f32_e32 v102, v113, v112
	v_sub_f32_e32 v115, v100, v102
	s_delay_alu instid0(VALU_DEP_1) | instskip(NEXT) | instid1(VALU_DEP_1)
	v_dual_sub_f32 v113, v102, v113 :: v_dual_sub_f32 v100, v100, v115
	v_sub_f32_e32 v100, v100, v102
	s_delay_alu instid0(VALU_DEP_2) | instskip(NEXT) | instid1(VALU_DEP_2)
	v_sub_f32_e32 v102, v113, v112
	v_add_f32_e32 v70, v70, v100
	v_add_f32_e32 v100, v114, v103
	s_delay_alu instid0(VALU_DEP_2) | instskip(NEXT) | instid1(VALU_DEP_2)
	v_add_f32_e32 v70, v102, v70
	v_sub_f32_e32 v102, v100, v114
	s_delay_alu instid0(VALU_DEP_2) | instskip(NEXT) | instid1(VALU_DEP_2)
	v_add_f32_e32 v70, v115, v70
	v_sub_f32_e32 v102, v103, v102
	s_delay_alu instid0(VALU_DEP_2) | instskip(NEXT) | instid1(VALU_DEP_1)
	v_mul_f32_e32 v70, v99, v70
	v_add_f32_e32 v70, v102, v70
	s_delay_alu instid0(VALU_DEP_1) | instskip(NEXT) | instid1(VALU_DEP_1)
	v_add_f32_e32 v99, v100, v70
	v_mul_f32_e32 v102, v99, v99
	s_delay_alu instid0(VALU_DEP_1) | instskip(SKIP_2) | instid1(VALU_DEP_3)
	v_fmaak_f32 v103, s2, v102, 0x3ecc95a3
	v_mul_f32_e32 v112, v99, v102
	v_cmp_gt_f32_e64 s2, 0x33800000, |v67|
	v_fmaak_f32 v102, v102, v103, 0x3f2aaada
	v_ldexp_f32 v103, v99, 1
	v_sub_f32_e32 v99, v99, v100
	s_delay_alu instid0(VALU_DEP_4) | instskip(NEXT) | instid1(VALU_DEP_3)
	s_or_b32 vcc_lo, vcc_lo, s2
	v_mul_f32_e32 v102, v112, v102
	v_mul_f32_e32 v112, 0x3f317218, v69
	s_delay_alu instid0(VALU_DEP_3) | instskip(NEXT) | instid1(VALU_DEP_3)
	v_sub_f32_e32 v70, v70, v99
	v_add_f32_e32 v100, v103, v102
	s_delay_alu instid0(VALU_DEP_2) | instskip(NEXT) | instid1(VALU_DEP_2)
	v_ldexp_f32 v70, v70, 1
	v_sub_f32_e32 v99, v100, v103
	v_fma_f32 v103, 0x3f317218, v69, -v112
	s_delay_alu instid0(VALU_DEP_2) | instskip(NEXT) | instid1(VALU_DEP_1)
	v_sub_f32_e32 v99, v102, v99
	v_dual_fmamk_f32 v69, v69, 0xb102e308, v103 :: v_dual_add_f32 v70, v70, v99
	s_delay_alu instid0(VALU_DEP_1) | instskip(NEXT) | instid1(VALU_DEP_2)
	v_add_f32_e32 v99, v112, v69
	v_add_f32_e32 v102, v100, v70
	s_delay_alu instid0(VALU_DEP_2) | instskip(NEXT) | instid1(VALU_DEP_2)
	v_sub_f32_e32 v112, v99, v112
	v_dual_add_f32 v103, v99, v102 :: v_dual_sub_f32 v100, v102, v100
	s_delay_alu instid0(VALU_DEP_2) | instskip(NEXT) | instid1(VALU_DEP_2)
	v_sub_f32_e32 v69, v69, v112
	v_dual_sub_f32 v113, v103, v99 :: v_dual_sub_f32 v70, v70, v100
	s_delay_alu instid0(VALU_DEP_1) | instskip(SKIP_1) | instid1(VALU_DEP_3)
	v_sub_f32_e32 v114, v103, v113
	v_sub_f32_e32 v100, v102, v113
	v_add_f32_e32 v102, v69, v70
	s_delay_alu instid0(VALU_DEP_3) | instskip(NEXT) | instid1(VALU_DEP_1)
	v_sub_f32_e32 v99, v99, v114
	v_dual_add_f32 v99, v100, v99 :: v_dual_sub_f32 v100, v102, v69
	s_delay_alu instid0(VALU_DEP_1) | instskip(NEXT) | instid1(VALU_DEP_2)
	v_add_f32_e32 v99, v102, v99
	v_sub_f32_e32 v102, v102, v100
	v_sub_f32_e32 v70, v70, v100
	s_delay_alu instid0(VALU_DEP_2) | instskip(NEXT) | instid1(VALU_DEP_1)
	v_dual_add_f32 v112, v103, v99 :: v_dual_sub_f32 v69, v69, v102
	v_dual_sub_f32 v100, v112, v103 :: v_dual_add_f32 v69, v70, v69
	s_delay_alu instid0(VALU_DEP_1) | instskip(NEXT) | instid1(VALU_DEP_1)
	v_sub_f32_e32 v70, v99, v100
	v_add_f32_e32 v69, v69, v70
	s_delay_alu instid0(VALU_DEP_1) | instskip(NEXT) | instid1(VALU_DEP_1)
	v_add_f32_e32 v69, v112, v69
	v_cndmask_b32_e32 v67, v69, v67, vcc_lo
	s_delay_alu instid0(VALU_DEP_1) | instskip(NEXT) | instid1(VALU_DEP_1)
	v_add_f32_e32 v67, v68, v67
	v_cvt_f16_f32_e32 v99, v67
	s_delay_alu instid0(VALU_DEP_1)
	v_cvt_f32_f16_e32 v100, v99
	v_mov_b32_e32 v67, v99
.LBB410_212:
	s_or_b32 exec_lo, exec_lo, s1
	s_delay_alu instid0(VALU_DEP_2) | instskip(SKIP_1) | instid1(VALU_DEP_2)
	v_dual_max_f32 v68, v71, v71 :: v_dual_max_f32 v69, v100, v100
	v_cmp_u_f16_e32 vcc_lo, v99, v99
	v_min_f32_e32 v70, v69, v68
	v_max_f32_e32 v68, v69, v68
	s_delay_alu instid0(VALU_DEP_2) | instskip(NEXT) | instid1(VALU_DEP_2)
	v_cndmask_b32_e32 v69, v70, v100, vcc_lo
	v_cndmask_b32_e32 v68, v68, v100, vcc_lo
	s_delay_alu instid0(VALU_DEP_2) | instskip(NEXT) | instid1(VALU_DEP_2)
	v_cndmask_b32_e64 v70, v69, v71, s10
	v_cndmask_b32_e64 v69, v68, v71, s10
	v_mov_b32_e32 v68, v67
	s_delay_alu instid0(VALU_DEP_3) | instskip(NEXT) | instid1(VALU_DEP_3)
	v_cmp_class_f32_e64 s1, v70, 0x1f8
	v_cmp_neq_f32_e32 vcc_lo, v70, v69
	s_delay_alu instid0(VALU_DEP_2) | instskip(NEXT) | instid1(SALU_CYCLE_1)
	s_or_b32 s2, vcc_lo, s1
	s_and_saveexec_b32 s1, s2
	s_cbranch_execz .LBB410_214
; %bb.213:
	v_sub_f32_e32 v68, v70, v69
	s_mov_b32 s2, 0x3e9b6dac
	s_delay_alu instid0(VALU_DEP_1) | instskip(SKIP_1) | instid1(VALU_DEP_2)
	v_mul_f32_e32 v70, 0x3fb8aa3b, v68
	v_cmp_ngt_f32_e32 vcc_lo, 0xc2ce8ed0, v68
	v_fma_f32 v71, 0x3fb8aa3b, v68, -v70
	v_rndne_f32_e32 v99, v70
	s_delay_alu instid0(VALU_DEP_1) | instskip(NEXT) | instid1(VALU_DEP_1)
	v_dual_fmamk_f32 v71, v68, 0x32a5705f, v71 :: v_dual_sub_f32 v70, v70, v99
	v_add_f32_e32 v70, v70, v71
	v_cvt_i32_f32_e32 v71, v99
	s_delay_alu instid0(VALU_DEP_2) | instskip(SKIP_2) | instid1(VALU_DEP_1)
	v_exp_f32_e32 v70, v70
	s_waitcnt_depctr 0xfff
	v_ldexp_f32 v70, v70, v71
	v_cndmask_b32_e32 v70, 0, v70, vcc_lo
	v_cmp_nlt_f32_e32 vcc_lo, 0x42b17218, v68
	s_delay_alu instid0(VALU_DEP_2) | instskip(NEXT) | instid1(VALU_DEP_1)
	v_cndmask_b32_e32 v68, 0x7f800000, v70, vcc_lo
	v_add_f32_e32 v99, 1.0, v68
	s_delay_alu instid0(VALU_DEP_1) | instskip(NEXT) | instid1(VALU_DEP_1)
	v_cvt_f64_f32_e32 v[70:71], v99
	v_frexp_exp_i32_f64_e32 v70, v[70:71]
	v_frexp_mant_f32_e32 v71, v99
	s_delay_alu instid0(VALU_DEP_1) | instskip(SKIP_1) | instid1(VALU_DEP_1)
	v_cmp_gt_f32_e32 vcc_lo, 0x3f2aaaab, v71
	v_add_f32_e32 v71, -1.0, v99
	v_sub_f32_e32 v102, v71, v99
	s_delay_alu instid0(VALU_DEP_1) | instskip(SKIP_1) | instid1(VALU_DEP_1)
	v_dual_sub_f32 v71, v68, v71 :: v_dual_add_f32 v102, 1.0, v102
	v_subrev_co_ci_u32_e32 v70, vcc_lo, 0, v70, vcc_lo
	v_sub_nc_u32_e32 v100, 0, v70
	v_cvt_f32_i32_e32 v70, v70
	s_delay_alu instid0(VALU_DEP_2) | instskip(NEXT) | instid1(VALU_DEP_1)
	v_ldexp_f32 v99, v99, v100
	v_add_f32_e32 v103, 1.0, v99
	s_delay_alu instid0(VALU_DEP_1) | instskip(NEXT) | instid1(VALU_DEP_1)
	v_dual_add_f32 v71, v71, v102 :: v_dual_add_f32 v102, -1.0, v103
	v_ldexp_f32 v71, v71, v100
	v_add_f32_e32 v100, -1.0, v99
	s_delay_alu instid0(VALU_DEP_3) | instskip(NEXT) | instid1(VALU_DEP_2)
	v_sub_f32_e32 v102, v99, v102
	v_add_f32_e32 v112, 1.0, v100
	s_delay_alu instid0(VALU_DEP_2) | instskip(NEXT) | instid1(VALU_DEP_2)
	v_add_f32_e32 v102, v71, v102
	v_sub_f32_e32 v99, v99, v112
	v_cmp_eq_f32_e32 vcc_lo, 0x7f800000, v68
	s_delay_alu instid0(VALU_DEP_3) | instskip(NEXT) | instid1(VALU_DEP_3)
	v_add_f32_e32 v112, v103, v102
	v_add_f32_e32 v71, v71, v99
	s_delay_alu instid0(VALU_DEP_2) | instskip(SKIP_1) | instid1(VALU_DEP_2)
	v_rcp_f32_e32 v99, v112
	v_sub_f32_e32 v103, v103, v112
	v_add_f32_e32 v113, v100, v71
	s_delay_alu instid0(VALU_DEP_2) | instskip(NEXT) | instid1(VALU_DEP_2)
	v_add_f32_e32 v102, v102, v103
	v_sub_f32_e32 v100, v100, v113
	s_waitcnt_depctr 0xfff
	v_dual_mul_f32 v114, v113, v99 :: v_dual_add_f32 v71, v71, v100
	s_delay_alu instid0(VALU_DEP_1) | instskip(NEXT) | instid1(VALU_DEP_1)
	v_mul_f32_e32 v115, v112, v114
	v_fma_f32 v103, v114, v112, -v115
	s_delay_alu instid0(VALU_DEP_1) | instskip(NEXT) | instid1(VALU_DEP_1)
	v_fmac_f32_e32 v103, v114, v102
	v_add_f32_e32 v116, v115, v103
	s_delay_alu instid0(VALU_DEP_1) | instskip(NEXT) | instid1(VALU_DEP_1)
	v_sub_f32_e32 v117, v113, v116
	v_sub_f32_e32 v113, v113, v117
	s_delay_alu instid0(VALU_DEP_1) | instskip(NEXT) | instid1(VALU_DEP_1)
	v_dual_sub_f32 v113, v113, v116 :: v_dual_sub_f32 v100, v116, v115
	v_dual_add_f32 v71, v71, v113 :: v_dual_sub_f32 v100, v100, v103
	s_delay_alu instid0(VALU_DEP_1) | instskip(NEXT) | instid1(VALU_DEP_1)
	v_add_f32_e32 v71, v100, v71
	v_add_f32_e32 v100, v117, v71
	s_delay_alu instid0(VALU_DEP_1) | instskip(NEXT) | instid1(VALU_DEP_1)
	v_mul_f32_e32 v103, v99, v100
	v_dual_sub_f32 v116, v117, v100 :: v_dual_mul_f32 v113, v112, v103
	s_delay_alu instid0(VALU_DEP_1) | instskip(NEXT) | instid1(VALU_DEP_1)
	v_fma_f32 v112, v103, v112, -v113
	v_fmac_f32_e32 v112, v103, v102
	s_delay_alu instid0(VALU_DEP_3) | instskip(NEXT) | instid1(VALU_DEP_2)
	v_add_f32_e32 v71, v71, v116
	v_add_f32_e32 v102, v113, v112
	s_delay_alu instid0(VALU_DEP_1) | instskip(NEXT) | instid1(VALU_DEP_1)
	v_sub_f32_e32 v115, v100, v102
	v_dual_sub_f32 v113, v102, v113 :: v_dual_sub_f32 v100, v100, v115
	s_delay_alu instid0(VALU_DEP_1) | instskip(NEXT) | instid1(VALU_DEP_2)
	v_sub_f32_e32 v100, v100, v102
	v_sub_f32_e32 v102, v113, v112
	s_delay_alu instid0(VALU_DEP_2) | instskip(NEXT) | instid1(VALU_DEP_1)
	v_dual_add_f32 v71, v71, v100 :: v_dual_add_f32 v100, v114, v103
	v_dual_add_f32 v71, v102, v71 :: v_dual_sub_f32 v102, v100, v114
	s_delay_alu instid0(VALU_DEP_1) | instskip(NEXT) | instid1(VALU_DEP_2)
	v_add_f32_e32 v71, v115, v71
	v_sub_f32_e32 v102, v103, v102
	s_delay_alu instid0(VALU_DEP_2) | instskip(NEXT) | instid1(VALU_DEP_1)
	v_mul_f32_e32 v71, v99, v71
	v_add_f32_e32 v71, v102, v71
	s_delay_alu instid0(VALU_DEP_1) | instskip(NEXT) | instid1(VALU_DEP_1)
	v_add_f32_e32 v99, v100, v71
	v_mul_f32_e32 v102, v99, v99
	s_delay_alu instid0(VALU_DEP_1) | instskip(SKIP_2) | instid1(VALU_DEP_3)
	v_fmaak_f32 v103, s2, v102, 0x3ecc95a3
	v_mul_f32_e32 v112, v99, v102
	v_cmp_gt_f32_e64 s2, 0x33800000, |v68|
	v_fmaak_f32 v102, v102, v103, 0x3f2aaada
	v_ldexp_f32 v103, v99, 1
	v_sub_f32_e32 v99, v99, v100
	s_delay_alu instid0(VALU_DEP_4) | instskip(NEXT) | instid1(VALU_DEP_1)
	s_or_b32 vcc_lo, vcc_lo, s2
	v_dual_mul_f32 v102, v112, v102 :: v_dual_sub_f32 v71, v71, v99
	s_delay_alu instid0(VALU_DEP_1) | instskip(SKIP_1) | instid1(VALU_DEP_3)
	v_add_f32_e32 v100, v103, v102
	v_mul_f32_e32 v112, 0x3f317218, v70
	v_ldexp_f32 v71, v71, 1
	s_delay_alu instid0(VALU_DEP_3) | instskip(NEXT) | instid1(VALU_DEP_3)
	v_sub_f32_e32 v99, v100, v103
	v_fma_f32 v103, 0x3f317218, v70, -v112
	s_delay_alu instid0(VALU_DEP_2) | instskip(NEXT) | instid1(VALU_DEP_1)
	v_sub_f32_e32 v99, v102, v99
	v_dual_fmamk_f32 v70, v70, 0xb102e308, v103 :: v_dual_add_f32 v71, v71, v99
	s_delay_alu instid0(VALU_DEP_1) | instskip(NEXT) | instid1(VALU_DEP_2)
	v_add_f32_e32 v99, v112, v70
	v_add_f32_e32 v102, v100, v71
	s_delay_alu instid0(VALU_DEP_2) | instskip(NEXT) | instid1(VALU_DEP_1)
	v_sub_f32_e32 v112, v99, v112
	v_dual_add_f32 v103, v99, v102 :: v_dual_sub_f32 v70, v70, v112
	s_delay_alu instid0(VALU_DEP_1) | instskip(NEXT) | instid1(VALU_DEP_1)
	v_sub_f32_e32 v113, v103, v99
	v_sub_f32_e32 v114, v103, v113
	s_delay_alu instid0(VALU_DEP_1) | instskip(NEXT) | instid1(VALU_DEP_1)
	v_dual_sub_f32 v99, v99, v114 :: v_dual_sub_f32 v100, v102, v100
	v_dual_sub_f32 v71, v71, v100 :: v_dual_sub_f32 v100, v102, v113
	s_delay_alu instid0(VALU_DEP_1) | instskip(NEXT) | instid1(VALU_DEP_1)
	v_add_f32_e32 v102, v70, v71
	v_dual_add_f32 v99, v100, v99 :: v_dual_sub_f32 v100, v102, v70
	s_delay_alu instid0(VALU_DEP_1) | instskip(NEXT) | instid1(VALU_DEP_2)
	v_sub_f32_e32 v71, v71, v100
	v_add_f32_e32 v99, v102, v99
	v_sub_f32_e32 v102, v102, v100
	s_delay_alu instid0(VALU_DEP_2) | instskip(NEXT) | instid1(VALU_DEP_1)
	v_add_f32_e32 v112, v103, v99
	v_sub_f32_e32 v100, v112, v103
	s_delay_alu instid0(VALU_DEP_3) | instskip(NEXT) | instid1(VALU_DEP_1)
	v_sub_f32_e32 v70, v70, v102
	v_add_f32_e32 v70, v71, v70
	s_delay_alu instid0(VALU_DEP_3) | instskip(NEXT) | instid1(VALU_DEP_1)
	v_sub_f32_e32 v71, v99, v100
	v_add_f32_e32 v70, v70, v71
	s_delay_alu instid0(VALU_DEP_1) | instskip(NEXT) | instid1(VALU_DEP_1)
	v_add_f32_e32 v70, v112, v70
	v_cndmask_b32_e32 v68, v70, v68, vcc_lo
	s_delay_alu instid0(VALU_DEP_1) | instskip(NEXT) | instid1(VALU_DEP_1)
	v_add_f32_e32 v68, v69, v68
	v_cvt_f16_f32_e32 v99, v68
	s_delay_alu instid0(VALU_DEP_1)
	v_cvt_f32_f16_e32 v100, v99
	v_mov_b32_e32 v68, v99
.LBB410_214:
	s_or_b32 exec_lo, exec_lo, s1
	v_max_f32_e32 v69, v80, v80
	s_delay_alu instid0(VALU_DEP_3) | instskip(SKIP_1) | instid1(VALU_DEP_2)
	v_max_f32_e32 v70, v100, v100
	v_cmp_u_f16_e32 vcc_lo, v99, v99
	v_min_f32_e32 v71, v70, v69
	s_delay_alu instid0(VALU_DEP_1) | instskip(NEXT) | instid1(VALU_DEP_1)
	v_dual_max_f32 v69, v70, v69 :: v_dual_cndmask_b32 v70, v71, v100
	v_cndmask_b32_e32 v69, v69, v100, vcc_lo
	s_delay_alu instid0(VALU_DEP_2) | instskip(NEXT) | instid1(VALU_DEP_2)
	v_cndmask_b32_e64 v71, v70, v80, s11
	v_cndmask_b32_e64 v70, v69, v80, s11
	v_mov_b32_e32 v69, v68
	s_delay_alu instid0(VALU_DEP_3) | instskip(NEXT) | instid1(VALU_DEP_3)
	v_cmp_class_f32_e64 s1, v71, 0x1f8
	v_cmp_neq_f32_e32 vcc_lo, v71, v70
	s_delay_alu instid0(VALU_DEP_2) | instskip(NEXT) | instid1(SALU_CYCLE_1)
	s_or_b32 s2, vcc_lo, s1
	s_and_saveexec_b32 s1, s2
	s_cbranch_execz .LBB410_216
; %bb.215:
	v_sub_f32_e32 v69, v71, v70
	s_mov_b32 s2, 0x3e9b6dac
	s_delay_alu instid0(VALU_DEP_1) | instskip(SKIP_1) | instid1(VALU_DEP_2)
	v_mul_f32_e32 v71, 0x3fb8aa3b, v69
	v_cmp_ngt_f32_e32 vcc_lo, 0xc2ce8ed0, v69
	v_fma_f32 v80, 0x3fb8aa3b, v69, -v71
	v_rndne_f32_e32 v99, v71
	s_delay_alu instid0(VALU_DEP_1) | instskip(NEXT) | instid1(VALU_DEP_1)
	v_dual_fmamk_f32 v80, v69, 0x32a5705f, v80 :: v_dual_sub_f32 v71, v71, v99
	v_add_f32_e32 v71, v71, v80
	v_cvt_i32_f32_e32 v80, v99
	s_delay_alu instid0(VALU_DEP_2) | instskip(SKIP_2) | instid1(VALU_DEP_1)
	v_exp_f32_e32 v71, v71
	s_waitcnt_depctr 0xfff
	v_ldexp_f32 v71, v71, v80
	v_cndmask_b32_e32 v71, 0, v71, vcc_lo
	v_cmp_nlt_f32_e32 vcc_lo, 0x42b17218, v69
	s_delay_alu instid0(VALU_DEP_2) | instskip(NEXT) | instid1(VALU_DEP_1)
	v_cndmask_b32_e32 v69, 0x7f800000, v71, vcc_lo
	v_add_f32_e32 v71, 1.0, v69
	s_delay_alu instid0(VALU_DEP_1) | instskip(NEXT) | instid1(VALU_DEP_1)
	v_cvt_f64_f32_e32 v[99:100], v71
	v_frexp_exp_i32_f64_e32 v80, v[99:100]
	v_frexp_mant_f32_e32 v99, v71
	s_delay_alu instid0(VALU_DEP_1) | instskip(SKIP_1) | instid1(VALU_DEP_1)
	v_cmp_gt_f32_e32 vcc_lo, 0x3f2aaaab, v99
	v_add_f32_e32 v99, -1.0, v71
	v_sub_f32_e32 v102, v99, v71
	s_delay_alu instid0(VALU_DEP_1) | instskip(SKIP_1) | instid1(VALU_DEP_1)
	v_dual_sub_f32 v99, v69, v99 :: v_dual_add_f32 v102, 1.0, v102
	v_subrev_co_ci_u32_e32 v80, vcc_lo, 0, v80, vcc_lo
	v_sub_nc_u32_e32 v100, 0, v80
	v_cvt_f32_i32_e32 v80, v80
	s_delay_alu instid0(VALU_DEP_2) | instskip(SKIP_1) | instid1(VALU_DEP_2)
	v_ldexp_f32 v71, v71, v100
	v_add_f32_e32 v99, v99, v102
	v_add_f32_e32 v103, 1.0, v71
	s_delay_alu instid0(VALU_DEP_2) | instskip(SKIP_1) | instid1(VALU_DEP_3)
	v_ldexp_f32 v99, v99, v100
	v_add_f32_e32 v100, -1.0, v71
	v_add_f32_e32 v102, -1.0, v103
	s_delay_alu instid0(VALU_DEP_2) | instskip(NEXT) | instid1(VALU_DEP_2)
	v_add_f32_e32 v112, 1.0, v100
	v_sub_f32_e32 v102, v71, v102
	v_cmp_eq_f32_e32 vcc_lo, 0x7f800000, v69
	s_delay_alu instid0(VALU_DEP_2) | instskip(NEXT) | instid1(VALU_DEP_4)
	v_add_f32_e32 v102, v99, v102
	v_sub_f32_e32 v71, v71, v112
	s_delay_alu instid0(VALU_DEP_2) | instskip(NEXT) | instid1(VALU_DEP_1)
	v_add_f32_e32 v112, v103, v102
	v_sub_f32_e32 v103, v103, v112
	s_delay_alu instid0(VALU_DEP_1) | instskip(NEXT) | instid1(VALU_DEP_4)
	v_add_f32_e32 v102, v102, v103
	v_add_f32_e32 v71, v99, v71
	v_rcp_f32_e32 v99, v112
	s_delay_alu instid0(VALU_DEP_1) | instskip(NEXT) | instid1(VALU_DEP_1)
	v_add_f32_e32 v113, v100, v71
	v_sub_f32_e32 v100, v100, v113
	s_waitcnt_depctr 0xfff
	v_dual_mul_f32 v114, v113, v99 :: v_dual_add_f32 v71, v71, v100
	s_delay_alu instid0(VALU_DEP_1) | instskip(NEXT) | instid1(VALU_DEP_1)
	v_mul_f32_e32 v115, v112, v114
	v_fma_f32 v103, v114, v112, -v115
	s_delay_alu instid0(VALU_DEP_1) | instskip(NEXT) | instid1(VALU_DEP_1)
	v_fmac_f32_e32 v103, v114, v102
	v_add_f32_e32 v116, v115, v103
	s_delay_alu instid0(VALU_DEP_1) | instskip(NEXT) | instid1(VALU_DEP_1)
	v_sub_f32_e32 v117, v113, v116
	v_dual_sub_f32 v113, v113, v117 :: v_dual_sub_f32 v100, v116, v115
	s_delay_alu instid0(VALU_DEP_1) | instskip(NEXT) | instid1(VALU_DEP_1)
	v_dual_sub_f32 v113, v113, v116 :: v_dual_sub_f32 v100, v100, v103
	v_add_f32_e32 v71, v71, v113
	s_delay_alu instid0(VALU_DEP_1) | instskip(NEXT) | instid1(VALU_DEP_1)
	v_add_f32_e32 v71, v100, v71
	v_add_f32_e32 v100, v117, v71
	s_delay_alu instid0(VALU_DEP_1) | instskip(NEXT) | instid1(VALU_DEP_1)
	v_mul_f32_e32 v103, v99, v100
	v_dual_sub_f32 v116, v117, v100 :: v_dual_mul_f32 v113, v112, v103
	s_delay_alu instid0(VALU_DEP_1) | instskip(NEXT) | instid1(VALU_DEP_2)
	v_add_f32_e32 v71, v71, v116
	v_fma_f32 v112, v103, v112, -v113
	s_delay_alu instid0(VALU_DEP_1) | instskip(NEXT) | instid1(VALU_DEP_1)
	v_fmac_f32_e32 v112, v103, v102
	v_add_f32_e32 v102, v113, v112
	s_delay_alu instid0(VALU_DEP_1) | instskip(NEXT) | instid1(VALU_DEP_1)
	v_sub_f32_e32 v115, v100, v102
	v_dual_sub_f32 v113, v102, v113 :: v_dual_sub_f32 v100, v100, v115
	s_delay_alu instid0(VALU_DEP_1) | instskip(NEXT) | instid1(VALU_DEP_2)
	v_sub_f32_e32 v100, v100, v102
	v_sub_f32_e32 v102, v113, v112
	s_delay_alu instid0(VALU_DEP_2) | instskip(NEXT) | instid1(VALU_DEP_1)
	v_dual_add_f32 v71, v71, v100 :: v_dual_add_f32 v100, v114, v103
	v_dual_add_f32 v71, v102, v71 :: v_dual_sub_f32 v102, v100, v114
	s_delay_alu instid0(VALU_DEP_1) | instskip(NEXT) | instid1(VALU_DEP_2)
	v_add_f32_e32 v71, v115, v71
	v_sub_f32_e32 v102, v103, v102
	s_delay_alu instid0(VALU_DEP_2) | instskip(NEXT) | instid1(VALU_DEP_1)
	v_mul_f32_e32 v71, v99, v71
	v_add_f32_e32 v71, v102, v71
	s_delay_alu instid0(VALU_DEP_1) | instskip(NEXT) | instid1(VALU_DEP_1)
	v_add_f32_e32 v99, v100, v71
	v_mul_f32_e32 v102, v99, v99
	s_delay_alu instid0(VALU_DEP_1) | instskip(SKIP_2) | instid1(VALU_DEP_3)
	v_fmaak_f32 v103, s2, v102, 0x3ecc95a3
	v_mul_f32_e32 v112, v99, v102
	v_cmp_gt_f32_e64 s2, 0x33800000, |v69|
	v_fmaak_f32 v102, v102, v103, 0x3f2aaada
	v_ldexp_f32 v103, v99, 1
	v_sub_f32_e32 v99, v99, v100
	s_delay_alu instid0(VALU_DEP_4) | instskip(NEXT) | instid1(VALU_DEP_3)
	s_or_b32 vcc_lo, vcc_lo, s2
	v_mul_f32_e32 v102, v112, v102
	s_delay_alu instid0(VALU_DEP_2) | instskip(NEXT) | instid1(VALU_DEP_2)
	v_dual_mul_f32 v112, 0x3f317218, v80 :: v_dual_sub_f32 v71, v71, v99
	v_add_f32_e32 v100, v103, v102
	s_delay_alu instid0(VALU_DEP_2) | instskip(NEXT) | instid1(VALU_DEP_2)
	v_ldexp_f32 v71, v71, 1
	v_sub_f32_e32 v99, v100, v103
	s_delay_alu instid0(VALU_DEP_4) | instskip(NEXT) | instid1(VALU_DEP_1)
	v_fma_f32 v103, 0x3f317218, v80, -v112
	v_dual_sub_f32 v99, v102, v99 :: v_dual_fmamk_f32 v80, v80, 0xb102e308, v103
	s_delay_alu instid0(VALU_DEP_1) | instskip(NEXT) | instid1(VALU_DEP_2)
	v_add_f32_e32 v71, v71, v99
	v_add_f32_e32 v99, v112, v80
	s_delay_alu instid0(VALU_DEP_2) | instskip(NEXT) | instid1(VALU_DEP_2)
	v_add_f32_e32 v102, v100, v71
	v_sub_f32_e32 v112, v99, v112
	s_delay_alu instid0(VALU_DEP_2) | instskip(NEXT) | instid1(VALU_DEP_2)
	v_sub_f32_e32 v100, v102, v100
	v_sub_f32_e32 v80, v80, v112
	s_delay_alu instid0(VALU_DEP_2) | instskip(SKIP_1) | instid1(VALU_DEP_1)
	v_sub_f32_e32 v71, v71, v100
	v_add_f32_e32 v103, v99, v102
	v_sub_f32_e32 v113, v103, v99
	s_delay_alu instid0(VALU_DEP_1) | instskip(NEXT) | instid1(VALU_DEP_4)
	v_sub_f32_e32 v100, v102, v113
	v_add_f32_e32 v102, v80, v71
	v_sub_f32_e32 v114, v103, v113
	s_delay_alu instid0(VALU_DEP_1) | instskip(NEXT) | instid1(VALU_DEP_1)
	v_sub_f32_e32 v99, v99, v114
	v_dual_add_f32 v99, v100, v99 :: v_dual_sub_f32 v100, v102, v80
	s_delay_alu instid0(VALU_DEP_1) | instskip(NEXT) | instid1(VALU_DEP_2)
	v_add_f32_e32 v99, v102, v99
	v_sub_f32_e32 v102, v102, v100
	v_sub_f32_e32 v71, v71, v100
	s_delay_alu instid0(VALU_DEP_3) | instskip(NEXT) | instid1(VALU_DEP_3)
	v_add_f32_e32 v112, v103, v99
	v_sub_f32_e32 v80, v80, v102
	s_delay_alu instid0(VALU_DEP_1) | instskip(NEXT) | instid1(VALU_DEP_1)
	v_dual_sub_f32 v100, v112, v103 :: v_dual_add_f32 v71, v71, v80
	v_sub_f32_e32 v80, v99, v100
	s_delay_alu instid0(VALU_DEP_1) | instskip(NEXT) | instid1(VALU_DEP_1)
	v_add_f32_e32 v71, v71, v80
	v_add_f32_e32 v71, v112, v71
	s_delay_alu instid0(VALU_DEP_1) | instskip(NEXT) | instid1(VALU_DEP_1)
	v_cndmask_b32_e32 v69, v71, v69, vcc_lo
	v_add_f32_e32 v69, v70, v69
	s_delay_alu instid0(VALU_DEP_1) | instskip(NEXT) | instid1(VALU_DEP_1)
	v_cvt_f16_f32_e32 v99, v69
	v_cvt_f32_f16_e32 v100, v99
	v_mov_b32_e32 v69, v99
.LBB410_216:
	s_or_b32 exec_lo, exec_lo, s1
	s_delay_alu instid0(VALU_DEP_2) | instskip(SKIP_1) | instid1(VALU_DEP_2)
	v_dual_max_f32 v70, v81, v81 :: v_dual_max_f32 v71, v100, v100
	v_cmp_u_f16_e32 vcc_lo, v99, v99
	v_min_f32_e32 v80, v71, v70
	s_delay_alu instid0(VALU_DEP_1) | instskip(NEXT) | instid1(VALU_DEP_1)
	v_dual_max_f32 v70, v71, v70 :: v_dual_cndmask_b32 v71, v80, v100
	v_cndmask_b32_e32 v70, v70, v100, vcc_lo
	s_delay_alu instid0(VALU_DEP_2) | instskip(NEXT) | instid1(VALU_DEP_2)
	v_cndmask_b32_e64 v80, v71, v81, s13
	v_cndmask_b32_e64 v71, v70, v81, s13
	v_mov_b32_e32 v70, v69
	s_delay_alu instid0(VALU_DEP_3) | instskip(NEXT) | instid1(VALU_DEP_3)
	v_cmp_class_f32_e64 s1, v80, 0x1f8
	v_cmp_neq_f32_e32 vcc_lo, v80, v71
	s_delay_alu instid0(VALU_DEP_2) | instskip(NEXT) | instid1(SALU_CYCLE_1)
	s_or_b32 s2, vcc_lo, s1
	s_and_saveexec_b32 s1, s2
	s_cbranch_execz .LBB410_218
; %bb.217:
	v_sub_f32_e32 v70, v80, v71
	s_mov_b32 s2, 0x3e9b6dac
	s_delay_alu instid0(VALU_DEP_1) | instskip(SKIP_1) | instid1(VALU_DEP_2)
	v_mul_f32_e32 v80, 0x3fb8aa3b, v70
	v_cmp_ngt_f32_e32 vcc_lo, 0xc2ce8ed0, v70
	v_fma_f32 v81, 0x3fb8aa3b, v70, -v80
	v_rndne_f32_e32 v99, v80
	s_delay_alu instid0(VALU_DEP_1) | instskip(NEXT) | instid1(VALU_DEP_1)
	v_dual_fmamk_f32 v81, v70, 0x32a5705f, v81 :: v_dual_sub_f32 v80, v80, v99
	v_add_f32_e32 v80, v80, v81
	v_cvt_i32_f32_e32 v81, v99
	s_delay_alu instid0(VALU_DEP_2) | instskip(SKIP_2) | instid1(VALU_DEP_1)
	v_exp_f32_e32 v80, v80
	s_waitcnt_depctr 0xfff
	v_ldexp_f32 v80, v80, v81
	v_cndmask_b32_e32 v80, 0, v80, vcc_lo
	v_cmp_nlt_f32_e32 vcc_lo, 0x42b17218, v70
	s_delay_alu instid0(VALU_DEP_2) | instskip(NEXT) | instid1(VALU_DEP_1)
	v_cndmask_b32_e32 v70, 0x7f800000, v80, vcc_lo
	v_add_f32_e32 v99, 1.0, v70
	s_delay_alu instid0(VALU_DEP_1) | instskip(NEXT) | instid1(VALU_DEP_1)
	v_cvt_f64_f32_e32 v[80:81], v99
	v_frexp_exp_i32_f64_e32 v80, v[80:81]
	v_frexp_mant_f32_e32 v81, v99
	s_delay_alu instid0(VALU_DEP_1) | instskip(SKIP_1) | instid1(VALU_DEP_1)
	v_cmp_gt_f32_e32 vcc_lo, 0x3f2aaaab, v81
	v_add_f32_e32 v81, -1.0, v99
	v_sub_f32_e32 v102, v81, v99
	s_delay_alu instid0(VALU_DEP_1) | instskip(SKIP_1) | instid1(VALU_DEP_1)
	v_add_f32_e32 v102, 1.0, v102
	v_subrev_co_ci_u32_e32 v80, vcc_lo, 0, v80, vcc_lo
	v_sub_nc_u32_e32 v100, 0, v80
	v_cvt_f32_i32_e32 v80, v80
	s_delay_alu instid0(VALU_DEP_2) | instskip(NEXT) | instid1(VALU_DEP_1)
	v_ldexp_f32 v99, v99, v100
	v_add_f32_e32 v103, 1.0, v99
	v_sub_f32_e32 v81, v70, v81
	v_cmp_eq_f32_e32 vcc_lo, 0x7f800000, v70
	s_delay_alu instid0(VALU_DEP_2) | instskip(NEXT) | instid1(VALU_DEP_1)
	v_add_f32_e32 v81, v81, v102
	v_ldexp_f32 v81, v81, v100
	v_add_f32_e32 v100, -1.0, v99
	v_add_f32_e32 v102, -1.0, v103
	s_delay_alu instid0(VALU_DEP_2) | instskip(NEXT) | instid1(VALU_DEP_2)
	v_add_f32_e32 v112, 1.0, v100
	v_sub_f32_e32 v102, v99, v102
	s_delay_alu instid0(VALU_DEP_1) | instskip(NEXT) | instid1(VALU_DEP_1)
	v_dual_sub_f32 v99, v99, v112 :: v_dual_add_f32 v102, v81, v102
	v_dual_add_f32 v81, v81, v99 :: v_dual_add_f32 v112, v103, v102
	s_delay_alu instid0(VALU_DEP_1) | instskip(SKIP_1) | instid1(VALU_DEP_1)
	v_rcp_f32_e32 v99, v112
	v_sub_f32_e32 v103, v103, v112
	v_dual_add_f32 v113, v100, v81 :: v_dual_add_f32 v102, v102, v103
	s_delay_alu instid0(VALU_DEP_1) | instskip(SKIP_3) | instid1(VALU_DEP_2)
	v_sub_f32_e32 v100, v100, v113
	s_waitcnt_depctr 0xfff
	v_mul_f32_e32 v114, v113, v99
	v_add_f32_e32 v81, v81, v100
	v_mul_f32_e32 v115, v112, v114
	s_delay_alu instid0(VALU_DEP_1) | instskip(NEXT) | instid1(VALU_DEP_1)
	v_fma_f32 v103, v114, v112, -v115
	v_fmac_f32_e32 v103, v114, v102
	s_delay_alu instid0(VALU_DEP_1) | instskip(NEXT) | instid1(VALU_DEP_1)
	v_add_f32_e32 v116, v115, v103
	v_sub_f32_e32 v117, v113, v116
	s_delay_alu instid0(VALU_DEP_1) | instskip(NEXT) | instid1(VALU_DEP_1)
	v_sub_f32_e32 v113, v113, v117
	v_dual_sub_f32 v113, v113, v116 :: v_dual_sub_f32 v100, v116, v115
	s_delay_alu instid0(VALU_DEP_1) | instskip(NEXT) | instid1(VALU_DEP_1)
	v_dual_add_f32 v81, v81, v113 :: v_dual_sub_f32 v100, v100, v103
	v_add_f32_e32 v81, v100, v81
	s_delay_alu instid0(VALU_DEP_1) | instskip(NEXT) | instid1(VALU_DEP_1)
	v_add_f32_e32 v100, v117, v81
	v_mul_f32_e32 v103, v99, v100
	s_delay_alu instid0(VALU_DEP_1) | instskip(NEXT) | instid1(VALU_DEP_1)
	v_dual_mul_f32 v113, v112, v103 :: v_dual_sub_f32 v116, v117, v100
	v_fma_f32 v112, v103, v112, -v113
	s_delay_alu instid0(VALU_DEP_1) | instskip(NEXT) | instid1(VALU_DEP_1)
	v_dual_add_f32 v81, v81, v116 :: v_dual_fmac_f32 v112, v103, v102
	v_add_f32_e32 v102, v113, v112
	s_delay_alu instid0(VALU_DEP_1) | instskip(NEXT) | instid1(VALU_DEP_1)
	v_sub_f32_e32 v115, v100, v102
	v_dual_sub_f32 v113, v102, v113 :: v_dual_sub_f32 v100, v100, v115
	s_delay_alu instid0(VALU_DEP_1) | instskip(NEXT) | instid1(VALU_DEP_1)
	v_sub_f32_e32 v100, v100, v102
	v_dual_add_f32 v81, v81, v100 :: v_dual_add_f32 v100, v114, v103
	s_delay_alu instid0(VALU_DEP_3) | instskip(NEXT) | instid1(VALU_DEP_1)
	v_sub_f32_e32 v102, v113, v112
	v_dual_add_f32 v81, v102, v81 :: v_dual_sub_f32 v102, v100, v114
	s_delay_alu instid0(VALU_DEP_1) | instskip(NEXT) | instid1(VALU_DEP_2)
	v_add_f32_e32 v81, v115, v81
	v_sub_f32_e32 v102, v103, v102
	s_delay_alu instid0(VALU_DEP_2) | instskip(NEXT) | instid1(VALU_DEP_1)
	v_mul_f32_e32 v81, v99, v81
	v_add_f32_e32 v81, v102, v81
	s_delay_alu instid0(VALU_DEP_1) | instskip(NEXT) | instid1(VALU_DEP_1)
	v_add_f32_e32 v99, v100, v81
	v_mul_f32_e32 v102, v99, v99
	s_delay_alu instid0(VALU_DEP_1) | instskip(SKIP_2) | instid1(VALU_DEP_3)
	v_fmaak_f32 v103, s2, v102, 0x3ecc95a3
	v_mul_f32_e32 v112, v99, v102
	v_cmp_gt_f32_e64 s2, 0x33800000, |v70|
	v_fmaak_f32 v102, v102, v103, 0x3f2aaada
	v_ldexp_f32 v103, v99, 1
	v_sub_f32_e32 v99, v99, v100
	s_delay_alu instid0(VALU_DEP_4) | instskip(NEXT) | instid1(VALU_DEP_1)
	s_or_b32 vcc_lo, vcc_lo, s2
	v_sub_f32_e32 v81, v81, v99
	s_delay_alu instid0(VALU_DEP_1) | instskip(SKIP_1) | instid1(VALU_DEP_1)
	v_ldexp_f32 v81, v81, 1
	v_mul_f32_e32 v102, v112, v102
	v_add_f32_e32 v100, v103, v102
	s_delay_alu instid0(VALU_DEP_1) | instskip(NEXT) | instid1(VALU_DEP_1)
	v_sub_f32_e32 v99, v100, v103
	v_sub_f32_e32 v99, v102, v99
	s_delay_alu instid0(VALU_DEP_1) | instskip(NEXT) | instid1(VALU_DEP_1)
	v_add_f32_e32 v81, v81, v99
	v_add_f32_e32 v102, v100, v81
	v_mul_f32_e32 v112, 0x3f317218, v80
	s_delay_alu instid0(VALU_DEP_1) | instskip(NEXT) | instid1(VALU_DEP_1)
	v_fma_f32 v103, 0x3f317218, v80, -v112
	v_fmamk_f32 v80, v80, 0xb102e308, v103
	s_delay_alu instid0(VALU_DEP_1) | instskip(NEXT) | instid1(VALU_DEP_1)
	v_add_f32_e32 v99, v112, v80
	v_add_f32_e32 v103, v99, v102
	s_delay_alu instid0(VALU_DEP_1) | instskip(NEXT) | instid1(VALU_DEP_1)
	v_sub_f32_e32 v113, v103, v99
	v_sub_f32_e32 v114, v103, v113
	;; [unrolled: 1-line block ×3, first 2 shown]
	s_delay_alu instid0(VALU_DEP_1) | instskip(SKIP_1) | instid1(VALU_DEP_4)
	v_dual_sub_f32 v81, v81, v100 :: v_dual_sub_f32 v100, v102, v113
	v_sub_f32_e32 v112, v99, v112
	v_sub_f32_e32 v99, v99, v114
	s_delay_alu instid0(VALU_DEP_1) | instskip(NEXT) | instid1(VALU_DEP_3)
	v_add_f32_e32 v99, v100, v99
	v_sub_f32_e32 v80, v80, v112
	s_delay_alu instid0(VALU_DEP_1) | instskip(NEXT) | instid1(VALU_DEP_1)
	v_add_f32_e32 v102, v80, v81
	v_add_f32_e32 v99, v102, v99
	v_sub_f32_e32 v100, v102, v80
	s_delay_alu instid0(VALU_DEP_1) | instskip(SKIP_1) | instid1(VALU_DEP_2)
	v_dual_add_f32 v112, v103, v99 :: v_dual_sub_f32 v81, v81, v100
	v_sub_f32_e32 v102, v102, v100
	v_sub_f32_e32 v100, v112, v103
	s_delay_alu instid0(VALU_DEP_2) | instskip(NEXT) | instid1(VALU_DEP_1)
	v_sub_f32_e32 v80, v80, v102
	v_add_f32_e32 v80, v81, v80
	s_delay_alu instid0(VALU_DEP_3) | instskip(NEXT) | instid1(VALU_DEP_1)
	v_sub_f32_e32 v81, v99, v100
	v_add_f32_e32 v80, v80, v81
	s_delay_alu instid0(VALU_DEP_1) | instskip(NEXT) | instid1(VALU_DEP_1)
	v_add_f32_e32 v80, v112, v80
	v_cndmask_b32_e32 v70, v80, v70, vcc_lo
	s_delay_alu instid0(VALU_DEP_1) | instskip(NEXT) | instid1(VALU_DEP_1)
	v_add_f32_e32 v70, v71, v70
	v_cvt_f16_f32_e32 v99, v70
	s_delay_alu instid0(VALU_DEP_1)
	v_cvt_f32_f16_e32 v100, v99
	v_mov_b32_e32 v70, v99
.LBB410_218:
	s_or_b32 exec_lo, exec_lo, s1
	s_delay_alu instid0(VALU_DEP_2) | instskip(SKIP_1) | instid1(VALU_DEP_2)
	v_dual_max_f32 v71, v82, v82 :: v_dual_max_f32 v80, v100, v100
	v_cmp_u_f16_e32 vcc_lo, v99, v99
	v_min_f32_e32 v81, v80, v71
	s_delay_alu instid0(VALU_DEP_1) | instskip(NEXT) | instid1(VALU_DEP_1)
	v_dual_max_f32 v71, v80, v71 :: v_dual_cndmask_b32 v80, v81, v100
	v_cndmask_b32_e32 v71, v71, v100, vcc_lo
	s_delay_alu instid0(VALU_DEP_2) | instskip(NEXT) | instid1(VALU_DEP_2)
	v_cndmask_b32_e64 v81, v80, v82, s14
	v_cndmask_b32_e64 v80, v71, v82, s14
	v_mov_b32_e32 v71, v70
	s_delay_alu instid0(VALU_DEP_3) | instskip(NEXT) | instid1(VALU_DEP_3)
	v_cmp_class_f32_e64 s1, v81, 0x1f8
	v_cmp_neq_f32_e32 vcc_lo, v81, v80
	s_delay_alu instid0(VALU_DEP_2) | instskip(NEXT) | instid1(SALU_CYCLE_1)
	s_or_b32 s2, vcc_lo, s1
	s_and_saveexec_b32 s1, s2
	s_cbranch_execz .LBB410_220
; %bb.219:
	v_sub_f32_e32 v71, v81, v80
	s_mov_b32 s2, 0x3e9b6dac
	s_delay_alu instid0(VALU_DEP_1) | instskip(SKIP_1) | instid1(VALU_DEP_2)
	v_mul_f32_e32 v81, 0x3fb8aa3b, v71
	v_cmp_ngt_f32_e32 vcc_lo, 0xc2ce8ed0, v71
	v_fma_f32 v82, 0x3fb8aa3b, v71, -v81
	v_rndne_f32_e32 v99, v81
	s_delay_alu instid0(VALU_DEP_1) | instskip(NEXT) | instid1(VALU_DEP_1)
	v_dual_fmamk_f32 v82, v71, 0x32a5705f, v82 :: v_dual_sub_f32 v81, v81, v99
	v_add_f32_e32 v81, v81, v82
	v_cvt_i32_f32_e32 v82, v99
	s_delay_alu instid0(VALU_DEP_2) | instskip(SKIP_2) | instid1(VALU_DEP_1)
	v_exp_f32_e32 v81, v81
	s_waitcnt_depctr 0xfff
	v_ldexp_f32 v81, v81, v82
	v_cndmask_b32_e32 v81, 0, v81, vcc_lo
	v_cmp_nlt_f32_e32 vcc_lo, 0x42b17218, v71
	s_delay_alu instid0(VALU_DEP_2) | instskip(NEXT) | instid1(VALU_DEP_1)
	v_cndmask_b32_e32 v71, 0x7f800000, v81, vcc_lo
	v_add_f32_e32 v99, 1.0, v71
	s_delay_alu instid0(VALU_DEP_1) | instskip(NEXT) | instid1(VALU_DEP_1)
	v_cvt_f64_f32_e32 v[81:82], v99
	v_frexp_exp_i32_f64_e32 v81, v[81:82]
	v_frexp_mant_f32_e32 v82, v99
	s_delay_alu instid0(VALU_DEP_1) | instskip(SKIP_1) | instid1(VALU_DEP_1)
	v_cmp_gt_f32_e32 vcc_lo, 0x3f2aaaab, v82
	v_add_f32_e32 v82, -1.0, v99
	v_sub_f32_e32 v102, v82, v99
	v_sub_f32_e32 v82, v71, v82
	s_delay_alu instid0(VALU_DEP_2) | instskip(NEXT) | instid1(VALU_DEP_1)
	v_add_f32_e32 v102, 1.0, v102
	v_add_f32_e32 v82, v82, v102
	v_subrev_co_ci_u32_e32 v81, vcc_lo, 0, v81, vcc_lo
	v_cmp_eq_f32_e32 vcc_lo, 0x7f800000, v71
	s_delay_alu instid0(VALU_DEP_2) | instskip(SKIP_1) | instid1(VALU_DEP_2)
	v_sub_nc_u32_e32 v100, 0, v81
	v_cvt_f32_i32_e32 v81, v81
	v_ldexp_f32 v99, v99, v100
	v_ldexp_f32 v82, v82, v100
	s_delay_alu instid0(VALU_DEP_2) | instskip(SKIP_1) | instid1(VALU_DEP_1)
	v_add_f32_e32 v103, 1.0, v99
	v_add_f32_e32 v100, -1.0, v99
	v_add_f32_e32 v112, 1.0, v100
	s_delay_alu instid0(VALU_DEP_3) | instskip(NEXT) | instid1(VALU_DEP_1)
	v_add_f32_e32 v102, -1.0, v103
	v_sub_f32_e32 v102, v99, v102
	s_delay_alu instid0(VALU_DEP_1) | instskip(NEXT) | instid1(VALU_DEP_1)
	v_dual_sub_f32 v99, v99, v112 :: v_dual_add_f32 v102, v82, v102
	v_add_f32_e32 v112, v103, v102
	s_delay_alu instid0(VALU_DEP_2) | instskip(NEXT) | instid1(VALU_DEP_2)
	v_add_f32_e32 v82, v82, v99
	v_rcp_f32_e32 v99, v112
	v_sub_f32_e32 v103, v103, v112
	s_delay_alu instid0(VALU_DEP_1) | instskip(NEXT) | instid1(VALU_DEP_1)
	v_dual_add_f32 v113, v100, v82 :: v_dual_add_f32 v102, v102, v103
	v_sub_f32_e32 v100, v100, v113
	s_waitcnt_depctr 0xfff
	v_mul_f32_e32 v114, v113, v99
	s_delay_alu instid0(VALU_DEP_1) | instskip(NEXT) | instid1(VALU_DEP_1)
	v_mul_f32_e32 v115, v112, v114
	v_fma_f32 v103, v114, v112, -v115
	s_delay_alu instid0(VALU_DEP_1) | instskip(NEXT) | instid1(VALU_DEP_1)
	v_fmac_f32_e32 v103, v114, v102
	v_add_f32_e32 v116, v115, v103
	s_delay_alu instid0(VALU_DEP_1) | instskip(NEXT) | instid1(VALU_DEP_1)
	v_sub_f32_e32 v117, v113, v116
	v_dual_sub_f32 v113, v113, v117 :: v_dual_add_f32 v82, v82, v100
	s_delay_alu instid0(VALU_DEP_1) | instskip(NEXT) | instid1(VALU_DEP_1)
	v_dual_sub_f32 v100, v116, v115 :: v_dual_sub_f32 v113, v113, v116
	v_sub_f32_e32 v100, v100, v103
	s_delay_alu instid0(VALU_DEP_2) | instskip(NEXT) | instid1(VALU_DEP_1)
	v_add_f32_e32 v82, v82, v113
	v_add_f32_e32 v82, v100, v82
	s_delay_alu instid0(VALU_DEP_1) | instskip(NEXT) | instid1(VALU_DEP_1)
	v_add_f32_e32 v100, v117, v82
	v_mul_f32_e32 v103, v99, v100
	s_delay_alu instid0(VALU_DEP_1) | instskip(NEXT) | instid1(VALU_DEP_1)
	v_dual_sub_f32 v116, v117, v100 :: v_dual_mul_f32 v113, v112, v103
	v_add_f32_e32 v82, v82, v116
	s_delay_alu instid0(VALU_DEP_2) | instskip(NEXT) | instid1(VALU_DEP_1)
	v_fma_f32 v112, v103, v112, -v113
	v_fmac_f32_e32 v112, v103, v102
	s_delay_alu instid0(VALU_DEP_1) | instskip(NEXT) | instid1(VALU_DEP_1)
	v_add_f32_e32 v102, v113, v112
	v_sub_f32_e32 v115, v100, v102
	s_delay_alu instid0(VALU_DEP_1) | instskip(NEXT) | instid1(VALU_DEP_1)
	v_dual_sub_f32 v113, v102, v113 :: v_dual_sub_f32 v100, v100, v115
	v_sub_f32_e32 v100, v100, v102
	s_delay_alu instid0(VALU_DEP_2) | instskip(NEXT) | instid1(VALU_DEP_2)
	v_sub_f32_e32 v102, v113, v112
	v_add_f32_e32 v82, v82, v100
	v_add_f32_e32 v100, v114, v103
	s_delay_alu instid0(VALU_DEP_2) | instskip(NEXT) | instid1(VALU_DEP_2)
	v_add_f32_e32 v82, v102, v82
	v_sub_f32_e32 v102, v100, v114
	s_delay_alu instid0(VALU_DEP_2) | instskip(NEXT) | instid1(VALU_DEP_2)
	v_add_f32_e32 v82, v115, v82
	v_sub_f32_e32 v102, v103, v102
	s_delay_alu instid0(VALU_DEP_2) | instskip(NEXT) | instid1(VALU_DEP_1)
	v_mul_f32_e32 v82, v99, v82
	v_add_f32_e32 v82, v102, v82
	s_delay_alu instid0(VALU_DEP_1) | instskip(NEXT) | instid1(VALU_DEP_1)
	v_add_f32_e32 v99, v100, v82
	v_mul_f32_e32 v102, v99, v99
	s_delay_alu instid0(VALU_DEP_1) | instskip(SKIP_2) | instid1(VALU_DEP_3)
	v_fmaak_f32 v103, s2, v102, 0x3ecc95a3
	v_mul_f32_e32 v112, v99, v102
	v_cmp_gt_f32_e64 s2, 0x33800000, |v71|
	v_fmaak_f32 v102, v102, v103, 0x3f2aaada
	v_ldexp_f32 v103, v99, 1
	v_sub_f32_e32 v99, v99, v100
	s_delay_alu instid0(VALU_DEP_4) | instskip(NEXT) | instid1(VALU_DEP_3)
	s_or_b32 vcc_lo, vcc_lo, s2
	v_mul_f32_e32 v102, v112, v102
	v_mul_f32_e32 v112, 0x3f317218, v81
	s_delay_alu instid0(VALU_DEP_3) | instskip(NEXT) | instid1(VALU_DEP_3)
	v_sub_f32_e32 v82, v82, v99
	v_add_f32_e32 v100, v103, v102
	s_delay_alu instid0(VALU_DEP_2) | instskip(NEXT) | instid1(VALU_DEP_2)
	v_ldexp_f32 v82, v82, 1
	v_sub_f32_e32 v99, v100, v103
	v_fma_f32 v103, 0x3f317218, v81, -v112
	s_delay_alu instid0(VALU_DEP_2) | instskip(NEXT) | instid1(VALU_DEP_1)
	v_sub_f32_e32 v99, v102, v99
	v_dual_fmamk_f32 v81, v81, 0xb102e308, v103 :: v_dual_add_f32 v82, v82, v99
	s_delay_alu instid0(VALU_DEP_1) | instskip(NEXT) | instid1(VALU_DEP_2)
	v_add_f32_e32 v99, v112, v81
	v_add_f32_e32 v102, v100, v82
	s_delay_alu instid0(VALU_DEP_2) | instskip(NEXT) | instid1(VALU_DEP_2)
	v_sub_f32_e32 v112, v99, v112
	v_dual_add_f32 v103, v99, v102 :: v_dual_sub_f32 v100, v102, v100
	s_delay_alu instid0(VALU_DEP_2) | instskip(NEXT) | instid1(VALU_DEP_2)
	v_sub_f32_e32 v81, v81, v112
	v_dual_sub_f32 v113, v103, v99 :: v_dual_sub_f32 v82, v82, v100
	s_delay_alu instid0(VALU_DEP_1) | instskip(SKIP_1) | instid1(VALU_DEP_3)
	v_sub_f32_e32 v114, v103, v113
	v_sub_f32_e32 v100, v102, v113
	v_add_f32_e32 v102, v81, v82
	s_delay_alu instid0(VALU_DEP_3) | instskip(NEXT) | instid1(VALU_DEP_1)
	v_sub_f32_e32 v99, v99, v114
	v_dual_add_f32 v99, v100, v99 :: v_dual_sub_f32 v100, v102, v81
	s_delay_alu instid0(VALU_DEP_1) | instskip(NEXT) | instid1(VALU_DEP_2)
	v_add_f32_e32 v99, v102, v99
	v_sub_f32_e32 v102, v102, v100
	v_sub_f32_e32 v82, v82, v100
	s_delay_alu instid0(VALU_DEP_2) | instskip(NEXT) | instid1(VALU_DEP_1)
	v_dual_add_f32 v112, v103, v99 :: v_dual_sub_f32 v81, v81, v102
	v_dual_sub_f32 v100, v112, v103 :: v_dual_add_f32 v81, v82, v81
	s_delay_alu instid0(VALU_DEP_1) | instskip(NEXT) | instid1(VALU_DEP_1)
	v_sub_f32_e32 v82, v99, v100
	v_add_f32_e32 v81, v81, v82
	s_delay_alu instid0(VALU_DEP_1) | instskip(NEXT) | instid1(VALU_DEP_1)
	v_add_f32_e32 v81, v112, v81
	v_cndmask_b32_e32 v71, v81, v71, vcc_lo
	s_delay_alu instid0(VALU_DEP_1) | instskip(NEXT) | instid1(VALU_DEP_1)
	v_add_f32_e32 v71, v80, v71
	v_cvt_f16_f32_e32 v99, v71
	s_delay_alu instid0(VALU_DEP_1)
	v_cvt_f32_f16_e32 v100, v99
	v_mov_b32_e32 v71, v99
.LBB410_220:
	s_or_b32 exec_lo, exec_lo, s1
	s_delay_alu instid0(VALU_DEP_2) | instskip(SKIP_1) | instid1(VALU_DEP_2)
	v_dual_max_f32 v80, v83, v83 :: v_dual_max_f32 v81, v100, v100
	v_cmp_u_f16_e32 vcc_lo, v99, v99
	v_min_f32_e32 v82, v81, v80
	v_max_f32_e32 v80, v81, v80
	s_delay_alu instid0(VALU_DEP_2) | instskip(NEXT) | instid1(VALU_DEP_2)
	v_cndmask_b32_e32 v81, v82, v100, vcc_lo
	v_cndmask_b32_e32 v80, v80, v100, vcc_lo
	s_delay_alu instid0(VALU_DEP_2) | instskip(NEXT) | instid1(VALU_DEP_2)
	v_cndmask_b32_e64 v82, v81, v83, s15
	v_cndmask_b32_e64 v81, v80, v83, s15
	v_mov_b32_e32 v80, v71
	s_delay_alu instid0(VALU_DEP_3) | instskip(NEXT) | instid1(VALU_DEP_3)
	v_cmp_class_f32_e64 s1, v82, 0x1f8
	v_cmp_neq_f32_e32 vcc_lo, v82, v81
	s_delay_alu instid0(VALU_DEP_2) | instskip(NEXT) | instid1(SALU_CYCLE_1)
	s_or_b32 s2, vcc_lo, s1
	s_and_saveexec_b32 s1, s2
	s_cbranch_execz .LBB410_222
; %bb.221:
	v_sub_f32_e32 v80, v82, v81
	s_mov_b32 s2, 0x3e9b6dac
	s_delay_alu instid0(VALU_DEP_1) | instskip(SKIP_1) | instid1(VALU_DEP_2)
	v_mul_f32_e32 v82, 0x3fb8aa3b, v80
	v_cmp_ngt_f32_e32 vcc_lo, 0xc2ce8ed0, v80
	v_fma_f32 v83, 0x3fb8aa3b, v80, -v82
	v_rndne_f32_e32 v99, v82
	s_delay_alu instid0(VALU_DEP_1) | instskip(NEXT) | instid1(VALU_DEP_1)
	v_dual_fmamk_f32 v83, v80, 0x32a5705f, v83 :: v_dual_sub_f32 v82, v82, v99
	v_add_f32_e32 v82, v82, v83
	v_cvt_i32_f32_e32 v83, v99
	s_delay_alu instid0(VALU_DEP_2) | instskip(SKIP_2) | instid1(VALU_DEP_1)
	v_exp_f32_e32 v82, v82
	s_waitcnt_depctr 0xfff
	v_ldexp_f32 v82, v82, v83
	v_cndmask_b32_e32 v82, 0, v82, vcc_lo
	v_cmp_nlt_f32_e32 vcc_lo, 0x42b17218, v80
	s_delay_alu instid0(VALU_DEP_2) | instskip(NEXT) | instid1(VALU_DEP_1)
	v_cndmask_b32_e32 v80, 0x7f800000, v82, vcc_lo
	v_add_f32_e32 v99, 1.0, v80
	s_delay_alu instid0(VALU_DEP_1) | instskip(NEXT) | instid1(VALU_DEP_1)
	v_cvt_f64_f32_e32 v[82:83], v99
	v_frexp_exp_i32_f64_e32 v82, v[82:83]
	v_frexp_mant_f32_e32 v83, v99
	s_delay_alu instid0(VALU_DEP_1) | instskip(SKIP_1) | instid1(VALU_DEP_1)
	v_cmp_gt_f32_e32 vcc_lo, 0x3f2aaaab, v83
	v_add_f32_e32 v83, -1.0, v99
	v_sub_f32_e32 v102, v83, v99
	s_delay_alu instid0(VALU_DEP_1) | instskip(SKIP_1) | instid1(VALU_DEP_1)
	v_dual_sub_f32 v83, v80, v83 :: v_dual_add_f32 v102, 1.0, v102
	v_subrev_co_ci_u32_e32 v82, vcc_lo, 0, v82, vcc_lo
	v_sub_nc_u32_e32 v100, 0, v82
	v_cvt_f32_i32_e32 v82, v82
	s_delay_alu instid0(VALU_DEP_2) | instskip(NEXT) | instid1(VALU_DEP_1)
	v_ldexp_f32 v99, v99, v100
	v_add_f32_e32 v103, 1.0, v99
	s_delay_alu instid0(VALU_DEP_1) | instskip(NEXT) | instid1(VALU_DEP_1)
	v_dual_add_f32 v83, v83, v102 :: v_dual_add_f32 v102, -1.0, v103
	v_ldexp_f32 v83, v83, v100
	v_add_f32_e32 v100, -1.0, v99
	s_delay_alu instid0(VALU_DEP_3) | instskip(NEXT) | instid1(VALU_DEP_2)
	v_sub_f32_e32 v102, v99, v102
	v_add_f32_e32 v112, 1.0, v100
	s_delay_alu instid0(VALU_DEP_2) | instskip(NEXT) | instid1(VALU_DEP_2)
	v_add_f32_e32 v102, v83, v102
	v_sub_f32_e32 v99, v99, v112
	v_cmp_eq_f32_e32 vcc_lo, 0x7f800000, v80
	s_delay_alu instid0(VALU_DEP_3) | instskip(NEXT) | instid1(VALU_DEP_3)
	v_add_f32_e32 v112, v103, v102
	v_add_f32_e32 v83, v83, v99
	s_delay_alu instid0(VALU_DEP_2) | instskip(SKIP_1) | instid1(VALU_DEP_2)
	v_rcp_f32_e32 v99, v112
	v_sub_f32_e32 v103, v103, v112
	v_add_f32_e32 v113, v100, v83
	s_delay_alu instid0(VALU_DEP_2) | instskip(NEXT) | instid1(VALU_DEP_2)
	v_add_f32_e32 v102, v102, v103
	v_sub_f32_e32 v100, v100, v113
	s_waitcnt_depctr 0xfff
	v_dual_mul_f32 v114, v113, v99 :: v_dual_add_f32 v83, v83, v100
	s_delay_alu instid0(VALU_DEP_1) | instskip(NEXT) | instid1(VALU_DEP_1)
	v_mul_f32_e32 v115, v112, v114
	v_fma_f32 v103, v114, v112, -v115
	s_delay_alu instid0(VALU_DEP_1) | instskip(NEXT) | instid1(VALU_DEP_1)
	v_fmac_f32_e32 v103, v114, v102
	v_add_f32_e32 v116, v115, v103
	s_delay_alu instid0(VALU_DEP_1) | instskip(NEXT) | instid1(VALU_DEP_1)
	v_sub_f32_e32 v117, v113, v116
	v_sub_f32_e32 v113, v113, v117
	s_delay_alu instid0(VALU_DEP_1) | instskip(NEXT) | instid1(VALU_DEP_1)
	v_dual_sub_f32 v113, v113, v116 :: v_dual_sub_f32 v100, v116, v115
	v_dual_add_f32 v83, v83, v113 :: v_dual_sub_f32 v100, v100, v103
	s_delay_alu instid0(VALU_DEP_1) | instskip(NEXT) | instid1(VALU_DEP_1)
	v_add_f32_e32 v83, v100, v83
	v_add_f32_e32 v100, v117, v83
	s_delay_alu instid0(VALU_DEP_1) | instskip(NEXT) | instid1(VALU_DEP_1)
	v_mul_f32_e32 v103, v99, v100
	v_dual_sub_f32 v116, v117, v100 :: v_dual_mul_f32 v113, v112, v103
	s_delay_alu instid0(VALU_DEP_1) | instskip(NEXT) | instid1(VALU_DEP_1)
	v_fma_f32 v112, v103, v112, -v113
	v_fmac_f32_e32 v112, v103, v102
	s_delay_alu instid0(VALU_DEP_3) | instskip(NEXT) | instid1(VALU_DEP_2)
	v_add_f32_e32 v83, v83, v116
	v_add_f32_e32 v102, v113, v112
	s_delay_alu instid0(VALU_DEP_1) | instskip(NEXT) | instid1(VALU_DEP_1)
	v_sub_f32_e32 v115, v100, v102
	v_dual_sub_f32 v113, v102, v113 :: v_dual_sub_f32 v100, v100, v115
	s_delay_alu instid0(VALU_DEP_1) | instskip(NEXT) | instid1(VALU_DEP_2)
	v_sub_f32_e32 v100, v100, v102
	v_sub_f32_e32 v102, v113, v112
	s_delay_alu instid0(VALU_DEP_2) | instskip(NEXT) | instid1(VALU_DEP_1)
	v_dual_add_f32 v83, v83, v100 :: v_dual_add_f32 v100, v114, v103
	v_dual_add_f32 v83, v102, v83 :: v_dual_sub_f32 v102, v100, v114
	s_delay_alu instid0(VALU_DEP_1) | instskip(NEXT) | instid1(VALU_DEP_2)
	v_add_f32_e32 v83, v115, v83
	v_sub_f32_e32 v102, v103, v102
	s_delay_alu instid0(VALU_DEP_2) | instskip(NEXT) | instid1(VALU_DEP_1)
	v_mul_f32_e32 v83, v99, v83
	v_add_f32_e32 v83, v102, v83
	s_delay_alu instid0(VALU_DEP_1) | instskip(NEXT) | instid1(VALU_DEP_1)
	v_add_f32_e32 v99, v100, v83
	v_mul_f32_e32 v102, v99, v99
	s_delay_alu instid0(VALU_DEP_1) | instskip(SKIP_2) | instid1(VALU_DEP_3)
	v_fmaak_f32 v103, s2, v102, 0x3ecc95a3
	v_mul_f32_e32 v112, v99, v102
	v_cmp_gt_f32_e64 s2, 0x33800000, |v80|
	v_fmaak_f32 v102, v102, v103, 0x3f2aaada
	v_ldexp_f32 v103, v99, 1
	v_sub_f32_e32 v99, v99, v100
	s_delay_alu instid0(VALU_DEP_4) | instskip(NEXT) | instid1(VALU_DEP_1)
	s_or_b32 vcc_lo, vcc_lo, s2
	v_dual_mul_f32 v102, v112, v102 :: v_dual_sub_f32 v83, v83, v99
	s_delay_alu instid0(VALU_DEP_1) | instskip(SKIP_1) | instid1(VALU_DEP_3)
	v_add_f32_e32 v100, v103, v102
	v_mul_f32_e32 v112, 0x3f317218, v82
	v_ldexp_f32 v83, v83, 1
	s_delay_alu instid0(VALU_DEP_3) | instskip(NEXT) | instid1(VALU_DEP_3)
	v_sub_f32_e32 v99, v100, v103
	v_fma_f32 v103, 0x3f317218, v82, -v112
	s_delay_alu instid0(VALU_DEP_2) | instskip(NEXT) | instid1(VALU_DEP_1)
	v_sub_f32_e32 v99, v102, v99
	v_dual_fmamk_f32 v82, v82, 0xb102e308, v103 :: v_dual_add_f32 v83, v83, v99
	s_delay_alu instid0(VALU_DEP_1) | instskip(NEXT) | instid1(VALU_DEP_2)
	v_add_f32_e32 v99, v112, v82
	v_add_f32_e32 v102, v100, v83
	s_delay_alu instid0(VALU_DEP_2) | instskip(NEXT) | instid1(VALU_DEP_1)
	v_sub_f32_e32 v112, v99, v112
	v_dual_add_f32 v103, v99, v102 :: v_dual_sub_f32 v82, v82, v112
	s_delay_alu instid0(VALU_DEP_1) | instskip(NEXT) | instid1(VALU_DEP_1)
	v_sub_f32_e32 v113, v103, v99
	v_sub_f32_e32 v114, v103, v113
	s_delay_alu instid0(VALU_DEP_1) | instskip(NEXT) | instid1(VALU_DEP_1)
	v_dual_sub_f32 v99, v99, v114 :: v_dual_sub_f32 v100, v102, v100
	v_dual_sub_f32 v83, v83, v100 :: v_dual_sub_f32 v100, v102, v113
	s_delay_alu instid0(VALU_DEP_1) | instskip(NEXT) | instid1(VALU_DEP_1)
	v_add_f32_e32 v102, v82, v83
	v_dual_add_f32 v99, v100, v99 :: v_dual_sub_f32 v100, v102, v82
	s_delay_alu instid0(VALU_DEP_1) | instskip(NEXT) | instid1(VALU_DEP_2)
	v_sub_f32_e32 v83, v83, v100
	v_add_f32_e32 v99, v102, v99
	v_sub_f32_e32 v102, v102, v100
	s_delay_alu instid0(VALU_DEP_2) | instskip(NEXT) | instid1(VALU_DEP_1)
	v_add_f32_e32 v112, v103, v99
	v_sub_f32_e32 v100, v112, v103
	s_delay_alu instid0(VALU_DEP_3) | instskip(NEXT) | instid1(VALU_DEP_1)
	v_sub_f32_e32 v82, v82, v102
	v_add_f32_e32 v82, v83, v82
	s_delay_alu instid0(VALU_DEP_3) | instskip(NEXT) | instid1(VALU_DEP_1)
	v_sub_f32_e32 v83, v99, v100
	v_add_f32_e32 v82, v82, v83
	s_delay_alu instid0(VALU_DEP_1) | instskip(NEXT) | instid1(VALU_DEP_1)
	v_add_f32_e32 v82, v112, v82
	v_cndmask_b32_e32 v80, v82, v80, vcc_lo
	s_delay_alu instid0(VALU_DEP_1) | instskip(NEXT) | instid1(VALU_DEP_1)
	v_add_f32_e32 v80, v81, v80
	v_cvt_f16_f32_e32 v99, v80
	s_delay_alu instid0(VALU_DEP_1)
	v_cvt_f32_f16_e32 v100, v99
	v_mov_b32_e32 v80, v99
.LBB410_222:
	s_or_b32 exec_lo, exec_lo, s1
	v_max_f32_e32 v81, v84, v84
	s_delay_alu instid0(VALU_DEP_3) | instskip(SKIP_1) | instid1(VALU_DEP_2)
	v_max_f32_e32 v82, v100, v100
	v_cmp_u_f16_e32 vcc_lo, v99, v99
	v_min_f32_e32 v83, v82, v81
	s_delay_alu instid0(VALU_DEP_1) | instskip(NEXT) | instid1(VALU_DEP_1)
	v_dual_max_f32 v81, v82, v81 :: v_dual_cndmask_b32 v82, v83, v100
	v_cndmask_b32_e32 v81, v81, v100, vcc_lo
	s_delay_alu instid0(VALU_DEP_2) | instskip(NEXT) | instid1(VALU_DEP_2)
	v_cndmask_b32_e64 v83, v82, v84, s16
	v_cndmask_b32_e64 v82, v81, v84, s16
	v_mov_b32_e32 v81, v80
	s_delay_alu instid0(VALU_DEP_3) | instskip(NEXT) | instid1(VALU_DEP_3)
	v_cmp_class_f32_e64 s1, v83, 0x1f8
	v_cmp_neq_f32_e32 vcc_lo, v83, v82
	s_delay_alu instid0(VALU_DEP_2) | instskip(NEXT) | instid1(SALU_CYCLE_1)
	s_or_b32 s2, vcc_lo, s1
	s_and_saveexec_b32 s1, s2
	s_cbranch_execz .LBB410_224
; %bb.223:
	v_sub_f32_e32 v81, v83, v82
	s_mov_b32 s2, 0x3e9b6dac
	s_delay_alu instid0(VALU_DEP_1) | instskip(SKIP_1) | instid1(VALU_DEP_2)
	v_mul_f32_e32 v83, 0x3fb8aa3b, v81
	v_cmp_ngt_f32_e32 vcc_lo, 0xc2ce8ed0, v81
	v_fma_f32 v84, 0x3fb8aa3b, v81, -v83
	v_rndne_f32_e32 v99, v83
	s_delay_alu instid0(VALU_DEP_1) | instskip(NEXT) | instid1(VALU_DEP_1)
	v_dual_fmamk_f32 v84, v81, 0x32a5705f, v84 :: v_dual_sub_f32 v83, v83, v99
	v_add_f32_e32 v83, v83, v84
	v_cvt_i32_f32_e32 v84, v99
	s_delay_alu instid0(VALU_DEP_2) | instskip(SKIP_2) | instid1(VALU_DEP_1)
	v_exp_f32_e32 v83, v83
	s_waitcnt_depctr 0xfff
	v_ldexp_f32 v83, v83, v84
	v_cndmask_b32_e32 v83, 0, v83, vcc_lo
	v_cmp_nlt_f32_e32 vcc_lo, 0x42b17218, v81
	s_delay_alu instid0(VALU_DEP_2) | instskip(NEXT) | instid1(VALU_DEP_1)
	v_cndmask_b32_e32 v81, 0x7f800000, v83, vcc_lo
	v_add_f32_e32 v99, 1.0, v81
	s_delay_alu instid0(VALU_DEP_1) | instskip(NEXT) | instid1(VALU_DEP_1)
	v_cvt_f64_f32_e32 v[83:84], v99
	v_frexp_exp_i32_f64_e32 v83, v[83:84]
	v_frexp_mant_f32_e32 v84, v99
	s_delay_alu instid0(VALU_DEP_1) | instskip(SKIP_1) | instid1(VALU_DEP_1)
	v_cmp_gt_f32_e32 vcc_lo, 0x3f2aaaab, v84
	v_add_f32_e32 v84, -1.0, v99
	v_sub_f32_e32 v102, v84, v99
	v_sub_f32_e32 v84, v81, v84
	s_delay_alu instid0(VALU_DEP_2) | instskip(NEXT) | instid1(VALU_DEP_1)
	v_add_f32_e32 v102, 1.0, v102
	v_add_f32_e32 v84, v84, v102
	v_subrev_co_ci_u32_e32 v83, vcc_lo, 0, v83, vcc_lo
	v_cmp_eq_f32_e32 vcc_lo, 0x7f800000, v81
	s_delay_alu instid0(VALU_DEP_2) | instskip(SKIP_1) | instid1(VALU_DEP_2)
	v_sub_nc_u32_e32 v100, 0, v83
	v_cvt_f32_i32_e32 v83, v83
	v_ldexp_f32 v99, v99, v100
	v_ldexp_f32 v84, v84, v100
	s_delay_alu instid0(VALU_DEP_2) | instskip(SKIP_1) | instid1(VALU_DEP_2)
	v_add_f32_e32 v103, 1.0, v99
	v_add_f32_e32 v100, -1.0, v99
	v_add_f32_e32 v102, -1.0, v103
	s_delay_alu instid0(VALU_DEP_2) | instskip(NEXT) | instid1(VALU_DEP_2)
	v_add_f32_e32 v112, 1.0, v100
	v_sub_f32_e32 v102, v99, v102
	s_delay_alu instid0(VALU_DEP_1) | instskip(NEXT) | instid1(VALU_DEP_1)
	v_dual_sub_f32 v99, v99, v112 :: v_dual_add_f32 v102, v84, v102
	v_add_f32_e32 v84, v84, v99
	s_delay_alu instid0(VALU_DEP_1) | instskip(NEXT) | instid1(VALU_DEP_1)
	v_dual_add_f32 v112, v103, v102 :: v_dual_add_f32 v113, v100, v84
	v_rcp_f32_e32 v99, v112
	v_sub_f32_e32 v103, v103, v112
	s_delay_alu instid0(VALU_DEP_1) | instskip(SKIP_2) | instid1(VALU_DEP_1)
	v_add_f32_e32 v102, v102, v103
	s_waitcnt_depctr 0xfff
	v_mul_f32_e32 v114, v113, v99
	v_mul_f32_e32 v115, v112, v114
	s_delay_alu instid0(VALU_DEP_1) | instskip(NEXT) | instid1(VALU_DEP_1)
	v_fma_f32 v103, v114, v112, -v115
	v_fmac_f32_e32 v103, v114, v102
	s_delay_alu instid0(VALU_DEP_1) | instskip(NEXT) | instid1(VALU_DEP_1)
	v_add_f32_e32 v116, v115, v103
	v_dual_sub_f32 v100, v100, v113 :: v_dual_sub_f32 v117, v113, v116
	s_delay_alu instid0(VALU_DEP_1) | instskip(NEXT) | instid1(VALU_DEP_1)
	v_sub_f32_e32 v113, v113, v117
	v_sub_f32_e32 v113, v113, v116
	s_delay_alu instid0(VALU_DEP_3) | instskip(SKIP_1) | instid1(VALU_DEP_2)
	v_add_f32_e32 v84, v84, v100
	v_sub_f32_e32 v100, v116, v115
	v_add_f32_e32 v84, v84, v113
	s_delay_alu instid0(VALU_DEP_2) | instskip(NEXT) | instid1(VALU_DEP_1)
	v_sub_f32_e32 v100, v100, v103
	v_add_f32_e32 v84, v100, v84
	s_delay_alu instid0(VALU_DEP_1) | instskip(NEXT) | instid1(VALU_DEP_1)
	v_add_f32_e32 v100, v117, v84
	v_mul_f32_e32 v103, v99, v100
	s_delay_alu instid0(VALU_DEP_1) | instskip(NEXT) | instid1(VALU_DEP_1)
	v_dual_mul_f32 v113, v112, v103 :: v_dual_sub_f32 v116, v117, v100
	v_fma_f32 v112, v103, v112, -v113
	s_delay_alu instid0(VALU_DEP_2) | instskip(NEXT) | instid1(VALU_DEP_2)
	v_add_f32_e32 v84, v84, v116
	v_fmac_f32_e32 v112, v103, v102
	s_delay_alu instid0(VALU_DEP_1) | instskip(NEXT) | instid1(VALU_DEP_1)
	v_add_f32_e32 v102, v113, v112
	v_sub_f32_e32 v115, v100, v102
	s_delay_alu instid0(VALU_DEP_1) | instskip(NEXT) | instid1(VALU_DEP_1)
	v_dual_sub_f32 v113, v102, v113 :: v_dual_sub_f32 v100, v100, v115
	v_sub_f32_e32 v100, v100, v102
	s_delay_alu instid0(VALU_DEP_2) | instskip(NEXT) | instid1(VALU_DEP_2)
	v_sub_f32_e32 v102, v113, v112
	v_add_f32_e32 v84, v84, v100
	v_add_f32_e32 v100, v114, v103
	s_delay_alu instid0(VALU_DEP_2) | instskip(NEXT) | instid1(VALU_DEP_2)
	v_add_f32_e32 v84, v102, v84
	v_sub_f32_e32 v102, v100, v114
	s_delay_alu instid0(VALU_DEP_2) | instskip(NEXT) | instid1(VALU_DEP_2)
	v_add_f32_e32 v84, v115, v84
	v_sub_f32_e32 v102, v103, v102
	s_delay_alu instid0(VALU_DEP_2) | instskip(NEXT) | instid1(VALU_DEP_1)
	v_mul_f32_e32 v84, v99, v84
	v_add_f32_e32 v84, v102, v84
	s_delay_alu instid0(VALU_DEP_1) | instskip(NEXT) | instid1(VALU_DEP_1)
	v_add_f32_e32 v99, v100, v84
	v_mul_f32_e32 v102, v99, v99
	s_delay_alu instid0(VALU_DEP_1) | instskip(SKIP_2) | instid1(VALU_DEP_3)
	v_fmaak_f32 v103, s2, v102, 0x3ecc95a3
	v_mul_f32_e32 v112, v99, v102
	v_cmp_gt_f32_e64 s2, 0x33800000, |v81|
	v_fmaak_f32 v102, v102, v103, 0x3f2aaada
	v_ldexp_f32 v103, v99, 1
	v_sub_f32_e32 v99, v99, v100
	s_delay_alu instid0(VALU_DEP_4) | instskip(NEXT) | instid1(VALU_DEP_3)
	s_or_b32 vcc_lo, vcc_lo, s2
	v_mul_f32_e32 v102, v112, v102
	v_mul_f32_e32 v112, 0x3f317218, v83
	s_delay_alu instid0(VALU_DEP_3) | instskip(NEXT) | instid1(VALU_DEP_3)
	v_sub_f32_e32 v84, v84, v99
	v_add_f32_e32 v100, v103, v102
	s_delay_alu instid0(VALU_DEP_2) | instskip(NEXT) | instid1(VALU_DEP_2)
	v_ldexp_f32 v84, v84, 1
	v_sub_f32_e32 v99, v100, v103
	v_fma_f32 v103, 0x3f317218, v83, -v112
	s_delay_alu instid0(VALU_DEP_2) | instskip(NEXT) | instid1(VALU_DEP_1)
	v_sub_f32_e32 v99, v102, v99
	v_dual_fmamk_f32 v83, v83, 0xb102e308, v103 :: v_dual_add_f32 v84, v84, v99
	s_delay_alu instid0(VALU_DEP_1) | instskip(NEXT) | instid1(VALU_DEP_2)
	v_add_f32_e32 v99, v112, v83
	v_add_f32_e32 v102, v100, v84
	s_delay_alu instid0(VALU_DEP_2) | instskip(NEXT) | instid1(VALU_DEP_2)
	v_sub_f32_e32 v112, v99, v112
	v_dual_add_f32 v103, v99, v102 :: v_dual_sub_f32 v100, v102, v100
	s_delay_alu instid0(VALU_DEP_2) | instskip(NEXT) | instid1(VALU_DEP_2)
	v_sub_f32_e32 v83, v83, v112
	v_dual_sub_f32 v113, v103, v99 :: v_dual_sub_f32 v84, v84, v100
	s_delay_alu instid0(VALU_DEP_1) | instskip(SKIP_1) | instid1(VALU_DEP_3)
	v_sub_f32_e32 v114, v103, v113
	v_sub_f32_e32 v100, v102, v113
	v_add_f32_e32 v102, v83, v84
	s_delay_alu instid0(VALU_DEP_3) | instskip(NEXT) | instid1(VALU_DEP_1)
	v_sub_f32_e32 v99, v99, v114
	v_add_f32_e32 v99, v100, v99
	s_delay_alu instid0(VALU_DEP_3) | instskip(NEXT) | instid1(VALU_DEP_2)
	v_sub_f32_e32 v100, v102, v83
	v_add_f32_e32 v99, v102, v99
	s_delay_alu instid0(VALU_DEP_2) | instskip(SKIP_1) | instid1(VALU_DEP_3)
	v_sub_f32_e32 v102, v102, v100
	v_sub_f32_e32 v84, v84, v100
	v_add_f32_e32 v112, v103, v99
	s_delay_alu instid0(VALU_DEP_1) | instskip(NEXT) | instid1(VALU_DEP_1)
	v_dual_sub_f32 v83, v83, v102 :: v_dual_sub_f32 v100, v112, v103
	v_dual_add_f32 v83, v84, v83 :: v_dual_sub_f32 v84, v99, v100
	s_delay_alu instid0(VALU_DEP_1) | instskip(NEXT) | instid1(VALU_DEP_1)
	v_add_f32_e32 v83, v83, v84
	v_add_f32_e32 v83, v112, v83
	s_delay_alu instid0(VALU_DEP_1) | instskip(NEXT) | instid1(VALU_DEP_1)
	v_cndmask_b32_e32 v81, v83, v81, vcc_lo
	v_add_f32_e32 v81, v82, v81
	s_delay_alu instid0(VALU_DEP_1) | instskip(NEXT) | instid1(VALU_DEP_1)
	v_cvt_f16_f32_e32 v99, v81
	v_mov_b32_e32 v81, v99
	v_cvt_f32_f16_e32 v100, v99
.LBB410_224:
	s_or_b32 exec_lo, exec_lo, s1
	s_delay_alu instid0(VALU_DEP_1) | instskip(SKIP_1) | instid1(VALU_DEP_2)
	v_dual_max_f32 v82, v85, v85 :: v_dual_max_f32 v83, v100, v100
	v_cmp_u_f16_e32 vcc_lo, v99, v99
	v_min_f32_e32 v84, v83, v82
	s_delay_alu instid0(VALU_DEP_1) | instskip(NEXT) | instid1(VALU_DEP_1)
	v_dual_max_f32 v82, v83, v82 :: v_dual_cndmask_b32 v83, v84, v100
	v_cndmask_b32_e32 v82, v82, v100, vcc_lo
	s_delay_alu instid0(VALU_DEP_2) | instskip(NEXT) | instid1(VALU_DEP_2)
	v_cndmask_b32_e64 v84, v83, v85, s17
	v_cndmask_b32_e64 v83, v82, v85, s17
	v_mov_b32_e32 v82, v81
	s_delay_alu instid0(VALU_DEP_3) | instskip(NEXT) | instid1(VALU_DEP_3)
	v_cmp_class_f32_e64 s1, v84, 0x1f8
	v_cmp_neq_f32_e32 vcc_lo, v84, v83
	s_delay_alu instid0(VALU_DEP_2) | instskip(NEXT) | instid1(SALU_CYCLE_1)
	s_or_b32 s2, vcc_lo, s1
	s_and_saveexec_b32 s1, s2
	s_cbranch_execz .LBB410_226
; %bb.225:
	v_sub_f32_e32 v82, v84, v83
	s_mov_b32 s2, 0x3e9b6dac
	s_delay_alu instid0(VALU_DEP_1) | instskip(SKIP_1) | instid1(VALU_DEP_2)
	v_mul_f32_e32 v84, 0x3fb8aa3b, v82
	v_cmp_ngt_f32_e32 vcc_lo, 0xc2ce8ed0, v82
	v_fma_f32 v85, 0x3fb8aa3b, v82, -v84
	v_rndne_f32_e32 v99, v84
	s_delay_alu instid0(VALU_DEP_1) | instskip(NEXT) | instid1(VALU_DEP_1)
	v_dual_fmamk_f32 v85, v82, 0x32a5705f, v85 :: v_dual_sub_f32 v84, v84, v99
	v_add_f32_e32 v84, v84, v85
	v_cvt_i32_f32_e32 v85, v99
	s_delay_alu instid0(VALU_DEP_2) | instskip(SKIP_2) | instid1(VALU_DEP_1)
	v_exp_f32_e32 v84, v84
	s_waitcnt_depctr 0xfff
	v_ldexp_f32 v84, v84, v85
	v_cndmask_b32_e32 v84, 0, v84, vcc_lo
	v_cmp_nlt_f32_e32 vcc_lo, 0x42b17218, v82
	s_delay_alu instid0(VALU_DEP_2) | instskip(NEXT) | instid1(VALU_DEP_1)
	v_cndmask_b32_e32 v82, 0x7f800000, v84, vcc_lo
	v_add_f32_e32 v99, 1.0, v82
	s_delay_alu instid0(VALU_DEP_1) | instskip(NEXT) | instid1(VALU_DEP_1)
	v_cvt_f64_f32_e32 v[84:85], v99
	v_frexp_exp_i32_f64_e32 v84, v[84:85]
	v_frexp_mant_f32_e32 v85, v99
	s_delay_alu instid0(VALU_DEP_1) | instskip(SKIP_1) | instid1(VALU_DEP_1)
	v_cmp_gt_f32_e32 vcc_lo, 0x3f2aaaab, v85
	v_add_f32_e32 v85, -1.0, v99
	v_sub_f32_e32 v102, v85, v99
	s_delay_alu instid0(VALU_DEP_1) | instskip(SKIP_1) | instid1(VALU_DEP_1)
	v_add_f32_e32 v102, 1.0, v102
	v_subrev_co_ci_u32_e32 v84, vcc_lo, 0, v84, vcc_lo
	v_sub_nc_u32_e32 v100, 0, v84
	v_cvt_f32_i32_e32 v84, v84
	s_delay_alu instid0(VALU_DEP_2) | instskip(NEXT) | instid1(VALU_DEP_1)
	v_ldexp_f32 v99, v99, v100
	v_add_f32_e32 v103, 1.0, v99
	v_sub_f32_e32 v85, v82, v85
	v_cmp_eq_f32_e32 vcc_lo, 0x7f800000, v82
	s_delay_alu instid0(VALU_DEP_2) | instskip(NEXT) | instid1(VALU_DEP_1)
	v_add_f32_e32 v85, v85, v102
	v_ldexp_f32 v85, v85, v100
	v_add_f32_e32 v100, -1.0, v99
	v_add_f32_e32 v102, -1.0, v103
	s_delay_alu instid0(VALU_DEP_2) | instskip(NEXT) | instid1(VALU_DEP_2)
	v_add_f32_e32 v112, 1.0, v100
	v_sub_f32_e32 v102, v99, v102
	s_delay_alu instid0(VALU_DEP_1) | instskip(NEXT) | instid1(VALU_DEP_1)
	v_dual_sub_f32 v99, v99, v112 :: v_dual_add_f32 v102, v85, v102
	v_dual_add_f32 v85, v85, v99 :: v_dual_add_f32 v112, v103, v102
	s_delay_alu instid0(VALU_DEP_1) | instskip(SKIP_1) | instid1(VALU_DEP_1)
	v_rcp_f32_e32 v99, v112
	v_sub_f32_e32 v103, v103, v112
	v_dual_add_f32 v113, v100, v85 :: v_dual_add_f32 v102, v102, v103
	s_delay_alu instid0(VALU_DEP_1) | instskip(SKIP_3) | instid1(VALU_DEP_2)
	v_sub_f32_e32 v100, v100, v113
	s_waitcnt_depctr 0xfff
	v_mul_f32_e32 v114, v113, v99
	v_add_f32_e32 v85, v85, v100
	v_mul_f32_e32 v115, v112, v114
	s_delay_alu instid0(VALU_DEP_1) | instskip(NEXT) | instid1(VALU_DEP_1)
	v_fma_f32 v103, v114, v112, -v115
	v_fmac_f32_e32 v103, v114, v102
	s_delay_alu instid0(VALU_DEP_1) | instskip(NEXT) | instid1(VALU_DEP_1)
	v_add_f32_e32 v116, v115, v103
	v_sub_f32_e32 v117, v113, v116
	s_delay_alu instid0(VALU_DEP_1) | instskip(NEXT) | instid1(VALU_DEP_1)
	v_sub_f32_e32 v113, v113, v117
	v_dual_sub_f32 v113, v113, v116 :: v_dual_sub_f32 v100, v116, v115
	s_delay_alu instid0(VALU_DEP_1) | instskip(NEXT) | instid1(VALU_DEP_1)
	v_dual_add_f32 v85, v85, v113 :: v_dual_sub_f32 v100, v100, v103
	v_add_f32_e32 v85, v100, v85
	s_delay_alu instid0(VALU_DEP_1) | instskip(NEXT) | instid1(VALU_DEP_1)
	v_add_f32_e32 v100, v117, v85
	v_mul_f32_e32 v103, v99, v100
	s_delay_alu instid0(VALU_DEP_1) | instskip(NEXT) | instid1(VALU_DEP_1)
	v_dual_mul_f32 v113, v112, v103 :: v_dual_sub_f32 v116, v117, v100
	v_fma_f32 v112, v103, v112, -v113
	s_delay_alu instid0(VALU_DEP_1) | instskip(NEXT) | instid1(VALU_DEP_1)
	v_dual_add_f32 v85, v85, v116 :: v_dual_fmac_f32 v112, v103, v102
	v_add_f32_e32 v102, v113, v112
	s_delay_alu instid0(VALU_DEP_1) | instskip(NEXT) | instid1(VALU_DEP_1)
	v_sub_f32_e32 v115, v100, v102
	v_dual_sub_f32 v113, v102, v113 :: v_dual_sub_f32 v100, v100, v115
	s_delay_alu instid0(VALU_DEP_1) | instskip(NEXT) | instid1(VALU_DEP_1)
	v_sub_f32_e32 v100, v100, v102
	v_dual_add_f32 v85, v85, v100 :: v_dual_add_f32 v100, v114, v103
	s_delay_alu instid0(VALU_DEP_3) | instskip(NEXT) | instid1(VALU_DEP_1)
	v_sub_f32_e32 v102, v113, v112
	v_dual_add_f32 v85, v102, v85 :: v_dual_sub_f32 v102, v100, v114
	s_delay_alu instid0(VALU_DEP_1) | instskip(NEXT) | instid1(VALU_DEP_2)
	v_add_f32_e32 v85, v115, v85
	v_sub_f32_e32 v102, v103, v102
	s_delay_alu instid0(VALU_DEP_2) | instskip(NEXT) | instid1(VALU_DEP_1)
	v_mul_f32_e32 v85, v99, v85
	v_add_f32_e32 v85, v102, v85
	s_delay_alu instid0(VALU_DEP_1) | instskip(NEXT) | instid1(VALU_DEP_1)
	v_add_f32_e32 v99, v100, v85
	v_mul_f32_e32 v102, v99, v99
	s_delay_alu instid0(VALU_DEP_1) | instskip(SKIP_2) | instid1(VALU_DEP_3)
	v_fmaak_f32 v103, s2, v102, 0x3ecc95a3
	v_mul_f32_e32 v112, v99, v102
	v_cmp_gt_f32_e64 s2, 0x33800000, |v82|
	v_fmaak_f32 v102, v102, v103, 0x3f2aaada
	v_ldexp_f32 v103, v99, 1
	v_sub_f32_e32 v99, v99, v100
	s_delay_alu instid0(VALU_DEP_4) | instskip(NEXT) | instid1(VALU_DEP_1)
	s_or_b32 vcc_lo, vcc_lo, s2
	v_sub_f32_e32 v85, v85, v99
	s_delay_alu instid0(VALU_DEP_1) | instskip(SKIP_1) | instid1(VALU_DEP_1)
	v_ldexp_f32 v85, v85, 1
	v_mul_f32_e32 v102, v112, v102
	v_add_f32_e32 v100, v103, v102
	s_delay_alu instid0(VALU_DEP_1) | instskip(NEXT) | instid1(VALU_DEP_1)
	v_sub_f32_e32 v99, v100, v103
	v_sub_f32_e32 v99, v102, v99
	s_delay_alu instid0(VALU_DEP_1) | instskip(NEXT) | instid1(VALU_DEP_1)
	v_add_f32_e32 v85, v85, v99
	v_add_f32_e32 v102, v100, v85
	v_mul_f32_e32 v112, 0x3f317218, v84
	s_delay_alu instid0(VALU_DEP_1) | instskip(NEXT) | instid1(VALU_DEP_1)
	v_fma_f32 v103, 0x3f317218, v84, -v112
	v_fmamk_f32 v84, v84, 0xb102e308, v103
	s_delay_alu instid0(VALU_DEP_1) | instskip(NEXT) | instid1(VALU_DEP_1)
	v_add_f32_e32 v99, v112, v84
	v_add_f32_e32 v103, v99, v102
	s_delay_alu instid0(VALU_DEP_1) | instskip(NEXT) | instid1(VALU_DEP_1)
	v_sub_f32_e32 v113, v103, v99
	v_sub_f32_e32 v114, v103, v113
	;; [unrolled: 1-line block ×3, first 2 shown]
	s_delay_alu instid0(VALU_DEP_1) | instskip(SKIP_1) | instid1(VALU_DEP_4)
	v_dual_sub_f32 v85, v85, v100 :: v_dual_sub_f32 v100, v102, v113
	v_sub_f32_e32 v112, v99, v112
	v_sub_f32_e32 v99, v99, v114
	s_delay_alu instid0(VALU_DEP_1) | instskip(NEXT) | instid1(VALU_DEP_3)
	v_add_f32_e32 v99, v100, v99
	v_sub_f32_e32 v84, v84, v112
	s_delay_alu instid0(VALU_DEP_1) | instskip(NEXT) | instid1(VALU_DEP_1)
	v_add_f32_e32 v102, v84, v85
	v_add_f32_e32 v99, v102, v99
	v_sub_f32_e32 v100, v102, v84
	s_delay_alu instid0(VALU_DEP_1) | instskip(SKIP_1) | instid1(VALU_DEP_2)
	v_dual_add_f32 v112, v103, v99 :: v_dual_sub_f32 v85, v85, v100
	v_sub_f32_e32 v102, v102, v100
	v_sub_f32_e32 v100, v112, v103
	s_delay_alu instid0(VALU_DEP_2) | instskip(NEXT) | instid1(VALU_DEP_1)
	v_sub_f32_e32 v84, v84, v102
	v_add_f32_e32 v84, v85, v84
	s_delay_alu instid0(VALU_DEP_3) | instskip(NEXT) | instid1(VALU_DEP_1)
	v_sub_f32_e32 v85, v99, v100
	v_add_f32_e32 v84, v84, v85
	s_delay_alu instid0(VALU_DEP_1) | instskip(NEXT) | instid1(VALU_DEP_1)
	v_add_f32_e32 v84, v112, v84
	v_cndmask_b32_e32 v82, v84, v82, vcc_lo
	s_delay_alu instid0(VALU_DEP_1) | instskip(NEXT) | instid1(VALU_DEP_1)
	v_add_f32_e32 v82, v83, v82
	v_cvt_f16_f32_e32 v99, v82
	s_delay_alu instid0(VALU_DEP_1)
	v_cvt_f32_f16_e32 v100, v99
	v_mov_b32_e32 v82, v99
.LBB410_226:
	s_or_b32 exec_lo, exec_lo, s1
	s_delay_alu instid0(VALU_DEP_2) | instskip(SKIP_1) | instid1(VALU_DEP_2)
	v_dual_max_f32 v83, v86, v86 :: v_dual_max_f32 v84, v100, v100
	v_cmp_u_f16_e32 vcc_lo, v99, v99
	v_min_f32_e32 v85, v84, v83
	s_delay_alu instid0(VALU_DEP_1) | instskip(NEXT) | instid1(VALU_DEP_1)
	v_dual_max_f32 v83, v84, v83 :: v_dual_cndmask_b32 v84, v85, v100
	v_cndmask_b32_e32 v83, v83, v100, vcc_lo
	s_delay_alu instid0(VALU_DEP_2) | instskip(NEXT) | instid1(VALU_DEP_2)
	v_cndmask_b32_e64 v85, v84, v86, s18
	v_cndmask_b32_e64 v84, v83, v86, s18
	v_mov_b32_e32 v83, v82
	s_delay_alu instid0(VALU_DEP_3) | instskip(NEXT) | instid1(VALU_DEP_3)
	v_cmp_class_f32_e64 s1, v85, 0x1f8
	v_cmp_neq_f32_e32 vcc_lo, v85, v84
	s_delay_alu instid0(VALU_DEP_2) | instskip(NEXT) | instid1(SALU_CYCLE_1)
	s_or_b32 s2, vcc_lo, s1
	s_and_saveexec_b32 s1, s2
	s_cbranch_execz .LBB410_228
; %bb.227:
	v_sub_f32_e32 v83, v85, v84
	s_mov_b32 s2, 0x3e9b6dac
	s_delay_alu instid0(VALU_DEP_1) | instskip(SKIP_1) | instid1(VALU_DEP_2)
	v_mul_f32_e32 v85, 0x3fb8aa3b, v83
	v_cmp_ngt_f32_e32 vcc_lo, 0xc2ce8ed0, v83
	v_fma_f32 v86, 0x3fb8aa3b, v83, -v85
	v_rndne_f32_e32 v99, v85
	s_delay_alu instid0(VALU_DEP_1) | instskip(NEXT) | instid1(VALU_DEP_1)
	v_dual_fmamk_f32 v86, v83, 0x32a5705f, v86 :: v_dual_sub_f32 v85, v85, v99
	v_add_f32_e32 v85, v85, v86
	v_cvt_i32_f32_e32 v86, v99
	s_delay_alu instid0(VALU_DEP_2) | instskip(SKIP_2) | instid1(VALU_DEP_1)
	v_exp_f32_e32 v85, v85
	s_waitcnt_depctr 0xfff
	v_ldexp_f32 v85, v85, v86
	v_cndmask_b32_e32 v85, 0, v85, vcc_lo
	v_cmp_nlt_f32_e32 vcc_lo, 0x42b17218, v83
	s_delay_alu instid0(VALU_DEP_2) | instskip(NEXT) | instid1(VALU_DEP_1)
	v_cndmask_b32_e32 v83, 0x7f800000, v85, vcc_lo
	v_add_f32_e32 v99, 1.0, v83
	s_delay_alu instid0(VALU_DEP_1) | instskip(NEXT) | instid1(VALU_DEP_1)
	v_cvt_f64_f32_e32 v[85:86], v99
	v_frexp_exp_i32_f64_e32 v85, v[85:86]
	v_frexp_mant_f32_e32 v86, v99
	s_delay_alu instid0(VALU_DEP_1) | instskip(SKIP_1) | instid1(VALU_DEP_1)
	v_cmp_gt_f32_e32 vcc_lo, 0x3f2aaaab, v86
	v_add_f32_e32 v86, -1.0, v99
	v_sub_f32_e32 v102, v86, v99
	v_sub_f32_e32 v86, v83, v86
	s_delay_alu instid0(VALU_DEP_2) | instskip(NEXT) | instid1(VALU_DEP_1)
	v_add_f32_e32 v102, 1.0, v102
	v_add_f32_e32 v86, v86, v102
	v_subrev_co_ci_u32_e32 v85, vcc_lo, 0, v85, vcc_lo
	v_cmp_eq_f32_e32 vcc_lo, 0x7f800000, v83
	s_delay_alu instid0(VALU_DEP_2) | instskip(SKIP_1) | instid1(VALU_DEP_2)
	v_sub_nc_u32_e32 v100, 0, v85
	v_cvt_f32_i32_e32 v85, v85
	v_ldexp_f32 v99, v99, v100
	v_ldexp_f32 v86, v86, v100
	s_delay_alu instid0(VALU_DEP_2) | instskip(SKIP_1) | instid1(VALU_DEP_1)
	v_add_f32_e32 v103, 1.0, v99
	v_add_f32_e32 v100, -1.0, v99
	v_add_f32_e32 v112, 1.0, v100
	s_delay_alu instid0(VALU_DEP_3) | instskip(NEXT) | instid1(VALU_DEP_1)
	v_add_f32_e32 v102, -1.0, v103
	v_sub_f32_e32 v102, v99, v102
	s_delay_alu instid0(VALU_DEP_1) | instskip(NEXT) | instid1(VALU_DEP_1)
	v_dual_sub_f32 v99, v99, v112 :: v_dual_add_f32 v102, v86, v102
	v_add_f32_e32 v112, v103, v102
	s_delay_alu instid0(VALU_DEP_2) | instskip(NEXT) | instid1(VALU_DEP_2)
	v_add_f32_e32 v86, v86, v99
	v_rcp_f32_e32 v99, v112
	v_sub_f32_e32 v103, v103, v112
	s_delay_alu instid0(VALU_DEP_1) | instskip(NEXT) | instid1(VALU_DEP_1)
	v_dual_add_f32 v113, v100, v86 :: v_dual_add_f32 v102, v102, v103
	v_sub_f32_e32 v100, v100, v113
	s_waitcnt_depctr 0xfff
	v_mul_f32_e32 v114, v113, v99
	s_delay_alu instid0(VALU_DEP_1) | instskip(NEXT) | instid1(VALU_DEP_1)
	v_mul_f32_e32 v115, v112, v114
	v_fma_f32 v103, v114, v112, -v115
	s_delay_alu instid0(VALU_DEP_1) | instskip(NEXT) | instid1(VALU_DEP_1)
	v_fmac_f32_e32 v103, v114, v102
	v_add_f32_e32 v116, v115, v103
	s_delay_alu instid0(VALU_DEP_1) | instskip(NEXT) | instid1(VALU_DEP_1)
	v_sub_f32_e32 v117, v113, v116
	v_dual_sub_f32 v113, v113, v117 :: v_dual_add_f32 v86, v86, v100
	s_delay_alu instid0(VALU_DEP_1) | instskip(NEXT) | instid1(VALU_DEP_1)
	v_dual_sub_f32 v100, v116, v115 :: v_dual_sub_f32 v113, v113, v116
	v_sub_f32_e32 v100, v100, v103
	s_delay_alu instid0(VALU_DEP_2) | instskip(NEXT) | instid1(VALU_DEP_1)
	v_add_f32_e32 v86, v86, v113
	v_add_f32_e32 v86, v100, v86
	s_delay_alu instid0(VALU_DEP_1) | instskip(NEXT) | instid1(VALU_DEP_1)
	v_add_f32_e32 v100, v117, v86
	v_mul_f32_e32 v103, v99, v100
	s_delay_alu instid0(VALU_DEP_1) | instskip(NEXT) | instid1(VALU_DEP_1)
	v_dual_sub_f32 v116, v117, v100 :: v_dual_mul_f32 v113, v112, v103
	v_add_f32_e32 v86, v86, v116
	s_delay_alu instid0(VALU_DEP_2) | instskip(NEXT) | instid1(VALU_DEP_1)
	v_fma_f32 v112, v103, v112, -v113
	v_fmac_f32_e32 v112, v103, v102
	s_delay_alu instid0(VALU_DEP_1) | instskip(NEXT) | instid1(VALU_DEP_1)
	v_add_f32_e32 v102, v113, v112
	v_sub_f32_e32 v115, v100, v102
	s_delay_alu instid0(VALU_DEP_1) | instskip(NEXT) | instid1(VALU_DEP_1)
	v_dual_sub_f32 v113, v102, v113 :: v_dual_sub_f32 v100, v100, v115
	v_sub_f32_e32 v100, v100, v102
	s_delay_alu instid0(VALU_DEP_2) | instskip(NEXT) | instid1(VALU_DEP_2)
	v_sub_f32_e32 v102, v113, v112
	v_add_f32_e32 v86, v86, v100
	v_add_f32_e32 v100, v114, v103
	s_delay_alu instid0(VALU_DEP_2) | instskip(NEXT) | instid1(VALU_DEP_2)
	v_add_f32_e32 v86, v102, v86
	v_sub_f32_e32 v102, v100, v114
	s_delay_alu instid0(VALU_DEP_2) | instskip(NEXT) | instid1(VALU_DEP_2)
	v_add_f32_e32 v86, v115, v86
	v_sub_f32_e32 v102, v103, v102
	s_delay_alu instid0(VALU_DEP_2) | instskip(NEXT) | instid1(VALU_DEP_1)
	v_mul_f32_e32 v86, v99, v86
	v_add_f32_e32 v86, v102, v86
	s_delay_alu instid0(VALU_DEP_1) | instskip(NEXT) | instid1(VALU_DEP_1)
	v_add_f32_e32 v99, v100, v86
	v_mul_f32_e32 v102, v99, v99
	s_delay_alu instid0(VALU_DEP_1) | instskip(SKIP_2) | instid1(VALU_DEP_3)
	v_fmaak_f32 v103, s2, v102, 0x3ecc95a3
	v_mul_f32_e32 v112, v99, v102
	v_cmp_gt_f32_e64 s2, 0x33800000, |v83|
	v_fmaak_f32 v102, v102, v103, 0x3f2aaada
	v_ldexp_f32 v103, v99, 1
	v_sub_f32_e32 v99, v99, v100
	s_delay_alu instid0(VALU_DEP_4) | instskip(NEXT) | instid1(VALU_DEP_3)
	s_or_b32 vcc_lo, vcc_lo, s2
	v_mul_f32_e32 v102, v112, v102
	v_mul_f32_e32 v112, 0x3f317218, v85
	s_delay_alu instid0(VALU_DEP_3) | instskip(NEXT) | instid1(VALU_DEP_3)
	v_sub_f32_e32 v86, v86, v99
	v_add_f32_e32 v100, v103, v102
	s_delay_alu instid0(VALU_DEP_2) | instskip(NEXT) | instid1(VALU_DEP_2)
	v_ldexp_f32 v86, v86, 1
	v_sub_f32_e32 v99, v100, v103
	v_fma_f32 v103, 0x3f317218, v85, -v112
	s_delay_alu instid0(VALU_DEP_2) | instskip(NEXT) | instid1(VALU_DEP_1)
	v_sub_f32_e32 v99, v102, v99
	v_dual_fmamk_f32 v85, v85, 0xb102e308, v103 :: v_dual_add_f32 v86, v86, v99
	s_delay_alu instid0(VALU_DEP_1) | instskip(NEXT) | instid1(VALU_DEP_2)
	v_add_f32_e32 v99, v112, v85
	v_add_f32_e32 v102, v100, v86
	s_delay_alu instid0(VALU_DEP_2) | instskip(NEXT) | instid1(VALU_DEP_2)
	v_sub_f32_e32 v112, v99, v112
	v_dual_add_f32 v103, v99, v102 :: v_dual_sub_f32 v100, v102, v100
	s_delay_alu instid0(VALU_DEP_2) | instskip(NEXT) | instid1(VALU_DEP_2)
	v_sub_f32_e32 v85, v85, v112
	v_dual_sub_f32 v113, v103, v99 :: v_dual_sub_f32 v86, v86, v100
	s_delay_alu instid0(VALU_DEP_1) | instskip(SKIP_1) | instid1(VALU_DEP_3)
	v_sub_f32_e32 v114, v103, v113
	v_sub_f32_e32 v100, v102, v113
	v_add_f32_e32 v102, v85, v86
	s_delay_alu instid0(VALU_DEP_3) | instskip(NEXT) | instid1(VALU_DEP_1)
	v_sub_f32_e32 v99, v99, v114
	v_dual_add_f32 v99, v100, v99 :: v_dual_sub_f32 v100, v102, v85
	s_delay_alu instid0(VALU_DEP_1) | instskip(NEXT) | instid1(VALU_DEP_2)
	v_add_f32_e32 v99, v102, v99
	v_sub_f32_e32 v102, v102, v100
	v_sub_f32_e32 v86, v86, v100
	s_delay_alu instid0(VALU_DEP_2) | instskip(NEXT) | instid1(VALU_DEP_1)
	v_dual_add_f32 v112, v103, v99 :: v_dual_sub_f32 v85, v85, v102
	v_dual_sub_f32 v100, v112, v103 :: v_dual_add_f32 v85, v86, v85
	s_delay_alu instid0(VALU_DEP_1) | instskip(NEXT) | instid1(VALU_DEP_1)
	v_sub_f32_e32 v86, v99, v100
	v_add_f32_e32 v85, v85, v86
	s_delay_alu instid0(VALU_DEP_1) | instskip(NEXT) | instid1(VALU_DEP_1)
	v_add_f32_e32 v85, v112, v85
	v_cndmask_b32_e32 v83, v85, v83, vcc_lo
	s_delay_alu instid0(VALU_DEP_1) | instskip(NEXT) | instid1(VALU_DEP_1)
	v_add_f32_e32 v83, v84, v83
	v_cvt_f16_f32_e32 v99, v83
	s_delay_alu instid0(VALU_DEP_1)
	v_cvt_f32_f16_e32 v100, v99
	v_mov_b32_e32 v83, v99
.LBB410_228:
	s_or_b32 exec_lo, exec_lo, s1
	s_delay_alu instid0(VALU_DEP_2) | instskip(SKIP_1) | instid1(VALU_DEP_2)
	v_dual_max_f32 v84, v87, v87 :: v_dual_max_f32 v85, v100, v100
	v_cmp_u_f16_e32 vcc_lo, v99, v99
	v_min_f32_e32 v86, v85, v84
	v_max_f32_e32 v84, v85, v84
	s_delay_alu instid0(VALU_DEP_2) | instskip(NEXT) | instid1(VALU_DEP_2)
	v_cndmask_b32_e32 v85, v86, v100, vcc_lo
	v_cndmask_b32_e32 v84, v84, v100, vcc_lo
	s_delay_alu instid0(VALU_DEP_2) | instskip(NEXT) | instid1(VALU_DEP_2)
	v_cndmask_b32_e64 v86, v85, v87, s19
	v_cndmask_b32_e64 v85, v84, v87, s19
	v_mov_b32_e32 v84, v83
	s_delay_alu instid0(VALU_DEP_3) | instskip(NEXT) | instid1(VALU_DEP_3)
	v_cmp_class_f32_e64 s1, v86, 0x1f8
	v_cmp_neq_f32_e32 vcc_lo, v86, v85
	s_delay_alu instid0(VALU_DEP_2) | instskip(NEXT) | instid1(SALU_CYCLE_1)
	s_or_b32 s2, vcc_lo, s1
	s_and_saveexec_b32 s1, s2
	s_cbranch_execz .LBB410_230
; %bb.229:
	v_sub_f32_e32 v84, v86, v85
	s_mov_b32 s2, 0x3e9b6dac
	s_delay_alu instid0(VALU_DEP_1) | instskip(SKIP_1) | instid1(VALU_DEP_2)
	v_mul_f32_e32 v86, 0x3fb8aa3b, v84
	v_cmp_ngt_f32_e32 vcc_lo, 0xc2ce8ed0, v84
	v_fma_f32 v87, 0x3fb8aa3b, v84, -v86
	v_rndne_f32_e32 v99, v86
	s_delay_alu instid0(VALU_DEP_1) | instskip(NEXT) | instid1(VALU_DEP_1)
	v_dual_fmamk_f32 v87, v84, 0x32a5705f, v87 :: v_dual_sub_f32 v86, v86, v99
	v_add_f32_e32 v86, v86, v87
	v_cvt_i32_f32_e32 v87, v99
	s_delay_alu instid0(VALU_DEP_2) | instskip(SKIP_2) | instid1(VALU_DEP_1)
	v_exp_f32_e32 v86, v86
	s_waitcnt_depctr 0xfff
	v_ldexp_f32 v86, v86, v87
	v_cndmask_b32_e32 v86, 0, v86, vcc_lo
	v_cmp_nlt_f32_e32 vcc_lo, 0x42b17218, v84
	s_delay_alu instid0(VALU_DEP_2) | instskip(NEXT) | instid1(VALU_DEP_1)
	v_cndmask_b32_e32 v84, 0x7f800000, v86, vcc_lo
	v_add_f32_e32 v99, 1.0, v84
	s_delay_alu instid0(VALU_DEP_1) | instskip(NEXT) | instid1(VALU_DEP_1)
	v_cvt_f64_f32_e32 v[86:87], v99
	v_frexp_exp_i32_f64_e32 v86, v[86:87]
	v_frexp_mant_f32_e32 v87, v99
	s_delay_alu instid0(VALU_DEP_1) | instskip(SKIP_1) | instid1(VALU_DEP_1)
	v_cmp_gt_f32_e32 vcc_lo, 0x3f2aaaab, v87
	v_add_f32_e32 v87, -1.0, v99
	v_sub_f32_e32 v102, v87, v99
	s_delay_alu instid0(VALU_DEP_1) | instskip(SKIP_1) | instid1(VALU_DEP_1)
	v_dual_sub_f32 v87, v84, v87 :: v_dual_add_f32 v102, 1.0, v102
	v_subrev_co_ci_u32_e32 v86, vcc_lo, 0, v86, vcc_lo
	v_sub_nc_u32_e32 v100, 0, v86
	v_cvt_f32_i32_e32 v86, v86
	s_delay_alu instid0(VALU_DEP_2) | instskip(NEXT) | instid1(VALU_DEP_1)
	v_ldexp_f32 v99, v99, v100
	v_add_f32_e32 v103, 1.0, v99
	s_delay_alu instid0(VALU_DEP_1) | instskip(NEXT) | instid1(VALU_DEP_1)
	v_dual_add_f32 v87, v87, v102 :: v_dual_add_f32 v102, -1.0, v103
	v_ldexp_f32 v87, v87, v100
	v_add_f32_e32 v100, -1.0, v99
	s_delay_alu instid0(VALU_DEP_3) | instskip(NEXT) | instid1(VALU_DEP_2)
	v_sub_f32_e32 v102, v99, v102
	v_add_f32_e32 v112, 1.0, v100
	s_delay_alu instid0(VALU_DEP_2) | instskip(NEXT) | instid1(VALU_DEP_2)
	v_add_f32_e32 v102, v87, v102
	v_sub_f32_e32 v99, v99, v112
	v_cmp_eq_f32_e32 vcc_lo, 0x7f800000, v84
	s_delay_alu instid0(VALU_DEP_3) | instskip(NEXT) | instid1(VALU_DEP_3)
	v_add_f32_e32 v112, v103, v102
	v_add_f32_e32 v87, v87, v99
	s_delay_alu instid0(VALU_DEP_2) | instskip(SKIP_1) | instid1(VALU_DEP_2)
	v_rcp_f32_e32 v99, v112
	v_sub_f32_e32 v103, v103, v112
	v_add_f32_e32 v113, v100, v87
	s_delay_alu instid0(VALU_DEP_2) | instskip(NEXT) | instid1(VALU_DEP_2)
	v_add_f32_e32 v102, v102, v103
	v_sub_f32_e32 v100, v100, v113
	s_waitcnt_depctr 0xfff
	v_dual_mul_f32 v114, v113, v99 :: v_dual_add_f32 v87, v87, v100
	s_delay_alu instid0(VALU_DEP_1) | instskip(NEXT) | instid1(VALU_DEP_1)
	v_mul_f32_e32 v115, v112, v114
	v_fma_f32 v103, v114, v112, -v115
	s_delay_alu instid0(VALU_DEP_1) | instskip(NEXT) | instid1(VALU_DEP_1)
	v_fmac_f32_e32 v103, v114, v102
	v_add_f32_e32 v116, v115, v103
	s_delay_alu instid0(VALU_DEP_1) | instskip(NEXT) | instid1(VALU_DEP_1)
	v_sub_f32_e32 v117, v113, v116
	v_sub_f32_e32 v113, v113, v117
	s_delay_alu instid0(VALU_DEP_1) | instskip(NEXT) | instid1(VALU_DEP_1)
	v_dual_sub_f32 v113, v113, v116 :: v_dual_sub_f32 v100, v116, v115
	v_dual_add_f32 v87, v87, v113 :: v_dual_sub_f32 v100, v100, v103
	s_delay_alu instid0(VALU_DEP_1) | instskip(NEXT) | instid1(VALU_DEP_1)
	v_add_f32_e32 v87, v100, v87
	v_add_f32_e32 v100, v117, v87
	s_delay_alu instid0(VALU_DEP_1) | instskip(NEXT) | instid1(VALU_DEP_1)
	v_mul_f32_e32 v103, v99, v100
	v_dual_sub_f32 v116, v117, v100 :: v_dual_mul_f32 v113, v112, v103
	s_delay_alu instid0(VALU_DEP_1) | instskip(NEXT) | instid1(VALU_DEP_1)
	v_fma_f32 v112, v103, v112, -v113
	v_fmac_f32_e32 v112, v103, v102
	s_delay_alu instid0(VALU_DEP_3) | instskip(NEXT) | instid1(VALU_DEP_2)
	v_add_f32_e32 v87, v87, v116
	v_add_f32_e32 v102, v113, v112
	s_delay_alu instid0(VALU_DEP_1) | instskip(NEXT) | instid1(VALU_DEP_1)
	v_sub_f32_e32 v115, v100, v102
	v_dual_sub_f32 v113, v102, v113 :: v_dual_sub_f32 v100, v100, v115
	s_delay_alu instid0(VALU_DEP_1) | instskip(NEXT) | instid1(VALU_DEP_2)
	v_sub_f32_e32 v100, v100, v102
	v_sub_f32_e32 v102, v113, v112
	s_delay_alu instid0(VALU_DEP_2) | instskip(NEXT) | instid1(VALU_DEP_1)
	v_dual_add_f32 v87, v87, v100 :: v_dual_add_f32 v100, v114, v103
	v_dual_add_f32 v87, v102, v87 :: v_dual_sub_f32 v102, v100, v114
	s_delay_alu instid0(VALU_DEP_1) | instskip(NEXT) | instid1(VALU_DEP_2)
	v_add_f32_e32 v87, v115, v87
	v_sub_f32_e32 v102, v103, v102
	s_delay_alu instid0(VALU_DEP_2) | instskip(NEXT) | instid1(VALU_DEP_1)
	v_mul_f32_e32 v87, v99, v87
	v_add_f32_e32 v87, v102, v87
	s_delay_alu instid0(VALU_DEP_1) | instskip(NEXT) | instid1(VALU_DEP_1)
	v_add_f32_e32 v99, v100, v87
	v_mul_f32_e32 v102, v99, v99
	s_delay_alu instid0(VALU_DEP_1) | instskip(SKIP_2) | instid1(VALU_DEP_3)
	v_fmaak_f32 v103, s2, v102, 0x3ecc95a3
	v_mul_f32_e32 v112, v99, v102
	v_cmp_gt_f32_e64 s2, 0x33800000, |v84|
	v_fmaak_f32 v102, v102, v103, 0x3f2aaada
	v_ldexp_f32 v103, v99, 1
	v_sub_f32_e32 v99, v99, v100
	s_delay_alu instid0(VALU_DEP_4) | instskip(NEXT) | instid1(VALU_DEP_1)
	s_or_b32 vcc_lo, vcc_lo, s2
	v_dual_mul_f32 v102, v112, v102 :: v_dual_sub_f32 v87, v87, v99
	s_delay_alu instid0(VALU_DEP_1) | instskip(SKIP_1) | instid1(VALU_DEP_3)
	v_add_f32_e32 v100, v103, v102
	v_mul_f32_e32 v112, 0x3f317218, v86
	v_ldexp_f32 v87, v87, 1
	s_delay_alu instid0(VALU_DEP_3) | instskip(NEXT) | instid1(VALU_DEP_3)
	v_sub_f32_e32 v99, v100, v103
	v_fma_f32 v103, 0x3f317218, v86, -v112
	s_delay_alu instid0(VALU_DEP_2) | instskip(NEXT) | instid1(VALU_DEP_1)
	v_sub_f32_e32 v99, v102, v99
	v_dual_fmamk_f32 v86, v86, 0xb102e308, v103 :: v_dual_add_f32 v87, v87, v99
	s_delay_alu instid0(VALU_DEP_1) | instskip(NEXT) | instid1(VALU_DEP_2)
	v_add_f32_e32 v99, v112, v86
	v_add_f32_e32 v102, v100, v87
	s_delay_alu instid0(VALU_DEP_2) | instskip(NEXT) | instid1(VALU_DEP_1)
	v_sub_f32_e32 v112, v99, v112
	v_dual_add_f32 v103, v99, v102 :: v_dual_sub_f32 v86, v86, v112
	s_delay_alu instid0(VALU_DEP_1) | instskip(NEXT) | instid1(VALU_DEP_1)
	v_sub_f32_e32 v113, v103, v99
	v_sub_f32_e32 v114, v103, v113
	s_delay_alu instid0(VALU_DEP_1) | instskip(NEXT) | instid1(VALU_DEP_1)
	v_dual_sub_f32 v99, v99, v114 :: v_dual_sub_f32 v100, v102, v100
	v_dual_sub_f32 v87, v87, v100 :: v_dual_sub_f32 v100, v102, v113
	s_delay_alu instid0(VALU_DEP_1) | instskip(NEXT) | instid1(VALU_DEP_1)
	v_add_f32_e32 v102, v86, v87
	v_dual_add_f32 v99, v100, v99 :: v_dual_sub_f32 v100, v102, v86
	s_delay_alu instid0(VALU_DEP_1) | instskip(NEXT) | instid1(VALU_DEP_2)
	v_sub_f32_e32 v87, v87, v100
	v_add_f32_e32 v99, v102, v99
	v_sub_f32_e32 v102, v102, v100
	s_delay_alu instid0(VALU_DEP_2) | instskip(NEXT) | instid1(VALU_DEP_1)
	v_add_f32_e32 v112, v103, v99
	v_sub_f32_e32 v100, v112, v103
	s_delay_alu instid0(VALU_DEP_3) | instskip(NEXT) | instid1(VALU_DEP_1)
	v_sub_f32_e32 v86, v86, v102
	v_add_f32_e32 v86, v87, v86
	s_delay_alu instid0(VALU_DEP_3) | instskip(NEXT) | instid1(VALU_DEP_1)
	v_sub_f32_e32 v87, v99, v100
	v_add_f32_e32 v86, v86, v87
	s_delay_alu instid0(VALU_DEP_1) | instskip(NEXT) | instid1(VALU_DEP_1)
	v_add_f32_e32 v86, v112, v86
	v_cndmask_b32_e32 v84, v86, v84, vcc_lo
	s_delay_alu instid0(VALU_DEP_1) | instskip(NEXT) | instid1(VALU_DEP_1)
	v_add_f32_e32 v84, v85, v84
	v_cvt_f16_f32_e32 v99, v84
	s_delay_alu instid0(VALU_DEP_1)
	v_cvt_f32_f16_e32 v100, v99
	v_mov_b32_e32 v84, v99
.LBB410_230:
	s_or_b32 exec_lo, exec_lo, s1
	v_max_f32_e32 v85, v96, v96
	s_delay_alu instid0(VALU_DEP_3) | instskip(SKIP_1) | instid1(VALU_DEP_2)
	v_max_f32_e32 v86, v100, v100
	v_cmp_u_f16_e32 vcc_lo, v99, v99
	v_min_f32_e32 v87, v86, v85
	s_delay_alu instid0(VALU_DEP_1) | instskip(NEXT) | instid1(VALU_DEP_1)
	v_dual_max_f32 v85, v86, v85 :: v_dual_cndmask_b32 v86, v87, v100
	v_cndmask_b32_e32 v85, v85, v100, vcc_lo
	s_delay_alu instid0(VALU_DEP_2) | instskip(NEXT) | instid1(VALU_DEP_2)
	v_cndmask_b32_e64 v87, v86, v96, s20
	v_cndmask_b32_e64 v86, v85, v96, s20
	v_mov_b32_e32 v85, v84
	s_delay_alu instid0(VALU_DEP_3) | instskip(NEXT) | instid1(VALU_DEP_3)
	v_cmp_class_f32_e64 s1, v87, 0x1f8
	v_cmp_neq_f32_e32 vcc_lo, v87, v86
	s_delay_alu instid0(VALU_DEP_2) | instskip(NEXT) | instid1(SALU_CYCLE_1)
	s_or_b32 s2, vcc_lo, s1
	s_and_saveexec_b32 s1, s2
	s_cbranch_execz .LBB410_232
; %bb.231:
	v_sub_f32_e32 v85, v87, v86
	s_mov_b32 s2, 0x3e9b6dac
	s_delay_alu instid0(VALU_DEP_1) | instskip(SKIP_1) | instid1(VALU_DEP_2)
	v_mul_f32_e32 v87, 0x3fb8aa3b, v85
	v_cmp_ngt_f32_e32 vcc_lo, 0xc2ce8ed0, v85
	v_fma_f32 v96, 0x3fb8aa3b, v85, -v87
	v_rndne_f32_e32 v99, v87
	s_delay_alu instid0(VALU_DEP_1) | instskip(NEXT) | instid1(VALU_DEP_1)
	v_dual_fmamk_f32 v96, v85, 0x32a5705f, v96 :: v_dual_sub_f32 v87, v87, v99
	v_add_f32_e32 v87, v87, v96
	v_cvt_i32_f32_e32 v96, v99
	s_delay_alu instid0(VALU_DEP_2) | instskip(SKIP_2) | instid1(VALU_DEP_1)
	v_exp_f32_e32 v87, v87
	s_waitcnt_depctr 0xfff
	v_ldexp_f32 v87, v87, v96
	v_cndmask_b32_e32 v87, 0, v87, vcc_lo
	v_cmp_nlt_f32_e32 vcc_lo, 0x42b17218, v85
	s_delay_alu instid0(VALU_DEP_2) | instskip(NEXT) | instid1(VALU_DEP_1)
	v_cndmask_b32_e32 v85, 0x7f800000, v87, vcc_lo
	v_add_f32_e32 v87, 1.0, v85
	s_delay_alu instid0(VALU_DEP_1) | instskip(NEXT) | instid1(VALU_DEP_1)
	v_cvt_f64_f32_e32 v[99:100], v87
	v_frexp_exp_i32_f64_e32 v96, v[99:100]
	v_frexp_mant_f32_e32 v99, v87
	s_delay_alu instid0(VALU_DEP_1) | instskip(SKIP_1) | instid1(VALU_DEP_1)
	v_cmp_gt_f32_e32 vcc_lo, 0x3f2aaaab, v99
	v_add_f32_e32 v99, -1.0, v87
	v_sub_f32_e32 v102, v99, v87
	s_delay_alu instid0(VALU_DEP_1) | instskip(SKIP_1) | instid1(VALU_DEP_1)
	v_dual_sub_f32 v99, v85, v99 :: v_dual_add_f32 v102, 1.0, v102
	v_subrev_co_ci_u32_e32 v96, vcc_lo, 0, v96, vcc_lo
	v_sub_nc_u32_e32 v100, 0, v96
	v_cvt_f32_i32_e32 v96, v96
	s_delay_alu instid0(VALU_DEP_2) | instskip(SKIP_1) | instid1(VALU_DEP_2)
	v_ldexp_f32 v87, v87, v100
	v_add_f32_e32 v99, v99, v102
	v_add_f32_e32 v103, 1.0, v87
	s_delay_alu instid0(VALU_DEP_2) | instskip(SKIP_1) | instid1(VALU_DEP_3)
	v_ldexp_f32 v99, v99, v100
	v_add_f32_e32 v100, -1.0, v87
	v_add_f32_e32 v102, -1.0, v103
	s_delay_alu instid0(VALU_DEP_2) | instskip(NEXT) | instid1(VALU_DEP_2)
	v_add_f32_e32 v112, 1.0, v100
	v_sub_f32_e32 v102, v87, v102
	v_cmp_eq_f32_e32 vcc_lo, 0x7f800000, v85
	s_delay_alu instid0(VALU_DEP_2) | instskip(NEXT) | instid1(VALU_DEP_4)
	v_add_f32_e32 v102, v99, v102
	v_sub_f32_e32 v87, v87, v112
	s_delay_alu instid0(VALU_DEP_2) | instskip(NEXT) | instid1(VALU_DEP_1)
	v_add_f32_e32 v112, v103, v102
	v_sub_f32_e32 v103, v103, v112
	s_delay_alu instid0(VALU_DEP_1) | instskip(NEXT) | instid1(VALU_DEP_4)
	v_add_f32_e32 v102, v102, v103
	v_add_f32_e32 v87, v99, v87
	v_rcp_f32_e32 v99, v112
	s_delay_alu instid0(VALU_DEP_1) | instskip(NEXT) | instid1(VALU_DEP_1)
	v_add_f32_e32 v113, v100, v87
	v_sub_f32_e32 v100, v100, v113
	s_waitcnt_depctr 0xfff
	v_dual_mul_f32 v114, v113, v99 :: v_dual_add_f32 v87, v87, v100
	s_delay_alu instid0(VALU_DEP_1) | instskip(NEXT) | instid1(VALU_DEP_1)
	v_mul_f32_e32 v115, v112, v114
	v_fma_f32 v103, v114, v112, -v115
	s_delay_alu instid0(VALU_DEP_1) | instskip(NEXT) | instid1(VALU_DEP_1)
	v_fmac_f32_e32 v103, v114, v102
	v_add_f32_e32 v116, v115, v103
	s_delay_alu instid0(VALU_DEP_1) | instskip(NEXT) | instid1(VALU_DEP_1)
	v_sub_f32_e32 v117, v113, v116
	v_dual_sub_f32 v113, v113, v117 :: v_dual_sub_f32 v100, v116, v115
	s_delay_alu instid0(VALU_DEP_1) | instskip(NEXT) | instid1(VALU_DEP_1)
	v_dual_sub_f32 v113, v113, v116 :: v_dual_sub_f32 v100, v100, v103
	v_add_f32_e32 v87, v87, v113
	s_delay_alu instid0(VALU_DEP_1) | instskip(NEXT) | instid1(VALU_DEP_1)
	v_add_f32_e32 v87, v100, v87
	v_add_f32_e32 v100, v117, v87
	s_delay_alu instid0(VALU_DEP_1) | instskip(NEXT) | instid1(VALU_DEP_1)
	v_mul_f32_e32 v103, v99, v100
	v_dual_sub_f32 v116, v117, v100 :: v_dual_mul_f32 v113, v112, v103
	s_delay_alu instid0(VALU_DEP_1) | instskip(NEXT) | instid1(VALU_DEP_2)
	v_add_f32_e32 v87, v87, v116
	v_fma_f32 v112, v103, v112, -v113
	s_delay_alu instid0(VALU_DEP_1) | instskip(NEXT) | instid1(VALU_DEP_1)
	v_fmac_f32_e32 v112, v103, v102
	v_add_f32_e32 v102, v113, v112
	s_delay_alu instid0(VALU_DEP_1) | instskip(NEXT) | instid1(VALU_DEP_1)
	v_sub_f32_e32 v115, v100, v102
	v_dual_sub_f32 v113, v102, v113 :: v_dual_sub_f32 v100, v100, v115
	s_delay_alu instid0(VALU_DEP_1) | instskip(NEXT) | instid1(VALU_DEP_2)
	v_sub_f32_e32 v100, v100, v102
	v_sub_f32_e32 v102, v113, v112
	s_delay_alu instid0(VALU_DEP_2) | instskip(NEXT) | instid1(VALU_DEP_1)
	v_dual_add_f32 v87, v87, v100 :: v_dual_add_f32 v100, v114, v103
	v_dual_add_f32 v87, v102, v87 :: v_dual_sub_f32 v102, v100, v114
	s_delay_alu instid0(VALU_DEP_1) | instskip(NEXT) | instid1(VALU_DEP_2)
	v_add_f32_e32 v87, v115, v87
	v_sub_f32_e32 v102, v103, v102
	s_delay_alu instid0(VALU_DEP_2) | instskip(NEXT) | instid1(VALU_DEP_1)
	v_mul_f32_e32 v87, v99, v87
	v_add_f32_e32 v87, v102, v87
	s_delay_alu instid0(VALU_DEP_1) | instskip(NEXT) | instid1(VALU_DEP_1)
	v_add_f32_e32 v99, v100, v87
	v_mul_f32_e32 v102, v99, v99
	s_delay_alu instid0(VALU_DEP_1) | instskip(SKIP_2) | instid1(VALU_DEP_3)
	v_fmaak_f32 v103, s2, v102, 0x3ecc95a3
	v_mul_f32_e32 v112, v99, v102
	v_cmp_gt_f32_e64 s2, 0x33800000, |v85|
	v_fmaak_f32 v102, v102, v103, 0x3f2aaada
	v_ldexp_f32 v103, v99, 1
	v_sub_f32_e32 v99, v99, v100
	s_delay_alu instid0(VALU_DEP_4) | instskip(NEXT) | instid1(VALU_DEP_3)
	s_or_b32 vcc_lo, vcc_lo, s2
	v_mul_f32_e32 v102, v112, v102
	s_delay_alu instid0(VALU_DEP_2) | instskip(NEXT) | instid1(VALU_DEP_2)
	v_dual_mul_f32 v112, 0x3f317218, v96 :: v_dual_sub_f32 v87, v87, v99
	v_add_f32_e32 v100, v103, v102
	s_delay_alu instid0(VALU_DEP_2) | instskip(NEXT) | instid1(VALU_DEP_2)
	v_ldexp_f32 v87, v87, 1
	v_sub_f32_e32 v99, v100, v103
	s_delay_alu instid0(VALU_DEP_4) | instskip(NEXT) | instid1(VALU_DEP_1)
	v_fma_f32 v103, 0x3f317218, v96, -v112
	v_dual_sub_f32 v99, v102, v99 :: v_dual_fmamk_f32 v96, v96, 0xb102e308, v103
	s_delay_alu instid0(VALU_DEP_1) | instskip(NEXT) | instid1(VALU_DEP_2)
	v_add_f32_e32 v87, v87, v99
	v_add_f32_e32 v99, v112, v96
	s_delay_alu instid0(VALU_DEP_2) | instskip(NEXT) | instid1(VALU_DEP_2)
	v_add_f32_e32 v102, v100, v87
	v_sub_f32_e32 v112, v99, v112
	s_delay_alu instid0(VALU_DEP_2) | instskip(NEXT) | instid1(VALU_DEP_2)
	v_sub_f32_e32 v100, v102, v100
	v_sub_f32_e32 v96, v96, v112
	s_delay_alu instid0(VALU_DEP_2) | instskip(SKIP_1) | instid1(VALU_DEP_1)
	v_sub_f32_e32 v87, v87, v100
	v_add_f32_e32 v103, v99, v102
	v_sub_f32_e32 v113, v103, v99
	s_delay_alu instid0(VALU_DEP_1) | instskip(NEXT) | instid1(VALU_DEP_4)
	v_sub_f32_e32 v100, v102, v113
	v_add_f32_e32 v102, v96, v87
	v_sub_f32_e32 v114, v103, v113
	s_delay_alu instid0(VALU_DEP_1) | instskip(NEXT) | instid1(VALU_DEP_1)
	v_sub_f32_e32 v99, v99, v114
	v_dual_add_f32 v99, v100, v99 :: v_dual_sub_f32 v100, v102, v96
	s_delay_alu instid0(VALU_DEP_1) | instskip(NEXT) | instid1(VALU_DEP_2)
	v_add_f32_e32 v99, v102, v99
	v_sub_f32_e32 v102, v102, v100
	v_sub_f32_e32 v87, v87, v100
	s_delay_alu instid0(VALU_DEP_3) | instskip(NEXT) | instid1(VALU_DEP_3)
	v_add_f32_e32 v112, v103, v99
	v_sub_f32_e32 v96, v96, v102
	s_delay_alu instid0(VALU_DEP_1) | instskip(NEXT) | instid1(VALU_DEP_1)
	v_dual_sub_f32 v100, v112, v103 :: v_dual_add_f32 v87, v87, v96
	v_sub_f32_e32 v96, v99, v100
	s_delay_alu instid0(VALU_DEP_1) | instskip(NEXT) | instid1(VALU_DEP_1)
	v_add_f32_e32 v87, v87, v96
	v_add_f32_e32 v87, v112, v87
	s_delay_alu instid0(VALU_DEP_1) | instskip(NEXT) | instid1(VALU_DEP_1)
	v_cndmask_b32_e32 v85, v87, v85, vcc_lo
	v_add_f32_e32 v85, v86, v85
	s_delay_alu instid0(VALU_DEP_1) | instskip(NEXT) | instid1(VALU_DEP_1)
	v_cvt_f16_f32_e32 v99, v85
	v_cvt_f32_f16_e32 v100, v99
	v_mov_b32_e32 v85, v99
.LBB410_232:
	s_or_b32 exec_lo, exec_lo, s1
	s_delay_alu instid0(VALU_DEP_2) | instskip(SKIP_1) | instid1(VALU_DEP_2)
	v_dual_max_f32 v86, v97, v97 :: v_dual_max_f32 v87, v100, v100
	v_cmp_u_f16_e32 vcc_lo, v99, v99
	v_min_f32_e32 v96, v87, v86
	s_delay_alu instid0(VALU_DEP_1) | instskip(NEXT) | instid1(VALU_DEP_1)
	v_dual_max_f32 v86, v87, v86 :: v_dual_cndmask_b32 v87, v96, v100
	v_cndmask_b32_e32 v86, v86, v100, vcc_lo
	s_delay_alu instid0(VALU_DEP_2) | instskip(NEXT) | instid1(VALU_DEP_2)
	v_cndmask_b32_e64 v96, v87, v97, s21
	v_cndmask_b32_e64 v87, v86, v97, s21
	v_mov_b32_e32 v86, v85
	s_delay_alu instid0(VALU_DEP_3) | instskip(NEXT) | instid1(VALU_DEP_3)
	v_cmp_class_f32_e64 s1, v96, 0x1f8
	v_cmp_neq_f32_e32 vcc_lo, v96, v87
	s_delay_alu instid0(VALU_DEP_2) | instskip(NEXT) | instid1(SALU_CYCLE_1)
	s_or_b32 s2, vcc_lo, s1
	s_and_saveexec_b32 s1, s2
	s_cbranch_execz .LBB410_234
; %bb.233:
	v_sub_f32_e32 v86, v96, v87
	s_mov_b32 s2, 0x3e9b6dac
	s_delay_alu instid0(VALU_DEP_1) | instskip(SKIP_1) | instid1(VALU_DEP_2)
	v_mul_f32_e32 v96, 0x3fb8aa3b, v86
	v_cmp_ngt_f32_e32 vcc_lo, 0xc2ce8ed0, v86
	v_fma_f32 v97, 0x3fb8aa3b, v86, -v96
	v_rndne_f32_e32 v99, v96
	s_delay_alu instid0(VALU_DEP_1) | instskip(NEXT) | instid1(VALU_DEP_1)
	v_dual_fmamk_f32 v97, v86, 0x32a5705f, v97 :: v_dual_sub_f32 v96, v96, v99
	v_add_f32_e32 v96, v96, v97
	v_cvt_i32_f32_e32 v97, v99
	s_delay_alu instid0(VALU_DEP_2) | instskip(SKIP_2) | instid1(VALU_DEP_1)
	v_exp_f32_e32 v96, v96
	s_waitcnt_depctr 0xfff
	v_ldexp_f32 v96, v96, v97
	v_cndmask_b32_e32 v96, 0, v96, vcc_lo
	v_cmp_nlt_f32_e32 vcc_lo, 0x42b17218, v86
	s_delay_alu instid0(VALU_DEP_2) | instskip(NEXT) | instid1(VALU_DEP_1)
	v_cndmask_b32_e32 v86, 0x7f800000, v96, vcc_lo
	v_add_f32_e32 v99, 1.0, v86
	s_delay_alu instid0(VALU_DEP_1) | instskip(NEXT) | instid1(VALU_DEP_1)
	v_cvt_f64_f32_e32 v[96:97], v99
	v_frexp_exp_i32_f64_e32 v96, v[96:97]
	v_frexp_mant_f32_e32 v97, v99
	s_delay_alu instid0(VALU_DEP_1) | instskip(SKIP_1) | instid1(VALU_DEP_1)
	v_cmp_gt_f32_e32 vcc_lo, 0x3f2aaaab, v97
	v_add_f32_e32 v97, -1.0, v99
	v_sub_f32_e32 v102, v97, v99
	s_delay_alu instid0(VALU_DEP_1) | instskip(SKIP_1) | instid1(VALU_DEP_1)
	v_add_f32_e32 v102, 1.0, v102
	v_subrev_co_ci_u32_e32 v96, vcc_lo, 0, v96, vcc_lo
	v_sub_nc_u32_e32 v100, 0, v96
	v_cvt_f32_i32_e32 v96, v96
	s_delay_alu instid0(VALU_DEP_2) | instskip(NEXT) | instid1(VALU_DEP_1)
	v_ldexp_f32 v99, v99, v100
	v_add_f32_e32 v103, 1.0, v99
	v_sub_f32_e32 v97, v86, v97
	v_cmp_eq_f32_e32 vcc_lo, 0x7f800000, v86
	s_delay_alu instid0(VALU_DEP_2) | instskip(NEXT) | instid1(VALU_DEP_1)
	v_add_f32_e32 v97, v97, v102
	v_ldexp_f32 v97, v97, v100
	v_add_f32_e32 v100, -1.0, v99
	v_add_f32_e32 v102, -1.0, v103
	s_delay_alu instid0(VALU_DEP_2) | instskip(NEXT) | instid1(VALU_DEP_2)
	v_add_f32_e32 v112, 1.0, v100
	v_sub_f32_e32 v102, v99, v102
	s_delay_alu instid0(VALU_DEP_1) | instskip(NEXT) | instid1(VALU_DEP_1)
	v_dual_sub_f32 v99, v99, v112 :: v_dual_add_f32 v102, v97, v102
	v_dual_add_f32 v97, v97, v99 :: v_dual_add_f32 v112, v103, v102
	s_delay_alu instid0(VALU_DEP_1) | instskip(SKIP_1) | instid1(VALU_DEP_1)
	v_rcp_f32_e32 v99, v112
	v_sub_f32_e32 v103, v103, v112
	v_dual_add_f32 v113, v100, v97 :: v_dual_add_f32 v102, v102, v103
	s_delay_alu instid0(VALU_DEP_1) | instskip(SKIP_3) | instid1(VALU_DEP_2)
	v_sub_f32_e32 v100, v100, v113
	s_waitcnt_depctr 0xfff
	v_mul_f32_e32 v114, v113, v99
	v_add_f32_e32 v97, v97, v100
	v_mul_f32_e32 v115, v112, v114
	s_delay_alu instid0(VALU_DEP_1) | instskip(NEXT) | instid1(VALU_DEP_1)
	v_fma_f32 v103, v114, v112, -v115
	v_fmac_f32_e32 v103, v114, v102
	s_delay_alu instid0(VALU_DEP_1) | instskip(NEXT) | instid1(VALU_DEP_1)
	v_add_f32_e32 v116, v115, v103
	v_sub_f32_e32 v117, v113, v116
	s_delay_alu instid0(VALU_DEP_1) | instskip(NEXT) | instid1(VALU_DEP_1)
	v_sub_f32_e32 v113, v113, v117
	v_dual_sub_f32 v113, v113, v116 :: v_dual_sub_f32 v100, v116, v115
	s_delay_alu instid0(VALU_DEP_1) | instskip(NEXT) | instid1(VALU_DEP_1)
	v_dual_add_f32 v97, v97, v113 :: v_dual_sub_f32 v100, v100, v103
	v_add_f32_e32 v97, v100, v97
	s_delay_alu instid0(VALU_DEP_1) | instskip(NEXT) | instid1(VALU_DEP_1)
	v_add_f32_e32 v100, v117, v97
	v_mul_f32_e32 v103, v99, v100
	s_delay_alu instid0(VALU_DEP_1) | instskip(NEXT) | instid1(VALU_DEP_1)
	v_dual_mul_f32 v113, v112, v103 :: v_dual_sub_f32 v116, v117, v100
	v_fma_f32 v112, v103, v112, -v113
	s_delay_alu instid0(VALU_DEP_1) | instskip(NEXT) | instid1(VALU_DEP_1)
	v_dual_add_f32 v97, v97, v116 :: v_dual_fmac_f32 v112, v103, v102
	v_add_f32_e32 v102, v113, v112
	s_delay_alu instid0(VALU_DEP_1) | instskip(NEXT) | instid1(VALU_DEP_1)
	v_sub_f32_e32 v115, v100, v102
	v_dual_sub_f32 v113, v102, v113 :: v_dual_sub_f32 v100, v100, v115
	s_delay_alu instid0(VALU_DEP_1) | instskip(NEXT) | instid1(VALU_DEP_1)
	v_sub_f32_e32 v100, v100, v102
	v_dual_add_f32 v97, v97, v100 :: v_dual_add_f32 v100, v114, v103
	s_delay_alu instid0(VALU_DEP_3) | instskip(NEXT) | instid1(VALU_DEP_1)
	v_sub_f32_e32 v102, v113, v112
	v_dual_add_f32 v97, v102, v97 :: v_dual_sub_f32 v102, v100, v114
	s_delay_alu instid0(VALU_DEP_1) | instskip(NEXT) | instid1(VALU_DEP_2)
	v_add_f32_e32 v97, v115, v97
	v_sub_f32_e32 v102, v103, v102
	s_delay_alu instid0(VALU_DEP_2) | instskip(NEXT) | instid1(VALU_DEP_1)
	v_mul_f32_e32 v97, v99, v97
	v_add_f32_e32 v97, v102, v97
	s_delay_alu instid0(VALU_DEP_1) | instskip(NEXT) | instid1(VALU_DEP_1)
	v_add_f32_e32 v99, v100, v97
	v_mul_f32_e32 v102, v99, v99
	s_delay_alu instid0(VALU_DEP_1) | instskip(SKIP_2) | instid1(VALU_DEP_3)
	v_fmaak_f32 v103, s2, v102, 0x3ecc95a3
	v_mul_f32_e32 v112, v99, v102
	v_cmp_gt_f32_e64 s2, 0x33800000, |v86|
	v_fmaak_f32 v102, v102, v103, 0x3f2aaada
	v_ldexp_f32 v103, v99, 1
	v_sub_f32_e32 v99, v99, v100
	s_delay_alu instid0(VALU_DEP_4) | instskip(NEXT) | instid1(VALU_DEP_1)
	s_or_b32 vcc_lo, vcc_lo, s2
	v_sub_f32_e32 v97, v97, v99
	s_delay_alu instid0(VALU_DEP_1) | instskip(SKIP_1) | instid1(VALU_DEP_1)
	v_ldexp_f32 v97, v97, 1
	v_mul_f32_e32 v102, v112, v102
	v_add_f32_e32 v100, v103, v102
	s_delay_alu instid0(VALU_DEP_1) | instskip(NEXT) | instid1(VALU_DEP_1)
	v_sub_f32_e32 v99, v100, v103
	v_sub_f32_e32 v99, v102, v99
	s_delay_alu instid0(VALU_DEP_1) | instskip(NEXT) | instid1(VALU_DEP_1)
	v_add_f32_e32 v97, v97, v99
	v_add_f32_e32 v102, v100, v97
	v_mul_f32_e32 v112, 0x3f317218, v96
	s_delay_alu instid0(VALU_DEP_1) | instskip(NEXT) | instid1(VALU_DEP_1)
	v_fma_f32 v103, 0x3f317218, v96, -v112
	v_fmamk_f32 v96, v96, 0xb102e308, v103
	s_delay_alu instid0(VALU_DEP_1) | instskip(NEXT) | instid1(VALU_DEP_1)
	v_add_f32_e32 v99, v112, v96
	v_add_f32_e32 v103, v99, v102
	s_delay_alu instid0(VALU_DEP_1) | instskip(NEXT) | instid1(VALU_DEP_1)
	v_sub_f32_e32 v113, v103, v99
	v_sub_f32_e32 v114, v103, v113
	;; [unrolled: 1-line block ×3, first 2 shown]
	s_delay_alu instid0(VALU_DEP_1) | instskip(SKIP_1) | instid1(VALU_DEP_4)
	v_dual_sub_f32 v97, v97, v100 :: v_dual_sub_f32 v100, v102, v113
	v_sub_f32_e32 v112, v99, v112
	v_sub_f32_e32 v99, v99, v114
	s_delay_alu instid0(VALU_DEP_1) | instskip(NEXT) | instid1(VALU_DEP_3)
	v_add_f32_e32 v99, v100, v99
	v_sub_f32_e32 v96, v96, v112
	s_delay_alu instid0(VALU_DEP_1) | instskip(NEXT) | instid1(VALU_DEP_1)
	v_add_f32_e32 v102, v96, v97
	v_add_f32_e32 v99, v102, v99
	v_sub_f32_e32 v100, v102, v96
	s_delay_alu instid0(VALU_DEP_1) | instskip(SKIP_1) | instid1(VALU_DEP_2)
	v_dual_add_f32 v112, v103, v99 :: v_dual_sub_f32 v97, v97, v100
	v_sub_f32_e32 v102, v102, v100
	v_sub_f32_e32 v100, v112, v103
	s_delay_alu instid0(VALU_DEP_2) | instskip(NEXT) | instid1(VALU_DEP_1)
	v_sub_f32_e32 v96, v96, v102
	v_add_f32_e32 v96, v97, v96
	s_delay_alu instid0(VALU_DEP_3) | instskip(NEXT) | instid1(VALU_DEP_1)
	v_sub_f32_e32 v97, v99, v100
	v_add_f32_e32 v96, v96, v97
	s_delay_alu instid0(VALU_DEP_1) | instskip(NEXT) | instid1(VALU_DEP_1)
	v_add_f32_e32 v96, v112, v96
	v_cndmask_b32_e32 v86, v96, v86, vcc_lo
	s_delay_alu instid0(VALU_DEP_1) | instskip(NEXT) | instid1(VALU_DEP_1)
	v_add_f32_e32 v86, v87, v86
	v_cvt_f16_f32_e32 v99, v86
	s_delay_alu instid0(VALU_DEP_1)
	v_cvt_f32_f16_e32 v100, v99
	v_mov_b32_e32 v86, v99
.LBB410_234:
	s_or_b32 exec_lo, exec_lo, s1
	s_delay_alu instid0(VALU_DEP_2) | instskip(SKIP_1) | instid1(VALU_DEP_2)
	v_dual_max_f32 v87, v98, v98 :: v_dual_max_f32 v96, v100, v100
	v_cmp_u_f16_e32 vcc_lo, v99, v99
	v_min_f32_e32 v97, v96, v87
	s_delay_alu instid0(VALU_DEP_1) | instskip(NEXT) | instid1(VALU_DEP_1)
	v_dual_max_f32 v87, v96, v87 :: v_dual_cndmask_b32 v96, v97, v100
	v_cndmask_b32_e32 v87, v87, v100, vcc_lo
	s_delay_alu instid0(VALU_DEP_2) | instskip(NEXT) | instid1(VALU_DEP_2)
	v_cndmask_b32_e64 v97, v96, v98, s22
	v_cndmask_b32_e64 v87, v87, v98, s22
	v_mov_b32_e32 v96, v86
	s_delay_alu instid0(VALU_DEP_3) | instskip(NEXT) | instid1(VALU_DEP_3)
	v_cmp_class_f32_e64 s1, v97, 0x1f8
	v_cmp_neq_f32_e32 vcc_lo, v97, v87
	s_delay_alu instid0(VALU_DEP_2) | instskip(NEXT) | instid1(SALU_CYCLE_1)
	s_or_b32 s2, vcc_lo, s1
	s_and_saveexec_b32 s1, s2
	s_cbranch_execz .LBB410_236
; %bb.235:
	v_sub_f32_e32 v96, v97, v87
	s_mov_b32 s2, 0x3e9b6dac
	s_delay_alu instid0(VALU_DEP_1) | instskip(SKIP_1) | instid1(VALU_DEP_2)
	v_mul_f32_e32 v97, 0x3fb8aa3b, v96
	v_cmp_ngt_f32_e32 vcc_lo, 0xc2ce8ed0, v96
	v_fma_f32 v98, 0x3fb8aa3b, v96, -v97
	v_rndne_f32_e32 v99, v97
	s_delay_alu instid0(VALU_DEP_1) | instskip(NEXT) | instid1(VALU_DEP_1)
	v_dual_fmamk_f32 v98, v96, 0x32a5705f, v98 :: v_dual_sub_f32 v97, v97, v99
	v_add_f32_e32 v97, v97, v98
	v_cvt_i32_f32_e32 v98, v99
	s_delay_alu instid0(VALU_DEP_2) | instskip(SKIP_2) | instid1(VALU_DEP_1)
	v_exp_f32_e32 v97, v97
	s_waitcnt_depctr 0xfff
	v_ldexp_f32 v97, v97, v98
	v_cndmask_b32_e32 v97, 0, v97, vcc_lo
	v_cmp_nlt_f32_e32 vcc_lo, 0x42b17218, v96
	s_delay_alu instid0(VALU_DEP_2) | instskip(NEXT) | instid1(VALU_DEP_1)
	v_cndmask_b32_e32 v98, 0x7f800000, v97, vcc_lo
	v_add_f32_e32 v99, 1.0, v98
	s_delay_alu instid0(VALU_DEP_1) | instskip(NEXT) | instid1(VALU_DEP_1)
	v_cvt_f64_f32_e32 v[96:97], v99
	v_frexp_exp_i32_f64_e32 v96, v[96:97]
	v_frexp_mant_f32_e32 v97, v99
	s_delay_alu instid0(VALU_DEP_1) | instskip(SKIP_1) | instid1(VALU_DEP_1)
	v_cmp_gt_f32_e32 vcc_lo, 0x3f2aaaab, v97
	v_add_f32_e32 v97, -1.0, v99
	v_dual_sub_f32 v102, v97, v99 :: v_dual_sub_f32 v97, v98, v97
	s_delay_alu instid0(VALU_DEP_1) | instskip(SKIP_2) | instid1(VALU_DEP_2)
	v_add_f32_e32 v102, 1.0, v102
	v_subrev_co_ci_u32_e32 v96, vcc_lo, 0, v96, vcc_lo
	v_cmp_eq_f32_e32 vcc_lo, 0x7f800000, v98
	v_sub_nc_u32_e32 v100, 0, v96
	v_cvt_f32_i32_e32 v96, v96
	s_delay_alu instid0(VALU_DEP_2) | instskip(SKIP_1) | instid1(VALU_DEP_2)
	v_ldexp_f32 v99, v99, v100
	v_add_f32_e32 v97, v97, v102
	v_add_f32_e32 v103, 1.0, v99
	s_delay_alu instid0(VALU_DEP_2) | instskip(SKIP_1) | instid1(VALU_DEP_3)
	v_ldexp_f32 v97, v97, v100
	v_add_f32_e32 v100, -1.0, v99
	v_add_f32_e32 v102, -1.0, v103
	s_delay_alu instid0(VALU_DEP_2) | instskip(NEXT) | instid1(VALU_DEP_2)
	v_add_f32_e32 v112, 1.0, v100
	v_sub_f32_e32 v102, v99, v102
	s_delay_alu instid0(VALU_DEP_1) | instskip(NEXT) | instid1(VALU_DEP_1)
	v_dual_sub_f32 v99, v99, v112 :: v_dual_add_f32 v102, v97, v102
	v_dual_add_f32 v97, v97, v99 :: v_dual_add_f32 v112, v103, v102
	s_delay_alu instid0(VALU_DEP_1) | instskip(SKIP_1) | instid1(VALU_DEP_1)
	v_rcp_f32_e32 v99, v112
	v_sub_f32_e32 v103, v103, v112
	v_dual_add_f32 v113, v100, v97 :: v_dual_add_f32 v102, v102, v103
	s_delay_alu instid0(VALU_DEP_1) | instskip(SKIP_3) | instid1(VALU_DEP_2)
	v_sub_f32_e32 v100, v100, v113
	s_waitcnt_depctr 0xfff
	v_mul_f32_e32 v114, v113, v99
	v_add_f32_e32 v97, v97, v100
	v_mul_f32_e32 v115, v112, v114
	s_delay_alu instid0(VALU_DEP_1) | instskip(NEXT) | instid1(VALU_DEP_1)
	v_fma_f32 v103, v114, v112, -v115
	v_fmac_f32_e32 v103, v114, v102
	s_delay_alu instid0(VALU_DEP_1) | instskip(NEXT) | instid1(VALU_DEP_1)
	v_add_f32_e32 v116, v115, v103
	v_sub_f32_e32 v117, v113, v116
	s_delay_alu instid0(VALU_DEP_1) | instskip(NEXT) | instid1(VALU_DEP_1)
	v_dual_sub_f32 v113, v113, v117 :: v_dual_sub_f32 v100, v116, v115
	v_dual_sub_f32 v113, v113, v116 :: v_dual_sub_f32 v100, v100, v103
	s_delay_alu instid0(VALU_DEP_1) | instskip(NEXT) | instid1(VALU_DEP_1)
	v_add_f32_e32 v97, v97, v113
	v_add_f32_e32 v97, v100, v97
	s_delay_alu instid0(VALU_DEP_1) | instskip(NEXT) | instid1(VALU_DEP_1)
	v_add_f32_e32 v100, v117, v97
	v_mul_f32_e32 v103, v99, v100
	s_delay_alu instid0(VALU_DEP_1) | instskip(NEXT) | instid1(VALU_DEP_1)
	v_dual_sub_f32 v116, v117, v100 :: v_dual_mul_f32 v113, v112, v103
	v_add_f32_e32 v97, v97, v116
	s_delay_alu instid0(VALU_DEP_2) | instskip(NEXT) | instid1(VALU_DEP_1)
	v_fma_f32 v112, v103, v112, -v113
	v_fmac_f32_e32 v112, v103, v102
	s_delay_alu instid0(VALU_DEP_1) | instskip(NEXT) | instid1(VALU_DEP_1)
	v_add_f32_e32 v102, v113, v112
	v_sub_f32_e32 v113, v102, v113
	v_sub_f32_e32 v115, v100, v102
	s_delay_alu instid0(VALU_DEP_1) | instskip(NEXT) | instid1(VALU_DEP_1)
	v_sub_f32_e32 v100, v100, v115
	v_sub_f32_e32 v100, v100, v102
	s_delay_alu instid0(VALU_DEP_4) | instskip(NEXT) | instid1(VALU_DEP_2)
	v_sub_f32_e32 v102, v113, v112
	v_dual_add_f32 v97, v97, v100 :: v_dual_add_f32 v100, v114, v103
	s_delay_alu instid0(VALU_DEP_1) | instskip(NEXT) | instid1(VALU_DEP_1)
	v_dual_add_f32 v97, v102, v97 :: v_dual_sub_f32 v102, v100, v114
	v_add_f32_e32 v97, v115, v97
	s_delay_alu instid0(VALU_DEP_2) | instskip(NEXT) | instid1(VALU_DEP_2)
	v_sub_f32_e32 v102, v103, v102
	v_mul_f32_e32 v97, v99, v97
	s_delay_alu instid0(VALU_DEP_1) | instskip(NEXT) | instid1(VALU_DEP_1)
	v_add_f32_e32 v97, v102, v97
	v_add_f32_e32 v99, v100, v97
	s_delay_alu instid0(VALU_DEP_1) | instskip(NEXT) | instid1(VALU_DEP_1)
	v_mul_f32_e32 v102, v99, v99
	v_fmaak_f32 v103, s2, v102, 0x3ecc95a3
	v_mul_f32_e32 v112, v99, v102
	v_cmp_gt_f32_e64 s2, 0x33800000, |v98|
	s_delay_alu instid0(VALU_DEP_3) | instskip(SKIP_2) | instid1(VALU_DEP_4)
	v_fmaak_f32 v102, v102, v103, 0x3f2aaada
	v_ldexp_f32 v103, v99, 1
	v_sub_f32_e32 v99, v99, v100
	s_or_b32 vcc_lo, vcc_lo, s2
	s_delay_alu instid0(VALU_DEP_3) | instskip(NEXT) | instid1(VALU_DEP_2)
	v_mul_f32_e32 v102, v112, v102
	v_dual_mul_f32 v112, 0x3f317218, v96 :: v_dual_sub_f32 v97, v97, v99
	s_delay_alu instid0(VALU_DEP_2) | instskip(NEXT) | instid1(VALU_DEP_2)
	v_add_f32_e32 v100, v103, v102
	v_ldexp_f32 v97, v97, 1
	s_delay_alu instid0(VALU_DEP_2) | instskip(NEXT) | instid1(VALU_DEP_4)
	v_sub_f32_e32 v99, v100, v103
	v_fma_f32 v103, 0x3f317218, v96, -v112
	s_delay_alu instid0(VALU_DEP_1) | instskip(NEXT) | instid1(VALU_DEP_1)
	v_dual_sub_f32 v99, v102, v99 :: v_dual_fmamk_f32 v96, v96, 0xb102e308, v103
	v_add_f32_e32 v97, v97, v99
	s_delay_alu instid0(VALU_DEP_2) | instskip(NEXT) | instid1(VALU_DEP_1)
	v_add_f32_e32 v99, v112, v96
	v_sub_f32_e32 v112, v99, v112
	s_delay_alu instid0(VALU_DEP_3) | instskip(NEXT) | instid1(VALU_DEP_1)
	v_add_f32_e32 v102, v100, v97
	v_dual_sub_f32 v96, v96, v112 :: v_dual_add_f32 v103, v99, v102
	v_sub_f32_e32 v100, v102, v100
	s_delay_alu instid0(VALU_DEP_1) | instskip(NEXT) | instid1(VALU_DEP_3)
	v_sub_f32_e32 v97, v97, v100
	v_sub_f32_e32 v113, v103, v99
	s_delay_alu instid0(VALU_DEP_1) | instskip(NEXT) | instid1(VALU_DEP_3)
	v_sub_f32_e32 v100, v102, v113
	v_add_f32_e32 v102, v96, v97
	v_sub_f32_e32 v114, v103, v113
	s_delay_alu instid0(VALU_DEP_1) | instskip(NEXT) | instid1(VALU_DEP_1)
	v_sub_f32_e32 v99, v99, v114
	v_dual_add_f32 v99, v100, v99 :: v_dual_sub_f32 v100, v102, v96
	s_delay_alu instid0(VALU_DEP_1) | instskip(NEXT) | instid1(VALU_DEP_2)
	v_add_f32_e32 v99, v102, v99
	v_sub_f32_e32 v102, v102, v100
	s_delay_alu instid0(VALU_DEP_1) | instskip(NEXT) | instid1(VALU_DEP_3)
	v_sub_f32_e32 v96, v96, v102
	v_dual_add_f32 v112, v103, v99 :: v_dual_sub_f32 v97, v97, v100
	s_delay_alu instid0(VALU_DEP_1) | instskip(NEXT) | instid1(VALU_DEP_2)
	v_sub_f32_e32 v100, v112, v103
	v_add_f32_e32 v96, v97, v96
	s_delay_alu instid0(VALU_DEP_2) | instskip(NEXT) | instid1(VALU_DEP_1)
	v_sub_f32_e32 v97, v99, v100
	v_add_f32_e32 v96, v96, v97
	s_delay_alu instid0(VALU_DEP_1) | instskip(NEXT) | instid1(VALU_DEP_1)
	v_add_f32_e32 v96, v112, v96
	v_cndmask_b32_e32 v96, v96, v98, vcc_lo
	s_delay_alu instid0(VALU_DEP_1) | instskip(NEXT) | instid1(VALU_DEP_1)
	v_add_f32_e32 v87, v87, v96
	v_cvt_f16_f32_e32 v96, v87
.LBB410_236:
	s_or_b32 exec_lo, exec_lo, s1
	s_branch .LBB410_363
.LBB410_237:
                                        ; implicit-def: $vgpr101
                                        ; implicit-def: $vgpr26
                                        ; implicit-def: $vgpr27
                                        ; implicit-def: $vgpr28
                                        ; implicit-def: $vgpr29
                                        ; implicit-def: $vgpr55
                                        ; implicit-def: $vgpr64
                                        ; implicit-def: $vgpr65
                                        ; implicit-def: $vgpr66
                                        ; implicit-def: $vgpr67
                                        ; implicit-def: $vgpr68
                                        ; implicit-def: $vgpr69
                                        ; implicit-def: $vgpr70
                                        ; implicit-def: $vgpr71
                                        ; implicit-def: $vgpr80
                                        ; implicit-def: $vgpr81
                                        ; implicit-def: $vgpr82
                                        ; implicit-def: $vgpr83
                                        ; implicit-def: $vgpr84
                                        ; implicit-def: $vgpr85
                                        ; implicit-def: $vgpr86
                                        ; implicit-def: $vgpr96
	s_cbranch_execz .LBB410_363
; %bb.238:
	v_cmp_ne_u64_e32 vcc_lo, 0, v[6:7]
	v_cmp_eq_u32_e64 s23, 0, v0
	v_cmp_ne_u32_e64 s9, 0, v0
	s_delay_alu instid0(VALU_DEP_2) | instskip(NEXT) | instid1(SALU_CYCLE_1)
	s_and_b32 s2, s23, vcc_lo
	s_and_saveexec_b32 s1, s2
	s_cbranch_execz .LBB410_242
; %bb.239:
	flat_load_u16 v3, v[2:3]
	v_cvt_f32_f16_e32 v2, v12
	s_waitcnt vmcnt(0) lgkmcnt(0)
	v_cvt_f32_f16_e32 v6, v3
	v_cmp_u_f16_e32 vcc_lo, v3, v3
	s_delay_alu instid0(VALU_DEP_2) | instskip(SKIP_1) | instid1(VALU_DEP_2)
	v_min_f32_e32 v7, v6, v2
	v_max_f32_e32 v26, v6, v2
	v_cndmask_b32_e32 v7, v7, v6, vcc_lo
	s_delay_alu instid0(VALU_DEP_2) | instskip(SKIP_1) | instid1(VALU_DEP_3)
	v_cndmask_b32_e32 v26, v26, v6, vcc_lo
	v_cmp_u_f16_e32 vcc_lo, v12, v12
	v_cndmask_b32_e32 v6, v7, v2, vcc_lo
	s_delay_alu instid0(VALU_DEP_3) | instskip(NEXT) | instid1(VALU_DEP_2)
	v_cndmask_b32_e32 v2, v26, v2, vcc_lo
	v_cmp_class_f32_e64 s2, v6, 0x1f8
	s_delay_alu instid0(VALU_DEP_2) | instskip(NEXT) | instid1(VALU_DEP_2)
	v_cmp_neq_f32_e32 vcc_lo, v6, v2
	s_or_b32 s3, vcc_lo, s2
	s_delay_alu instid0(SALU_CYCLE_1)
	s_and_saveexec_b32 s2, s3
	s_cbranch_execz .LBB410_241
; %bb.240:
	v_sub_f32_e32 v3, v6, v2
	s_mov_b32 s3, 0x3e9b6dac
	s_delay_alu instid0(VALU_DEP_1) | instskip(SKIP_1) | instid1(VALU_DEP_2)
	v_mul_f32_e32 v6, 0x3fb8aa3b, v3
	v_cmp_ngt_f32_e32 vcc_lo, 0xc2ce8ed0, v3
	v_fma_f32 v7, 0x3fb8aa3b, v3, -v6
	v_rndne_f32_e32 v12, v6
	s_delay_alu instid0(VALU_DEP_1) | instskip(NEXT) | instid1(VALU_DEP_1)
	v_dual_fmamk_f32 v7, v3, 0x32a5705f, v7 :: v_dual_sub_f32 v6, v6, v12
	v_add_f32_e32 v6, v6, v7
	v_cvt_i32_f32_e32 v7, v12
	s_delay_alu instid0(VALU_DEP_2) | instskip(SKIP_2) | instid1(VALU_DEP_1)
	v_exp_f32_e32 v6, v6
	s_waitcnt_depctr 0xfff
	v_ldexp_f32 v6, v6, v7
	v_cndmask_b32_e32 v6, 0, v6, vcc_lo
	v_cmp_nlt_f32_e32 vcc_lo, 0x42b17218, v3
	s_delay_alu instid0(VALU_DEP_2) | instskip(NEXT) | instid1(VALU_DEP_1)
	v_cndmask_b32_e32 v3, 0x7f800000, v6, vcc_lo
	v_add_f32_e32 v12, 1.0, v3
	s_delay_alu instid0(VALU_DEP_1) | instskip(NEXT) | instid1(VALU_DEP_1)
	v_cvt_f64_f32_e32 v[6:7], v12
	v_frexp_exp_i32_f64_e32 v6, v[6:7]
	v_frexp_mant_f32_e32 v7, v12
	s_delay_alu instid0(VALU_DEP_1) | instskip(SKIP_1) | instid1(VALU_DEP_1)
	v_cmp_gt_f32_e32 vcc_lo, 0x3f2aaaab, v7
	v_add_f32_e32 v7, -1.0, v12
	v_sub_f32_e32 v27, v7, v12
	v_sub_f32_e32 v7, v3, v7
	v_subrev_co_ci_u32_e32 v6, vcc_lo, 0, v6, vcc_lo
	s_delay_alu instid0(VALU_DEP_1) | instskip(SKIP_1) | instid1(VALU_DEP_2)
	v_sub_nc_u32_e32 v26, 0, v6
	v_cvt_f32_i32_e32 v6, v6
	v_ldexp_f32 v12, v12, v26
	s_delay_alu instid0(VALU_DEP_1) | instskip(NEXT) | instid1(VALU_DEP_1)
	v_dual_add_f32 v27, 1.0, v27 :: v_dual_add_f32 v28, 1.0, v12
	v_add_f32_e32 v7, v7, v27
	s_delay_alu instid0(VALU_DEP_2) | instskip(NEXT) | instid1(VALU_DEP_2)
	v_add_f32_e32 v27, -1.0, v28
	v_ldexp_f32 v7, v7, v26
	v_add_f32_e32 v26, -1.0, v12
	v_cmp_eq_f32_e32 vcc_lo, 0x7f800000, v3
	s_delay_alu instid0(VALU_DEP_4) | instskip(NEXT) | instid1(VALU_DEP_3)
	v_sub_f32_e32 v27, v12, v27
	v_add_f32_e32 v29, 1.0, v26
	s_delay_alu instid0(VALU_DEP_1) | instskip(NEXT) | instid1(VALU_DEP_1)
	v_dual_add_f32 v27, v7, v27 :: v_dual_sub_f32 v12, v12, v29
	v_add_f32_e32 v29, v28, v27
	s_delay_alu instid0(VALU_DEP_2) | instskip(NEXT) | instid1(VALU_DEP_2)
	v_add_f32_e32 v7, v7, v12
	v_rcp_f32_e32 v12, v29
	s_delay_alu instid0(VALU_DEP_1) | instskip(NEXT) | instid1(VALU_DEP_1)
	v_dual_sub_f32 v28, v28, v29 :: v_dual_add_f32 v55, v26, v7
	v_dual_add_f32 v27, v27, v28 :: v_dual_sub_f32 v26, v26, v55
	s_waitcnt_depctr 0xfff
	v_mul_f32_e32 v64, v55, v12
	v_add_f32_e32 v7, v7, v26
	s_delay_alu instid0(VALU_DEP_2) | instskip(NEXT) | instid1(VALU_DEP_1)
	v_mul_f32_e32 v65, v29, v64
	v_fma_f32 v28, v64, v29, -v65
	s_delay_alu instid0(VALU_DEP_1) | instskip(NEXT) | instid1(VALU_DEP_1)
	v_fmac_f32_e32 v28, v64, v27
	v_add_f32_e32 v66, v65, v28
	s_delay_alu instid0(VALU_DEP_1) | instskip(NEXT) | instid1(VALU_DEP_1)
	v_dual_sub_f32 v26, v66, v65 :: v_dual_sub_f32 v67, v55, v66
	v_dual_sub_f32 v26, v26, v28 :: v_dual_sub_f32 v55, v55, v67
	s_delay_alu instid0(VALU_DEP_1) | instskip(NEXT) | instid1(VALU_DEP_1)
	v_sub_f32_e32 v55, v55, v66
	v_add_f32_e32 v7, v7, v55
	s_delay_alu instid0(VALU_DEP_1) | instskip(NEXT) | instid1(VALU_DEP_1)
	v_add_f32_e32 v7, v26, v7
	v_add_f32_e32 v26, v67, v7
	s_delay_alu instid0(VALU_DEP_1) | instskip(SKIP_1) | instid1(VALU_DEP_2)
	v_sub_f32_e32 v66, v67, v26
	v_mul_f32_e32 v28, v12, v26
	v_add_f32_e32 v7, v7, v66
	s_delay_alu instid0(VALU_DEP_2) | instskip(NEXT) | instid1(VALU_DEP_1)
	v_mul_f32_e32 v55, v29, v28
	v_fma_f32 v29, v28, v29, -v55
	s_delay_alu instid0(VALU_DEP_1) | instskip(NEXT) | instid1(VALU_DEP_1)
	v_fmac_f32_e32 v29, v28, v27
	v_add_f32_e32 v27, v55, v29
	s_delay_alu instid0(VALU_DEP_1) | instskip(NEXT) | instid1(VALU_DEP_1)
	v_sub_f32_e32 v65, v26, v27
	v_dual_sub_f32 v55, v27, v55 :: v_dual_sub_f32 v26, v26, v65
	s_delay_alu instid0(VALU_DEP_1) | instskip(NEXT) | instid1(VALU_DEP_1)
	v_dual_sub_f32 v26, v26, v27 :: v_dual_sub_f32 v27, v55, v29
	v_dual_add_f32 v7, v7, v26 :: v_dual_add_f32 v26, v64, v28
	s_delay_alu instid0(VALU_DEP_1) | instskip(NEXT) | instid1(VALU_DEP_2)
	v_add_f32_e32 v7, v27, v7
	v_sub_f32_e32 v27, v26, v64
	s_delay_alu instid0(VALU_DEP_2) | instskip(NEXT) | instid1(VALU_DEP_2)
	v_add_f32_e32 v7, v65, v7
	v_sub_f32_e32 v27, v28, v27
	s_delay_alu instid0(VALU_DEP_2) | instskip(NEXT) | instid1(VALU_DEP_1)
	v_mul_f32_e32 v7, v12, v7
	v_add_f32_e32 v7, v27, v7
	s_delay_alu instid0(VALU_DEP_1) | instskip(NEXT) | instid1(VALU_DEP_1)
	v_add_f32_e32 v12, v26, v7
	v_mul_f32_e32 v27, v12, v12
	s_delay_alu instid0(VALU_DEP_1) | instskip(SKIP_2) | instid1(VALU_DEP_3)
	v_fmaak_f32 v28, s3, v27, 0x3ecc95a3
	v_mul_f32_e32 v29, v12, v27
	v_cmp_gt_f32_e64 s3, 0x33800000, |v3|
	v_fmaak_f32 v27, v27, v28, 0x3f2aaada
	v_ldexp_f32 v28, v12, 1
	v_sub_f32_e32 v12, v12, v26
	s_delay_alu instid0(VALU_DEP_4) | instskip(NEXT) | instid1(VALU_DEP_3)
	s_or_b32 vcc_lo, vcc_lo, s3
	v_mul_f32_e32 v27, v29, v27
	s_delay_alu instid0(VALU_DEP_1) | instskip(NEXT) | instid1(VALU_DEP_1)
	v_dual_sub_f32 v7, v7, v12 :: v_dual_add_f32 v26, v28, v27
	v_ldexp_f32 v7, v7, 1
	s_delay_alu instid0(VALU_DEP_2) | instskip(NEXT) | instid1(VALU_DEP_1)
	v_sub_f32_e32 v12, v26, v28
	v_sub_f32_e32 v12, v27, v12
	s_delay_alu instid0(VALU_DEP_1) | instskip(NEXT) | instid1(VALU_DEP_1)
	v_add_f32_e32 v7, v7, v12
	v_add_f32_e32 v27, v26, v7
	v_mul_f32_e32 v29, 0x3f317218, v6
	s_delay_alu instid0(VALU_DEP_2) | instskip(NEXT) | instid1(VALU_DEP_2)
	v_sub_f32_e32 v26, v27, v26
	v_fma_f32 v28, 0x3f317218, v6, -v29
	s_delay_alu instid0(VALU_DEP_1) | instskip(NEXT) | instid1(VALU_DEP_1)
	v_dual_sub_f32 v7, v7, v26 :: v_dual_fmamk_f32 v6, v6, 0xb102e308, v28
	v_add_f32_e32 v12, v29, v6
	s_delay_alu instid0(VALU_DEP_1) | instskip(NEXT) | instid1(VALU_DEP_1)
	v_add_f32_e32 v28, v12, v27
	v_sub_f32_e32 v55, v28, v12
	s_delay_alu instid0(VALU_DEP_1) | instskip(SKIP_1) | instid1(VALU_DEP_2)
	v_dual_sub_f32 v26, v27, v55 :: v_dual_sub_f32 v29, v12, v29
	v_sub_f32_e32 v64, v28, v55
	v_sub_f32_e32 v6, v6, v29
	s_delay_alu instid0(VALU_DEP_1) | instskip(NEXT) | instid1(VALU_DEP_1)
	v_dual_sub_f32 v12, v12, v64 :: v_dual_add_f32 v27, v6, v7
	v_add_f32_e32 v12, v26, v12
	s_delay_alu instid0(VALU_DEP_2) | instskip(NEXT) | instid1(VALU_DEP_2)
	v_sub_f32_e32 v26, v27, v6
	v_add_f32_e32 v12, v27, v12
	s_delay_alu instid0(VALU_DEP_2) | instskip(NEXT) | instid1(VALU_DEP_2)
	v_sub_f32_e32 v27, v27, v26
	v_add_f32_e32 v29, v28, v12
	s_delay_alu instid0(VALU_DEP_2) | instskip(NEXT) | instid1(VALU_DEP_2)
	v_dual_sub_f32 v7, v7, v26 :: v_dual_sub_f32 v6, v6, v27
	v_sub_f32_e32 v26, v29, v28
	s_delay_alu instid0(VALU_DEP_2) | instskip(NEXT) | instid1(VALU_DEP_2)
	v_add_f32_e32 v6, v7, v6
	v_sub_f32_e32 v7, v12, v26
	s_delay_alu instid0(VALU_DEP_1) | instskip(NEXT) | instid1(VALU_DEP_1)
	v_add_f32_e32 v6, v6, v7
	v_add_f32_e32 v6, v29, v6
	s_delay_alu instid0(VALU_DEP_1) | instskip(NEXT) | instid1(VALU_DEP_1)
	v_cndmask_b32_e32 v3, v6, v3, vcc_lo
	v_add_f32_e32 v2, v2, v3
	s_delay_alu instid0(VALU_DEP_1)
	v_cvt_f16_f32_e32 v3, v2
.LBB410_241:
	s_or_b32 exec_lo, exec_lo, s2
	s_delay_alu instid0(VALU_DEP_1)
	v_mov_b32_e32 v12, v3
.LBB410_242:
	s_or_b32 exec_lo, exec_lo, s1
	s_delay_alu instid0(VALU_DEP_1)
	v_cvt_f32_f16_e32 v2, v12
	v_cmp_u_f16_e64 s22, v12, v12
	v_cmp_u_f16_e32 vcc_lo, v54, v54
	v_mov_b32_e32 v29, v12
	v_mov_b32_e32 v28, v12
	v_min_f32_e32 v26, v2, v34
	v_max_f32_e32 v27, v2, v34
	v_mov_b32_e32 v54, v2
	s_delay_alu instid0(VALU_DEP_3) | instskip(NEXT) | instid1(VALU_DEP_3)
	v_cndmask_b32_e64 v3, v26, v2, s22
	v_cndmask_b32_e64 v7, v27, v2, s22
	s_delay_alu instid0(VALU_DEP_2) | instskip(NEXT) | instid1(VALU_DEP_2)
	v_cndmask_b32_e32 v6, v3, v34, vcc_lo
	v_cndmask_b32_e32 v3, v7, v34, vcc_lo
	s_delay_alu instid0(VALU_DEP_2) | instskip(NEXT) | instid1(VALU_DEP_2)
	v_cmp_class_f32_e64 s2, v6, 0x1f8
	v_cmp_neq_f32_e64 s1, v6, v3
	s_delay_alu instid0(VALU_DEP_1) | instskip(NEXT) | instid1(SALU_CYCLE_1)
	s_or_b32 s1, s1, s2
	s_and_saveexec_b32 s2, s1
	s_cbranch_execz .LBB410_244
; %bb.243:
	v_sub_f32_e32 v6, v6, v3
	s_delay_alu instid0(VALU_DEP_1) | instskip(NEXT) | instid1(VALU_DEP_1)
	v_mul_f32_e32 v7, 0x3fb8aa3b, v6
	v_fma_f32 v28, 0x3fb8aa3b, v6, -v7
	v_rndne_f32_e32 v29, v7
	s_delay_alu instid0(VALU_DEP_1) | instskip(SKIP_1) | instid1(VALU_DEP_2)
	v_dual_sub_f32 v7, v7, v29 :: v_dual_fmamk_f32 v28, v6, 0x32a5705f, v28
	v_cmp_ngt_f32_e64 s1, 0xc2ce8ed0, v6
	v_add_f32_e32 v7, v7, v28
	v_cvt_i32_f32_e32 v28, v29
	s_delay_alu instid0(VALU_DEP_2) | instskip(SKIP_2) | instid1(VALU_DEP_1)
	v_exp_f32_e32 v7, v7
	s_waitcnt_depctr 0xfff
	v_ldexp_f32 v7, v7, v28
	v_cndmask_b32_e64 v7, 0, v7, s1
	v_cmp_nlt_f32_e64 s1, 0x42b17218, v6
	s_delay_alu instid0(VALU_DEP_1) | instskip(NEXT) | instid1(VALU_DEP_1)
	v_cndmask_b32_e64 v28, 0x7f800000, v7, s1
	v_add_f32_e32 v29, 1.0, v28
	v_cmp_gt_f32_e64 s3, 0x33800000, |v28|
	s_delay_alu instid0(VALU_DEP_2) | instskip(NEXT) | instid1(VALU_DEP_1)
	v_cvt_f64_f32_e32 v[6:7], v29
	v_frexp_exp_i32_f64_e32 v6, v[6:7]
	v_frexp_mant_f32_e32 v7, v29
	s_delay_alu instid0(VALU_DEP_1) | instskip(SKIP_1) | instid1(VALU_DEP_1)
	v_cmp_gt_f32_e64 s1, 0x3f2aaaab, v7
	v_add_f32_e32 v7, -1.0, v29
	v_sub_f32_e32 v55, v7, v29
	v_sub_f32_e32 v7, v28, v7
	s_delay_alu instid0(VALU_DEP_4) | instskip(SKIP_1) | instid1(VALU_DEP_1)
	v_subrev_co_ci_u32_e64 v6, s1, 0, v6, s1
	s_mov_b32 s1, 0x3e9b6dac
	v_sub_nc_u32_e32 v54, 0, v6
	v_cvt_f32_i32_e32 v6, v6
	s_delay_alu instid0(VALU_DEP_2) | instskip(NEXT) | instid1(VALU_DEP_1)
	v_ldexp_f32 v29, v29, v54
	v_dual_add_f32 v64, 1.0, v29 :: v_dual_add_f32 v55, 1.0, v55
	s_delay_alu instid0(VALU_DEP_1) | instskip(NEXT) | instid1(VALU_DEP_2)
	v_add_f32_e32 v7, v7, v55
	v_add_f32_e32 v55, -1.0, v64
	s_delay_alu instid0(VALU_DEP_2) | instskip(NEXT) | instid1(VALU_DEP_2)
	v_ldexp_f32 v7, v7, v54
	v_dual_add_f32 v54, -1.0, v29 :: v_dual_sub_f32 v55, v29, v55
	s_delay_alu instid0(VALU_DEP_1) | instskip(NEXT) | instid1(VALU_DEP_2)
	v_add_f32_e32 v65, 1.0, v54
	v_add_f32_e32 v55, v7, v55
	s_delay_alu instid0(VALU_DEP_2) | instskip(NEXT) | instid1(VALU_DEP_2)
	v_sub_f32_e32 v29, v29, v65
	v_add_f32_e32 v65, v64, v55
	s_delay_alu instid0(VALU_DEP_2) | instskip(NEXT) | instid1(VALU_DEP_2)
	v_add_f32_e32 v7, v7, v29
	v_rcp_f32_e32 v29, v65
	v_sub_f32_e32 v64, v64, v65
	s_delay_alu instid0(VALU_DEP_1) | instskip(NEXT) | instid1(VALU_DEP_1)
	v_dual_add_f32 v66, v54, v7 :: v_dual_add_f32 v55, v55, v64
	v_sub_f32_e32 v54, v54, v66
	s_waitcnt_depctr 0xfff
	v_mul_f32_e32 v67, v66, v29
	s_delay_alu instid0(VALU_DEP_1) | instskip(NEXT) | instid1(VALU_DEP_1)
	v_dual_add_f32 v7, v7, v54 :: v_dual_mul_f32 v68, v65, v67
	v_fma_f32 v64, v67, v65, -v68
	s_delay_alu instid0(VALU_DEP_1) | instskip(NEXT) | instid1(VALU_DEP_1)
	v_fmac_f32_e32 v64, v67, v55
	v_add_f32_e32 v69, v68, v64
	s_delay_alu instid0(VALU_DEP_1) | instskip(SKIP_1) | instid1(VALU_DEP_2)
	v_sub_f32_e32 v70, v66, v69
	v_sub_f32_e32 v54, v69, v68
	;; [unrolled: 1-line block ×3, first 2 shown]
	s_delay_alu instid0(VALU_DEP_2) | instskip(NEXT) | instid1(VALU_DEP_2)
	v_sub_f32_e32 v54, v54, v64
	v_sub_f32_e32 v66, v66, v69
	s_delay_alu instid0(VALU_DEP_1) | instskip(NEXT) | instid1(VALU_DEP_1)
	v_add_f32_e32 v7, v7, v66
	v_add_f32_e32 v7, v54, v7
	s_delay_alu instid0(VALU_DEP_1) | instskip(NEXT) | instid1(VALU_DEP_1)
	v_add_f32_e32 v54, v70, v7
	v_mul_f32_e32 v64, v29, v54
	s_delay_alu instid0(VALU_DEP_1) | instskip(NEXT) | instid1(VALU_DEP_1)
	v_dual_sub_f32 v69, v70, v54 :: v_dual_mul_f32 v66, v65, v64
	v_add_f32_e32 v7, v7, v69
	s_delay_alu instid0(VALU_DEP_2) | instskip(NEXT) | instid1(VALU_DEP_1)
	v_fma_f32 v65, v64, v65, -v66
	v_fmac_f32_e32 v65, v64, v55
	s_delay_alu instid0(VALU_DEP_1) | instskip(NEXT) | instid1(VALU_DEP_1)
	v_add_f32_e32 v55, v66, v65
	v_sub_f32_e32 v68, v54, v55
	v_sub_f32_e32 v66, v55, v66
	s_delay_alu instid0(VALU_DEP_2) | instskip(NEXT) | instid1(VALU_DEP_1)
	v_sub_f32_e32 v54, v54, v68
	v_sub_f32_e32 v54, v54, v55
	s_delay_alu instid0(VALU_DEP_3) | instskip(NEXT) | instid1(VALU_DEP_2)
	v_sub_f32_e32 v55, v66, v65
	v_add_f32_e32 v7, v7, v54
	v_add_f32_e32 v54, v67, v64
	s_delay_alu instid0(VALU_DEP_2) | instskip(NEXT) | instid1(VALU_DEP_2)
	v_add_f32_e32 v7, v55, v7
	v_sub_f32_e32 v55, v54, v67
	s_delay_alu instid0(VALU_DEP_2) | instskip(NEXT) | instid1(VALU_DEP_2)
	v_add_f32_e32 v7, v68, v7
	v_sub_f32_e32 v55, v64, v55
	s_delay_alu instid0(VALU_DEP_2) | instskip(NEXT) | instid1(VALU_DEP_1)
	v_mul_f32_e32 v7, v29, v7
	v_add_f32_e32 v7, v55, v7
	s_delay_alu instid0(VALU_DEP_1) | instskip(NEXT) | instid1(VALU_DEP_1)
	v_add_f32_e32 v29, v54, v7
	v_mul_f32_e32 v55, v29, v29
	s_delay_alu instid0(VALU_DEP_1) | instskip(SKIP_2) | instid1(VALU_DEP_3)
	v_fmaak_f32 v64, s1, v55, 0x3ecc95a3
	v_mul_f32_e32 v65, v29, v55
	v_cmp_eq_f32_e64 s1, 0x7f800000, v28
	v_fmaak_f32 v55, v55, v64, 0x3f2aaada
	v_ldexp_f32 v64, v29, 1
	v_sub_f32_e32 v29, v29, v54
	s_delay_alu instid0(VALU_DEP_4) | instskip(NEXT) | instid1(VALU_DEP_3)
	s_or_b32 s1, s1, s3
	v_mul_f32_e32 v55, v65, v55
	v_mul_f32_e32 v65, 0x3f317218, v6
	s_delay_alu instid0(VALU_DEP_2) | instskip(NEXT) | instid1(VALU_DEP_1)
	v_dual_sub_f32 v7, v7, v29 :: v_dual_add_f32 v54, v64, v55
	v_ldexp_f32 v7, v7, 1
	s_delay_alu instid0(VALU_DEP_2) | instskip(NEXT) | instid1(VALU_DEP_4)
	v_sub_f32_e32 v29, v54, v64
	v_fma_f32 v64, 0x3f317218, v6, -v65
	s_delay_alu instid0(VALU_DEP_1) | instskip(NEXT) | instid1(VALU_DEP_1)
	v_dual_sub_f32 v29, v55, v29 :: v_dual_fmamk_f32 v6, v6, 0xb102e308, v64
	v_add_f32_e32 v7, v7, v29
	s_delay_alu instid0(VALU_DEP_2) | instskip(NEXT) | instid1(VALU_DEP_2)
	v_add_f32_e32 v29, v65, v6
	v_add_f32_e32 v55, v54, v7
	s_delay_alu instid0(VALU_DEP_2) | instskip(NEXT) | instid1(VALU_DEP_2)
	v_sub_f32_e32 v65, v29, v65
	v_add_f32_e32 v64, v29, v55
	v_sub_f32_e32 v54, v55, v54
	s_delay_alu instid0(VALU_DEP_3) | instskip(NEXT) | instid1(VALU_DEP_2)
	v_sub_f32_e32 v6, v6, v65
	v_dual_sub_f32 v66, v64, v29 :: v_dual_sub_f32 v7, v7, v54
	s_delay_alu instid0(VALU_DEP_1) | instskip(NEXT) | instid1(VALU_DEP_2)
	v_sub_f32_e32 v67, v64, v66
	v_dual_sub_f32 v54, v55, v66 :: v_dual_add_f32 v55, v6, v7
	s_delay_alu instid0(VALU_DEP_2) | instskip(NEXT) | instid1(VALU_DEP_1)
	v_sub_f32_e32 v29, v29, v67
	v_dual_add_f32 v29, v54, v29 :: v_dual_sub_f32 v54, v55, v6
	s_delay_alu instid0(VALU_DEP_1) | instskip(NEXT) | instid1(VALU_DEP_2)
	v_add_f32_e32 v29, v55, v29
	v_sub_f32_e32 v55, v55, v54
	v_sub_f32_e32 v7, v7, v54
	s_delay_alu instid0(VALU_DEP_2) | instskip(NEXT) | instid1(VALU_DEP_1)
	v_dual_add_f32 v65, v64, v29 :: v_dual_sub_f32 v6, v6, v55
	v_sub_f32_e32 v54, v65, v64
	s_delay_alu instid0(VALU_DEP_2) | instskip(NEXT) | instid1(VALU_DEP_2)
	v_add_f32_e32 v6, v7, v6
	v_sub_f32_e32 v7, v29, v54
	s_delay_alu instid0(VALU_DEP_1) | instskip(NEXT) | instid1(VALU_DEP_1)
	v_add_f32_e32 v6, v6, v7
	v_add_f32_e32 v6, v65, v6
	s_delay_alu instid0(VALU_DEP_1) | instskip(NEXT) | instid1(VALU_DEP_1)
	v_cndmask_b32_e64 v6, v6, v28, s1
	v_add_f32_e32 v3, v3, v6
	s_delay_alu instid0(VALU_DEP_1) | instskip(NEXT) | instid1(VALU_DEP_1)
	v_cvt_f16_f32_e32 v29, v3
	v_cvt_f32_f16_e32 v54, v29
	v_mov_b32_e32 v28, v29
.LBB410_244:
	s_or_b32 exec_lo, exec_lo, s2
	v_cvt_f32_f16_e32 v3, v13
	s_delay_alu instid0(VALU_DEP_3) | instskip(SKIP_1) | instid1(VALU_DEP_2)
	v_max_f32_e32 v6, v54, v54
	v_cmp_u_f16_e64 s1, v29, v29
	v_min_f32_e32 v7, v6, v3
	v_max_f32_e32 v6, v6, v3
	s_delay_alu instid0(VALU_DEP_2) | instskip(NEXT) | instid1(VALU_DEP_2)
	v_cndmask_b32_e64 v7, v7, v54, s1
	v_cndmask_b32_e64 v6, v6, v54, s1
	v_cmp_u_f16_e64 s1, v13, v13
	s_delay_alu instid0(VALU_DEP_1) | instskip(NEXT) | instid1(VALU_DEP_3)
	v_cndmask_b32_e64 v7, v7, v3, s1
	v_cndmask_b32_e64 v6, v6, v3, s1
	s_delay_alu instid0(VALU_DEP_2) | instskip(NEXT) | instid1(VALU_DEP_2)
	v_cmp_class_f32_e64 s3, v7, 0x1f8
	v_cmp_neq_f32_e64 s2, v7, v6
	s_delay_alu instid0(VALU_DEP_1) | instskip(NEXT) | instid1(SALU_CYCLE_1)
	s_or_b32 s2, s2, s3
	s_and_saveexec_b32 s3, s2
	s_cbranch_execz .LBB410_246
; %bb.245:
	v_sub_f32_e32 v7, v7, v6
	s_delay_alu instid0(VALU_DEP_1) | instskip(SKIP_1) | instid1(VALU_DEP_2)
	v_mul_f32_e32 v13, 0x3fb8aa3b, v7
	v_cmp_ngt_f32_e64 s2, 0xc2ce8ed0, v7
	v_fma_f32 v28, 0x3fb8aa3b, v7, -v13
	v_rndne_f32_e32 v29, v13
	s_delay_alu instid0(VALU_DEP_1) | instskip(NEXT) | instid1(VALU_DEP_1)
	v_dual_fmamk_f32 v28, v7, 0x32a5705f, v28 :: v_dual_sub_f32 v13, v13, v29
	v_add_f32_e32 v13, v13, v28
	v_cvt_i32_f32_e32 v28, v29
	s_delay_alu instid0(VALU_DEP_2) | instskip(SKIP_2) | instid1(VALU_DEP_1)
	v_exp_f32_e32 v13, v13
	s_waitcnt_depctr 0xfff
	v_ldexp_f32 v13, v13, v28
	v_cndmask_b32_e64 v13, 0, v13, s2
	v_cmp_nlt_f32_e64 s2, 0x42b17218, v7
	s_delay_alu instid0(VALU_DEP_1) | instskip(NEXT) | instid1(VALU_DEP_1)
	v_cndmask_b32_e64 v7, 0x7f800000, v13, s2
	v_add_f32_e32 v13, 1.0, v7
	v_cmp_gt_f32_e64 s4, 0x33800000, |v7|
	s_delay_alu instid0(VALU_DEP_2) | instskip(NEXT) | instid1(VALU_DEP_1)
	v_cvt_f64_f32_e32 v[28:29], v13
	v_frexp_exp_i32_f64_e32 v28, v[28:29]
	v_frexp_mant_f32_e32 v29, v13
	s_delay_alu instid0(VALU_DEP_1) | instskip(SKIP_1) | instid1(VALU_DEP_1)
	v_cmp_gt_f32_e64 s2, 0x3f2aaaab, v29
	v_add_f32_e32 v29, -1.0, v13
	v_sub_f32_e32 v55, v29, v13
	v_sub_f32_e32 v29, v7, v29
	s_delay_alu instid0(VALU_DEP_4) | instskip(SKIP_1) | instid1(VALU_DEP_1)
	v_subrev_co_ci_u32_e64 v28, s2, 0, v28, s2
	s_mov_b32 s2, 0x3e9b6dac
	v_sub_nc_u32_e32 v54, 0, v28
	v_cvt_f32_i32_e32 v28, v28
	s_delay_alu instid0(VALU_DEP_2) | instskip(NEXT) | instid1(VALU_DEP_1)
	v_ldexp_f32 v13, v13, v54
	v_dual_add_f32 v55, 1.0, v55 :: v_dual_add_f32 v64, 1.0, v13
	s_delay_alu instid0(VALU_DEP_1) | instskip(NEXT) | instid1(VALU_DEP_2)
	v_add_f32_e32 v29, v29, v55
	v_add_f32_e32 v55, -1.0, v64
	s_delay_alu instid0(VALU_DEP_2) | instskip(NEXT) | instid1(VALU_DEP_2)
	v_ldexp_f32 v29, v29, v54
	v_dual_add_f32 v54, -1.0, v13 :: v_dual_sub_f32 v55, v13, v55
	s_delay_alu instid0(VALU_DEP_1) | instskip(NEXT) | instid1(VALU_DEP_2)
	v_add_f32_e32 v65, 1.0, v54
	v_add_f32_e32 v55, v29, v55
	s_delay_alu instid0(VALU_DEP_2) | instskip(NEXT) | instid1(VALU_DEP_2)
	v_sub_f32_e32 v13, v13, v65
	v_add_f32_e32 v65, v64, v55
	s_delay_alu instid0(VALU_DEP_2) | instskip(NEXT) | instid1(VALU_DEP_2)
	v_add_f32_e32 v13, v29, v13
	v_rcp_f32_e32 v29, v65
	v_sub_f32_e32 v64, v64, v65
	s_delay_alu instid0(VALU_DEP_1) | instskip(NEXT) | instid1(VALU_DEP_1)
	v_dual_add_f32 v66, v54, v13 :: v_dual_add_f32 v55, v55, v64
	v_sub_f32_e32 v54, v54, v66
	s_waitcnt_depctr 0xfff
	v_mul_f32_e32 v67, v66, v29
	v_add_f32_e32 v13, v13, v54
	s_delay_alu instid0(VALU_DEP_2) | instskip(NEXT) | instid1(VALU_DEP_1)
	v_mul_f32_e32 v68, v65, v67
	v_fma_f32 v64, v67, v65, -v68
	s_delay_alu instid0(VALU_DEP_1) | instskip(NEXT) | instid1(VALU_DEP_1)
	v_fmac_f32_e32 v64, v67, v55
	v_add_f32_e32 v69, v68, v64
	s_delay_alu instid0(VALU_DEP_1) | instskip(SKIP_1) | instid1(VALU_DEP_2)
	v_sub_f32_e32 v70, v66, v69
	v_sub_f32_e32 v54, v69, v68
	;; [unrolled: 1-line block ×3, first 2 shown]
	s_delay_alu instid0(VALU_DEP_2) | instskip(NEXT) | instid1(VALU_DEP_2)
	v_sub_f32_e32 v54, v54, v64
	v_sub_f32_e32 v66, v66, v69
	s_delay_alu instid0(VALU_DEP_1) | instskip(NEXT) | instid1(VALU_DEP_1)
	v_add_f32_e32 v13, v13, v66
	v_add_f32_e32 v13, v54, v13
	s_delay_alu instid0(VALU_DEP_1) | instskip(NEXT) | instid1(VALU_DEP_1)
	v_add_f32_e32 v54, v70, v13
	v_mul_f32_e32 v64, v29, v54
	s_delay_alu instid0(VALU_DEP_1) | instskip(NEXT) | instid1(VALU_DEP_1)
	v_dual_sub_f32 v69, v70, v54 :: v_dual_mul_f32 v66, v65, v64
	v_add_f32_e32 v13, v13, v69
	s_delay_alu instid0(VALU_DEP_2) | instskip(NEXT) | instid1(VALU_DEP_1)
	v_fma_f32 v65, v64, v65, -v66
	v_fmac_f32_e32 v65, v64, v55
	s_delay_alu instid0(VALU_DEP_1) | instskip(NEXT) | instid1(VALU_DEP_1)
	v_add_f32_e32 v55, v66, v65
	v_sub_f32_e32 v68, v54, v55
	v_sub_f32_e32 v66, v55, v66
	s_delay_alu instid0(VALU_DEP_2) | instskip(NEXT) | instid1(VALU_DEP_1)
	v_sub_f32_e32 v54, v54, v68
	v_sub_f32_e32 v54, v54, v55
	s_delay_alu instid0(VALU_DEP_3) | instskip(NEXT) | instid1(VALU_DEP_2)
	v_sub_f32_e32 v55, v66, v65
	v_dual_add_f32 v13, v13, v54 :: v_dual_add_f32 v54, v67, v64
	s_delay_alu instid0(VALU_DEP_1) | instskip(NEXT) | instid1(VALU_DEP_2)
	v_add_f32_e32 v13, v55, v13
	v_sub_f32_e32 v55, v54, v67
	s_delay_alu instid0(VALU_DEP_2) | instskip(NEXT) | instid1(VALU_DEP_2)
	v_add_f32_e32 v13, v68, v13
	v_sub_f32_e32 v55, v64, v55
	s_delay_alu instid0(VALU_DEP_2) | instskip(NEXT) | instid1(VALU_DEP_1)
	v_mul_f32_e32 v13, v29, v13
	v_add_f32_e32 v13, v55, v13
	s_delay_alu instid0(VALU_DEP_1) | instskip(NEXT) | instid1(VALU_DEP_1)
	v_add_f32_e32 v29, v54, v13
	v_mul_f32_e32 v55, v29, v29
	s_delay_alu instid0(VALU_DEP_1) | instskip(SKIP_2) | instid1(VALU_DEP_3)
	v_fmaak_f32 v64, s2, v55, 0x3ecc95a3
	v_mul_f32_e32 v65, v29, v55
	v_cmp_eq_f32_e64 s2, 0x7f800000, v7
	v_fmaak_f32 v55, v55, v64, 0x3f2aaada
	v_ldexp_f32 v64, v29, 1
	v_sub_f32_e32 v29, v29, v54
	s_delay_alu instid0(VALU_DEP_4) | instskip(NEXT) | instid1(VALU_DEP_3)
	s_or_b32 s2, s2, s4
	v_mul_f32_e32 v55, v65, v55
	v_mul_f32_e32 v65, 0x3f317218, v28
	s_delay_alu instid0(VALU_DEP_2) | instskip(NEXT) | instid1(VALU_DEP_1)
	v_dual_sub_f32 v13, v13, v29 :: v_dual_add_f32 v54, v64, v55
	v_ldexp_f32 v13, v13, 1
	s_delay_alu instid0(VALU_DEP_2) | instskip(NEXT) | instid1(VALU_DEP_4)
	v_sub_f32_e32 v29, v54, v64
	v_fma_f32 v64, 0x3f317218, v28, -v65
	s_delay_alu instid0(VALU_DEP_1) | instskip(NEXT) | instid1(VALU_DEP_1)
	v_dual_sub_f32 v29, v55, v29 :: v_dual_fmamk_f32 v28, v28, 0xb102e308, v64
	v_add_f32_e32 v13, v13, v29
	s_delay_alu instid0(VALU_DEP_2) | instskip(NEXT) | instid1(VALU_DEP_2)
	v_add_f32_e32 v29, v65, v28
	v_add_f32_e32 v55, v54, v13
	s_delay_alu instid0(VALU_DEP_2) | instskip(NEXT) | instid1(VALU_DEP_2)
	v_sub_f32_e32 v65, v29, v65
	v_add_f32_e32 v64, v29, v55
	v_sub_f32_e32 v54, v55, v54
	s_delay_alu instid0(VALU_DEP_3) | instskip(NEXT) | instid1(VALU_DEP_2)
	v_sub_f32_e32 v28, v28, v65
	v_dual_sub_f32 v66, v64, v29 :: v_dual_sub_f32 v13, v13, v54
	s_delay_alu instid0(VALU_DEP_1) | instskip(NEXT) | instid1(VALU_DEP_2)
	v_sub_f32_e32 v67, v64, v66
	v_dual_sub_f32 v54, v55, v66 :: v_dual_add_f32 v55, v28, v13
	s_delay_alu instid0(VALU_DEP_2) | instskip(NEXT) | instid1(VALU_DEP_1)
	v_sub_f32_e32 v29, v29, v67
	v_dual_add_f32 v29, v54, v29 :: v_dual_sub_f32 v54, v55, v28
	s_delay_alu instid0(VALU_DEP_1) | instskip(NEXT) | instid1(VALU_DEP_2)
	v_add_f32_e32 v29, v55, v29
	v_sub_f32_e32 v55, v55, v54
	v_sub_f32_e32 v13, v13, v54
	s_delay_alu instid0(VALU_DEP_3) | instskip(NEXT) | instid1(VALU_DEP_3)
	v_add_f32_e32 v65, v64, v29
	v_sub_f32_e32 v28, v28, v55
	s_delay_alu instid0(VALU_DEP_2) | instskip(NEXT) | instid1(VALU_DEP_2)
	v_sub_f32_e32 v54, v65, v64
	v_add_f32_e32 v13, v13, v28
	s_delay_alu instid0(VALU_DEP_2) | instskip(NEXT) | instid1(VALU_DEP_1)
	v_sub_f32_e32 v28, v29, v54
	v_add_f32_e32 v13, v13, v28
	s_delay_alu instid0(VALU_DEP_1) | instskip(NEXT) | instid1(VALU_DEP_1)
	v_add_f32_e32 v13, v65, v13
	v_cndmask_b32_e64 v7, v13, v7, s2
	s_delay_alu instid0(VALU_DEP_1) | instskip(NEXT) | instid1(VALU_DEP_1)
	v_add_f32_e32 v6, v6, v7
	v_cvt_f16_f32_e32 v29, v6
	s_delay_alu instid0(VALU_DEP_1)
	v_cvt_f32_f16_e32 v54, v29
	v_mov_b32_e32 v28, v29
.LBB410_246:
	s_or_b32 exec_lo, exec_lo, s3
	v_cvt_f32_f16_e32 v6, v53
	s_delay_alu instid0(VALU_DEP_3) | instskip(SKIP_1) | instid1(VALU_DEP_2)
	v_max_f32_e32 v7, v54, v54
	v_cmp_u_f16_e64 s2, v29, v29
	v_min_f32_e32 v13, v7, v6
	v_max_f32_e32 v7, v7, v6
	s_delay_alu instid0(VALU_DEP_2) | instskip(NEXT) | instid1(VALU_DEP_2)
	v_cndmask_b32_e64 v13, v13, v54, s2
	v_cndmask_b32_e64 v7, v7, v54, s2
	v_cmp_u_f16_e64 s2, v53, v53
	s_delay_alu instid0(VALU_DEP_1) | instskip(NEXT) | instid1(VALU_DEP_3)
	v_cndmask_b32_e64 v13, v13, v6, s2
	v_cndmask_b32_e64 v7, v7, v6, s2
	s_delay_alu instid0(VALU_DEP_2) | instskip(NEXT) | instid1(VALU_DEP_2)
	v_cmp_class_f32_e64 s4, v13, 0x1f8
	v_cmp_neq_f32_e64 s3, v13, v7
	s_delay_alu instid0(VALU_DEP_1) | instskip(NEXT) | instid1(SALU_CYCLE_1)
	s_or_b32 s3, s3, s4
	s_and_saveexec_b32 s4, s3
	s_cbranch_execz .LBB410_248
; %bb.247:
	v_sub_f32_e32 v13, v13, v7
	s_delay_alu instid0(VALU_DEP_1) | instskip(NEXT) | instid1(VALU_DEP_1)
	v_mul_f32_e32 v28, 0x3fb8aa3b, v13
	v_fma_f32 v29, 0x3fb8aa3b, v13, -v28
	v_rndne_f32_e32 v53, v28
	s_delay_alu instid0(VALU_DEP_1) | instskip(SKIP_1) | instid1(VALU_DEP_2)
	v_dual_sub_f32 v28, v28, v53 :: v_dual_fmamk_f32 v29, v13, 0x32a5705f, v29
	v_cmp_ngt_f32_e64 s3, 0xc2ce8ed0, v13
	v_add_f32_e32 v28, v28, v29
	v_cvt_i32_f32_e32 v29, v53
	s_delay_alu instid0(VALU_DEP_2) | instskip(SKIP_2) | instid1(VALU_DEP_1)
	v_exp_f32_e32 v28, v28
	s_waitcnt_depctr 0xfff
	v_ldexp_f32 v28, v28, v29
	v_cndmask_b32_e64 v28, 0, v28, s3
	v_cmp_nlt_f32_e64 s3, 0x42b17218, v13
	s_delay_alu instid0(VALU_DEP_1) | instskip(NEXT) | instid1(VALU_DEP_1)
	v_cndmask_b32_e64 v13, 0x7f800000, v28, s3
	v_add_f32_e32 v53, 1.0, v13
	v_cmp_gt_f32_e64 s5, 0x33800000, |v13|
	s_delay_alu instid0(VALU_DEP_2) | instskip(NEXT) | instid1(VALU_DEP_1)
	v_cvt_f64_f32_e32 v[28:29], v53
	v_frexp_exp_i32_f64_e32 v28, v[28:29]
	v_frexp_mant_f32_e32 v29, v53
	s_delay_alu instid0(VALU_DEP_1) | instskip(SKIP_1) | instid1(VALU_DEP_1)
	v_cmp_gt_f32_e64 s3, 0x3f2aaaab, v29
	v_add_f32_e32 v29, -1.0, v53
	v_sub_f32_e32 v55, v29, v53
	v_sub_f32_e32 v29, v13, v29
	s_delay_alu instid0(VALU_DEP_2) | instskip(NEXT) | instid1(VALU_DEP_1)
	v_add_f32_e32 v55, 1.0, v55
	v_add_f32_e32 v29, v29, v55
	v_subrev_co_ci_u32_e64 v28, s3, 0, v28, s3
	s_mov_b32 s3, 0x3e9b6dac
	s_delay_alu instid0(VALU_DEP_1) | instskip(SKIP_1) | instid1(VALU_DEP_2)
	v_sub_nc_u32_e32 v54, 0, v28
	v_cvt_f32_i32_e32 v28, v28
	v_ldexp_f32 v53, v53, v54
	v_ldexp_f32 v29, v29, v54
	s_delay_alu instid0(VALU_DEP_2) | instskip(NEXT) | instid1(VALU_DEP_1)
	v_add_f32_e32 v64, 1.0, v53
	v_dual_add_f32 v54, -1.0, v53 :: v_dual_add_f32 v55, -1.0, v64
	s_delay_alu instid0(VALU_DEP_1) | instskip(NEXT) | instid1(VALU_DEP_2)
	v_add_f32_e32 v65, 1.0, v54
	v_sub_f32_e32 v55, v53, v55
	s_delay_alu instid0(VALU_DEP_2) | instskip(NEXT) | instid1(VALU_DEP_2)
	v_sub_f32_e32 v53, v53, v65
	v_add_f32_e32 v55, v29, v55
	s_delay_alu instid0(VALU_DEP_2) | instskip(NEXT) | instid1(VALU_DEP_1)
	v_add_f32_e32 v29, v29, v53
	v_dual_add_f32 v65, v64, v55 :: v_dual_add_f32 v66, v54, v29
	s_delay_alu instid0(VALU_DEP_1) | instskip(SKIP_1) | instid1(VALU_DEP_1)
	v_rcp_f32_e32 v53, v65
	v_sub_f32_e32 v64, v64, v65
	v_dual_sub_f32 v54, v54, v66 :: v_dual_add_f32 v55, v55, v64
	s_delay_alu instid0(VALU_DEP_1) | instskip(SKIP_2) | instid1(VALU_DEP_1)
	v_add_f32_e32 v29, v29, v54
	s_waitcnt_depctr 0xfff
	v_mul_f32_e32 v67, v66, v53
	v_mul_f32_e32 v68, v65, v67
	s_delay_alu instid0(VALU_DEP_1) | instskip(NEXT) | instid1(VALU_DEP_1)
	v_fma_f32 v64, v67, v65, -v68
	v_fmac_f32_e32 v64, v67, v55
	s_delay_alu instid0(VALU_DEP_1) | instskip(NEXT) | instid1(VALU_DEP_1)
	v_add_f32_e32 v69, v68, v64
	v_sub_f32_e32 v70, v66, v69
	v_sub_f32_e32 v54, v69, v68
	s_delay_alu instid0(VALU_DEP_2) | instskip(NEXT) | instid1(VALU_DEP_2)
	v_sub_f32_e32 v66, v66, v70
	v_sub_f32_e32 v54, v54, v64
	s_delay_alu instid0(VALU_DEP_2) | instskip(NEXT) | instid1(VALU_DEP_1)
	v_sub_f32_e32 v66, v66, v69
	v_add_f32_e32 v29, v29, v66
	s_delay_alu instid0(VALU_DEP_1) | instskip(NEXT) | instid1(VALU_DEP_1)
	v_add_f32_e32 v29, v54, v29
	v_add_f32_e32 v54, v70, v29
	s_delay_alu instid0(VALU_DEP_1) | instskip(NEXT) | instid1(VALU_DEP_1)
	v_mul_f32_e32 v64, v53, v54
	v_dual_sub_f32 v69, v70, v54 :: v_dual_mul_f32 v66, v65, v64
	s_delay_alu instid0(VALU_DEP_1) | instskip(NEXT) | instid1(VALU_DEP_2)
	v_add_f32_e32 v29, v29, v69
	v_fma_f32 v65, v64, v65, -v66
	s_delay_alu instid0(VALU_DEP_1) | instskip(NEXT) | instid1(VALU_DEP_1)
	v_fmac_f32_e32 v65, v64, v55
	v_add_f32_e32 v55, v66, v65
	s_delay_alu instid0(VALU_DEP_1) | instskip(NEXT) | instid1(VALU_DEP_1)
	v_sub_f32_e32 v68, v54, v55
	v_sub_f32_e32 v54, v54, v68
	s_delay_alu instid0(VALU_DEP_1) | instskip(NEXT) | instid1(VALU_DEP_1)
	v_sub_f32_e32 v54, v54, v55
	v_dual_add_f32 v29, v29, v54 :: v_dual_add_f32 v54, v67, v64
	v_sub_f32_e32 v66, v55, v66
	s_delay_alu instid0(VALU_DEP_1) | instskip(NEXT) | instid1(VALU_DEP_1)
	v_sub_f32_e32 v55, v66, v65
	v_add_f32_e32 v29, v55, v29
	s_delay_alu instid0(VALU_DEP_4) | instskip(NEXT) | instid1(VALU_DEP_2)
	v_sub_f32_e32 v55, v54, v67
	v_add_f32_e32 v29, v68, v29
	s_delay_alu instid0(VALU_DEP_2) | instskip(NEXT) | instid1(VALU_DEP_2)
	v_sub_f32_e32 v55, v64, v55
	v_mul_f32_e32 v29, v53, v29
	s_delay_alu instid0(VALU_DEP_1) | instskip(NEXT) | instid1(VALU_DEP_1)
	v_add_f32_e32 v29, v55, v29
	v_add_f32_e32 v53, v54, v29
	s_delay_alu instid0(VALU_DEP_1) | instskip(NEXT) | instid1(VALU_DEP_1)
	v_mul_f32_e32 v55, v53, v53
	v_fmaak_f32 v64, s3, v55, 0x3ecc95a3
	v_mul_f32_e32 v65, v53, v55
	v_cmp_eq_f32_e64 s3, 0x7f800000, v13
	s_delay_alu instid0(VALU_DEP_3) | instskip(SKIP_2) | instid1(VALU_DEP_4)
	v_fmaak_f32 v55, v55, v64, 0x3f2aaada
	v_ldexp_f32 v64, v53, 1
	v_sub_f32_e32 v53, v53, v54
	s_or_b32 s3, s3, s5
	s_delay_alu instid0(VALU_DEP_3) | instskip(SKIP_1) | instid1(VALU_DEP_2)
	v_mul_f32_e32 v55, v65, v55
	v_mul_f32_e32 v65, 0x3f317218, v28
	v_dual_sub_f32 v29, v29, v53 :: v_dual_add_f32 v54, v64, v55
	s_delay_alu instid0(VALU_DEP_1) | instskip(NEXT) | instid1(VALU_DEP_2)
	v_ldexp_f32 v29, v29, 1
	v_sub_f32_e32 v53, v54, v64
	s_delay_alu instid0(VALU_DEP_4) | instskip(NEXT) | instid1(VALU_DEP_1)
	v_fma_f32 v64, 0x3f317218, v28, -v65
	v_dual_sub_f32 v53, v55, v53 :: v_dual_fmamk_f32 v28, v28, 0xb102e308, v64
	s_delay_alu instid0(VALU_DEP_1) | instskip(NEXT) | instid1(VALU_DEP_2)
	v_add_f32_e32 v29, v29, v53
	v_add_f32_e32 v53, v65, v28
	s_delay_alu instid0(VALU_DEP_2) | instskip(NEXT) | instid1(VALU_DEP_2)
	v_add_f32_e32 v55, v54, v29
	v_sub_f32_e32 v65, v53, v65
	s_delay_alu instid0(VALU_DEP_2) | instskip(SKIP_1) | instid1(VALU_DEP_3)
	v_add_f32_e32 v64, v53, v55
	v_sub_f32_e32 v54, v55, v54
	v_sub_f32_e32 v28, v28, v65
	s_delay_alu instid0(VALU_DEP_2) | instskip(NEXT) | instid1(VALU_DEP_1)
	v_dual_sub_f32 v66, v64, v53 :: v_dual_sub_f32 v29, v29, v54
	v_sub_f32_e32 v67, v64, v66
	s_delay_alu instid0(VALU_DEP_2) | instskip(NEXT) | instid1(VALU_DEP_2)
	v_dual_sub_f32 v54, v55, v66 :: v_dual_add_f32 v55, v28, v29
	v_sub_f32_e32 v53, v53, v67
	s_delay_alu instid0(VALU_DEP_1) | instskip(NEXT) | instid1(VALU_DEP_1)
	v_dual_add_f32 v53, v54, v53 :: v_dual_sub_f32 v54, v55, v28
	v_add_f32_e32 v53, v55, v53
	s_delay_alu instid0(VALU_DEP_2) | instskip(SKIP_1) | instid1(VALU_DEP_3)
	v_sub_f32_e32 v55, v55, v54
	v_sub_f32_e32 v29, v29, v54
	v_add_f32_e32 v65, v64, v53
	s_delay_alu instid0(VALU_DEP_3) | instskip(NEXT) | instid1(VALU_DEP_2)
	v_sub_f32_e32 v28, v28, v55
	v_sub_f32_e32 v54, v65, v64
	s_delay_alu instid0(VALU_DEP_2) | instskip(NEXT) | instid1(VALU_DEP_2)
	v_add_f32_e32 v28, v29, v28
	v_sub_f32_e32 v29, v53, v54
	s_delay_alu instid0(VALU_DEP_1) | instskip(NEXT) | instid1(VALU_DEP_1)
	v_add_f32_e32 v28, v28, v29
	v_add_f32_e32 v28, v65, v28
	s_delay_alu instid0(VALU_DEP_1) | instskip(NEXT) | instid1(VALU_DEP_1)
	v_cndmask_b32_e64 v13, v28, v13, s3
	v_add_f32_e32 v7, v7, v13
	s_delay_alu instid0(VALU_DEP_1) | instskip(NEXT) | instid1(VALU_DEP_1)
	v_cvt_f16_f32_e32 v29, v7
	v_cvt_f32_f16_e32 v54, v29
	v_mov_b32_e32 v28, v29
.LBB410_248:
	s_or_b32 exec_lo, exec_lo, s4
	v_cvt_f32_f16_e32 v7, v24
	s_delay_alu instid0(VALU_DEP_3) | instskip(SKIP_1) | instid1(VALU_DEP_2)
	v_max_f32_e32 v13, v54, v54
	v_cmp_u_f16_e64 s3, v29, v29
	v_min_f32_e32 v53, v13, v7
	v_max_f32_e32 v13, v13, v7
	s_delay_alu instid0(VALU_DEP_2) | instskip(NEXT) | instid1(VALU_DEP_2)
	v_cndmask_b32_e64 v53, v53, v54, s3
	v_cndmask_b32_e64 v13, v13, v54, s3
	v_cmp_u_f16_e64 s3, v24, v24
	s_delay_alu instid0(VALU_DEP_1) | instskip(NEXT) | instid1(VALU_DEP_3)
	v_cndmask_b32_e64 v24, v53, v7, s3
	v_cndmask_b32_e64 v13, v13, v7, s3
	s_delay_alu instid0(VALU_DEP_2) | instskip(NEXT) | instid1(VALU_DEP_2)
	v_cmp_class_f32_e64 s5, v24, 0x1f8
	v_cmp_neq_f32_e64 s4, v24, v13
	s_delay_alu instid0(VALU_DEP_1) | instskip(NEXT) | instid1(SALU_CYCLE_1)
	s_or_b32 s4, s4, s5
	s_and_saveexec_b32 s5, s4
	s_cbranch_execz .LBB410_250
; %bb.249:
	v_sub_f32_e32 v24, v24, v13
	s_delay_alu instid0(VALU_DEP_1) | instskip(SKIP_1) | instid1(VALU_DEP_2)
	v_mul_f32_e32 v28, 0x3fb8aa3b, v24
	v_cmp_ngt_f32_e64 s4, 0xc2ce8ed0, v24
	v_fma_f32 v29, 0x3fb8aa3b, v24, -v28
	v_rndne_f32_e32 v53, v28
	s_delay_alu instid0(VALU_DEP_2) | instskip(NEXT) | instid1(VALU_DEP_2)
	v_fmamk_f32 v29, v24, 0x32a5705f, v29
	v_sub_f32_e32 v28, v28, v53
	s_delay_alu instid0(VALU_DEP_1) | instskip(SKIP_1) | instid1(VALU_DEP_2)
	v_add_f32_e32 v28, v28, v29
	v_cvt_i32_f32_e32 v29, v53
	v_exp_f32_e32 v28, v28
	s_waitcnt_depctr 0xfff
	v_ldexp_f32 v28, v28, v29
	s_delay_alu instid0(VALU_DEP_1) | instskip(SKIP_1) | instid1(VALU_DEP_1)
	v_cndmask_b32_e64 v28, 0, v28, s4
	v_cmp_nlt_f32_e64 s4, 0x42b17218, v24
	v_cndmask_b32_e64 v24, 0x7f800000, v28, s4
	s_delay_alu instid0(VALU_DEP_1) | instskip(SKIP_1) | instid1(VALU_DEP_2)
	v_add_f32_e32 v53, 1.0, v24
	v_cmp_gt_f32_e64 s6, 0x33800000, |v24|
	v_cvt_f64_f32_e32 v[28:29], v53
	s_delay_alu instid0(VALU_DEP_1) | instskip(SKIP_1) | instid1(VALU_DEP_1)
	v_frexp_exp_i32_f64_e32 v28, v[28:29]
	v_frexp_mant_f32_e32 v29, v53
	v_cmp_gt_f32_e64 s4, 0x3f2aaaab, v29
	v_add_f32_e32 v29, -1.0, v53
	s_delay_alu instid0(VALU_DEP_1) | instskip(SKIP_1) | instid1(VALU_DEP_2)
	v_sub_f32_e32 v55, v29, v53
	v_sub_f32_e32 v29, v24, v29
	v_add_f32_e32 v55, 1.0, v55
	s_delay_alu instid0(VALU_DEP_1) | instskip(SKIP_2) | instid1(VALU_DEP_1)
	v_add_f32_e32 v29, v29, v55
	v_subrev_co_ci_u32_e64 v28, s4, 0, v28, s4
	s_mov_b32 s4, 0x3e9b6dac
	v_sub_nc_u32_e32 v54, 0, v28
	v_cvt_f32_i32_e32 v28, v28
	s_delay_alu instid0(VALU_DEP_2) | instskip(SKIP_1) | instid1(VALU_DEP_2)
	v_ldexp_f32 v53, v53, v54
	v_ldexp_f32 v29, v29, v54
	v_add_f32_e32 v64, 1.0, v53
	s_delay_alu instid0(VALU_DEP_1) | instskip(NEXT) | instid1(VALU_DEP_1)
	v_dual_add_f32 v54, -1.0, v53 :: v_dual_add_f32 v55, -1.0, v64
	v_add_f32_e32 v65, 1.0, v54
	s_delay_alu instid0(VALU_DEP_2) | instskip(NEXT) | instid1(VALU_DEP_2)
	v_sub_f32_e32 v55, v53, v55
	v_sub_f32_e32 v53, v53, v65
	s_delay_alu instid0(VALU_DEP_2) | instskip(NEXT) | instid1(VALU_DEP_2)
	v_add_f32_e32 v55, v29, v55
	v_add_f32_e32 v29, v29, v53
	s_delay_alu instid0(VALU_DEP_1) | instskip(NEXT) | instid1(VALU_DEP_1)
	v_dual_add_f32 v66, v54, v29 :: v_dual_add_f32 v65, v64, v55
	v_sub_f32_e32 v54, v54, v66
	s_delay_alu instid0(VALU_DEP_2) | instskip(NEXT) | instid1(VALU_DEP_1)
	v_rcp_f32_e32 v53, v65
	v_dual_sub_f32 v64, v64, v65 :: v_dual_add_f32 v29, v29, v54
	s_delay_alu instid0(VALU_DEP_1) | instskip(SKIP_2) | instid1(VALU_DEP_1)
	v_add_f32_e32 v55, v55, v64
	s_waitcnt_depctr 0xfff
	v_mul_f32_e32 v67, v66, v53
	v_mul_f32_e32 v68, v65, v67
	s_delay_alu instid0(VALU_DEP_1) | instskip(NEXT) | instid1(VALU_DEP_1)
	v_fma_f32 v64, v67, v65, -v68
	v_fmac_f32_e32 v64, v67, v55
	s_delay_alu instid0(VALU_DEP_1) | instskip(NEXT) | instid1(VALU_DEP_1)
	v_add_f32_e32 v69, v68, v64
	v_sub_f32_e32 v70, v66, v69
	v_sub_f32_e32 v54, v69, v68
	s_delay_alu instid0(VALU_DEP_2) | instskip(NEXT) | instid1(VALU_DEP_2)
	v_sub_f32_e32 v66, v66, v70
	v_sub_f32_e32 v54, v54, v64
	s_delay_alu instid0(VALU_DEP_2) | instskip(NEXT) | instid1(VALU_DEP_1)
	v_sub_f32_e32 v66, v66, v69
	v_add_f32_e32 v29, v29, v66
	s_delay_alu instid0(VALU_DEP_1) | instskip(NEXT) | instid1(VALU_DEP_1)
	v_add_f32_e32 v29, v54, v29
	v_add_f32_e32 v54, v70, v29
	s_delay_alu instid0(VALU_DEP_1) | instskip(NEXT) | instid1(VALU_DEP_1)
	v_mul_f32_e32 v64, v53, v54
	v_dual_sub_f32 v69, v70, v54 :: v_dual_mul_f32 v66, v65, v64
	s_delay_alu instid0(VALU_DEP_1) | instskip(NEXT) | instid1(VALU_DEP_1)
	v_fma_f32 v65, v64, v65, -v66
	v_fmac_f32_e32 v65, v64, v55
	s_delay_alu instid0(VALU_DEP_1) | instskip(NEXT) | instid1(VALU_DEP_1)
	v_add_f32_e32 v55, v66, v65
	v_dual_add_f32 v29, v29, v69 :: v_dual_sub_f32 v68, v54, v55
	s_delay_alu instid0(VALU_DEP_1) | instskip(NEXT) | instid1(VALU_DEP_1)
	v_sub_f32_e32 v54, v54, v68
	v_sub_f32_e32 v54, v54, v55
	s_delay_alu instid0(VALU_DEP_1) | instskip(SKIP_1) | instid1(VALU_DEP_1)
	v_dual_add_f32 v29, v29, v54 :: v_dual_add_f32 v54, v67, v64
	v_sub_f32_e32 v66, v55, v66
	v_sub_f32_e32 v55, v66, v65
	s_delay_alu instid0(VALU_DEP_1) | instskip(NEXT) | instid1(VALU_DEP_4)
	v_add_f32_e32 v29, v55, v29
	v_sub_f32_e32 v55, v54, v67
	s_delay_alu instid0(VALU_DEP_2) | instskip(NEXT) | instid1(VALU_DEP_2)
	v_add_f32_e32 v29, v68, v29
	v_sub_f32_e32 v55, v64, v55
	s_delay_alu instid0(VALU_DEP_2) | instskip(NEXT) | instid1(VALU_DEP_1)
	v_mul_f32_e32 v29, v53, v29
	v_add_f32_e32 v29, v55, v29
	s_delay_alu instid0(VALU_DEP_1) | instskip(NEXT) | instid1(VALU_DEP_1)
	v_add_f32_e32 v53, v54, v29
	v_mul_f32_e32 v55, v53, v53
	s_delay_alu instid0(VALU_DEP_1) | instskip(SKIP_2) | instid1(VALU_DEP_3)
	v_fmaak_f32 v64, s4, v55, 0x3ecc95a3
	v_mul_f32_e32 v65, v53, v55
	v_cmp_eq_f32_e64 s4, 0x7f800000, v24
	v_fmaak_f32 v55, v55, v64, 0x3f2aaada
	v_ldexp_f32 v64, v53, 1
	v_sub_f32_e32 v53, v53, v54
	s_delay_alu instid0(VALU_DEP_4) | instskip(NEXT) | instid1(VALU_DEP_3)
	s_or_b32 s4, s4, s6
	v_mul_f32_e32 v55, v65, v55
	v_mul_f32_e32 v65, 0x3f317218, v28
	s_delay_alu instid0(VALU_DEP_2) | instskip(NEXT) | instid1(VALU_DEP_1)
	v_dual_sub_f32 v29, v29, v53 :: v_dual_add_f32 v54, v64, v55
	v_ldexp_f32 v29, v29, 1
	s_delay_alu instid0(VALU_DEP_2) | instskip(NEXT) | instid1(VALU_DEP_4)
	v_sub_f32_e32 v53, v54, v64
	v_fma_f32 v64, 0x3f317218, v28, -v65
	s_delay_alu instid0(VALU_DEP_1) | instskip(NEXT) | instid1(VALU_DEP_1)
	v_dual_sub_f32 v53, v55, v53 :: v_dual_fmamk_f32 v28, v28, 0xb102e308, v64
	v_add_f32_e32 v29, v29, v53
	s_delay_alu instid0(VALU_DEP_2) | instskip(NEXT) | instid1(VALU_DEP_2)
	v_add_f32_e32 v53, v65, v28
	v_add_f32_e32 v55, v54, v29
	s_delay_alu instid0(VALU_DEP_2) | instskip(NEXT) | instid1(VALU_DEP_2)
	v_sub_f32_e32 v65, v53, v65
	v_add_f32_e32 v64, v53, v55
	v_sub_f32_e32 v54, v55, v54
	s_delay_alu instid0(VALU_DEP_3) | instskip(NEXT) | instid1(VALU_DEP_2)
	v_sub_f32_e32 v28, v28, v65
	v_dual_sub_f32 v66, v64, v53 :: v_dual_sub_f32 v29, v29, v54
	s_delay_alu instid0(VALU_DEP_1) | instskip(NEXT) | instid1(VALU_DEP_2)
	v_sub_f32_e32 v67, v64, v66
	v_dual_sub_f32 v54, v55, v66 :: v_dual_add_f32 v55, v28, v29
	s_delay_alu instid0(VALU_DEP_2) | instskip(NEXT) | instid1(VALU_DEP_1)
	v_sub_f32_e32 v53, v53, v67
	v_dual_add_f32 v53, v54, v53 :: v_dual_sub_f32 v54, v55, v28
	s_delay_alu instid0(VALU_DEP_1) | instskip(NEXT) | instid1(VALU_DEP_2)
	v_add_f32_e32 v53, v55, v53
	v_sub_f32_e32 v55, v55, v54
	v_sub_f32_e32 v29, v29, v54
	s_delay_alu instid0(VALU_DEP_3) | instskip(NEXT) | instid1(VALU_DEP_3)
	v_add_f32_e32 v65, v64, v53
	v_sub_f32_e32 v28, v28, v55
	s_delay_alu instid0(VALU_DEP_2) | instskip(NEXT) | instid1(VALU_DEP_2)
	v_sub_f32_e32 v54, v65, v64
	v_add_f32_e32 v28, v29, v28
	s_delay_alu instid0(VALU_DEP_2) | instskip(NEXT) | instid1(VALU_DEP_1)
	v_sub_f32_e32 v29, v53, v54
	v_add_f32_e32 v28, v28, v29
	s_delay_alu instid0(VALU_DEP_1) | instskip(NEXT) | instid1(VALU_DEP_1)
	v_add_f32_e32 v28, v65, v28
	v_cndmask_b32_e64 v24, v28, v24, s4
	s_delay_alu instid0(VALU_DEP_1) | instskip(NEXT) | instid1(VALU_DEP_1)
	v_add_f32_e32 v13, v13, v24
	v_cvt_f16_f32_e32 v29, v13
	s_delay_alu instid0(VALU_DEP_1)
	v_cvt_f32_f16_e32 v54, v29
	v_mov_b32_e32 v28, v29
.LBB410_250:
	s_or_b32 exec_lo, exec_lo, s5
	v_cvt_f32_f16_e32 v13, v52
	s_delay_alu instid0(VALU_DEP_3) | instskip(SKIP_1) | instid1(VALU_DEP_2)
	v_max_f32_e32 v24, v54, v54
	v_cmp_u_f16_e64 s4, v29, v29
	v_min_f32_e32 v53, v24, v13
	v_max_f32_e32 v24, v24, v13
	s_delay_alu instid0(VALU_DEP_2) | instskip(NEXT) | instid1(VALU_DEP_2)
	v_cndmask_b32_e64 v53, v53, v54, s4
	v_cndmask_b32_e64 v24, v24, v54, s4
	v_cmp_u_f16_e64 s4, v52, v52
	s_delay_alu instid0(VALU_DEP_1) | instskip(NEXT) | instid1(VALU_DEP_3)
	v_cndmask_b32_e64 v52, v53, v13, s4
	v_cndmask_b32_e64 v24, v24, v13, s4
	s_delay_alu instid0(VALU_DEP_2) | instskip(NEXT) | instid1(VALU_DEP_2)
	v_cmp_class_f32_e64 s6, v52, 0x1f8
	v_cmp_neq_f32_e64 s5, v52, v24
	s_delay_alu instid0(VALU_DEP_1) | instskip(NEXT) | instid1(SALU_CYCLE_1)
	s_or_b32 s5, s5, s6
	s_and_saveexec_b32 s6, s5
	s_cbranch_execz .LBB410_252
; %bb.251:
	v_sub_f32_e32 v28, v52, v24
	s_delay_alu instid0(VALU_DEP_1) | instskip(NEXT) | instid1(VALU_DEP_1)
	v_mul_f32_e32 v29, 0x3fb8aa3b, v28
	v_fma_f32 v52, 0x3fb8aa3b, v28, -v29
	v_rndne_f32_e32 v53, v29
	s_delay_alu instid0(VALU_DEP_1) | instskip(SKIP_1) | instid1(VALU_DEP_2)
	v_dual_sub_f32 v29, v29, v53 :: v_dual_fmamk_f32 v52, v28, 0x32a5705f, v52
	v_cmp_ngt_f32_e64 s5, 0xc2ce8ed0, v28
	v_add_f32_e32 v29, v29, v52
	v_cvt_i32_f32_e32 v52, v53
	s_delay_alu instid0(VALU_DEP_2) | instskip(SKIP_2) | instid1(VALU_DEP_1)
	v_exp_f32_e32 v29, v29
	s_waitcnt_depctr 0xfff
	v_ldexp_f32 v29, v29, v52
	v_cndmask_b32_e64 v29, 0, v29, s5
	v_cmp_nlt_f32_e64 s5, 0x42b17218, v28
	s_delay_alu instid0(VALU_DEP_1) | instskip(NEXT) | instid1(VALU_DEP_1)
	v_cndmask_b32_e64 v52, 0x7f800000, v29, s5
	v_add_f32_e32 v53, 1.0, v52
	v_cmp_gt_f32_e64 s7, 0x33800000, |v52|
	s_delay_alu instid0(VALU_DEP_2) | instskip(NEXT) | instid1(VALU_DEP_1)
	v_cvt_f64_f32_e32 v[28:29], v53
	v_frexp_exp_i32_f64_e32 v28, v[28:29]
	v_frexp_mant_f32_e32 v29, v53
	s_delay_alu instid0(VALU_DEP_1) | instskip(SKIP_1) | instid1(VALU_DEP_1)
	v_cmp_gt_f32_e64 s5, 0x3f2aaaab, v29
	v_add_f32_e32 v29, -1.0, v53
	v_sub_f32_e32 v55, v29, v53
	v_sub_f32_e32 v29, v52, v29
	s_delay_alu instid0(VALU_DEP_4) | instskip(SKIP_1) | instid1(VALU_DEP_1)
	v_subrev_co_ci_u32_e64 v28, s5, 0, v28, s5
	s_mov_b32 s5, 0x3e9b6dac
	v_sub_nc_u32_e32 v54, 0, v28
	v_cvt_f32_i32_e32 v28, v28
	s_delay_alu instid0(VALU_DEP_2) | instskip(NEXT) | instid1(VALU_DEP_1)
	v_ldexp_f32 v53, v53, v54
	v_dual_add_f32 v64, 1.0, v53 :: v_dual_add_f32 v55, 1.0, v55
	s_delay_alu instid0(VALU_DEP_1) | instskip(NEXT) | instid1(VALU_DEP_2)
	v_add_f32_e32 v29, v29, v55
	v_add_f32_e32 v55, -1.0, v64
	s_delay_alu instid0(VALU_DEP_2) | instskip(NEXT) | instid1(VALU_DEP_2)
	v_ldexp_f32 v29, v29, v54
	v_dual_add_f32 v54, -1.0, v53 :: v_dual_sub_f32 v55, v53, v55
	s_delay_alu instid0(VALU_DEP_1) | instskip(NEXT) | instid1(VALU_DEP_2)
	v_add_f32_e32 v65, 1.0, v54
	v_add_f32_e32 v55, v29, v55
	s_delay_alu instid0(VALU_DEP_2) | instskip(NEXT) | instid1(VALU_DEP_2)
	v_sub_f32_e32 v53, v53, v65
	v_add_f32_e32 v65, v64, v55
	s_delay_alu instid0(VALU_DEP_2) | instskip(NEXT) | instid1(VALU_DEP_2)
	v_add_f32_e32 v29, v29, v53
	v_rcp_f32_e32 v53, v65
	v_sub_f32_e32 v64, v64, v65
	s_delay_alu instid0(VALU_DEP_1) | instskip(NEXT) | instid1(VALU_DEP_1)
	v_dual_add_f32 v66, v54, v29 :: v_dual_add_f32 v55, v55, v64
	v_sub_f32_e32 v54, v54, v66
	s_waitcnt_depctr 0xfff
	v_mul_f32_e32 v67, v66, v53
	v_add_f32_e32 v29, v29, v54
	s_delay_alu instid0(VALU_DEP_2) | instskip(NEXT) | instid1(VALU_DEP_1)
	v_mul_f32_e32 v68, v65, v67
	v_fma_f32 v64, v67, v65, -v68
	s_delay_alu instid0(VALU_DEP_1) | instskip(NEXT) | instid1(VALU_DEP_1)
	v_fmac_f32_e32 v64, v67, v55
	v_add_f32_e32 v69, v68, v64
	s_delay_alu instid0(VALU_DEP_1) | instskip(SKIP_1) | instid1(VALU_DEP_2)
	v_sub_f32_e32 v70, v66, v69
	v_sub_f32_e32 v54, v69, v68
	;; [unrolled: 1-line block ×3, first 2 shown]
	s_delay_alu instid0(VALU_DEP_2) | instskip(NEXT) | instid1(VALU_DEP_2)
	v_sub_f32_e32 v54, v54, v64
	v_sub_f32_e32 v66, v66, v69
	s_delay_alu instid0(VALU_DEP_1) | instskip(NEXT) | instid1(VALU_DEP_1)
	v_add_f32_e32 v29, v29, v66
	v_add_f32_e32 v29, v54, v29
	s_delay_alu instid0(VALU_DEP_1) | instskip(NEXT) | instid1(VALU_DEP_1)
	v_add_f32_e32 v54, v70, v29
	v_mul_f32_e32 v64, v53, v54
	s_delay_alu instid0(VALU_DEP_1) | instskip(NEXT) | instid1(VALU_DEP_1)
	v_dual_sub_f32 v69, v70, v54 :: v_dual_mul_f32 v66, v65, v64
	v_add_f32_e32 v29, v29, v69
	s_delay_alu instid0(VALU_DEP_2) | instskip(NEXT) | instid1(VALU_DEP_1)
	v_fma_f32 v65, v64, v65, -v66
	v_fmac_f32_e32 v65, v64, v55
	s_delay_alu instid0(VALU_DEP_1) | instskip(NEXT) | instid1(VALU_DEP_1)
	v_add_f32_e32 v55, v66, v65
	v_sub_f32_e32 v68, v54, v55
	v_sub_f32_e32 v66, v55, v66
	s_delay_alu instid0(VALU_DEP_2) | instskip(NEXT) | instid1(VALU_DEP_1)
	v_sub_f32_e32 v54, v54, v68
	v_sub_f32_e32 v54, v54, v55
	s_delay_alu instid0(VALU_DEP_3) | instskip(NEXT) | instid1(VALU_DEP_2)
	v_sub_f32_e32 v55, v66, v65
	v_dual_add_f32 v29, v29, v54 :: v_dual_add_f32 v54, v67, v64
	s_delay_alu instid0(VALU_DEP_1) | instskip(NEXT) | instid1(VALU_DEP_2)
	v_add_f32_e32 v29, v55, v29
	v_sub_f32_e32 v55, v54, v67
	s_delay_alu instid0(VALU_DEP_2) | instskip(NEXT) | instid1(VALU_DEP_2)
	v_add_f32_e32 v29, v68, v29
	v_sub_f32_e32 v55, v64, v55
	s_delay_alu instid0(VALU_DEP_2) | instskip(NEXT) | instid1(VALU_DEP_1)
	v_mul_f32_e32 v29, v53, v29
	v_add_f32_e32 v29, v55, v29
	s_delay_alu instid0(VALU_DEP_1) | instskip(NEXT) | instid1(VALU_DEP_1)
	v_add_f32_e32 v53, v54, v29
	v_mul_f32_e32 v55, v53, v53
	s_delay_alu instid0(VALU_DEP_1) | instskip(SKIP_2) | instid1(VALU_DEP_3)
	v_fmaak_f32 v64, s5, v55, 0x3ecc95a3
	v_mul_f32_e32 v65, v53, v55
	v_cmp_eq_f32_e64 s5, 0x7f800000, v52
	v_fmaak_f32 v55, v55, v64, 0x3f2aaada
	v_ldexp_f32 v64, v53, 1
	v_sub_f32_e32 v53, v53, v54
	s_delay_alu instid0(VALU_DEP_4) | instskip(NEXT) | instid1(VALU_DEP_3)
	s_or_b32 s5, s5, s7
	v_mul_f32_e32 v55, v65, v55
	v_mul_f32_e32 v65, 0x3f317218, v28
	s_delay_alu instid0(VALU_DEP_2) | instskip(NEXT) | instid1(VALU_DEP_1)
	v_dual_sub_f32 v29, v29, v53 :: v_dual_add_f32 v54, v64, v55
	v_ldexp_f32 v29, v29, 1
	s_delay_alu instid0(VALU_DEP_2) | instskip(NEXT) | instid1(VALU_DEP_4)
	v_sub_f32_e32 v53, v54, v64
	v_fma_f32 v64, 0x3f317218, v28, -v65
	s_delay_alu instid0(VALU_DEP_1) | instskip(NEXT) | instid1(VALU_DEP_1)
	v_dual_sub_f32 v53, v55, v53 :: v_dual_fmamk_f32 v28, v28, 0xb102e308, v64
	v_add_f32_e32 v29, v29, v53
	s_delay_alu instid0(VALU_DEP_2) | instskip(NEXT) | instid1(VALU_DEP_2)
	v_add_f32_e32 v53, v65, v28
	v_add_f32_e32 v55, v54, v29
	s_delay_alu instid0(VALU_DEP_2) | instskip(NEXT) | instid1(VALU_DEP_2)
	v_sub_f32_e32 v65, v53, v65
	v_add_f32_e32 v64, v53, v55
	v_sub_f32_e32 v54, v55, v54
	s_delay_alu instid0(VALU_DEP_3) | instskip(NEXT) | instid1(VALU_DEP_2)
	v_sub_f32_e32 v28, v28, v65
	v_dual_sub_f32 v66, v64, v53 :: v_dual_sub_f32 v29, v29, v54
	s_delay_alu instid0(VALU_DEP_1) | instskip(NEXT) | instid1(VALU_DEP_2)
	v_sub_f32_e32 v67, v64, v66
	v_dual_sub_f32 v54, v55, v66 :: v_dual_add_f32 v55, v28, v29
	s_delay_alu instid0(VALU_DEP_2) | instskip(NEXT) | instid1(VALU_DEP_1)
	v_sub_f32_e32 v53, v53, v67
	v_dual_add_f32 v53, v54, v53 :: v_dual_sub_f32 v54, v55, v28
	s_delay_alu instid0(VALU_DEP_1) | instskip(NEXT) | instid1(VALU_DEP_2)
	v_add_f32_e32 v53, v55, v53
	v_sub_f32_e32 v55, v55, v54
	v_sub_f32_e32 v29, v29, v54
	s_delay_alu instid0(VALU_DEP_3) | instskip(NEXT) | instid1(VALU_DEP_3)
	v_add_f32_e32 v65, v64, v53
	v_sub_f32_e32 v28, v28, v55
	s_delay_alu instid0(VALU_DEP_2) | instskip(NEXT) | instid1(VALU_DEP_2)
	v_sub_f32_e32 v54, v65, v64
	v_add_f32_e32 v28, v29, v28
	s_delay_alu instid0(VALU_DEP_2) | instskip(NEXT) | instid1(VALU_DEP_1)
	v_sub_f32_e32 v29, v53, v54
	v_add_f32_e32 v28, v28, v29
	s_delay_alu instid0(VALU_DEP_1) | instskip(NEXT) | instid1(VALU_DEP_1)
	v_add_f32_e32 v28, v65, v28
	v_cndmask_b32_e64 v28, v28, v52, s5
	s_delay_alu instid0(VALU_DEP_1) | instskip(NEXT) | instid1(VALU_DEP_1)
	v_add_f32_e32 v24, v24, v28
	v_cvt_f16_f32_e32 v29, v24
	s_delay_alu instid0(VALU_DEP_1)
	v_mov_b32_e32 v28, v29
	v_cvt_f32_f16_e32 v54, v29
.LBB410_252:
	s_or_b32 exec_lo, exec_lo, s6
	v_cvt_f32_f16_e32 v24, v25
	s_delay_alu instid0(VALU_DEP_2) | instskip(SKIP_1) | instid1(VALU_DEP_2)
	v_max_f32_e32 v52, v54, v54
	v_cmp_u_f16_e64 s5, v29, v29
	v_min_f32_e32 v53, v52, v24
	v_max_f32_e32 v52, v52, v24
	s_delay_alu instid0(VALU_DEP_2) | instskip(NEXT) | instid1(VALU_DEP_2)
	v_cndmask_b32_e64 v53, v53, v54, s5
	v_cndmask_b32_e64 v55, v52, v54, s5
	v_cmp_u_f16_e64 s5, v25, v25
	s_delay_alu instid0(VALU_DEP_1) | instskip(NEXT) | instid1(VALU_DEP_3)
	v_cndmask_b32_e64 v52, v53, v24, s5
	v_cndmask_b32_e64 v25, v55, v24, s5
	s_delay_alu instid0(VALU_DEP_2) | instskip(NEXT) | instid1(VALU_DEP_2)
	v_cmp_class_f32_e64 s7, v52, 0x1f8
	v_cmp_neq_f32_e64 s6, v52, v25
	s_delay_alu instid0(VALU_DEP_1) | instskip(NEXT) | instid1(SALU_CYCLE_1)
	s_or_b32 s6, s6, s7
	s_and_saveexec_b32 s7, s6
	s_cbranch_execz .LBB410_254
; %bb.253:
	v_sub_f32_e32 v28, v52, v25
	s_delay_alu instid0(VALU_DEP_1) | instskip(NEXT) | instid1(VALU_DEP_1)
	v_mul_f32_e32 v29, 0x3fb8aa3b, v28
	v_fma_f32 v52, 0x3fb8aa3b, v28, -v29
	v_rndne_f32_e32 v53, v29
	s_delay_alu instid0(VALU_DEP_1) | instskip(NEXT) | instid1(VALU_DEP_1)
	v_dual_fmamk_f32 v52, v28, 0x32a5705f, v52 :: v_dual_sub_f32 v29, v29, v53
	v_add_f32_e32 v29, v29, v52
	v_cvt_i32_f32_e32 v52, v53
	v_cmp_ngt_f32_e64 s6, 0xc2ce8ed0, v28
	s_delay_alu instid0(VALU_DEP_3) | instskip(SKIP_2) | instid1(VALU_DEP_1)
	v_exp_f32_e32 v29, v29
	s_waitcnt_depctr 0xfff
	v_ldexp_f32 v29, v29, v52
	v_cndmask_b32_e64 v29, 0, v29, s6
	v_cmp_nlt_f32_e64 s6, 0x42b17218, v28
	s_delay_alu instid0(VALU_DEP_1) | instskip(NEXT) | instid1(VALU_DEP_1)
	v_cndmask_b32_e64 v52, 0x7f800000, v29, s6
	v_add_f32_e32 v53, 1.0, v52
	v_cmp_gt_f32_e64 s8, 0x33800000, |v52|
	s_delay_alu instid0(VALU_DEP_2) | instskip(NEXT) | instid1(VALU_DEP_1)
	v_cvt_f64_f32_e32 v[28:29], v53
	v_frexp_exp_i32_f64_e32 v28, v[28:29]
	v_frexp_mant_f32_e32 v29, v53
	s_delay_alu instid0(VALU_DEP_1) | instskip(SKIP_1) | instid1(VALU_DEP_1)
	v_cmp_gt_f32_e64 s6, 0x3f2aaaab, v29
	v_add_f32_e32 v29, -1.0, v53
	v_sub_f32_e32 v55, v29, v53
	v_sub_f32_e32 v29, v52, v29
	s_delay_alu instid0(VALU_DEP_4) | instskip(SKIP_1) | instid1(VALU_DEP_1)
	v_subrev_co_ci_u32_e64 v28, s6, 0, v28, s6
	s_mov_b32 s6, 0x3e9b6dac
	v_sub_nc_u32_e32 v54, 0, v28
	v_cvt_f32_i32_e32 v28, v28
	s_delay_alu instid0(VALU_DEP_2) | instskip(NEXT) | instid1(VALU_DEP_1)
	v_ldexp_f32 v53, v53, v54
	v_dual_add_f32 v55, 1.0, v55 :: v_dual_add_f32 v64, 1.0, v53
	s_delay_alu instid0(VALU_DEP_1) | instskip(NEXT) | instid1(VALU_DEP_2)
	v_add_f32_e32 v29, v29, v55
	v_add_f32_e32 v55, -1.0, v64
	s_delay_alu instid0(VALU_DEP_2) | instskip(NEXT) | instid1(VALU_DEP_2)
	v_ldexp_f32 v29, v29, v54
	v_dual_add_f32 v54, -1.0, v53 :: v_dual_sub_f32 v55, v53, v55
	s_delay_alu instid0(VALU_DEP_1) | instskip(NEXT) | instid1(VALU_DEP_2)
	v_add_f32_e32 v65, 1.0, v54
	v_add_f32_e32 v55, v29, v55
	s_delay_alu instid0(VALU_DEP_2) | instskip(NEXT) | instid1(VALU_DEP_2)
	v_sub_f32_e32 v53, v53, v65
	v_add_f32_e32 v65, v64, v55
	s_delay_alu instid0(VALU_DEP_2) | instskip(NEXT) | instid1(VALU_DEP_2)
	v_add_f32_e32 v29, v29, v53
	v_rcp_f32_e32 v53, v65
	v_sub_f32_e32 v64, v64, v65
	s_delay_alu instid0(VALU_DEP_1) | instskip(NEXT) | instid1(VALU_DEP_1)
	v_dual_add_f32 v66, v54, v29 :: v_dual_add_f32 v55, v55, v64
	v_sub_f32_e32 v54, v54, v66
	s_waitcnt_depctr 0xfff
	v_mul_f32_e32 v67, v66, v53
	v_add_f32_e32 v29, v29, v54
	s_delay_alu instid0(VALU_DEP_2) | instskip(NEXT) | instid1(VALU_DEP_1)
	v_mul_f32_e32 v68, v65, v67
	v_fma_f32 v64, v67, v65, -v68
	s_delay_alu instid0(VALU_DEP_1) | instskip(NEXT) | instid1(VALU_DEP_1)
	v_fmac_f32_e32 v64, v67, v55
	v_add_f32_e32 v69, v68, v64
	s_delay_alu instid0(VALU_DEP_1) | instskip(SKIP_1) | instid1(VALU_DEP_2)
	v_sub_f32_e32 v70, v66, v69
	v_sub_f32_e32 v54, v69, v68
	;; [unrolled: 1-line block ×3, first 2 shown]
	s_delay_alu instid0(VALU_DEP_2) | instskip(NEXT) | instid1(VALU_DEP_2)
	v_sub_f32_e32 v54, v54, v64
	v_sub_f32_e32 v66, v66, v69
	s_delay_alu instid0(VALU_DEP_1) | instskip(NEXT) | instid1(VALU_DEP_1)
	v_add_f32_e32 v29, v29, v66
	v_add_f32_e32 v29, v54, v29
	s_delay_alu instid0(VALU_DEP_1) | instskip(NEXT) | instid1(VALU_DEP_1)
	v_add_f32_e32 v54, v70, v29
	v_mul_f32_e32 v64, v53, v54
	s_delay_alu instid0(VALU_DEP_1) | instskip(NEXT) | instid1(VALU_DEP_1)
	v_dual_sub_f32 v69, v70, v54 :: v_dual_mul_f32 v66, v65, v64
	v_add_f32_e32 v29, v29, v69
	s_delay_alu instid0(VALU_DEP_2) | instskip(NEXT) | instid1(VALU_DEP_1)
	v_fma_f32 v65, v64, v65, -v66
	v_fmac_f32_e32 v65, v64, v55
	s_delay_alu instid0(VALU_DEP_1) | instskip(NEXT) | instid1(VALU_DEP_1)
	v_add_f32_e32 v55, v66, v65
	v_sub_f32_e32 v68, v54, v55
	v_sub_f32_e32 v66, v55, v66
	s_delay_alu instid0(VALU_DEP_2) | instskip(NEXT) | instid1(VALU_DEP_1)
	v_sub_f32_e32 v54, v54, v68
	v_sub_f32_e32 v54, v54, v55
	s_delay_alu instid0(VALU_DEP_1) | instskip(NEXT) | instid1(VALU_DEP_4)
	v_dual_add_f32 v29, v29, v54 :: v_dual_add_f32 v54, v67, v64
	v_sub_f32_e32 v55, v66, v65
	s_delay_alu instid0(VALU_DEP_1) | instskip(NEXT) | instid1(VALU_DEP_3)
	v_add_f32_e32 v29, v55, v29
	v_sub_f32_e32 v55, v54, v67
	s_delay_alu instid0(VALU_DEP_2) | instskip(NEXT) | instid1(VALU_DEP_2)
	v_add_f32_e32 v29, v68, v29
	v_sub_f32_e32 v55, v64, v55
	s_delay_alu instid0(VALU_DEP_2) | instskip(NEXT) | instid1(VALU_DEP_1)
	v_mul_f32_e32 v29, v53, v29
	v_add_f32_e32 v29, v55, v29
	s_delay_alu instid0(VALU_DEP_1) | instskip(NEXT) | instid1(VALU_DEP_1)
	v_add_f32_e32 v53, v54, v29
	v_mul_f32_e32 v55, v53, v53
	s_delay_alu instid0(VALU_DEP_1) | instskip(SKIP_2) | instid1(VALU_DEP_3)
	v_fmaak_f32 v64, s6, v55, 0x3ecc95a3
	v_mul_f32_e32 v65, v53, v55
	v_cmp_eq_f32_e64 s6, 0x7f800000, v52
	v_fmaak_f32 v55, v55, v64, 0x3f2aaada
	v_ldexp_f32 v64, v53, 1
	v_sub_f32_e32 v53, v53, v54
	s_delay_alu instid0(VALU_DEP_4) | instskip(NEXT) | instid1(VALU_DEP_3)
	s_or_b32 s6, s6, s8
	v_mul_f32_e32 v55, v65, v55
	v_mul_f32_e32 v65, 0x3f317218, v28
	s_delay_alu instid0(VALU_DEP_2) | instskip(NEXT) | instid1(VALU_DEP_1)
	v_dual_sub_f32 v29, v29, v53 :: v_dual_add_f32 v54, v64, v55
	v_ldexp_f32 v29, v29, 1
	s_delay_alu instid0(VALU_DEP_2) | instskip(NEXT) | instid1(VALU_DEP_4)
	v_sub_f32_e32 v53, v54, v64
	v_fma_f32 v64, 0x3f317218, v28, -v65
	s_delay_alu instid0(VALU_DEP_1) | instskip(NEXT) | instid1(VALU_DEP_1)
	v_dual_sub_f32 v53, v55, v53 :: v_dual_fmamk_f32 v28, v28, 0xb102e308, v64
	v_add_f32_e32 v29, v29, v53
	s_delay_alu instid0(VALU_DEP_2) | instskip(NEXT) | instid1(VALU_DEP_2)
	v_add_f32_e32 v53, v65, v28
	v_add_f32_e32 v55, v54, v29
	s_delay_alu instid0(VALU_DEP_2) | instskip(NEXT) | instid1(VALU_DEP_2)
	v_sub_f32_e32 v65, v53, v65
	v_add_f32_e32 v64, v53, v55
	v_sub_f32_e32 v54, v55, v54
	s_delay_alu instid0(VALU_DEP_3) | instskip(NEXT) | instid1(VALU_DEP_2)
	v_sub_f32_e32 v28, v28, v65
	v_dual_sub_f32 v66, v64, v53 :: v_dual_sub_f32 v29, v29, v54
	s_delay_alu instid0(VALU_DEP_1) | instskip(NEXT) | instid1(VALU_DEP_2)
	v_sub_f32_e32 v67, v64, v66
	v_dual_sub_f32 v54, v55, v66 :: v_dual_add_f32 v55, v28, v29
	s_delay_alu instid0(VALU_DEP_2) | instskip(NEXT) | instid1(VALU_DEP_1)
	v_sub_f32_e32 v53, v53, v67
	v_dual_add_f32 v53, v54, v53 :: v_dual_sub_f32 v54, v55, v28
	s_delay_alu instid0(VALU_DEP_1) | instskip(NEXT) | instid1(VALU_DEP_2)
	v_add_f32_e32 v53, v55, v53
	v_sub_f32_e32 v55, v55, v54
	v_sub_f32_e32 v29, v29, v54
	s_delay_alu instid0(VALU_DEP_3) | instskip(NEXT) | instid1(VALU_DEP_3)
	v_add_f32_e32 v65, v64, v53
	v_sub_f32_e32 v28, v28, v55
	s_delay_alu instid0(VALU_DEP_2) | instskip(NEXT) | instid1(VALU_DEP_2)
	v_sub_f32_e32 v54, v65, v64
	v_add_f32_e32 v28, v29, v28
	s_delay_alu instid0(VALU_DEP_2) | instskip(NEXT) | instid1(VALU_DEP_1)
	v_sub_f32_e32 v29, v53, v54
	v_add_f32_e32 v28, v28, v29
	s_delay_alu instid0(VALU_DEP_1) | instskip(NEXT) | instid1(VALU_DEP_1)
	v_add_f32_e32 v28, v65, v28
	v_cndmask_b32_e64 v28, v28, v52, s6
	s_delay_alu instid0(VALU_DEP_1) | instskip(NEXT) | instid1(VALU_DEP_1)
	v_add_f32_e32 v25, v25, v28
	v_cvt_f16_f32_e32 v29, v25
	s_delay_alu instid0(VALU_DEP_1)
	v_mov_b32_e32 v28, v29
	v_cvt_f32_f16_e32 v54, v29
.LBB410_254:
	s_or_b32 exec_lo, exec_lo, s7
	v_cvt_f32_f16_e32 v25, v51
	s_delay_alu instid0(VALU_DEP_2) | instskip(SKIP_1) | instid1(VALU_DEP_2)
	v_max_f32_e32 v52, v54, v54
	v_cmp_u_f16_e64 s6, v29, v29
	v_min_f32_e32 v53, v52, v25
	v_max_f32_e32 v52, v52, v25
	s_delay_alu instid0(VALU_DEP_2) | instskip(NEXT) | instid1(VALU_DEP_2)
	v_cndmask_b32_e64 v53, v53, v54, s6
	v_cndmask_b32_e64 v55, v52, v54, s6
	v_cmp_u_f16_e64 s6, v51, v51
	s_delay_alu instid0(VALU_DEP_1) | instskip(NEXT) | instid1(VALU_DEP_3)
	v_cndmask_b32_e64 v52, v53, v25, s6
	v_cndmask_b32_e64 v51, v55, v25, s6
	s_delay_alu instid0(VALU_DEP_2) | instskip(NEXT) | instid1(VALU_DEP_2)
	v_cmp_class_f32_e64 s8, v52, 0x1f8
	v_cmp_neq_f32_e64 s7, v52, v51
	s_delay_alu instid0(VALU_DEP_1) | instskip(NEXT) | instid1(SALU_CYCLE_1)
	s_or_b32 s7, s7, s8
	s_and_saveexec_b32 s8, s7
	s_cbranch_execz .LBB410_256
; %bb.255:
	v_sub_f32_e32 v28, v52, v51
	s_delay_alu instid0(VALU_DEP_1) | instskip(NEXT) | instid1(VALU_DEP_1)
	v_mul_f32_e32 v29, 0x3fb8aa3b, v28
	v_fma_f32 v52, 0x3fb8aa3b, v28, -v29
	v_rndne_f32_e32 v53, v29
	s_delay_alu instid0(VALU_DEP_1) | instskip(SKIP_1) | instid1(VALU_DEP_2)
	v_dual_sub_f32 v29, v29, v53 :: v_dual_fmamk_f32 v52, v28, 0x32a5705f, v52
	v_cmp_ngt_f32_e64 s7, 0xc2ce8ed0, v28
	v_add_f32_e32 v29, v29, v52
	v_cvt_i32_f32_e32 v52, v53
	s_delay_alu instid0(VALU_DEP_2) | instskip(SKIP_2) | instid1(VALU_DEP_1)
	v_exp_f32_e32 v29, v29
	s_waitcnt_depctr 0xfff
	v_ldexp_f32 v29, v29, v52
	v_cndmask_b32_e64 v29, 0, v29, s7
	v_cmp_nlt_f32_e64 s7, 0x42b17218, v28
	s_delay_alu instid0(VALU_DEP_1) | instskip(NEXT) | instid1(VALU_DEP_1)
	v_cndmask_b32_e64 v52, 0x7f800000, v29, s7
	v_add_f32_e32 v53, 1.0, v52
	v_cmp_gt_f32_e64 s10, 0x33800000, |v52|
	s_delay_alu instid0(VALU_DEP_2) | instskip(NEXT) | instid1(VALU_DEP_1)
	v_cvt_f64_f32_e32 v[28:29], v53
	v_frexp_exp_i32_f64_e32 v28, v[28:29]
	v_frexp_mant_f32_e32 v29, v53
	s_delay_alu instid0(VALU_DEP_1) | instskip(SKIP_1) | instid1(VALU_DEP_1)
	v_cmp_gt_f32_e64 s7, 0x3f2aaaab, v29
	v_add_f32_e32 v29, -1.0, v53
	v_sub_f32_e32 v55, v29, v53
	v_sub_f32_e32 v29, v52, v29
	s_delay_alu instid0(VALU_DEP_4) | instskip(SKIP_1) | instid1(VALU_DEP_1)
	v_subrev_co_ci_u32_e64 v28, s7, 0, v28, s7
	s_mov_b32 s7, 0x3e9b6dac
	v_sub_nc_u32_e32 v54, 0, v28
	v_cvt_f32_i32_e32 v28, v28
	s_delay_alu instid0(VALU_DEP_2) | instskip(NEXT) | instid1(VALU_DEP_1)
	v_ldexp_f32 v53, v53, v54
	v_dual_add_f32 v64, 1.0, v53 :: v_dual_add_f32 v55, 1.0, v55
	s_delay_alu instid0(VALU_DEP_1) | instskip(NEXT) | instid1(VALU_DEP_2)
	v_add_f32_e32 v29, v29, v55
	v_add_f32_e32 v55, -1.0, v64
	s_delay_alu instid0(VALU_DEP_2) | instskip(NEXT) | instid1(VALU_DEP_2)
	v_ldexp_f32 v29, v29, v54
	v_dual_add_f32 v54, -1.0, v53 :: v_dual_sub_f32 v55, v53, v55
	s_delay_alu instid0(VALU_DEP_1) | instskip(NEXT) | instid1(VALU_DEP_2)
	v_add_f32_e32 v65, 1.0, v54
	v_add_f32_e32 v55, v29, v55
	s_delay_alu instid0(VALU_DEP_2) | instskip(NEXT) | instid1(VALU_DEP_2)
	v_sub_f32_e32 v53, v53, v65
	v_add_f32_e32 v65, v64, v55
	s_delay_alu instid0(VALU_DEP_2) | instskip(NEXT) | instid1(VALU_DEP_2)
	v_add_f32_e32 v29, v29, v53
	v_rcp_f32_e32 v53, v65
	v_sub_f32_e32 v64, v64, v65
	s_delay_alu instid0(VALU_DEP_1) | instskip(NEXT) | instid1(VALU_DEP_1)
	v_dual_add_f32 v66, v54, v29 :: v_dual_add_f32 v55, v55, v64
	v_sub_f32_e32 v54, v54, v66
	s_waitcnt_depctr 0xfff
	v_mul_f32_e32 v67, v66, v53
	v_add_f32_e32 v29, v29, v54
	s_delay_alu instid0(VALU_DEP_2) | instskip(NEXT) | instid1(VALU_DEP_1)
	v_mul_f32_e32 v68, v65, v67
	v_fma_f32 v64, v67, v65, -v68
	s_delay_alu instid0(VALU_DEP_1) | instskip(NEXT) | instid1(VALU_DEP_1)
	v_fmac_f32_e32 v64, v67, v55
	v_add_f32_e32 v69, v68, v64
	s_delay_alu instid0(VALU_DEP_1) | instskip(SKIP_1) | instid1(VALU_DEP_2)
	v_sub_f32_e32 v70, v66, v69
	v_sub_f32_e32 v54, v69, v68
	;; [unrolled: 1-line block ×3, first 2 shown]
	s_delay_alu instid0(VALU_DEP_2) | instskip(NEXT) | instid1(VALU_DEP_2)
	v_sub_f32_e32 v54, v54, v64
	v_sub_f32_e32 v66, v66, v69
	s_delay_alu instid0(VALU_DEP_1) | instskip(NEXT) | instid1(VALU_DEP_1)
	v_add_f32_e32 v29, v29, v66
	v_add_f32_e32 v29, v54, v29
	s_delay_alu instid0(VALU_DEP_1) | instskip(NEXT) | instid1(VALU_DEP_1)
	v_add_f32_e32 v54, v70, v29
	v_mul_f32_e32 v64, v53, v54
	s_delay_alu instid0(VALU_DEP_1) | instskip(NEXT) | instid1(VALU_DEP_1)
	v_dual_sub_f32 v69, v70, v54 :: v_dual_mul_f32 v66, v65, v64
	v_add_f32_e32 v29, v29, v69
	s_delay_alu instid0(VALU_DEP_2) | instskip(NEXT) | instid1(VALU_DEP_1)
	v_fma_f32 v65, v64, v65, -v66
	v_fmac_f32_e32 v65, v64, v55
	s_delay_alu instid0(VALU_DEP_1) | instskip(NEXT) | instid1(VALU_DEP_1)
	v_add_f32_e32 v55, v66, v65
	v_sub_f32_e32 v68, v54, v55
	v_sub_f32_e32 v66, v55, v66
	s_delay_alu instid0(VALU_DEP_2) | instskip(NEXT) | instid1(VALU_DEP_1)
	v_sub_f32_e32 v54, v54, v68
	v_sub_f32_e32 v54, v54, v55
	s_delay_alu instid0(VALU_DEP_3) | instskip(NEXT) | instid1(VALU_DEP_2)
	v_sub_f32_e32 v55, v66, v65
	v_dual_add_f32 v29, v29, v54 :: v_dual_add_f32 v54, v67, v64
	s_delay_alu instid0(VALU_DEP_1) | instskip(NEXT) | instid1(VALU_DEP_2)
	v_add_f32_e32 v29, v55, v29
	v_sub_f32_e32 v55, v54, v67
	s_delay_alu instid0(VALU_DEP_2) | instskip(NEXT) | instid1(VALU_DEP_2)
	v_add_f32_e32 v29, v68, v29
	v_sub_f32_e32 v55, v64, v55
	s_delay_alu instid0(VALU_DEP_2) | instskip(NEXT) | instid1(VALU_DEP_1)
	v_mul_f32_e32 v29, v53, v29
	v_add_f32_e32 v29, v55, v29
	s_delay_alu instid0(VALU_DEP_1) | instskip(NEXT) | instid1(VALU_DEP_1)
	v_add_f32_e32 v53, v54, v29
	v_mul_f32_e32 v55, v53, v53
	s_delay_alu instid0(VALU_DEP_1) | instskip(SKIP_2) | instid1(VALU_DEP_3)
	v_fmaak_f32 v64, s7, v55, 0x3ecc95a3
	v_mul_f32_e32 v65, v53, v55
	v_cmp_eq_f32_e64 s7, 0x7f800000, v52
	v_fmaak_f32 v55, v55, v64, 0x3f2aaada
	v_ldexp_f32 v64, v53, 1
	v_sub_f32_e32 v53, v53, v54
	s_delay_alu instid0(VALU_DEP_4) | instskip(NEXT) | instid1(VALU_DEP_3)
	s_or_b32 s7, s7, s10
	v_mul_f32_e32 v55, v65, v55
	v_mul_f32_e32 v65, 0x3f317218, v28
	s_delay_alu instid0(VALU_DEP_2) | instskip(NEXT) | instid1(VALU_DEP_1)
	v_dual_sub_f32 v29, v29, v53 :: v_dual_add_f32 v54, v64, v55
	v_ldexp_f32 v29, v29, 1
	s_delay_alu instid0(VALU_DEP_2) | instskip(NEXT) | instid1(VALU_DEP_4)
	v_sub_f32_e32 v53, v54, v64
	v_fma_f32 v64, 0x3f317218, v28, -v65
	s_delay_alu instid0(VALU_DEP_1) | instskip(NEXT) | instid1(VALU_DEP_1)
	v_dual_sub_f32 v53, v55, v53 :: v_dual_fmamk_f32 v28, v28, 0xb102e308, v64
	v_add_f32_e32 v29, v29, v53
	s_delay_alu instid0(VALU_DEP_2) | instskip(NEXT) | instid1(VALU_DEP_2)
	v_add_f32_e32 v53, v65, v28
	v_add_f32_e32 v55, v54, v29
	s_delay_alu instid0(VALU_DEP_2) | instskip(NEXT) | instid1(VALU_DEP_2)
	v_sub_f32_e32 v65, v53, v65
	v_add_f32_e32 v64, v53, v55
	v_sub_f32_e32 v54, v55, v54
	s_delay_alu instid0(VALU_DEP_3) | instskip(NEXT) | instid1(VALU_DEP_2)
	v_sub_f32_e32 v28, v28, v65
	v_dual_sub_f32 v66, v64, v53 :: v_dual_sub_f32 v29, v29, v54
	s_delay_alu instid0(VALU_DEP_1) | instskip(NEXT) | instid1(VALU_DEP_2)
	v_sub_f32_e32 v67, v64, v66
	v_dual_sub_f32 v54, v55, v66 :: v_dual_add_f32 v55, v28, v29
	s_delay_alu instid0(VALU_DEP_2) | instskip(NEXT) | instid1(VALU_DEP_1)
	v_sub_f32_e32 v53, v53, v67
	v_dual_add_f32 v53, v54, v53 :: v_dual_sub_f32 v54, v55, v28
	s_delay_alu instid0(VALU_DEP_1) | instskip(NEXT) | instid1(VALU_DEP_2)
	v_add_f32_e32 v53, v55, v53
	v_sub_f32_e32 v55, v55, v54
	v_sub_f32_e32 v29, v29, v54
	s_delay_alu instid0(VALU_DEP_3) | instskip(NEXT) | instid1(VALU_DEP_3)
	v_add_f32_e32 v65, v64, v53
	v_sub_f32_e32 v28, v28, v55
	s_delay_alu instid0(VALU_DEP_2) | instskip(NEXT) | instid1(VALU_DEP_2)
	v_sub_f32_e32 v54, v65, v64
	v_add_f32_e32 v28, v29, v28
	s_delay_alu instid0(VALU_DEP_2) | instskip(NEXT) | instid1(VALU_DEP_1)
	v_sub_f32_e32 v29, v53, v54
	v_add_f32_e32 v28, v28, v29
	s_delay_alu instid0(VALU_DEP_1) | instskip(NEXT) | instid1(VALU_DEP_1)
	v_add_f32_e32 v28, v65, v28
	v_cndmask_b32_e64 v28, v28, v52, s7
	s_delay_alu instid0(VALU_DEP_1) | instskip(NEXT) | instid1(VALU_DEP_1)
	v_add_f32_e32 v28, v51, v28
	v_cvt_f16_f32_e32 v29, v28
	s_delay_alu instid0(VALU_DEP_1)
	v_mov_b32_e32 v28, v29
	v_cvt_f32_f16_e32 v54, v29
.LBB410_256:
	s_or_b32 exec_lo, exec_lo, s8
	v_cvt_f32_f16_e32 v51, v22
	s_delay_alu instid0(VALU_DEP_2) | instskip(SKIP_1) | instid1(VALU_DEP_2)
	v_max_f32_e32 v52, v54, v54
	v_cmp_u_f16_e64 s7, v29, v29
	v_min_f32_e32 v53, v52, v51
	v_max_f32_e32 v52, v52, v51
	s_delay_alu instid0(VALU_DEP_2) | instskip(NEXT) | instid1(VALU_DEP_2)
	v_cndmask_b32_e64 v53, v53, v54, s7
	v_cndmask_b32_e64 v55, v52, v54, s7
	v_cmp_u_f16_e64 s7, v22, v22
	s_delay_alu instid0(VALU_DEP_1) | instskip(NEXT) | instid1(VALU_DEP_3)
	v_cndmask_b32_e64 v52, v53, v51, s7
	v_cndmask_b32_e64 v22, v55, v51, s7
	s_delay_alu instid0(VALU_DEP_2) | instskip(NEXT) | instid1(VALU_DEP_2)
	v_cmp_class_f32_e64 s10, v52, 0x1f8
	v_cmp_neq_f32_e64 s8, v52, v22
	s_delay_alu instid0(VALU_DEP_1) | instskip(NEXT) | instid1(SALU_CYCLE_1)
	s_or_b32 s8, s8, s10
	s_and_saveexec_b32 s10, s8
	s_cbranch_execz .LBB410_258
; %bb.257:
	v_sub_f32_e32 v28, v52, v22
	s_delay_alu instid0(VALU_DEP_1) | instskip(NEXT) | instid1(VALU_DEP_1)
	v_mul_f32_e32 v29, 0x3fb8aa3b, v28
	v_fma_f32 v52, 0x3fb8aa3b, v28, -v29
	v_rndne_f32_e32 v53, v29
	s_delay_alu instid0(VALU_DEP_1) | instskip(SKIP_1) | instid1(VALU_DEP_2)
	v_dual_sub_f32 v29, v29, v53 :: v_dual_fmamk_f32 v52, v28, 0x32a5705f, v52
	v_cmp_ngt_f32_e64 s8, 0xc2ce8ed0, v28
	v_add_f32_e32 v29, v29, v52
	v_cvt_i32_f32_e32 v52, v53
	s_delay_alu instid0(VALU_DEP_2) | instskip(SKIP_2) | instid1(VALU_DEP_1)
	v_exp_f32_e32 v29, v29
	s_waitcnt_depctr 0xfff
	v_ldexp_f32 v29, v29, v52
	v_cndmask_b32_e64 v29, 0, v29, s8
	v_cmp_nlt_f32_e64 s8, 0x42b17218, v28
	s_delay_alu instid0(VALU_DEP_1) | instskip(NEXT) | instid1(VALU_DEP_1)
	v_cndmask_b32_e64 v52, 0x7f800000, v29, s8
	v_add_f32_e32 v53, 1.0, v52
	v_cmp_gt_f32_e64 s11, 0x33800000, |v52|
	s_delay_alu instid0(VALU_DEP_2) | instskip(NEXT) | instid1(VALU_DEP_1)
	v_cvt_f64_f32_e32 v[28:29], v53
	v_frexp_exp_i32_f64_e32 v28, v[28:29]
	v_frexp_mant_f32_e32 v29, v53
	s_delay_alu instid0(VALU_DEP_1) | instskip(SKIP_1) | instid1(VALU_DEP_1)
	v_cmp_gt_f32_e64 s8, 0x3f2aaaab, v29
	v_add_f32_e32 v29, -1.0, v53
	v_sub_f32_e32 v55, v29, v53
	v_sub_f32_e32 v29, v52, v29
	s_delay_alu instid0(VALU_DEP_4) | instskip(SKIP_1) | instid1(VALU_DEP_1)
	v_subrev_co_ci_u32_e64 v28, s8, 0, v28, s8
	s_mov_b32 s8, 0x3e9b6dac
	v_sub_nc_u32_e32 v54, 0, v28
	v_cvt_f32_i32_e32 v28, v28
	s_delay_alu instid0(VALU_DEP_2) | instskip(NEXT) | instid1(VALU_DEP_1)
	v_ldexp_f32 v53, v53, v54
	v_dual_add_f32 v64, 1.0, v53 :: v_dual_add_f32 v55, 1.0, v55
	s_delay_alu instid0(VALU_DEP_1) | instskip(NEXT) | instid1(VALU_DEP_2)
	v_add_f32_e32 v29, v29, v55
	v_add_f32_e32 v55, -1.0, v64
	s_delay_alu instid0(VALU_DEP_2) | instskip(NEXT) | instid1(VALU_DEP_2)
	v_ldexp_f32 v29, v29, v54
	v_dual_add_f32 v54, -1.0, v53 :: v_dual_sub_f32 v55, v53, v55
	s_delay_alu instid0(VALU_DEP_1) | instskip(NEXT) | instid1(VALU_DEP_2)
	v_add_f32_e32 v65, 1.0, v54
	v_add_f32_e32 v55, v29, v55
	s_delay_alu instid0(VALU_DEP_2) | instskip(NEXT) | instid1(VALU_DEP_2)
	v_sub_f32_e32 v53, v53, v65
	v_add_f32_e32 v65, v64, v55
	s_delay_alu instid0(VALU_DEP_2) | instskip(NEXT) | instid1(VALU_DEP_2)
	v_add_f32_e32 v29, v29, v53
	v_rcp_f32_e32 v53, v65
	v_sub_f32_e32 v64, v64, v65
	s_delay_alu instid0(VALU_DEP_1) | instskip(NEXT) | instid1(VALU_DEP_1)
	v_dual_add_f32 v66, v54, v29 :: v_dual_add_f32 v55, v55, v64
	v_sub_f32_e32 v54, v54, v66
	s_waitcnt_depctr 0xfff
	v_mul_f32_e32 v67, v66, v53
	v_add_f32_e32 v29, v29, v54
	s_delay_alu instid0(VALU_DEP_2) | instskip(NEXT) | instid1(VALU_DEP_1)
	v_mul_f32_e32 v68, v65, v67
	v_fma_f32 v64, v67, v65, -v68
	s_delay_alu instid0(VALU_DEP_1) | instskip(NEXT) | instid1(VALU_DEP_1)
	v_fmac_f32_e32 v64, v67, v55
	v_add_f32_e32 v69, v68, v64
	s_delay_alu instid0(VALU_DEP_1) | instskip(SKIP_1) | instid1(VALU_DEP_2)
	v_sub_f32_e32 v70, v66, v69
	v_sub_f32_e32 v54, v69, v68
	;; [unrolled: 1-line block ×3, first 2 shown]
	s_delay_alu instid0(VALU_DEP_2) | instskip(NEXT) | instid1(VALU_DEP_2)
	v_sub_f32_e32 v54, v54, v64
	v_sub_f32_e32 v66, v66, v69
	s_delay_alu instid0(VALU_DEP_1) | instskip(NEXT) | instid1(VALU_DEP_1)
	v_add_f32_e32 v29, v29, v66
	v_add_f32_e32 v29, v54, v29
	s_delay_alu instid0(VALU_DEP_1) | instskip(NEXT) | instid1(VALU_DEP_1)
	v_add_f32_e32 v54, v70, v29
	v_mul_f32_e32 v64, v53, v54
	s_delay_alu instid0(VALU_DEP_1) | instskip(NEXT) | instid1(VALU_DEP_1)
	v_dual_sub_f32 v69, v70, v54 :: v_dual_mul_f32 v66, v65, v64
	v_add_f32_e32 v29, v29, v69
	s_delay_alu instid0(VALU_DEP_2) | instskip(NEXT) | instid1(VALU_DEP_1)
	v_fma_f32 v65, v64, v65, -v66
	v_fmac_f32_e32 v65, v64, v55
	s_delay_alu instid0(VALU_DEP_1) | instskip(NEXT) | instid1(VALU_DEP_1)
	v_add_f32_e32 v55, v66, v65
	v_sub_f32_e32 v68, v54, v55
	v_sub_f32_e32 v66, v55, v66
	s_delay_alu instid0(VALU_DEP_2) | instskip(NEXT) | instid1(VALU_DEP_1)
	v_sub_f32_e32 v54, v54, v68
	v_sub_f32_e32 v54, v54, v55
	s_delay_alu instid0(VALU_DEP_3) | instskip(NEXT) | instid1(VALU_DEP_2)
	v_sub_f32_e32 v55, v66, v65
	v_dual_add_f32 v29, v29, v54 :: v_dual_add_f32 v54, v67, v64
	s_delay_alu instid0(VALU_DEP_1) | instskip(NEXT) | instid1(VALU_DEP_2)
	v_add_f32_e32 v29, v55, v29
	v_sub_f32_e32 v55, v54, v67
	s_delay_alu instid0(VALU_DEP_2) | instskip(NEXT) | instid1(VALU_DEP_2)
	v_add_f32_e32 v29, v68, v29
	v_sub_f32_e32 v55, v64, v55
	s_delay_alu instid0(VALU_DEP_2) | instskip(NEXT) | instid1(VALU_DEP_1)
	v_mul_f32_e32 v29, v53, v29
	v_add_f32_e32 v29, v55, v29
	s_delay_alu instid0(VALU_DEP_1) | instskip(NEXT) | instid1(VALU_DEP_1)
	v_add_f32_e32 v53, v54, v29
	v_mul_f32_e32 v55, v53, v53
	s_delay_alu instid0(VALU_DEP_1) | instskip(SKIP_2) | instid1(VALU_DEP_3)
	v_fmaak_f32 v64, s8, v55, 0x3ecc95a3
	v_mul_f32_e32 v65, v53, v55
	v_cmp_eq_f32_e64 s8, 0x7f800000, v52
	v_fmaak_f32 v55, v55, v64, 0x3f2aaada
	v_ldexp_f32 v64, v53, 1
	v_sub_f32_e32 v53, v53, v54
	s_delay_alu instid0(VALU_DEP_4) | instskip(NEXT) | instid1(VALU_DEP_3)
	s_or_b32 s8, s8, s11
	v_mul_f32_e32 v55, v65, v55
	v_mul_f32_e32 v65, 0x3f317218, v28
	s_delay_alu instid0(VALU_DEP_2) | instskip(NEXT) | instid1(VALU_DEP_1)
	v_dual_sub_f32 v29, v29, v53 :: v_dual_add_f32 v54, v64, v55
	v_ldexp_f32 v29, v29, 1
	s_delay_alu instid0(VALU_DEP_2) | instskip(NEXT) | instid1(VALU_DEP_4)
	v_sub_f32_e32 v53, v54, v64
	v_fma_f32 v64, 0x3f317218, v28, -v65
	s_delay_alu instid0(VALU_DEP_1) | instskip(NEXT) | instid1(VALU_DEP_1)
	v_dual_sub_f32 v53, v55, v53 :: v_dual_fmamk_f32 v28, v28, 0xb102e308, v64
	v_add_f32_e32 v29, v29, v53
	s_delay_alu instid0(VALU_DEP_2) | instskip(NEXT) | instid1(VALU_DEP_2)
	v_add_f32_e32 v53, v65, v28
	v_add_f32_e32 v55, v54, v29
	s_delay_alu instid0(VALU_DEP_2) | instskip(NEXT) | instid1(VALU_DEP_2)
	v_sub_f32_e32 v65, v53, v65
	v_add_f32_e32 v64, v53, v55
	v_sub_f32_e32 v54, v55, v54
	s_delay_alu instid0(VALU_DEP_3) | instskip(NEXT) | instid1(VALU_DEP_2)
	v_sub_f32_e32 v28, v28, v65
	v_dual_sub_f32 v66, v64, v53 :: v_dual_sub_f32 v29, v29, v54
	s_delay_alu instid0(VALU_DEP_1) | instskip(NEXT) | instid1(VALU_DEP_2)
	v_sub_f32_e32 v67, v64, v66
	v_dual_sub_f32 v54, v55, v66 :: v_dual_add_f32 v55, v28, v29
	s_delay_alu instid0(VALU_DEP_2) | instskip(NEXT) | instid1(VALU_DEP_1)
	v_sub_f32_e32 v53, v53, v67
	v_dual_add_f32 v53, v54, v53 :: v_dual_sub_f32 v54, v55, v28
	s_delay_alu instid0(VALU_DEP_1) | instskip(NEXT) | instid1(VALU_DEP_2)
	v_add_f32_e32 v53, v55, v53
	v_sub_f32_e32 v55, v55, v54
	v_sub_f32_e32 v29, v29, v54
	s_delay_alu instid0(VALU_DEP_3) | instskip(NEXT) | instid1(VALU_DEP_3)
	v_add_f32_e32 v65, v64, v53
	v_sub_f32_e32 v28, v28, v55
	s_delay_alu instid0(VALU_DEP_2) | instskip(NEXT) | instid1(VALU_DEP_2)
	v_sub_f32_e32 v54, v65, v64
	v_add_f32_e32 v28, v29, v28
	s_delay_alu instid0(VALU_DEP_2) | instskip(NEXT) | instid1(VALU_DEP_1)
	v_sub_f32_e32 v29, v53, v54
	v_add_f32_e32 v28, v28, v29
	s_delay_alu instid0(VALU_DEP_1) | instskip(NEXT) | instid1(VALU_DEP_1)
	v_add_f32_e32 v28, v65, v28
	v_cndmask_b32_e64 v28, v28, v52, s8
	s_delay_alu instid0(VALU_DEP_1) | instskip(NEXT) | instid1(VALU_DEP_1)
	v_add_f32_e32 v22, v22, v28
	v_cvt_f16_f32_e32 v29, v22
	s_delay_alu instid0(VALU_DEP_1)
	v_mov_b32_e32 v28, v29
	v_cvt_f32_f16_e32 v54, v29
.LBB410_258:
	s_or_b32 exec_lo, exec_lo, s10
	v_cvt_f32_f16_e32 v22, v50
	s_delay_alu instid0(VALU_DEP_2) | instskip(SKIP_1) | instid1(VALU_DEP_2)
	v_max_f32_e32 v52, v54, v54
	v_cmp_u_f16_e64 s8, v29, v29
	v_min_f32_e32 v53, v52, v22
	v_max_f32_e32 v52, v52, v22
	s_delay_alu instid0(VALU_DEP_2) | instskip(NEXT) | instid1(VALU_DEP_2)
	v_cndmask_b32_e64 v53, v53, v54, s8
	v_cndmask_b32_e64 v55, v52, v54, s8
	v_cmp_u_f16_e64 s8, v50, v50
	s_delay_alu instid0(VALU_DEP_1) | instskip(NEXT) | instid1(VALU_DEP_3)
	v_cndmask_b32_e64 v52, v53, v22, s8
	v_cndmask_b32_e64 v50, v55, v22, s8
	s_delay_alu instid0(VALU_DEP_2) | instskip(NEXT) | instid1(VALU_DEP_2)
	v_cmp_class_f32_e64 s11, v52, 0x1f8
	v_cmp_neq_f32_e64 s10, v52, v50
	s_delay_alu instid0(VALU_DEP_1) | instskip(NEXT) | instid1(SALU_CYCLE_1)
	s_or_b32 s10, s10, s11
	s_and_saveexec_b32 s11, s10
	s_cbranch_execz .LBB410_260
; %bb.259:
	v_sub_f32_e32 v28, v52, v50
	s_delay_alu instid0(VALU_DEP_1) | instskip(NEXT) | instid1(VALU_DEP_1)
	v_mul_f32_e32 v29, 0x3fb8aa3b, v28
	v_fma_f32 v52, 0x3fb8aa3b, v28, -v29
	v_rndne_f32_e32 v53, v29
	s_delay_alu instid0(VALU_DEP_1) | instskip(SKIP_1) | instid1(VALU_DEP_2)
	v_dual_sub_f32 v29, v29, v53 :: v_dual_fmamk_f32 v52, v28, 0x32a5705f, v52
	v_cmp_ngt_f32_e64 s10, 0xc2ce8ed0, v28
	v_add_f32_e32 v29, v29, v52
	v_cvt_i32_f32_e32 v52, v53
	s_delay_alu instid0(VALU_DEP_2) | instskip(SKIP_2) | instid1(VALU_DEP_1)
	v_exp_f32_e32 v29, v29
	s_waitcnt_depctr 0xfff
	v_ldexp_f32 v29, v29, v52
	v_cndmask_b32_e64 v29, 0, v29, s10
	v_cmp_nlt_f32_e64 s10, 0x42b17218, v28
	s_delay_alu instid0(VALU_DEP_1) | instskip(NEXT) | instid1(VALU_DEP_1)
	v_cndmask_b32_e64 v52, 0x7f800000, v29, s10
	v_add_f32_e32 v53, 1.0, v52
	v_cmp_gt_f32_e64 s12, 0x33800000, |v52|
	s_delay_alu instid0(VALU_DEP_2) | instskip(NEXT) | instid1(VALU_DEP_1)
	v_cvt_f64_f32_e32 v[28:29], v53
	v_frexp_exp_i32_f64_e32 v28, v[28:29]
	v_frexp_mant_f32_e32 v29, v53
	s_delay_alu instid0(VALU_DEP_1) | instskip(SKIP_1) | instid1(VALU_DEP_1)
	v_cmp_gt_f32_e64 s10, 0x3f2aaaab, v29
	v_add_f32_e32 v29, -1.0, v53
	v_sub_f32_e32 v55, v29, v53
	v_sub_f32_e32 v29, v52, v29
	s_delay_alu instid0(VALU_DEP_4) | instskip(SKIP_1) | instid1(VALU_DEP_1)
	v_subrev_co_ci_u32_e64 v28, s10, 0, v28, s10
	s_mov_b32 s10, 0x3e9b6dac
	v_sub_nc_u32_e32 v54, 0, v28
	v_cvt_f32_i32_e32 v28, v28
	s_delay_alu instid0(VALU_DEP_2) | instskip(NEXT) | instid1(VALU_DEP_1)
	v_ldexp_f32 v53, v53, v54
	v_dual_add_f32 v64, 1.0, v53 :: v_dual_add_f32 v55, 1.0, v55
	s_delay_alu instid0(VALU_DEP_1) | instskip(NEXT) | instid1(VALU_DEP_2)
	v_add_f32_e32 v29, v29, v55
	v_add_f32_e32 v55, -1.0, v64
	s_delay_alu instid0(VALU_DEP_2) | instskip(NEXT) | instid1(VALU_DEP_2)
	v_ldexp_f32 v29, v29, v54
	v_dual_add_f32 v54, -1.0, v53 :: v_dual_sub_f32 v55, v53, v55
	s_delay_alu instid0(VALU_DEP_1) | instskip(NEXT) | instid1(VALU_DEP_2)
	v_add_f32_e32 v65, 1.0, v54
	v_add_f32_e32 v55, v29, v55
	s_delay_alu instid0(VALU_DEP_2) | instskip(NEXT) | instid1(VALU_DEP_2)
	v_sub_f32_e32 v53, v53, v65
	v_add_f32_e32 v65, v64, v55
	s_delay_alu instid0(VALU_DEP_2) | instskip(NEXT) | instid1(VALU_DEP_2)
	v_add_f32_e32 v29, v29, v53
	v_rcp_f32_e32 v53, v65
	v_sub_f32_e32 v64, v64, v65
	s_delay_alu instid0(VALU_DEP_1) | instskip(NEXT) | instid1(VALU_DEP_1)
	v_dual_add_f32 v66, v54, v29 :: v_dual_add_f32 v55, v55, v64
	v_sub_f32_e32 v54, v54, v66
	s_waitcnt_depctr 0xfff
	v_mul_f32_e32 v67, v66, v53
	v_add_f32_e32 v29, v29, v54
	s_delay_alu instid0(VALU_DEP_2) | instskip(NEXT) | instid1(VALU_DEP_1)
	v_mul_f32_e32 v68, v65, v67
	v_fma_f32 v64, v67, v65, -v68
	s_delay_alu instid0(VALU_DEP_1) | instskip(NEXT) | instid1(VALU_DEP_1)
	v_fmac_f32_e32 v64, v67, v55
	v_add_f32_e32 v69, v68, v64
	s_delay_alu instid0(VALU_DEP_1) | instskip(SKIP_1) | instid1(VALU_DEP_2)
	v_sub_f32_e32 v70, v66, v69
	v_sub_f32_e32 v54, v69, v68
	;; [unrolled: 1-line block ×3, first 2 shown]
	s_delay_alu instid0(VALU_DEP_2) | instskip(NEXT) | instid1(VALU_DEP_2)
	v_sub_f32_e32 v54, v54, v64
	v_sub_f32_e32 v66, v66, v69
	s_delay_alu instid0(VALU_DEP_1) | instskip(NEXT) | instid1(VALU_DEP_1)
	v_add_f32_e32 v29, v29, v66
	v_add_f32_e32 v29, v54, v29
	s_delay_alu instid0(VALU_DEP_1) | instskip(NEXT) | instid1(VALU_DEP_1)
	v_add_f32_e32 v54, v70, v29
	v_mul_f32_e32 v64, v53, v54
	s_delay_alu instid0(VALU_DEP_1) | instskip(NEXT) | instid1(VALU_DEP_1)
	v_dual_sub_f32 v69, v70, v54 :: v_dual_mul_f32 v66, v65, v64
	v_add_f32_e32 v29, v29, v69
	s_delay_alu instid0(VALU_DEP_2) | instskip(NEXT) | instid1(VALU_DEP_1)
	v_fma_f32 v65, v64, v65, -v66
	v_fmac_f32_e32 v65, v64, v55
	s_delay_alu instid0(VALU_DEP_1) | instskip(NEXT) | instid1(VALU_DEP_1)
	v_add_f32_e32 v55, v66, v65
	v_sub_f32_e32 v68, v54, v55
	v_sub_f32_e32 v66, v55, v66
	s_delay_alu instid0(VALU_DEP_2) | instskip(NEXT) | instid1(VALU_DEP_1)
	v_sub_f32_e32 v54, v54, v68
	v_sub_f32_e32 v54, v54, v55
	s_delay_alu instid0(VALU_DEP_3) | instskip(NEXT) | instid1(VALU_DEP_2)
	v_sub_f32_e32 v55, v66, v65
	v_dual_add_f32 v29, v29, v54 :: v_dual_add_f32 v54, v67, v64
	s_delay_alu instid0(VALU_DEP_1) | instskip(NEXT) | instid1(VALU_DEP_2)
	v_add_f32_e32 v29, v55, v29
	v_sub_f32_e32 v55, v54, v67
	s_delay_alu instid0(VALU_DEP_2) | instskip(NEXT) | instid1(VALU_DEP_2)
	v_add_f32_e32 v29, v68, v29
	v_sub_f32_e32 v55, v64, v55
	s_delay_alu instid0(VALU_DEP_2) | instskip(NEXT) | instid1(VALU_DEP_1)
	v_mul_f32_e32 v29, v53, v29
	v_add_f32_e32 v29, v55, v29
	s_delay_alu instid0(VALU_DEP_1) | instskip(NEXT) | instid1(VALU_DEP_1)
	v_add_f32_e32 v53, v54, v29
	v_mul_f32_e32 v55, v53, v53
	s_delay_alu instid0(VALU_DEP_1) | instskip(SKIP_2) | instid1(VALU_DEP_3)
	v_fmaak_f32 v64, s10, v55, 0x3ecc95a3
	v_mul_f32_e32 v65, v53, v55
	v_cmp_eq_f32_e64 s10, 0x7f800000, v52
	v_fmaak_f32 v55, v55, v64, 0x3f2aaada
	v_ldexp_f32 v64, v53, 1
	v_sub_f32_e32 v53, v53, v54
	s_delay_alu instid0(VALU_DEP_4) | instskip(NEXT) | instid1(VALU_DEP_3)
	s_or_b32 s10, s10, s12
	v_mul_f32_e32 v55, v65, v55
	v_mul_f32_e32 v65, 0x3f317218, v28
	s_delay_alu instid0(VALU_DEP_2) | instskip(NEXT) | instid1(VALU_DEP_1)
	v_dual_sub_f32 v29, v29, v53 :: v_dual_add_f32 v54, v64, v55
	v_ldexp_f32 v29, v29, 1
	s_delay_alu instid0(VALU_DEP_2) | instskip(NEXT) | instid1(VALU_DEP_4)
	v_sub_f32_e32 v53, v54, v64
	v_fma_f32 v64, 0x3f317218, v28, -v65
	s_delay_alu instid0(VALU_DEP_1) | instskip(NEXT) | instid1(VALU_DEP_1)
	v_dual_sub_f32 v53, v55, v53 :: v_dual_fmamk_f32 v28, v28, 0xb102e308, v64
	v_add_f32_e32 v29, v29, v53
	s_delay_alu instid0(VALU_DEP_2) | instskip(NEXT) | instid1(VALU_DEP_2)
	v_add_f32_e32 v53, v65, v28
	v_add_f32_e32 v55, v54, v29
	s_delay_alu instid0(VALU_DEP_2) | instskip(NEXT) | instid1(VALU_DEP_2)
	v_sub_f32_e32 v65, v53, v65
	v_add_f32_e32 v64, v53, v55
	v_sub_f32_e32 v54, v55, v54
	s_delay_alu instid0(VALU_DEP_3) | instskip(NEXT) | instid1(VALU_DEP_2)
	v_sub_f32_e32 v28, v28, v65
	v_dual_sub_f32 v66, v64, v53 :: v_dual_sub_f32 v29, v29, v54
	s_delay_alu instid0(VALU_DEP_1) | instskip(NEXT) | instid1(VALU_DEP_2)
	v_sub_f32_e32 v67, v64, v66
	v_dual_sub_f32 v54, v55, v66 :: v_dual_add_f32 v55, v28, v29
	s_delay_alu instid0(VALU_DEP_2) | instskip(NEXT) | instid1(VALU_DEP_1)
	v_sub_f32_e32 v53, v53, v67
	v_dual_add_f32 v53, v54, v53 :: v_dual_sub_f32 v54, v55, v28
	s_delay_alu instid0(VALU_DEP_1) | instskip(NEXT) | instid1(VALU_DEP_2)
	v_add_f32_e32 v53, v55, v53
	v_sub_f32_e32 v55, v55, v54
	v_sub_f32_e32 v29, v29, v54
	s_delay_alu instid0(VALU_DEP_3) | instskip(NEXT) | instid1(VALU_DEP_3)
	v_add_f32_e32 v65, v64, v53
	v_sub_f32_e32 v28, v28, v55
	s_delay_alu instid0(VALU_DEP_2) | instskip(NEXT) | instid1(VALU_DEP_2)
	v_sub_f32_e32 v54, v65, v64
	v_add_f32_e32 v28, v29, v28
	s_delay_alu instid0(VALU_DEP_2) | instskip(NEXT) | instid1(VALU_DEP_1)
	v_sub_f32_e32 v29, v53, v54
	v_add_f32_e32 v28, v28, v29
	s_delay_alu instid0(VALU_DEP_1) | instskip(NEXT) | instid1(VALU_DEP_1)
	v_add_f32_e32 v28, v65, v28
	v_cndmask_b32_e64 v28, v28, v52, s10
	s_delay_alu instid0(VALU_DEP_1) | instskip(NEXT) | instid1(VALU_DEP_1)
	v_add_f32_e32 v28, v50, v28
	v_cvt_f16_f32_e32 v29, v28
	s_delay_alu instid0(VALU_DEP_1)
	v_mov_b32_e32 v28, v29
	v_cvt_f32_f16_e32 v54, v29
.LBB410_260:
	s_or_b32 exec_lo, exec_lo, s11
	v_cvt_f32_f16_e32 v50, v23
	s_delay_alu instid0(VALU_DEP_2) | instskip(SKIP_1) | instid1(VALU_DEP_2)
	v_max_f32_e32 v52, v54, v54
	v_cmp_u_f16_e64 s10, v29, v29
	v_min_f32_e32 v53, v52, v50
	v_max_f32_e32 v52, v52, v50
	s_delay_alu instid0(VALU_DEP_2) | instskip(NEXT) | instid1(VALU_DEP_2)
	v_cndmask_b32_e64 v53, v53, v54, s10
	v_cndmask_b32_e64 v55, v52, v54, s10
	v_cmp_u_f16_e64 s10, v23, v23
	s_delay_alu instid0(VALU_DEP_1) | instskip(NEXT) | instid1(VALU_DEP_3)
	v_cndmask_b32_e64 v52, v53, v50, s10
	v_cndmask_b32_e64 v23, v55, v50, s10
	s_delay_alu instid0(VALU_DEP_2) | instskip(NEXT) | instid1(VALU_DEP_2)
	v_cmp_class_f32_e64 s12, v52, 0x1f8
	v_cmp_neq_f32_e64 s11, v52, v23
	s_delay_alu instid0(VALU_DEP_1) | instskip(NEXT) | instid1(SALU_CYCLE_1)
	s_or_b32 s11, s11, s12
	s_and_saveexec_b32 s12, s11
	s_cbranch_execz .LBB410_262
; %bb.261:
	v_sub_f32_e32 v28, v52, v23
	s_delay_alu instid0(VALU_DEP_1) | instskip(NEXT) | instid1(VALU_DEP_1)
	v_mul_f32_e32 v29, 0x3fb8aa3b, v28
	v_fma_f32 v52, 0x3fb8aa3b, v28, -v29
	v_rndne_f32_e32 v53, v29
	s_delay_alu instid0(VALU_DEP_1) | instskip(SKIP_1) | instid1(VALU_DEP_2)
	v_dual_sub_f32 v29, v29, v53 :: v_dual_fmamk_f32 v52, v28, 0x32a5705f, v52
	v_cmp_ngt_f32_e64 s11, 0xc2ce8ed0, v28
	v_add_f32_e32 v29, v29, v52
	v_cvt_i32_f32_e32 v52, v53
	s_delay_alu instid0(VALU_DEP_2) | instskip(SKIP_2) | instid1(VALU_DEP_1)
	v_exp_f32_e32 v29, v29
	s_waitcnt_depctr 0xfff
	v_ldexp_f32 v29, v29, v52
	v_cndmask_b32_e64 v29, 0, v29, s11
	v_cmp_nlt_f32_e64 s11, 0x42b17218, v28
	s_delay_alu instid0(VALU_DEP_1) | instskip(NEXT) | instid1(VALU_DEP_1)
	v_cndmask_b32_e64 v52, 0x7f800000, v29, s11
	v_add_f32_e32 v53, 1.0, v52
	v_cmp_gt_f32_e64 s13, 0x33800000, |v52|
	s_delay_alu instid0(VALU_DEP_2) | instskip(NEXT) | instid1(VALU_DEP_1)
	v_cvt_f64_f32_e32 v[28:29], v53
	v_frexp_exp_i32_f64_e32 v28, v[28:29]
	v_frexp_mant_f32_e32 v29, v53
	s_delay_alu instid0(VALU_DEP_1) | instskip(SKIP_1) | instid1(VALU_DEP_1)
	v_cmp_gt_f32_e64 s11, 0x3f2aaaab, v29
	v_add_f32_e32 v29, -1.0, v53
	v_sub_f32_e32 v55, v29, v53
	v_sub_f32_e32 v29, v52, v29
	s_delay_alu instid0(VALU_DEP_4) | instskip(SKIP_1) | instid1(VALU_DEP_1)
	v_subrev_co_ci_u32_e64 v28, s11, 0, v28, s11
	s_mov_b32 s11, 0x3e9b6dac
	v_sub_nc_u32_e32 v54, 0, v28
	v_cvt_f32_i32_e32 v28, v28
	s_delay_alu instid0(VALU_DEP_2) | instskip(NEXT) | instid1(VALU_DEP_1)
	v_ldexp_f32 v53, v53, v54
	v_dual_add_f32 v64, 1.0, v53 :: v_dual_add_f32 v55, 1.0, v55
	s_delay_alu instid0(VALU_DEP_1) | instskip(NEXT) | instid1(VALU_DEP_2)
	v_add_f32_e32 v29, v29, v55
	v_add_f32_e32 v55, -1.0, v64
	s_delay_alu instid0(VALU_DEP_2) | instskip(NEXT) | instid1(VALU_DEP_2)
	v_ldexp_f32 v29, v29, v54
	v_dual_add_f32 v54, -1.0, v53 :: v_dual_sub_f32 v55, v53, v55
	s_delay_alu instid0(VALU_DEP_1) | instskip(NEXT) | instid1(VALU_DEP_2)
	v_add_f32_e32 v65, 1.0, v54
	v_add_f32_e32 v55, v29, v55
	s_delay_alu instid0(VALU_DEP_2) | instskip(NEXT) | instid1(VALU_DEP_2)
	v_sub_f32_e32 v53, v53, v65
	v_add_f32_e32 v65, v64, v55
	s_delay_alu instid0(VALU_DEP_2) | instskip(NEXT) | instid1(VALU_DEP_2)
	v_add_f32_e32 v29, v29, v53
	v_rcp_f32_e32 v53, v65
	v_sub_f32_e32 v64, v64, v65
	s_delay_alu instid0(VALU_DEP_1) | instskip(NEXT) | instid1(VALU_DEP_1)
	v_dual_add_f32 v66, v54, v29 :: v_dual_add_f32 v55, v55, v64
	v_sub_f32_e32 v54, v54, v66
	s_waitcnt_depctr 0xfff
	v_mul_f32_e32 v67, v66, v53
	v_add_f32_e32 v29, v29, v54
	s_delay_alu instid0(VALU_DEP_2) | instskip(NEXT) | instid1(VALU_DEP_1)
	v_mul_f32_e32 v68, v65, v67
	v_fma_f32 v64, v67, v65, -v68
	s_delay_alu instid0(VALU_DEP_1) | instskip(NEXT) | instid1(VALU_DEP_1)
	v_fmac_f32_e32 v64, v67, v55
	v_add_f32_e32 v69, v68, v64
	s_delay_alu instid0(VALU_DEP_1) | instskip(SKIP_1) | instid1(VALU_DEP_2)
	v_sub_f32_e32 v70, v66, v69
	v_sub_f32_e32 v54, v69, v68
	v_sub_f32_e32 v66, v66, v70
	s_delay_alu instid0(VALU_DEP_2) | instskip(NEXT) | instid1(VALU_DEP_2)
	v_sub_f32_e32 v54, v54, v64
	v_sub_f32_e32 v66, v66, v69
	s_delay_alu instid0(VALU_DEP_1) | instskip(NEXT) | instid1(VALU_DEP_1)
	v_add_f32_e32 v29, v29, v66
	v_add_f32_e32 v29, v54, v29
	s_delay_alu instid0(VALU_DEP_1) | instskip(NEXT) | instid1(VALU_DEP_1)
	v_add_f32_e32 v54, v70, v29
	v_mul_f32_e32 v64, v53, v54
	s_delay_alu instid0(VALU_DEP_1) | instskip(NEXT) | instid1(VALU_DEP_1)
	v_dual_sub_f32 v69, v70, v54 :: v_dual_mul_f32 v66, v65, v64
	v_add_f32_e32 v29, v29, v69
	s_delay_alu instid0(VALU_DEP_2) | instskip(NEXT) | instid1(VALU_DEP_1)
	v_fma_f32 v65, v64, v65, -v66
	v_fmac_f32_e32 v65, v64, v55
	s_delay_alu instid0(VALU_DEP_1) | instskip(NEXT) | instid1(VALU_DEP_1)
	v_add_f32_e32 v55, v66, v65
	v_sub_f32_e32 v68, v54, v55
	v_sub_f32_e32 v66, v55, v66
	s_delay_alu instid0(VALU_DEP_2) | instskip(NEXT) | instid1(VALU_DEP_1)
	v_sub_f32_e32 v54, v54, v68
	v_sub_f32_e32 v54, v54, v55
	s_delay_alu instid0(VALU_DEP_3) | instskip(NEXT) | instid1(VALU_DEP_2)
	v_sub_f32_e32 v55, v66, v65
	v_dual_add_f32 v29, v29, v54 :: v_dual_add_f32 v54, v67, v64
	s_delay_alu instid0(VALU_DEP_1) | instskip(NEXT) | instid1(VALU_DEP_2)
	v_add_f32_e32 v29, v55, v29
	v_sub_f32_e32 v55, v54, v67
	s_delay_alu instid0(VALU_DEP_2) | instskip(NEXT) | instid1(VALU_DEP_2)
	v_add_f32_e32 v29, v68, v29
	v_sub_f32_e32 v55, v64, v55
	s_delay_alu instid0(VALU_DEP_2) | instskip(NEXT) | instid1(VALU_DEP_1)
	v_mul_f32_e32 v29, v53, v29
	v_add_f32_e32 v29, v55, v29
	s_delay_alu instid0(VALU_DEP_1) | instskip(NEXT) | instid1(VALU_DEP_1)
	v_add_f32_e32 v53, v54, v29
	v_mul_f32_e32 v55, v53, v53
	s_delay_alu instid0(VALU_DEP_1) | instskip(SKIP_2) | instid1(VALU_DEP_3)
	v_fmaak_f32 v64, s11, v55, 0x3ecc95a3
	v_mul_f32_e32 v65, v53, v55
	v_cmp_eq_f32_e64 s11, 0x7f800000, v52
	v_fmaak_f32 v55, v55, v64, 0x3f2aaada
	v_ldexp_f32 v64, v53, 1
	v_sub_f32_e32 v53, v53, v54
	s_delay_alu instid0(VALU_DEP_4) | instskip(NEXT) | instid1(VALU_DEP_3)
	s_or_b32 s11, s11, s13
	v_mul_f32_e32 v55, v65, v55
	v_mul_f32_e32 v65, 0x3f317218, v28
	s_delay_alu instid0(VALU_DEP_2) | instskip(NEXT) | instid1(VALU_DEP_1)
	v_dual_sub_f32 v29, v29, v53 :: v_dual_add_f32 v54, v64, v55
	v_ldexp_f32 v29, v29, 1
	s_delay_alu instid0(VALU_DEP_2) | instskip(NEXT) | instid1(VALU_DEP_4)
	v_sub_f32_e32 v53, v54, v64
	v_fma_f32 v64, 0x3f317218, v28, -v65
	s_delay_alu instid0(VALU_DEP_1) | instskip(NEXT) | instid1(VALU_DEP_1)
	v_dual_sub_f32 v53, v55, v53 :: v_dual_fmamk_f32 v28, v28, 0xb102e308, v64
	v_add_f32_e32 v29, v29, v53
	s_delay_alu instid0(VALU_DEP_2) | instskip(NEXT) | instid1(VALU_DEP_2)
	v_add_f32_e32 v53, v65, v28
	v_add_f32_e32 v55, v54, v29
	s_delay_alu instid0(VALU_DEP_2) | instskip(NEXT) | instid1(VALU_DEP_2)
	v_sub_f32_e32 v65, v53, v65
	v_add_f32_e32 v64, v53, v55
	v_sub_f32_e32 v54, v55, v54
	s_delay_alu instid0(VALU_DEP_3) | instskip(NEXT) | instid1(VALU_DEP_2)
	v_sub_f32_e32 v28, v28, v65
	v_dual_sub_f32 v66, v64, v53 :: v_dual_sub_f32 v29, v29, v54
	s_delay_alu instid0(VALU_DEP_1) | instskip(NEXT) | instid1(VALU_DEP_2)
	v_sub_f32_e32 v67, v64, v66
	v_dual_sub_f32 v54, v55, v66 :: v_dual_add_f32 v55, v28, v29
	s_delay_alu instid0(VALU_DEP_2) | instskip(NEXT) | instid1(VALU_DEP_1)
	v_sub_f32_e32 v53, v53, v67
	v_dual_add_f32 v53, v54, v53 :: v_dual_sub_f32 v54, v55, v28
	s_delay_alu instid0(VALU_DEP_1) | instskip(NEXT) | instid1(VALU_DEP_2)
	v_add_f32_e32 v53, v55, v53
	v_sub_f32_e32 v55, v55, v54
	v_sub_f32_e32 v29, v29, v54
	s_delay_alu instid0(VALU_DEP_3) | instskip(NEXT) | instid1(VALU_DEP_3)
	v_add_f32_e32 v65, v64, v53
	v_sub_f32_e32 v28, v28, v55
	s_delay_alu instid0(VALU_DEP_2) | instskip(NEXT) | instid1(VALU_DEP_2)
	v_sub_f32_e32 v54, v65, v64
	v_add_f32_e32 v28, v29, v28
	s_delay_alu instid0(VALU_DEP_2) | instskip(NEXT) | instid1(VALU_DEP_1)
	v_sub_f32_e32 v29, v53, v54
	v_add_f32_e32 v28, v28, v29
	s_delay_alu instid0(VALU_DEP_1) | instskip(NEXT) | instid1(VALU_DEP_1)
	v_add_f32_e32 v28, v65, v28
	v_cndmask_b32_e64 v28, v28, v52, s11
	s_delay_alu instid0(VALU_DEP_1) | instskip(NEXT) | instid1(VALU_DEP_1)
	v_add_f32_e32 v23, v23, v28
	v_cvt_f16_f32_e32 v29, v23
	s_delay_alu instid0(VALU_DEP_1)
	v_mov_b32_e32 v28, v29
	v_cvt_f32_f16_e32 v54, v29
.LBB410_262:
	s_or_b32 exec_lo, exec_lo, s12
	v_cvt_f32_f16_e32 v23, v49
	s_delay_alu instid0(VALU_DEP_2) | instskip(SKIP_1) | instid1(VALU_DEP_2)
	v_max_f32_e32 v52, v54, v54
	v_cmp_u_f16_e64 s11, v29, v29
	v_min_f32_e32 v53, v52, v23
	v_max_f32_e32 v52, v52, v23
	s_delay_alu instid0(VALU_DEP_2) | instskip(NEXT) | instid1(VALU_DEP_2)
	v_cndmask_b32_e64 v53, v53, v54, s11
	v_cndmask_b32_e64 v55, v52, v54, s11
	v_cmp_u_f16_e64 s11, v49, v49
	s_delay_alu instid0(VALU_DEP_1) | instskip(NEXT) | instid1(VALU_DEP_3)
	v_cndmask_b32_e64 v52, v53, v23, s11
	v_cndmask_b32_e64 v49, v55, v23, s11
	s_delay_alu instid0(VALU_DEP_2) | instskip(NEXT) | instid1(VALU_DEP_2)
	v_cmp_class_f32_e64 s13, v52, 0x1f8
	v_cmp_neq_f32_e64 s12, v52, v49
	s_delay_alu instid0(VALU_DEP_1) | instskip(NEXT) | instid1(SALU_CYCLE_1)
	s_or_b32 s12, s12, s13
	s_and_saveexec_b32 s13, s12
	s_cbranch_execz .LBB410_264
; %bb.263:
	v_sub_f32_e32 v28, v52, v49
	s_delay_alu instid0(VALU_DEP_1) | instskip(NEXT) | instid1(VALU_DEP_1)
	v_mul_f32_e32 v29, 0x3fb8aa3b, v28
	v_fma_f32 v52, 0x3fb8aa3b, v28, -v29
	v_rndne_f32_e32 v53, v29
	s_delay_alu instid0(VALU_DEP_1) | instskip(NEXT) | instid1(VALU_DEP_1)
	v_dual_fmamk_f32 v52, v28, 0x32a5705f, v52 :: v_dual_sub_f32 v29, v29, v53
	v_add_f32_e32 v29, v29, v52
	v_cvt_i32_f32_e32 v52, v53
	v_cmp_ngt_f32_e64 s12, 0xc2ce8ed0, v28
	s_delay_alu instid0(VALU_DEP_3) | instskip(SKIP_2) | instid1(VALU_DEP_1)
	v_exp_f32_e32 v29, v29
	s_waitcnt_depctr 0xfff
	v_ldexp_f32 v29, v29, v52
	v_cndmask_b32_e64 v29, 0, v29, s12
	v_cmp_nlt_f32_e64 s12, 0x42b17218, v28
	s_delay_alu instid0(VALU_DEP_1) | instskip(NEXT) | instid1(VALU_DEP_1)
	v_cndmask_b32_e64 v52, 0x7f800000, v29, s12
	v_add_f32_e32 v53, 1.0, v52
	v_cmp_gt_f32_e64 s14, 0x33800000, |v52|
	s_delay_alu instid0(VALU_DEP_2) | instskip(NEXT) | instid1(VALU_DEP_1)
	v_cvt_f64_f32_e32 v[28:29], v53
	v_frexp_exp_i32_f64_e32 v28, v[28:29]
	v_frexp_mant_f32_e32 v29, v53
	s_delay_alu instid0(VALU_DEP_1) | instskip(SKIP_1) | instid1(VALU_DEP_1)
	v_cmp_gt_f32_e64 s12, 0x3f2aaaab, v29
	v_add_f32_e32 v29, -1.0, v53
	v_sub_f32_e32 v55, v29, v53
	v_sub_f32_e32 v29, v52, v29
	s_delay_alu instid0(VALU_DEP_4) | instskip(SKIP_1) | instid1(VALU_DEP_1)
	v_subrev_co_ci_u32_e64 v28, s12, 0, v28, s12
	s_mov_b32 s12, 0x3e9b6dac
	v_sub_nc_u32_e32 v54, 0, v28
	v_cvt_f32_i32_e32 v28, v28
	s_delay_alu instid0(VALU_DEP_2) | instskip(NEXT) | instid1(VALU_DEP_1)
	v_ldexp_f32 v53, v53, v54
	v_dual_add_f32 v55, 1.0, v55 :: v_dual_add_f32 v64, 1.0, v53
	s_delay_alu instid0(VALU_DEP_1) | instskip(NEXT) | instid1(VALU_DEP_2)
	v_add_f32_e32 v29, v29, v55
	v_add_f32_e32 v55, -1.0, v64
	s_delay_alu instid0(VALU_DEP_2) | instskip(NEXT) | instid1(VALU_DEP_2)
	v_ldexp_f32 v29, v29, v54
	v_dual_add_f32 v54, -1.0, v53 :: v_dual_sub_f32 v55, v53, v55
	s_delay_alu instid0(VALU_DEP_1) | instskip(NEXT) | instid1(VALU_DEP_2)
	v_add_f32_e32 v65, 1.0, v54
	v_add_f32_e32 v55, v29, v55
	s_delay_alu instid0(VALU_DEP_2) | instskip(NEXT) | instid1(VALU_DEP_2)
	v_sub_f32_e32 v53, v53, v65
	v_add_f32_e32 v65, v64, v55
	s_delay_alu instid0(VALU_DEP_2) | instskip(NEXT) | instid1(VALU_DEP_2)
	v_add_f32_e32 v29, v29, v53
	v_rcp_f32_e32 v53, v65
	v_sub_f32_e32 v64, v64, v65
	s_delay_alu instid0(VALU_DEP_1) | instskip(NEXT) | instid1(VALU_DEP_1)
	v_dual_add_f32 v66, v54, v29 :: v_dual_add_f32 v55, v55, v64
	v_sub_f32_e32 v54, v54, v66
	s_waitcnt_depctr 0xfff
	v_mul_f32_e32 v67, v66, v53
	v_add_f32_e32 v29, v29, v54
	s_delay_alu instid0(VALU_DEP_2) | instskip(NEXT) | instid1(VALU_DEP_1)
	v_mul_f32_e32 v68, v65, v67
	v_fma_f32 v64, v67, v65, -v68
	s_delay_alu instid0(VALU_DEP_1) | instskip(NEXT) | instid1(VALU_DEP_1)
	v_fmac_f32_e32 v64, v67, v55
	v_add_f32_e32 v69, v68, v64
	s_delay_alu instid0(VALU_DEP_1) | instskip(SKIP_1) | instid1(VALU_DEP_2)
	v_sub_f32_e32 v70, v66, v69
	v_sub_f32_e32 v54, v69, v68
	;; [unrolled: 1-line block ×3, first 2 shown]
	s_delay_alu instid0(VALU_DEP_2) | instskip(NEXT) | instid1(VALU_DEP_2)
	v_sub_f32_e32 v54, v54, v64
	v_sub_f32_e32 v66, v66, v69
	s_delay_alu instid0(VALU_DEP_1) | instskip(NEXT) | instid1(VALU_DEP_1)
	v_add_f32_e32 v29, v29, v66
	v_add_f32_e32 v29, v54, v29
	s_delay_alu instid0(VALU_DEP_1) | instskip(NEXT) | instid1(VALU_DEP_1)
	v_add_f32_e32 v54, v70, v29
	v_mul_f32_e32 v64, v53, v54
	s_delay_alu instid0(VALU_DEP_1) | instskip(NEXT) | instid1(VALU_DEP_1)
	v_dual_sub_f32 v69, v70, v54 :: v_dual_mul_f32 v66, v65, v64
	v_add_f32_e32 v29, v29, v69
	s_delay_alu instid0(VALU_DEP_2) | instskip(NEXT) | instid1(VALU_DEP_1)
	v_fma_f32 v65, v64, v65, -v66
	v_fmac_f32_e32 v65, v64, v55
	s_delay_alu instid0(VALU_DEP_1) | instskip(NEXT) | instid1(VALU_DEP_1)
	v_add_f32_e32 v55, v66, v65
	v_sub_f32_e32 v68, v54, v55
	v_sub_f32_e32 v66, v55, v66
	s_delay_alu instid0(VALU_DEP_2) | instskip(NEXT) | instid1(VALU_DEP_1)
	v_sub_f32_e32 v54, v54, v68
	v_sub_f32_e32 v54, v54, v55
	s_delay_alu instid0(VALU_DEP_1) | instskip(NEXT) | instid1(VALU_DEP_4)
	v_dual_add_f32 v29, v29, v54 :: v_dual_add_f32 v54, v67, v64
	v_sub_f32_e32 v55, v66, v65
	s_delay_alu instid0(VALU_DEP_1) | instskip(NEXT) | instid1(VALU_DEP_3)
	v_add_f32_e32 v29, v55, v29
	v_sub_f32_e32 v55, v54, v67
	s_delay_alu instid0(VALU_DEP_2) | instskip(NEXT) | instid1(VALU_DEP_2)
	v_add_f32_e32 v29, v68, v29
	v_sub_f32_e32 v55, v64, v55
	s_delay_alu instid0(VALU_DEP_2) | instskip(NEXT) | instid1(VALU_DEP_1)
	v_mul_f32_e32 v29, v53, v29
	v_add_f32_e32 v29, v55, v29
	s_delay_alu instid0(VALU_DEP_1) | instskip(NEXT) | instid1(VALU_DEP_1)
	v_add_f32_e32 v53, v54, v29
	v_mul_f32_e32 v55, v53, v53
	s_delay_alu instid0(VALU_DEP_1) | instskip(SKIP_2) | instid1(VALU_DEP_3)
	v_fmaak_f32 v64, s12, v55, 0x3ecc95a3
	v_mul_f32_e32 v65, v53, v55
	v_cmp_eq_f32_e64 s12, 0x7f800000, v52
	v_fmaak_f32 v55, v55, v64, 0x3f2aaada
	v_ldexp_f32 v64, v53, 1
	v_sub_f32_e32 v53, v53, v54
	s_delay_alu instid0(VALU_DEP_4) | instskip(NEXT) | instid1(VALU_DEP_3)
	s_or_b32 s12, s12, s14
	v_mul_f32_e32 v55, v65, v55
	v_mul_f32_e32 v65, 0x3f317218, v28
	s_delay_alu instid0(VALU_DEP_2) | instskip(NEXT) | instid1(VALU_DEP_1)
	v_dual_sub_f32 v29, v29, v53 :: v_dual_add_f32 v54, v64, v55
	v_ldexp_f32 v29, v29, 1
	s_delay_alu instid0(VALU_DEP_2) | instskip(NEXT) | instid1(VALU_DEP_4)
	v_sub_f32_e32 v53, v54, v64
	v_fma_f32 v64, 0x3f317218, v28, -v65
	s_delay_alu instid0(VALU_DEP_1) | instskip(NEXT) | instid1(VALU_DEP_1)
	v_dual_sub_f32 v53, v55, v53 :: v_dual_fmamk_f32 v28, v28, 0xb102e308, v64
	v_add_f32_e32 v29, v29, v53
	s_delay_alu instid0(VALU_DEP_2) | instskip(NEXT) | instid1(VALU_DEP_2)
	v_add_f32_e32 v53, v65, v28
	v_add_f32_e32 v55, v54, v29
	s_delay_alu instid0(VALU_DEP_2) | instskip(NEXT) | instid1(VALU_DEP_2)
	v_sub_f32_e32 v65, v53, v65
	v_add_f32_e32 v64, v53, v55
	v_sub_f32_e32 v54, v55, v54
	s_delay_alu instid0(VALU_DEP_3) | instskip(NEXT) | instid1(VALU_DEP_2)
	v_sub_f32_e32 v28, v28, v65
	v_dual_sub_f32 v66, v64, v53 :: v_dual_sub_f32 v29, v29, v54
	s_delay_alu instid0(VALU_DEP_1) | instskip(NEXT) | instid1(VALU_DEP_2)
	v_sub_f32_e32 v67, v64, v66
	v_dual_sub_f32 v54, v55, v66 :: v_dual_add_f32 v55, v28, v29
	s_delay_alu instid0(VALU_DEP_2) | instskip(NEXT) | instid1(VALU_DEP_1)
	v_sub_f32_e32 v53, v53, v67
	v_dual_add_f32 v53, v54, v53 :: v_dual_sub_f32 v54, v55, v28
	s_delay_alu instid0(VALU_DEP_1) | instskip(NEXT) | instid1(VALU_DEP_2)
	v_add_f32_e32 v53, v55, v53
	v_sub_f32_e32 v55, v55, v54
	v_sub_f32_e32 v29, v29, v54
	s_delay_alu instid0(VALU_DEP_3) | instskip(NEXT) | instid1(VALU_DEP_3)
	v_add_f32_e32 v65, v64, v53
	v_sub_f32_e32 v28, v28, v55
	s_delay_alu instid0(VALU_DEP_2) | instskip(NEXT) | instid1(VALU_DEP_2)
	v_sub_f32_e32 v54, v65, v64
	v_add_f32_e32 v28, v29, v28
	s_delay_alu instid0(VALU_DEP_2) | instskip(NEXT) | instid1(VALU_DEP_1)
	v_sub_f32_e32 v29, v53, v54
	v_add_f32_e32 v28, v28, v29
	s_delay_alu instid0(VALU_DEP_1) | instskip(NEXT) | instid1(VALU_DEP_1)
	v_add_f32_e32 v28, v65, v28
	v_cndmask_b32_e64 v28, v28, v52, s12
	s_delay_alu instid0(VALU_DEP_1) | instskip(NEXT) | instid1(VALU_DEP_1)
	v_add_f32_e32 v28, v49, v28
	v_cvt_f16_f32_e32 v29, v28
	s_delay_alu instid0(VALU_DEP_1)
	v_cvt_f32_f16_e32 v54, v29
	v_mov_b32_e32 v28, v29
.LBB410_264:
	s_or_b32 exec_lo, exec_lo, s13
	v_cvt_f32_f16_e32 v49, v20
	s_delay_alu instid0(VALU_DEP_3) | instskip(SKIP_1) | instid1(VALU_DEP_2)
	v_max_f32_e32 v52, v54, v54
	v_cmp_u_f16_e64 s12, v29, v29
	v_min_f32_e32 v53, v52, v49
	v_max_f32_e32 v52, v52, v49
	s_delay_alu instid0(VALU_DEP_2) | instskip(NEXT) | instid1(VALU_DEP_2)
	v_cndmask_b32_e64 v53, v53, v54, s12
	v_cndmask_b32_e64 v55, v52, v54, s12
	v_cmp_u_f16_e64 s12, v20, v20
	s_delay_alu instid0(VALU_DEP_1) | instskip(NEXT) | instid1(VALU_DEP_3)
	v_cndmask_b32_e64 v52, v53, v49, s12
	v_cndmask_b32_e64 v20, v55, v49, s12
	s_delay_alu instid0(VALU_DEP_2) | instskip(NEXT) | instid1(VALU_DEP_2)
	v_cmp_class_f32_e64 s14, v52, 0x1f8
	v_cmp_neq_f32_e64 s13, v52, v20
	s_delay_alu instid0(VALU_DEP_1) | instskip(NEXT) | instid1(SALU_CYCLE_1)
	s_or_b32 s13, s13, s14
	s_and_saveexec_b32 s14, s13
	s_cbranch_execz .LBB410_266
; %bb.265:
	v_sub_f32_e32 v28, v52, v20
	s_delay_alu instid0(VALU_DEP_1) | instskip(NEXT) | instid1(VALU_DEP_1)
	v_mul_f32_e32 v29, 0x3fb8aa3b, v28
	v_fma_f32 v52, 0x3fb8aa3b, v28, -v29
	v_rndne_f32_e32 v53, v29
	s_delay_alu instid0(VALU_DEP_1) | instskip(SKIP_1) | instid1(VALU_DEP_2)
	v_dual_sub_f32 v29, v29, v53 :: v_dual_fmamk_f32 v52, v28, 0x32a5705f, v52
	v_cmp_ngt_f32_e64 s13, 0xc2ce8ed0, v28
	v_add_f32_e32 v29, v29, v52
	v_cvt_i32_f32_e32 v52, v53
	s_delay_alu instid0(VALU_DEP_2) | instskip(SKIP_2) | instid1(VALU_DEP_1)
	v_exp_f32_e32 v29, v29
	s_waitcnt_depctr 0xfff
	v_ldexp_f32 v29, v29, v52
	v_cndmask_b32_e64 v29, 0, v29, s13
	v_cmp_nlt_f32_e64 s13, 0x42b17218, v28
	s_delay_alu instid0(VALU_DEP_1) | instskip(NEXT) | instid1(VALU_DEP_1)
	v_cndmask_b32_e64 v52, 0x7f800000, v29, s13
	v_add_f32_e32 v53, 1.0, v52
	v_cmp_gt_f32_e64 s15, 0x33800000, |v52|
	s_delay_alu instid0(VALU_DEP_2) | instskip(NEXT) | instid1(VALU_DEP_1)
	v_cvt_f64_f32_e32 v[28:29], v53
	v_frexp_exp_i32_f64_e32 v28, v[28:29]
	v_frexp_mant_f32_e32 v29, v53
	s_delay_alu instid0(VALU_DEP_1) | instskip(SKIP_1) | instid1(VALU_DEP_1)
	v_cmp_gt_f32_e64 s13, 0x3f2aaaab, v29
	v_add_f32_e32 v29, -1.0, v53
	v_sub_f32_e32 v55, v29, v53
	v_sub_f32_e32 v29, v52, v29
	s_delay_alu instid0(VALU_DEP_4) | instskip(SKIP_1) | instid1(VALU_DEP_1)
	v_subrev_co_ci_u32_e64 v28, s13, 0, v28, s13
	s_mov_b32 s13, 0x3e9b6dac
	v_sub_nc_u32_e32 v54, 0, v28
	v_cvt_f32_i32_e32 v28, v28
	s_delay_alu instid0(VALU_DEP_2) | instskip(NEXT) | instid1(VALU_DEP_1)
	v_ldexp_f32 v53, v53, v54
	v_dual_add_f32 v64, 1.0, v53 :: v_dual_add_f32 v55, 1.0, v55
	s_delay_alu instid0(VALU_DEP_1) | instskip(NEXT) | instid1(VALU_DEP_2)
	v_add_f32_e32 v29, v29, v55
	v_add_f32_e32 v55, -1.0, v64
	s_delay_alu instid0(VALU_DEP_2) | instskip(NEXT) | instid1(VALU_DEP_2)
	v_ldexp_f32 v29, v29, v54
	v_dual_add_f32 v54, -1.0, v53 :: v_dual_sub_f32 v55, v53, v55
	s_delay_alu instid0(VALU_DEP_1) | instskip(NEXT) | instid1(VALU_DEP_2)
	v_add_f32_e32 v65, 1.0, v54
	v_add_f32_e32 v55, v29, v55
	s_delay_alu instid0(VALU_DEP_2) | instskip(NEXT) | instid1(VALU_DEP_2)
	v_sub_f32_e32 v53, v53, v65
	v_add_f32_e32 v65, v64, v55
	s_delay_alu instid0(VALU_DEP_2) | instskip(NEXT) | instid1(VALU_DEP_2)
	v_add_f32_e32 v29, v29, v53
	v_rcp_f32_e32 v53, v65
	v_sub_f32_e32 v64, v64, v65
	s_delay_alu instid0(VALU_DEP_1) | instskip(NEXT) | instid1(VALU_DEP_1)
	v_dual_add_f32 v66, v54, v29 :: v_dual_add_f32 v55, v55, v64
	v_sub_f32_e32 v54, v54, v66
	s_waitcnt_depctr 0xfff
	v_mul_f32_e32 v67, v66, v53
	v_add_f32_e32 v29, v29, v54
	s_delay_alu instid0(VALU_DEP_2) | instskip(NEXT) | instid1(VALU_DEP_1)
	v_mul_f32_e32 v68, v65, v67
	v_fma_f32 v64, v67, v65, -v68
	s_delay_alu instid0(VALU_DEP_1) | instskip(NEXT) | instid1(VALU_DEP_1)
	v_fmac_f32_e32 v64, v67, v55
	v_add_f32_e32 v69, v68, v64
	s_delay_alu instid0(VALU_DEP_1) | instskip(SKIP_1) | instid1(VALU_DEP_2)
	v_sub_f32_e32 v70, v66, v69
	v_sub_f32_e32 v54, v69, v68
	v_sub_f32_e32 v66, v66, v70
	s_delay_alu instid0(VALU_DEP_2) | instskip(NEXT) | instid1(VALU_DEP_2)
	v_sub_f32_e32 v54, v54, v64
	v_sub_f32_e32 v66, v66, v69
	s_delay_alu instid0(VALU_DEP_1) | instskip(NEXT) | instid1(VALU_DEP_1)
	v_add_f32_e32 v29, v29, v66
	v_add_f32_e32 v29, v54, v29
	s_delay_alu instid0(VALU_DEP_1) | instskip(NEXT) | instid1(VALU_DEP_1)
	v_add_f32_e32 v54, v70, v29
	v_mul_f32_e32 v64, v53, v54
	s_delay_alu instid0(VALU_DEP_1) | instskip(NEXT) | instid1(VALU_DEP_1)
	v_dual_sub_f32 v69, v70, v54 :: v_dual_mul_f32 v66, v65, v64
	v_add_f32_e32 v29, v29, v69
	s_delay_alu instid0(VALU_DEP_2) | instskip(NEXT) | instid1(VALU_DEP_1)
	v_fma_f32 v65, v64, v65, -v66
	v_fmac_f32_e32 v65, v64, v55
	s_delay_alu instid0(VALU_DEP_1) | instskip(NEXT) | instid1(VALU_DEP_1)
	v_add_f32_e32 v55, v66, v65
	v_sub_f32_e32 v68, v54, v55
	v_sub_f32_e32 v66, v55, v66
	s_delay_alu instid0(VALU_DEP_2) | instskip(NEXT) | instid1(VALU_DEP_1)
	v_sub_f32_e32 v54, v54, v68
	v_sub_f32_e32 v54, v54, v55
	s_delay_alu instid0(VALU_DEP_3) | instskip(NEXT) | instid1(VALU_DEP_2)
	v_sub_f32_e32 v55, v66, v65
	v_dual_add_f32 v29, v29, v54 :: v_dual_add_f32 v54, v67, v64
	s_delay_alu instid0(VALU_DEP_1) | instskip(NEXT) | instid1(VALU_DEP_2)
	v_add_f32_e32 v29, v55, v29
	v_sub_f32_e32 v55, v54, v67
	s_delay_alu instid0(VALU_DEP_2) | instskip(NEXT) | instid1(VALU_DEP_2)
	v_add_f32_e32 v29, v68, v29
	v_sub_f32_e32 v55, v64, v55
	s_delay_alu instid0(VALU_DEP_2) | instskip(NEXT) | instid1(VALU_DEP_1)
	v_mul_f32_e32 v29, v53, v29
	v_add_f32_e32 v29, v55, v29
	s_delay_alu instid0(VALU_DEP_1) | instskip(NEXT) | instid1(VALU_DEP_1)
	v_add_f32_e32 v53, v54, v29
	v_mul_f32_e32 v55, v53, v53
	s_delay_alu instid0(VALU_DEP_1) | instskip(SKIP_2) | instid1(VALU_DEP_3)
	v_fmaak_f32 v64, s13, v55, 0x3ecc95a3
	v_mul_f32_e32 v65, v53, v55
	v_cmp_eq_f32_e64 s13, 0x7f800000, v52
	v_fmaak_f32 v55, v55, v64, 0x3f2aaada
	v_ldexp_f32 v64, v53, 1
	v_sub_f32_e32 v53, v53, v54
	s_delay_alu instid0(VALU_DEP_4) | instskip(NEXT) | instid1(VALU_DEP_3)
	s_or_b32 s13, s13, s15
	v_mul_f32_e32 v55, v65, v55
	v_mul_f32_e32 v65, 0x3f317218, v28
	s_delay_alu instid0(VALU_DEP_2) | instskip(NEXT) | instid1(VALU_DEP_1)
	v_dual_sub_f32 v29, v29, v53 :: v_dual_add_f32 v54, v64, v55
	v_ldexp_f32 v29, v29, 1
	s_delay_alu instid0(VALU_DEP_2) | instskip(NEXT) | instid1(VALU_DEP_4)
	v_sub_f32_e32 v53, v54, v64
	v_fma_f32 v64, 0x3f317218, v28, -v65
	s_delay_alu instid0(VALU_DEP_1) | instskip(NEXT) | instid1(VALU_DEP_1)
	v_dual_sub_f32 v53, v55, v53 :: v_dual_fmamk_f32 v28, v28, 0xb102e308, v64
	v_add_f32_e32 v29, v29, v53
	s_delay_alu instid0(VALU_DEP_2) | instskip(NEXT) | instid1(VALU_DEP_2)
	v_add_f32_e32 v53, v65, v28
	v_add_f32_e32 v55, v54, v29
	s_delay_alu instid0(VALU_DEP_2) | instskip(NEXT) | instid1(VALU_DEP_2)
	v_sub_f32_e32 v65, v53, v65
	v_add_f32_e32 v64, v53, v55
	v_sub_f32_e32 v54, v55, v54
	s_delay_alu instid0(VALU_DEP_3) | instskip(NEXT) | instid1(VALU_DEP_2)
	v_sub_f32_e32 v28, v28, v65
	v_dual_sub_f32 v66, v64, v53 :: v_dual_sub_f32 v29, v29, v54
	s_delay_alu instid0(VALU_DEP_1) | instskip(NEXT) | instid1(VALU_DEP_2)
	v_sub_f32_e32 v67, v64, v66
	v_dual_sub_f32 v54, v55, v66 :: v_dual_add_f32 v55, v28, v29
	s_delay_alu instid0(VALU_DEP_2) | instskip(NEXT) | instid1(VALU_DEP_1)
	v_sub_f32_e32 v53, v53, v67
	v_dual_add_f32 v53, v54, v53 :: v_dual_sub_f32 v54, v55, v28
	s_delay_alu instid0(VALU_DEP_1) | instskip(NEXT) | instid1(VALU_DEP_2)
	v_add_f32_e32 v53, v55, v53
	v_sub_f32_e32 v55, v55, v54
	v_sub_f32_e32 v29, v29, v54
	s_delay_alu instid0(VALU_DEP_3) | instskip(NEXT) | instid1(VALU_DEP_3)
	v_add_f32_e32 v65, v64, v53
	v_sub_f32_e32 v28, v28, v55
	s_delay_alu instid0(VALU_DEP_2) | instskip(NEXT) | instid1(VALU_DEP_2)
	v_sub_f32_e32 v54, v65, v64
	v_add_f32_e32 v28, v29, v28
	s_delay_alu instid0(VALU_DEP_2) | instskip(NEXT) | instid1(VALU_DEP_1)
	v_sub_f32_e32 v29, v53, v54
	v_add_f32_e32 v28, v28, v29
	s_delay_alu instid0(VALU_DEP_1) | instskip(NEXT) | instid1(VALU_DEP_1)
	v_add_f32_e32 v28, v65, v28
	v_cndmask_b32_e64 v28, v28, v52, s13
	s_delay_alu instid0(VALU_DEP_1) | instskip(NEXT) | instid1(VALU_DEP_1)
	v_add_f32_e32 v20, v20, v28
	v_cvt_f16_f32_e32 v29, v20
	s_delay_alu instid0(VALU_DEP_1)
	v_mov_b32_e32 v28, v29
	v_cvt_f32_f16_e32 v54, v29
.LBB410_266:
	s_or_b32 exec_lo, exec_lo, s14
	v_cvt_f32_f16_e32 v20, v48
	s_delay_alu instid0(VALU_DEP_2) | instskip(SKIP_1) | instid1(VALU_DEP_2)
	v_max_f32_e32 v52, v54, v54
	v_cmp_u_f16_e64 s13, v29, v29
	v_min_f32_e32 v53, v52, v20
	v_max_f32_e32 v52, v52, v20
	s_delay_alu instid0(VALU_DEP_2) | instskip(NEXT) | instid1(VALU_DEP_2)
	v_cndmask_b32_e64 v53, v53, v54, s13
	v_cndmask_b32_e64 v55, v52, v54, s13
	v_cmp_u_f16_e64 s13, v48, v48
	s_delay_alu instid0(VALU_DEP_1) | instskip(NEXT) | instid1(VALU_DEP_3)
	v_cndmask_b32_e64 v52, v53, v20, s13
	v_cndmask_b32_e64 v48, v55, v20, s13
	s_delay_alu instid0(VALU_DEP_2) | instskip(NEXT) | instid1(VALU_DEP_2)
	v_cmp_class_f32_e64 s15, v52, 0x1f8
	v_cmp_neq_f32_e64 s14, v52, v48
	s_delay_alu instid0(VALU_DEP_1) | instskip(NEXT) | instid1(SALU_CYCLE_1)
	s_or_b32 s14, s14, s15
	s_and_saveexec_b32 s15, s14
	s_cbranch_execz .LBB410_268
; %bb.267:
	v_sub_f32_e32 v28, v52, v48
	s_delay_alu instid0(VALU_DEP_1) | instskip(NEXT) | instid1(VALU_DEP_1)
	v_mul_f32_e32 v29, 0x3fb8aa3b, v28
	v_fma_f32 v52, 0x3fb8aa3b, v28, -v29
	v_rndne_f32_e32 v53, v29
	s_delay_alu instid0(VALU_DEP_1) | instskip(SKIP_1) | instid1(VALU_DEP_2)
	v_dual_sub_f32 v29, v29, v53 :: v_dual_fmamk_f32 v52, v28, 0x32a5705f, v52
	v_cmp_ngt_f32_e64 s14, 0xc2ce8ed0, v28
	v_add_f32_e32 v29, v29, v52
	v_cvt_i32_f32_e32 v52, v53
	s_delay_alu instid0(VALU_DEP_2) | instskip(SKIP_2) | instid1(VALU_DEP_1)
	v_exp_f32_e32 v29, v29
	s_waitcnt_depctr 0xfff
	v_ldexp_f32 v29, v29, v52
	v_cndmask_b32_e64 v29, 0, v29, s14
	v_cmp_nlt_f32_e64 s14, 0x42b17218, v28
	s_delay_alu instid0(VALU_DEP_1) | instskip(NEXT) | instid1(VALU_DEP_1)
	v_cndmask_b32_e64 v52, 0x7f800000, v29, s14
	v_add_f32_e32 v53, 1.0, v52
	v_cmp_gt_f32_e64 s16, 0x33800000, |v52|
	s_delay_alu instid0(VALU_DEP_2) | instskip(NEXT) | instid1(VALU_DEP_1)
	v_cvt_f64_f32_e32 v[28:29], v53
	v_frexp_exp_i32_f64_e32 v28, v[28:29]
	v_frexp_mant_f32_e32 v29, v53
	s_delay_alu instid0(VALU_DEP_1) | instskip(SKIP_1) | instid1(VALU_DEP_1)
	v_cmp_gt_f32_e64 s14, 0x3f2aaaab, v29
	v_add_f32_e32 v29, -1.0, v53
	v_sub_f32_e32 v55, v29, v53
	v_sub_f32_e32 v29, v52, v29
	s_delay_alu instid0(VALU_DEP_4) | instskip(SKIP_1) | instid1(VALU_DEP_1)
	v_subrev_co_ci_u32_e64 v28, s14, 0, v28, s14
	s_mov_b32 s14, 0x3e9b6dac
	v_sub_nc_u32_e32 v54, 0, v28
	v_cvt_f32_i32_e32 v28, v28
	s_delay_alu instid0(VALU_DEP_2) | instskip(NEXT) | instid1(VALU_DEP_1)
	v_ldexp_f32 v53, v53, v54
	v_dual_add_f32 v64, 1.0, v53 :: v_dual_add_f32 v55, 1.0, v55
	s_delay_alu instid0(VALU_DEP_1) | instskip(NEXT) | instid1(VALU_DEP_2)
	v_add_f32_e32 v29, v29, v55
	v_add_f32_e32 v55, -1.0, v64
	s_delay_alu instid0(VALU_DEP_2) | instskip(NEXT) | instid1(VALU_DEP_2)
	v_ldexp_f32 v29, v29, v54
	v_dual_add_f32 v54, -1.0, v53 :: v_dual_sub_f32 v55, v53, v55
	s_delay_alu instid0(VALU_DEP_1) | instskip(NEXT) | instid1(VALU_DEP_2)
	v_add_f32_e32 v65, 1.0, v54
	v_add_f32_e32 v55, v29, v55
	s_delay_alu instid0(VALU_DEP_2) | instskip(NEXT) | instid1(VALU_DEP_2)
	v_sub_f32_e32 v53, v53, v65
	v_add_f32_e32 v65, v64, v55
	s_delay_alu instid0(VALU_DEP_2) | instskip(NEXT) | instid1(VALU_DEP_2)
	v_add_f32_e32 v29, v29, v53
	v_rcp_f32_e32 v53, v65
	v_sub_f32_e32 v64, v64, v65
	s_delay_alu instid0(VALU_DEP_1) | instskip(NEXT) | instid1(VALU_DEP_1)
	v_dual_add_f32 v66, v54, v29 :: v_dual_add_f32 v55, v55, v64
	v_sub_f32_e32 v54, v54, v66
	s_waitcnt_depctr 0xfff
	v_mul_f32_e32 v67, v66, v53
	v_add_f32_e32 v29, v29, v54
	s_delay_alu instid0(VALU_DEP_2) | instskip(NEXT) | instid1(VALU_DEP_1)
	v_mul_f32_e32 v68, v65, v67
	v_fma_f32 v64, v67, v65, -v68
	s_delay_alu instid0(VALU_DEP_1) | instskip(NEXT) | instid1(VALU_DEP_1)
	v_fmac_f32_e32 v64, v67, v55
	v_add_f32_e32 v69, v68, v64
	s_delay_alu instid0(VALU_DEP_1) | instskip(SKIP_1) | instid1(VALU_DEP_2)
	v_sub_f32_e32 v70, v66, v69
	v_sub_f32_e32 v54, v69, v68
	;; [unrolled: 1-line block ×3, first 2 shown]
	s_delay_alu instid0(VALU_DEP_2) | instskip(NEXT) | instid1(VALU_DEP_2)
	v_sub_f32_e32 v54, v54, v64
	v_sub_f32_e32 v66, v66, v69
	s_delay_alu instid0(VALU_DEP_1) | instskip(NEXT) | instid1(VALU_DEP_1)
	v_add_f32_e32 v29, v29, v66
	v_add_f32_e32 v29, v54, v29
	s_delay_alu instid0(VALU_DEP_1) | instskip(NEXT) | instid1(VALU_DEP_1)
	v_add_f32_e32 v54, v70, v29
	v_mul_f32_e32 v64, v53, v54
	s_delay_alu instid0(VALU_DEP_1) | instskip(NEXT) | instid1(VALU_DEP_1)
	v_dual_sub_f32 v69, v70, v54 :: v_dual_mul_f32 v66, v65, v64
	v_add_f32_e32 v29, v29, v69
	s_delay_alu instid0(VALU_DEP_2) | instskip(NEXT) | instid1(VALU_DEP_1)
	v_fma_f32 v65, v64, v65, -v66
	v_fmac_f32_e32 v65, v64, v55
	s_delay_alu instid0(VALU_DEP_1) | instskip(NEXT) | instid1(VALU_DEP_1)
	v_add_f32_e32 v55, v66, v65
	v_sub_f32_e32 v68, v54, v55
	v_sub_f32_e32 v66, v55, v66
	s_delay_alu instid0(VALU_DEP_2) | instskip(NEXT) | instid1(VALU_DEP_1)
	v_sub_f32_e32 v54, v54, v68
	v_sub_f32_e32 v54, v54, v55
	s_delay_alu instid0(VALU_DEP_3) | instskip(NEXT) | instid1(VALU_DEP_2)
	v_sub_f32_e32 v55, v66, v65
	v_dual_add_f32 v29, v29, v54 :: v_dual_add_f32 v54, v67, v64
	s_delay_alu instid0(VALU_DEP_1) | instskip(NEXT) | instid1(VALU_DEP_2)
	v_add_f32_e32 v29, v55, v29
	v_sub_f32_e32 v55, v54, v67
	s_delay_alu instid0(VALU_DEP_2) | instskip(NEXT) | instid1(VALU_DEP_2)
	v_add_f32_e32 v29, v68, v29
	v_sub_f32_e32 v55, v64, v55
	s_delay_alu instid0(VALU_DEP_2) | instskip(NEXT) | instid1(VALU_DEP_1)
	v_mul_f32_e32 v29, v53, v29
	v_add_f32_e32 v29, v55, v29
	s_delay_alu instid0(VALU_DEP_1) | instskip(NEXT) | instid1(VALU_DEP_1)
	v_add_f32_e32 v53, v54, v29
	v_mul_f32_e32 v55, v53, v53
	s_delay_alu instid0(VALU_DEP_1) | instskip(SKIP_2) | instid1(VALU_DEP_3)
	v_fmaak_f32 v64, s14, v55, 0x3ecc95a3
	v_mul_f32_e32 v65, v53, v55
	v_cmp_eq_f32_e64 s14, 0x7f800000, v52
	v_fmaak_f32 v55, v55, v64, 0x3f2aaada
	v_ldexp_f32 v64, v53, 1
	v_sub_f32_e32 v53, v53, v54
	s_delay_alu instid0(VALU_DEP_4) | instskip(NEXT) | instid1(VALU_DEP_3)
	s_or_b32 s14, s14, s16
	v_mul_f32_e32 v55, v65, v55
	v_mul_f32_e32 v65, 0x3f317218, v28
	s_delay_alu instid0(VALU_DEP_2) | instskip(NEXT) | instid1(VALU_DEP_1)
	v_dual_sub_f32 v29, v29, v53 :: v_dual_add_f32 v54, v64, v55
	v_ldexp_f32 v29, v29, 1
	s_delay_alu instid0(VALU_DEP_2) | instskip(NEXT) | instid1(VALU_DEP_4)
	v_sub_f32_e32 v53, v54, v64
	v_fma_f32 v64, 0x3f317218, v28, -v65
	s_delay_alu instid0(VALU_DEP_1) | instskip(NEXT) | instid1(VALU_DEP_1)
	v_dual_sub_f32 v53, v55, v53 :: v_dual_fmamk_f32 v28, v28, 0xb102e308, v64
	v_add_f32_e32 v29, v29, v53
	s_delay_alu instid0(VALU_DEP_2) | instskip(NEXT) | instid1(VALU_DEP_2)
	v_add_f32_e32 v53, v65, v28
	v_add_f32_e32 v55, v54, v29
	s_delay_alu instid0(VALU_DEP_2) | instskip(NEXT) | instid1(VALU_DEP_2)
	v_sub_f32_e32 v65, v53, v65
	v_add_f32_e32 v64, v53, v55
	v_sub_f32_e32 v54, v55, v54
	s_delay_alu instid0(VALU_DEP_3) | instskip(NEXT) | instid1(VALU_DEP_2)
	v_sub_f32_e32 v28, v28, v65
	v_dual_sub_f32 v66, v64, v53 :: v_dual_sub_f32 v29, v29, v54
	s_delay_alu instid0(VALU_DEP_1) | instskip(NEXT) | instid1(VALU_DEP_2)
	v_sub_f32_e32 v67, v64, v66
	v_dual_sub_f32 v54, v55, v66 :: v_dual_add_f32 v55, v28, v29
	s_delay_alu instid0(VALU_DEP_2) | instskip(NEXT) | instid1(VALU_DEP_1)
	v_sub_f32_e32 v53, v53, v67
	v_dual_add_f32 v53, v54, v53 :: v_dual_sub_f32 v54, v55, v28
	s_delay_alu instid0(VALU_DEP_1) | instskip(NEXT) | instid1(VALU_DEP_2)
	v_add_f32_e32 v53, v55, v53
	v_sub_f32_e32 v55, v55, v54
	v_sub_f32_e32 v29, v29, v54
	s_delay_alu instid0(VALU_DEP_3) | instskip(NEXT) | instid1(VALU_DEP_3)
	v_add_f32_e32 v65, v64, v53
	v_sub_f32_e32 v28, v28, v55
	s_delay_alu instid0(VALU_DEP_2) | instskip(NEXT) | instid1(VALU_DEP_2)
	v_sub_f32_e32 v54, v65, v64
	v_add_f32_e32 v28, v29, v28
	s_delay_alu instid0(VALU_DEP_2) | instskip(NEXT) | instid1(VALU_DEP_1)
	v_sub_f32_e32 v29, v53, v54
	v_add_f32_e32 v28, v28, v29
	s_delay_alu instid0(VALU_DEP_1) | instskip(NEXT) | instid1(VALU_DEP_1)
	v_add_f32_e32 v28, v65, v28
	v_cndmask_b32_e64 v28, v28, v52, s14
	s_delay_alu instid0(VALU_DEP_1) | instskip(NEXT) | instid1(VALU_DEP_1)
	v_add_f32_e32 v28, v48, v28
	v_cvt_f16_f32_e32 v29, v28
	s_delay_alu instid0(VALU_DEP_1)
	v_mov_b32_e32 v28, v29
	v_cvt_f32_f16_e32 v54, v29
.LBB410_268:
	s_or_b32 exec_lo, exec_lo, s15
	v_cvt_f32_f16_e32 v48, v21
	s_delay_alu instid0(VALU_DEP_2) | instskip(SKIP_1) | instid1(VALU_DEP_2)
	v_max_f32_e32 v52, v54, v54
	v_cmp_u_f16_e64 s14, v29, v29
	v_min_f32_e32 v53, v52, v48
	v_max_f32_e32 v52, v52, v48
	s_delay_alu instid0(VALU_DEP_2) | instskip(NEXT) | instid1(VALU_DEP_2)
	v_cndmask_b32_e64 v53, v53, v54, s14
	v_cndmask_b32_e64 v55, v52, v54, s14
	v_cmp_u_f16_e64 s14, v21, v21
	s_delay_alu instid0(VALU_DEP_1) | instskip(NEXT) | instid1(VALU_DEP_3)
	v_cndmask_b32_e64 v52, v53, v48, s14
	v_cndmask_b32_e64 v21, v55, v48, s14
	s_delay_alu instid0(VALU_DEP_2) | instskip(NEXT) | instid1(VALU_DEP_2)
	v_cmp_class_f32_e64 s16, v52, 0x1f8
	v_cmp_neq_f32_e64 s15, v52, v21
	s_delay_alu instid0(VALU_DEP_1) | instskip(NEXT) | instid1(SALU_CYCLE_1)
	s_or_b32 s15, s15, s16
	s_and_saveexec_b32 s16, s15
	s_cbranch_execz .LBB410_270
; %bb.269:
	v_sub_f32_e32 v28, v52, v21
	s_delay_alu instid0(VALU_DEP_1) | instskip(NEXT) | instid1(VALU_DEP_1)
	v_mul_f32_e32 v29, 0x3fb8aa3b, v28
	v_fma_f32 v52, 0x3fb8aa3b, v28, -v29
	v_rndne_f32_e32 v53, v29
	s_delay_alu instid0(VALU_DEP_1) | instskip(NEXT) | instid1(VALU_DEP_1)
	v_dual_fmamk_f32 v52, v28, 0x32a5705f, v52 :: v_dual_sub_f32 v29, v29, v53
	v_add_f32_e32 v29, v29, v52
	v_cvt_i32_f32_e32 v52, v53
	v_cmp_ngt_f32_e64 s15, 0xc2ce8ed0, v28
	s_delay_alu instid0(VALU_DEP_3) | instskip(SKIP_2) | instid1(VALU_DEP_1)
	v_exp_f32_e32 v29, v29
	s_waitcnt_depctr 0xfff
	v_ldexp_f32 v29, v29, v52
	v_cndmask_b32_e64 v29, 0, v29, s15
	v_cmp_nlt_f32_e64 s15, 0x42b17218, v28
	s_delay_alu instid0(VALU_DEP_1) | instskip(NEXT) | instid1(VALU_DEP_1)
	v_cndmask_b32_e64 v52, 0x7f800000, v29, s15
	v_add_f32_e32 v53, 1.0, v52
	v_cmp_gt_f32_e64 s17, 0x33800000, |v52|
	s_delay_alu instid0(VALU_DEP_2) | instskip(NEXT) | instid1(VALU_DEP_1)
	v_cvt_f64_f32_e32 v[28:29], v53
	v_frexp_exp_i32_f64_e32 v28, v[28:29]
	v_frexp_mant_f32_e32 v29, v53
	s_delay_alu instid0(VALU_DEP_1) | instskip(SKIP_1) | instid1(VALU_DEP_1)
	v_cmp_gt_f32_e64 s15, 0x3f2aaaab, v29
	v_add_f32_e32 v29, -1.0, v53
	v_sub_f32_e32 v55, v29, v53
	v_sub_f32_e32 v29, v52, v29
	s_delay_alu instid0(VALU_DEP_4) | instskip(SKIP_1) | instid1(VALU_DEP_1)
	v_subrev_co_ci_u32_e64 v28, s15, 0, v28, s15
	s_mov_b32 s15, 0x3e9b6dac
	v_sub_nc_u32_e32 v54, 0, v28
	v_cvt_f32_i32_e32 v28, v28
	s_delay_alu instid0(VALU_DEP_2) | instskip(NEXT) | instid1(VALU_DEP_1)
	v_ldexp_f32 v53, v53, v54
	v_dual_add_f32 v55, 1.0, v55 :: v_dual_add_f32 v64, 1.0, v53
	s_delay_alu instid0(VALU_DEP_1) | instskip(NEXT) | instid1(VALU_DEP_2)
	v_add_f32_e32 v29, v29, v55
	v_add_f32_e32 v55, -1.0, v64
	s_delay_alu instid0(VALU_DEP_2) | instskip(NEXT) | instid1(VALU_DEP_2)
	v_ldexp_f32 v29, v29, v54
	v_dual_add_f32 v54, -1.0, v53 :: v_dual_sub_f32 v55, v53, v55
	s_delay_alu instid0(VALU_DEP_1) | instskip(NEXT) | instid1(VALU_DEP_2)
	v_add_f32_e32 v65, 1.0, v54
	v_add_f32_e32 v55, v29, v55
	s_delay_alu instid0(VALU_DEP_2) | instskip(NEXT) | instid1(VALU_DEP_2)
	v_sub_f32_e32 v53, v53, v65
	v_add_f32_e32 v65, v64, v55
	s_delay_alu instid0(VALU_DEP_2) | instskip(NEXT) | instid1(VALU_DEP_2)
	v_add_f32_e32 v29, v29, v53
	v_rcp_f32_e32 v53, v65
	v_sub_f32_e32 v64, v64, v65
	s_delay_alu instid0(VALU_DEP_1) | instskip(NEXT) | instid1(VALU_DEP_1)
	v_dual_add_f32 v66, v54, v29 :: v_dual_add_f32 v55, v55, v64
	v_sub_f32_e32 v54, v54, v66
	s_waitcnt_depctr 0xfff
	v_mul_f32_e32 v67, v66, v53
	v_add_f32_e32 v29, v29, v54
	s_delay_alu instid0(VALU_DEP_2) | instskip(NEXT) | instid1(VALU_DEP_1)
	v_mul_f32_e32 v68, v65, v67
	v_fma_f32 v64, v67, v65, -v68
	s_delay_alu instid0(VALU_DEP_1) | instskip(NEXT) | instid1(VALU_DEP_1)
	v_fmac_f32_e32 v64, v67, v55
	v_add_f32_e32 v69, v68, v64
	s_delay_alu instid0(VALU_DEP_1) | instskip(SKIP_1) | instid1(VALU_DEP_2)
	v_sub_f32_e32 v70, v66, v69
	v_sub_f32_e32 v54, v69, v68
	;; [unrolled: 1-line block ×3, first 2 shown]
	s_delay_alu instid0(VALU_DEP_2) | instskip(NEXT) | instid1(VALU_DEP_2)
	v_sub_f32_e32 v54, v54, v64
	v_sub_f32_e32 v66, v66, v69
	s_delay_alu instid0(VALU_DEP_1) | instskip(NEXT) | instid1(VALU_DEP_1)
	v_add_f32_e32 v29, v29, v66
	v_add_f32_e32 v29, v54, v29
	s_delay_alu instid0(VALU_DEP_1) | instskip(NEXT) | instid1(VALU_DEP_1)
	v_add_f32_e32 v54, v70, v29
	v_mul_f32_e32 v64, v53, v54
	s_delay_alu instid0(VALU_DEP_1) | instskip(NEXT) | instid1(VALU_DEP_1)
	v_dual_sub_f32 v69, v70, v54 :: v_dual_mul_f32 v66, v65, v64
	v_add_f32_e32 v29, v29, v69
	s_delay_alu instid0(VALU_DEP_2) | instskip(NEXT) | instid1(VALU_DEP_1)
	v_fma_f32 v65, v64, v65, -v66
	v_fmac_f32_e32 v65, v64, v55
	s_delay_alu instid0(VALU_DEP_1) | instskip(NEXT) | instid1(VALU_DEP_1)
	v_add_f32_e32 v55, v66, v65
	v_sub_f32_e32 v68, v54, v55
	v_sub_f32_e32 v66, v55, v66
	s_delay_alu instid0(VALU_DEP_2) | instskip(NEXT) | instid1(VALU_DEP_1)
	v_sub_f32_e32 v54, v54, v68
	v_sub_f32_e32 v54, v54, v55
	s_delay_alu instid0(VALU_DEP_1) | instskip(NEXT) | instid1(VALU_DEP_4)
	v_dual_add_f32 v29, v29, v54 :: v_dual_add_f32 v54, v67, v64
	v_sub_f32_e32 v55, v66, v65
	s_delay_alu instid0(VALU_DEP_1) | instskip(NEXT) | instid1(VALU_DEP_3)
	v_add_f32_e32 v29, v55, v29
	v_sub_f32_e32 v55, v54, v67
	s_delay_alu instid0(VALU_DEP_2) | instskip(NEXT) | instid1(VALU_DEP_2)
	v_add_f32_e32 v29, v68, v29
	v_sub_f32_e32 v55, v64, v55
	s_delay_alu instid0(VALU_DEP_2) | instskip(NEXT) | instid1(VALU_DEP_1)
	v_mul_f32_e32 v29, v53, v29
	v_add_f32_e32 v29, v55, v29
	s_delay_alu instid0(VALU_DEP_1) | instskip(NEXT) | instid1(VALU_DEP_1)
	v_add_f32_e32 v53, v54, v29
	v_mul_f32_e32 v55, v53, v53
	s_delay_alu instid0(VALU_DEP_1) | instskip(SKIP_2) | instid1(VALU_DEP_3)
	v_fmaak_f32 v64, s15, v55, 0x3ecc95a3
	v_mul_f32_e32 v65, v53, v55
	v_cmp_eq_f32_e64 s15, 0x7f800000, v52
	v_fmaak_f32 v55, v55, v64, 0x3f2aaada
	v_ldexp_f32 v64, v53, 1
	v_sub_f32_e32 v53, v53, v54
	s_delay_alu instid0(VALU_DEP_4) | instskip(NEXT) | instid1(VALU_DEP_3)
	s_or_b32 s15, s15, s17
	v_mul_f32_e32 v55, v65, v55
	v_mul_f32_e32 v65, 0x3f317218, v28
	s_delay_alu instid0(VALU_DEP_2) | instskip(NEXT) | instid1(VALU_DEP_1)
	v_dual_sub_f32 v29, v29, v53 :: v_dual_add_f32 v54, v64, v55
	v_ldexp_f32 v29, v29, 1
	s_delay_alu instid0(VALU_DEP_2) | instskip(NEXT) | instid1(VALU_DEP_4)
	v_sub_f32_e32 v53, v54, v64
	v_fma_f32 v64, 0x3f317218, v28, -v65
	s_delay_alu instid0(VALU_DEP_1) | instskip(NEXT) | instid1(VALU_DEP_1)
	v_dual_sub_f32 v53, v55, v53 :: v_dual_fmamk_f32 v28, v28, 0xb102e308, v64
	v_add_f32_e32 v29, v29, v53
	s_delay_alu instid0(VALU_DEP_2) | instskip(NEXT) | instid1(VALU_DEP_2)
	v_add_f32_e32 v53, v65, v28
	v_add_f32_e32 v55, v54, v29
	s_delay_alu instid0(VALU_DEP_2) | instskip(NEXT) | instid1(VALU_DEP_2)
	v_sub_f32_e32 v65, v53, v65
	v_add_f32_e32 v64, v53, v55
	v_sub_f32_e32 v54, v55, v54
	s_delay_alu instid0(VALU_DEP_3) | instskip(NEXT) | instid1(VALU_DEP_2)
	v_sub_f32_e32 v28, v28, v65
	v_dual_sub_f32 v66, v64, v53 :: v_dual_sub_f32 v29, v29, v54
	s_delay_alu instid0(VALU_DEP_1) | instskip(NEXT) | instid1(VALU_DEP_2)
	v_sub_f32_e32 v67, v64, v66
	v_dual_sub_f32 v54, v55, v66 :: v_dual_add_f32 v55, v28, v29
	s_delay_alu instid0(VALU_DEP_2) | instskip(NEXT) | instid1(VALU_DEP_1)
	v_sub_f32_e32 v53, v53, v67
	v_dual_add_f32 v53, v54, v53 :: v_dual_sub_f32 v54, v55, v28
	s_delay_alu instid0(VALU_DEP_1) | instskip(NEXT) | instid1(VALU_DEP_2)
	v_add_f32_e32 v53, v55, v53
	v_sub_f32_e32 v55, v55, v54
	v_sub_f32_e32 v29, v29, v54
	s_delay_alu instid0(VALU_DEP_3) | instskip(NEXT) | instid1(VALU_DEP_3)
	v_add_f32_e32 v65, v64, v53
	v_sub_f32_e32 v28, v28, v55
	s_delay_alu instid0(VALU_DEP_2) | instskip(NEXT) | instid1(VALU_DEP_2)
	v_sub_f32_e32 v54, v65, v64
	v_add_f32_e32 v28, v29, v28
	s_delay_alu instid0(VALU_DEP_2) | instskip(NEXT) | instid1(VALU_DEP_1)
	v_sub_f32_e32 v29, v53, v54
	v_add_f32_e32 v28, v28, v29
	s_delay_alu instid0(VALU_DEP_1) | instskip(NEXT) | instid1(VALU_DEP_1)
	v_add_f32_e32 v28, v65, v28
	v_cndmask_b32_e64 v28, v28, v52, s15
	s_delay_alu instid0(VALU_DEP_1) | instskip(NEXT) | instid1(VALU_DEP_1)
	v_add_f32_e32 v21, v21, v28
	v_cvt_f16_f32_e32 v29, v21
	s_delay_alu instid0(VALU_DEP_1)
	v_mov_b32_e32 v28, v29
	v_cvt_f32_f16_e32 v54, v29
.LBB410_270:
	s_or_b32 exec_lo, exec_lo, s16
	v_cvt_f32_f16_e32 v21, v39
	s_delay_alu instid0(VALU_DEP_2) | instskip(SKIP_1) | instid1(VALU_DEP_2)
	v_max_f32_e32 v52, v54, v54
	v_cmp_u_f16_e64 s15, v29, v29
	v_min_f32_e32 v53, v52, v21
	v_max_f32_e32 v52, v52, v21
	s_delay_alu instid0(VALU_DEP_2) | instskip(NEXT) | instid1(VALU_DEP_2)
	v_cndmask_b32_e64 v53, v53, v54, s15
	v_cndmask_b32_e64 v55, v52, v54, s15
	v_cmp_u_f16_e64 s15, v39, v39
	s_delay_alu instid0(VALU_DEP_1) | instskip(NEXT) | instid1(VALU_DEP_3)
	v_cndmask_b32_e64 v52, v53, v21, s15
	v_cndmask_b32_e64 v39, v55, v21, s15
	s_delay_alu instid0(VALU_DEP_2) | instskip(NEXT) | instid1(VALU_DEP_2)
	v_cmp_class_f32_e64 s17, v52, 0x1f8
	v_cmp_neq_f32_e64 s16, v52, v39
	s_delay_alu instid0(VALU_DEP_1) | instskip(NEXT) | instid1(SALU_CYCLE_1)
	s_or_b32 s16, s16, s17
	s_and_saveexec_b32 s17, s16
	s_cbranch_execz .LBB410_272
; %bb.271:
	v_sub_f32_e32 v28, v52, v39
	s_delay_alu instid0(VALU_DEP_1) | instskip(NEXT) | instid1(VALU_DEP_1)
	v_mul_f32_e32 v29, 0x3fb8aa3b, v28
	v_fma_f32 v52, 0x3fb8aa3b, v28, -v29
	v_rndne_f32_e32 v53, v29
	s_delay_alu instid0(VALU_DEP_1) | instskip(SKIP_1) | instid1(VALU_DEP_2)
	v_dual_sub_f32 v29, v29, v53 :: v_dual_fmamk_f32 v52, v28, 0x32a5705f, v52
	v_cmp_ngt_f32_e64 s16, 0xc2ce8ed0, v28
	v_add_f32_e32 v29, v29, v52
	v_cvt_i32_f32_e32 v52, v53
	s_delay_alu instid0(VALU_DEP_2) | instskip(SKIP_2) | instid1(VALU_DEP_1)
	v_exp_f32_e32 v29, v29
	s_waitcnt_depctr 0xfff
	v_ldexp_f32 v29, v29, v52
	v_cndmask_b32_e64 v29, 0, v29, s16
	v_cmp_nlt_f32_e64 s16, 0x42b17218, v28
	s_delay_alu instid0(VALU_DEP_1) | instskip(NEXT) | instid1(VALU_DEP_1)
	v_cndmask_b32_e64 v52, 0x7f800000, v29, s16
	v_add_f32_e32 v53, 1.0, v52
	v_cmp_gt_f32_e64 s18, 0x33800000, |v52|
	s_delay_alu instid0(VALU_DEP_2) | instskip(NEXT) | instid1(VALU_DEP_1)
	v_cvt_f64_f32_e32 v[28:29], v53
	v_frexp_exp_i32_f64_e32 v28, v[28:29]
	v_frexp_mant_f32_e32 v29, v53
	s_delay_alu instid0(VALU_DEP_1) | instskip(SKIP_1) | instid1(VALU_DEP_1)
	v_cmp_gt_f32_e64 s16, 0x3f2aaaab, v29
	v_add_f32_e32 v29, -1.0, v53
	v_sub_f32_e32 v55, v29, v53
	v_sub_f32_e32 v29, v52, v29
	s_delay_alu instid0(VALU_DEP_4) | instskip(SKIP_1) | instid1(VALU_DEP_1)
	v_subrev_co_ci_u32_e64 v28, s16, 0, v28, s16
	s_mov_b32 s16, 0x3e9b6dac
	v_sub_nc_u32_e32 v54, 0, v28
	v_cvt_f32_i32_e32 v28, v28
	s_delay_alu instid0(VALU_DEP_2) | instskip(NEXT) | instid1(VALU_DEP_1)
	v_ldexp_f32 v53, v53, v54
	v_dual_add_f32 v64, 1.0, v53 :: v_dual_add_f32 v55, 1.0, v55
	s_delay_alu instid0(VALU_DEP_1) | instskip(NEXT) | instid1(VALU_DEP_2)
	v_add_f32_e32 v29, v29, v55
	v_add_f32_e32 v55, -1.0, v64
	s_delay_alu instid0(VALU_DEP_2) | instskip(NEXT) | instid1(VALU_DEP_2)
	v_ldexp_f32 v29, v29, v54
	v_dual_add_f32 v54, -1.0, v53 :: v_dual_sub_f32 v55, v53, v55
	s_delay_alu instid0(VALU_DEP_1) | instskip(NEXT) | instid1(VALU_DEP_2)
	v_add_f32_e32 v65, 1.0, v54
	v_add_f32_e32 v55, v29, v55
	s_delay_alu instid0(VALU_DEP_2) | instskip(NEXT) | instid1(VALU_DEP_2)
	v_sub_f32_e32 v53, v53, v65
	v_add_f32_e32 v65, v64, v55
	s_delay_alu instid0(VALU_DEP_2) | instskip(NEXT) | instid1(VALU_DEP_2)
	v_add_f32_e32 v29, v29, v53
	v_rcp_f32_e32 v53, v65
	v_sub_f32_e32 v64, v64, v65
	s_delay_alu instid0(VALU_DEP_1) | instskip(NEXT) | instid1(VALU_DEP_1)
	v_dual_add_f32 v66, v54, v29 :: v_dual_add_f32 v55, v55, v64
	v_sub_f32_e32 v54, v54, v66
	s_waitcnt_depctr 0xfff
	v_mul_f32_e32 v67, v66, v53
	v_add_f32_e32 v29, v29, v54
	s_delay_alu instid0(VALU_DEP_2) | instskip(NEXT) | instid1(VALU_DEP_1)
	v_mul_f32_e32 v68, v65, v67
	v_fma_f32 v64, v67, v65, -v68
	s_delay_alu instid0(VALU_DEP_1) | instskip(NEXT) | instid1(VALU_DEP_1)
	v_fmac_f32_e32 v64, v67, v55
	v_add_f32_e32 v69, v68, v64
	s_delay_alu instid0(VALU_DEP_1) | instskip(SKIP_1) | instid1(VALU_DEP_2)
	v_sub_f32_e32 v70, v66, v69
	v_sub_f32_e32 v54, v69, v68
	;; [unrolled: 1-line block ×3, first 2 shown]
	s_delay_alu instid0(VALU_DEP_2) | instskip(NEXT) | instid1(VALU_DEP_2)
	v_sub_f32_e32 v54, v54, v64
	v_sub_f32_e32 v66, v66, v69
	s_delay_alu instid0(VALU_DEP_1) | instskip(NEXT) | instid1(VALU_DEP_1)
	v_add_f32_e32 v29, v29, v66
	v_add_f32_e32 v29, v54, v29
	s_delay_alu instid0(VALU_DEP_1) | instskip(NEXT) | instid1(VALU_DEP_1)
	v_add_f32_e32 v54, v70, v29
	v_mul_f32_e32 v64, v53, v54
	s_delay_alu instid0(VALU_DEP_1) | instskip(NEXT) | instid1(VALU_DEP_1)
	v_dual_sub_f32 v69, v70, v54 :: v_dual_mul_f32 v66, v65, v64
	v_add_f32_e32 v29, v29, v69
	s_delay_alu instid0(VALU_DEP_2) | instskip(NEXT) | instid1(VALU_DEP_1)
	v_fma_f32 v65, v64, v65, -v66
	v_fmac_f32_e32 v65, v64, v55
	s_delay_alu instid0(VALU_DEP_1) | instskip(NEXT) | instid1(VALU_DEP_1)
	v_add_f32_e32 v55, v66, v65
	v_sub_f32_e32 v68, v54, v55
	v_sub_f32_e32 v66, v55, v66
	s_delay_alu instid0(VALU_DEP_2) | instskip(NEXT) | instid1(VALU_DEP_1)
	v_sub_f32_e32 v54, v54, v68
	v_sub_f32_e32 v54, v54, v55
	s_delay_alu instid0(VALU_DEP_3) | instskip(NEXT) | instid1(VALU_DEP_2)
	v_sub_f32_e32 v55, v66, v65
	v_dual_add_f32 v29, v29, v54 :: v_dual_add_f32 v54, v67, v64
	s_delay_alu instid0(VALU_DEP_1) | instskip(NEXT) | instid1(VALU_DEP_2)
	v_add_f32_e32 v29, v55, v29
	v_sub_f32_e32 v55, v54, v67
	s_delay_alu instid0(VALU_DEP_2) | instskip(NEXT) | instid1(VALU_DEP_2)
	v_add_f32_e32 v29, v68, v29
	v_sub_f32_e32 v55, v64, v55
	s_delay_alu instid0(VALU_DEP_2) | instskip(NEXT) | instid1(VALU_DEP_1)
	v_mul_f32_e32 v29, v53, v29
	v_add_f32_e32 v29, v55, v29
	s_delay_alu instid0(VALU_DEP_1) | instskip(NEXT) | instid1(VALU_DEP_1)
	v_add_f32_e32 v53, v54, v29
	v_mul_f32_e32 v55, v53, v53
	s_delay_alu instid0(VALU_DEP_1) | instskip(SKIP_2) | instid1(VALU_DEP_3)
	v_fmaak_f32 v64, s16, v55, 0x3ecc95a3
	v_mul_f32_e32 v65, v53, v55
	v_cmp_eq_f32_e64 s16, 0x7f800000, v52
	v_fmaak_f32 v55, v55, v64, 0x3f2aaada
	v_ldexp_f32 v64, v53, 1
	v_sub_f32_e32 v53, v53, v54
	s_delay_alu instid0(VALU_DEP_4) | instskip(NEXT) | instid1(VALU_DEP_3)
	s_or_b32 s16, s16, s18
	v_mul_f32_e32 v55, v65, v55
	v_mul_f32_e32 v65, 0x3f317218, v28
	s_delay_alu instid0(VALU_DEP_2) | instskip(NEXT) | instid1(VALU_DEP_1)
	v_dual_sub_f32 v29, v29, v53 :: v_dual_add_f32 v54, v64, v55
	v_ldexp_f32 v29, v29, 1
	s_delay_alu instid0(VALU_DEP_2) | instskip(NEXT) | instid1(VALU_DEP_4)
	v_sub_f32_e32 v53, v54, v64
	v_fma_f32 v64, 0x3f317218, v28, -v65
	s_delay_alu instid0(VALU_DEP_1) | instskip(NEXT) | instid1(VALU_DEP_1)
	v_dual_sub_f32 v53, v55, v53 :: v_dual_fmamk_f32 v28, v28, 0xb102e308, v64
	v_add_f32_e32 v29, v29, v53
	s_delay_alu instid0(VALU_DEP_2) | instskip(NEXT) | instid1(VALU_DEP_2)
	v_add_f32_e32 v53, v65, v28
	v_add_f32_e32 v55, v54, v29
	s_delay_alu instid0(VALU_DEP_2) | instskip(NEXT) | instid1(VALU_DEP_2)
	v_sub_f32_e32 v65, v53, v65
	v_add_f32_e32 v64, v53, v55
	v_sub_f32_e32 v54, v55, v54
	s_delay_alu instid0(VALU_DEP_3) | instskip(NEXT) | instid1(VALU_DEP_2)
	v_sub_f32_e32 v28, v28, v65
	v_dual_sub_f32 v66, v64, v53 :: v_dual_sub_f32 v29, v29, v54
	s_delay_alu instid0(VALU_DEP_1) | instskip(NEXT) | instid1(VALU_DEP_2)
	v_sub_f32_e32 v67, v64, v66
	v_dual_sub_f32 v54, v55, v66 :: v_dual_add_f32 v55, v28, v29
	s_delay_alu instid0(VALU_DEP_2) | instskip(NEXT) | instid1(VALU_DEP_1)
	v_sub_f32_e32 v53, v53, v67
	v_dual_add_f32 v53, v54, v53 :: v_dual_sub_f32 v54, v55, v28
	s_delay_alu instid0(VALU_DEP_1) | instskip(NEXT) | instid1(VALU_DEP_2)
	v_add_f32_e32 v53, v55, v53
	v_sub_f32_e32 v55, v55, v54
	v_sub_f32_e32 v29, v29, v54
	s_delay_alu instid0(VALU_DEP_3) | instskip(NEXT) | instid1(VALU_DEP_3)
	v_add_f32_e32 v65, v64, v53
	v_sub_f32_e32 v28, v28, v55
	s_delay_alu instid0(VALU_DEP_2) | instskip(NEXT) | instid1(VALU_DEP_2)
	v_sub_f32_e32 v54, v65, v64
	v_add_f32_e32 v28, v29, v28
	s_delay_alu instid0(VALU_DEP_2) | instskip(NEXT) | instid1(VALU_DEP_1)
	v_sub_f32_e32 v29, v53, v54
	v_add_f32_e32 v28, v28, v29
	s_delay_alu instid0(VALU_DEP_1) | instskip(NEXT) | instid1(VALU_DEP_1)
	v_add_f32_e32 v28, v65, v28
	v_cndmask_b32_e64 v28, v28, v52, s16
	s_delay_alu instid0(VALU_DEP_1) | instskip(NEXT) | instid1(VALU_DEP_1)
	v_add_f32_e32 v28, v39, v28
	v_cvt_f16_f32_e32 v29, v28
	s_delay_alu instid0(VALU_DEP_1)
	v_mov_b32_e32 v28, v29
	v_cvt_f32_f16_e32 v54, v29
.LBB410_272:
	s_or_b32 exec_lo, exec_lo, s17
	v_cvt_f32_f16_e32 v39, v18
	s_delay_alu instid0(VALU_DEP_2) | instskip(SKIP_1) | instid1(VALU_DEP_2)
	v_max_f32_e32 v52, v54, v54
	v_cmp_u_f16_e64 s16, v29, v29
	v_min_f32_e32 v53, v52, v39
	v_max_f32_e32 v52, v52, v39
	s_delay_alu instid0(VALU_DEP_2) | instskip(NEXT) | instid1(VALU_DEP_2)
	v_cndmask_b32_e64 v53, v53, v54, s16
	v_cndmask_b32_e64 v55, v52, v54, s16
	v_cmp_u_f16_e64 s16, v18, v18
	s_delay_alu instid0(VALU_DEP_1) | instskip(NEXT) | instid1(VALU_DEP_3)
	v_cndmask_b32_e64 v52, v53, v39, s16
	v_cndmask_b32_e64 v18, v55, v39, s16
	s_delay_alu instid0(VALU_DEP_2) | instskip(NEXT) | instid1(VALU_DEP_2)
	v_cmp_class_f32_e64 s18, v52, 0x1f8
	v_cmp_neq_f32_e64 s17, v52, v18
	s_delay_alu instid0(VALU_DEP_1) | instskip(NEXT) | instid1(SALU_CYCLE_1)
	s_or_b32 s17, s17, s18
	s_and_saveexec_b32 s18, s17
	s_cbranch_execz .LBB410_274
; %bb.273:
	v_sub_f32_e32 v28, v52, v18
	s_delay_alu instid0(VALU_DEP_1) | instskip(NEXT) | instid1(VALU_DEP_1)
	v_mul_f32_e32 v29, 0x3fb8aa3b, v28
	v_fma_f32 v52, 0x3fb8aa3b, v28, -v29
	v_rndne_f32_e32 v53, v29
	s_delay_alu instid0(VALU_DEP_1) | instskip(SKIP_1) | instid1(VALU_DEP_2)
	v_dual_sub_f32 v29, v29, v53 :: v_dual_fmamk_f32 v52, v28, 0x32a5705f, v52
	v_cmp_ngt_f32_e64 s17, 0xc2ce8ed0, v28
	v_add_f32_e32 v29, v29, v52
	v_cvt_i32_f32_e32 v52, v53
	s_delay_alu instid0(VALU_DEP_2) | instskip(SKIP_2) | instid1(VALU_DEP_1)
	v_exp_f32_e32 v29, v29
	s_waitcnt_depctr 0xfff
	v_ldexp_f32 v29, v29, v52
	v_cndmask_b32_e64 v29, 0, v29, s17
	v_cmp_nlt_f32_e64 s17, 0x42b17218, v28
	s_delay_alu instid0(VALU_DEP_1) | instskip(NEXT) | instid1(VALU_DEP_1)
	v_cndmask_b32_e64 v52, 0x7f800000, v29, s17
	v_add_f32_e32 v53, 1.0, v52
	v_cmp_gt_f32_e64 s19, 0x33800000, |v52|
	s_delay_alu instid0(VALU_DEP_2) | instskip(NEXT) | instid1(VALU_DEP_1)
	v_cvt_f64_f32_e32 v[28:29], v53
	v_frexp_exp_i32_f64_e32 v28, v[28:29]
	v_frexp_mant_f32_e32 v29, v53
	s_delay_alu instid0(VALU_DEP_1) | instskip(SKIP_1) | instid1(VALU_DEP_1)
	v_cmp_gt_f32_e64 s17, 0x3f2aaaab, v29
	v_add_f32_e32 v29, -1.0, v53
	v_sub_f32_e32 v55, v29, v53
	v_sub_f32_e32 v29, v52, v29
	s_delay_alu instid0(VALU_DEP_4) | instskip(SKIP_1) | instid1(VALU_DEP_1)
	v_subrev_co_ci_u32_e64 v28, s17, 0, v28, s17
	s_mov_b32 s17, 0x3e9b6dac
	v_sub_nc_u32_e32 v54, 0, v28
	v_cvt_f32_i32_e32 v28, v28
	s_delay_alu instid0(VALU_DEP_2) | instskip(NEXT) | instid1(VALU_DEP_1)
	v_ldexp_f32 v53, v53, v54
	v_dual_add_f32 v64, 1.0, v53 :: v_dual_add_f32 v55, 1.0, v55
	s_delay_alu instid0(VALU_DEP_1) | instskip(NEXT) | instid1(VALU_DEP_2)
	v_add_f32_e32 v29, v29, v55
	v_add_f32_e32 v55, -1.0, v64
	s_delay_alu instid0(VALU_DEP_2) | instskip(NEXT) | instid1(VALU_DEP_2)
	v_ldexp_f32 v29, v29, v54
	v_dual_add_f32 v54, -1.0, v53 :: v_dual_sub_f32 v55, v53, v55
	s_delay_alu instid0(VALU_DEP_1) | instskip(NEXT) | instid1(VALU_DEP_2)
	v_add_f32_e32 v65, 1.0, v54
	v_add_f32_e32 v55, v29, v55
	s_delay_alu instid0(VALU_DEP_2) | instskip(NEXT) | instid1(VALU_DEP_2)
	v_sub_f32_e32 v53, v53, v65
	v_add_f32_e32 v65, v64, v55
	s_delay_alu instid0(VALU_DEP_2) | instskip(NEXT) | instid1(VALU_DEP_2)
	v_add_f32_e32 v29, v29, v53
	v_rcp_f32_e32 v53, v65
	v_sub_f32_e32 v64, v64, v65
	s_delay_alu instid0(VALU_DEP_1) | instskip(NEXT) | instid1(VALU_DEP_1)
	v_dual_add_f32 v66, v54, v29 :: v_dual_add_f32 v55, v55, v64
	v_sub_f32_e32 v54, v54, v66
	s_waitcnt_depctr 0xfff
	v_mul_f32_e32 v67, v66, v53
	v_add_f32_e32 v29, v29, v54
	s_delay_alu instid0(VALU_DEP_2) | instskip(NEXT) | instid1(VALU_DEP_1)
	v_mul_f32_e32 v68, v65, v67
	v_fma_f32 v64, v67, v65, -v68
	s_delay_alu instid0(VALU_DEP_1) | instskip(NEXT) | instid1(VALU_DEP_1)
	v_fmac_f32_e32 v64, v67, v55
	v_add_f32_e32 v69, v68, v64
	s_delay_alu instid0(VALU_DEP_1) | instskip(SKIP_1) | instid1(VALU_DEP_2)
	v_sub_f32_e32 v70, v66, v69
	v_sub_f32_e32 v54, v69, v68
	;; [unrolled: 1-line block ×3, first 2 shown]
	s_delay_alu instid0(VALU_DEP_2) | instskip(NEXT) | instid1(VALU_DEP_2)
	v_sub_f32_e32 v54, v54, v64
	v_sub_f32_e32 v66, v66, v69
	s_delay_alu instid0(VALU_DEP_1) | instskip(NEXT) | instid1(VALU_DEP_1)
	v_add_f32_e32 v29, v29, v66
	v_add_f32_e32 v29, v54, v29
	s_delay_alu instid0(VALU_DEP_1) | instskip(NEXT) | instid1(VALU_DEP_1)
	v_add_f32_e32 v54, v70, v29
	v_mul_f32_e32 v64, v53, v54
	s_delay_alu instid0(VALU_DEP_1) | instskip(NEXT) | instid1(VALU_DEP_1)
	v_dual_sub_f32 v69, v70, v54 :: v_dual_mul_f32 v66, v65, v64
	v_add_f32_e32 v29, v29, v69
	s_delay_alu instid0(VALU_DEP_2) | instskip(NEXT) | instid1(VALU_DEP_1)
	v_fma_f32 v65, v64, v65, -v66
	v_fmac_f32_e32 v65, v64, v55
	s_delay_alu instid0(VALU_DEP_1) | instskip(NEXT) | instid1(VALU_DEP_1)
	v_add_f32_e32 v55, v66, v65
	v_sub_f32_e32 v68, v54, v55
	v_sub_f32_e32 v66, v55, v66
	s_delay_alu instid0(VALU_DEP_2) | instskip(NEXT) | instid1(VALU_DEP_1)
	v_sub_f32_e32 v54, v54, v68
	v_sub_f32_e32 v54, v54, v55
	s_delay_alu instid0(VALU_DEP_3) | instskip(NEXT) | instid1(VALU_DEP_2)
	v_sub_f32_e32 v55, v66, v65
	v_dual_add_f32 v29, v29, v54 :: v_dual_add_f32 v54, v67, v64
	s_delay_alu instid0(VALU_DEP_1) | instskip(NEXT) | instid1(VALU_DEP_2)
	v_add_f32_e32 v29, v55, v29
	v_sub_f32_e32 v55, v54, v67
	s_delay_alu instid0(VALU_DEP_2) | instskip(NEXT) | instid1(VALU_DEP_2)
	v_add_f32_e32 v29, v68, v29
	v_sub_f32_e32 v55, v64, v55
	s_delay_alu instid0(VALU_DEP_2) | instskip(NEXT) | instid1(VALU_DEP_1)
	v_mul_f32_e32 v29, v53, v29
	v_add_f32_e32 v29, v55, v29
	s_delay_alu instid0(VALU_DEP_1) | instskip(NEXT) | instid1(VALU_DEP_1)
	v_add_f32_e32 v53, v54, v29
	v_mul_f32_e32 v55, v53, v53
	s_delay_alu instid0(VALU_DEP_1) | instskip(SKIP_2) | instid1(VALU_DEP_3)
	v_fmaak_f32 v64, s17, v55, 0x3ecc95a3
	v_mul_f32_e32 v65, v53, v55
	v_cmp_eq_f32_e64 s17, 0x7f800000, v52
	v_fmaak_f32 v55, v55, v64, 0x3f2aaada
	v_ldexp_f32 v64, v53, 1
	v_sub_f32_e32 v53, v53, v54
	s_delay_alu instid0(VALU_DEP_4) | instskip(NEXT) | instid1(VALU_DEP_3)
	s_or_b32 s17, s17, s19
	v_mul_f32_e32 v55, v65, v55
	v_mul_f32_e32 v65, 0x3f317218, v28
	s_delay_alu instid0(VALU_DEP_2) | instskip(NEXT) | instid1(VALU_DEP_1)
	v_dual_sub_f32 v29, v29, v53 :: v_dual_add_f32 v54, v64, v55
	v_ldexp_f32 v29, v29, 1
	s_delay_alu instid0(VALU_DEP_2) | instskip(NEXT) | instid1(VALU_DEP_4)
	v_sub_f32_e32 v53, v54, v64
	v_fma_f32 v64, 0x3f317218, v28, -v65
	s_delay_alu instid0(VALU_DEP_1) | instskip(NEXT) | instid1(VALU_DEP_1)
	v_dual_sub_f32 v53, v55, v53 :: v_dual_fmamk_f32 v28, v28, 0xb102e308, v64
	v_add_f32_e32 v29, v29, v53
	s_delay_alu instid0(VALU_DEP_2) | instskip(NEXT) | instid1(VALU_DEP_2)
	v_add_f32_e32 v53, v65, v28
	v_add_f32_e32 v55, v54, v29
	s_delay_alu instid0(VALU_DEP_2) | instskip(NEXT) | instid1(VALU_DEP_2)
	v_sub_f32_e32 v65, v53, v65
	v_add_f32_e32 v64, v53, v55
	v_sub_f32_e32 v54, v55, v54
	s_delay_alu instid0(VALU_DEP_3) | instskip(NEXT) | instid1(VALU_DEP_2)
	v_sub_f32_e32 v28, v28, v65
	v_dual_sub_f32 v66, v64, v53 :: v_dual_sub_f32 v29, v29, v54
	s_delay_alu instid0(VALU_DEP_1) | instskip(NEXT) | instid1(VALU_DEP_2)
	v_sub_f32_e32 v67, v64, v66
	v_dual_sub_f32 v54, v55, v66 :: v_dual_add_f32 v55, v28, v29
	s_delay_alu instid0(VALU_DEP_2) | instskip(NEXT) | instid1(VALU_DEP_1)
	v_sub_f32_e32 v53, v53, v67
	v_dual_add_f32 v53, v54, v53 :: v_dual_sub_f32 v54, v55, v28
	s_delay_alu instid0(VALU_DEP_1) | instskip(NEXT) | instid1(VALU_DEP_2)
	v_add_f32_e32 v53, v55, v53
	v_sub_f32_e32 v55, v55, v54
	v_sub_f32_e32 v29, v29, v54
	s_delay_alu instid0(VALU_DEP_3) | instskip(NEXT) | instid1(VALU_DEP_3)
	v_add_f32_e32 v65, v64, v53
	v_sub_f32_e32 v28, v28, v55
	s_delay_alu instid0(VALU_DEP_2) | instskip(NEXT) | instid1(VALU_DEP_2)
	v_sub_f32_e32 v54, v65, v64
	v_add_f32_e32 v28, v29, v28
	s_delay_alu instid0(VALU_DEP_2) | instskip(NEXT) | instid1(VALU_DEP_1)
	v_sub_f32_e32 v29, v53, v54
	v_add_f32_e32 v28, v28, v29
	s_delay_alu instid0(VALU_DEP_1) | instskip(NEXT) | instid1(VALU_DEP_1)
	v_add_f32_e32 v28, v65, v28
	v_cndmask_b32_e64 v28, v28, v52, s17
	s_delay_alu instid0(VALU_DEP_1) | instskip(NEXT) | instid1(VALU_DEP_1)
	v_add_f32_e32 v18, v18, v28
	v_cvt_f16_f32_e32 v29, v18
	s_delay_alu instid0(VALU_DEP_1)
	v_mov_b32_e32 v28, v29
	v_cvt_f32_f16_e32 v54, v29
.LBB410_274:
	s_or_b32 exec_lo, exec_lo, s18
	v_cvt_f32_f16_e32 v18, v38
	s_delay_alu instid0(VALU_DEP_2) | instskip(SKIP_1) | instid1(VALU_DEP_2)
	v_max_f32_e32 v52, v54, v54
	v_cmp_u_f16_e64 s17, v29, v29
	v_min_f32_e32 v53, v52, v18
	v_max_f32_e32 v52, v52, v18
	s_delay_alu instid0(VALU_DEP_2) | instskip(NEXT) | instid1(VALU_DEP_2)
	v_cndmask_b32_e64 v53, v53, v54, s17
	v_cndmask_b32_e64 v55, v52, v54, s17
	v_cmp_u_f16_e64 s17, v38, v38
	s_delay_alu instid0(VALU_DEP_1) | instskip(NEXT) | instid1(VALU_DEP_3)
	v_cndmask_b32_e64 v52, v53, v18, s17
	v_cndmask_b32_e64 v38, v55, v18, s17
	s_delay_alu instid0(VALU_DEP_2) | instskip(NEXT) | instid1(VALU_DEP_2)
	v_cmp_class_f32_e64 s19, v52, 0x1f8
	v_cmp_neq_f32_e64 s18, v52, v38
	s_delay_alu instid0(VALU_DEP_1) | instskip(NEXT) | instid1(SALU_CYCLE_1)
	s_or_b32 s18, s18, s19
	s_and_saveexec_b32 s19, s18
	s_cbranch_execz .LBB410_276
; %bb.275:
	v_sub_f32_e32 v28, v52, v38
	s_delay_alu instid0(VALU_DEP_1) | instskip(NEXT) | instid1(VALU_DEP_1)
	v_mul_f32_e32 v29, 0x3fb8aa3b, v28
	v_fma_f32 v52, 0x3fb8aa3b, v28, -v29
	v_rndne_f32_e32 v53, v29
	s_delay_alu instid0(VALU_DEP_1) | instskip(SKIP_1) | instid1(VALU_DEP_2)
	v_dual_sub_f32 v29, v29, v53 :: v_dual_fmamk_f32 v52, v28, 0x32a5705f, v52
	v_cmp_ngt_f32_e64 s18, 0xc2ce8ed0, v28
	v_add_f32_e32 v29, v29, v52
	v_cvt_i32_f32_e32 v52, v53
	s_delay_alu instid0(VALU_DEP_2) | instskip(SKIP_2) | instid1(VALU_DEP_1)
	v_exp_f32_e32 v29, v29
	s_waitcnt_depctr 0xfff
	v_ldexp_f32 v29, v29, v52
	v_cndmask_b32_e64 v29, 0, v29, s18
	v_cmp_nlt_f32_e64 s18, 0x42b17218, v28
	s_delay_alu instid0(VALU_DEP_1) | instskip(NEXT) | instid1(VALU_DEP_1)
	v_cndmask_b32_e64 v52, 0x7f800000, v29, s18
	v_add_f32_e32 v53, 1.0, v52
	v_cmp_gt_f32_e64 s20, 0x33800000, |v52|
	s_delay_alu instid0(VALU_DEP_2) | instskip(NEXT) | instid1(VALU_DEP_1)
	v_cvt_f64_f32_e32 v[28:29], v53
	v_frexp_exp_i32_f64_e32 v28, v[28:29]
	v_frexp_mant_f32_e32 v29, v53
	s_delay_alu instid0(VALU_DEP_1) | instskip(SKIP_1) | instid1(VALU_DEP_1)
	v_cmp_gt_f32_e64 s18, 0x3f2aaaab, v29
	v_add_f32_e32 v29, -1.0, v53
	v_sub_f32_e32 v55, v29, v53
	v_sub_f32_e32 v29, v52, v29
	s_delay_alu instid0(VALU_DEP_4) | instskip(SKIP_1) | instid1(VALU_DEP_1)
	v_subrev_co_ci_u32_e64 v28, s18, 0, v28, s18
	s_mov_b32 s18, 0x3e9b6dac
	v_sub_nc_u32_e32 v54, 0, v28
	v_cvt_f32_i32_e32 v28, v28
	s_delay_alu instid0(VALU_DEP_2) | instskip(NEXT) | instid1(VALU_DEP_1)
	v_ldexp_f32 v53, v53, v54
	v_dual_add_f32 v64, 1.0, v53 :: v_dual_add_f32 v55, 1.0, v55
	s_delay_alu instid0(VALU_DEP_1) | instskip(NEXT) | instid1(VALU_DEP_2)
	v_add_f32_e32 v29, v29, v55
	v_add_f32_e32 v55, -1.0, v64
	s_delay_alu instid0(VALU_DEP_2) | instskip(NEXT) | instid1(VALU_DEP_2)
	v_ldexp_f32 v29, v29, v54
	v_dual_add_f32 v54, -1.0, v53 :: v_dual_sub_f32 v55, v53, v55
	s_delay_alu instid0(VALU_DEP_1) | instskip(NEXT) | instid1(VALU_DEP_2)
	v_add_f32_e32 v65, 1.0, v54
	v_add_f32_e32 v55, v29, v55
	s_delay_alu instid0(VALU_DEP_2) | instskip(NEXT) | instid1(VALU_DEP_2)
	v_sub_f32_e32 v53, v53, v65
	v_add_f32_e32 v65, v64, v55
	s_delay_alu instid0(VALU_DEP_2) | instskip(NEXT) | instid1(VALU_DEP_2)
	v_add_f32_e32 v29, v29, v53
	v_rcp_f32_e32 v53, v65
	v_sub_f32_e32 v64, v64, v65
	s_delay_alu instid0(VALU_DEP_1) | instskip(NEXT) | instid1(VALU_DEP_1)
	v_dual_add_f32 v66, v54, v29 :: v_dual_add_f32 v55, v55, v64
	v_sub_f32_e32 v54, v54, v66
	s_waitcnt_depctr 0xfff
	v_mul_f32_e32 v67, v66, v53
	v_add_f32_e32 v29, v29, v54
	s_delay_alu instid0(VALU_DEP_2) | instskip(NEXT) | instid1(VALU_DEP_1)
	v_mul_f32_e32 v68, v65, v67
	v_fma_f32 v64, v67, v65, -v68
	s_delay_alu instid0(VALU_DEP_1) | instskip(NEXT) | instid1(VALU_DEP_1)
	v_fmac_f32_e32 v64, v67, v55
	v_add_f32_e32 v69, v68, v64
	s_delay_alu instid0(VALU_DEP_1) | instskip(SKIP_1) | instid1(VALU_DEP_2)
	v_sub_f32_e32 v70, v66, v69
	v_sub_f32_e32 v54, v69, v68
	;; [unrolled: 1-line block ×3, first 2 shown]
	s_delay_alu instid0(VALU_DEP_2) | instskip(NEXT) | instid1(VALU_DEP_2)
	v_sub_f32_e32 v54, v54, v64
	v_sub_f32_e32 v66, v66, v69
	s_delay_alu instid0(VALU_DEP_1) | instskip(NEXT) | instid1(VALU_DEP_1)
	v_add_f32_e32 v29, v29, v66
	v_add_f32_e32 v29, v54, v29
	s_delay_alu instid0(VALU_DEP_1) | instskip(NEXT) | instid1(VALU_DEP_1)
	v_add_f32_e32 v54, v70, v29
	v_mul_f32_e32 v64, v53, v54
	s_delay_alu instid0(VALU_DEP_1) | instskip(NEXT) | instid1(VALU_DEP_1)
	v_dual_sub_f32 v69, v70, v54 :: v_dual_mul_f32 v66, v65, v64
	v_add_f32_e32 v29, v29, v69
	s_delay_alu instid0(VALU_DEP_2) | instskip(NEXT) | instid1(VALU_DEP_1)
	v_fma_f32 v65, v64, v65, -v66
	v_fmac_f32_e32 v65, v64, v55
	s_delay_alu instid0(VALU_DEP_1) | instskip(NEXT) | instid1(VALU_DEP_1)
	v_add_f32_e32 v55, v66, v65
	v_sub_f32_e32 v68, v54, v55
	v_sub_f32_e32 v66, v55, v66
	s_delay_alu instid0(VALU_DEP_2) | instskip(NEXT) | instid1(VALU_DEP_1)
	v_sub_f32_e32 v54, v54, v68
	v_sub_f32_e32 v54, v54, v55
	s_delay_alu instid0(VALU_DEP_3) | instskip(NEXT) | instid1(VALU_DEP_2)
	v_sub_f32_e32 v55, v66, v65
	v_dual_add_f32 v29, v29, v54 :: v_dual_add_f32 v54, v67, v64
	s_delay_alu instid0(VALU_DEP_1) | instskip(NEXT) | instid1(VALU_DEP_2)
	v_add_f32_e32 v29, v55, v29
	v_sub_f32_e32 v55, v54, v67
	s_delay_alu instid0(VALU_DEP_2) | instskip(NEXT) | instid1(VALU_DEP_2)
	v_add_f32_e32 v29, v68, v29
	v_sub_f32_e32 v55, v64, v55
	s_delay_alu instid0(VALU_DEP_2) | instskip(NEXT) | instid1(VALU_DEP_1)
	v_mul_f32_e32 v29, v53, v29
	v_add_f32_e32 v29, v55, v29
	s_delay_alu instid0(VALU_DEP_1) | instskip(NEXT) | instid1(VALU_DEP_1)
	v_add_f32_e32 v53, v54, v29
	v_mul_f32_e32 v55, v53, v53
	s_delay_alu instid0(VALU_DEP_1) | instskip(SKIP_2) | instid1(VALU_DEP_3)
	v_fmaak_f32 v64, s18, v55, 0x3ecc95a3
	v_mul_f32_e32 v65, v53, v55
	v_cmp_eq_f32_e64 s18, 0x7f800000, v52
	v_fmaak_f32 v55, v55, v64, 0x3f2aaada
	v_ldexp_f32 v64, v53, 1
	v_sub_f32_e32 v53, v53, v54
	s_delay_alu instid0(VALU_DEP_4) | instskip(NEXT) | instid1(VALU_DEP_3)
	s_or_b32 s18, s18, s20
	v_mul_f32_e32 v55, v65, v55
	v_mul_f32_e32 v65, 0x3f317218, v28
	s_delay_alu instid0(VALU_DEP_2) | instskip(NEXT) | instid1(VALU_DEP_1)
	v_dual_sub_f32 v29, v29, v53 :: v_dual_add_f32 v54, v64, v55
	v_ldexp_f32 v29, v29, 1
	s_delay_alu instid0(VALU_DEP_2) | instskip(NEXT) | instid1(VALU_DEP_4)
	v_sub_f32_e32 v53, v54, v64
	v_fma_f32 v64, 0x3f317218, v28, -v65
	s_delay_alu instid0(VALU_DEP_1) | instskip(NEXT) | instid1(VALU_DEP_1)
	v_dual_sub_f32 v53, v55, v53 :: v_dual_fmamk_f32 v28, v28, 0xb102e308, v64
	v_add_f32_e32 v29, v29, v53
	s_delay_alu instid0(VALU_DEP_2) | instskip(NEXT) | instid1(VALU_DEP_2)
	v_add_f32_e32 v53, v65, v28
	v_add_f32_e32 v55, v54, v29
	s_delay_alu instid0(VALU_DEP_2) | instskip(NEXT) | instid1(VALU_DEP_2)
	v_sub_f32_e32 v65, v53, v65
	v_add_f32_e32 v64, v53, v55
	v_sub_f32_e32 v54, v55, v54
	s_delay_alu instid0(VALU_DEP_3) | instskip(NEXT) | instid1(VALU_DEP_2)
	v_sub_f32_e32 v28, v28, v65
	v_dual_sub_f32 v66, v64, v53 :: v_dual_sub_f32 v29, v29, v54
	s_delay_alu instid0(VALU_DEP_1) | instskip(NEXT) | instid1(VALU_DEP_2)
	v_sub_f32_e32 v67, v64, v66
	v_dual_sub_f32 v54, v55, v66 :: v_dual_add_f32 v55, v28, v29
	s_delay_alu instid0(VALU_DEP_2) | instskip(NEXT) | instid1(VALU_DEP_1)
	v_sub_f32_e32 v53, v53, v67
	v_dual_add_f32 v53, v54, v53 :: v_dual_sub_f32 v54, v55, v28
	s_delay_alu instid0(VALU_DEP_1) | instskip(NEXT) | instid1(VALU_DEP_2)
	v_add_f32_e32 v53, v55, v53
	v_sub_f32_e32 v55, v55, v54
	v_sub_f32_e32 v29, v29, v54
	s_delay_alu instid0(VALU_DEP_3) | instskip(NEXT) | instid1(VALU_DEP_3)
	v_add_f32_e32 v65, v64, v53
	v_sub_f32_e32 v28, v28, v55
	s_delay_alu instid0(VALU_DEP_2) | instskip(NEXT) | instid1(VALU_DEP_2)
	v_sub_f32_e32 v54, v65, v64
	v_add_f32_e32 v28, v29, v28
	s_delay_alu instid0(VALU_DEP_2) | instskip(NEXT) | instid1(VALU_DEP_1)
	v_sub_f32_e32 v29, v53, v54
	v_add_f32_e32 v28, v28, v29
	s_delay_alu instid0(VALU_DEP_1) | instskip(NEXT) | instid1(VALU_DEP_1)
	v_add_f32_e32 v28, v65, v28
	v_cndmask_b32_e64 v28, v28, v52, s18
	s_delay_alu instid0(VALU_DEP_1) | instskip(NEXT) | instid1(VALU_DEP_1)
	v_add_f32_e32 v28, v38, v28
	v_cvt_f16_f32_e32 v29, v28
	s_delay_alu instid0(VALU_DEP_1)
	v_mov_b32_e32 v28, v29
	v_cvt_f32_f16_e32 v54, v29
.LBB410_276:
	s_or_b32 exec_lo, exec_lo, s19
	v_cvt_f32_f16_e32 v38, v19
	s_delay_alu instid0(VALU_DEP_2) | instskip(SKIP_1) | instid1(VALU_DEP_2)
	v_max_f32_e32 v52, v54, v54
	v_cmp_u_f16_e64 s18, v29, v29
	v_min_f32_e32 v53, v52, v38
	v_max_f32_e32 v52, v52, v38
	s_delay_alu instid0(VALU_DEP_2) | instskip(NEXT) | instid1(VALU_DEP_2)
	v_cndmask_b32_e64 v53, v53, v54, s18
	v_cndmask_b32_e64 v55, v52, v54, s18
	v_cmp_u_f16_e64 s18, v19, v19
	s_delay_alu instid0(VALU_DEP_1) | instskip(NEXT) | instid1(VALU_DEP_3)
	v_cndmask_b32_e64 v52, v53, v38, s18
	v_cndmask_b32_e64 v19, v55, v38, s18
	s_delay_alu instid0(VALU_DEP_2) | instskip(NEXT) | instid1(VALU_DEP_2)
	v_cmp_class_f32_e64 s20, v52, 0x1f8
	v_cmp_neq_f32_e64 s19, v52, v19
	s_delay_alu instid0(VALU_DEP_1) | instskip(NEXT) | instid1(SALU_CYCLE_1)
	s_or_b32 s19, s19, s20
	s_and_saveexec_b32 s20, s19
	s_cbranch_execz .LBB410_278
; %bb.277:
	v_sub_f32_e32 v28, v52, v19
	s_delay_alu instid0(VALU_DEP_1) | instskip(NEXT) | instid1(VALU_DEP_1)
	v_mul_f32_e32 v29, 0x3fb8aa3b, v28
	v_fma_f32 v52, 0x3fb8aa3b, v28, -v29
	v_rndne_f32_e32 v53, v29
	s_delay_alu instid0(VALU_DEP_1) | instskip(SKIP_1) | instid1(VALU_DEP_2)
	v_dual_sub_f32 v29, v29, v53 :: v_dual_fmamk_f32 v52, v28, 0x32a5705f, v52
	v_cmp_ngt_f32_e64 s19, 0xc2ce8ed0, v28
	v_add_f32_e32 v29, v29, v52
	v_cvt_i32_f32_e32 v52, v53
	s_delay_alu instid0(VALU_DEP_2) | instskip(SKIP_2) | instid1(VALU_DEP_1)
	v_exp_f32_e32 v29, v29
	s_waitcnt_depctr 0xfff
	v_ldexp_f32 v29, v29, v52
	v_cndmask_b32_e64 v29, 0, v29, s19
	v_cmp_nlt_f32_e64 s19, 0x42b17218, v28
	s_delay_alu instid0(VALU_DEP_1) | instskip(NEXT) | instid1(VALU_DEP_1)
	v_cndmask_b32_e64 v52, 0x7f800000, v29, s19
	v_add_f32_e32 v53, 1.0, v52
	v_cmp_gt_f32_e64 s21, 0x33800000, |v52|
	s_delay_alu instid0(VALU_DEP_2) | instskip(NEXT) | instid1(VALU_DEP_1)
	v_cvt_f64_f32_e32 v[28:29], v53
	v_frexp_exp_i32_f64_e32 v28, v[28:29]
	v_frexp_mant_f32_e32 v29, v53
	s_delay_alu instid0(VALU_DEP_1) | instskip(SKIP_1) | instid1(VALU_DEP_1)
	v_cmp_gt_f32_e64 s19, 0x3f2aaaab, v29
	v_add_f32_e32 v29, -1.0, v53
	v_sub_f32_e32 v55, v29, v53
	v_sub_f32_e32 v29, v52, v29
	s_delay_alu instid0(VALU_DEP_4) | instskip(SKIP_1) | instid1(VALU_DEP_1)
	v_subrev_co_ci_u32_e64 v28, s19, 0, v28, s19
	s_mov_b32 s19, 0x3e9b6dac
	v_sub_nc_u32_e32 v54, 0, v28
	v_cvt_f32_i32_e32 v28, v28
	s_delay_alu instid0(VALU_DEP_2) | instskip(NEXT) | instid1(VALU_DEP_1)
	v_ldexp_f32 v53, v53, v54
	v_dual_add_f32 v64, 1.0, v53 :: v_dual_add_f32 v55, 1.0, v55
	s_delay_alu instid0(VALU_DEP_1) | instskip(NEXT) | instid1(VALU_DEP_2)
	v_add_f32_e32 v29, v29, v55
	v_add_f32_e32 v55, -1.0, v64
	s_delay_alu instid0(VALU_DEP_2) | instskip(NEXT) | instid1(VALU_DEP_2)
	v_ldexp_f32 v29, v29, v54
	v_dual_add_f32 v54, -1.0, v53 :: v_dual_sub_f32 v55, v53, v55
	s_delay_alu instid0(VALU_DEP_1) | instskip(NEXT) | instid1(VALU_DEP_2)
	v_add_f32_e32 v65, 1.0, v54
	v_add_f32_e32 v55, v29, v55
	s_delay_alu instid0(VALU_DEP_2) | instskip(NEXT) | instid1(VALU_DEP_2)
	v_sub_f32_e32 v53, v53, v65
	v_add_f32_e32 v65, v64, v55
	s_delay_alu instid0(VALU_DEP_2) | instskip(NEXT) | instid1(VALU_DEP_2)
	v_add_f32_e32 v29, v29, v53
	v_rcp_f32_e32 v53, v65
	v_sub_f32_e32 v64, v64, v65
	s_delay_alu instid0(VALU_DEP_1) | instskip(NEXT) | instid1(VALU_DEP_1)
	v_dual_add_f32 v66, v54, v29 :: v_dual_add_f32 v55, v55, v64
	v_sub_f32_e32 v54, v54, v66
	s_waitcnt_depctr 0xfff
	v_mul_f32_e32 v67, v66, v53
	v_add_f32_e32 v29, v29, v54
	s_delay_alu instid0(VALU_DEP_2) | instskip(NEXT) | instid1(VALU_DEP_1)
	v_mul_f32_e32 v68, v65, v67
	v_fma_f32 v64, v67, v65, -v68
	s_delay_alu instid0(VALU_DEP_1) | instskip(NEXT) | instid1(VALU_DEP_1)
	v_fmac_f32_e32 v64, v67, v55
	v_add_f32_e32 v69, v68, v64
	s_delay_alu instid0(VALU_DEP_1) | instskip(SKIP_1) | instid1(VALU_DEP_2)
	v_sub_f32_e32 v70, v66, v69
	v_sub_f32_e32 v54, v69, v68
	v_sub_f32_e32 v66, v66, v70
	s_delay_alu instid0(VALU_DEP_2) | instskip(NEXT) | instid1(VALU_DEP_2)
	v_sub_f32_e32 v54, v54, v64
	v_sub_f32_e32 v66, v66, v69
	s_delay_alu instid0(VALU_DEP_1) | instskip(NEXT) | instid1(VALU_DEP_1)
	v_add_f32_e32 v29, v29, v66
	v_add_f32_e32 v29, v54, v29
	s_delay_alu instid0(VALU_DEP_1) | instskip(NEXT) | instid1(VALU_DEP_1)
	v_add_f32_e32 v54, v70, v29
	v_mul_f32_e32 v64, v53, v54
	s_delay_alu instid0(VALU_DEP_1) | instskip(NEXT) | instid1(VALU_DEP_1)
	v_dual_sub_f32 v69, v70, v54 :: v_dual_mul_f32 v66, v65, v64
	v_add_f32_e32 v29, v29, v69
	s_delay_alu instid0(VALU_DEP_2) | instskip(NEXT) | instid1(VALU_DEP_1)
	v_fma_f32 v65, v64, v65, -v66
	v_fmac_f32_e32 v65, v64, v55
	s_delay_alu instid0(VALU_DEP_1) | instskip(NEXT) | instid1(VALU_DEP_1)
	v_add_f32_e32 v55, v66, v65
	v_sub_f32_e32 v68, v54, v55
	v_sub_f32_e32 v66, v55, v66
	s_delay_alu instid0(VALU_DEP_2) | instskip(NEXT) | instid1(VALU_DEP_1)
	v_sub_f32_e32 v54, v54, v68
	v_sub_f32_e32 v54, v54, v55
	s_delay_alu instid0(VALU_DEP_3) | instskip(NEXT) | instid1(VALU_DEP_2)
	v_sub_f32_e32 v55, v66, v65
	v_dual_add_f32 v29, v29, v54 :: v_dual_add_f32 v54, v67, v64
	s_delay_alu instid0(VALU_DEP_1) | instskip(NEXT) | instid1(VALU_DEP_2)
	v_add_f32_e32 v29, v55, v29
	v_sub_f32_e32 v55, v54, v67
	s_delay_alu instid0(VALU_DEP_2) | instskip(NEXT) | instid1(VALU_DEP_2)
	v_add_f32_e32 v29, v68, v29
	v_sub_f32_e32 v55, v64, v55
	s_delay_alu instid0(VALU_DEP_2) | instskip(NEXT) | instid1(VALU_DEP_1)
	v_mul_f32_e32 v29, v53, v29
	v_add_f32_e32 v29, v55, v29
	s_delay_alu instid0(VALU_DEP_1) | instskip(NEXT) | instid1(VALU_DEP_1)
	v_add_f32_e32 v53, v54, v29
	v_mul_f32_e32 v55, v53, v53
	s_delay_alu instid0(VALU_DEP_1) | instskip(SKIP_2) | instid1(VALU_DEP_3)
	v_fmaak_f32 v64, s19, v55, 0x3ecc95a3
	v_mul_f32_e32 v65, v53, v55
	v_cmp_eq_f32_e64 s19, 0x7f800000, v52
	v_fmaak_f32 v55, v55, v64, 0x3f2aaada
	v_ldexp_f32 v64, v53, 1
	v_sub_f32_e32 v53, v53, v54
	s_delay_alu instid0(VALU_DEP_4) | instskip(NEXT) | instid1(VALU_DEP_3)
	s_or_b32 s19, s19, s21
	v_mul_f32_e32 v55, v65, v55
	v_mul_f32_e32 v65, 0x3f317218, v28
	s_delay_alu instid0(VALU_DEP_2) | instskip(NEXT) | instid1(VALU_DEP_1)
	v_dual_sub_f32 v29, v29, v53 :: v_dual_add_f32 v54, v64, v55
	v_ldexp_f32 v29, v29, 1
	s_delay_alu instid0(VALU_DEP_2) | instskip(NEXT) | instid1(VALU_DEP_4)
	v_sub_f32_e32 v53, v54, v64
	v_fma_f32 v64, 0x3f317218, v28, -v65
	s_delay_alu instid0(VALU_DEP_1) | instskip(NEXT) | instid1(VALU_DEP_1)
	v_dual_sub_f32 v53, v55, v53 :: v_dual_fmamk_f32 v28, v28, 0xb102e308, v64
	v_add_f32_e32 v29, v29, v53
	s_delay_alu instid0(VALU_DEP_2) | instskip(NEXT) | instid1(VALU_DEP_2)
	v_add_f32_e32 v53, v65, v28
	v_add_f32_e32 v55, v54, v29
	s_delay_alu instid0(VALU_DEP_2) | instskip(NEXT) | instid1(VALU_DEP_2)
	v_sub_f32_e32 v65, v53, v65
	v_add_f32_e32 v64, v53, v55
	v_sub_f32_e32 v54, v55, v54
	s_delay_alu instid0(VALU_DEP_3) | instskip(NEXT) | instid1(VALU_DEP_2)
	v_sub_f32_e32 v28, v28, v65
	v_dual_sub_f32 v66, v64, v53 :: v_dual_sub_f32 v29, v29, v54
	s_delay_alu instid0(VALU_DEP_1) | instskip(NEXT) | instid1(VALU_DEP_2)
	v_sub_f32_e32 v67, v64, v66
	v_dual_sub_f32 v54, v55, v66 :: v_dual_add_f32 v55, v28, v29
	s_delay_alu instid0(VALU_DEP_2) | instskip(NEXT) | instid1(VALU_DEP_1)
	v_sub_f32_e32 v53, v53, v67
	v_dual_add_f32 v53, v54, v53 :: v_dual_sub_f32 v54, v55, v28
	s_delay_alu instid0(VALU_DEP_1) | instskip(NEXT) | instid1(VALU_DEP_2)
	v_add_f32_e32 v53, v55, v53
	v_sub_f32_e32 v55, v55, v54
	v_sub_f32_e32 v29, v29, v54
	s_delay_alu instid0(VALU_DEP_3) | instskip(NEXT) | instid1(VALU_DEP_3)
	v_add_f32_e32 v65, v64, v53
	v_sub_f32_e32 v28, v28, v55
	s_delay_alu instid0(VALU_DEP_2) | instskip(NEXT) | instid1(VALU_DEP_2)
	v_sub_f32_e32 v54, v65, v64
	v_add_f32_e32 v28, v29, v28
	s_delay_alu instid0(VALU_DEP_2) | instskip(NEXT) | instid1(VALU_DEP_1)
	v_sub_f32_e32 v29, v53, v54
	v_add_f32_e32 v28, v28, v29
	s_delay_alu instid0(VALU_DEP_1) | instskip(NEXT) | instid1(VALU_DEP_1)
	v_add_f32_e32 v28, v65, v28
	v_cndmask_b32_e64 v28, v28, v52, s19
	s_delay_alu instid0(VALU_DEP_1) | instskip(NEXT) | instid1(VALU_DEP_1)
	v_add_f32_e32 v19, v19, v28
	v_cvt_f16_f32_e32 v29, v19
	s_delay_alu instid0(VALU_DEP_1)
	v_mov_b32_e32 v28, v29
	v_cvt_f32_f16_e32 v54, v29
.LBB410_278:
	s_or_b32 exec_lo, exec_lo, s20
	v_cvt_f32_f16_e32 v19, v37
	s_delay_alu instid0(VALU_DEP_2) | instskip(SKIP_1) | instid1(VALU_DEP_2)
	v_max_f32_e32 v52, v54, v54
	v_cmp_u_f16_e64 s19, v29, v29
	v_min_f32_e32 v53, v52, v19
	v_max_f32_e32 v52, v52, v19
	s_delay_alu instid0(VALU_DEP_2) | instskip(NEXT) | instid1(VALU_DEP_2)
	v_cndmask_b32_e64 v53, v53, v54, s19
	v_cndmask_b32_e64 v55, v52, v54, s19
	v_cmp_u_f16_e64 s19, v37, v37
	s_delay_alu instid0(VALU_DEP_1) | instskip(NEXT) | instid1(VALU_DEP_3)
	v_cndmask_b32_e64 v52, v53, v19, s19
	v_cndmask_b32_e64 v37, v55, v19, s19
	s_delay_alu instid0(VALU_DEP_2) | instskip(NEXT) | instid1(VALU_DEP_2)
	v_cmp_class_f32_e64 s21, v52, 0x1f8
	v_cmp_neq_f32_e64 s20, v52, v37
	s_delay_alu instid0(VALU_DEP_1) | instskip(NEXT) | instid1(SALU_CYCLE_1)
	s_or_b32 s20, s20, s21
	s_and_saveexec_b32 s21, s20
	s_cbranch_execz .LBB410_280
; %bb.279:
	v_sub_f32_e32 v28, v52, v37
	s_delay_alu instid0(VALU_DEP_1) | instskip(NEXT) | instid1(VALU_DEP_1)
	v_mul_f32_e32 v29, 0x3fb8aa3b, v28
	v_fma_f32 v52, 0x3fb8aa3b, v28, -v29
	v_rndne_f32_e32 v53, v29
	s_delay_alu instid0(VALU_DEP_1) | instskip(NEXT) | instid1(VALU_DEP_1)
	v_dual_fmamk_f32 v52, v28, 0x32a5705f, v52 :: v_dual_sub_f32 v29, v29, v53
	v_add_f32_e32 v29, v29, v52
	v_cvt_i32_f32_e32 v52, v53
	v_cmp_ngt_f32_e64 s20, 0xc2ce8ed0, v28
	s_delay_alu instid0(VALU_DEP_3) | instskip(SKIP_2) | instid1(VALU_DEP_1)
	v_exp_f32_e32 v29, v29
	s_waitcnt_depctr 0xfff
	v_ldexp_f32 v29, v29, v52
	v_cndmask_b32_e64 v29, 0, v29, s20
	v_cmp_nlt_f32_e64 s20, 0x42b17218, v28
	s_delay_alu instid0(VALU_DEP_1) | instskip(NEXT) | instid1(VALU_DEP_1)
	v_cndmask_b32_e64 v52, 0x7f800000, v29, s20
	v_add_f32_e32 v53, 1.0, v52
	v_cmp_gt_f32_e64 s24, 0x33800000, |v52|
	s_delay_alu instid0(VALU_DEP_2) | instskip(NEXT) | instid1(VALU_DEP_1)
	v_cvt_f64_f32_e32 v[28:29], v53
	v_frexp_exp_i32_f64_e32 v28, v[28:29]
	v_frexp_mant_f32_e32 v29, v53
	s_delay_alu instid0(VALU_DEP_1) | instskip(SKIP_1) | instid1(VALU_DEP_1)
	v_cmp_gt_f32_e64 s20, 0x3f2aaaab, v29
	v_add_f32_e32 v29, -1.0, v53
	v_sub_f32_e32 v55, v29, v53
	v_sub_f32_e32 v29, v52, v29
	s_delay_alu instid0(VALU_DEP_4) | instskip(SKIP_1) | instid1(VALU_DEP_1)
	v_subrev_co_ci_u32_e64 v28, s20, 0, v28, s20
	s_mov_b32 s20, 0x3e9b6dac
	v_sub_nc_u32_e32 v54, 0, v28
	v_cvt_f32_i32_e32 v28, v28
	s_delay_alu instid0(VALU_DEP_2) | instskip(NEXT) | instid1(VALU_DEP_1)
	v_ldexp_f32 v53, v53, v54
	v_dual_add_f32 v55, 1.0, v55 :: v_dual_add_f32 v64, 1.0, v53
	s_delay_alu instid0(VALU_DEP_1) | instskip(NEXT) | instid1(VALU_DEP_2)
	v_add_f32_e32 v29, v29, v55
	v_add_f32_e32 v55, -1.0, v64
	s_delay_alu instid0(VALU_DEP_2) | instskip(NEXT) | instid1(VALU_DEP_2)
	v_ldexp_f32 v29, v29, v54
	v_dual_add_f32 v54, -1.0, v53 :: v_dual_sub_f32 v55, v53, v55
	s_delay_alu instid0(VALU_DEP_1) | instskip(NEXT) | instid1(VALU_DEP_2)
	v_add_f32_e32 v65, 1.0, v54
	v_add_f32_e32 v55, v29, v55
	s_delay_alu instid0(VALU_DEP_2) | instskip(NEXT) | instid1(VALU_DEP_2)
	v_sub_f32_e32 v53, v53, v65
	v_add_f32_e32 v65, v64, v55
	s_delay_alu instid0(VALU_DEP_2) | instskip(NEXT) | instid1(VALU_DEP_2)
	v_add_f32_e32 v29, v29, v53
	v_rcp_f32_e32 v53, v65
	v_sub_f32_e32 v64, v64, v65
	s_delay_alu instid0(VALU_DEP_1) | instskip(NEXT) | instid1(VALU_DEP_1)
	v_dual_add_f32 v66, v54, v29 :: v_dual_add_f32 v55, v55, v64
	v_sub_f32_e32 v54, v54, v66
	s_waitcnt_depctr 0xfff
	v_mul_f32_e32 v67, v66, v53
	v_add_f32_e32 v29, v29, v54
	s_delay_alu instid0(VALU_DEP_2) | instskip(NEXT) | instid1(VALU_DEP_1)
	v_mul_f32_e32 v68, v65, v67
	v_fma_f32 v64, v67, v65, -v68
	s_delay_alu instid0(VALU_DEP_1) | instskip(NEXT) | instid1(VALU_DEP_1)
	v_fmac_f32_e32 v64, v67, v55
	v_add_f32_e32 v69, v68, v64
	s_delay_alu instid0(VALU_DEP_1) | instskip(SKIP_1) | instid1(VALU_DEP_2)
	v_sub_f32_e32 v70, v66, v69
	v_sub_f32_e32 v54, v69, v68
	;; [unrolled: 1-line block ×3, first 2 shown]
	s_delay_alu instid0(VALU_DEP_2) | instskip(NEXT) | instid1(VALU_DEP_2)
	v_sub_f32_e32 v54, v54, v64
	v_sub_f32_e32 v66, v66, v69
	s_delay_alu instid0(VALU_DEP_1) | instskip(NEXT) | instid1(VALU_DEP_1)
	v_add_f32_e32 v29, v29, v66
	v_add_f32_e32 v29, v54, v29
	s_delay_alu instid0(VALU_DEP_1) | instskip(NEXT) | instid1(VALU_DEP_1)
	v_add_f32_e32 v54, v70, v29
	v_mul_f32_e32 v64, v53, v54
	s_delay_alu instid0(VALU_DEP_1) | instskip(NEXT) | instid1(VALU_DEP_1)
	v_dual_sub_f32 v69, v70, v54 :: v_dual_mul_f32 v66, v65, v64
	v_add_f32_e32 v29, v29, v69
	s_delay_alu instid0(VALU_DEP_2) | instskip(NEXT) | instid1(VALU_DEP_1)
	v_fma_f32 v65, v64, v65, -v66
	v_fmac_f32_e32 v65, v64, v55
	s_delay_alu instid0(VALU_DEP_1) | instskip(NEXT) | instid1(VALU_DEP_1)
	v_add_f32_e32 v55, v66, v65
	v_sub_f32_e32 v68, v54, v55
	v_sub_f32_e32 v66, v55, v66
	s_delay_alu instid0(VALU_DEP_2) | instskip(NEXT) | instid1(VALU_DEP_1)
	v_sub_f32_e32 v54, v54, v68
	v_sub_f32_e32 v54, v54, v55
	s_delay_alu instid0(VALU_DEP_1) | instskip(NEXT) | instid1(VALU_DEP_4)
	v_dual_add_f32 v29, v29, v54 :: v_dual_add_f32 v54, v67, v64
	v_sub_f32_e32 v55, v66, v65
	s_delay_alu instid0(VALU_DEP_1) | instskip(NEXT) | instid1(VALU_DEP_3)
	v_add_f32_e32 v29, v55, v29
	v_sub_f32_e32 v55, v54, v67
	s_delay_alu instid0(VALU_DEP_2) | instskip(NEXT) | instid1(VALU_DEP_2)
	v_add_f32_e32 v29, v68, v29
	v_sub_f32_e32 v55, v64, v55
	s_delay_alu instid0(VALU_DEP_2) | instskip(NEXT) | instid1(VALU_DEP_1)
	v_mul_f32_e32 v29, v53, v29
	v_add_f32_e32 v29, v55, v29
	s_delay_alu instid0(VALU_DEP_1) | instskip(NEXT) | instid1(VALU_DEP_1)
	v_add_f32_e32 v53, v54, v29
	v_mul_f32_e32 v55, v53, v53
	s_delay_alu instid0(VALU_DEP_1) | instskip(SKIP_2) | instid1(VALU_DEP_3)
	v_fmaak_f32 v64, s20, v55, 0x3ecc95a3
	v_mul_f32_e32 v65, v53, v55
	v_cmp_eq_f32_e64 s20, 0x7f800000, v52
	v_fmaak_f32 v55, v55, v64, 0x3f2aaada
	v_ldexp_f32 v64, v53, 1
	v_sub_f32_e32 v53, v53, v54
	s_delay_alu instid0(VALU_DEP_4) | instskip(NEXT) | instid1(VALU_DEP_3)
	s_or_b32 s20, s20, s24
	v_mul_f32_e32 v55, v65, v55
	v_mul_f32_e32 v65, 0x3f317218, v28
	s_delay_alu instid0(VALU_DEP_2) | instskip(NEXT) | instid1(VALU_DEP_1)
	v_dual_sub_f32 v29, v29, v53 :: v_dual_add_f32 v54, v64, v55
	v_ldexp_f32 v29, v29, 1
	s_delay_alu instid0(VALU_DEP_2) | instskip(NEXT) | instid1(VALU_DEP_4)
	v_sub_f32_e32 v53, v54, v64
	v_fma_f32 v64, 0x3f317218, v28, -v65
	s_delay_alu instid0(VALU_DEP_1) | instskip(NEXT) | instid1(VALU_DEP_1)
	v_dual_sub_f32 v53, v55, v53 :: v_dual_fmamk_f32 v28, v28, 0xb102e308, v64
	v_add_f32_e32 v29, v29, v53
	s_delay_alu instid0(VALU_DEP_2) | instskip(NEXT) | instid1(VALU_DEP_2)
	v_add_f32_e32 v53, v65, v28
	v_add_f32_e32 v55, v54, v29
	s_delay_alu instid0(VALU_DEP_2) | instskip(NEXT) | instid1(VALU_DEP_2)
	v_sub_f32_e32 v65, v53, v65
	v_add_f32_e32 v64, v53, v55
	v_sub_f32_e32 v54, v55, v54
	s_delay_alu instid0(VALU_DEP_3) | instskip(NEXT) | instid1(VALU_DEP_2)
	v_sub_f32_e32 v28, v28, v65
	v_dual_sub_f32 v66, v64, v53 :: v_dual_sub_f32 v29, v29, v54
	s_delay_alu instid0(VALU_DEP_1) | instskip(NEXT) | instid1(VALU_DEP_2)
	v_sub_f32_e32 v67, v64, v66
	v_dual_sub_f32 v54, v55, v66 :: v_dual_add_f32 v55, v28, v29
	s_delay_alu instid0(VALU_DEP_2) | instskip(NEXT) | instid1(VALU_DEP_1)
	v_sub_f32_e32 v53, v53, v67
	v_dual_add_f32 v53, v54, v53 :: v_dual_sub_f32 v54, v55, v28
	s_delay_alu instid0(VALU_DEP_1) | instskip(NEXT) | instid1(VALU_DEP_2)
	v_add_f32_e32 v53, v55, v53
	v_sub_f32_e32 v55, v55, v54
	v_sub_f32_e32 v29, v29, v54
	s_delay_alu instid0(VALU_DEP_3) | instskip(NEXT) | instid1(VALU_DEP_3)
	v_add_f32_e32 v65, v64, v53
	v_sub_f32_e32 v28, v28, v55
	s_delay_alu instid0(VALU_DEP_2) | instskip(NEXT) | instid1(VALU_DEP_2)
	v_sub_f32_e32 v54, v65, v64
	v_add_f32_e32 v28, v29, v28
	s_delay_alu instid0(VALU_DEP_2) | instskip(NEXT) | instid1(VALU_DEP_1)
	v_sub_f32_e32 v29, v53, v54
	v_add_f32_e32 v28, v28, v29
	s_delay_alu instid0(VALU_DEP_1) | instskip(NEXT) | instid1(VALU_DEP_1)
	v_add_f32_e32 v28, v65, v28
	v_cndmask_b32_e64 v28, v28, v52, s20
	s_delay_alu instid0(VALU_DEP_1) | instskip(NEXT) | instid1(VALU_DEP_1)
	v_add_f32_e32 v28, v37, v28
	v_cvt_f16_f32_e32 v29, v28
	s_delay_alu instid0(VALU_DEP_1)
	v_cvt_f32_f16_e32 v54, v29
	v_mov_b32_e32 v28, v29
.LBB410_280:
	s_or_b32 exec_lo, exec_lo, s21
	v_cvt_f32_f16_e32 v37, v36
	s_delay_alu instid0(VALU_DEP_3) | instskip(SKIP_1) | instid1(VALU_DEP_2)
	v_max_f32_e32 v52, v54, v54
	v_cmp_u_f16_e64 s20, v29, v29
	v_min_f32_e32 v53, v52, v37
	v_max_f32_e32 v52, v52, v37
	s_delay_alu instid0(VALU_DEP_2) | instskip(NEXT) | instid1(VALU_DEP_2)
	v_cndmask_b32_e64 v53, v53, v54, s20
	v_cndmask_b32_e64 v55, v52, v54, s20
	v_cmp_u_f16_e64 s20, v36, v36
	s_delay_alu instid0(VALU_DEP_1) | instskip(NEXT) | instid1(VALU_DEP_3)
	v_cndmask_b32_e64 v52, v53, v37, s20
	v_cndmask_b32_e64 v36, v55, v37, s20
	s_delay_alu instid0(VALU_DEP_2) | instskip(NEXT) | instid1(VALU_DEP_2)
	v_cmp_class_f32_e64 s24, v52, 0x1f8
	v_cmp_neq_f32_e64 s21, v52, v36
	s_delay_alu instid0(VALU_DEP_1) | instskip(NEXT) | instid1(SALU_CYCLE_1)
	s_or_b32 s21, s21, s24
	s_and_saveexec_b32 s24, s21
	s_cbranch_execz .LBB410_282
; %bb.281:
	v_sub_f32_e32 v28, v52, v36
	s_delay_alu instid0(VALU_DEP_1) | instskip(NEXT) | instid1(VALU_DEP_1)
	v_mul_f32_e32 v29, 0x3fb8aa3b, v28
	v_fma_f32 v52, 0x3fb8aa3b, v28, -v29
	v_rndne_f32_e32 v53, v29
	s_delay_alu instid0(VALU_DEP_1) | instskip(SKIP_1) | instid1(VALU_DEP_2)
	v_dual_sub_f32 v29, v29, v53 :: v_dual_fmamk_f32 v52, v28, 0x32a5705f, v52
	v_cmp_ngt_f32_e64 s21, 0xc2ce8ed0, v28
	v_add_f32_e32 v29, v29, v52
	v_cvt_i32_f32_e32 v52, v53
	s_delay_alu instid0(VALU_DEP_2) | instskip(SKIP_2) | instid1(VALU_DEP_1)
	v_exp_f32_e32 v29, v29
	s_waitcnt_depctr 0xfff
	v_ldexp_f32 v29, v29, v52
	v_cndmask_b32_e64 v29, 0, v29, s21
	v_cmp_nlt_f32_e64 s21, 0x42b17218, v28
	s_delay_alu instid0(VALU_DEP_1) | instskip(NEXT) | instid1(VALU_DEP_1)
	v_cndmask_b32_e64 v52, 0x7f800000, v29, s21
	v_add_f32_e32 v53, 1.0, v52
	v_cmp_gt_f32_e64 s25, 0x33800000, |v52|
	s_delay_alu instid0(VALU_DEP_2) | instskip(NEXT) | instid1(VALU_DEP_1)
	v_cvt_f64_f32_e32 v[28:29], v53
	v_frexp_exp_i32_f64_e32 v28, v[28:29]
	v_frexp_mant_f32_e32 v29, v53
	s_delay_alu instid0(VALU_DEP_1) | instskip(SKIP_1) | instid1(VALU_DEP_1)
	v_cmp_gt_f32_e64 s21, 0x3f2aaaab, v29
	v_add_f32_e32 v29, -1.0, v53
	v_sub_f32_e32 v55, v29, v53
	v_sub_f32_e32 v29, v52, v29
	s_delay_alu instid0(VALU_DEP_4) | instskip(SKIP_1) | instid1(VALU_DEP_1)
	v_subrev_co_ci_u32_e64 v28, s21, 0, v28, s21
	s_mov_b32 s21, 0x3e9b6dac
	v_sub_nc_u32_e32 v54, 0, v28
	v_cvt_f32_i32_e32 v28, v28
	s_delay_alu instid0(VALU_DEP_2) | instskip(NEXT) | instid1(VALU_DEP_1)
	v_ldexp_f32 v53, v53, v54
	v_dual_add_f32 v64, 1.0, v53 :: v_dual_add_f32 v55, 1.0, v55
	s_delay_alu instid0(VALU_DEP_1) | instskip(NEXT) | instid1(VALU_DEP_2)
	v_add_f32_e32 v29, v29, v55
	v_add_f32_e32 v55, -1.0, v64
	s_delay_alu instid0(VALU_DEP_2) | instskip(NEXT) | instid1(VALU_DEP_2)
	v_ldexp_f32 v29, v29, v54
	v_dual_add_f32 v54, -1.0, v53 :: v_dual_sub_f32 v55, v53, v55
	s_delay_alu instid0(VALU_DEP_1) | instskip(NEXT) | instid1(VALU_DEP_2)
	v_add_f32_e32 v65, 1.0, v54
	v_add_f32_e32 v55, v29, v55
	s_delay_alu instid0(VALU_DEP_2) | instskip(NEXT) | instid1(VALU_DEP_2)
	v_sub_f32_e32 v53, v53, v65
	v_add_f32_e32 v65, v64, v55
	s_delay_alu instid0(VALU_DEP_2) | instskip(NEXT) | instid1(VALU_DEP_2)
	v_add_f32_e32 v29, v29, v53
	v_rcp_f32_e32 v53, v65
	v_sub_f32_e32 v64, v64, v65
	s_delay_alu instid0(VALU_DEP_1) | instskip(NEXT) | instid1(VALU_DEP_1)
	v_dual_add_f32 v66, v54, v29 :: v_dual_add_f32 v55, v55, v64
	v_sub_f32_e32 v54, v54, v66
	s_waitcnt_depctr 0xfff
	v_mul_f32_e32 v67, v66, v53
	v_add_f32_e32 v29, v29, v54
	s_delay_alu instid0(VALU_DEP_2) | instskip(NEXT) | instid1(VALU_DEP_1)
	v_mul_f32_e32 v68, v65, v67
	v_fma_f32 v64, v67, v65, -v68
	s_delay_alu instid0(VALU_DEP_1) | instskip(NEXT) | instid1(VALU_DEP_1)
	v_fmac_f32_e32 v64, v67, v55
	v_add_f32_e32 v69, v68, v64
	s_delay_alu instid0(VALU_DEP_1) | instskip(SKIP_1) | instid1(VALU_DEP_2)
	v_sub_f32_e32 v70, v66, v69
	v_sub_f32_e32 v54, v69, v68
	;; [unrolled: 1-line block ×3, first 2 shown]
	s_delay_alu instid0(VALU_DEP_2) | instskip(NEXT) | instid1(VALU_DEP_2)
	v_sub_f32_e32 v54, v54, v64
	v_sub_f32_e32 v66, v66, v69
	s_delay_alu instid0(VALU_DEP_1) | instskip(NEXT) | instid1(VALU_DEP_1)
	v_add_f32_e32 v29, v29, v66
	v_add_f32_e32 v29, v54, v29
	s_delay_alu instid0(VALU_DEP_1) | instskip(NEXT) | instid1(VALU_DEP_1)
	v_add_f32_e32 v54, v70, v29
	v_mul_f32_e32 v64, v53, v54
	s_delay_alu instid0(VALU_DEP_1) | instskip(NEXT) | instid1(VALU_DEP_1)
	v_dual_sub_f32 v69, v70, v54 :: v_dual_mul_f32 v66, v65, v64
	v_add_f32_e32 v29, v29, v69
	s_delay_alu instid0(VALU_DEP_2) | instskip(NEXT) | instid1(VALU_DEP_1)
	v_fma_f32 v65, v64, v65, -v66
	v_fmac_f32_e32 v65, v64, v55
	s_delay_alu instid0(VALU_DEP_1) | instskip(NEXT) | instid1(VALU_DEP_1)
	v_add_f32_e32 v55, v66, v65
	v_sub_f32_e32 v68, v54, v55
	v_sub_f32_e32 v66, v55, v66
	s_delay_alu instid0(VALU_DEP_2) | instskip(NEXT) | instid1(VALU_DEP_1)
	v_sub_f32_e32 v54, v54, v68
	v_sub_f32_e32 v54, v54, v55
	s_delay_alu instid0(VALU_DEP_3) | instskip(NEXT) | instid1(VALU_DEP_2)
	v_sub_f32_e32 v55, v66, v65
	v_dual_add_f32 v29, v29, v54 :: v_dual_add_f32 v54, v67, v64
	s_delay_alu instid0(VALU_DEP_1) | instskip(NEXT) | instid1(VALU_DEP_2)
	v_add_f32_e32 v29, v55, v29
	v_sub_f32_e32 v55, v54, v67
	s_delay_alu instid0(VALU_DEP_2) | instskip(NEXT) | instid1(VALU_DEP_2)
	v_add_f32_e32 v29, v68, v29
	v_sub_f32_e32 v55, v64, v55
	s_delay_alu instid0(VALU_DEP_2) | instskip(NEXT) | instid1(VALU_DEP_1)
	v_mul_f32_e32 v29, v53, v29
	v_add_f32_e32 v29, v55, v29
	s_delay_alu instid0(VALU_DEP_1) | instskip(NEXT) | instid1(VALU_DEP_1)
	v_add_f32_e32 v53, v54, v29
	v_mul_f32_e32 v55, v53, v53
	s_delay_alu instid0(VALU_DEP_1) | instskip(SKIP_2) | instid1(VALU_DEP_3)
	v_fmaak_f32 v64, s21, v55, 0x3ecc95a3
	v_mul_f32_e32 v65, v53, v55
	v_cmp_eq_f32_e64 s21, 0x7f800000, v52
	v_fmaak_f32 v55, v55, v64, 0x3f2aaada
	v_ldexp_f32 v64, v53, 1
	v_sub_f32_e32 v53, v53, v54
	s_delay_alu instid0(VALU_DEP_4) | instskip(NEXT) | instid1(VALU_DEP_3)
	s_or_b32 s21, s21, s25
	v_mul_f32_e32 v55, v65, v55
	v_mul_f32_e32 v65, 0x3f317218, v28
	s_delay_alu instid0(VALU_DEP_2) | instskip(NEXT) | instid1(VALU_DEP_1)
	v_dual_sub_f32 v29, v29, v53 :: v_dual_add_f32 v54, v64, v55
	v_ldexp_f32 v29, v29, 1
	s_delay_alu instid0(VALU_DEP_2) | instskip(NEXT) | instid1(VALU_DEP_4)
	v_sub_f32_e32 v53, v54, v64
	v_fma_f32 v64, 0x3f317218, v28, -v65
	s_delay_alu instid0(VALU_DEP_1) | instskip(NEXT) | instid1(VALU_DEP_1)
	v_dual_sub_f32 v53, v55, v53 :: v_dual_fmamk_f32 v28, v28, 0xb102e308, v64
	v_add_f32_e32 v29, v29, v53
	s_delay_alu instid0(VALU_DEP_2) | instskip(NEXT) | instid1(VALU_DEP_2)
	v_add_f32_e32 v53, v65, v28
	v_add_f32_e32 v55, v54, v29
	s_delay_alu instid0(VALU_DEP_2) | instskip(NEXT) | instid1(VALU_DEP_2)
	v_sub_f32_e32 v65, v53, v65
	v_add_f32_e32 v64, v53, v55
	v_sub_f32_e32 v54, v55, v54
	s_delay_alu instid0(VALU_DEP_3) | instskip(NEXT) | instid1(VALU_DEP_2)
	v_sub_f32_e32 v28, v28, v65
	v_dual_sub_f32 v66, v64, v53 :: v_dual_sub_f32 v29, v29, v54
	s_delay_alu instid0(VALU_DEP_1) | instskip(NEXT) | instid1(VALU_DEP_2)
	v_sub_f32_e32 v67, v64, v66
	v_dual_sub_f32 v54, v55, v66 :: v_dual_add_f32 v55, v28, v29
	s_delay_alu instid0(VALU_DEP_2) | instskip(NEXT) | instid1(VALU_DEP_1)
	v_sub_f32_e32 v53, v53, v67
	v_dual_add_f32 v53, v54, v53 :: v_dual_sub_f32 v54, v55, v28
	s_delay_alu instid0(VALU_DEP_1) | instskip(NEXT) | instid1(VALU_DEP_2)
	v_add_f32_e32 v53, v55, v53
	v_sub_f32_e32 v55, v55, v54
	v_sub_f32_e32 v29, v29, v54
	s_delay_alu instid0(VALU_DEP_3) | instskip(NEXT) | instid1(VALU_DEP_3)
	v_add_f32_e32 v65, v64, v53
	v_sub_f32_e32 v28, v28, v55
	s_delay_alu instid0(VALU_DEP_2) | instskip(NEXT) | instid1(VALU_DEP_2)
	v_sub_f32_e32 v54, v65, v64
	v_add_f32_e32 v28, v29, v28
	s_delay_alu instid0(VALU_DEP_2) | instskip(NEXT) | instid1(VALU_DEP_1)
	v_sub_f32_e32 v29, v53, v54
	v_add_f32_e32 v28, v28, v29
	s_delay_alu instid0(VALU_DEP_1) | instskip(NEXT) | instid1(VALU_DEP_1)
	v_add_f32_e32 v28, v65, v28
	v_cndmask_b32_e64 v28, v28, v52, s21
	s_delay_alu instid0(VALU_DEP_1) | instskip(NEXT) | instid1(VALU_DEP_1)
	v_add_f32_e32 v28, v36, v28
	v_cvt_f16_f32_e32 v29, v28
	s_delay_alu instid0(VALU_DEP_1)
	v_mov_b32_e32 v28, v29
	v_cvt_f32_f16_e32 v54, v29
.LBB410_282:
	s_or_b32 exec_lo, exec_lo, s24
	v_cvt_f32_f16_e32 v36, v35
	s_delay_alu instid0(VALU_DEP_2) | instskip(SKIP_1) | instid1(VALU_DEP_2)
	v_max_f32_e32 v52, v54, v54
	v_cmp_u_f16_e64 s21, v29, v29
	v_min_f32_e32 v53, v52, v36
	v_max_f32_e32 v52, v52, v36
	s_delay_alu instid0(VALU_DEP_2) | instskip(NEXT) | instid1(VALU_DEP_2)
	v_cndmask_b32_e64 v29, v53, v54, s21
	v_cndmask_b32_e64 v52, v52, v54, s21
	v_cmp_u_f16_e64 s21, v35, v35
	s_delay_alu instid0(VALU_DEP_1) | instskip(NEXT) | instid1(VALU_DEP_3)
	v_cndmask_b32_e64 v35, v29, v36, s21
	v_cndmask_b32_e64 v29, v52, v36, s21
	s_delay_alu instid0(VALU_DEP_2) | instskip(NEXT) | instid1(VALU_DEP_2)
	v_cmp_class_f32_e64 s25, v35, 0x1f8
	v_cmp_neq_f32_e64 s24, v35, v29
	s_delay_alu instid0(VALU_DEP_1) | instskip(NEXT) | instid1(SALU_CYCLE_1)
	s_or_b32 s24, s24, s25
	s_and_saveexec_b32 s25, s24
	s_cbranch_execz .LBB410_284
; %bb.283:
	v_sub_f32_e32 v28, v35, v29
	s_delay_alu instid0(VALU_DEP_1) | instskip(SKIP_1) | instid1(VALU_DEP_2)
	v_mul_f32_e32 v35, 0x3fb8aa3b, v28
	v_cmp_ngt_f32_e64 s24, 0xc2ce8ed0, v28
	v_fma_f32 v52, 0x3fb8aa3b, v28, -v35
	v_rndne_f32_e32 v53, v35
	s_delay_alu instid0(VALU_DEP_1) | instskip(NEXT) | instid1(VALU_DEP_1)
	v_dual_fmamk_f32 v52, v28, 0x32a5705f, v52 :: v_dual_sub_f32 v35, v35, v53
	v_add_f32_e32 v35, v35, v52
	v_cvt_i32_f32_e32 v52, v53
	s_delay_alu instid0(VALU_DEP_2) | instskip(SKIP_2) | instid1(VALU_DEP_1)
	v_exp_f32_e32 v35, v35
	s_waitcnt_depctr 0xfff
	v_ldexp_f32 v35, v35, v52
	v_cndmask_b32_e64 v35, 0, v35, s24
	v_cmp_nlt_f32_e64 s24, 0x42b17218, v28
	s_delay_alu instid0(VALU_DEP_1) | instskip(NEXT) | instid1(VALU_DEP_1)
	v_cndmask_b32_e64 v28, 0x7f800000, v35, s24
	v_add_f32_e32 v35, 1.0, v28
	v_cmp_gt_f32_e64 s26, 0x33800000, |v28|
	s_delay_alu instid0(VALU_DEP_2) | instskip(NEXT) | instid1(VALU_DEP_1)
	v_cvt_f64_f32_e32 v[52:53], v35
	v_frexp_exp_i32_f64_e32 v52, v[52:53]
	v_frexp_mant_f32_e32 v53, v35
	s_delay_alu instid0(VALU_DEP_1) | instskip(SKIP_1) | instid1(VALU_DEP_1)
	v_cmp_gt_f32_e64 s24, 0x3f2aaaab, v53
	v_add_f32_e32 v53, -1.0, v35
	v_sub_f32_e32 v55, v53, v35
	s_delay_alu instid0(VALU_DEP_1) | instskip(NEXT) | instid1(VALU_DEP_4)
	v_add_f32_e32 v55, 1.0, v55
	v_subrev_co_ci_u32_e64 v52, s24, 0, v52, s24
	s_mov_b32 s24, 0x3e9b6dac
	s_delay_alu instid0(VALU_DEP_1) | instskip(SKIP_1) | instid1(VALU_DEP_2)
	v_sub_nc_u32_e32 v54, 0, v52
	v_cvt_f32_i32_e32 v52, v52
	v_ldexp_f32 v35, v35, v54
	s_delay_alu instid0(VALU_DEP_1) | instskip(NEXT) | instid1(VALU_DEP_1)
	v_dual_sub_f32 v53, v28, v53 :: v_dual_add_f32 v64, 1.0, v35
	v_add_f32_e32 v53, v53, v55
	s_delay_alu instid0(VALU_DEP_2) | instskip(NEXT) | instid1(VALU_DEP_2)
	v_add_f32_e32 v55, -1.0, v64
	v_ldexp_f32 v53, v53, v54
	v_add_f32_e32 v54, -1.0, v35
	s_delay_alu instid0(VALU_DEP_3) | instskip(NEXT) | instid1(VALU_DEP_2)
	v_sub_f32_e32 v55, v35, v55
	v_add_f32_e32 v65, 1.0, v54
	s_delay_alu instid0(VALU_DEP_2) | instskip(NEXT) | instid1(VALU_DEP_2)
	v_add_f32_e32 v55, v53, v55
	v_sub_f32_e32 v35, v35, v65
	s_delay_alu instid0(VALU_DEP_2) | instskip(NEXT) | instid1(VALU_DEP_2)
	v_add_f32_e32 v65, v64, v55
	v_add_f32_e32 v35, v53, v35
	s_delay_alu instid0(VALU_DEP_2) | instskip(SKIP_1) | instid1(VALU_DEP_1)
	v_rcp_f32_e32 v53, v65
	v_sub_f32_e32 v64, v64, v65
	v_dual_add_f32 v66, v54, v35 :: v_dual_add_f32 v55, v55, v64
	s_delay_alu instid0(VALU_DEP_1) | instskip(SKIP_2) | instid1(VALU_DEP_1)
	v_sub_f32_e32 v54, v54, v66
	s_waitcnt_depctr 0xfff
	v_mul_f32_e32 v67, v66, v53
	v_dual_add_f32 v35, v35, v54 :: v_dual_mul_f32 v68, v65, v67
	s_delay_alu instid0(VALU_DEP_1) | instskip(NEXT) | instid1(VALU_DEP_1)
	v_fma_f32 v64, v67, v65, -v68
	v_fmac_f32_e32 v64, v67, v55
	s_delay_alu instid0(VALU_DEP_1) | instskip(NEXT) | instid1(VALU_DEP_1)
	v_add_f32_e32 v69, v68, v64
	v_sub_f32_e32 v70, v66, v69
	v_sub_f32_e32 v54, v69, v68
	s_delay_alu instid0(VALU_DEP_2) | instskip(NEXT) | instid1(VALU_DEP_2)
	v_sub_f32_e32 v66, v66, v70
	v_sub_f32_e32 v54, v54, v64
	s_delay_alu instid0(VALU_DEP_2) | instskip(NEXT) | instid1(VALU_DEP_1)
	v_sub_f32_e32 v66, v66, v69
	v_add_f32_e32 v35, v35, v66
	s_delay_alu instid0(VALU_DEP_1) | instskip(NEXT) | instid1(VALU_DEP_1)
	v_add_f32_e32 v35, v54, v35
	v_add_f32_e32 v54, v70, v35
	s_delay_alu instid0(VALU_DEP_1) | instskip(NEXT) | instid1(VALU_DEP_1)
	v_mul_f32_e32 v64, v53, v54
	v_dual_sub_f32 v69, v70, v54 :: v_dual_mul_f32 v66, v65, v64
	s_delay_alu instid0(VALU_DEP_1) | instskip(NEXT) | instid1(VALU_DEP_1)
	v_fma_f32 v65, v64, v65, -v66
	v_fmac_f32_e32 v65, v64, v55
	s_delay_alu instid0(VALU_DEP_1) | instskip(NEXT) | instid1(VALU_DEP_1)
	v_add_f32_e32 v55, v66, v65
	v_sub_f32_e32 v68, v54, v55
	v_sub_f32_e32 v66, v55, v66
	s_delay_alu instid0(VALU_DEP_2) | instskip(NEXT) | instid1(VALU_DEP_1)
	v_dual_add_f32 v35, v35, v69 :: v_dual_sub_f32 v54, v54, v68
	v_sub_f32_e32 v54, v54, v55
	s_delay_alu instid0(VALU_DEP_1) | instskip(NEXT) | instid1(VALU_DEP_4)
	v_add_f32_e32 v35, v35, v54
	v_dual_add_f32 v54, v67, v64 :: v_dual_sub_f32 v55, v66, v65
	s_delay_alu instid0(VALU_DEP_1) | instskip(NEXT) | instid1(VALU_DEP_2)
	v_add_f32_e32 v35, v55, v35
	v_sub_f32_e32 v55, v54, v67
	s_delay_alu instid0(VALU_DEP_2) | instskip(NEXT) | instid1(VALU_DEP_2)
	v_add_f32_e32 v35, v68, v35
	v_sub_f32_e32 v55, v64, v55
	s_delay_alu instid0(VALU_DEP_2) | instskip(NEXT) | instid1(VALU_DEP_1)
	v_mul_f32_e32 v35, v53, v35
	v_add_f32_e32 v35, v55, v35
	s_delay_alu instid0(VALU_DEP_1) | instskip(NEXT) | instid1(VALU_DEP_1)
	v_add_f32_e32 v53, v54, v35
	v_mul_f32_e32 v55, v53, v53
	s_delay_alu instid0(VALU_DEP_1) | instskip(SKIP_2) | instid1(VALU_DEP_3)
	v_fmaak_f32 v64, s24, v55, 0x3ecc95a3
	v_mul_f32_e32 v65, v53, v55
	v_cmp_eq_f32_e64 s24, 0x7f800000, v28
	v_fmaak_f32 v55, v55, v64, 0x3f2aaada
	v_ldexp_f32 v64, v53, 1
	v_sub_f32_e32 v53, v53, v54
	s_delay_alu instid0(VALU_DEP_4) | instskip(NEXT) | instid1(VALU_DEP_3)
	s_or_b32 s24, s24, s26
	v_mul_f32_e32 v55, v65, v55
	v_mul_f32_e32 v65, 0x3f317218, v52
	s_delay_alu instid0(VALU_DEP_2) | instskip(NEXT) | instid1(VALU_DEP_1)
	v_dual_sub_f32 v35, v35, v53 :: v_dual_add_f32 v54, v64, v55
	v_ldexp_f32 v35, v35, 1
	s_delay_alu instid0(VALU_DEP_2) | instskip(NEXT) | instid1(VALU_DEP_4)
	v_sub_f32_e32 v53, v54, v64
	v_fma_f32 v64, 0x3f317218, v52, -v65
	s_delay_alu instid0(VALU_DEP_1) | instskip(NEXT) | instid1(VALU_DEP_1)
	v_dual_sub_f32 v53, v55, v53 :: v_dual_fmamk_f32 v52, v52, 0xb102e308, v64
	v_add_f32_e32 v35, v35, v53
	s_delay_alu instid0(VALU_DEP_2) | instskip(NEXT) | instid1(VALU_DEP_2)
	v_add_f32_e32 v53, v65, v52
	v_add_f32_e32 v55, v54, v35
	s_delay_alu instid0(VALU_DEP_2) | instskip(NEXT) | instid1(VALU_DEP_2)
	v_sub_f32_e32 v65, v53, v65
	v_add_f32_e32 v64, v53, v55
	v_sub_f32_e32 v54, v55, v54
	s_delay_alu instid0(VALU_DEP_3) | instskip(NEXT) | instid1(VALU_DEP_2)
	v_sub_f32_e32 v52, v52, v65
	v_dual_sub_f32 v66, v64, v53 :: v_dual_sub_f32 v35, v35, v54
	s_delay_alu instid0(VALU_DEP_1) | instskip(NEXT) | instid1(VALU_DEP_2)
	v_sub_f32_e32 v67, v64, v66
	v_dual_sub_f32 v54, v55, v66 :: v_dual_add_f32 v55, v52, v35
	s_delay_alu instid0(VALU_DEP_2) | instskip(NEXT) | instid1(VALU_DEP_1)
	v_sub_f32_e32 v53, v53, v67
	v_dual_add_f32 v53, v54, v53 :: v_dual_sub_f32 v54, v55, v52
	s_delay_alu instid0(VALU_DEP_1) | instskip(NEXT) | instid1(VALU_DEP_2)
	v_add_f32_e32 v53, v55, v53
	v_sub_f32_e32 v55, v55, v54
	v_sub_f32_e32 v35, v35, v54
	s_delay_alu instid0(VALU_DEP_3) | instskip(NEXT) | instid1(VALU_DEP_3)
	v_add_f32_e32 v65, v64, v53
	v_sub_f32_e32 v52, v52, v55
	s_delay_alu instid0(VALU_DEP_2) | instskip(NEXT) | instid1(VALU_DEP_1)
	v_sub_f32_e32 v54, v65, v64
	v_dual_add_f32 v35, v35, v52 :: v_dual_sub_f32 v52, v53, v54
	s_delay_alu instid0(VALU_DEP_1) | instskip(NEXT) | instid1(VALU_DEP_1)
	v_add_f32_e32 v35, v35, v52
	v_add_f32_e32 v35, v65, v35
	s_delay_alu instid0(VALU_DEP_1) | instskip(NEXT) | instid1(VALU_DEP_1)
	v_cndmask_b32_e64 v28, v35, v28, s24
	v_add_f32_e32 v28, v29, v28
	s_delay_alu instid0(VALU_DEP_1)
	v_cvt_f16_f32_e32 v28, v28
.LBB410_284:
	s_or_b32 exec_lo, exec_lo, s25
	v_lshrrev_b32_e32 v29, 5, v0
	s_mov_b32 s26, exec_lo
	s_delay_alu instid0(VALU_DEP_1)
	v_add_lshl_u32 v29, v29, v0, 1
	ds_store_b16 v29, v28
	s_waitcnt lgkmcnt(0)
	s_barrier
	buffer_gl0_inv
	v_cmpx_gt_u32_e32 32, v0
	s_cbranch_execz .LBB410_312
; %bb.285:
	v_lshrrev_b32_e32 v29, 3, v0
	s_delay_alu instid0(VALU_DEP_1) | instskip(NEXT) | instid1(VALU_DEP_1)
	v_and_b32_e32 v29, 0x7e, v29
	v_lshl_or_b32 v29, v0, 2, v29
	ds_load_u16 v54, v29
	ds_load_u16 v52, v29 offset:2
	s_waitcnt lgkmcnt(1)
	v_cvt_f32_f16_e32 v35, v54
	s_waitcnt lgkmcnt(0)
	v_cvt_f32_f16_e32 v55, v52
	v_cmp_u_f16_e64 s24, v54, v54
	v_cmp_u_f16_e64 s25, v52, v52
	s_delay_alu instid0(VALU_DEP_3) | instskip(SKIP_1) | instid1(VALU_DEP_2)
	v_max_f32_e32 v64, v35, v55
	v_min_f32_e32 v53, v35, v55
	v_cndmask_b32_e64 v64, v64, v35, s24
	s_delay_alu instid0(VALU_DEP_2) | instskip(NEXT) | instid1(VALU_DEP_2)
	v_cndmask_b32_e64 v53, v53, v35, s24
	v_cndmask_b32_e64 v52, v64, v55, s25
	s_delay_alu instid0(VALU_DEP_2) | instskip(NEXT) | instid1(VALU_DEP_1)
	v_cndmask_b32_e64 v53, v53, v55, s25
	v_cmp_neq_f32_e64 s25, v53, v52
	v_cmp_class_f32_e64 s27, v53, 0x1f8
	s_delay_alu instid0(VALU_DEP_1) | instskip(NEXT) | instid1(SALU_CYCLE_1)
	s_or_b32 s25, s25, s27
	s_and_saveexec_b32 s27, s25
	s_cbranch_execz .LBB410_287
; %bb.286:
	v_sub_f32_e32 v53, v53, v52
	s_delay_alu instid0(VALU_DEP_1) | instskip(NEXT) | instid1(VALU_DEP_1)
	v_mul_f32_e32 v54, 0x3fb8aa3b, v53
	v_fma_f32 v55, 0x3fb8aa3b, v53, -v54
	v_rndne_f32_e32 v64, v54
	s_delay_alu instid0(VALU_DEP_1) | instskip(NEXT) | instid1(VALU_DEP_1)
	v_dual_fmamk_f32 v55, v53, 0x32a5705f, v55 :: v_dual_sub_f32 v54, v54, v64
	v_add_f32_e32 v54, v54, v55
	v_cvt_i32_f32_e32 v55, v64
	v_cmp_ngt_f32_e64 s25, 0xc2ce8ed0, v53
	s_delay_alu instid0(VALU_DEP_3) | instskip(SKIP_2) | instid1(VALU_DEP_1)
	v_exp_f32_e32 v54, v54
	s_waitcnt_depctr 0xfff
	v_ldexp_f32 v54, v54, v55
	v_cndmask_b32_e64 v54, 0, v54, s25
	v_cmp_nlt_f32_e64 s25, 0x42b17218, v53
	s_delay_alu instid0(VALU_DEP_1) | instskip(NEXT) | instid1(VALU_DEP_1)
	v_cndmask_b32_e64 v55, 0x7f800000, v54, s25
	v_add_f32_e32 v64, 1.0, v55
	v_cmp_gt_f32_e64 vcc_hi, 0x33800000, |v55|
	s_delay_alu instid0(VALU_DEP_2) | instskip(NEXT) | instid1(VALU_DEP_1)
	v_cvt_f64_f32_e32 v[53:54], v64
	v_frexp_exp_i32_f64_e32 v53, v[53:54]
	v_frexp_mant_f32_e32 v54, v64
	s_delay_alu instid0(VALU_DEP_1) | instskip(SKIP_1) | instid1(VALU_DEP_1)
	v_cmp_gt_f32_e64 s25, 0x3f2aaaab, v54
	v_add_f32_e32 v54, -1.0, v64
	v_sub_f32_e32 v66, v54, v64
	s_delay_alu instid0(VALU_DEP_3) | instskip(SKIP_1) | instid1(VALU_DEP_1)
	v_subrev_co_ci_u32_e64 v53, s25, 0, v53, s25
	s_mov_b32 s25, 0x3e9b6dac
	v_sub_nc_u32_e32 v65, 0, v53
	v_cvt_f32_i32_e32 v53, v53
	s_delay_alu instid0(VALU_DEP_2) | instskip(NEXT) | instid1(VALU_DEP_1)
	v_ldexp_f32 v64, v64, v65
	v_dual_sub_f32 v54, v55, v54 :: v_dual_add_f32 v67, 1.0, v64
	v_add_f32_e32 v66, 1.0, v66
	s_delay_alu instid0(VALU_DEP_1) | instskip(NEXT) | instid1(VALU_DEP_3)
	v_add_f32_e32 v54, v54, v66
	v_add_f32_e32 v66, -1.0, v67
	s_delay_alu instid0(VALU_DEP_2) | instskip(NEXT) | instid1(VALU_DEP_2)
	v_ldexp_f32 v54, v54, v65
	v_dual_add_f32 v65, -1.0, v64 :: v_dual_sub_f32 v66, v64, v66
	s_delay_alu instid0(VALU_DEP_1) | instskip(NEXT) | instid1(VALU_DEP_2)
	v_add_f32_e32 v68, 1.0, v65
	v_add_f32_e32 v66, v54, v66
	s_delay_alu instid0(VALU_DEP_2) | instskip(NEXT) | instid1(VALU_DEP_2)
	v_sub_f32_e32 v64, v64, v68
	v_add_f32_e32 v68, v67, v66
	s_delay_alu instid0(VALU_DEP_2) | instskip(NEXT) | instid1(VALU_DEP_2)
	v_add_f32_e32 v54, v54, v64
	v_rcp_f32_e32 v64, v68
	v_sub_f32_e32 v67, v67, v68
	s_delay_alu instid0(VALU_DEP_1) | instskip(NEXT) | instid1(VALU_DEP_1)
	v_dual_add_f32 v69, v65, v54 :: v_dual_add_f32 v66, v66, v67
	v_sub_f32_e32 v65, v65, v69
	s_waitcnt_depctr 0xfff
	v_mul_f32_e32 v70, v69, v64
	s_delay_alu instid0(VALU_DEP_1) | instskip(NEXT) | instid1(VALU_DEP_1)
	v_dual_add_f32 v54, v54, v65 :: v_dual_mul_f32 v71, v68, v70
	v_fma_f32 v67, v70, v68, -v71
	s_delay_alu instid0(VALU_DEP_1) | instskip(NEXT) | instid1(VALU_DEP_1)
	v_fmac_f32_e32 v67, v70, v66
	v_add_f32_e32 v80, v71, v67
	s_delay_alu instid0(VALU_DEP_1) | instskip(SKIP_1) | instid1(VALU_DEP_2)
	v_sub_f32_e32 v81, v69, v80
	v_sub_f32_e32 v65, v80, v71
	;; [unrolled: 1-line block ×3, first 2 shown]
	s_delay_alu instid0(VALU_DEP_2) | instskip(NEXT) | instid1(VALU_DEP_2)
	v_sub_f32_e32 v65, v65, v67
	v_sub_f32_e32 v69, v69, v80
	s_delay_alu instid0(VALU_DEP_1) | instskip(NEXT) | instid1(VALU_DEP_1)
	v_add_f32_e32 v54, v54, v69
	v_add_f32_e32 v54, v65, v54
	s_delay_alu instid0(VALU_DEP_1) | instskip(NEXT) | instid1(VALU_DEP_1)
	v_add_f32_e32 v65, v81, v54
	v_mul_f32_e32 v67, v64, v65
	s_delay_alu instid0(VALU_DEP_1) | instskip(NEXT) | instid1(VALU_DEP_1)
	v_dual_sub_f32 v80, v81, v65 :: v_dual_mul_f32 v69, v68, v67
	v_add_f32_e32 v54, v54, v80
	s_delay_alu instid0(VALU_DEP_2) | instskip(NEXT) | instid1(VALU_DEP_1)
	v_fma_f32 v68, v67, v68, -v69
	v_fmac_f32_e32 v68, v67, v66
	s_delay_alu instid0(VALU_DEP_1) | instskip(NEXT) | instid1(VALU_DEP_1)
	v_add_f32_e32 v66, v69, v68
	v_sub_f32_e32 v71, v65, v66
	v_sub_f32_e32 v69, v66, v69
	s_delay_alu instid0(VALU_DEP_2) | instskip(NEXT) | instid1(VALU_DEP_1)
	v_sub_f32_e32 v65, v65, v71
	v_sub_f32_e32 v65, v65, v66
	s_delay_alu instid0(VALU_DEP_3) | instskip(NEXT) | instid1(VALU_DEP_2)
	v_sub_f32_e32 v66, v69, v68
	v_add_f32_e32 v54, v54, v65
	v_add_f32_e32 v65, v70, v67
	s_delay_alu instid0(VALU_DEP_2) | instskip(NEXT) | instid1(VALU_DEP_2)
	v_add_f32_e32 v54, v66, v54
	v_sub_f32_e32 v66, v65, v70
	s_delay_alu instid0(VALU_DEP_2) | instskip(NEXT) | instid1(VALU_DEP_2)
	v_add_f32_e32 v54, v71, v54
	v_sub_f32_e32 v66, v67, v66
	s_delay_alu instid0(VALU_DEP_2) | instskip(NEXT) | instid1(VALU_DEP_1)
	v_mul_f32_e32 v54, v64, v54
	v_add_f32_e32 v54, v66, v54
	s_delay_alu instid0(VALU_DEP_1) | instskip(NEXT) | instid1(VALU_DEP_1)
	v_add_f32_e32 v64, v65, v54
	v_mul_f32_e32 v66, v64, v64
	s_delay_alu instid0(VALU_DEP_1) | instskip(SKIP_2) | instid1(VALU_DEP_3)
	v_fmaak_f32 v67, s25, v66, 0x3ecc95a3
	v_mul_f32_e32 v68, v64, v66
	v_cmp_eq_f32_e64 s25, 0x7f800000, v55
	v_fmaak_f32 v66, v66, v67, 0x3f2aaada
	v_ldexp_f32 v67, v64, 1
	v_sub_f32_e32 v64, v64, v65
	s_delay_alu instid0(VALU_DEP_4) | instskip(NEXT) | instid1(VALU_DEP_3)
	s_or_b32 s25, s25, vcc_hi
	v_mul_f32_e32 v66, v68, v66
	v_mul_f32_e32 v68, 0x3f317218, v53
	s_delay_alu instid0(VALU_DEP_2) | instskip(NEXT) | instid1(VALU_DEP_1)
	v_dual_sub_f32 v54, v54, v64 :: v_dual_add_f32 v65, v67, v66
	v_ldexp_f32 v54, v54, 1
	s_delay_alu instid0(VALU_DEP_2) | instskip(NEXT) | instid1(VALU_DEP_4)
	v_sub_f32_e32 v64, v65, v67
	v_fma_f32 v67, 0x3f317218, v53, -v68
	s_delay_alu instid0(VALU_DEP_1) | instskip(NEXT) | instid1(VALU_DEP_1)
	v_dual_sub_f32 v64, v66, v64 :: v_dual_fmamk_f32 v53, v53, 0xb102e308, v67
	v_add_f32_e32 v54, v54, v64
	s_delay_alu instid0(VALU_DEP_2) | instskip(NEXT) | instid1(VALU_DEP_2)
	v_add_f32_e32 v64, v68, v53
	v_add_f32_e32 v66, v65, v54
	s_delay_alu instid0(VALU_DEP_2) | instskip(NEXT) | instid1(VALU_DEP_2)
	v_sub_f32_e32 v68, v64, v68
	v_add_f32_e32 v67, v64, v66
	v_sub_f32_e32 v65, v66, v65
	s_delay_alu instid0(VALU_DEP_3) | instskip(NEXT) | instid1(VALU_DEP_2)
	v_sub_f32_e32 v53, v53, v68
	v_dual_sub_f32 v69, v67, v64 :: v_dual_sub_f32 v54, v54, v65
	s_delay_alu instid0(VALU_DEP_1) | instskip(NEXT) | instid1(VALU_DEP_2)
	v_sub_f32_e32 v70, v67, v69
	v_dual_sub_f32 v65, v66, v69 :: v_dual_add_f32 v66, v53, v54
	s_delay_alu instid0(VALU_DEP_2) | instskip(NEXT) | instid1(VALU_DEP_1)
	v_sub_f32_e32 v64, v64, v70
	v_dual_add_f32 v64, v65, v64 :: v_dual_sub_f32 v65, v66, v53
	s_delay_alu instid0(VALU_DEP_1) | instskip(NEXT) | instid1(VALU_DEP_2)
	v_add_f32_e32 v64, v66, v64
	v_sub_f32_e32 v66, v66, v65
	v_sub_f32_e32 v54, v54, v65
	s_delay_alu instid0(VALU_DEP_2) | instskip(NEXT) | instid1(VALU_DEP_1)
	v_dual_add_f32 v68, v67, v64 :: v_dual_sub_f32 v53, v53, v66
	v_sub_f32_e32 v65, v68, v67
	s_delay_alu instid0(VALU_DEP_2) | instskip(NEXT) | instid1(VALU_DEP_2)
	v_add_f32_e32 v53, v54, v53
	v_sub_f32_e32 v54, v64, v65
	s_delay_alu instid0(VALU_DEP_1) | instskip(NEXT) | instid1(VALU_DEP_1)
	v_add_f32_e32 v53, v53, v54
	v_add_f32_e32 v53, v68, v53
	s_delay_alu instid0(VALU_DEP_1) | instskip(NEXT) | instid1(VALU_DEP_1)
	v_cndmask_b32_e64 v53, v53, v55, s25
	v_add_f32_e32 v52, v52, v53
	s_delay_alu instid0(VALU_DEP_1)
	v_cvt_f16_f32_e32 v54, v52
.LBB410_287:
	s_or_b32 exec_lo, exec_lo, s27
	v_mbcnt_lo_u32_b32 v52, -1, 0
	s_delay_alu instid0(VALU_DEP_2) | instskip(SKIP_1) | instid1(VALU_DEP_2)
	v_and_b32_e32 v55, 0xffff, v54
	s_mov_b32 s27, exec_lo
	v_and_b32_e32 v53, 15, v52
	s_delay_alu instid0(VALU_DEP_2) | instskip(NEXT) | instid1(VALU_DEP_2)
	v_mov_b32_dpp v64, v55 row_shr:1 row_mask:0xf bank_mask:0xf
	v_cmpx_ne_u32_e32 0, v53
	s_cbranch_execz .LBB410_291
; %bb.288:
	s_delay_alu instid0(VALU_DEP_2) | instskip(SKIP_2) | instid1(VALU_DEP_2)
	v_cvt_f32_f16_e32 v55, v64
	v_cvt_f32_f16_e32 v65, v54
	v_cmp_u_f16_e64 s25, v64, v64
	v_min_f32_e32 v66, v55, v65
	v_max_f32_e32 v67, v55, v65
	s_delay_alu instid0(VALU_DEP_2) | instskip(NEXT) | instid1(VALU_DEP_2)
	v_cndmask_b32_e64 v66, v66, v55, s25
	v_cndmask_b32_e64 v67, v67, v55, s25
	v_cmp_u_f16_e64 s25, v54, v54
	s_delay_alu instid0(VALU_DEP_1) | instskip(NEXT) | instid1(VALU_DEP_3)
	v_cndmask_b32_e64 v55, v66, v65, s25
	v_cndmask_b32_e64 v54, v67, v65, s25
	s_delay_alu instid0(VALU_DEP_2) | instskip(NEXT) | instid1(VALU_DEP_2)
	v_cmp_class_f32_e64 vcc_hi, v55, 0x1f8
	v_cmp_neq_f32_e64 s25, v55, v54
	s_delay_alu instid0(VALU_DEP_1) | instskip(NEXT) | instid1(SALU_CYCLE_1)
	s_or_b32 s25, s25, vcc_hi
	s_and_saveexec_b32 vcc_hi, s25
	s_cbranch_execz .LBB410_290
; %bb.289:
	v_sub_f32_e32 v55, v55, v54
	s_delay_alu instid0(VALU_DEP_1) | instskip(NEXT) | instid1(VALU_DEP_1)
	v_mul_f32_e32 v64, 0x3fb8aa3b, v55
	v_fma_f32 v65, 0x3fb8aa3b, v55, -v64
	v_rndne_f32_e32 v66, v64
	s_delay_alu instid0(VALU_DEP_1) | instskip(NEXT) | instid1(VALU_DEP_1)
	v_dual_fmamk_f32 v65, v55, 0x32a5705f, v65 :: v_dual_sub_f32 v64, v64, v66
	v_add_f32_e32 v64, v64, v65
	v_cvt_i32_f32_e32 v65, v66
	v_cmp_ngt_f32_e64 s25, 0xc2ce8ed0, v55
	s_delay_alu instid0(VALU_DEP_3) | instskip(SKIP_2) | instid1(VALU_DEP_1)
	v_exp_f32_e32 v64, v64
	s_waitcnt_depctr 0xfff
	v_ldexp_f32 v64, v64, v65
	v_cndmask_b32_e64 v64, 0, v64, s25
	v_cmp_nlt_f32_e64 s25, 0x42b17218, v55
	s_delay_alu instid0(VALU_DEP_1) | instskip(NEXT) | instid1(VALU_DEP_1)
	v_cndmask_b32_e64 v55, 0x7f800000, v64, s25
	v_add_f32_e32 v66, 1.0, v55
	v_cmp_gt_f32_e64 s30, 0x33800000, |v55|
	s_delay_alu instid0(VALU_DEP_2) | instskip(NEXT) | instid1(VALU_DEP_1)
	v_cvt_f64_f32_e32 v[64:65], v66
	v_frexp_exp_i32_f64_e32 v64, v[64:65]
	v_frexp_mant_f32_e32 v65, v66
	s_delay_alu instid0(VALU_DEP_1) | instskip(SKIP_1) | instid1(VALU_DEP_1)
	v_cmp_gt_f32_e64 s25, 0x3f2aaaab, v65
	v_add_f32_e32 v65, -1.0, v66
	v_dual_sub_f32 v68, v65, v66 :: v_dual_sub_f32 v65, v55, v65
	s_delay_alu instid0(VALU_DEP_3) | instskip(SKIP_1) | instid1(VALU_DEP_1)
	v_subrev_co_ci_u32_e64 v64, s25, 0, v64, s25
	s_mov_b32 s25, 0x3e9b6dac
	v_sub_nc_u32_e32 v67, 0, v64
	v_cvt_f32_i32_e32 v64, v64
	s_delay_alu instid0(VALU_DEP_2) | instskip(NEXT) | instid1(VALU_DEP_1)
	v_ldexp_f32 v66, v66, v67
	v_dual_add_f32 v68, 1.0, v68 :: v_dual_add_f32 v69, 1.0, v66
	s_delay_alu instid0(VALU_DEP_1) | instskip(NEXT) | instid1(VALU_DEP_1)
	v_dual_add_f32 v65, v65, v68 :: v_dual_add_f32 v68, -1.0, v69
	v_ldexp_f32 v65, v65, v67
	s_delay_alu instid0(VALU_DEP_2) | instskip(NEXT) | instid1(VALU_DEP_1)
	v_dual_add_f32 v67, -1.0, v66 :: v_dual_sub_f32 v68, v66, v68
	v_add_f32_e32 v70, 1.0, v67
	s_delay_alu instid0(VALU_DEP_2) | instskip(NEXT) | instid1(VALU_DEP_2)
	v_add_f32_e32 v68, v65, v68
	v_sub_f32_e32 v66, v66, v70
	s_delay_alu instid0(VALU_DEP_1) | instskip(NEXT) | instid1(VALU_DEP_1)
	v_add_f32_e32 v65, v65, v66
	v_dual_add_f32 v71, v67, v65 :: v_dual_add_f32 v70, v69, v68
	s_delay_alu instid0(VALU_DEP_1) | instskip(NEXT) | instid1(VALU_DEP_2)
	v_sub_f32_e32 v67, v67, v71
	v_rcp_f32_e32 v66, v70
	v_sub_f32_e32 v69, v69, v70
	s_delay_alu instid0(VALU_DEP_1) | instskip(SKIP_2) | instid1(VALU_DEP_1)
	v_dual_add_f32 v65, v65, v67 :: v_dual_add_f32 v68, v68, v69
	s_waitcnt_depctr 0xfff
	v_mul_f32_e32 v80, v71, v66
	v_mul_f32_e32 v81, v70, v80
	s_delay_alu instid0(VALU_DEP_1) | instskip(NEXT) | instid1(VALU_DEP_1)
	v_fma_f32 v69, v80, v70, -v81
	v_fmac_f32_e32 v69, v80, v68
	s_delay_alu instid0(VALU_DEP_1) | instskip(NEXT) | instid1(VALU_DEP_1)
	v_add_f32_e32 v82, v81, v69
	v_sub_f32_e32 v83, v71, v82
	s_delay_alu instid0(VALU_DEP_1) | instskip(SKIP_1) | instid1(VALU_DEP_2)
	v_sub_f32_e32 v71, v71, v83
	v_sub_f32_e32 v67, v82, v81
	;; [unrolled: 1-line block ×3, first 2 shown]
	s_delay_alu instid0(VALU_DEP_2) | instskip(NEXT) | instid1(VALU_DEP_2)
	v_sub_f32_e32 v67, v67, v69
	v_add_f32_e32 v65, v65, v71
	s_delay_alu instid0(VALU_DEP_1) | instskip(NEXT) | instid1(VALU_DEP_1)
	v_add_f32_e32 v65, v67, v65
	v_add_f32_e32 v67, v83, v65
	s_delay_alu instid0(VALU_DEP_1) | instskip(NEXT) | instid1(VALU_DEP_1)
	v_mul_f32_e32 v69, v66, v67
	v_dual_sub_f32 v82, v83, v67 :: v_dual_mul_f32 v71, v70, v69
	s_delay_alu instid0(VALU_DEP_1) | instskip(NEXT) | instid1(VALU_DEP_2)
	v_add_f32_e32 v65, v65, v82
	v_fma_f32 v70, v69, v70, -v71
	s_delay_alu instid0(VALU_DEP_1) | instskip(NEXT) | instid1(VALU_DEP_1)
	v_fmac_f32_e32 v70, v69, v68
	v_add_f32_e32 v68, v71, v70
	s_delay_alu instid0(VALU_DEP_1) | instskip(SKIP_1) | instid1(VALU_DEP_2)
	v_sub_f32_e32 v81, v67, v68
	v_sub_f32_e32 v71, v68, v71
	;; [unrolled: 1-line block ×3, first 2 shown]
	s_delay_alu instid0(VALU_DEP_1) | instskip(NEXT) | instid1(VALU_DEP_1)
	v_sub_f32_e32 v67, v67, v68
	v_dual_sub_f32 v68, v71, v70 :: v_dual_add_f32 v65, v65, v67
	v_add_f32_e32 v67, v80, v69
	s_delay_alu instid0(VALU_DEP_1) | instskip(NEXT) | instid1(VALU_DEP_1)
	v_dual_add_f32 v65, v68, v65 :: v_dual_sub_f32 v68, v67, v80
	v_add_f32_e32 v65, v81, v65
	s_delay_alu instid0(VALU_DEP_1) | instskip(NEXT) | instid1(VALU_DEP_1)
	v_dual_sub_f32 v68, v69, v68 :: v_dual_mul_f32 v65, v66, v65
	v_add_f32_e32 v65, v68, v65
	s_delay_alu instid0(VALU_DEP_1) | instskip(NEXT) | instid1(VALU_DEP_1)
	v_add_f32_e32 v66, v67, v65
	v_mul_f32_e32 v68, v66, v66
	s_delay_alu instid0(VALU_DEP_1) | instskip(SKIP_2) | instid1(VALU_DEP_3)
	v_fmaak_f32 v69, s25, v68, 0x3ecc95a3
	v_mul_f32_e32 v70, v66, v68
	v_cmp_eq_f32_e64 s25, 0x7f800000, v55
	v_fmaak_f32 v68, v68, v69, 0x3f2aaada
	v_ldexp_f32 v69, v66, 1
	v_sub_f32_e32 v66, v66, v67
	s_delay_alu instid0(VALU_DEP_4) | instskip(NEXT) | instid1(VALU_DEP_3)
	s_or_b32 s25, s25, s30
	v_mul_f32_e32 v68, v70, v68
	s_delay_alu instid0(VALU_DEP_2) | instskip(NEXT) | instid1(VALU_DEP_2)
	v_dual_mul_f32 v70, 0x3f317218, v64 :: v_dual_sub_f32 v65, v65, v66
	v_add_f32_e32 v67, v69, v68
	s_delay_alu instid0(VALU_DEP_2) | instskip(NEXT) | instid1(VALU_DEP_2)
	v_ldexp_f32 v65, v65, 1
	v_sub_f32_e32 v66, v67, v69
	s_delay_alu instid0(VALU_DEP_4) | instskip(NEXT) | instid1(VALU_DEP_2)
	v_fma_f32 v69, 0x3f317218, v64, -v70
	v_sub_f32_e32 v66, v68, v66
	s_delay_alu instid0(VALU_DEP_1) | instskip(NEXT) | instid1(VALU_DEP_1)
	v_dual_fmamk_f32 v64, v64, 0xb102e308, v69 :: v_dual_add_f32 v65, v65, v66
	v_add_f32_e32 v66, v70, v64
	s_delay_alu instid0(VALU_DEP_1) | instskip(NEXT) | instid1(VALU_DEP_1)
	v_sub_f32_e32 v70, v66, v70
	v_sub_f32_e32 v64, v64, v70
	s_delay_alu instid0(VALU_DEP_4) | instskip(NEXT) | instid1(VALU_DEP_1)
	v_add_f32_e32 v68, v67, v65
	v_sub_f32_e32 v67, v68, v67
	s_delay_alu instid0(VALU_DEP_1) | instskip(SKIP_1) | instid1(VALU_DEP_1)
	v_sub_f32_e32 v65, v65, v67
	v_add_f32_e32 v69, v66, v68
	v_sub_f32_e32 v71, v69, v66
	s_delay_alu instid0(VALU_DEP_1) | instskip(NEXT) | instid1(VALU_DEP_4)
	v_sub_f32_e32 v67, v68, v71
	v_add_f32_e32 v68, v64, v65
	v_sub_f32_e32 v80, v69, v71
	s_delay_alu instid0(VALU_DEP_1) | instskip(NEXT) | instid1(VALU_DEP_1)
	v_sub_f32_e32 v66, v66, v80
	v_dual_add_f32 v66, v67, v66 :: v_dual_sub_f32 v67, v68, v64
	s_delay_alu instid0(VALU_DEP_1) | instskip(SKIP_1) | instid1(VALU_DEP_2)
	v_dual_add_f32 v66, v68, v66 :: v_dual_sub_f32 v65, v65, v67
	v_sub_f32_e32 v68, v68, v67
	v_add_f32_e32 v70, v69, v66
	s_delay_alu instid0(VALU_DEP_1) | instskip(NEXT) | instid1(VALU_DEP_1)
	v_dual_sub_f32 v64, v64, v68 :: v_dual_sub_f32 v67, v70, v69
	v_dual_add_f32 v64, v65, v64 :: v_dual_sub_f32 v65, v66, v67
	s_delay_alu instid0(VALU_DEP_1) | instskip(NEXT) | instid1(VALU_DEP_1)
	v_add_f32_e32 v64, v64, v65
	v_add_f32_e32 v64, v70, v64
	s_delay_alu instid0(VALU_DEP_1) | instskip(NEXT) | instid1(VALU_DEP_1)
	v_cndmask_b32_e64 v55, v64, v55, s25
	v_add_f32_e32 v54, v54, v55
	s_delay_alu instid0(VALU_DEP_1)
	v_cvt_f16_f32_e32 v64, v54
.LBB410_290:
	s_or_b32 exec_lo, exec_lo, vcc_hi
	s_delay_alu instid0(VALU_DEP_1)
	v_dual_mov_b32 v54, v64 :: v_dual_and_b32 v55, 0xffff, v64
.LBB410_291:
	s_or_b32 exec_lo, exec_lo, s27
	s_delay_alu instid0(VALU_DEP_1)
	v_mov_b32_dpp v64, v55 row_shr:2 row_mask:0xf bank_mask:0xf
	s_mov_b32 s27, exec_lo
	v_cmpx_lt_u32_e32 1, v53
	s_cbranch_execz .LBB410_295
; %bb.292:
	s_delay_alu instid0(VALU_DEP_2) | instskip(SKIP_2) | instid1(VALU_DEP_2)
	v_cvt_f32_f16_e32 v55, v64
	v_cvt_f32_f16_e32 v65, v54
	v_cmp_u_f16_e64 s25, v64, v64
	v_min_f32_e32 v66, v55, v65
	v_max_f32_e32 v67, v55, v65
	s_delay_alu instid0(VALU_DEP_2) | instskip(NEXT) | instid1(VALU_DEP_2)
	v_cndmask_b32_e64 v66, v66, v55, s25
	v_cndmask_b32_e64 v67, v67, v55, s25
	v_cmp_u_f16_e64 s25, v54, v54
	s_delay_alu instid0(VALU_DEP_1) | instskip(NEXT) | instid1(VALU_DEP_3)
	v_cndmask_b32_e64 v55, v66, v65, s25
	v_cndmask_b32_e64 v54, v67, v65, s25
	s_delay_alu instid0(VALU_DEP_2) | instskip(NEXT) | instid1(VALU_DEP_2)
	v_cmp_class_f32_e64 vcc_hi, v55, 0x1f8
	v_cmp_neq_f32_e64 s25, v55, v54
	s_delay_alu instid0(VALU_DEP_1) | instskip(NEXT) | instid1(SALU_CYCLE_1)
	s_or_b32 s25, s25, vcc_hi
	s_and_saveexec_b32 vcc_hi, s25
	s_cbranch_execz .LBB410_294
; %bb.293:
	v_sub_f32_e32 v55, v55, v54
	s_delay_alu instid0(VALU_DEP_1) | instskip(NEXT) | instid1(VALU_DEP_1)
	v_mul_f32_e32 v64, 0x3fb8aa3b, v55
	v_fma_f32 v65, 0x3fb8aa3b, v55, -v64
	v_rndne_f32_e32 v66, v64
	s_delay_alu instid0(VALU_DEP_1) | instskip(NEXT) | instid1(VALU_DEP_1)
	v_dual_fmamk_f32 v65, v55, 0x32a5705f, v65 :: v_dual_sub_f32 v64, v64, v66
	v_add_f32_e32 v64, v64, v65
	v_cvt_i32_f32_e32 v65, v66
	v_cmp_ngt_f32_e64 s25, 0xc2ce8ed0, v55
	s_delay_alu instid0(VALU_DEP_3) | instskip(SKIP_2) | instid1(VALU_DEP_1)
	v_exp_f32_e32 v64, v64
	s_waitcnt_depctr 0xfff
	v_ldexp_f32 v64, v64, v65
	v_cndmask_b32_e64 v64, 0, v64, s25
	v_cmp_nlt_f32_e64 s25, 0x42b17218, v55
	s_delay_alu instid0(VALU_DEP_1) | instskip(NEXT) | instid1(VALU_DEP_1)
	v_cndmask_b32_e64 v55, 0x7f800000, v64, s25
	v_add_f32_e32 v66, 1.0, v55
	v_cmp_gt_f32_e64 s30, 0x33800000, |v55|
	s_delay_alu instid0(VALU_DEP_2) | instskip(NEXT) | instid1(VALU_DEP_1)
	v_cvt_f64_f32_e32 v[64:65], v66
	v_frexp_exp_i32_f64_e32 v64, v[64:65]
	v_frexp_mant_f32_e32 v65, v66
	s_delay_alu instid0(VALU_DEP_1) | instskip(SKIP_1) | instid1(VALU_DEP_1)
	v_cmp_gt_f32_e64 s25, 0x3f2aaaab, v65
	v_add_f32_e32 v65, -1.0, v66
	v_dual_sub_f32 v68, v65, v66 :: v_dual_sub_f32 v65, v55, v65
	s_delay_alu instid0(VALU_DEP_3) | instskip(SKIP_1) | instid1(VALU_DEP_1)
	v_subrev_co_ci_u32_e64 v64, s25, 0, v64, s25
	s_mov_b32 s25, 0x3e9b6dac
	v_sub_nc_u32_e32 v67, 0, v64
	v_cvt_f32_i32_e32 v64, v64
	s_delay_alu instid0(VALU_DEP_2) | instskip(NEXT) | instid1(VALU_DEP_1)
	v_ldexp_f32 v66, v66, v67
	v_dual_add_f32 v68, 1.0, v68 :: v_dual_add_f32 v69, 1.0, v66
	s_delay_alu instid0(VALU_DEP_1) | instskip(NEXT) | instid1(VALU_DEP_1)
	v_dual_add_f32 v65, v65, v68 :: v_dual_add_f32 v68, -1.0, v69
	v_ldexp_f32 v65, v65, v67
	s_delay_alu instid0(VALU_DEP_2) | instskip(NEXT) | instid1(VALU_DEP_1)
	v_dual_add_f32 v67, -1.0, v66 :: v_dual_sub_f32 v68, v66, v68
	v_add_f32_e32 v70, 1.0, v67
	s_delay_alu instid0(VALU_DEP_2) | instskip(NEXT) | instid1(VALU_DEP_2)
	v_add_f32_e32 v68, v65, v68
	v_sub_f32_e32 v66, v66, v70
	s_delay_alu instid0(VALU_DEP_1) | instskip(NEXT) | instid1(VALU_DEP_1)
	v_add_f32_e32 v65, v65, v66
	v_dual_add_f32 v71, v67, v65 :: v_dual_add_f32 v70, v69, v68
	s_delay_alu instid0(VALU_DEP_1) | instskip(NEXT) | instid1(VALU_DEP_2)
	v_sub_f32_e32 v67, v67, v71
	v_rcp_f32_e32 v66, v70
	v_sub_f32_e32 v69, v69, v70
	s_delay_alu instid0(VALU_DEP_1) | instskip(SKIP_2) | instid1(VALU_DEP_1)
	v_dual_add_f32 v65, v65, v67 :: v_dual_add_f32 v68, v68, v69
	s_waitcnt_depctr 0xfff
	v_mul_f32_e32 v80, v71, v66
	v_mul_f32_e32 v81, v70, v80
	s_delay_alu instid0(VALU_DEP_1) | instskip(NEXT) | instid1(VALU_DEP_1)
	v_fma_f32 v69, v80, v70, -v81
	v_fmac_f32_e32 v69, v80, v68
	s_delay_alu instid0(VALU_DEP_1) | instskip(NEXT) | instid1(VALU_DEP_1)
	v_add_f32_e32 v82, v81, v69
	v_sub_f32_e32 v83, v71, v82
	s_delay_alu instid0(VALU_DEP_1) | instskip(SKIP_1) | instid1(VALU_DEP_2)
	v_sub_f32_e32 v71, v71, v83
	v_sub_f32_e32 v67, v82, v81
	;; [unrolled: 1-line block ×3, first 2 shown]
	s_delay_alu instid0(VALU_DEP_2) | instskip(NEXT) | instid1(VALU_DEP_2)
	v_sub_f32_e32 v67, v67, v69
	v_add_f32_e32 v65, v65, v71
	s_delay_alu instid0(VALU_DEP_1) | instskip(NEXT) | instid1(VALU_DEP_1)
	v_add_f32_e32 v65, v67, v65
	v_add_f32_e32 v67, v83, v65
	s_delay_alu instid0(VALU_DEP_1) | instskip(NEXT) | instid1(VALU_DEP_1)
	v_mul_f32_e32 v69, v66, v67
	v_dual_sub_f32 v82, v83, v67 :: v_dual_mul_f32 v71, v70, v69
	s_delay_alu instid0(VALU_DEP_1) | instskip(NEXT) | instid1(VALU_DEP_2)
	v_add_f32_e32 v65, v65, v82
	v_fma_f32 v70, v69, v70, -v71
	s_delay_alu instid0(VALU_DEP_1) | instskip(NEXT) | instid1(VALU_DEP_1)
	v_fmac_f32_e32 v70, v69, v68
	v_add_f32_e32 v68, v71, v70
	s_delay_alu instid0(VALU_DEP_1) | instskip(SKIP_1) | instid1(VALU_DEP_2)
	v_sub_f32_e32 v81, v67, v68
	v_sub_f32_e32 v71, v68, v71
	v_sub_f32_e32 v67, v67, v81
	s_delay_alu instid0(VALU_DEP_1) | instskip(NEXT) | instid1(VALU_DEP_1)
	v_sub_f32_e32 v67, v67, v68
	v_dual_sub_f32 v68, v71, v70 :: v_dual_add_f32 v65, v65, v67
	v_add_f32_e32 v67, v80, v69
	s_delay_alu instid0(VALU_DEP_1) | instskip(NEXT) | instid1(VALU_DEP_1)
	v_dual_add_f32 v65, v68, v65 :: v_dual_sub_f32 v68, v67, v80
	v_add_f32_e32 v65, v81, v65
	s_delay_alu instid0(VALU_DEP_1) | instskip(NEXT) | instid1(VALU_DEP_1)
	v_dual_sub_f32 v68, v69, v68 :: v_dual_mul_f32 v65, v66, v65
	v_add_f32_e32 v65, v68, v65
	s_delay_alu instid0(VALU_DEP_1) | instskip(NEXT) | instid1(VALU_DEP_1)
	v_add_f32_e32 v66, v67, v65
	v_mul_f32_e32 v68, v66, v66
	s_delay_alu instid0(VALU_DEP_1) | instskip(SKIP_2) | instid1(VALU_DEP_3)
	v_fmaak_f32 v69, s25, v68, 0x3ecc95a3
	v_mul_f32_e32 v70, v66, v68
	v_cmp_eq_f32_e64 s25, 0x7f800000, v55
	v_fmaak_f32 v68, v68, v69, 0x3f2aaada
	v_ldexp_f32 v69, v66, 1
	v_sub_f32_e32 v66, v66, v67
	s_delay_alu instid0(VALU_DEP_4) | instskip(NEXT) | instid1(VALU_DEP_3)
	s_or_b32 s25, s25, s30
	v_mul_f32_e32 v68, v70, v68
	s_delay_alu instid0(VALU_DEP_2) | instskip(NEXT) | instid1(VALU_DEP_2)
	v_dual_mul_f32 v70, 0x3f317218, v64 :: v_dual_sub_f32 v65, v65, v66
	v_add_f32_e32 v67, v69, v68
	s_delay_alu instid0(VALU_DEP_2) | instskip(NEXT) | instid1(VALU_DEP_2)
	v_ldexp_f32 v65, v65, 1
	v_sub_f32_e32 v66, v67, v69
	s_delay_alu instid0(VALU_DEP_4) | instskip(NEXT) | instid1(VALU_DEP_2)
	v_fma_f32 v69, 0x3f317218, v64, -v70
	v_sub_f32_e32 v66, v68, v66
	s_delay_alu instid0(VALU_DEP_1) | instskip(NEXT) | instid1(VALU_DEP_1)
	v_dual_fmamk_f32 v64, v64, 0xb102e308, v69 :: v_dual_add_f32 v65, v65, v66
	v_add_f32_e32 v66, v70, v64
	s_delay_alu instid0(VALU_DEP_1) | instskip(NEXT) | instid1(VALU_DEP_1)
	v_sub_f32_e32 v70, v66, v70
	v_sub_f32_e32 v64, v64, v70
	s_delay_alu instid0(VALU_DEP_4) | instskip(NEXT) | instid1(VALU_DEP_1)
	v_add_f32_e32 v68, v67, v65
	v_sub_f32_e32 v67, v68, v67
	s_delay_alu instid0(VALU_DEP_1) | instskip(SKIP_1) | instid1(VALU_DEP_1)
	v_sub_f32_e32 v65, v65, v67
	v_add_f32_e32 v69, v66, v68
	v_sub_f32_e32 v71, v69, v66
	s_delay_alu instid0(VALU_DEP_1) | instskip(NEXT) | instid1(VALU_DEP_4)
	v_sub_f32_e32 v67, v68, v71
	v_add_f32_e32 v68, v64, v65
	v_sub_f32_e32 v80, v69, v71
	s_delay_alu instid0(VALU_DEP_1) | instskip(NEXT) | instid1(VALU_DEP_1)
	v_sub_f32_e32 v66, v66, v80
	v_dual_add_f32 v66, v67, v66 :: v_dual_sub_f32 v67, v68, v64
	s_delay_alu instid0(VALU_DEP_1) | instskip(SKIP_1) | instid1(VALU_DEP_2)
	v_dual_add_f32 v66, v68, v66 :: v_dual_sub_f32 v65, v65, v67
	v_sub_f32_e32 v68, v68, v67
	v_add_f32_e32 v70, v69, v66
	s_delay_alu instid0(VALU_DEP_1) | instskip(NEXT) | instid1(VALU_DEP_1)
	v_dual_sub_f32 v64, v64, v68 :: v_dual_sub_f32 v67, v70, v69
	v_dual_add_f32 v64, v65, v64 :: v_dual_sub_f32 v65, v66, v67
	s_delay_alu instid0(VALU_DEP_1) | instskip(NEXT) | instid1(VALU_DEP_1)
	v_add_f32_e32 v64, v64, v65
	v_add_f32_e32 v64, v70, v64
	s_delay_alu instid0(VALU_DEP_1) | instskip(NEXT) | instid1(VALU_DEP_1)
	v_cndmask_b32_e64 v55, v64, v55, s25
	v_add_f32_e32 v54, v54, v55
	s_delay_alu instid0(VALU_DEP_1)
	v_cvt_f16_f32_e32 v64, v54
.LBB410_294:
	s_or_b32 exec_lo, exec_lo, vcc_hi
	s_delay_alu instid0(VALU_DEP_1)
	v_dual_mov_b32 v54, v64 :: v_dual_and_b32 v55, 0xffff, v64
.LBB410_295:
	s_or_b32 exec_lo, exec_lo, s27
	s_delay_alu instid0(VALU_DEP_1)
	v_mov_b32_dpp v64, v55 row_shr:4 row_mask:0xf bank_mask:0xf
	s_mov_b32 s27, exec_lo
	v_cmpx_lt_u32_e32 3, v53
	s_cbranch_execz .LBB410_299
; %bb.296:
	s_delay_alu instid0(VALU_DEP_2) | instskip(SKIP_2) | instid1(VALU_DEP_2)
	v_cvt_f32_f16_e32 v55, v64
	v_cvt_f32_f16_e32 v65, v54
	v_cmp_u_f16_e64 s25, v64, v64
	v_min_f32_e32 v66, v55, v65
	v_max_f32_e32 v67, v55, v65
	s_delay_alu instid0(VALU_DEP_2) | instskip(NEXT) | instid1(VALU_DEP_2)
	v_cndmask_b32_e64 v66, v66, v55, s25
	v_cndmask_b32_e64 v67, v67, v55, s25
	v_cmp_u_f16_e64 s25, v54, v54
	s_delay_alu instid0(VALU_DEP_1) | instskip(NEXT) | instid1(VALU_DEP_3)
	v_cndmask_b32_e64 v55, v66, v65, s25
	v_cndmask_b32_e64 v54, v67, v65, s25
	s_delay_alu instid0(VALU_DEP_2) | instskip(NEXT) | instid1(VALU_DEP_2)
	v_cmp_class_f32_e64 vcc_hi, v55, 0x1f8
	v_cmp_neq_f32_e64 s25, v55, v54
	s_delay_alu instid0(VALU_DEP_1) | instskip(NEXT) | instid1(SALU_CYCLE_1)
	s_or_b32 s25, s25, vcc_hi
	s_and_saveexec_b32 vcc_hi, s25
	s_cbranch_execz .LBB410_298
; %bb.297:
	v_sub_f32_e32 v55, v55, v54
	s_delay_alu instid0(VALU_DEP_1) | instskip(NEXT) | instid1(VALU_DEP_1)
	v_mul_f32_e32 v64, 0x3fb8aa3b, v55
	v_fma_f32 v65, 0x3fb8aa3b, v55, -v64
	v_rndne_f32_e32 v66, v64
	s_delay_alu instid0(VALU_DEP_1) | instskip(NEXT) | instid1(VALU_DEP_1)
	v_dual_fmamk_f32 v65, v55, 0x32a5705f, v65 :: v_dual_sub_f32 v64, v64, v66
	v_add_f32_e32 v64, v64, v65
	v_cvt_i32_f32_e32 v65, v66
	v_cmp_ngt_f32_e64 s25, 0xc2ce8ed0, v55
	s_delay_alu instid0(VALU_DEP_3) | instskip(SKIP_2) | instid1(VALU_DEP_1)
	v_exp_f32_e32 v64, v64
	s_waitcnt_depctr 0xfff
	v_ldexp_f32 v64, v64, v65
	v_cndmask_b32_e64 v64, 0, v64, s25
	v_cmp_nlt_f32_e64 s25, 0x42b17218, v55
	s_delay_alu instid0(VALU_DEP_1) | instskip(NEXT) | instid1(VALU_DEP_1)
	v_cndmask_b32_e64 v55, 0x7f800000, v64, s25
	v_add_f32_e32 v66, 1.0, v55
	v_cmp_gt_f32_e64 s30, 0x33800000, |v55|
	s_delay_alu instid0(VALU_DEP_2) | instskip(NEXT) | instid1(VALU_DEP_1)
	v_cvt_f64_f32_e32 v[64:65], v66
	v_frexp_exp_i32_f64_e32 v64, v[64:65]
	v_frexp_mant_f32_e32 v65, v66
	s_delay_alu instid0(VALU_DEP_1) | instskip(SKIP_1) | instid1(VALU_DEP_1)
	v_cmp_gt_f32_e64 s25, 0x3f2aaaab, v65
	v_add_f32_e32 v65, -1.0, v66
	v_dual_sub_f32 v68, v65, v66 :: v_dual_sub_f32 v65, v55, v65
	s_delay_alu instid0(VALU_DEP_3) | instskip(SKIP_1) | instid1(VALU_DEP_1)
	v_subrev_co_ci_u32_e64 v64, s25, 0, v64, s25
	s_mov_b32 s25, 0x3e9b6dac
	v_sub_nc_u32_e32 v67, 0, v64
	v_cvt_f32_i32_e32 v64, v64
	s_delay_alu instid0(VALU_DEP_2) | instskip(NEXT) | instid1(VALU_DEP_1)
	v_ldexp_f32 v66, v66, v67
	v_dual_add_f32 v68, 1.0, v68 :: v_dual_add_f32 v69, 1.0, v66
	s_delay_alu instid0(VALU_DEP_1) | instskip(NEXT) | instid1(VALU_DEP_1)
	v_dual_add_f32 v65, v65, v68 :: v_dual_add_f32 v68, -1.0, v69
	v_ldexp_f32 v65, v65, v67
	s_delay_alu instid0(VALU_DEP_2) | instskip(NEXT) | instid1(VALU_DEP_1)
	v_dual_add_f32 v67, -1.0, v66 :: v_dual_sub_f32 v68, v66, v68
	v_add_f32_e32 v70, 1.0, v67
	s_delay_alu instid0(VALU_DEP_2) | instskip(NEXT) | instid1(VALU_DEP_2)
	v_add_f32_e32 v68, v65, v68
	v_sub_f32_e32 v66, v66, v70
	s_delay_alu instid0(VALU_DEP_1) | instskip(NEXT) | instid1(VALU_DEP_1)
	v_add_f32_e32 v65, v65, v66
	v_dual_add_f32 v71, v67, v65 :: v_dual_add_f32 v70, v69, v68
	s_delay_alu instid0(VALU_DEP_1) | instskip(NEXT) | instid1(VALU_DEP_2)
	v_sub_f32_e32 v67, v67, v71
	v_rcp_f32_e32 v66, v70
	v_sub_f32_e32 v69, v69, v70
	s_delay_alu instid0(VALU_DEP_1) | instskip(SKIP_2) | instid1(VALU_DEP_1)
	v_dual_add_f32 v65, v65, v67 :: v_dual_add_f32 v68, v68, v69
	s_waitcnt_depctr 0xfff
	v_mul_f32_e32 v80, v71, v66
	v_mul_f32_e32 v81, v70, v80
	s_delay_alu instid0(VALU_DEP_1) | instskip(NEXT) | instid1(VALU_DEP_1)
	v_fma_f32 v69, v80, v70, -v81
	v_fmac_f32_e32 v69, v80, v68
	s_delay_alu instid0(VALU_DEP_1) | instskip(NEXT) | instid1(VALU_DEP_1)
	v_add_f32_e32 v82, v81, v69
	v_sub_f32_e32 v83, v71, v82
	s_delay_alu instid0(VALU_DEP_1) | instskip(SKIP_1) | instid1(VALU_DEP_2)
	v_sub_f32_e32 v71, v71, v83
	v_sub_f32_e32 v67, v82, v81
	;; [unrolled: 1-line block ×3, first 2 shown]
	s_delay_alu instid0(VALU_DEP_2) | instskip(NEXT) | instid1(VALU_DEP_2)
	v_sub_f32_e32 v67, v67, v69
	v_add_f32_e32 v65, v65, v71
	s_delay_alu instid0(VALU_DEP_1) | instskip(NEXT) | instid1(VALU_DEP_1)
	v_add_f32_e32 v65, v67, v65
	v_add_f32_e32 v67, v83, v65
	s_delay_alu instid0(VALU_DEP_1) | instskip(NEXT) | instid1(VALU_DEP_1)
	v_mul_f32_e32 v69, v66, v67
	v_dual_sub_f32 v82, v83, v67 :: v_dual_mul_f32 v71, v70, v69
	s_delay_alu instid0(VALU_DEP_1) | instskip(NEXT) | instid1(VALU_DEP_2)
	v_add_f32_e32 v65, v65, v82
	v_fma_f32 v70, v69, v70, -v71
	s_delay_alu instid0(VALU_DEP_1) | instskip(NEXT) | instid1(VALU_DEP_1)
	v_fmac_f32_e32 v70, v69, v68
	v_add_f32_e32 v68, v71, v70
	s_delay_alu instid0(VALU_DEP_1) | instskip(SKIP_1) | instid1(VALU_DEP_2)
	v_sub_f32_e32 v81, v67, v68
	v_sub_f32_e32 v71, v68, v71
	;; [unrolled: 1-line block ×3, first 2 shown]
	s_delay_alu instid0(VALU_DEP_1) | instskip(NEXT) | instid1(VALU_DEP_1)
	v_sub_f32_e32 v67, v67, v68
	v_dual_sub_f32 v68, v71, v70 :: v_dual_add_f32 v65, v65, v67
	v_add_f32_e32 v67, v80, v69
	s_delay_alu instid0(VALU_DEP_1) | instskip(NEXT) | instid1(VALU_DEP_1)
	v_dual_add_f32 v65, v68, v65 :: v_dual_sub_f32 v68, v67, v80
	v_add_f32_e32 v65, v81, v65
	s_delay_alu instid0(VALU_DEP_1) | instskip(NEXT) | instid1(VALU_DEP_1)
	v_dual_sub_f32 v68, v69, v68 :: v_dual_mul_f32 v65, v66, v65
	v_add_f32_e32 v65, v68, v65
	s_delay_alu instid0(VALU_DEP_1) | instskip(NEXT) | instid1(VALU_DEP_1)
	v_add_f32_e32 v66, v67, v65
	v_mul_f32_e32 v68, v66, v66
	s_delay_alu instid0(VALU_DEP_1) | instskip(SKIP_2) | instid1(VALU_DEP_3)
	v_fmaak_f32 v69, s25, v68, 0x3ecc95a3
	v_mul_f32_e32 v70, v66, v68
	v_cmp_eq_f32_e64 s25, 0x7f800000, v55
	v_fmaak_f32 v68, v68, v69, 0x3f2aaada
	v_ldexp_f32 v69, v66, 1
	v_sub_f32_e32 v66, v66, v67
	s_delay_alu instid0(VALU_DEP_4) | instskip(NEXT) | instid1(VALU_DEP_3)
	s_or_b32 s25, s25, s30
	v_mul_f32_e32 v68, v70, v68
	s_delay_alu instid0(VALU_DEP_2) | instskip(NEXT) | instid1(VALU_DEP_2)
	v_dual_mul_f32 v70, 0x3f317218, v64 :: v_dual_sub_f32 v65, v65, v66
	v_add_f32_e32 v67, v69, v68
	s_delay_alu instid0(VALU_DEP_2) | instskip(NEXT) | instid1(VALU_DEP_2)
	v_ldexp_f32 v65, v65, 1
	v_sub_f32_e32 v66, v67, v69
	s_delay_alu instid0(VALU_DEP_4) | instskip(NEXT) | instid1(VALU_DEP_2)
	v_fma_f32 v69, 0x3f317218, v64, -v70
	v_sub_f32_e32 v66, v68, v66
	s_delay_alu instid0(VALU_DEP_1) | instskip(NEXT) | instid1(VALU_DEP_1)
	v_dual_fmamk_f32 v64, v64, 0xb102e308, v69 :: v_dual_add_f32 v65, v65, v66
	v_add_f32_e32 v66, v70, v64
	s_delay_alu instid0(VALU_DEP_1) | instskip(NEXT) | instid1(VALU_DEP_1)
	v_sub_f32_e32 v70, v66, v70
	v_sub_f32_e32 v64, v64, v70
	s_delay_alu instid0(VALU_DEP_4) | instskip(NEXT) | instid1(VALU_DEP_1)
	v_add_f32_e32 v68, v67, v65
	v_sub_f32_e32 v67, v68, v67
	s_delay_alu instid0(VALU_DEP_1) | instskip(SKIP_1) | instid1(VALU_DEP_1)
	v_sub_f32_e32 v65, v65, v67
	v_add_f32_e32 v69, v66, v68
	v_sub_f32_e32 v71, v69, v66
	s_delay_alu instid0(VALU_DEP_1) | instskip(NEXT) | instid1(VALU_DEP_4)
	v_sub_f32_e32 v67, v68, v71
	v_add_f32_e32 v68, v64, v65
	v_sub_f32_e32 v80, v69, v71
	s_delay_alu instid0(VALU_DEP_1) | instskip(NEXT) | instid1(VALU_DEP_1)
	v_sub_f32_e32 v66, v66, v80
	v_dual_add_f32 v66, v67, v66 :: v_dual_sub_f32 v67, v68, v64
	s_delay_alu instid0(VALU_DEP_1) | instskip(SKIP_1) | instid1(VALU_DEP_2)
	v_dual_add_f32 v66, v68, v66 :: v_dual_sub_f32 v65, v65, v67
	v_sub_f32_e32 v68, v68, v67
	v_add_f32_e32 v70, v69, v66
	s_delay_alu instid0(VALU_DEP_1) | instskip(NEXT) | instid1(VALU_DEP_1)
	v_dual_sub_f32 v64, v64, v68 :: v_dual_sub_f32 v67, v70, v69
	v_dual_add_f32 v64, v65, v64 :: v_dual_sub_f32 v65, v66, v67
	s_delay_alu instid0(VALU_DEP_1) | instskip(NEXT) | instid1(VALU_DEP_1)
	v_add_f32_e32 v64, v64, v65
	v_add_f32_e32 v64, v70, v64
	s_delay_alu instid0(VALU_DEP_1) | instskip(NEXT) | instid1(VALU_DEP_1)
	v_cndmask_b32_e64 v55, v64, v55, s25
	v_add_f32_e32 v54, v54, v55
	s_delay_alu instid0(VALU_DEP_1)
	v_cvt_f16_f32_e32 v64, v54
.LBB410_298:
	s_or_b32 exec_lo, exec_lo, vcc_hi
	s_delay_alu instid0(VALU_DEP_1)
	v_dual_mov_b32 v54, v64 :: v_dual_and_b32 v55, 0xffff, v64
.LBB410_299:
	s_or_b32 exec_lo, exec_lo, s27
	s_delay_alu instid0(VALU_DEP_1)
	v_mov_b32_dpp v64, v55 row_shr:8 row_mask:0xf bank_mask:0xf
	s_mov_b32 s27, exec_lo
	v_cmpx_lt_u32_e32 7, v53
	s_cbranch_execz .LBB410_303
; %bb.300:
	s_delay_alu instid0(VALU_DEP_2) | instskip(SKIP_2) | instid1(VALU_DEP_2)
	v_cvt_f32_f16_e32 v53, v64
	v_cvt_f32_f16_e32 v55, v54
	v_cmp_u_f16_e64 s25, v64, v64
	v_min_f32_e32 v65, v53, v55
	v_max_f32_e32 v66, v53, v55
	s_delay_alu instid0(VALU_DEP_2) | instskip(NEXT) | instid1(VALU_DEP_2)
	v_cndmask_b32_e64 v65, v65, v53, s25
	v_cndmask_b32_e64 v53, v66, v53, s25
	v_cmp_u_f16_e64 s25, v54, v54
	s_delay_alu instid0(VALU_DEP_1) | instskip(NEXT) | instid1(VALU_DEP_3)
	v_cndmask_b32_e64 v54, v65, v55, s25
	v_cndmask_b32_e64 v53, v53, v55, s25
	s_delay_alu instid0(VALU_DEP_2) | instskip(NEXT) | instid1(VALU_DEP_2)
	v_cmp_class_f32_e64 vcc_hi, v54, 0x1f8
	v_cmp_neq_f32_e64 s25, v54, v53
	s_delay_alu instid0(VALU_DEP_1) | instskip(NEXT) | instid1(SALU_CYCLE_1)
	s_or_b32 s25, s25, vcc_hi
	s_and_saveexec_b32 vcc_hi, s25
	s_cbranch_execz .LBB410_302
; %bb.301:
	v_sub_f32_e32 v54, v54, v53
	s_delay_alu instid0(VALU_DEP_1) | instskip(NEXT) | instid1(VALU_DEP_1)
	v_mul_f32_e32 v55, 0x3fb8aa3b, v54
	v_fma_f32 v64, 0x3fb8aa3b, v54, -v55
	v_rndne_f32_e32 v65, v55
	s_delay_alu instid0(VALU_DEP_1) | instskip(NEXT) | instid1(VALU_DEP_1)
	v_dual_fmamk_f32 v64, v54, 0x32a5705f, v64 :: v_dual_sub_f32 v55, v55, v65
	v_add_f32_e32 v55, v55, v64
	v_cvt_i32_f32_e32 v64, v65
	v_cmp_ngt_f32_e64 s25, 0xc2ce8ed0, v54
	s_delay_alu instid0(VALU_DEP_3) | instskip(SKIP_2) | instid1(VALU_DEP_1)
	v_exp_f32_e32 v55, v55
	s_waitcnt_depctr 0xfff
	v_ldexp_f32 v55, v55, v64
	v_cndmask_b32_e64 v55, 0, v55, s25
	v_cmp_nlt_f32_e64 s25, 0x42b17218, v54
	s_delay_alu instid0(VALU_DEP_1) | instskip(NEXT) | instid1(VALU_DEP_1)
	v_cndmask_b32_e64 v64, 0x7f800000, v55, s25
	v_add_f32_e32 v65, 1.0, v64
	v_cmp_gt_f32_e64 s30, 0x33800000, |v64|
	s_delay_alu instid0(VALU_DEP_2) | instskip(NEXT) | instid1(VALU_DEP_1)
	v_cvt_f64_f32_e32 v[54:55], v65
	v_frexp_exp_i32_f64_e32 v54, v[54:55]
	v_frexp_mant_f32_e32 v55, v65
	s_delay_alu instid0(VALU_DEP_1) | instskip(SKIP_1) | instid1(VALU_DEP_1)
	v_cmp_gt_f32_e64 s25, 0x3f2aaaab, v55
	v_add_f32_e32 v55, -1.0, v65
	v_sub_f32_e32 v67, v55, v65
	s_delay_alu instid0(VALU_DEP_3) | instskip(SKIP_1) | instid1(VALU_DEP_1)
	v_subrev_co_ci_u32_e64 v54, s25, 0, v54, s25
	s_mov_b32 s25, 0x3e9b6dac
	v_sub_nc_u32_e32 v66, 0, v54
	v_cvt_f32_i32_e32 v54, v54
	s_delay_alu instid0(VALU_DEP_2) | instskip(NEXT) | instid1(VALU_DEP_1)
	v_ldexp_f32 v65, v65, v66
	v_dual_sub_f32 v55, v64, v55 :: v_dual_add_f32 v68, 1.0, v65
	v_add_f32_e32 v67, 1.0, v67
	s_delay_alu instid0(VALU_DEP_1) | instskip(NEXT) | instid1(VALU_DEP_3)
	v_add_f32_e32 v55, v55, v67
	v_add_f32_e32 v67, -1.0, v68
	s_delay_alu instid0(VALU_DEP_2) | instskip(NEXT) | instid1(VALU_DEP_2)
	v_ldexp_f32 v55, v55, v66
	v_dual_add_f32 v66, -1.0, v65 :: v_dual_sub_f32 v67, v65, v67
	s_delay_alu instid0(VALU_DEP_1) | instskip(NEXT) | instid1(VALU_DEP_2)
	v_add_f32_e32 v69, 1.0, v66
	v_add_f32_e32 v67, v55, v67
	s_delay_alu instid0(VALU_DEP_2) | instskip(NEXT) | instid1(VALU_DEP_2)
	v_sub_f32_e32 v65, v65, v69
	v_add_f32_e32 v69, v68, v67
	s_delay_alu instid0(VALU_DEP_2) | instskip(NEXT) | instid1(VALU_DEP_2)
	v_add_f32_e32 v55, v55, v65
	v_rcp_f32_e32 v65, v69
	v_sub_f32_e32 v68, v68, v69
	s_delay_alu instid0(VALU_DEP_1) | instskip(NEXT) | instid1(VALU_DEP_1)
	v_dual_add_f32 v70, v66, v55 :: v_dual_add_f32 v67, v67, v68
	v_sub_f32_e32 v66, v66, v70
	s_waitcnt_depctr 0xfff
	v_mul_f32_e32 v71, v70, v65
	s_delay_alu instid0(VALU_DEP_1) | instskip(NEXT) | instid1(VALU_DEP_1)
	v_dual_add_f32 v55, v55, v66 :: v_dual_mul_f32 v80, v69, v71
	v_fma_f32 v68, v71, v69, -v80
	s_delay_alu instid0(VALU_DEP_1) | instskip(NEXT) | instid1(VALU_DEP_1)
	v_fmac_f32_e32 v68, v71, v67
	v_add_f32_e32 v81, v80, v68
	s_delay_alu instid0(VALU_DEP_1) | instskip(SKIP_1) | instid1(VALU_DEP_2)
	v_sub_f32_e32 v82, v70, v81
	v_sub_f32_e32 v66, v81, v80
	;; [unrolled: 1-line block ×3, first 2 shown]
	s_delay_alu instid0(VALU_DEP_2) | instskip(NEXT) | instid1(VALU_DEP_2)
	v_sub_f32_e32 v66, v66, v68
	v_sub_f32_e32 v70, v70, v81
	s_delay_alu instid0(VALU_DEP_1) | instskip(NEXT) | instid1(VALU_DEP_1)
	v_add_f32_e32 v55, v55, v70
	v_add_f32_e32 v55, v66, v55
	s_delay_alu instid0(VALU_DEP_1) | instskip(NEXT) | instid1(VALU_DEP_1)
	v_add_f32_e32 v66, v82, v55
	v_mul_f32_e32 v68, v65, v66
	s_delay_alu instid0(VALU_DEP_1) | instskip(NEXT) | instid1(VALU_DEP_1)
	v_dual_sub_f32 v81, v82, v66 :: v_dual_mul_f32 v70, v69, v68
	v_add_f32_e32 v55, v55, v81
	s_delay_alu instid0(VALU_DEP_2) | instskip(NEXT) | instid1(VALU_DEP_1)
	v_fma_f32 v69, v68, v69, -v70
	v_fmac_f32_e32 v69, v68, v67
	s_delay_alu instid0(VALU_DEP_1) | instskip(NEXT) | instid1(VALU_DEP_1)
	v_add_f32_e32 v67, v70, v69
	v_sub_f32_e32 v80, v66, v67
	v_sub_f32_e32 v70, v67, v70
	s_delay_alu instid0(VALU_DEP_2) | instskip(NEXT) | instid1(VALU_DEP_1)
	v_sub_f32_e32 v66, v66, v80
	v_sub_f32_e32 v66, v66, v67
	s_delay_alu instid0(VALU_DEP_3) | instskip(NEXT) | instid1(VALU_DEP_2)
	v_sub_f32_e32 v67, v70, v69
	v_add_f32_e32 v55, v55, v66
	v_add_f32_e32 v66, v71, v68
	s_delay_alu instid0(VALU_DEP_2) | instskip(NEXT) | instid1(VALU_DEP_2)
	v_add_f32_e32 v55, v67, v55
	v_sub_f32_e32 v67, v66, v71
	s_delay_alu instid0(VALU_DEP_2) | instskip(NEXT) | instid1(VALU_DEP_2)
	v_add_f32_e32 v55, v80, v55
	v_sub_f32_e32 v67, v68, v67
	s_delay_alu instid0(VALU_DEP_2) | instskip(NEXT) | instid1(VALU_DEP_1)
	v_mul_f32_e32 v55, v65, v55
	v_add_f32_e32 v55, v67, v55
	s_delay_alu instid0(VALU_DEP_1) | instskip(NEXT) | instid1(VALU_DEP_1)
	v_add_f32_e32 v65, v66, v55
	v_mul_f32_e32 v67, v65, v65
	s_delay_alu instid0(VALU_DEP_1) | instskip(SKIP_2) | instid1(VALU_DEP_3)
	v_fmaak_f32 v68, s25, v67, 0x3ecc95a3
	v_mul_f32_e32 v69, v65, v67
	v_cmp_eq_f32_e64 s25, 0x7f800000, v64
	v_fmaak_f32 v67, v67, v68, 0x3f2aaada
	v_ldexp_f32 v68, v65, 1
	v_sub_f32_e32 v65, v65, v66
	s_delay_alu instid0(VALU_DEP_4) | instskip(NEXT) | instid1(VALU_DEP_3)
	s_or_b32 s25, s25, s30
	v_mul_f32_e32 v67, v69, v67
	v_mul_f32_e32 v69, 0x3f317218, v54
	s_delay_alu instid0(VALU_DEP_2) | instskip(NEXT) | instid1(VALU_DEP_1)
	v_dual_sub_f32 v55, v55, v65 :: v_dual_add_f32 v66, v68, v67
	v_ldexp_f32 v55, v55, 1
	s_delay_alu instid0(VALU_DEP_2) | instskip(NEXT) | instid1(VALU_DEP_4)
	v_sub_f32_e32 v65, v66, v68
	v_fma_f32 v68, 0x3f317218, v54, -v69
	s_delay_alu instid0(VALU_DEP_1) | instskip(NEXT) | instid1(VALU_DEP_1)
	v_dual_sub_f32 v65, v67, v65 :: v_dual_fmamk_f32 v54, v54, 0xb102e308, v68
	v_add_f32_e32 v55, v55, v65
	s_delay_alu instid0(VALU_DEP_2) | instskip(NEXT) | instid1(VALU_DEP_2)
	v_add_f32_e32 v65, v69, v54
	v_add_f32_e32 v67, v66, v55
	s_delay_alu instid0(VALU_DEP_2) | instskip(NEXT) | instid1(VALU_DEP_2)
	v_sub_f32_e32 v69, v65, v69
	v_add_f32_e32 v68, v65, v67
	v_sub_f32_e32 v66, v67, v66
	s_delay_alu instid0(VALU_DEP_3) | instskip(NEXT) | instid1(VALU_DEP_2)
	v_sub_f32_e32 v54, v54, v69
	v_dual_sub_f32 v70, v68, v65 :: v_dual_sub_f32 v55, v55, v66
	s_delay_alu instid0(VALU_DEP_1) | instskip(NEXT) | instid1(VALU_DEP_2)
	v_sub_f32_e32 v71, v68, v70
	v_dual_sub_f32 v66, v67, v70 :: v_dual_add_f32 v67, v54, v55
	s_delay_alu instid0(VALU_DEP_2) | instskip(NEXT) | instid1(VALU_DEP_1)
	v_sub_f32_e32 v65, v65, v71
	v_dual_add_f32 v65, v66, v65 :: v_dual_sub_f32 v66, v67, v54
	s_delay_alu instid0(VALU_DEP_1) | instskip(NEXT) | instid1(VALU_DEP_2)
	v_add_f32_e32 v65, v67, v65
	v_sub_f32_e32 v67, v67, v66
	v_sub_f32_e32 v55, v55, v66
	s_delay_alu instid0(VALU_DEP_2) | instskip(NEXT) | instid1(VALU_DEP_1)
	v_dual_add_f32 v69, v68, v65 :: v_dual_sub_f32 v54, v54, v67
	v_sub_f32_e32 v66, v69, v68
	s_delay_alu instid0(VALU_DEP_2) | instskip(NEXT) | instid1(VALU_DEP_2)
	v_add_f32_e32 v54, v55, v54
	v_sub_f32_e32 v55, v65, v66
	s_delay_alu instid0(VALU_DEP_1) | instskip(NEXT) | instid1(VALU_DEP_1)
	v_add_f32_e32 v54, v54, v55
	v_add_f32_e32 v54, v69, v54
	s_delay_alu instid0(VALU_DEP_1) | instskip(NEXT) | instid1(VALU_DEP_1)
	v_cndmask_b32_e64 v54, v54, v64, s25
	v_add_f32_e32 v53, v53, v54
	s_delay_alu instid0(VALU_DEP_1)
	v_cvt_f16_f32_e32 v64, v53
.LBB410_302:
	s_or_b32 exec_lo, exec_lo, vcc_hi
	s_delay_alu instid0(VALU_DEP_1)
	v_dual_mov_b32 v54, v64 :: v_dual_and_b32 v55, 0xffff, v64
.LBB410_303:
	s_or_b32 exec_lo, exec_lo, s27
	ds_swizzle_b32 v55, v55 offset:swizzle(BROADCAST,32,15)
	v_and_b32_e32 v53, 16, v52
	s_mov_b32 s27, exec_lo
	s_delay_alu instid0(VALU_DEP_1)
	v_cmpx_ne_u32_e32 0, v53
	s_cbranch_execz .LBB410_307
; %bb.304:
	s_waitcnt lgkmcnt(0)
	v_cvt_f32_f16_e32 v53, v55
	v_cvt_f32_f16_e32 v64, v54
	v_cmp_u_f16_e64 s25, v55, v55
	s_delay_alu instid0(VALU_DEP_2) | instskip(SKIP_1) | instid1(VALU_DEP_2)
	v_min_f32_e32 v65, v53, v64
	v_max_f32_e32 v66, v53, v64
	v_cndmask_b32_e64 v65, v65, v53, s25
	s_delay_alu instid0(VALU_DEP_2) | instskip(SKIP_1) | instid1(VALU_DEP_1)
	v_cndmask_b32_e64 v53, v66, v53, s25
	v_cmp_u_f16_e64 s25, v54, v54
	v_cndmask_b32_e64 v54, v65, v64, s25
	s_delay_alu instid0(VALU_DEP_3) | instskip(NEXT) | instid1(VALU_DEP_2)
	v_cndmask_b32_e64 v53, v53, v64, s25
	v_cmp_class_f32_e64 vcc_hi, v54, 0x1f8
	s_delay_alu instid0(VALU_DEP_2) | instskip(NEXT) | instid1(VALU_DEP_1)
	v_cmp_neq_f32_e64 s25, v54, v53
	s_or_b32 s25, s25, vcc_hi
	s_delay_alu instid0(SALU_CYCLE_1)
	s_and_saveexec_b32 vcc_hi, s25
	s_cbranch_execz .LBB410_306
; %bb.305:
	v_sub_f32_e32 v54, v54, v53
	s_delay_alu instid0(VALU_DEP_1) | instskip(NEXT) | instid1(VALU_DEP_1)
	v_mul_f32_e32 v55, 0x3fb8aa3b, v54
	v_fma_f32 v64, 0x3fb8aa3b, v54, -v55
	v_rndne_f32_e32 v65, v55
	s_delay_alu instid0(VALU_DEP_1) | instskip(NEXT) | instid1(VALU_DEP_1)
	v_dual_fmamk_f32 v64, v54, 0x32a5705f, v64 :: v_dual_sub_f32 v55, v55, v65
	v_add_f32_e32 v55, v55, v64
	v_cvt_i32_f32_e32 v64, v65
	v_cmp_ngt_f32_e64 s25, 0xc2ce8ed0, v54
	s_delay_alu instid0(VALU_DEP_3) | instskip(SKIP_2) | instid1(VALU_DEP_1)
	v_exp_f32_e32 v55, v55
	s_waitcnt_depctr 0xfff
	v_ldexp_f32 v55, v55, v64
	v_cndmask_b32_e64 v55, 0, v55, s25
	v_cmp_nlt_f32_e64 s25, 0x42b17218, v54
	s_delay_alu instid0(VALU_DEP_1) | instskip(NEXT) | instid1(VALU_DEP_1)
	v_cndmask_b32_e64 v64, 0x7f800000, v55, s25
	v_add_f32_e32 v65, 1.0, v64
	v_cmp_gt_f32_e64 s30, 0x33800000, |v64|
	s_delay_alu instid0(VALU_DEP_2) | instskip(NEXT) | instid1(VALU_DEP_1)
	v_cvt_f64_f32_e32 v[54:55], v65
	v_frexp_exp_i32_f64_e32 v54, v[54:55]
	v_frexp_mant_f32_e32 v55, v65
	s_delay_alu instid0(VALU_DEP_1) | instskip(SKIP_1) | instid1(VALU_DEP_1)
	v_cmp_gt_f32_e64 s25, 0x3f2aaaab, v55
	v_add_f32_e32 v55, -1.0, v65
	v_sub_f32_e32 v67, v55, v65
	s_delay_alu instid0(VALU_DEP_3) | instskip(SKIP_1) | instid1(VALU_DEP_1)
	v_subrev_co_ci_u32_e64 v54, s25, 0, v54, s25
	s_mov_b32 s25, 0x3e9b6dac
	v_sub_nc_u32_e32 v66, 0, v54
	v_cvt_f32_i32_e32 v54, v54
	s_delay_alu instid0(VALU_DEP_2) | instskip(NEXT) | instid1(VALU_DEP_1)
	v_ldexp_f32 v65, v65, v66
	v_dual_sub_f32 v55, v64, v55 :: v_dual_add_f32 v68, 1.0, v65
	v_add_f32_e32 v67, 1.0, v67
	s_delay_alu instid0(VALU_DEP_1) | instskip(NEXT) | instid1(VALU_DEP_3)
	v_add_f32_e32 v55, v55, v67
	v_add_f32_e32 v67, -1.0, v68
	s_delay_alu instid0(VALU_DEP_2) | instskip(NEXT) | instid1(VALU_DEP_2)
	v_ldexp_f32 v55, v55, v66
	v_dual_add_f32 v66, -1.0, v65 :: v_dual_sub_f32 v67, v65, v67
	s_delay_alu instid0(VALU_DEP_1) | instskip(NEXT) | instid1(VALU_DEP_2)
	v_add_f32_e32 v69, 1.0, v66
	v_add_f32_e32 v67, v55, v67
	s_delay_alu instid0(VALU_DEP_2) | instskip(NEXT) | instid1(VALU_DEP_2)
	v_sub_f32_e32 v65, v65, v69
	v_add_f32_e32 v69, v68, v67
	s_delay_alu instid0(VALU_DEP_2) | instskip(NEXT) | instid1(VALU_DEP_2)
	v_add_f32_e32 v55, v55, v65
	v_rcp_f32_e32 v65, v69
	v_sub_f32_e32 v68, v68, v69
	s_delay_alu instid0(VALU_DEP_1) | instskip(NEXT) | instid1(VALU_DEP_1)
	v_dual_add_f32 v70, v66, v55 :: v_dual_add_f32 v67, v67, v68
	v_sub_f32_e32 v66, v66, v70
	s_waitcnt_depctr 0xfff
	v_mul_f32_e32 v71, v70, v65
	s_delay_alu instid0(VALU_DEP_1) | instskip(NEXT) | instid1(VALU_DEP_1)
	v_dual_add_f32 v55, v55, v66 :: v_dual_mul_f32 v80, v69, v71
	v_fma_f32 v68, v71, v69, -v80
	s_delay_alu instid0(VALU_DEP_1) | instskip(NEXT) | instid1(VALU_DEP_1)
	v_fmac_f32_e32 v68, v71, v67
	v_add_f32_e32 v81, v80, v68
	s_delay_alu instid0(VALU_DEP_1) | instskip(SKIP_1) | instid1(VALU_DEP_2)
	v_sub_f32_e32 v82, v70, v81
	v_sub_f32_e32 v66, v81, v80
	v_sub_f32_e32 v70, v70, v82
	s_delay_alu instid0(VALU_DEP_2) | instskip(NEXT) | instid1(VALU_DEP_2)
	v_sub_f32_e32 v66, v66, v68
	v_sub_f32_e32 v70, v70, v81
	s_delay_alu instid0(VALU_DEP_1) | instskip(NEXT) | instid1(VALU_DEP_1)
	v_add_f32_e32 v55, v55, v70
	v_add_f32_e32 v55, v66, v55
	s_delay_alu instid0(VALU_DEP_1) | instskip(NEXT) | instid1(VALU_DEP_1)
	v_add_f32_e32 v66, v82, v55
	v_mul_f32_e32 v68, v65, v66
	s_delay_alu instid0(VALU_DEP_1) | instskip(NEXT) | instid1(VALU_DEP_1)
	v_dual_sub_f32 v81, v82, v66 :: v_dual_mul_f32 v70, v69, v68
	v_add_f32_e32 v55, v55, v81
	s_delay_alu instid0(VALU_DEP_2) | instskip(NEXT) | instid1(VALU_DEP_1)
	v_fma_f32 v69, v68, v69, -v70
	v_fmac_f32_e32 v69, v68, v67
	s_delay_alu instid0(VALU_DEP_1) | instskip(NEXT) | instid1(VALU_DEP_1)
	v_add_f32_e32 v67, v70, v69
	v_sub_f32_e32 v80, v66, v67
	v_sub_f32_e32 v70, v67, v70
	s_delay_alu instid0(VALU_DEP_2) | instskip(NEXT) | instid1(VALU_DEP_1)
	v_sub_f32_e32 v66, v66, v80
	v_sub_f32_e32 v66, v66, v67
	s_delay_alu instid0(VALU_DEP_3) | instskip(NEXT) | instid1(VALU_DEP_2)
	v_sub_f32_e32 v67, v70, v69
	v_add_f32_e32 v55, v55, v66
	v_add_f32_e32 v66, v71, v68
	s_delay_alu instid0(VALU_DEP_2) | instskip(NEXT) | instid1(VALU_DEP_2)
	v_add_f32_e32 v55, v67, v55
	v_sub_f32_e32 v67, v66, v71
	s_delay_alu instid0(VALU_DEP_2) | instskip(NEXT) | instid1(VALU_DEP_2)
	v_add_f32_e32 v55, v80, v55
	v_sub_f32_e32 v67, v68, v67
	s_delay_alu instid0(VALU_DEP_2) | instskip(NEXT) | instid1(VALU_DEP_1)
	v_mul_f32_e32 v55, v65, v55
	v_add_f32_e32 v55, v67, v55
	s_delay_alu instid0(VALU_DEP_1) | instskip(NEXT) | instid1(VALU_DEP_1)
	v_add_f32_e32 v65, v66, v55
	v_mul_f32_e32 v67, v65, v65
	s_delay_alu instid0(VALU_DEP_1) | instskip(SKIP_2) | instid1(VALU_DEP_3)
	v_fmaak_f32 v68, s25, v67, 0x3ecc95a3
	v_mul_f32_e32 v69, v65, v67
	v_cmp_eq_f32_e64 s25, 0x7f800000, v64
	v_fmaak_f32 v67, v67, v68, 0x3f2aaada
	v_ldexp_f32 v68, v65, 1
	v_sub_f32_e32 v65, v65, v66
	s_delay_alu instid0(VALU_DEP_4) | instskip(NEXT) | instid1(VALU_DEP_3)
	s_or_b32 s25, s25, s30
	v_mul_f32_e32 v67, v69, v67
	v_mul_f32_e32 v69, 0x3f317218, v54
	s_delay_alu instid0(VALU_DEP_2) | instskip(NEXT) | instid1(VALU_DEP_1)
	v_dual_sub_f32 v55, v55, v65 :: v_dual_add_f32 v66, v68, v67
	v_ldexp_f32 v55, v55, 1
	s_delay_alu instid0(VALU_DEP_2) | instskip(NEXT) | instid1(VALU_DEP_4)
	v_sub_f32_e32 v65, v66, v68
	v_fma_f32 v68, 0x3f317218, v54, -v69
	s_delay_alu instid0(VALU_DEP_1) | instskip(NEXT) | instid1(VALU_DEP_1)
	v_dual_sub_f32 v65, v67, v65 :: v_dual_fmamk_f32 v54, v54, 0xb102e308, v68
	v_add_f32_e32 v55, v55, v65
	s_delay_alu instid0(VALU_DEP_2) | instskip(NEXT) | instid1(VALU_DEP_2)
	v_add_f32_e32 v65, v69, v54
	v_add_f32_e32 v67, v66, v55
	s_delay_alu instid0(VALU_DEP_2) | instskip(NEXT) | instid1(VALU_DEP_2)
	v_sub_f32_e32 v69, v65, v69
	v_add_f32_e32 v68, v65, v67
	v_sub_f32_e32 v66, v67, v66
	s_delay_alu instid0(VALU_DEP_3) | instskip(NEXT) | instid1(VALU_DEP_2)
	v_sub_f32_e32 v54, v54, v69
	v_dual_sub_f32 v70, v68, v65 :: v_dual_sub_f32 v55, v55, v66
	s_delay_alu instid0(VALU_DEP_1) | instskip(NEXT) | instid1(VALU_DEP_2)
	v_sub_f32_e32 v71, v68, v70
	v_dual_sub_f32 v66, v67, v70 :: v_dual_add_f32 v67, v54, v55
	s_delay_alu instid0(VALU_DEP_2) | instskip(NEXT) | instid1(VALU_DEP_1)
	v_sub_f32_e32 v65, v65, v71
	v_dual_add_f32 v65, v66, v65 :: v_dual_sub_f32 v66, v67, v54
	s_delay_alu instid0(VALU_DEP_1) | instskip(NEXT) | instid1(VALU_DEP_2)
	v_add_f32_e32 v65, v67, v65
	v_sub_f32_e32 v67, v67, v66
	v_sub_f32_e32 v55, v55, v66
	s_delay_alu instid0(VALU_DEP_2) | instskip(NEXT) | instid1(VALU_DEP_1)
	v_dual_add_f32 v69, v68, v65 :: v_dual_sub_f32 v54, v54, v67
	v_sub_f32_e32 v66, v69, v68
	s_delay_alu instid0(VALU_DEP_2) | instskip(NEXT) | instid1(VALU_DEP_2)
	v_add_f32_e32 v54, v55, v54
	v_sub_f32_e32 v55, v65, v66
	s_delay_alu instid0(VALU_DEP_1) | instskip(NEXT) | instid1(VALU_DEP_1)
	v_add_f32_e32 v54, v54, v55
	v_add_f32_e32 v54, v69, v54
	s_delay_alu instid0(VALU_DEP_1) | instskip(NEXT) | instid1(VALU_DEP_1)
	v_cndmask_b32_e64 v54, v54, v64, s25
	v_add_f32_e32 v53, v53, v54
	s_delay_alu instid0(VALU_DEP_1)
	v_cvt_f16_f32_e32 v55, v53
.LBB410_306:
	s_or_b32 exec_lo, exec_lo, vcc_hi
	s_delay_alu instid0(VALU_DEP_1)
	v_mov_b32_e32 v54, v55
.LBB410_307:
	s_or_b32 exec_lo, exec_lo, s27
	v_add_nc_u32_e32 v53, -1, v52
	s_delay_alu instid0(VALU_DEP_1) | instskip(NEXT) | instid1(VALU_DEP_1)
	v_cmp_gt_i32_e64 s25, 0, v53
	v_cndmask_b32_e64 v52, v53, v52, s25
	v_and_b32_e32 v53, 0xffff, v54
	s_delay_alu instid0(VALU_DEP_2)
	v_lshlrev_b32_e32 v52, 2, v52
	ds_bpermute_b32 v52, v52, v53
	v_max_f32_e32 v53, v35, v35
	s_waitcnt lgkmcnt(0)
	v_cvt_f32_f16_e32 v54, v52
	v_cmp_u_f16_e64 s25, v52, v52
	s_delay_alu instid0(VALU_DEP_2) | instskip(SKIP_1) | instid1(VALU_DEP_2)
	v_min_f32_e32 v55, v54, v53
	v_max_f32_e32 v53, v54, v53
	v_cndmask_b32_e64 v55, v55, v54, s25
	s_delay_alu instid0(VALU_DEP_2) | instskip(NEXT) | instid1(VALU_DEP_2)
	v_cndmask_b32_e64 v54, v53, v54, s25
	v_cndmask_b32_e64 v53, v55, v35, s24
	s_delay_alu instid0(VALU_DEP_2) | instskip(NEXT) | instid1(VALU_DEP_2)
	v_cndmask_b32_e64 v35, v54, v35, s24
	v_cmp_class_f32_e64 s25, v53, 0x1f8
	s_delay_alu instid0(VALU_DEP_2) | instskip(NEXT) | instid1(VALU_DEP_1)
	v_cmp_neq_f32_e64 s24, v53, v35
	s_or_b32 s24, s24, s25
	s_delay_alu instid0(SALU_CYCLE_1)
	s_and_saveexec_b32 s25, s24
	s_cbranch_execz .LBB410_309
; %bb.308:
	v_sub_f32_e32 v52, v53, v35
	s_delay_alu instid0(VALU_DEP_1) | instskip(SKIP_1) | instid1(VALU_DEP_2)
	v_mul_f32_e32 v53, 0x3fb8aa3b, v52
	v_cmp_ngt_f32_e64 s24, 0xc2ce8ed0, v52
	v_fma_f32 v54, 0x3fb8aa3b, v52, -v53
	v_rndne_f32_e32 v55, v53
	s_delay_alu instid0(VALU_DEP_1) | instskip(NEXT) | instid1(VALU_DEP_1)
	v_dual_fmamk_f32 v54, v52, 0x32a5705f, v54 :: v_dual_sub_f32 v53, v53, v55
	v_add_f32_e32 v53, v53, v54
	v_cvt_i32_f32_e32 v54, v55
	s_delay_alu instid0(VALU_DEP_2) | instskip(SKIP_2) | instid1(VALU_DEP_1)
	v_exp_f32_e32 v53, v53
	s_waitcnt_depctr 0xfff
	v_ldexp_f32 v53, v53, v54
	v_cndmask_b32_e64 v53, 0, v53, s24
	v_cmp_nlt_f32_e64 s24, 0x42b17218, v52
	s_delay_alu instid0(VALU_DEP_1) | instskip(NEXT) | instid1(VALU_DEP_1)
	v_cndmask_b32_e64 v54, 0x7f800000, v53, s24
	v_add_f32_e32 v55, 1.0, v54
	v_cmp_gt_f32_e64 s27, 0x33800000, |v54|
	s_delay_alu instid0(VALU_DEP_2) | instskip(NEXT) | instid1(VALU_DEP_1)
	v_cvt_f64_f32_e32 v[52:53], v55
	v_frexp_exp_i32_f64_e32 v52, v[52:53]
	v_frexp_mant_f32_e32 v53, v55
	s_delay_alu instid0(VALU_DEP_1) | instskip(SKIP_1) | instid1(VALU_DEP_1)
	v_cmp_gt_f32_e64 s24, 0x3f2aaaab, v53
	v_add_f32_e32 v53, -1.0, v55
	v_sub_f32_e32 v65, v53, v55
	v_sub_f32_e32 v53, v54, v53
	s_delay_alu instid0(VALU_DEP_4) | instskip(SKIP_1) | instid1(VALU_DEP_1)
	v_subrev_co_ci_u32_e64 v52, s24, 0, v52, s24
	s_mov_b32 s24, 0x3e9b6dac
	v_sub_nc_u32_e32 v64, 0, v52
	v_cvt_f32_i32_e32 v52, v52
	s_delay_alu instid0(VALU_DEP_2) | instskip(NEXT) | instid1(VALU_DEP_1)
	v_ldexp_f32 v55, v55, v64
	v_dual_add_f32 v66, 1.0, v55 :: v_dual_add_f32 v65, 1.0, v65
	s_delay_alu instid0(VALU_DEP_1) | instskip(NEXT) | instid1(VALU_DEP_2)
	v_add_f32_e32 v53, v53, v65
	v_add_f32_e32 v65, -1.0, v66
	s_delay_alu instid0(VALU_DEP_2) | instskip(NEXT) | instid1(VALU_DEP_2)
	v_ldexp_f32 v53, v53, v64
	v_dual_add_f32 v64, -1.0, v55 :: v_dual_sub_f32 v65, v55, v65
	s_delay_alu instid0(VALU_DEP_1) | instskip(NEXT) | instid1(VALU_DEP_2)
	v_add_f32_e32 v67, 1.0, v64
	v_add_f32_e32 v65, v53, v65
	s_delay_alu instid0(VALU_DEP_2) | instskip(NEXT) | instid1(VALU_DEP_2)
	v_sub_f32_e32 v55, v55, v67
	v_add_f32_e32 v67, v66, v65
	s_delay_alu instid0(VALU_DEP_2) | instskip(NEXT) | instid1(VALU_DEP_2)
	v_add_f32_e32 v53, v53, v55
	v_rcp_f32_e32 v55, v67
	v_sub_f32_e32 v66, v66, v67
	s_delay_alu instid0(VALU_DEP_1) | instskip(NEXT) | instid1(VALU_DEP_1)
	v_dual_add_f32 v68, v64, v53 :: v_dual_add_f32 v65, v65, v66
	v_sub_f32_e32 v64, v64, v68
	s_waitcnt_depctr 0xfff
	v_mul_f32_e32 v69, v68, v55
	s_delay_alu instid0(VALU_DEP_1) | instskip(NEXT) | instid1(VALU_DEP_1)
	v_dual_add_f32 v53, v53, v64 :: v_dual_mul_f32 v70, v67, v69
	v_fma_f32 v66, v69, v67, -v70
	s_delay_alu instid0(VALU_DEP_1) | instskip(NEXT) | instid1(VALU_DEP_1)
	v_fmac_f32_e32 v66, v69, v65
	v_add_f32_e32 v71, v70, v66
	s_delay_alu instid0(VALU_DEP_1) | instskip(SKIP_1) | instid1(VALU_DEP_2)
	v_sub_f32_e32 v80, v68, v71
	v_sub_f32_e32 v64, v71, v70
	;; [unrolled: 1-line block ×3, first 2 shown]
	s_delay_alu instid0(VALU_DEP_2) | instskip(NEXT) | instid1(VALU_DEP_2)
	v_sub_f32_e32 v64, v64, v66
	v_sub_f32_e32 v68, v68, v71
	s_delay_alu instid0(VALU_DEP_1) | instskip(NEXT) | instid1(VALU_DEP_1)
	v_add_f32_e32 v53, v53, v68
	v_add_f32_e32 v53, v64, v53
	s_delay_alu instid0(VALU_DEP_1) | instskip(NEXT) | instid1(VALU_DEP_1)
	v_add_f32_e32 v64, v80, v53
	v_mul_f32_e32 v66, v55, v64
	s_delay_alu instid0(VALU_DEP_1) | instskip(NEXT) | instid1(VALU_DEP_1)
	v_dual_sub_f32 v71, v80, v64 :: v_dual_mul_f32 v68, v67, v66
	v_add_f32_e32 v53, v53, v71
	s_delay_alu instid0(VALU_DEP_2) | instskip(NEXT) | instid1(VALU_DEP_1)
	v_fma_f32 v67, v66, v67, -v68
	v_fmac_f32_e32 v67, v66, v65
	s_delay_alu instid0(VALU_DEP_1) | instskip(NEXT) | instid1(VALU_DEP_1)
	v_add_f32_e32 v65, v68, v67
	v_sub_f32_e32 v70, v64, v65
	v_sub_f32_e32 v68, v65, v68
	s_delay_alu instid0(VALU_DEP_2) | instskip(NEXT) | instid1(VALU_DEP_1)
	v_sub_f32_e32 v64, v64, v70
	v_sub_f32_e32 v64, v64, v65
	s_delay_alu instid0(VALU_DEP_3) | instskip(NEXT) | instid1(VALU_DEP_2)
	v_sub_f32_e32 v65, v68, v67
	v_add_f32_e32 v53, v53, v64
	v_add_f32_e32 v64, v69, v66
	s_delay_alu instid0(VALU_DEP_2) | instskip(NEXT) | instid1(VALU_DEP_2)
	v_add_f32_e32 v53, v65, v53
	v_sub_f32_e32 v65, v64, v69
	s_delay_alu instid0(VALU_DEP_2) | instskip(NEXT) | instid1(VALU_DEP_2)
	v_add_f32_e32 v53, v70, v53
	v_sub_f32_e32 v65, v66, v65
	s_delay_alu instid0(VALU_DEP_2) | instskip(NEXT) | instid1(VALU_DEP_1)
	v_mul_f32_e32 v53, v55, v53
	v_add_f32_e32 v53, v65, v53
	s_delay_alu instid0(VALU_DEP_1) | instskip(NEXT) | instid1(VALU_DEP_1)
	v_add_f32_e32 v55, v64, v53
	v_mul_f32_e32 v65, v55, v55
	s_delay_alu instid0(VALU_DEP_1) | instskip(SKIP_2) | instid1(VALU_DEP_3)
	v_fmaak_f32 v66, s24, v65, 0x3ecc95a3
	v_mul_f32_e32 v67, v55, v65
	v_cmp_eq_f32_e64 s24, 0x7f800000, v54
	v_fmaak_f32 v65, v65, v66, 0x3f2aaada
	v_ldexp_f32 v66, v55, 1
	v_sub_f32_e32 v55, v55, v64
	s_delay_alu instid0(VALU_DEP_4) | instskip(NEXT) | instid1(VALU_DEP_3)
	s_or_b32 s24, s24, s27
	v_mul_f32_e32 v65, v67, v65
	v_mul_f32_e32 v67, 0x3f317218, v52
	s_delay_alu instid0(VALU_DEP_2) | instskip(NEXT) | instid1(VALU_DEP_1)
	v_dual_sub_f32 v53, v53, v55 :: v_dual_add_f32 v64, v66, v65
	v_ldexp_f32 v53, v53, 1
	s_delay_alu instid0(VALU_DEP_2) | instskip(NEXT) | instid1(VALU_DEP_4)
	v_sub_f32_e32 v55, v64, v66
	v_fma_f32 v66, 0x3f317218, v52, -v67
	s_delay_alu instid0(VALU_DEP_1) | instskip(NEXT) | instid1(VALU_DEP_1)
	v_dual_sub_f32 v55, v65, v55 :: v_dual_fmamk_f32 v52, v52, 0xb102e308, v66
	v_add_f32_e32 v53, v53, v55
	s_delay_alu instid0(VALU_DEP_2) | instskip(NEXT) | instid1(VALU_DEP_2)
	v_add_f32_e32 v55, v67, v52
	v_add_f32_e32 v65, v64, v53
	s_delay_alu instid0(VALU_DEP_2) | instskip(NEXT) | instid1(VALU_DEP_2)
	v_sub_f32_e32 v67, v55, v67
	v_add_f32_e32 v66, v55, v65
	v_sub_f32_e32 v64, v65, v64
	s_delay_alu instid0(VALU_DEP_3) | instskip(NEXT) | instid1(VALU_DEP_2)
	v_sub_f32_e32 v52, v52, v67
	v_dual_sub_f32 v68, v66, v55 :: v_dual_sub_f32 v53, v53, v64
	s_delay_alu instid0(VALU_DEP_1) | instskip(NEXT) | instid1(VALU_DEP_2)
	v_sub_f32_e32 v69, v66, v68
	v_dual_sub_f32 v64, v65, v68 :: v_dual_add_f32 v65, v52, v53
	s_delay_alu instid0(VALU_DEP_2) | instskip(NEXT) | instid1(VALU_DEP_1)
	v_sub_f32_e32 v55, v55, v69
	v_dual_add_f32 v55, v64, v55 :: v_dual_sub_f32 v64, v65, v52
	s_delay_alu instid0(VALU_DEP_1) | instskip(NEXT) | instid1(VALU_DEP_2)
	v_add_f32_e32 v55, v65, v55
	v_sub_f32_e32 v65, v65, v64
	v_sub_f32_e32 v53, v53, v64
	s_delay_alu instid0(VALU_DEP_2) | instskip(NEXT) | instid1(VALU_DEP_1)
	v_dual_add_f32 v67, v66, v55 :: v_dual_sub_f32 v52, v52, v65
	v_sub_f32_e32 v64, v67, v66
	s_delay_alu instid0(VALU_DEP_2) | instskip(NEXT) | instid1(VALU_DEP_2)
	v_add_f32_e32 v52, v53, v52
	v_sub_f32_e32 v53, v55, v64
	s_delay_alu instid0(VALU_DEP_1) | instskip(NEXT) | instid1(VALU_DEP_1)
	v_add_f32_e32 v52, v52, v53
	v_add_f32_e32 v52, v67, v52
	s_delay_alu instid0(VALU_DEP_1) | instskip(NEXT) | instid1(VALU_DEP_1)
	v_cndmask_b32_e64 v52, v52, v54, s24
	v_add_f32_e32 v35, v35, v52
	s_delay_alu instid0(VALU_DEP_1)
	v_cvt_f16_f32_e32 v52, v35
.LBB410_309:
	s_or_b32 exec_lo, exec_lo, s25
	s_delay_alu instid0(VALU_DEP_1)
	v_cndmask_b32_e64 v52, v52, v28, s23
	; wave barrier
	ds_store_b16 v29, v52
	; wave barrier
	ds_load_u16 v35, v29 offset:2
	v_cvt_f32_f16_e32 v53, v52
	v_cmp_u_f16_e64 s23, v52, v52
	s_waitcnt lgkmcnt(0)
	v_cvt_f32_f16_e32 v54, v35
	s_delay_alu instid0(VALU_DEP_1) | instskip(SKIP_1) | instid1(VALU_DEP_2)
	v_min_f32_e32 v55, v53, v54
	v_max_f32_e32 v64, v53, v54
	v_cndmask_b32_e64 v55, v55, v53, s23
	s_delay_alu instid0(VALU_DEP_2) | instskip(SKIP_1) | instid1(VALU_DEP_1)
	v_cndmask_b32_e64 v64, v64, v53, s23
	v_cmp_u_f16_e64 s23, v35, v35
	v_cndmask_b32_e64 v53, v55, v54, s23
	s_delay_alu instid0(VALU_DEP_3) | instskip(NEXT) | instid1(VALU_DEP_2)
	v_cndmask_b32_e64 v35, v64, v54, s23
	v_cmp_class_f32_e64 s24, v53, 0x1f8
	s_delay_alu instid0(VALU_DEP_2) | instskip(NEXT) | instid1(VALU_DEP_1)
	v_cmp_neq_f32_e64 s23, v53, v35
	s_or_b32 s23, s23, s24
	s_delay_alu instid0(SALU_CYCLE_1)
	s_and_saveexec_b32 s24, s23
	s_cbranch_execz .LBB410_311
; %bb.310:
	v_sub_f32_e32 v52, v53, v35
	s_delay_alu instid0(VALU_DEP_1) | instskip(SKIP_1) | instid1(VALU_DEP_2)
	v_mul_f32_e32 v53, 0x3fb8aa3b, v52
	v_cmp_ngt_f32_e64 s23, 0xc2ce8ed0, v52
	v_fma_f32 v54, 0x3fb8aa3b, v52, -v53
	v_rndne_f32_e32 v55, v53
	s_delay_alu instid0(VALU_DEP_1) | instskip(NEXT) | instid1(VALU_DEP_1)
	v_dual_fmamk_f32 v54, v52, 0x32a5705f, v54 :: v_dual_sub_f32 v53, v53, v55
	v_add_f32_e32 v53, v53, v54
	v_cvt_i32_f32_e32 v54, v55
	s_delay_alu instid0(VALU_DEP_2) | instskip(SKIP_2) | instid1(VALU_DEP_1)
	v_exp_f32_e32 v53, v53
	s_waitcnt_depctr 0xfff
	v_ldexp_f32 v53, v53, v54
	v_cndmask_b32_e64 v53, 0, v53, s23
	v_cmp_nlt_f32_e64 s23, 0x42b17218, v52
	s_delay_alu instid0(VALU_DEP_1) | instskip(NEXT) | instid1(VALU_DEP_1)
	v_cndmask_b32_e64 v54, 0x7f800000, v53, s23
	v_add_f32_e32 v55, 1.0, v54
	v_cmp_gt_f32_e64 s25, 0x33800000, |v54|
	s_delay_alu instid0(VALU_DEP_2) | instskip(NEXT) | instid1(VALU_DEP_1)
	v_cvt_f64_f32_e32 v[52:53], v55
	v_frexp_exp_i32_f64_e32 v52, v[52:53]
	v_frexp_mant_f32_e32 v53, v55
	s_delay_alu instid0(VALU_DEP_1) | instskip(SKIP_1) | instid1(VALU_DEP_1)
	v_cmp_gt_f32_e64 s23, 0x3f2aaaab, v53
	v_add_f32_e32 v53, -1.0, v55
	v_sub_f32_e32 v65, v53, v55
	v_sub_f32_e32 v53, v54, v53
	s_delay_alu instid0(VALU_DEP_4) | instskip(SKIP_1) | instid1(VALU_DEP_1)
	v_subrev_co_ci_u32_e64 v52, s23, 0, v52, s23
	s_mov_b32 s23, 0x3e9b6dac
	v_sub_nc_u32_e32 v64, 0, v52
	v_cvt_f32_i32_e32 v52, v52
	s_delay_alu instid0(VALU_DEP_2) | instskip(NEXT) | instid1(VALU_DEP_1)
	v_ldexp_f32 v55, v55, v64
	v_dual_add_f32 v66, 1.0, v55 :: v_dual_add_f32 v65, 1.0, v65
	s_delay_alu instid0(VALU_DEP_1) | instskip(NEXT) | instid1(VALU_DEP_2)
	v_add_f32_e32 v53, v53, v65
	v_add_f32_e32 v65, -1.0, v66
	s_delay_alu instid0(VALU_DEP_2) | instskip(NEXT) | instid1(VALU_DEP_2)
	v_ldexp_f32 v53, v53, v64
	v_dual_add_f32 v64, -1.0, v55 :: v_dual_sub_f32 v65, v55, v65
	s_delay_alu instid0(VALU_DEP_1) | instskip(NEXT) | instid1(VALU_DEP_2)
	v_add_f32_e32 v67, 1.0, v64
	v_add_f32_e32 v65, v53, v65
	s_delay_alu instid0(VALU_DEP_2) | instskip(NEXT) | instid1(VALU_DEP_2)
	v_sub_f32_e32 v55, v55, v67
	v_add_f32_e32 v67, v66, v65
	s_delay_alu instid0(VALU_DEP_2) | instskip(NEXT) | instid1(VALU_DEP_2)
	v_add_f32_e32 v53, v53, v55
	v_rcp_f32_e32 v55, v67
	v_sub_f32_e32 v66, v66, v67
	s_delay_alu instid0(VALU_DEP_1) | instskip(NEXT) | instid1(VALU_DEP_1)
	v_dual_add_f32 v68, v64, v53 :: v_dual_add_f32 v65, v65, v66
	v_sub_f32_e32 v64, v64, v68
	s_waitcnt_depctr 0xfff
	v_mul_f32_e32 v69, v68, v55
	s_delay_alu instid0(VALU_DEP_1) | instskip(NEXT) | instid1(VALU_DEP_1)
	v_dual_add_f32 v53, v53, v64 :: v_dual_mul_f32 v70, v67, v69
	v_fma_f32 v66, v69, v67, -v70
	s_delay_alu instid0(VALU_DEP_1) | instskip(NEXT) | instid1(VALU_DEP_1)
	v_fmac_f32_e32 v66, v69, v65
	v_add_f32_e32 v71, v70, v66
	s_delay_alu instid0(VALU_DEP_1) | instskip(SKIP_1) | instid1(VALU_DEP_2)
	v_sub_f32_e32 v80, v68, v71
	v_sub_f32_e32 v64, v71, v70
	;; [unrolled: 1-line block ×3, first 2 shown]
	s_delay_alu instid0(VALU_DEP_2) | instskip(NEXT) | instid1(VALU_DEP_2)
	v_sub_f32_e32 v64, v64, v66
	v_sub_f32_e32 v68, v68, v71
	s_delay_alu instid0(VALU_DEP_1) | instskip(NEXT) | instid1(VALU_DEP_1)
	v_add_f32_e32 v53, v53, v68
	v_add_f32_e32 v53, v64, v53
	s_delay_alu instid0(VALU_DEP_1) | instskip(NEXT) | instid1(VALU_DEP_1)
	v_add_f32_e32 v64, v80, v53
	v_mul_f32_e32 v66, v55, v64
	s_delay_alu instid0(VALU_DEP_1) | instskip(NEXT) | instid1(VALU_DEP_1)
	v_dual_sub_f32 v71, v80, v64 :: v_dual_mul_f32 v68, v67, v66
	v_add_f32_e32 v53, v53, v71
	s_delay_alu instid0(VALU_DEP_2) | instskip(NEXT) | instid1(VALU_DEP_1)
	v_fma_f32 v67, v66, v67, -v68
	v_fmac_f32_e32 v67, v66, v65
	s_delay_alu instid0(VALU_DEP_1) | instskip(NEXT) | instid1(VALU_DEP_1)
	v_add_f32_e32 v65, v68, v67
	v_sub_f32_e32 v70, v64, v65
	v_sub_f32_e32 v68, v65, v68
	s_delay_alu instid0(VALU_DEP_2) | instskip(NEXT) | instid1(VALU_DEP_1)
	v_sub_f32_e32 v64, v64, v70
	v_sub_f32_e32 v64, v64, v65
	s_delay_alu instid0(VALU_DEP_3) | instskip(NEXT) | instid1(VALU_DEP_2)
	v_sub_f32_e32 v65, v68, v67
	v_add_f32_e32 v53, v53, v64
	v_add_f32_e32 v64, v69, v66
	s_delay_alu instid0(VALU_DEP_2) | instskip(NEXT) | instid1(VALU_DEP_2)
	v_add_f32_e32 v53, v65, v53
	v_sub_f32_e32 v65, v64, v69
	s_delay_alu instid0(VALU_DEP_2) | instskip(NEXT) | instid1(VALU_DEP_2)
	v_add_f32_e32 v53, v70, v53
	v_sub_f32_e32 v65, v66, v65
	s_delay_alu instid0(VALU_DEP_2) | instskip(NEXT) | instid1(VALU_DEP_1)
	v_mul_f32_e32 v53, v55, v53
	v_add_f32_e32 v53, v65, v53
	s_delay_alu instid0(VALU_DEP_1) | instskip(NEXT) | instid1(VALU_DEP_1)
	v_add_f32_e32 v55, v64, v53
	v_mul_f32_e32 v65, v55, v55
	s_delay_alu instid0(VALU_DEP_1) | instskip(SKIP_2) | instid1(VALU_DEP_3)
	v_fmaak_f32 v66, s23, v65, 0x3ecc95a3
	v_mul_f32_e32 v67, v55, v65
	v_cmp_eq_f32_e64 s23, 0x7f800000, v54
	v_fmaak_f32 v65, v65, v66, 0x3f2aaada
	v_ldexp_f32 v66, v55, 1
	v_sub_f32_e32 v55, v55, v64
	s_delay_alu instid0(VALU_DEP_4) | instskip(NEXT) | instid1(VALU_DEP_3)
	s_or_b32 s23, s23, s25
	v_mul_f32_e32 v65, v67, v65
	v_mul_f32_e32 v67, 0x3f317218, v52
	s_delay_alu instid0(VALU_DEP_2) | instskip(NEXT) | instid1(VALU_DEP_1)
	v_dual_sub_f32 v53, v53, v55 :: v_dual_add_f32 v64, v66, v65
	v_ldexp_f32 v53, v53, 1
	s_delay_alu instid0(VALU_DEP_2) | instskip(NEXT) | instid1(VALU_DEP_4)
	v_sub_f32_e32 v55, v64, v66
	v_fma_f32 v66, 0x3f317218, v52, -v67
	s_delay_alu instid0(VALU_DEP_1) | instskip(NEXT) | instid1(VALU_DEP_1)
	v_dual_sub_f32 v55, v65, v55 :: v_dual_fmamk_f32 v52, v52, 0xb102e308, v66
	v_add_f32_e32 v53, v53, v55
	s_delay_alu instid0(VALU_DEP_2) | instskip(NEXT) | instid1(VALU_DEP_2)
	v_add_f32_e32 v55, v67, v52
	v_add_f32_e32 v65, v64, v53
	s_delay_alu instid0(VALU_DEP_2) | instskip(NEXT) | instid1(VALU_DEP_2)
	v_sub_f32_e32 v67, v55, v67
	v_add_f32_e32 v66, v55, v65
	v_sub_f32_e32 v64, v65, v64
	s_delay_alu instid0(VALU_DEP_3) | instskip(NEXT) | instid1(VALU_DEP_2)
	v_sub_f32_e32 v52, v52, v67
	v_dual_sub_f32 v68, v66, v55 :: v_dual_sub_f32 v53, v53, v64
	s_delay_alu instid0(VALU_DEP_1) | instskip(NEXT) | instid1(VALU_DEP_2)
	v_sub_f32_e32 v69, v66, v68
	v_dual_sub_f32 v64, v65, v68 :: v_dual_add_f32 v65, v52, v53
	s_delay_alu instid0(VALU_DEP_2) | instskip(NEXT) | instid1(VALU_DEP_1)
	v_sub_f32_e32 v55, v55, v69
	v_dual_add_f32 v55, v64, v55 :: v_dual_sub_f32 v64, v65, v52
	s_delay_alu instid0(VALU_DEP_1) | instskip(NEXT) | instid1(VALU_DEP_2)
	v_add_f32_e32 v55, v65, v55
	v_sub_f32_e32 v65, v65, v64
	v_sub_f32_e32 v53, v53, v64
	s_delay_alu instid0(VALU_DEP_2) | instskip(NEXT) | instid1(VALU_DEP_1)
	v_dual_add_f32 v67, v66, v55 :: v_dual_sub_f32 v52, v52, v65
	v_sub_f32_e32 v64, v67, v66
	s_delay_alu instid0(VALU_DEP_2) | instskip(NEXT) | instid1(VALU_DEP_2)
	v_add_f32_e32 v52, v53, v52
	v_sub_f32_e32 v53, v55, v64
	s_delay_alu instid0(VALU_DEP_1) | instskip(NEXT) | instid1(VALU_DEP_1)
	v_add_f32_e32 v52, v52, v53
	v_add_f32_e32 v52, v67, v52
	s_delay_alu instid0(VALU_DEP_1) | instskip(NEXT) | instid1(VALU_DEP_1)
	v_cndmask_b32_e64 v52, v52, v54, s23
	v_add_f32_e32 v35, v35, v52
	s_delay_alu instid0(VALU_DEP_1)
	v_cvt_f16_f32_e32 v52, v35
.LBB410_311:
	s_or_b32 exec_lo, exec_lo, s24
	ds_store_b16 v29, v52 offset:2
.LBB410_312:
	s_or_b32 exec_lo, exec_lo, s26
	s_waitcnt lgkmcnt(0)
	s_barrier
	buffer_gl0_inv
	s_and_saveexec_b32 s23, s9
	s_cbranch_execz .LBB410_314
; %bb.313:
	v_add_nc_u32_e32 v28, -1, v0
	s_delay_alu instid0(VALU_DEP_1) | instskip(NEXT) | instid1(VALU_DEP_1)
	v_lshrrev_b32_e32 v29, 5, v28
	v_add_lshl_u32 v28, v29, v28, 1
	ds_load_u16 v28, v28
.LBB410_314:
	s_or_b32 exec_lo, exec_lo, s23
	v_mov_b32_e32 v35, v12
	s_and_saveexec_b32 s23, s9
	s_cbranch_execz .LBB410_318
; %bb.315:
	s_waitcnt lgkmcnt(0)
	v_cvt_f32_f16_e32 v29, v28
	v_max_f32_e32 v12, v2, v2
	v_cmp_u_f16_e64 s9, v28, v28
	s_delay_alu instid0(VALU_DEP_2) | instskip(SKIP_1) | instid1(VALU_DEP_2)
	v_min_f32_e32 v26, v29, v12
	v_max_f32_e32 v12, v29, v12
	v_cndmask_b32_e64 v26, v26, v29, s9
	s_delay_alu instid0(VALU_DEP_2) | instskip(NEXT) | instid1(VALU_DEP_2)
	v_cndmask_b32_e64 v27, v12, v29, s9
	v_cndmask_b32_e64 v12, v26, v2, s22
	s_delay_alu instid0(VALU_DEP_2) | instskip(NEXT) | instid1(VALU_DEP_2)
	v_cndmask_b32_e64 v2, v27, v2, s22
	v_cmp_class_f32_e64 s22, v12, 0x1f8
	s_delay_alu instid0(VALU_DEP_2) | instskip(NEXT) | instid1(VALU_DEP_1)
	v_cmp_neq_f32_e64 s9, v12, v2
	s_or_b32 s9, s9, s22
	s_delay_alu instid0(SALU_CYCLE_1)
	s_and_saveexec_b32 s22, s9
	s_cbranch_execz .LBB410_317
; %bb.316:
	v_sub_f32_e32 v12, v12, v2
	s_delay_alu instid0(VALU_DEP_1) | instskip(SKIP_1) | instid1(VALU_DEP_2)
	v_mul_f32_e32 v26, 0x3fb8aa3b, v12
	v_cmp_ngt_f32_e64 s9, 0xc2ce8ed0, v12
	v_fma_f32 v27, 0x3fb8aa3b, v12, -v26
	v_rndne_f32_e32 v28, v26
	s_delay_alu instid0(VALU_DEP_1) | instskip(NEXT) | instid1(VALU_DEP_1)
	v_dual_fmamk_f32 v27, v12, 0x32a5705f, v27 :: v_dual_sub_f32 v26, v26, v28
	v_add_f32_e32 v26, v26, v27
	v_cvt_i32_f32_e32 v27, v28
	s_delay_alu instid0(VALU_DEP_2) | instskip(SKIP_2) | instid1(VALU_DEP_1)
	v_exp_f32_e32 v26, v26
	s_waitcnt_depctr 0xfff
	v_ldexp_f32 v26, v26, v27
	v_cndmask_b32_e64 v26, 0, v26, s9
	v_cmp_nlt_f32_e64 s9, 0x42b17218, v12
	s_delay_alu instid0(VALU_DEP_1) | instskip(NEXT) | instid1(VALU_DEP_1)
	v_cndmask_b32_e64 v12, 0x7f800000, v26, s9
	v_add_f32_e32 v28, 1.0, v12
	v_cmp_gt_f32_e64 s24, 0x33800000, |v12|
	s_delay_alu instid0(VALU_DEP_2) | instskip(NEXT) | instid1(VALU_DEP_1)
	v_cvt_f64_f32_e32 v[26:27], v28
	v_frexp_exp_i32_f64_e32 v26, v[26:27]
	v_frexp_mant_f32_e32 v27, v28
	s_delay_alu instid0(VALU_DEP_1) | instskip(SKIP_1) | instid1(VALU_DEP_1)
	v_cmp_gt_f32_e64 s9, 0x3f2aaaab, v27
	v_add_f32_e32 v27, -1.0, v28
	v_sub_f32_e32 v35, v27, v28
	v_sub_f32_e32 v27, v12, v27
	s_delay_alu instid0(VALU_DEP_2) | instskip(NEXT) | instid1(VALU_DEP_1)
	v_add_f32_e32 v35, 1.0, v35
	v_add_f32_e32 v27, v27, v35
	v_subrev_co_ci_u32_e64 v26, s9, 0, v26, s9
	s_mov_b32 s9, 0x3e9b6dac
	s_delay_alu instid0(VALU_DEP_1) | instskip(SKIP_1) | instid1(VALU_DEP_2)
	v_sub_nc_u32_e32 v29, 0, v26
	v_cvt_f32_i32_e32 v26, v26
	v_ldexp_f32 v28, v28, v29
	v_ldexp_f32 v27, v27, v29
	s_delay_alu instid0(VALU_DEP_2) | instskip(SKIP_1) | instid1(VALU_DEP_1)
	v_add_f32_e32 v52, 1.0, v28
	v_add_f32_e32 v29, -1.0, v28
	v_add_f32_e32 v53, 1.0, v29
	s_delay_alu instid0(VALU_DEP_3) | instskip(NEXT) | instid1(VALU_DEP_1)
	v_add_f32_e32 v35, -1.0, v52
	v_sub_f32_e32 v35, v28, v35
	s_delay_alu instid0(VALU_DEP_1) | instskip(NEXT) | instid1(VALU_DEP_1)
	v_dual_sub_f32 v28, v28, v53 :: v_dual_add_f32 v35, v27, v35
	v_add_f32_e32 v53, v52, v35
	s_delay_alu instid0(VALU_DEP_2) | instskip(NEXT) | instid1(VALU_DEP_2)
	v_add_f32_e32 v27, v27, v28
	v_rcp_f32_e32 v28, v53
	v_sub_f32_e32 v52, v52, v53
	s_delay_alu instid0(VALU_DEP_1) | instskip(NEXT) | instid1(VALU_DEP_1)
	v_dual_add_f32 v54, v29, v27 :: v_dual_add_f32 v35, v35, v52
	v_sub_f32_e32 v29, v29, v54
	s_waitcnt_depctr 0xfff
	v_mul_f32_e32 v55, v54, v28
	s_delay_alu instid0(VALU_DEP_1) | instskip(NEXT) | instid1(VALU_DEP_1)
	v_dual_mul_f32 v64, v53, v55 :: v_dual_add_f32 v27, v27, v29
	v_fma_f32 v52, v55, v53, -v64
	s_delay_alu instid0(VALU_DEP_1) | instskip(NEXT) | instid1(VALU_DEP_1)
	v_fmac_f32_e32 v52, v55, v35
	v_add_f32_e32 v65, v64, v52
	s_delay_alu instid0(VALU_DEP_1) | instskip(NEXT) | instid1(VALU_DEP_1)
	v_dual_sub_f32 v66, v54, v65 :: v_dual_sub_f32 v29, v65, v64
	v_dual_sub_f32 v54, v54, v66 :: v_dual_sub_f32 v29, v29, v52
	s_delay_alu instid0(VALU_DEP_1) | instskip(NEXT) | instid1(VALU_DEP_1)
	v_sub_f32_e32 v54, v54, v65
	v_add_f32_e32 v27, v27, v54
	s_delay_alu instid0(VALU_DEP_1) | instskip(NEXT) | instid1(VALU_DEP_1)
	v_add_f32_e32 v27, v29, v27
	v_add_f32_e32 v29, v66, v27
	s_delay_alu instid0(VALU_DEP_1) | instskip(NEXT) | instid1(VALU_DEP_1)
	v_mul_f32_e32 v52, v28, v29
	v_dual_sub_f32 v65, v66, v29 :: v_dual_mul_f32 v54, v53, v52
	s_delay_alu instid0(VALU_DEP_1) | instskip(NEXT) | instid1(VALU_DEP_2)
	v_add_f32_e32 v27, v27, v65
	v_fma_f32 v53, v52, v53, -v54
	s_delay_alu instid0(VALU_DEP_1) | instskip(NEXT) | instid1(VALU_DEP_1)
	v_fmac_f32_e32 v53, v52, v35
	v_add_f32_e32 v35, v54, v53
	s_delay_alu instid0(VALU_DEP_1) | instskip(NEXT) | instid1(VALU_DEP_1)
	v_sub_f32_e32 v64, v29, v35
	v_dual_sub_f32 v54, v35, v54 :: v_dual_sub_f32 v29, v29, v64
	s_delay_alu instid0(VALU_DEP_1) | instskip(NEXT) | instid1(VALU_DEP_2)
	v_sub_f32_e32 v29, v29, v35
	v_sub_f32_e32 v35, v54, v53
	s_delay_alu instid0(VALU_DEP_2) | instskip(SKIP_1) | instid1(VALU_DEP_2)
	v_add_f32_e32 v27, v27, v29
	v_add_f32_e32 v29, v55, v52
	;; [unrolled: 1-line block ×3, first 2 shown]
	s_delay_alu instid0(VALU_DEP_2) | instskip(NEXT) | instid1(VALU_DEP_2)
	v_sub_f32_e32 v35, v29, v55
	v_add_f32_e32 v27, v64, v27
	s_delay_alu instid0(VALU_DEP_2) | instskip(NEXT) | instid1(VALU_DEP_2)
	v_sub_f32_e32 v35, v52, v35
	v_mul_f32_e32 v27, v28, v27
	s_delay_alu instid0(VALU_DEP_1) | instskip(NEXT) | instid1(VALU_DEP_1)
	v_add_f32_e32 v27, v35, v27
	v_add_f32_e32 v28, v29, v27
	s_delay_alu instid0(VALU_DEP_1) | instskip(NEXT) | instid1(VALU_DEP_1)
	v_mul_f32_e32 v35, v28, v28
	v_fmaak_f32 v52, s9, v35, 0x3ecc95a3
	v_mul_f32_e32 v53, v28, v35
	v_cmp_eq_f32_e64 s9, 0x7f800000, v12
	s_delay_alu instid0(VALU_DEP_3) | instskip(SKIP_2) | instid1(VALU_DEP_4)
	v_fmaak_f32 v35, v35, v52, 0x3f2aaada
	v_ldexp_f32 v52, v28, 1
	v_sub_f32_e32 v28, v28, v29
	s_or_b32 s9, s9, s24
	s_delay_alu instid0(VALU_DEP_3) | instskip(SKIP_1) | instid1(VALU_DEP_3)
	v_mul_f32_e32 v35, v53, v35
	v_mul_f32_e32 v53, 0x3f317218, v26
	v_sub_f32_e32 v27, v27, v28
	s_delay_alu instid0(VALU_DEP_3) | instskip(NEXT) | instid1(VALU_DEP_2)
	v_add_f32_e32 v29, v52, v35
	v_ldexp_f32 v27, v27, 1
	s_delay_alu instid0(VALU_DEP_2) | instskip(SKIP_1) | instid1(VALU_DEP_2)
	v_sub_f32_e32 v28, v29, v52
	v_fma_f32 v52, 0x3f317218, v26, -v53
	v_sub_f32_e32 v28, v35, v28
	s_delay_alu instid0(VALU_DEP_1) | instskip(NEXT) | instid1(VALU_DEP_1)
	v_dual_fmamk_f32 v26, v26, 0xb102e308, v52 :: v_dual_add_f32 v27, v27, v28
	v_add_f32_e32 v28, v53, v26
	s_delay_alu instid0(VALU_DEP_2) | instskip(NEXT) | instid1(VALU_DEP_2)
	v_add_f32_e32 v35, v29, v27
	v_sub_f32_e32 v53, v28, v53
	s_delay_alu instid0(VALU_DEP_2) | instskip(NEXT) | instid1(VALU_DEP_2)
	v_dual_add_f32 v52, v28, v35 :: v_dual_sub_f32 v29, v35, v29
	v_sub_f32_e32 v26, v26, v53
	s_delay_alu instid0(VALU_DEP_2) | instskip(NEXT) | instid1(VALU_DEP_1)
	v_dual_sub_f32 v54, v52, v28 :: v_dual_sub_f32 v27, v27, v29
	v_sub_f32_e32 v55, v52, v54
	v_sub_f32_e32 v29, v35, v54
	s_delay_alu instid0(VALU_DEP_3) | instskip(NEXT) | instid1(VALU_DEP_3)
	v_add_f32_e32 v35, v26, v27
	v_sub_f32_e32 v28, v28, v55
	s_delay_alu instid0(VALU_DEP_1) | instskip(NEXT) | instid1(VALU_DEP_1)
	v_dual_add_f32 v28, v29, v28 :: v_dual_sub_f32 v29, v35, v26
	v_add_f32_e32 v28, v35, v28
	s_delay_alu instid0(VALU_DEP_2) | instskip(SKIP_1) | instid1(VALU_DEP_2)
	v_sub_f32_e32 v35, v35, v29
	v_sub_f32_e32 v27, v27, v29
	v_dual_add_f32 v53, v52, v28 :: v_dual_sub_f32 v26, v26, v35
	s_delay_alu instid0(VALU_DEP_1) | instskip(NEXT) | instid1(VALU_DEP_1)
	v_dual_sub_f32 v29, v53, v52 :: v_dual_add_f32 v26, v27, v26
	v_sub_f32_e32 v27, v28, v29
	s_delay_alu instid0(VALU_DEP_1) | instskip(NEXT) | instid1(VALU_DEP_1)
	v_add_f32_e32 v26, v26, v27
	v_add_f32_e32 v26, v53, v26
	s_delay_alu instid0(VALU_DEP_1) | instskip(NEXT) | instid1(VALU_DEP_1)
	v_cndmask_b32_e64 v12, v26, v12, s9
	v_add_f32_e32 v2, v2, v12
	s_delay_alu instid0(VALU_DEP_1) | instskip(NEXT) | instid1(VALU_DEP_1)
	v_cvt_f16_f32_e32 v28, v2
	v_cvt_f32_f16_e32 v29, v28
.LBB410_317:
	s_or_b32 exec_lo, exec_lo, s22
	s_delay_alu instid0(VALU_DEP_1) | instskip(SKIP_3) | instid1(VALU_DEP_3)
	v_dual_max_f32 v2, v34, v34 :: v_dual_max_f32 v27, v29, v29
	v_mov_b32_e32 v12, v28
	v_mov_b32_e32 v35, v28
	;;#ASMSTART
	;;#ASMEND
	v_min_f32_e32 v26, v27, v2
	v_dual_max_f32 v27, v27, v2 :: v_dual_mov_b32 v2, v29
.LBB410_318:
	s_or_b32 exec_lo, exec_lo, s23
	s_delay_alu instid0(VALU_DEP_1) | instskip(NEXT) | instid1(VALU_DEP_1)
	v_cmp_u_f16_e64 s9, v35, v35
	v_cndmask_b32_e64 v26, v26, v2, s9
	s_delay_alu instid0(VALU_DEP_3) | instskip(SKIP_1) | instid1(VALU_DEP_2)
	v_cndmask_b32_e64 v27, v27, v2, s9
	s_waitcnt lgkmcnt(0)
	v_cndmask_b32_e32 v28, v26, v34, vcc_lo
	s_delay_alu instid0(VALU_DEP_2) | instskip(NEXT) | instid1(VALU_DEP_2)
	v_dual_cndmask_b32 v27, v27, v34 :: v_dual_mov_b32 v26, v12
	v_cmp_class_f32_e64 s9, v28, 0x1f8
	s_delay_alu instid0(VALU_DEP_2) | instskip(NEXT) | instid1(VALU_DEP_2)
	v_cmp_neq_f32_e32 vcc_lo, v28, v27
	s_or_b32 s22, vcc_lo, s9
	s_delay_alu instid0(SALU_CYCLE_1)
	s_and_saveexec_b32 s9, s22
	s_cbranch_execz .LBB410_320
; %bb.319:
	v_sub_f32_e32 v2, v28, v27
	s_mov_b32 s22, 0x3e9b6dac
	s_delay_alu instid0(VALU_DEP_1) | instskip(SKIP_1) | instid1(VALU_DEP_2)
	v_mul_f32_e32 v26, 0x3fb8aa3b, v2
	v_cmp_ngt_f32_e32 vcc_lo, 0xc2ce8ed0, v2
	v_fma_f32 v28, 0x3fb8aa3b, v2, -v26
	v_rndne_f32_e32 v29, v26
	s_delay_alu instid0(VALU_DEP_2) | instskip(NEXT) | instid1(VALU_DEP_2)
	v_fmamk_f32 v28, v2, 0x32a5705f, v28
	v_sub_f32_e32 v26, v26, v29
	s_delay_alu instid0(VALU_DEP_1) | instskip(SKIP_1) | instid1(VALU_DEP_2)
	v_add_f32_e32 v26, v26, v28
	v_cvt_i32_f32_e32 v28, v29
	v_exp_f32_e32 v26, v26
	s_waitcnt_depctr 0xfff
	v_ldexp_f32 v26, v26, v28
	s_delay_alu instid0(VALU_DEP_1) | instskip(SKIP_1) | instid1(VALU_DEP_2)
	v_cndmask_b32_e32 v26, 0, v26, vcc_lo
	v_cmp_nlt_f32_e32 vcc_lo, 0x42b17218, v2
	v_cndmask_b32_e32 v2, 0x7f800000, v26, vcc_lo
	s_delay_alu instid0(VALU_DEP_1) | instskip(NEXT) | instid1(VALU_DEP_1)
	v_add_f32_e32 v26, 1.0, v2
	v_cvt_f64_f32_e32 v[28:29], v26
	s_delay_alu instid0(VALU_DEP_1) | instskip(SKIP_1) | instid1(VALU_DEP_1)
	v_frexp_exp_i32_f64_e32 v28, v[28:29]
	v_frexp_mant_f32_e32 v29, v26
	v_cmp_gt_f32_e32 vcc_lo, 0x3f2aaaab, v29
	v_add_f32_e32 v29, -1.0, v26
	s_delay_alu instid0(VALU_DEP_1) | instskip(SKIP_1) | instid1(VALU_DEP_2)
	v_sub_f32_e32 v35, v29, v26
	v_sub_f32_e32 v29, v2, v29
	v_add_f32_e32 v35, 1.0, v35
	s_delay_alu instid0(VALU_DEP_1) | instskip(SKIP_1) | instid1(VALU_DEP_1)
	v_add_f32_e32 v29, v29, v35
	v_subrev_co_ci_u32_e32 v28, vcc_lo, 0, v28, vcc_lo
	v_sub_nc_u32_e32 v34, 0, v28
	v_cvt_f32_i32_e32 v28, v28
	s_delay_alu instid0(VALU_DEP_2) | instskip(SKIP_1) | instid1(VALU_DEP_2)
	v_ldexp_f32 v26, v26, v34
	v_ldexp_f32 v29, v29, v34
	v_add_f32_e32 v52, 1.0, v26
	s_delay_alu instid0(VALU_DEP_1) | instskip(NEXT) | instid1(VALU_DEP_1)
	v_add_f32_e32 v35, -1.0, v52
	v_sub_f32_e32 v35, v26, v35
	v_cmp_eq_f32_e32 vcc_lo, 0x7f800000, v2
	s_delay_alu instid0(VALU_DEP_2) | instskip(NEXT) | instid1(VALU_DEP_1)
	v_dual_add_f32 v35, v29, v35 :: v_dual_add_f32 v34, -1.0, v26
	v_add_f32_e32 v53, 1.0, v34
	s_delay_alu instid0(VALU_DEP_1) | instskip(NEXT) | instid1(VALU_DEP_1)
	v_dual_sub_f32 v26, v26, v53 :: v_dual_add_f32 v53, v52, v35
	v_add_f32_e32 v26, v29, v26
	s_delay_alu instid0(VALU_DEP_2) | instskip(NEXT) | instid1(VALU_DEP_1)
	v_rcp_f32_e32 v29, v53
	v_add_f32_e32 v54, v34, v26
	s_delay_alu instid0(VALU_DEP_1) | instskip(SKIP_3) | instid1(VALU_DEP_1)
	v_sub_f32_e32 v34, v34, v54
	s_waitcnt_depctr 0xfff
	v_mul_f32_e32 v55, v54, v29
	v_sub_f32_e32 v52, v52, v53
	v_dual_mul_f32 v64, v53, v55 :: v_dual_add_f32 v35, v35, v52
	s_delay_alu instid0(VALU_DEP_1) | instskip(NEXT) | instid1(VALU_DEP_1)
	v_fma_f32 v52, v55, v53, -v64
	v_fmac_f32_e32 v52, v55, v35
	s_delay_alu instid0(VALU_DEP_1) | instskip(NEXT) | instid1(VALU_DEP_1)
	v_dual_add_f32 v65, v64, v52 :: v_dual_add_f32 v26, v26, v34
	v_sub_f32_e32 v66, v54, v65
	v_sub_f32_e32 v34, v65, v64
	s_delay_alu instid0(VALU_DEP_2) | instskip(NEXT) | instid1(VALU_DEP_2)
	v_sub_f32_e32 v54, v54, v66
	v_sub_f32_e32 v34, v34, v52
	s_delay_alu instid0(VALU_DEP_2) | instskip(NEXT) | instid1(VALU_DEP_1)
	v_sub_f32_e32 v54, v54, v65
	v_add_f32_e32 v26, v26, v54
	s_delay_alu instid0(VALU_DEP_1) | instskip(NEXT) | instid1(VALU_DEP_1)
	v_add_f32_e32 v26, v34, v26
	v_add_f32_e32 v34, v66, v26
	s_delay_alu instid0(VALU_DEP_1) | instskip(NEXT) | instid1(VALU_DEP_1)
	v_mul_f32_e32 v52, v29, v34
	v_dual_sub_f32 v65, v66, v34 :: v_dual_mul_f32 v54, v53, v52
	s_delay_alu instid0(VALU_DEP_1) | instskip(NEXT) | instid1(VALU_DEP_2)
	v_add_f32_e32 v26, v26, v65
	v_fma_f32 v53, v52, v53, -v54
	s_delay_alu instid0(VALU_DEP_1) | instskip(NEXT) | instid1(VALU_DEP_1)
	v_fmac_f32_e32 v53, v52, v35
	v_add_f32_e32 v35, v54, v53
	s_delay_alu instid0(VALU_DEP_1) | instskip(SKIP_1) | instid1(VALU_DEP_2)
	v_sub_f32_e32 v64, v34, v35
	v_sub_f32_e32 v54, v35, v54
	v_sub_f32_e32 v34, v34, v64
	s_delay_alu instid0(VALU_DEP_1) | instskip(NEXT) | instid1(VALU_DEP_3)
	v_sub_f32_e32 v34, v34, v35
	v_sub_f32_e32 v35, v54, v53
	s_delay_alu instid0(VALU_DEP_2) | instskip(SKIP_1) | instid1(VALU_DEP_1)
	v_add_f32_e32 v26, v26, v34
	v_add_f32_e32 v34, v55, v52
	v_dual_add_f32 v26, v35, v26 :: v_dual_sub_f32 v35, v34, v55
	s_delay_alu instid0(VALU_DEP_1) | instskip(NEXT) | instid1(VALU_DEP_1)
	v_add_f32_e32 v26, v64, v26
	v_dual_sub_f32 v35, v52, v35 :: v_dual_mul_f32 v26, v29, v26
	s_delay_alu instid0(VALU_DEP_1) | instskip(NEXT) | instid1(VALU_DEP_1)
	v_add_f32_e32 v26, v35, v26
	v_add_f32_e32 v29, v34, v26
	s_delay_alu instid0(VALU_DEP_1) | instskip(NEXT) | instid1(VALU_DEP_1)
	v_mul_f32_e32 v35, v29, v29
	v_fmaak_f32 v52, s22, v35, 0x3ecc95a3
	v_mul_f32_e32 v53, v29, v35
	v_cmp_gt_f32_e64 s22, 0x33800000, |v2|
	s_delay_alu instid0(VALU_DEP_3) | instskip(SKIP_2) | instid1(VALU_DEP_4)
	v_fmaak_f32 v35, v35, v52, 0x3f2aaada
	v_ldexp_f32 v52, v29, 1
	v_sub_f32_e32 v29, v29, v34
	s_or_b32 vcc_lo, vcc_lo, s22
	s_delay_alu instid0(VALU_DEP_3) | instskip(NEXT) | instid1(VALU_DEP_2)
	v_mul_f32_e32 v35, v53, v35
	v_dual_mul_f32 v53, 0x3f317218, v28 :: v_dual_sub_f32 v26, v26, v29
	s_delay_alu instid0(VALU_DEP_2) | instskip(NEXT) | instid1(VALU_DEP_2)
	v_add_f32_e32 v34, v52, v35
	v_ldexp_f32 v26, v26, 1
	s_delay_alu instid0(VALU_DEP_2) | instskip(NEXT) | instid1(VALU_DEP_4)
	v_sub_f32_e32 v29, v34, v52
	v_fma_f32 v52, 0x3f317218, v28, -v53
	s_delay_alu instid0(VALU_DEP_1) | instskip(NEXT) | instid1(VALU_DEP_1)
	v_dual_sub_f32 v29, v35, v29 :: v_dual_fmamk_f32 v28, v28, 0xb102e308, v52
	v_dual_add_f32 v26, v26, v29 :: v_dual_add_f32 v29, v53, v28
	s_delay_alu instid0(VALU_DEP_1) | instskip(NEXT) | instid1(VALU_DEP_2)
	v_add_f32_e32 v35, v34, v26
	v_sub_f32_e32 v53, v29, v53
	s_delay_alu instid0(VALU_DEP_2) | instskip(SKIP_1) | instid1(VALU_DEP_3)
	v_add_f32_e32 v52, v29, v35
	v_sub_f32_e32 v34, v35, v34
	v_sub_f32_e32 v28, v28, v53
	s_delay_alu instid0(VALU_DEP_3) | instskip(NEXT) | instid1(VALU_DEP_3)
	v_sub_f32_e32 v54, v52, v29
	v_sub_f32_e32 v26, v26, v34
	s_delay_alu instid0(VALU_DEP_2) | instskip(SKIP_1) | instid1(VALU_DEP_3)
	v_sub_f32_e32 v55, v52, v54
	v_sub_f32_e32 v34, v35, v54
	v_add_f32_e32 v35, v28, v26
	s_delay_alu instid0(VALU_DEP_3) | instskip(NEXT) | instid1(VALU_DEP_1)
	v_sub_f32_e32 v29, v29, v55
	v_dual_add_f32 v29, v34, v29 :: v_dual_sub_f32 v34, v35, v28
	s_delay_alu instid0(VALU_DEP_1) | instskip(NEXT) | instid1(VALU_DEP_2)
	v_add_f32_e32 v29, v35, v29
	v_sub_f32_e32 v35, v35, v34
	s_delay_alu instid0(VALU_DEP_2) | instskip(NEXT) | instid1(VALU_DEP_2)
	v_dual_sub_f32 v26, v26, v34 :: v_dual_add_f32 v53, v52, v29
	v_sub_f32_e32 v28, v28, v35
	s_delay_alu instid0(VALU_DEP_2) | instskip(NEXT) | instid1(VALU_DEP_2)
	v_sub_f32_e32 v34, v53, v52
	v_add_f32_e32 v26, v26, v28
	s_delay_alu instid0(VALU_DEP_2) | instskip(NEXT) | instid1(VALU_DEP_1)
	v_sub_f32_e32 v28, v29, v34
	v_add_f32_e32 v26, v26, v28
	s_delay_alu instid0(VALU_DEP_1) | instskip(NEXT) | instid1(VALU_DEP_1)
	v_add_f32_e32 v26, v53, v26
	v_cndmask_b32_e32 v2, v26, v2, vcc_lo
	s_delay_alu instid0(VALU_DEP_1) | instskip(NEXT) | instid1(VALU_DEP_1)
	v_add_f32_e32 v2, v27, v2
	v_cvt_f16_f32_e32 v35, v2
	s_delay_alu instid0(VALU_DEP_1)
	v_cvt_f32_f16_e32 v2, v35
	v_mov_b32_e32 v26, v35
.LBB410_320:
	s_or_b32 exec_lo, exec_lo, s9
	s_delay_alu instid0(VALU_DEP_2) | instskip(SKIP_1) | instid1(VALU_DEP_2)
	v_dual_max_f32 v27, v3, v3 :: v_dual_max_f32 v28, v2, v2
	v_cmp_u_f16_e32 vcc_lo, v35, v35
	v_min_f32_e32 v29, v28, v27
	s_delay_alu instid0(VALU_DEP_1) | instskip(NEXT) | instid1(VALU_DEP_1)
	v_dual_max_f32 v27, v28, v27 :: v_dual_cndmask_b32 v28, v29, v2
	v_cndmask_b32_e32 v27, v27, v2, vcc_lo
	s_delay_alu instid0(VALU_DEP_2) | instskip(NEXT) | instid1(VALU_DEP_2)
	v_cndmask_b32_e64 v28, v28, v3, s1
	v_cndmask_b32_e64 v3, v27, v3, s1
	v_mov_b32_e32 v27, v26
	s_delay_alu instid0(VALU_DEP_3) | instskip(NEXT) | instid1(VALU_DEP_3)
	v_cmp_class_f32_e64 s1, v28, 0x1f8
	v_cmp_neq_f32_e32 vcc_lo, v28, v3
	s_delay_alu instid0(VALU_DEP_2) | instskip(NEXT) | instid1(SALU_CYCLE_1)
	s_or_b32 s9, vcc_lo, s1
	s_and_saveexec_b32 s1, s9
	s_cbranch_execz .LBB410_322
; %bb.321:
	v_sub_f32_e32 v2, v28, v3
	s_mov_b32 s9, 0x3e9b6dac
	s_delay_alu instid0(VALU_DEP_1) | instskip(NEXT) | instid1(VALU_DEP_1)
	v_mul_f32_e32 v27, 0x3fb8aa3b, v2
	v_fma_f32 v28, 0x3fb8aa3b, v2, -v27
	v_rndne_f32_e32 v29, v27
	s_delay_alu instid0(VALU_DEP_1) | instskip(SKIP_1) | instid1(VALU_DEP_4)
	v_sub_f32_e32 v27, v27, v29
	v_cmp_ngt_f32_e32 vcc_lo, 0xc2ce8ed0, v2
	v_fmamk_f32 v28, v2, 0x32a5705f, v28
	s_delay_alu instid0(VALU_DEP_1) | instskip(SKIP_1) | instid1(VALU_DEP_2)
	v_add_f32_e32 v27, v27, v28
	v_cvt_i32_f32_e32 v28, v29
	v_exp_f32_e32 v27, v27
	s_waitcnt_depctr 0xfff
	v_ldexp_f32 v27, v27, v28
	s_delay_alu instid0(VALU_DEP_1) | instskip(SKIP_1) | instid1(VALU_DEP_2)
	v_cndmask_b32_e32 v27, 0, v27, vcc_lo
	v_cmp_nlt_f32_e32 vcc_lo, 0x42b17218, v2
	v_cndmask_b32_e32 v2, 0x7f800000, v27, vcc_lo
	s_delay_alu instid0(VALU_DEP_1) | instskip(NEXT) | instid1(VALU_DEP_1)
	v_add_f32_e32 v29, 1.0, v2
	v_cvt_f64_f32_e32 v[27:28], v29
	s_delay_alu instid0(VALU_DEP_1) | instskip(SKIP_1) | instid1(VALU_DEP_1)
	v_frexp_exp_i32_f64_e32 v27, v[27:28]
	v_frexp_mant_f32_e32 v28, v29
	v_cmp_gt_f32_e32 vcc_lo, 0x3f2aaaab, v28
	v_add_f32_e32 v28, -1.0, v29
	s_delay_alu instid0(VALU_DEP_1) | instskip(SKIP_2) | instid1(VALU_DEP_2)
	v_dual_sub_f32 v35, v28, v29 :: v_dual_sub_f32 v28, v2, v28
	v_subrev_co_ci_u32_e32 v27, vcc_lo, 0, v27, vcc_lo
	v_cmp_eq_f32_e32 vcc_lo, 0x7f800000, v2
	v_sub_nc_u32_e32 v34, 0, v27
	v_cvt_f32_i32_e32 v27, v27
	s_delay_alu instid0(VALU_DEP_2) | instskip(NEXT) | instid1(VALU_DEP_1)
	v_ldexp_f32 v29, v29, v34
	v_dual_add_f32 v35, 1.0, v35 :: v_dual_add_f32 v52, 1.0, v29
	s_delay_alu instid0(VALU_DEP_1) | instskip(NEXT) | instid1(VALU_DEP_1)
	v_dual_add_f32 v28, v28, v35 :: v_dual_add_f32 v35, -1.0, v52
	v_ldexp_f32 v28, v28, v34
	s_delay_alu instid0(VALU_DEP_2) | instskip(NEXT) | instid1(VALU_DEP_1)
	v_dual_add_f32 v34, -1.0, v29 :: v_dual_sub_f32 v35, v29, v35
	v_add_f32_e32 v53, 1.0, v34
	s_delay_alu instid0(VALU_DEP_2) | instskip(NEXT) | instid1(VALU_DEP_2)
	v_add_f32_e32 v35, v28, v35
	v_sub_f32_e32 v29, v29, v53
	s_delay_alu instid0(VALU_DEP_1) | instskip(NEXT) | instid1(VALU_DEP_1)
	v_add_f32_e32 v28, v28, v29
	v_dual_add_f32 v54, v34, v28 :: v_dual_add_f32 v53, v52, v35
	s_delay_alu instid0(VALU_DEP_1) | instskip(NEXT) | instid1(VALU_DEP_2)
	v_sub_f32_e32 v34, v34, v54
	v_rcp_f32_e32 v29, v53
	v_sub_f32_e32 v52, v52, v53
	s_delay_alu instid0(VALU_DEP_1) | instskip(SKIP_2) | instid1(VALU_DEP_1)
	v_dual_add_f32 v28, v28, v34 :: v_dual_add_f32 v35, v35, v52
	s_waitcnt_depctr 0xfff
	v_mul_f32_e32 v55, v54, v29
	v_mul_f32_e32 v64, v53, v55
	s_delay_alu instid0(VALU_DEP_1) | instskip(NEXT) | instid1(VALU_DEP_1)
	v_fma_f32 v52, v55, v53, -v64
	v_fmac_f32_e32 v52, v55, v35
	s_delay_alu instid0(VALU_DEP_1) | instskip(NEXT) | instid1(VALU_DEP_1)
	v_add_f32_e32 v65, v64, v52
	v_sub_f32_e32 v66, v54, v65
	s_delay_alu instid0(VALU_DEP_1) | instskip(SKIP_1) | instid1(VALU_DEP_2)
	v_sub_f32_e32 v54, v54, v66
	v_sub_f32_e32 v34, v65, v64
	;; [unrolled: 1-line block ×3, first 2 shown]
	s_delay_alu instid0(VALU_DEP_2) | instskip(NEXT) | instid1(VALU_DEP_2)
	v_sub_f32_e32 v34, v34, v52
	v_add_f32_e32 v28, v28, v54
	s_delay_alu instid0(VALU_DEP_1) | instskip(NEXT) | instid1(VALU_DEP_1)
	v_add_f32_e32 v28, v34, v28
	v_add_f32_e32 v34, v66, v28
	s_delay_alu instid0(VALU_DEP_1) | instskip(NEXT) | instid1(VALU_DEP_1)
	v_mul_f32_e32 v52, v29, v34
	v_dual_sub_f32 v65, v66, v34 :: v_dual_mul_f32 v54, v53, v52
	s_delay_alu instid0(VALU_DEP_1) | instskip(NEXT) | instid1(VALU_DEP_2)
	v_add_f32_e32 v28, v28, v65
	v_fma_f32 v53, v52, v53, -v54
	s_delay_alu instid0(VALU_DEP_1) | instskip(NEXT) | instid1(VALU_DEP_1)
	v_fmac_f32_e32 v53, v52, v35
	v_add_f32_e32 v35, v54, v53
	s_delay_alu instid0(VALU_DEP_1) | instskip(SKIP_1) | instid1(VALU_DEP_2)
	v_sub_f32_e32 v64, v34, v35
	v_sub_f32_e32 v54, v35, v54
	;; [unrolled: 1-line block ×3, first 2 shown]
	s_delay_alu instid0(VALU_DEP_1) | instskip(NEXT) | instid1(VALU_DEP_1)
	v_sub_f32_e32 v34, v34, v35
	v_dual_sub_f32 v35, v54, v53 :: v_dual_add_f32 v28, v28, v34
	v_add_f32_e32 v34, v55, v52
	s_delay_alu instid0(VALU_DEP_1) | instskip(NEXT) | instid1(VALU_DEP_1)
	v_dual_add_f32 v28, v35, v28 :: v_dual_sub_f32 v35, v34, v55
	v_add_f32_e32 v28, v64, v28
	s_delay_alu instid0(VALU_DEP_1) | instskip(NEXT) | instid1(VALU_DEP_1)
	v_dual_sub_f32 v35, v52, v35 :: v_dual_mul_f32 v28, v29, v28
	v_add_f32_e32 v28, v35, v28
	s_delay_alu instid0(VALU_DEP_1) | instskip(NEXT) | instid1(VALU_DEP_1)
	v_add_f32_e32 v29, v34, v28
	v_mul_f32_e32 v35, v29, v29
	s_delay_alu instid0(VALU_DEP_1) | instskip(SKIP_2) | instid1(VALU_DEP_3)
	v_fmaak_f32 v52, s9, v35, 0x3ecc95a3
	v_mul_f32_e32 v53, v29, v35
	v_cmp_gt_f32_e64 s9, 0x33800000, |v2|
	v_fmaak_f32 v35, v35, v52, 0x3f2aaada
	v_ldexp_f32 v52, v29, 1
	v_sub_f32_e32 v29, v29, v34
	s_delay_alu instid0(VALU_DEP_4) | instskip(NEXT) | instid1(VALU_DEP_3)
	s_or_b32 vcc_lo, vcc_lo, s9
	v_mul_f32_e32 v35, v53, v35
	s_delay_alu instid0(VALU_DEP_2) | instskip(NEXT) | instid1(VALU_DEP_2)
	v_dual_mul_f32 v53, 0x3f317218, v27 :: v_dual_sub_f32 v28, v28, v29
	v_add_f32_e32 v34, v52, v35
	s_delay_alu instid0(VALU_DEP_2) | instskip(NEXT) | instid1(VALU_DEP_2)
	v_ldexp_f32 v28, v28, 1
	v_sub_f32_e32 v29, v34, v52
	s_delay_alu instid0(VALU_DEP_4) | instskip(NEXT) | instid1(VALU_DEP_2)
	v_fma_f32 v52, 0x3f317218, v27, -v53
	v_sub_f32_e32 v29, v35, v29
	s_delay_alu instid0(VALU_DEP_1) | instskip(NEXT) | instid1(VALU_DEP_1)
	v_dual_fmamk_f32 v27, v27, 0xb102e308, v52 :: v_dual_add_f32 v28, v28, v29
	v_add_f32_e32 v29, v53, v27
	s_delay_alu instid0(VALU_DEP_1) | instskip(NEXT) | instid1(VALU_DEP_1)
	v_sub_f32_e32 v53, v29, v53
	v_sub_f32_e32 v27, v27, v53
	s_delay_alu instid0(VALU_DEP_4) | instskip(NEXT) | instid1(VALU_DEP_1)
	v_add_f32_e32 v35, v34, v28
	v_sub_f32_e32 v34, v35, v34
	s_delay_alu instid0(VALU_DEP_1) | instskip(SKIP_1) | instid1(VALU_DEP_1)
	v_sub_f32_e32 v28, v28, v34
	v_add_f32_e32 v52, v29, v35
	v_sub_f32_e32 v54, v52, v29
	s_delay_alu instid0(VALU_DEP_1) | instskip(NEXT) | instid1(VALU_DEP_4)
	v_sub_f32_e32 v34, v35, v54
	v_add_f32_e32 v35, v27, v28
	v_sub_f32_e32 v55, v52, v54
	s_delay_alu instid0(VALU_DEP_1) | instskip(NEXT) | instid1(VALU_DEP_1)
	v_sub_f32_e32 v29, v29, v55
	v_dual_add_f32 v29, v34, v29 :: v_dual_sub_f32 v34, v35, v27
	s_delay_alu instid0(VALU_DEP_1) | instskip(SKIP_1) | instid1(VALU_DEP_2)
	v_dual_add_f32 v29, v35, v29 :: v_dual_sub_f32 v28, v28, v34
	v_sub_f32_e32 v35, v35, v34
	v_add_f32_e32 v53, v52, v29
	s_delay_alu instid0(VALU_DEP_1) | instskip(NEXT) | instid1(VALU_DEP_1)
	v_dual_sub_f32 v27, v27, v35 :: v_dual_sub_f32 v34, v53, v52
	v_dual_add_f32 v27, v28, v27 :: v_dual_sub_f32 v28, v29, v34
	s_delay_alu instid0(VALU_DEP_1) | instskip(NEXT) | instid1(VALU_DEP_1)
	v_add_f32_e32 v27, v27, v28
	v_add_f32_e32 v27, v53, v27
	s_delay_alu instid0(VALU_DEP_1) | instskip(NEXT) | instid1(VALU_DEP_1)
	v_cndmask_b32_e32 v2, v27, v2, vcc_lo
	v_add_f32_e32 v2, v3, v2
	s_delay_alu instid0(VALU_DEP_1) | instskip(NEXT) | instid1(VALU_DEP_1)
	v_cvt_f16_f32_e32 v35, v2
	v_cvt_f32_f16_e32 v2, v35
	v_mov_b32_e32 v27, v35
.LBB410_322:
	s_or_b32 exec_lo, exec_lo, s1
	v_max_f32_e32 v3, v6, v6
	s_delay_alu instid0(VALU_DEP_3) | instskip(SKIP_1) | instid1(VALU_DEP_2)
	v_max_f32_e32 v28, v2, v2
	v_cmp_u_f16_e32 vcc_lo, v35, v35
	v_min_f32_e32 v29, v28, v3
	s_delay_alu instid0(VALU_DEP_1) | instskip(NEXT) | instid1(VALU_DEP_1)
	v_dual_max_f32 v3, v28, v3 :: v_dual_cndmask_b32 v28, v29, v2
	v_cndmask_b32_e32 v3, v3, v2, vcc_lo
	s_delay_alu instid0(VALU_DEP_2) | instskip(NEXT) | instid1(VALU_DEP_2)
	v_cndmask_b32_e64 v29, v28, v6, s2
	v_cndmask_b32_e64 v3, v3, v6, s2
	v_mov_b32_e32 v28, v27
	s_delay_alu instid0(VALU_DEP_3) | instskip(NEXT) | instid1(VALU_DEP_3)
	v_cmp_class_f32_e64 s1, v29, 0x1f8
	v_cmp_neq_f32_e32 vcc_lo, v29, v3
	s_delay_alu instid0(VALU_DEP_2) | instskip(NEXT) | instid1(SALU_CYCLE_1)
	s_or_b32 s2, vcc_lo, s1
	s_and_saveexec_b32 s1, s2
	s_cbranch_execz .LBB410_324
; %bb.323:
	v_sub_f32_e32 v2, v29, v3
	s_mov_b32 s2, 0x3e9b6dac
	s_delay_alu instid0(VALU_DEP_1) | instskip(SKIP_1) | instid1(VALU_DEP_2)
	v_mul_f32_e32 v6, 0x3fb8aa3b, v2
	v_cmp_ngt_f32_e32 vcc_lo, 0xc2ce8ed0, v2
	v_fma_f32 v28, 0x3fb8aa3b, v2, -v6
	v_rndne_f32_e32 v29, v6
	s_delay_alu instid0(VALU_DEP_2) | instskip(NEXT) | instid1(VALU_DEP_2)
	v_fmamk_f32 v28, v2, 0x32a5705f, v28
	v_sub_f32_e32 v6, v6, v29
	s_delay_alu instid0(VALU_DEP_1) | instskip(SKIP_1) | instid1(VALU_DEP_2)
	v_add_f32_e32 v6, v6, v28
	v_cvt_i32_f32_e32 v28, v29
	v_exp_f32_e32 v6, v6
	s_waitcnt_depctr 0xfff
	v_ldexp_f32 v6, v6, v28
	s_delay_alu instid0(VALU_DEP_1) | instskip(SKIP_1) | instid1(VALU_DEP_2)
	v_cndmask_b32_e32 v6, 0, v6, vcc_lo
	v_cmp_nlt_f32_e32 vcc_lo, 0x42b17218, v2
	v_cndmask_b32_e32 v2, 0x7f800000, v6, vcc_lo
	s_delay_alu instid0(VALU_DEP_1) | instskip(NEXT) | instid1(VALU_DEP_1)
	v_add_f32_e32 v6, 1.0, v2
	v_cvt_f64_f32_e32 v[28:29], v6
	s_delay_alu instid0(VALU_DEP_1) | instskip(SKIP_1) | instid1(VALU_DEP_1)
	v_frexp_exp_i32_f64_e32 v28, v[28:29]
	v_frexp_mant_f32_e32 v29, v6
	v_cmp_gt_f32_e32 vcc_lo, 0x3f2aaaab, v29
	v_add_f32_e32 v29, -1.0, v6
	s_delay_alu instid0(VALU_DEP_1) | instskip(SKIP_1) | instid1(VALU_DEP_2)
	v_sub_f32_e32 v35, v29, v6
	v_sub_f32_e32 v29, v2, v29
	v_add_f32_e32 v35, 1.0, v35
	s_delay_alu instid0(VALU_DEP_1) | instskip(SKIP_1) | instid1(VALU_DEP_1)
	v_add_f32_e32 v29, v29, v35
	v_subrev_co_ci_u32_e32 v28, vcc_lo, 0, v28, vcc_lo
	v_sub_nc_u32_e32 v34, 0, v28
	v_cvt_f32_i32_e32 v28, v28
	s_delay_alu instid0(VALU_DEP_2) | instskip(SKIP_1) | instid1(VALU_DEP_2)
	v_ldexp_f32 v6, v6, v34
	v_ldexp_f32 v29, v29, v34
	v_add_f32_e32 v52, 1.0, v6
	s_delay_alu instid0(VALU_DEP_1) | instskip(NEXT) | instid1(VALU_DEP_1)
	v_add_f32_e32 v35, -1.0, v52
	v_sub_f32_e32 v35, v6, v35
	v_cmp_eq_f32_e32 vcc_lo, 0x7f800000, v2
	s_delay_alu instid0(VALU_DEP_2) | instskip(NEXT) | instid1(VALU_DEP_1)
	v_dual_add_f32 v35, v29, v35 :: v_dual_add_f32 v34, -1.0, v6
	v_add_f32_e32 v53, 1.0, v34
	s_delay_alu instid0(VALU_DEP_1) | instskip(NEXT) | instid1(VALU_DEP_1)
	v_dual_sub_f32 v6, v6, v53 :: v_dual_add_f32 v53, v52, v35
	v_add_f32_e32 v6, v29, v6
	s_delay_alu instid0(VALU_DEP_2) | instskip(NEXT) | instid1(VALU_DEP_1)
	v_rcp_f32_e32 v29, v53
	v_add_f32_e32 v54, v34, v6
	s_delay_alu instid0(VALU_DEP_1) | instskip(SKIP_3) | instid1(VALU_DEP_1)
	v_sub_f32_e32 v34, v34, v54
	s_waitcnt_depctr 0xfff
	v_mul_f32_e32 v55, v54, v29
	v_sub_f32_e32 v52, v52, v53
	v_dual_mul_f32 v64, v53, v55 :: v_dual_add_f32 v35, v35, v52
	s_delay_alu instid0(VALU_DEP_1) | instskip(NEXT) | instid1(VALU_DEP_1)
	v_fma_f32 v52, v55, v53, -v64
	v_fmac_f32_e32 v52, v55, v35
	s_delay_alu instid0(VALU_DEP_1) | instskip(NEXT) | instid1(VALU_DEP_1)
	v_dual_add_f32 v65, v64, v52 :: v_dual_add_f32 v6, v6, v34
	v_sub_f32_e32 v66, v54, v65
	v_sub_f32_e32 v34, v65, v64
	s_delay_alu instid0(VALU_DEP_2) | instskip(NEXT) | instid1(VALU_DEP_2)
	v_sub_f32_e32 v54, v54, v66
	v_sub_f32_e32 v34, v34, v52
	s_delay_alu instid0(VALU_DEP_2) | instskip(NEXT) | instid1(VALU_DEP_1)
	v_sub_f32_e32 v54, v54, v65
	v_add_f32_e32 v6, v6, v54
	s_delay_alu instid0(VALU_DEP_1) | instskip(NEXT) | instid1(VALU_DEP_1)
	v_add_f32_e32 v6, v34, v6
	v_add_f32_e32 v34, v66, v6
	s_delay_alu instid0(VALU_DEP_1) | instskip(NEXT) | instid1(VALU_DEP_1)
	v_mul_f32_e32 v52, v29, v34
	v_dual_sub_f32 v65, v66, v34 :: v_dual_mul_f32 v54, v53, v52
	s_delay_alu instid0(VALU_DEP_1) | instskip(NEXT) | instid1(VALU_DEP_2)
	v_add_f32_e32 v6, v6, v65
	v_fma_f32 v53, v52, v53, -v54
	s_delay_alu instid0(VALU_DEP_1) | instskip(NEXT) | instid1(VALU_DEP_1)
	v_fmac_f32_e32 v53, v52, v35
	v_add_f32_e32 v35, v54, v53
	s_delay_alu instid0(VALU_DEP_1) | instskip(SKIP_1) | instid1(VALU_DEP_2)
	v_sub_f32_e32 v64, v34, v35
	v_sub_f32_e32 v54, v35, v54
	;; [unrolled: 1-line block ×3, first 2 shown]
	s_delay_alu instid0(VALU_DEP_1) | instskip(NEXT) | instid1(VALU_DEP_3)
	v_sub_f32_e32 v34, v34, v35
	v_sub_f32_e32 v35, v54, v53
	s_delay_alu instid0(VALU_DEP_2) | instskip(SKIP_1) | instid1(VALU_DEP_1)
	v_add_f32_e32 v6, v6, v34
	v_add_f32_e32 v34, v55, v52
	v_dual_add_f32 v6, v35, v6 :: v_dual_sub_f32 v35, v34, v55
	s_delay_alu instid0(VALU_DEP_1) | instskip(NEXT) | instid1(VALU_DEP_1)
	v_add_f32_e32 v6, v64, v6
	v_dual_sub_f32 v35, v52, v35 :: v_dual_mul_f32 v6, v29, v6
	s_delay_alu instid0(VALU_DEP_1) | instskip(NEXT) | instid1(VALU_DEP_1)
	v_add_f32_e32 v6, v35, v6
	v_add_f32_e32 v29, v34, v6
	s_delay_alu instid0(VALU_DEP_1) | instskip(NEXT) | instid1(VALU_DEP_1)
	v_mul_f32_e32 v35, v29, v29
	v_fmaak_f32 v52, s2, v35, 0x3ecc95a3
	v_mul_f32_e32 v53, v29, v35
	v_cmp_gt_f32_e64 s2, 0x33800000, |v2|
	s_delay_alu instid0(VALU_DEP_3) | instskip(SKIP_2) | instid1(VALU_DEP_4)
	v_fmaak_f32 v35, v35, v52, 0x3f2aaada
	v_ldexp_f32 v52, v29, 1
	v_sub_f32_e32 v29, v29, v34
	s_or_b32 vcc_lo, vcc_lo, s2
	s_delay_alu instid0(VALU_DEP_3) | instskip(NEXT) | instid1(VALU_DEP_2)
	v_mul_f32_e32 v35, v53, v35
	v_dual_mul_f32 v53, 0x3f317218, v28 :: v_dual_sub_f32 v6, v6, v29
	s_delay_alu instid0(VALU_DEP_2) | instskip(NEXT) | instid1(VALU_DEP_2)
	v_add_f32_e32 v34, v52, v35
	v_ldexp_f32 v6, v6, 1
	s_delay_alu instid0(VALU_DEP_2) | instskip(NEXT) | instid1(VALU_DEP_4)
	v_sub_f32_e32 v29, v34, v52
	v_fma_f32 v52, 0x3f317218, v28, -v53
	s_delay_alu instid0(VALU_DEP_1) | instskip(NEXT) | instid1(VALU_DEP_1)
	v_dual_sub_f32 v29, v35, v29 :: v_dual_fmamk_f32 v28, v28, 0xb102e308, v52
	v_dual_add_f32 v6, v6, v29 :: v_dual_add_f32 v29, v53, v28
	s_delay_alu instid0(VALU_DEP_1) | instskip(NEXT) | instid1(VALU_DEP_2)
	v_add_f32_e32 v35, v34, v6
	v_sub_f32_e32 v53, v29, v53
	s_delay_alu instid0(VALU_DEP_2) | instskip(SKIP_1) | instid1(VALU_DEP_3)
	v_add_f32_e32 v52, v29, v35
	v_sub_f32_e32 v34, v35, v34
	v_sub_f32_e32 v28, v28, v53
	s_delay_alu instid0(VALU_DEP_3) | instskip(NEXT) | instid1(VALU_DEP_3)
	v_sub_f32_e32 v54, v52, v29
	v_sub_f32_e32 v6, v6, v34
	s_delay_alu instid0(VALU_DEP_2) | instskip(SKIP_1) | instid1(VALU_DEP_3)
	v_sub_f32_e32 v55, v52, v54
	v_sub_f32_e32 v34, v35, v54
	v_add_f32_e32 v35, v28, v6
	s_delay_alu instid0(VALU_DEP_3) | instskip(NEXT) | instid1(VALU_DEP_1)
	v_sub_f32_e32 v29, v29, v55
	v_dual_add_f32 v29, v34, v29 :: v_dual_sub_f32 v34, v35, v28
	s_delay_alu instid0(VALU_DEP_1) | instskip(NEXT) | instid1(VALU_DEP_2)
	v_add_f32_e32 v29, v35, v29
	v_sub_f32_e32 v35, v35, v34
	s_delay_alu instid0(VALU_DEP_2) | instskip(NEXT) | instid1(VALU_DEP_2)
	v_dual_sub_f32 v6, v6, v34 :: v_dual_add_f32 v53, v52, v29
	v_sub_f32_e32 v28, v28, v35
	s_delay_alu instid0(VALU_DEP_2) | instskip(NEXT) | instid1(VALU_DEP_2)
	v_sub_f32_e32 v34, v53, v52
	v_add_f32_e32 v6, v6, v28
	s_delay_alu instid0(VALU_DEP_2) | instskip(NEXT) | instid1(VALU_DEP_1)
	v_sub_f32_e32 v28, v29, v34
	v_add_f32_e32 v6, v6, v28
	s_delay_alu instid0(VALU_DEP_1) | instskip(NEXT) | instid1(VALU_DEP_1)
	v_add_f32_e32 v6, v53, v6
	v_cndmask_b32_e32 v2, v6, v2, vcc_lo
	s_delay_alu instid0(VALU_DEP_1) | instskip(NEXT) | instid1(VALU_DEP_1)
	v_add_f32_e32 v2, v3, v2
	v_cvt_f16_f32_e32 v35, v2
	s_delay_alu instid0(VALU_DEP_1)
	v_cvt_f32_f16_e32 v2, v35
	v_mov_b32_e32 v28, v35
.LBB410_324:
	s_or_b32 exec_lo, exec_lo, s1
	s_delay_alu instid0(VALU_DEP_2) | instskip(SKIP_1) | instid1(VALU_DEP_2)
	v_dual_max_f32 v3, v7, v7 :: v_dual_max_f32 v6, v2, v2
	v_cmp_u_f16_e32 vcc_lo, v35, v35
	v_min_f32_e32 v29, v6, v3
	s_delay_alu instid0(VALU_DEP_1) | instskip(NEXT) | instid1(VALU_DEP_1)
	v_dual_max_f32 v3, v6, v3 :: v_dual_cndmask_b32 v6, v29, v2
	v_cndmask_b32_e32 v3, v3, v2, vcc_lo
	v_mov_b32_e32 v29, v28
	s_delay_alu instid0(VALU_DEP_3) | instskip(NEXT) | instid1(VALU_DEP_3)
	v_cndmask_b32_e64 v6, v6, v7, s3
	v_cndmask_b32_e64 v3, v3, v7, s3
	s_delay_alu instid0(VALU_DEP_2) | instskip(NEXT) | instid1(VALU_DEP_2)
	v_cmp_class_f32_e64 s1, v6, 0x1f8
	v_cmp_neq_f32_e32 vcc_lo, v6, v3
	s_delay_alu instid0(VALU_DEP_2) | instskip(NEXT) | instid1(SALU_CYCLE_1)
	s_or_b32 s2, vcc_lo, s1
	s_and_saveexec_b32 s1, s2
	s_cbranch_execz .LBB410_326
; %bb.325:
	v_sub_f32_e32 v2, v6, v3
	s_mov_b32 s2, 0x3e9b6dac
	s_delay_alu instid0(VALU_DEP_1) | instskip(SKIP_1) | instid1(VALU_DEP_2)
	v_mul_f32_e32 v6, 0x3fb8aa3b, v2
	v_cmp_ngt_f32_e32 vcc_lo, 0xc2ce8ed0, v2
	v_fma_f32 v7, 0x3fb8aa3b, v2, -v6
	v_rndne_f32_e32 v29, v6
	s_delay_alu instid0(VALU_DEP_2) | instskip(NEXT) | instid1(VALU_DEP_2)
	v_fmamk_f32 v7, v2, 0x32a5705f, v7
	v_sub_f32_e32 v6, v6, v29
	s_delay_alu instid0(VALU_DEP_1) | instskip(SKIP_1) | instid1(VALU_DEP_2)
	v_add_f32_e32 v6, v6, v7
	v_cvt_i32_f32_e32 v7, v29
	v_exp_f32_e32 v6, v6
	s_waitcnt_depctr 0xfff
	v_ldexp_f32 v6, v6, v7
	s_delay_alu instid0(VALU_DEP_1) | instskip(SKIP_1) | instid1(VALU_DEP_2)
	v_cndmask_b32_e32 v6, 0, v6, vcc_lo
	v_cmp_nlt_f32_e32 vcc_lo, 0x42b17218, v2
	v_cndmask_b32_e32 v2, 0x7f800000, v6, vcc_lo
	s_delay_alu instid0(VALU_DEP_1) | instskip(NEXT) | instid1(VALU_DEP_1)
	v_add_f32_e32 v29, 1.0, v2
	v_cvt_f64_f32_e32 v[6:7], v29
	s_delay_alu instid0(VALU_DEP_1) | instskip(SKIP_1) | instid1(VALU_DEP_1)
	v_frexp_exp_i32_f64_e32 v6, v[6:7]
	v_frexp_mant_f32_e32 v7, v29
	v_cmp_gt_f32_e32 vcc_lo, 0x3f2aaaab, v7
	v_add_f32_e32 v7, -1.0, v29
	s_delay_alu instid0(VALU_DEP_1) | instskip(NEXT) | instid1(VALU_DEP_1)
	v_sub_f32_e32 v35, v7, v29
	v_add_f32_e32 v35, 1.0, v35
	v_subrev_co_ci_u32_e32 v6, vcc_lo, 0, v6, vcc_lo
	v_cmp_eq_f32_e32 vcc_lo, 0x7f800000, v2
	s_delay_alu instid0(VALU_DEP_2) | instskip(SKIP_1) | instid1(VALU_DEP_2)
	v_sub_nc_u32_e32 v34, 0, v6
	v_cvt_f32_i32_e32 v6, v6
	v_ldexp_f32 v29, v29, v34
	s_delay_alu instid0(VALU_DEP_1) | instskip(NEXT) | instid1(VALU_DEP_1)
	v_dual_sub_f32 v7, v2, v7 :: v_dual_add_f32 v52, 1.0, v29
	v_add_f32_e32 v7, v7, v35
	s_delay_alu instid0(VALU_DEP_2) | instskip(NEXT) | instid1(VALU_DEP_2)
	v_add_f32_e32 v35, -1.0, v52
	v_ldexp_f32 v7, v7, v34
	s_delay_alu instid0(VALU_DEP_2) | instskip(NEXT) | instid1(VALU_DEP_1)
	v_dual_add_f32 v34, -1.0, v29 :: v_dual_sub_f32 v35, v29, v35
	v_add_f32_e32 v53, 1.0, v34
	s_delay_alu instid0(VALU_DEP_2) | instskip(NEXT) | instid1(VALU_DEP_2)
	v_add_f32_e32 v35, v7, v35
	v_sub_f32_e32 v29, v29, v53
	s_delay_alu instid0(VALU_DEP_1) | instskip(NEXT) | instid1(VALU_DEP_1)
	v_add_f32_e32 v7, v7, v29
	v_add_f32_e32 v54, v34, v7
	s_delay_alu instid0(VALU_DEP_1) | instskip(NEXT) | instid1(VALU_DEP_1)
	v_dual_add_f32 v53, v52, v35 :: v_dual_sub_f32 v34, v34, v54
	v_rcp_f32_e32 v29, v53
	v_sub_f32_e32 v52, v52, v53
	s_delay_alu instid0(VALU_DEP_1) | instskip(SKIP_2) | instid1(VALU_DEP_1)
	v_add_f32_e32 v35, v35, v52
	s_waitcnt_depctr 0xfff
	v_mul_f32_e32 v55, v54, v29
	v_mul_f32_e32 v64, v53, v55
	s_delay_alu instid0(VALU_DEP_1) | instskip(NEXT) | instid1(VALU_DEP_1)
	v_fma_f32 v52, v55, v53, -v64
	v_fmac_f32_e32 v52, v55, v35
	s_delay_alu instid0(VALU_DEP_1) | instskip(NEXT) | instid1(VALU_DEP_1)
	v_add_f32_e32 v65, v64, v52
	v_sub_f32_e32 v66, v54, v65
	s_delay_alu instid0(VALU_DEP_1) | instskip(SKIP_1) | instid1(VALU_DEP_2)
	v_sub_f32_e32 v54, v54, v66
	v_dual_add_f32 v7, v7, v34 :: v_dual_sub_f32 v34, v65, v64
	v_sub_f32_e32 v54, v54, v65
	s_delay_alu instid0(VALU_DEP_1) | instskip(NEXT) | instid1(VALU_DEP_1)
	v_dual_sub_f32 v34, v34, v52 :: v_dual_add_f32 v7, v7, v54
	v_add_f32_e32 v7, v34, v7
	s_delay_alu instid0(VALU_DEP_1) | instskip(NEXT) | instid1(VALU_DEP_1)
	v_add_f32_e32 v34, v66, v7
	v_mul_f32_e32 v52, v29, v34
	s_delay_alu instid0(VALU_DEP_1) | instskip(NEXT) | instid1(VALU_DEP_1)
	v_dual_sub_f32 v65, v66, v34 :: v_dual_mul_f32 v54, v53, v52
	v_add_f32_e32 v7, v7, v65
	s_delay_alu instid0(VALU_DEP_2) | instskip(NEXT) | instid1(VALU_DEP_1)
	v_fma_f32 v53, v52, v53, -v54
	v_fmac_f32_e32 v53, v52, v35
	s_delay_alu instid0(VALU_DEP_1) | instskip(NEXT) | instid1(VALU_DEP_1)
	v_add_f32_e32 v35, v54, v53
	v_sub_f32_e32 v64, v34, v35
	s_delay_alu instid0(VALU_DEP_1) | instskip(NEXT) | instid1(VALU_DEP_1)
	v_sub_f32_e32 v34, v34, v64
	v_sub_f32_e32 v34, v34, v35
	s_delay_alu instid0(VALU_DEP_1) | instskip(SKIP_2) | instid1(VALU_DEP_1)
	v_add_f32_e32 v7, v7, v34
	v_add_f32_e32 v34, v55, v52
	v_sub_f32_e32 v54, v35, v54
	v_sub_f32_e32 v35, v54, v53
	s_delay_alu instid0(VALU_DEP_1) | instskip(NEXT) | instid1(VALU_DEP_4)
	v_add_f32_e32 v7, v35, v7
	v_sub_f32_e32 v35, v34, v55
	s_delay_alu instid0(VALU_DEP_2) | instskip(NEXT) | instid1(VALU_DEP_2)
	v_add_f32_e32 v7, v64, v7
	v_sub_f32_e32 v35, v52, v35
	s_delay_alu instid0(VALU_DEP_2) | instskip(NEXT) | instid1(VALU_DEP_1)
	v_mul_f32_e32 v7, v29, v7
	v_add_f32_e32 v7, v35, v7
	s_delay_alu instid0(VALU_DEP_1) | instskip(NEXT) | instid1(VALU_DEP_1)
	v_add_f32_e32 v29, v34, v7
	v_mul_f32_e32 v35, v29, v29
	s_delay_alu instid0(VALU_DEP_1) | instskip(SKIP_2) | instid1(VALU_DEP_3)
	v_fmaak_f32 v52, s2, v35, 0x3ecc95a3
	v_mul_f32_e32 v53, v29, v35
	v_cmp_gt_f32_e64 s2, 0x33800000, |v2|
	v_fmaak_f32 v35, v35, v52, 0x3f2aaada
	v_ldexp_f32 v52, v29, 1
	v_sub_f32_e32 v29, v29, v34
	s_delay_alu instid0(VALU_DEP_4) | instskip(NEXT) | instid1(VALU_DEP_3)
	s_or_b32 vcc_lo, vcc_lo, s2
	v_mul_f32_e32 v35, v53, v35
	s_delay_alu instid0(VALU_DEP_1) | instskip(NEXT) | instid1(VALU_DEP_1)
	v_dual_sub_f32 v7, v7, v29 :: v_dual_add_f32 v34, v52, v35
	v_ldexp_f32 v7, v7, 1
	s_delay_alu instid0(VALU_DEP_2) | instskip(NEXT) | instid1(VALU_DEP_1)
	v_sub_f32_e32 v29, v34, v52
	v_sub_f32_e32 v29, v35, v29
	s_delay_alu instid0(VALU_DEP_1) | instskip(NEXT) | instid1(VALU_DEP_1)
	v_add_f32_e32 v7, v7, v29
	v_add_f32_e32 v35, v34, v7
	v_mul_f32_e32 v53, 0x3f317218, v6
	s_delay_alu instid0(VALU_DEP_2) | instskip(NEXT) | instid1(VALU_DEP_2)
	v_sub_f32_e32 v34, v35, v34
	v_fma_f32 v52, 0x3f317218, v6, -v53
	s_delay_alu instid0(VALU_DEP_1) | instskip(NEXT) | instid1(VALU_DEP_1)
	v_dual_sub_f32 v7, v7, v34 :: v_dual_fmamk_f32 v6, v6, 0xb102e308, v52
	v_add_f32_e32 v29, v53, v6
	s_delay_alu instid0(VALU_DEP_1) | instskip(SKIP_1) | instid1(VALU_DEP_2)
	v_add_f32_e32 v52, v29, v35
	v_sub_f32_e32 v53, v29, v53
	v_sub_f32_e32 v54, v52, v29
	s_delay_alu instid0(VALU_DEP_1) | instskip(NEXT) | instid1(VALU_DEP_1)
	v_dual_sub_f32 v6, v6, v53 :: v_dual_sub_f32 v55, v52, v54
	v_dual_sub_f32 v34, v35, v54 :: v_dual_add_f32 v35, v6, v7
	s_delay_alu instid0(VALU_DEP_2) | instskip(NEXT) | instid1(VALU_DEP_1)
	v_sub_f32_e32 v29, v29, v55
	v_dual_add_f32 v29, v34, v29 :: v_dual_sub_f32 v34, v35, v6
	s_delay_alu instid0(VALU_DEP_1) | instskip(NEXT) | instid1(VALU_DEP_2)
	v_add_f32_e32 v29, v35, v29
	v_sub_f32_e32 v35, v35, v34
	v_sub_f32_e32 v7, v7, v34
	s_delay_alu instid0(VALU_DEP_2) | instskip(NEXT) | instid1(VALU_DEP_1)
	v_dual_add_f32 v53, v52, v29 :: v_dual_sub_f32 v6, v6, v35
	v_sub_f32_e32 v34, v53, v52
	s_delay_alu instid0(VALU_DEP_2) | instskip(NEXT) | instid1(VALU_DEP_2)
	v_add_f32_e32 v6, v7, v6
	v_sub_f32_e32 v7, v29, v34
	s_delay_alu instid0(VALU_DEP_1) | instskip(NEXT) | instid1(VALU_DEP_1)
	v_add_f32_e32 v6, v6, v7
	v_add_f32_e32 v6, v53, v6
	s_delay_alu instid0(VALU_DEP_1) | instskip(NEXT) | instid1(VALU_DEP_1)
	v_cndmask_b32_e32 v2, v6, v2, vcc_lo
	v_add_f32_e32 v2, v3, v2
	s_delay_alu instid0(VALU_DEP_1) | instskip(NEXT) | instid1(VALU_DEP_1)
	v_cvt_f16_f32_e32 v35, v2
	v_cvt_f32_f16_e32 v2, v35
	v_mov_b32_e32 v29, v35
.LBB410_326:
	s_or_b32 exec_lo, exec_lo, s1
	s_delay_alu instid0(VALU_DEP_2) | instskip(SKIP_1) | instid1(VALU_DEP_3)
	v_dual_max_f32 v3, v13, v13 :: v_dual_max_f32 v6, v2, v2
	v_cmp_u_f16_e32 vcc_lo, v35, v35
	v_mov_b32_e32 v55, v29
	s_delay_alu instid0(VALU_DEP_3) | instskip(NEXT) | instid1(VALU_DEP_1)
	v_min_f32_e32 v7, v6, v3
	v_dual_max_f32 v3, v6, v3 :: v_dual_cndmask_b32 v6, v7, v2
	s_delay_alu instid0(VALU_DEP_1) | instskip(NEXT) | instid1(VALU_DEP_2)
	v_cndmask_b32_e32 v3, v3, v2, vcc_lo
	v_cndmask_b32_e64 v6, v6, v13, s4
	s_delay_alu instid0(VALU_DEP_2) | instskip(NEXT) | instid1(VALU_DEP_2)
	v_cndmask_b32_e64 v3, v3, v13, s4
	v_cmp_class_f32_e64 s1, v6, 0x1f8
	s_delay_alu instid0(VALU_DEP_2) | instskip(NEXT) | instid1(VALU_DEP_2)
	v_cmp_neq_f32_e32 vcc_lo, v6, v3
	s_or_b32 s2, vcc_lo, s1
	s_delay_alu instid0(SALU_CYCLE_1)
	s_and_saveexec_b32 s1, s2
	s_cbranch_execz .LBB410_328
; %bb.327:
	v_sub_f32_e32 v2, v6, v3
	s_mov_b32 s2, 0x3e9b6dac
	s_delay_alu instid0(VALU_DEP_1) | instskip(SKIP_1) | instid1(VALU_DEP_2)
	v_mul_f32_e32 v6, 0x3fb8aa3b, v2
	v_cmp_ngt_f32_e32 vcc_lo, 0xc2ce8ed0, v2
	v_fma_f32 v7, 0x3fb8aa3b, v2, -v6
	v_rndne_f32_e32 v13, v6
	s_delay_alu instid0(VALU_DEP_2) | instskip(NEXT) | instid1(VALU_DEP_2)
	v_fmamk_f32 v7, v2, 0x32a5705f, v7
	v_sub_f32_e32 v6, v6, v13
	s_delay_alu instid0(VALU_DEP_1) | instskip(SKIP_1) | instid1(VALU_DEP_2)
	v_add_f32_e32 v6, v6, v7
	v_cvt_i32_f32_e32 v7, v13
	v_exp_f32_e32 v6, v6
	s_waitcnt_depctr 0xfff
	v_ldexp_f32 v6, v6, v7
	s_delay_alu instid0(VALU_DEP_1) | instskip(SKIP_1) | instid1(VALU_DEP_2)
	v_cndmask_b32_e32 v6, 0, v6, vcc_lo
	v_cmp_nlt_f32_e32 vcc_lo, 0x42b17218, v2
	v_cndmask_b32_e32 v2, 0x7f800000, v6, vcc_lo
	s_delay_alu instid0(VALU_DEP_1) | instskip(NEXT) | instid1(VALU_DEP_1)
	v_add_f32_e32 v13, 1.0, v2
	v_cvt_f64_f32_e32 v[6:7], v13
	s_delay_alu instid0(VALU_DEP_1) | instskip(SKIP_1) | instid1(VALU_DEP_1)
	v_frexp_exp_i32_f64_e32 v6, v[6:7]
	v_frexp_mant_f32_e32 v7, v13
	v_cmp_gt_f32_e32 vcc_lo, 0x3f2aaaab, v7
	v_add_f32_e32 v7, -1.0, v13
	s_delay_alu instid0(VALU_DEP_1) | instskip(NEXT) | instid1(VALU_DEP_1)
	v_sub_f32_e32 v35, v7, v13
	v_add_f32_e32 v35, 1.0, v35
	v_subrev_co_ci_u32_e32 v6, vcc_lo, 0, v6, vcc_lo
	v_cmp_eq_f32_e32 vcc_lo, 0x7f800000, v2
	s_delay_alu instid0(VALU_DEP_2) | instskip(SKIP_1) | instid1(VALU_DEP_2)
	v_sub_nc_u32_e32 v34, 0, v6
	v_cvt_f32_i32_e32 v6, v6
	v_ldexp_f32 v13, v13, v34
	s_delay_alu instid0(VALU_DEP_1) | instskip(NEXT) | instid1(VALU_DEP_1)
	v_dual_sub_f32 v7, v2, v7 :: v_dual_add_f32 v52, 1.0, v13
	v_add_f32_e32 v7, v7, v35
	s_delay_alu instid0(VALU_DEP_2) | instskip(NEXT) | instid1(VALU_DEP_2)
	v_add_f32_e32 v35, -1.0, v52
	v_ldexp_f32 v7, v7, v34
	s_delay_alu instid0(VALU_DEP_2) | instskip(NEXT) | instid1(VALU_DEP_1)
	v_dual_add_f32 v34, -1.0, v13 :: v_dual_sub_f32 v35, v13, v35
	v_add_f32_e32 v53, 1.0, v34
	s_delay_alu instid0(VALU_DEP_2) | instskip(NEXT) | instid1(VALU_DEP_2)
	v_add_f32_e32 v35, v7, v35
	v_sub_f32_e32 v13, v13, v53
	s_delay_alu instid0(VALU_DEP_1) | instskip(NEXT) | instid1(VALU_DEP_1)
	v_add_f32_e32 v7, v7, v13
	v_add_f32_e32 v54, v34, v7
	s_delay_alu instid0(VALU_DEP_1) | instskip(NEXT) | instid1(VALU_DEP_1)
	v_dual_add_f32 v53, v52, v35 :: v_dual_sub_f32 v34, v34, v54
	v_rcp_f32_e32 v13, v53
	v_sub_f32_e32 v52, v52, v53
	s_delay_alu instid0(VALU_DEP_1) | instskip(SKIP_2) | instid1(VALU_DEP_1)
	v_add_f32_e32 v35, v35, v52
	s_waitcnt_depctr 0xfff
	v_mul_f32_e32 v55, v54, v13
	v_mul_f32_e32 v64, v53, v55
	s_delay_alu instid0(VALU_DEP_1) | instskip(NEXT) | instid1(VALU_DEP_1)
	v_fma_f32 v52, v55, v53, -v64
	v_fmac_f32_e32 v52, v55, v35
	s_delay_alu instid0(VALU_DEP_1) | instskip(NEXT) | instid1(VALU_DEP_1)
	v_add_f32_e32 v65, v64, v52
	v_sub_f32_e32 v66, v54, v65
	s_delay_alu instid0(VALU_DEP_1) | instskip(SKIP_1) | instid1(VALU_DEP_2)
	v_sub_f32_e32 v54, v54, v66
	v_dual_add_f32 v7, v7, v34 :: v_dual_sub_f32 v34, v65, v64
	v_sub_f32_e32 v54, v54, v65
	s_delay_alu instid0(VALU_DEP_1) | instskip(NEXT) | instid1(VALU_DEP_1)
	v_dual_sub_f32 v34, v34, v52 :: v_dual_add_f32 v7, v7, v54
	v_add_f32_e32 v7, v34, v7
	s_delay_alu instid0(VALU_DEP_1) | instskip(NEXT) | instid1(VALU_DEP_1)
	v_add_f32_e32 v34, v66, v7
	v_mul_f32_e32 v52, v13, v34
	s_delay_alu instid0(VALU_DEP_1) | instskip(NEXT) | instid1(VALU_DEP_1)
	v_dual_sub_f32 v65, v66, v34 :: v_dual_mul_f32 v54, v53, v52
	v_add_f32_e32 v7, v7, v65
	s_delay_alu instid0(VALU_DEP_2) | instskip(NEXT) | instid1(VALU_DEP_1)
	v_fma_f32 v53, v52, v53, -v54
	v_fmac_f32_e32 v53, v52, v35
	s_delay_alu instid0(VALU_DEP_1) | instskip(NEXT) | instid1(VALU_DEP_1)
	v_add_f32_e32 v35, v54, v53
	v_sub_f32_e32 v64, v34, v35
	s_delay_alu instid0(VALU_DEP_1) | instskip(NEXT) | instid1(VALU_DEP_1)
	v_sub_f32_e32 v34, v34, v64
	v_sub_f32_e32 v34, v34, v35
	s_delay_alu instid0(VALU_DEP_1) | instskip(SKIP_2) | instid1(VALU_DEP_1)
	v_add_f32_e32 v7, v7, v34
	v_add_f32_e32 v34, v55, v52
	v_sub_f32_e32 v54, v35, v54
	v_sub_f32_e32 v35, v54, v53
	s_delay_alu instid0(VALU_DEP_1) | instskip(NEXT) | instid1(VALU_DEP_4)
	v_add_f32_e32 v7, v35, v7
	v_sub_f32_e32 v35, v34, v55
	s_delay_alu instid0(VALU_DEP_2) | instskip(NEXT) | instid1(VALU_DEP_2)
	v_add_f32_e32 v7, v64, v7
	v_sub_f32_e32 v35, v52, v35
	s_delay_alu instid0(VALU_DEP_2) | instskip(NEXT) | instid1(VALU_DEP_1)
	v_mul_f32_e32 v7, v13, v7
	v_add_f32_e32 v7, v35, v7
	s_delay_alu instid0(VALU_DEP_1) | instskip(NEXT) | instid1(VALU_DEP_1)
	v_add_f32_e32 v13, v34, v7
	v_mul_f32_e32 v35, v13, v13
	s_delay_alu instid0(VALU_DEP_1) | instskip(SKIP_2) | instid1(VALU_DEP_3)
	v_fmaak_f32 v52, s2, v35, 0x3ecc95a3
	v_mul_f32_e32 v53, v13, v35
	v_cmp_gt_f32_e64 s2, 0x33800000, |v2|
	v_fmaak_f32 v35, v35, v52, 0x3f2aaada
	v_ldexp_f32 v52, v13, 1
	v_sub_f32_e32 v13, v13, v34
	s_delay_alu instid0(VALU_DEP_4) | instskip(NEXT) | instid1(VALU_DEP_3)
	s_or_b32 vcc_lo, vcc_lo, s2
	v_mul_f32_e32 v35, v53, v35
	s_delay_alu instid0(VALU_DEP_1) | instskip(NEXT) | instid1(VALU_DEP_1)
	v_dual_sub_f32 v7, v7, v13 :: v_dual_add_f32 v34, v52, v35
	v_ldexp_f32 v7, v7, 1
	s_delay_alu instid0(VALU_DEP_2) | instskip(NEXT) | instid1(VALU_DEP_1)
	v_sub_f32_e32 v13, v34, v52
	v_sub_f32_e32 v13, v35, v13
	s_delay_alu instid0(VALU_DEP_1) | instskip(NEXT) | instid1(VALU_DEP_1)
	v_add_f32_e32 v7, v7, v13
	v_add_f32_e32 v35, v34, v7
	v_mul_f32_e32 v53, 0x3f317218, v6
	s_delay_alu instid0(VALU_DEP_2) | instskip(NEXT) | instid1(VALU_DEP_2)
	v_sub_f32_e32 v34, v35, v34
	v_fma_f32 v52, 0x3f317218, v6, -v53
	s_delay_alu instid0(VALU_DEP_1) | instskip(NEXT) | instid1(VALU_DEP_1)
	v_dual_sub_f32 v7, v7, v34 :: v_dual_fmamk_f32 v6, v6, 0xb102e308, v52
	v_add_f32_e32 v13, v53, v6
	s_delay_alu instid0(VALU_DEP_1) | instskip(SKIP_1) | instid1(VALU_DEP_2)
	v_add_f32_e32 v52, v13, v35
	v_sub_f32_e32 v53, v13, v53
	v_sub_f32_e32 v54, v52, v13
	s_delay_alu instid0(VALU_DEP_1) | instskip(NEXT) | instid1(VALU_DEP_1)
	v_dual_sub_f32 v6, v6, v53 :: v_dual_sub_f32 v55, v52, v54
	v_dual_sub_f32 v34, v35, v54 :: v_dual_add_f32 v35, v6, v7
	s_delay_alu instid0(VALU_DEP_2) | instskip(NEXT) | instid1(VALU_DEP_1)
	v_sub_f32_e32 v13, v13, v55
	v_dual_add_f32 v13, v34, v13 :: v_dual_sub_f32 v34, v35, v6
	s_delay_alu instid0(VALU_DEP_1) | instskip(NEXT) | instid1(VALU_DEP_2)
	v_add_f32_e32 v13, v35, v13
	v_sub_f32_e32 v35, v35, v34
	v_sub_f32_e32 v7, v7, v34
	s_delay_alu instid0(VALU_DEP_2) | instskip(NEXT) | instid1(VALU_DEP_1)
	v_dual_add_f32 v53, v52, v13 :: v_dual_sub_f32 v6, v6, v35
	v_sub_f32_e32 v34, v53, v52
	s_delay_alu instid0(VALU_DEP_2) | instskip(NEXT) | instid1(VALU_DEP_2)
	v_add_f32_e32 v6, v7, v6
	v_sub_f32_e32 v7, v13, v34
	s_delay_alu instid0(VALU_DEP_1) | instskip(NEXT) | instid1(VALU_DEP_1)
	v_add_f32_e32 v6, v6, v7
	v_add_f32_e32 v6, v53, v6
	s_delay_alu instid0(VALU_DEP_1) | instskip(NEXT) | instid1(VALU_DEP_1)
	v_cndmask_b32_e32 v2, v6, v2, vcc_lo
	v_add_f32_e32 v2, v3, v2
	s_delay_alu instid0(VALU_DEP_1) | instskip(NEXT) | instid1(VALU_DEP_1)
	v_cvt_f16_f32_e32 v35, v2
	v_cvt_f32_f16_e32 v2, v35
	v_mov_b32_e32 v55, v35
.LBB410_328:
	s_or_b32 exec_lo, exec_lo, s1
	s_delay_alu instid0(VALU_DEP_2) | instskip(SKIP_1) | instid1(VALU_DEP_2)
	v_dual_max_f32 v3, v24, v24 :: v_dual_max_f32 v6, v2, v2
	v_cmp_u_f16_e32 vcc_lo, v35, v35
	v_dual_mov_b32 v64, v55 :: v_dual_min_f32 v7, v6, v3
	s_delay_alu instid0(VALU_DEP_1) | instskip(NEXT) | instid1(VALU_DEP_1)
	v_dual_max_f32 v3, v6, v3 :: v_dual_cndmask_b32 v6, v7, v2
	v_cndmask_b32_e32 v3, v3, v2, vcc_lo
	s_delay_alu instid0(VALU_DEP_2) | instskip(NEXT) | instid1(VALU_DEP_2)
	v_cndmask_b32_e64 v6, v6, v24, s5
	v_cndmask_b32_e64 v3, v3, v24, s5
	s_delay_alu instid0(VALU_DEP_2) | instskip(NEXT) | instid1(VALU_DEP_2)
	v_cmp_class_f32_e64 s1, v6, 0x1f8
	v_cmp_neq_f32_e32 vcc_lo, v6, v3
	s_delay_alu instid0(VALU_DEP_2) | instskip(NEXT) | instid1(SALU_CYCLE_1)
	s_or_b32 s2, vcc_lo, s1
	s_and_saveexec_b32 s1, s2
	s_cbranch_execz .LBB410_330
; %bb.329:
	v_sub_f32_e32 v2, v6, v3
	s_mov_b32 s2, 0x3e9b6dac
	s_delay_alu instid0(VALU_DEP_1) | instskip(SKIP_1) | instid1(VALU_DEP_2)
	v_mul_f32_e32 v6, 0x3fb8aa3b, v2
	v_cmp_ngt_f32_e32 vcc_lo, 0xc2ce8ed0, v2
	v_fma_f32 v7, 0x3fb8aa3b, v2, -v6
	v_rndne_f32_e32 v13, v6
	s_delay_alu instid0(VALU_DEP_2) | instskip(NEXT) | instid1(VALU_DEP_2)
	v_fmamk_f32 v7, v2, 0x32a5705f, v7
	v_sub_f32_e32 v6, v6, v13
	s_delay_alu instid0(VALU_DEP_1) | instskip(SKIP_1) | instid1(VALU_DEP_2)
	v_add_f32_e32 v6, v6, v7
	v_cvt_i32_f32_e32 v7, v13
	v_exp_f32_e32 v6, v6
	s_waitcnt_depctr 0xfff
	v_ldexp_f32 v6, v6, v7
	s_delay_alu instid0(VALU_DEP_1) | instskip(SKIP_1) | instid1(VALU_DEP_2)
	v_cndmask_b32_e32 v6, 0, v6, vcc_lo
	v_cmp_nlt_f32_e32 vcc_lo, 0x42b17218, v2
	v_cndmask_b32_e32 v2, 0x7f800000, v6, vcc_lo
	s_delay_alu instid0(VALU_DEP_1) | instskip(NEXT) | instid1(VALU_DEP_1)
	v_add_f32_e32 v13, 1.0, v2
	v_cvt_f64_f32_e32 v[6:7], v13
	s_delay_alu instid0(VALU_DEP_1) | instskip(SKIP_1) | instid1(VALU_DEP_1)
	v_frexp_exp_i32_f64_e32 v6, v[6:7]
	v_frexp_mant_f32_e32 v7, v13
	v_cmp_gt_f32_e32 vcc_lo, 0x3f2aaaab, v7
	v_add_f32_e32 v7, -1.0, v13
	s_delay_alu instid0(VALU_DEP_1) | instskip(NEXT) | instid1(VALU_DEP_1)
	v_dual_sub_f32 v34, v7, v13 :: v_dual_sub_f32 v7, v2, v7
	v_add_f32_e32 v34, 1.0, v34
	v_subrev_co_ci_u32_e32 v6, vcc_lo, 0, v6, vcc_lo
	s_delay_alu instid0(VALU_DEP_1) | instskip(SKIP_1) | instid1(VALU_DEP_2)
	v_sub_nc_u32_e32 v24, 0, v6
	v_cvt_f32_i32_e32 v6, v6
	v_ldexp_f32 v13, v13, v24
	s_delay_alu instid0(VALU_DEP_1) | instskip(NEXT) | instid1(VALU_DEP_1)
	v_add_f32_e32 v35, 1.0, v13
	v_dual_add_f32 v7, v7, v34 :: v_dual_add_f32 v34, -1.0, v35
	s_delay_alu instid0(VALU_DEP_1) | instskip(SKIP_1) | instid1(VALU_DEP_3)
	v_ldexp_f32 v7, v7, v24
	v_add_f32_e32 v24, -1.0, v13
	v_sub_f32_e32 v34, v13, v34
	s_delay_alu instid0(VALU_DEP_2) | instskip(NEXT) | instid1(VALU_DEP_1)
	v_add_f32_e32 v52, 1.0, v24
	v_dual_add_f32 v34, v7, v34 :: v_dual_sub_f32 v13, v13, v52
	v_cmp_eq_f32_e32 vcc_lo, 0x7f800000, v2
	s_delay_alu instid0(VALU_DEP_2) | instskip(NEXT) | instid1(VALU_DEP_3)
	v_add_f32_e32 v52, v35, v34
	v_add_f32_e32 v7, v7, v13
	s_delay_alu instid0(VALU_DEP_2) | instskip(SKIP_1) | instid1(VALU_DEP_2)
	v_rcp_f32_e32 v13, v52
	v_sub_f32_e32 v35, v35, v52
	v_add_f32_e32 v53, v24, v7
	s_delay_alu instid0(VALU_DEP_2) | instskip(NEXT) | instid1(VALU_DEP_2)
	v_add_f32_e32 v34, v34, v35
	v_sub_f32_e32 v24, v24, v53
	s_waitcnt_depctr 0xfff
	v_dual_mul_f32 v54, v53, v13 :: v_dual_add_f32 v7, v7, v24
	s_delay_alu instid0(VALU_DEP_1) | instskip(NEXT) | instid1(VALU_DEP_1)
	v_mul_f32_e32 v64, v52, v54
	v_fma_f32 v35, v54, v52, -v64
	s_delay_alu instid0(VALU_DEP_1) | instskip(NEXT) | instid1(VALU_DEP_1)
	v_fmac_f32_e32 v35, v54, v34
	v_add_f32_e32 v65, v64, v35
	s_delay_alu instid0(VALU_DEP_1) | instskip(NEXT) | instid1(VALU_DEP_1)
	v_sub_f32_e32 v66, v53, v65
	v_sub_f32_e32 v53, v53, v66
	s_delay_alu instid0(VALU_DEP_1) | instskip(NEXT) | instid1(VALU_DEP_1)
	v_sub_f32_e32 v53, v53, v65
	v_dual_add_f32 v7, v7, v53 :: v_dual_sub_f32 v24, v65, v64
	s_delay_alu instid0(VALU_DEP_1) | instskip(NEXT) | instid1(VALU_DEP_1)
	v_sub_f32_e32 v24, v24, v35
	v_add_f32_e32 v7, v24, v7
	s_delay_alu instid0(VALU_DEP_1) | instskip(NEXT) | instid1(VALU_DEP_1)
	v_add_f32_e32 v24, v66, v7
	v_mul_f32_e32 v35, v13, v24
	s_delay_alu instid0(VALU_DEP_1) | instskip(SKIP_1) | instid1(VALU_DEP_2)
	v_mul_f32_e32 v53, v52, v35
	v_sub_f32_e32 v65, v66, v24
	v_fma_f32 v52, v35, v52, -v53
	s_delay_alu instid0(VALU_DEP_2) | instskip(NEXT) | instid1(VALU_DEP_2)
	v_add_f32_e32 v7, v7, v65
	v_fmac_f32_e32 v52, v35, v34
	s_delay_alu instid0(VALU_DEP_1) | instskip(NEXT) | instid1(VALU_DEP_1)
	v_add_f32_e32 v34, v53, v52
	v_dual_sub_f32 v64, v24, v34 :: v_dual_sub_f32 v53, v34, v53
	s_delay_alu instid0(VALU_DEP_1) | instskip(NEXT) | instid1(VALU_DEP_1)
	v_sub_f32_e32 v24, v24, v64
	v_sub_f32_e32 v24, v24, v34
	s_delay_alu instid0(VALU_DEP_1) | instskip(NEXT) | instid1(VALU_DEP_4)
	v_dual_add_f32 v7, v7, v24 :: v_dual_add_f32 v24, v54, v35
	v_sub_f32_e32 v34, v53, v52
	s_delay_alu instid0(VALU_DEP_1) | instskip(NEXT) | instid1(VALU_DEP_1)
	v_dual_add_f32 v7, v34, v7 :: v_dual_sub_f32 v34, v24, v54
	v_dual_add_f32 v7, v64, v7 :: v_dual_sub_f32 v34, v35, v34
	s_delay_alu instid0(VALU_DEP_1) | instskip(NEXT) | instid1(VALU_DEP_1)
	v_mul_f32_e32 v7, v13, v7
	v_add_f32_e32 v7, v34, v7
	s_delay_alu instid0(VALU_DEP_1) | instskip(NEXT) | instid1(VALU_DEP_1)
	v_add_f32_e32 v13, v24, v7
	v_mul_f32_e32 v34, v13, v13
	s_delay_alu instid0(VALU_DEP_1) | instskip(SKIP_2) | instid1(VALU_DEP_3)
	v_fmaak_f32 v35, s2, v34, 0x3ecc95a3
	v_mul_f32_e32 v52, v13, v34
	v_cmp_gt_f32_e64 s2, 0x33800000, |v2|
	v_fmaak_f32 v34, v34, v35, 0x3f2aaada
	v_ldexp_f32 v35, v13, 1
	v_sub_f32_e32 v13, v13, v24
	s_delay_alu instid0(VALU_DEP_4) | instskip(NEXT) | instid1(VALU_DEP_1)
	s_or_b32 vcc_lo, vcc_lo, s2
	v_dual_sub_f32 v7, v7, v13 :: v_dual_mul_f32 v34, v52, v34
	s_delay_alu instid0(VALU_DEP_1) | instskip(NEXT) | instid1(VALU_DEP_2)
	v_ldexp_f32 v7, v7, 1
	v_add_f32_e32 v24, v35, v34
	s_delay_alu instid0(VALU_DEP_1) | instskip(NEXT) | instid1(VALU_DEP_1)
	v_sub_f32_e32 v13, v24, v35
	v_sub_f32_e32 v13, v34, v13
	s_delay_alu instid0(VALU_DEP_1) | instskip(NEXT) | instid1(VALU_DEP_1)
	v_add_f32_e32 v7, v7, v13
	v_add_f32_e32 v34, v24, v7
	s_delay_alu instid0(VALU_DEP_1) | instskip(NEXT) | instid1(VALU_DEP_1)
	v_sub_f32_e32 v24, v34, v24
	v_dual_mul_f32 v52, 0x3f317218, v6 :: v_dual_sub_f32 v7, v7, v24
	s_delay_alu instid0(VALU_DEP_1) | instskip(NEXT) | instid1(VALU_DEP_1)
	v_fma_f32 v35, 0x3f317218, v6, -v52
	v_fmamk_f32 v6, v6, 0xb102e308, v35
	s_delay_alu instid0(VALU_DEP_1) | instskip(NEXT) | instid1(VALU_DEP_1)
	v_add_f32_e32 v13, v52, v6
	v_add_f32_e32 v35, v13, v34
	s_delay_alu instid0(VALU_DEP_1) | instskip(NEXT) | instid1(VALU_DEP_1)
	v_dual_sub_f32 v52, v13, v52 :: v_dual_sub_f32 v53, v35, v13
	v_sub_f32_e32 v54, v35, v53
	s_delay_alu instid0(VALU_DEP_1) | instskip(NEXT) | instid1(VALU_DEP_1)
	v_dual_sub_f32 v13, v13, v54 :: v_dual_sub_f32 v24, v34, v53
	v_dual_add_f32 v13, v24, v13 :: v_dual_sub_f32 v6, v6, v52
	s_delay_alu instid0(VALU_DEP_1) | instskip(NEXT) | instid1(VALU_DEP_1)
	v_add_f32_e32 v34, v6, v7
	v_sub_f32_e32 v24, v34, v6
	s_delay_alu instid0(VALU_DEP_1) | instskip(NEXT) | instid1(VALU_DEP_4)
	v_sub_f32_e32 v7, v7, v24
	v_add_f32_e32 v13, v34, v13
	v_sub_f32_e32 v34, v34, v24
	s_delay_alu instid0(VALU_DEP_2) | instskip(NEXT) | instid1(VALU_DEP_2)
	v_add_f32_e32 v52, v35, v13
	v_sub_f32_e32 v6, v6, v34
	s_delay_alu instid0(VALU_DEP_2) | instskip(NEXT) | instid1(VALU_DEP_1)
	v_sub_f32_e32 v24, v52, v35
	v_dual_add_f32 v6, v7, v6 :: v_dual_sub_f32 v7, v13, v24
	s_delay_alu instid0(VALU_DEP_1) | instskip(NEXT) | instid1(VALU_DEP_1)
	v_add_f32_e32 v6, v6, v7
	v_add_f32_e32 v6, v52, v6
	s_delay_alu instid0(VALU_DEP_1) | instskip(NEXT) | instid1(VALU_DEP_1)
	v_cndmask_b32_e32 v2, v6, v2, vcc_lo
	v_add_f32_e32 v2, v3, v2
	s_delay_alu instid0(VALU_DEP_1) | instskip(NEXT) | instid1(VALU_DEP_1)
	v_cvt_f16_f32_e32 v35, v2
	v_cvt_f32_f16_e32 v2, v35
	v_mov_b32_e32 v64, v35
.LBB410_330:
	s_or_b32 exec_lo, exec_lo, s1
	s_delay_alu instid0(VALU_DEP_2) | instskip(SKIP_1) | instid1(VALU_DEP_3)
	v_dual_max_f32 v3, v25, v25 :: v_dual_max_f32 v6, v2, v2
	v_cmp_u_f16_e32 vcc_lo, v35, v35
	v_mov_b32_e32 v65, v64
	s_delay_alu instid0(VALU_DEP_3) | instskip(NEXT) | instid1(VALU_DEP_1)
	v_min_f32_e32 v7, v6, v3
	v_dual_max_f32 v3, v6, v3 :: v_dual_cndmask_b32 v6, v7, v2
	s_delay_alu instid0(VALU_DEP_1) | instskip(NEXT) | instid1(VALU_DEP_2)
	v_cndmask_b32_e32 v3, v3, v2, vcc_lo
	v_cndmask_b32_e64 v6, v6, v25, s6
	s_delay_alu instid0(VALU_DEP_2) | instskip(NEXT) | instid1(VALU_DEP_2)
	v_cndmask_b32_e64 v3, v3, v25, s6
	v_cmp_class_f32_e64 s1, v6, 0x1f8
	s_delay_alu instid0(VALU_DEP_2) | instskip(NEXT) | instid1(VALU_DEP_2)
	v_cmp_neq_f32_e32 vcc_lo, v6, v3
	s_or_b32 s2, vcc_lo, s1
	s_delay_alu instid0(SALU_CYCLE_1)
	s_and_saveexec_b32 s1, s2
	s_cbranch_execz .LBB410_332
; %bb.331:
	v_sub_f32_e32 v2, v6, v3
	s_mov_b32 s2, 0x3e9b6dac
	s_delay_alu instid0(VALU_DEP_1) | instskip(SKIP_1) | instid1(VALU_DEP_2)
	v_mul_f32_e32 v6, 0x3fb8aa3b, v2
	v_cmp_ngt_f32_e32 vcc_lo, 0xc2ce8ed0, v2
	v_fma_f32 v7, 0x3fb8aa3b, v2, -v6
	v_rndne_f32_e32 v13, v6
	s_delay_alu instid0(VALU_DEP_2) | instskip(NEXT) | instid1(VALU_DEP_2)
	v_fmamk_f32 v7, v2, 0x32a5705f, v7
	v_sub_f32_e32 v6, v6, v13
	s_delay_alu instid0(VALU_DEP_1) | instskip(SKIP_1) | instid1(VALU_DEP_2)
	v_add_f32_e32 v6, v6, v7
	v_cvt_i32_f32_e32 v7, v13
	v_exp_f32_e32 v6, v6
	s_waitcnt_depctr 0xfff
	v_ldexp_f32 v6, v6, v7
	s_delay_alu instid0(VALU_DEP_1) | instskip(SKIP_1) | instid1(VALU_DEP_2)
	v_cndmask_b32_e32 v6, 0, v6, vcc_lo
	v_cmp_nlt_f32_e32 vcc_lo, 0x42b17218, v2
	v_cndmask_b32_e32 v2, 0x7f800000, v6, vcc_lo
	s_delay_alu instid0(VALU_DEP_1) | instskip(NEXT) | instid1(VALU_DEP_1)
	v_add_f32_e32 v13, 1.0, v2
	v_cvt_f64_f32_e32 v[6:7], v13
	s_delay_alu instid0(VALU_DEP_1) | instskip(SKIP_1) | instid1(VALU_DEP_1)
	v_frexp_exp_i32_f64_e32 v6, v[6:7]
	v_frexp_mant_f32_e32 v7, v13
	v_cmp_gt_f32_e32 vcc_lo, 0x3f2aaaab, v7
	v_add_f32_e32 v7, -1.0, v13
	s_delay_alu instid0(VALU_DEP_1) | instskip(NEXT) | instid1(VALU_DEP_1)
	v_sub_f32_e32 v25, v7, v13
	v_add_f32_e32 v25, 1.0, v25
	v_subrev_co_ci_u32_e32 v6, vcc_lo, 0, v6, vcc_lo
	s_delay_alu instid0(VALU_DEP_1) | instskip(SKIP_1) | instid1(VALU_DEP_2)
	v_sub_nc_u32_e32 v24, 0, v6
	v_cvt_f32_i32_e32 v6, v6
	v_ldexp_f32 v13, v13, v24
	s_delay_alu instid0(VALU_DEP_1) | instskip(NEXT) | instid1(VALU_DEP_1)
	v_dual_sub_f32 v7, v2, v7 :: v_dual_add_f32 v34, 1.0, v13
	v_add_f32_e32 v7, v7, v25
	v_cmp_eq_f32_e32 vcc_lo, 0x7f800000, v2
	s_delay_alu instid0(VALU_DEP_3) | instskip(NEXT) | instid1(VALU_DEP_3)
	v_add_f32_e32 v25, -1.0, v34
	v_ldexp_f32 v7, v7, v24
	v_add_f32_e32 v24, -1.0, v13
	s_delay_alu instid0(VALU_DEP_3) | instskip(NEXT) | instid1(VALU_DEP_2)
	v_sub_f32_e32 v25, v13, v25
	v_add_f32_e32 v35, 1.0, v24
	s_delay_alu instid0(VALU_DEP_2) | instskip(NEXT) | instid1(VALU_DEP_2)
	v_add_f32_e32 v25, v7, v25
	v_sub_f32_e32 v13, v13, v35
	s_delay_alu instid0(VALU_DEP_1) | instskip(NEXT) | instid1(VALU_DEP_1)
	v_add_f32_e32 v7, v7, v13
	v_dual_add_f32 v52, v24, v7 :: v_dual_add_f32 v35, v34, v25
	s_delay_alu instid0(VALU_DEP_1) | instskip(NEXT) | instid1(VALU_DEP_2)
	v_sub_f32_e32 v24, v24, v52
	v_rcp_f32_e32 v13, v35
	v_sub_f32_e32 v34, v34, v35
	s_delay_alu instid0(VALU_DEP_1) | instskip(SKIP_2) | instid1(VALU_DEP_1)
	v_add_f32_e32 v25, v25, v34
	s_waitcnt_depctr 0xfff
	v_mul_f32_e32 v53, v52, v13
	v_mul_f32_e32 v54, v35, v53
	s_delay_alu instid0(VALU_DEP_1) | instskip(NEXT) | instid1(VALU_DEP_1)
	v_fma_f32 v34, v53, v35, -v54
	v_fmac_f32_e32 v34, v53, v25
	s_delay_alu instid0(VALU_DEP_1) | instskip(NEXT) | instid1(VALU_DEP_1)
	v_add_f32_e32 v65, v54, v34
	v_sub_f32_e32 v66, v52, v65
	s_delay_alu instid0(VALU_DEP_1) | instskip(SKIP_1) | instid1(VALU_DEP_2)
	v_dual_sub_f32 v52, v52, v66 :: v_dual_add_f32 v7, v7, v24
	v_sub_f32_e32 v24, v65, v54
	v_sub_f32_e32 v52, v52, v65
	s_delay_alu instid0(VALU_DEP_1) | instskip(NEXT) | instid1(VALU_DEP_1)
	v_dual_sub_f32 v24, v24, v34 :: v_dual_add_f32 v7, v7, v52
	v_add_f32_e32 v7, v24, v7
	s_delay_alu instid0(VALU_DEP_1) | instskip(NEXT) | instid1(VALU_DEP_1)
	v_add_f32_e32 v24, v66, v7
	v_mul_f32_e32 v34, v13, v24
	s_delay_alu instid0(VALU_DEP_1) | instskip(NEXT) | instid1(VALU_DEP_1)
	v_dual_sub_f32 v65, v66, v24 :: v_dual_mul_f32 v52, v35, v34
	v_add_f32_e32 v7, v7, v65
	s_delay_alu instid0(VALU_DEP_2) | instskip(NEXT) | instid1(VALU_DEP_1)
	v_fma_f32 v35, v34, v35, -v52
	v_fmac_f32_e32 v35, v34, v25
	s_delay_alu instid0(VALU_DEP_1) | instskip(NEXT) | instid1(VALU_DEP_1)
	v_add_f32_e32 v25, v52, v35
	v_sub_f32_e32 v54, v24, v25
	s_delay_alu instid0(VALU_DEP_1) | instskip(NEXT) | instid1(VALU_DEP_1)
	v_sub_f32_e32 v24, v24, v54
	v_sub_f32_e32 v24, v24, v25
	s_delay_alu instid0(VALU_DEP_1) | instskip(SKIP_1) | instid1(VALU_DEP_1)
	v_dual_add_f32 v7, v7, v24 :: v_dual_add_f32 v24, v53, v34
	v_sub_f32_e32 v52, v25, v52
	v_sub_f32_e32 v25, v52, v35
	s_delay_alu instid0(VALU_DEP_1) | instskip(NEXT) | instid1(VALU_DEP_4)
	v_add_f32_e32 v7, v25, v7
	v_sub_f32_e32 v25, v24, v53
	s_delay_alu instid0(VALU_DEP_2) | instskip(NEXT) | instid1(VALU_DEP_2)
	v_add_f32_e32 v7, v54, v7
	v_sub_f32_e32 v25, v34, v25
	s_delay_alu instid0(VALU_DEP_2) | instskip(NEXT) | instid1(VALU_DEP_1)
	v_mul_f32_e32 v7, v13, v7
	v_add_f32_e32 v7, v25, v7
	s_delay_alu instid0(VALU_DEP_1) | instskip(NEXT) | instid1(VALU_DEP_1)
	v_add_f32_e32 v13, v24, v7
	v_mul_f32_e32 v25, v13, v13
	s_delay_alu instid0(VALU_DEP_1) | instskip(SKIP_2) | instid1(VALU_DEP_3)
	v_fmaak_f32 v34, s2, v25, 0x3ecc95a3
	v_mul_f32_e32 v35, v13, v25
	v_cmp_gt_f32_e64 s2, 0x33800000, |v2|
	v_fmaak_f32 v25, v25, v34, 0x3f2aaada
	v_ldexp_f32 v34, v13, 1
	s_delay_alu instid0(VALU_DEP_3) | instskip(SKIP_1) | instid1(VALU_DEP_3)
	s_or_b32 vcc_lo, vcc_lo, s2
	v_sub_f32_e32 v13, v13, v24
	v_mul_f32_e32 v25, v35, v25
	s_delay_alu instid0(VALU_DEP_2) | instskip(NEXT) | instid1(VALU_DEP_2)
	v_sub_f32_e32 v7, v7, v13
	v_add_f32_e32 v24, v34, v25
	s_delay_alu instid0(VALU_DEP_2) | instskip(NEXT) | instid1(VALU_DEP_2)
	v_ldexp_f32 v7, v7, 1
	v_sub_f32_e32 v13, v24, v34
	s_delay_alu instid0(VALU_DEP_1) | instskip(NEXT) | instid1(VALU_DEP_1)
	v_sub_f32_e32 v13, v25, v13
	v_add_f32_e32 v7, v7, v13
	s_delay_alu instid0(VALU_DEP_1) | instskip(NEXT) | instid1(VALU_DEP_1)
	v_add_f32_e32 v25, v24, v7
	v_dual_mul_f32 v35, 0x3f317218, v6 :: v_dual_sub_f32 v24, v25, v24
	s_delay_alu instid0(VALU_DEP_1) | instskip(NEXT) | instid1(VALU_DEP_1)
	v_fma_f32 v34, 0x3f317218, v6, -v35
	v_dual_sub_f32 v7, v7, v24 :: v_dual_fmamk_f32 v6, v6, 0xb102e308, v34
	s_delay_alu instid0(VALU_DEP_1) | instskip(NEXT) | instid1(VALU_DEP_1)
	v_add_f32_e32 v13, v35, v6
	v_add_f32_e32 v34, v13, v25
	s_delay_alu instid0(VALU_DEP_1) | instskip(NEXT) | instid1(VALU_DEP_1)
	v_sub_f32_e32 v52, v34, v13
	v_sub_f32_e32 v24, v25, v52
	;; [unrolled: 1-line block ×4, first 2 shown]
	s_delay_alu instid0(VALU_DEP_1) | instskip(NEXT) | instid1(VALU_DEP_1)
	v_dual_sub_f32 v6, v6, v35 :: v_dual_sub_f32 v13, v13, v53
	v_add_f32_e32 v25, v6, v7
	s_delay_alu instid0(VALU_DEP_1) | instskip(NEXT) | instid1(VALU_DEP_1)
	v_dual_add_f32 v13, v24, v13 :: v_dual_sub_f32 v24, v25, v6
	v_add_f32_e32 v13, v25, v13
	s_delay_alu instid0(VALU_DEP_2) | instskip(NEXT) | instid1(VALU_DEP_2)
	v_sub_f32_e32 v25, v25, v24
	v_add_f32_e32 v35, v34, v13
	s_delay_alu instid0(VALU_DEP_2) | instskip(NEXT) | instid1(VALU_DEP_2)
	v_dual_sub_f32 v7, v7, v24 :: v_dual_sub_f32 v6, v6, v25
	v_sub_f32_e32 v24, v35, v34
	s_delay_alu instid0(VALU_DEP_1) | instskip(NEXT) | instid1(VALU_DEP_1)
	v_dual_add_f32 v6, v7, v6 :: v_dual_sub_f32 v7, v13, v24
	v_add_f32_e32 v6, v6, v7
	s_delay_alu instid0(VALU_DEP_1) | instskip(NEXT) | instid1(VALU_DEP_1)
	v_add_f32_e32 v6, v35, v6
	v_cndmask_b32_e32 v2, v6, v2, vcc_lo
	s_delay_alu instid0(VALU_DEP_1) | instskip(NEXT) | instid1(VALU_DEP_1)
	v_add_f32_e32 v2, v3, v2
	v_cvt_f16_f32_e32 v35, v2
	s_delay_alu instid0(VALU_DEP_1)
	v_cvt_f32_f16_e32 v2, v35
	v_mov_b32_e32 v65, v35
.LBB410_332:
	s_or_b32 exec_lo, exec_lo, s1
	s_delay_alu instid0(VALU_DEP_2) | instskip(SKIP_1) | instid1(VALU_DEP_2)
	v_dual_max_f32 v3, v51, v51 :: v_dual_max_f32 v6, v2, v2
	v_cmp_u_f16_e32 vcc_lo, v35, v35
	v_dual_mov_b32 v66, v65 :: v_dual_min_f32 v7, v6, v3
	s_delay_alu instid0(VALU_DEP_1) | instskip(NEXT) | instid1(VALU_DEP_1)
	v_dual_max_f32 v3, v6, v3 :: v_dual_cndmask_b32 v6, v7, v2
	v_cndmask_b32_e32 v3, v3, v2, vcc_lo
	s_delay_alu instid0(VALU_DEP_2) | instskip(NEXT) | instid1(VALU_DEP_2)
	v_cndmask_b32_e64 v6, v6, v51, s7
	v_cndmask_b32_e64 v3, v3, v51, s7
	s_delay_alu instid0(VALU_DEP_2) | instskip(NEXT) | instid1(VALU_DEP_2)
	v_cmp_class_f32_e64 s1, v6, 0x1f8
	v_cmp_neq_f32_e32 vcc_lo, v6, v3
	s_delay_alu instid0(VALU_DEP_2) | instskip(NEXT) | instid1(SALU_CYCLE_1)
	s_or_b32 s2, vcc_lo, s1
	s_and_saveexec_b32 s1, s2
	s_cbranch_execz .LBB410_334
; %bb.333:
	v_sub_f32_e32 v2, v6, v3
	s_mov_b32 s2, 0x3e9b6dac
	s_delay_alu instid0(VALU_DEP_1) | instskip(SKIP_1) | instid1(VALU_DEP_2)
	v_mul_f32_e32 v6, 0x3fb8aa3b, v2
	v_cmp_ngt_f32_e32 vcc_lo, 0xc2ce8ed0, v2
	v_fma_f32 v7, 0x3fb8aa3b, v2, -v6
	v_rndne_f32_e32 v13, v6
	s_delay_alu instid0(VALU_DEP_2) | instskip(NEXT) | instid1(VALU_DEP_2)
	v_fmamk_f32 v7, v2, 0x32a5705f, v7
	v_sub_f32_e32 v6, v6, v13
	s_delay_alu instid0(VALU_DEP_1) | instskip(SKIP_1) | instid1(VALU_DEP_2)
	v_add_f32_e32 v6, v6, v7
	v_cvt_i32_f32_e32 v7, v13
	v_exp_f32_e32 v6, v6
	s_waitcnt_depctr 0xfff
	v_ldexp_f32 v6, v6, v7
	s_delay_alu instid0(VALU_DEP_1) | instskip(SKIP_1) | instid1(VALU_DEP_2)
	v_cndmask_b32_e32 v6, 0, v6, vcc_lo
	v_cmp_nlt_f32_e32 vcc_lo, 0x42b17218, v2
	v_cndmask_b32_e32 v2, 0x7f800000, v6, vcc_lo
	s_delay_alu instid0(VALU_DEP_1) | instskip(NEXT) | instid1(VALU_DEP_1)
	v_add_f32_e32 v13, 1.0, v2
	v_cvt_f64_f32_e32 v[6:7], v13
	s_delay_alu instid0(VALU_DEP_1) | instskip(SKIP_1) | instid1(VALU_DEP_1)
	v_frexp_exp_i32_f64_e32 v6, v[6:7]
	v_frexp_mant_f32_e32 v7, v13
	v_cmp_gt_f32_e32 vcc_lo, 0x3f2aaaab, v7
	v_add_f32_e32 v7, -1.0, v13
	s_delay_alu instid0(VALU_DEP_1) | instskip(NEXT) | instid1(VALU_DEP_1)
	v_sub_f32_e32 v25, v7, v13
	v_add_f32_e32 v25, 1.0, v25
	v_subrev_co_ci_u32_e32 v6, vcc_lo, 0, v6, vcc_lo
	s_delay_alu instid0(VALU_DEP_1) | instskip(SKIP_1) | instid1(VALU_DEP_2)
	v_sub_nc_u32_e32 v24, 0, v6
	v_cvt_f32_i32_e32 v6, v6
	v_ldexp_f32 v13, v13, v24
	s_delay_alu instid0(VALU_DEP_1) | instskip(NEXT) | instid1(VALU_DEP_1)
	v_dual_sub_f32 v7, v2, v7 :: v_dual_add_f32 v34, 1.0, v13
	v_add_f32_e32 v7, v7, v25
	v_cmp_eq_f32_e32 vcc_lo, 0x7f800000, v2
	s_delay_alu instid0(VALU_DEP_3) | instskip(NEXT) | instid1(VALU_DEP_3)
	v_add_f32_e32 v25, -1.0, v34
	v_ldexp_f32 v7, v7, v24
	v_add_f32_e32 v24, -1.0, v13
	s_delay_alu instid0(VALU_DEP_3) | instskip(NEXT) | instid1(VALU_DEP_2)
	v_sub_f32_e32 v25, v13, v25
	v_add_f32_e32 v35, 1.0, v24
	s_delay_alu instid0(VALU_DEP_2) | instskip(NEXT) | instid1(VALU_DEP_2)
	v_add_f32_e32 v25, v7, v25
	v_sub_f32_e32 v13, v13, v35
	s_delay_alu instid0(VALU_DEP_1) | instskip(NEXT) | instid1(VALU_DEP_1)
	v_add_f32_e32 v7, v7, v13
	v_add_f32_e32 v51, v24, v7
	s_delay_alu instid0(VALU_DEP_1) | instskip(NEXT) | instid1(VALU_DEP_1)
	v_dual_add_f32 v35, v34, v25 :: v_dual_sub_f32 v24, v24, v51
	v_rcp_f32_e32 v13, v35
	s_delay_alu instid0(VALU_DEP_1) | instskip(SKIP_2) | instid1(VALU_DEP_1)
	v_dual_sub_f32 v34, v34, v35 :: v_dual_add_f32 v7, v7, v24
	s_waitcnt_depctr 0xfff
	v_dual_add_f32 v25, v25, v34 :: v_dual_mul_f32 v52, v51, v13
	v_mul_f32_e32 v53, v35, v52
	s_delay_alu instid0(VALU_DEP_1) | instskip(NEXT) | instid1(VALU_DEP_1)
	v_fma_f32 v34, v52, v35, -v53
	v_fmac_f32_e32 v34, v52, v25
	s_delay_alu instid0(VALU_DEP_1) | instskip(NEXT) | instid1(VALU_DEP_1)
	v_add_f32_e32 v54, v53, v34
	v_sub_f32_e32 v24, v54, v53
	v_sub_f32_e32 v66, v51, v54
	s_delay_alu instid0(VALU_DEP_2) | instskip(NEXT) | instid1(VALU_DEP_2)
	v_sub_f32_e32 v24, v24, v34
	v_sub_f32_e32 v51, v51, v66
	s_delay_alu instid0(VALU_DEP_1) | instskip(NEXT) | instid1(VALU_DEP_1)
	v_sub_f32_e32 v51, v51, v54
	v_add_f32_e32 v7, v7, v51
	s_delay_alu instid0(VALU_DEP_1) | instskip(NEXT) | instid1(VALU_DEP_1)
	v_add_f32_e32 v7, v24, v7
	v_add_f32_e32 v24, v66, v7
	s_delay_alu instid0(VALU_DEP_1) | instskip(NEXT) | instid1(VALU_DEP_1)
	v_mul_f32_e32 v34, v13, v24
	v_dual_sub_f32 v54, v66, v24 :: v_dual_mul_f32 v51, v35, v34
	s_delay_alu instid0(VALU_DEP_1) | instskip(NEXT) | instid1(VALU_DEP_2)
	v_add_f32_e32 v7, v7, v54
	v_fma_f32 v35, v34, v35, -v51
	s_delay_alu instid0(VALU_DEP_1) | instskip(NEXT) | instid1(VALU_DEP_1)
	v_fmac_f32_e32 v35, v34, v25
	v_add_f32_e32 v25, v51, v35
	s_delay_alu instid0(VALU_DEP_1) | instskip(NEXT) | instid1(VALU_DEP_1)
	v_sub_f32_e32 v53, v24, v25
	v_dual_sub_f32 v51, v25, v51 :: v_dual_sub_f32 v24, v24, v53
	s_delay_alu instid0(VALU_DEP_1) | instskip(NEXT) | instid1(VALU_DEP_1)
	v_sub_f32_e32 v24, v24, v25
	v_dual_add_f32 v7, v7, v24 :: v_dual_add_f32 v24, v52, v34
	s_delay_alu instid0(VALU_DEP_3) | instskip(NEXT) | instid1(VALU_DEP_1)
	v_sub_f32_e32 v25, v51, v35
	v_add_f32_e32 v7, v25, v7
	s_delay_alu instid0(VALU_DEP_3) | instskip(NEXT) | instid1(VALU_DEP_2)
	v_sub_f32_e32 v25, v24, v52
	v_add_f32_e32 v7, v53, v7
	s_delay_alu instid0(VALU_DEP_2) | instskip(NEXT) | instid1(VALU_DEP_2)
	v_sub_f32_e32 v25, v34, v25
	v_mul_f32_e32 v7, v13, v7
	s_delay_alu instid0(VALU_DEP_1) | instskip(NEXT) | instid1(VALU_DEP_1)
	v_add_f32_e32 v7, v25, v7
	v_add_f32_e32 v13, v24, v7
	s_delay_alu instid0(VALU_DEP_1) | instskip(NEXT) | instid1(VALU_DEP_1)
	v_mul_f32_e32 v25, v13, v13
	v_fmaak_f32 v34, s2, v25, 0x3ecc95a3
	v_mul_f32_e32 v35, v13, v25
	v_cmp_gt_f32_e64 s2, 0x33800000, |v2|
	s_delay_alu instid0(VALU_DEP_3) | instskip(SKIP_2) | instid1(VALU_DEP_4)
	v_fmaak_f32 v25, v25, v34, 0x3f2aaada
	v_ldexp_f32 v34, v13, 1
	v_sub_f32_e32 v13, v13, v24
	s_or_b32 vcc_lo, vcc_lo, s2
	s_delay_alu instid0(VALU_DEP_3) | instskip(NEXT) | instid1(VALU_DEP_2)
	v_mul_f32_e32 v25, v35, v25
	v_sub_f32_e32 v7, v7, v13
	s_delay_alu instid0(VALU_DEP_2) | instskip(NEXT) | instid1(VALU_DEP_2)
	v_add_f32_e32 v24, v34, v25
	v_ldexp_f32 v7, v7, 1
	s_delay_alu instid0(VALU_DEP_2) | instskip(NEXT) | instid1(VALU_DEP_1)
	v_sub_f32_e32 v13, v24, v34
	v_sub_f32_e32 v13, v25, v13
	s_delay_alu instid0(VALU_DEP_1) | instskip(NEXT) | instid1(VALU_DEP_1)
	v_add_f32_e32 v7, v7, v13
	v_add_f32_e32 v25, v24, v7
	s_delay_alu instid0(VALU_DEP_1) | instskip(NEXT) | instid1(VALU_DEP_1)
	v_dual_mul_f32 v35, 0x3f317218, v6 :: v_dual_sub_f32 v24, v25, v24
	v_fma_f32 v34, 0x3f317218, v6, -v35
	s_delay_alu instid0(VALU_DEP_1) | instskip(NEXT) | instid1(VALU_DEP_1)
	v_dual_sub_f32 v7, v7, v24 :: v_dual_fmamk_f32 v6, v6, 0xb102e308, v34
	v_add_f32_e32 v13, v35, v6
	s_delay_alu instid0(VALU_DEP_1) | instskip(NEXT) | instid1(VALU_DEP_1)
	v_add_f32_e32 v34, v13, v25
	v_sub_f32_e32 v51, v34, v13
	s_delay_alu instid0(VALU_DEP_1) | instskip(SKIP_2) | instid1(VALU_DEP_1)
	v_sub_f32_e32 v24, v25, v51
	v_sub_f32_e32 v35, v13, v35
	;; [unrolled: 1-line block ×3, first 2 shown]
	v_dual_sub_f32 v6, v6, v35 :: v_dual_sub_f32 v13, v13, v52
	s_delay_alu instid0(VALU_DEP_1) | instskip(NEXT) | instid1(VALU_DEP_1)
	v_add_f32_e32 v25, v6, v7
	v_dual_add_f32 v13, v24, v13 :: v_dual_sub_f32 v24, v25, v6
	s_delay_alu instid0(VALU_DEP_1) | instskip(NEXT) | instid1(VALU_DEP_2)
	v_add_f32_e32 v13, v25, v13
	v_sub_f32_e32 v25, v25, v24
	s_delay_alu instid0(VALU_DEP_2) | instskip(NEXT) | instid1(VALU_DEP_2)
	v_add_f32_e32 v35, v34, v13
	v_dual_sub_f32 v7, v7, v24 :: v_dual_sub_f32 v6, v6, v25
	s_delay_alu instid0(VALU_DEP_2) | instskip(NEXT) | instid1(VALU_DEP_1)
	v_sub_f32_e32 v24, v35, v34
	v_dual_add_f32 v6, v7, v6 :: v_dual_sub_f32 v7, v13, v24
	s_delay_alu instid0(VALU_DEP_1) | instskip(NEXT) | instid1(VALU_DEP_1)
	v_add_f32_e32 v6, v6, v7
	v_add_f32_e32 v6, v35, v6
	s_delay_alu instid0(VALU_DEP_1) | instskip(NEXT) | instid1(VALU_DEP_1)
	v_cndmask_b32_e32 v2, v6, v2, vcc_lo
	v_add_f32_e32 v2, v3, v2
	s_delay_alu instid0(VALU_DEP_1) | instskip(NEXT) | instid1(VALU_DEP_1)
	v_cvt_f16_f32_e32 v35, v2
	v_cvt_f32_f16_e32 v2, v35
	v_mov_b32_e32 v66, v35
.LBB410_334:
	s_or_b32 exec_lo, exec_lo, s1
	v_max_f32_e32 v3, v22, v22
	s_delay_alu instid0(VALU_DEP_3) | instskip(SKIP_2) | instid1(VALU_DEP_3)
	v_max_f32_e32 v6, v2, v2
	v_cmp_u_f16_e32 vcc_lo, v35, v35
	v_mov_b32_e32 v67, v66
	v_min_f32_e32 v7, v6, v3
	s_delay_alu instid0(VALU_DEP_1) | instskip(NEXT) | instid1(VALU_DEP_1)
	v_dual_max_f32 v3, v6, v3 :: v_dual_cndmask_b32 v6, v7, v2
	v_cndmask_b32_e32 v3, v3, v2, vcc_lo
	s_delay_alu instid0(VALU_DEP_2) | instskip(NEXT) | instid1(VALU_DEP_2)
	v_cndmask_b32_e64 v6, v6, v22, s8
	v_cndmask_b32_e64 v3, v3, v22, s8
	s_delay_alu instid0(VALU_DEP_2) | instskip(NEXT) | instid1(VALU_DEP_2)
	v_cmp_class_f32_e64 s1, v6, 0x1f8
	v_cmp_neq_f32_e32 vcc_lo, v6, v3
	s_delay_alu instid0(VALU_DEP_2) | instskip(NEXT) | instid1(SALU_CYCLE_1)
	s_or_b32 s2, vcc_lo, s1
	s_and_saveexec_b32 s1, s2
	s_cbranch_execz .LBB410_336
; %bb.335:
	v_sub_f32_e32 v2, v6, v3
	s_mov_b32 s2, 0x3e9b6dac
	s_delay_alu instid0(VALU_DEP_1) | instskip(SKIP_1) | instid1(VALU_DEP_2)
	v_mul_f32_e32 v6, 0x3fb8aa3b, v2
	v_cmp_ngt_f32_e32 vcc_lo, 0xc2ce8ed0, v2
	v_fma_f32 v7, 0x3fb8aa3b, v2, -v6
	v_rndne_f32_e32 v13, v6
	s_delay_alu instid0(VALU_DEP_2) | instskip(NEXT) | instid1(VALU_DEP_2)
	v_fmamk_f32 v7, v2, 0x32a5705f, v7
	v_sub_f32_e32 v6, v6, v13
	s_delay_alu instid0(VALU_DEP_1) | instskip(SKIP_1) | instid1(VALU_DEP_2)
	v_add_f32_e32 v6, v6, v7
	v_cvt_i32_f32_e32 v7, v13
	v_exp_f32_e32 v6, v6
	s_waitcnt_depctr 0xfff
	v_ldexp_f32 v6, v6, v7
	s_delay_alu instid0(VALU_DEP_1) | instskip(SKIP_1) | instid1(VALU_DEP_2)
	v_cndmask_b32_e32 v6, 0, v6, vcc_lo
	v_cmp_nlt_f32_e32 vcc_lo, 0x42b17218, v2
	v_cndmask_b32_e32 v2, 0x7f800000, v6, vcc_lo
	s_delay_alu instid0(VALU_DEP_1) | instskip(NEXT) | instid1(VALU_DEP_1)
	v_add_f32_e32 v13, 1.0, v2
	v_cvt_f64_f32_e32 v[6:7], v13
	s_delay_alu instid0(VALU_DEP_1) | instskip(SKIP_1) | instid1(VALU_DEP_1)
	v_frexp_exp_i32_f64_e32 v6, v[6:7]
	v_frexp_mant_f32_e32 v7, v13
	v_cmp_gt_f32_e32 vcc_lo, 0x3f2aaaab, v7
	v_add_f32_e32 v7, -1.0, v13
	s_delay_alu instid0(VALU_DEP_1) | instskip(NEXT) | instid1(VALU_DEP_1)
	v_dual_sub_f32 v24, v7, v13 :: v_dual_sub_f32 v7, v2, v7
	v_add_f32_e32 v24, 1.0, v24
	s_delay_alu instid0(VALU_DEP_1) | instskip(SKIP_2) | instid1(VALU_DEP_2)
	v_add_f32_e32 v7, v7, v24
	v_subrev_co_ci_u32_e32 v6, vcc_lo, 0, v6, vcc_lo
	v_cmp_eq_f32_e32 vcc_lo, 0x7f800000, v2
	v_sub_nc_u32_e32 v22, 0, v6
	v_cvt_f32_i32_e32 v6, v6
	s_delay_alu instid0(VALU_DEP_2) | instskip(SKIP_1) | instid1(VALU_DEP_2)
	v_ldexp_f32 v13, v13, v22
	v_ldexp_f32 v7, v7, v22
	v_add_f32_e32 v25, 1.0, v13
	v_add_f32_e32 v22, -1.0, v13
	s_delay_alu instid0(VALU_DEP_2) | instskip(NEXT) | instid1(VALU_DEP_2)
	v_add_f32_e32 v24, -1.0, v25
	v_add_f32_e32 v34, 1.0, v22
	s_delay_alu instid0(VALU_DEP_2) | instskip(NEXT) | instid1(VALU_DEP_1)
	v_sub_f32_e32 v24, v13, v24
	v_dual_sub_f32 v13, v13, v34 :: v_dual_add_f32 v24, v7, v24
	s_delay_alu instid0(VALU_DEP_1) | instskip(NEXT) | instid1(VALU_DEP_1)
	v_dual_add_f32 v7, v7, v13 :: v_dual_add_f32 v34, v25, v24
	v_rcp_f32_e32 v13, v34
	v_sub_f32_e32 v25, v25, v34
	s_delay_alu instid0(VALU_DEP_2) | instskip(SKIP_2) | instid1(VALU_DEP_1)
	v_add_f32_e32 v35, v22, v7
	s_waitcnt_depctr 0xfff
	v_dual_sub_f32 v22, v22, v35 :: v_dual_mul_f32 v51, v35, v13
	v_dual_add_f32 v7, v7, v22 :: v_dual_add_f32 v24, v24, v25
	s_delay_alu instid0(VALU_DEP_2) | instskip(NEXT) | instid1(VALU_DEP_1)
	v_mul_f32_e32 v52, v34, v51
	v_fma_f32 v25, v51, v34, -v52
	s_delay_alu instid0(VALU_DEP_1) | instskip(NEXT) | instid1(VALU_DEP_1)
	v_fmac_f32_e32 v25, v51, v24
	v_add_f32_e32 v53, v52, v25
	s_delay_alu instid0(VALU_DEP_1) | instskip(NEXT) | instid1(VALU_DEP_1)
	v_sub_f32_e32 v22, v53, v52
	v_sub_f32_e32 v22, v22, v25
	;; [unrolled: 1-line block ×3, first 2 shown]
	s_delay_alu instid0(VALU_DEP_1) | instskip(NEXT) | instid1(VALU_DEP_1)
	v_sub_f32_e32 v35, v35, v54
	v_sub_f32_e32 v35, v35, v53
	s_delay_alu instid0(VALU_DEP_1) | instskip(NEXT) | instid1(VALU_DEP_1)
	v_add_f32_e32 v7, v7, v35
	v_add_f32_e32 v7, v22, v7
	s_delay_alu instid0(VALU_DEP_1) | instskip(NEXT) | instid1(VALU_DEP_1)
	v_add_f32_e32 v22, v54, v7
	v_sub_f32_e32 v53, v54, v22
	s_delay_alu instid0(VALU_DEP_1) | instskip(SKIP_1) | instid1(VALU_DEP_1)
	v_add_f32_e32 v7, v7, v53
	v_mul_f32_e32 v25, v13, v22
	v_mul_f32_e32 v35, v34, v25
	s_delay_alu instid0(VALU_DEP_1) | instskip(NEXT) | instid1(VALU_DEP_1)
	v_fma_f32 v34, v25, v34, -v35
	v_fmac_f32_e32 v34, v25, v24
	s_delay_alu instid0(VALU_DEP_1) | instskip(NEXT) | instid1(VALU_DEP_1)
	v_add_f32_e32 v24, v35, v34
	v_dual_sub_f32 v52, v22, v24 :: v_dual_sub_f32 v35, v24, v35
	s_delay_alu instid0(VALU_DEP_1) | instskip(NEXT) | instid1(VALU_DEP_1)
	v_sub_f32_e32 v22, v22, v52
	v_sub_f32_e32 v22, v22, v24
	s_delay_alu instid0(VALU_DEP_1) | instskip(SKIP_2) | instid1(VALU_DEP_1)
	v_add_f32_e32 v7, v7, v22
	v_add_f32_e32 v22, v51, v25
	v_sub_f32_e32 v24, v35, v34
	v_add_f32_e32 v7, v24, v7
	s_delay_alu instid0(VALU_DEP_3) | instskip(NEXT) | instid1(VALU_DEP_1)
	v_sub_f32_e32 v24, v22, v51
	v_dual_add_f32 v7, v52, v7 :: v_dual_sub_f32 v24, v25, v24
	s_delay_alu instid0(VALU_DEP_1) | instskip(NEXT) | instid1(VALU_DEP_1)
	v_mul_f32_e32 v7, v13, v7
	v_add_f32_e32 v7, v24, v7
	s_delay_alu instid0(VALU_DEP_1) | instskip(NEXT) | instid1(VALU_DEP_1)
	v_add_f32_e32 v13, v22, v7
	v_mul_f32_e32 v24, v13, v13
	s_delay_alu instid0(VALU_DEP_1) | instskip(SKIP_2) | instid1(VALU_DEP_3)
	v_fmaak_f32 v25, s2, v24, 0x3ecc95a3
	v_mul_f32_e32 v34, v13, v24
	v_cmp_gt_f32_e64 s2, 0x33800000, |v2|
	v_fmaak_f32 v24, v24, v25, 0x3f2aaada
	v_ldexp_f32 v25, v13, 1
	v_sub_f32_e32 v13, v13, v22
	s_delay_alu instid0(VALU_DEP_4) | instskip(NEXT) | instid1(VALU_DEP_1)
	s_or_b32 vcc_lo, vcc_lo, s2
	v_sub_f32_e32 v7, v7, v13
	s_delay_alu instid0(VALU_DEP_1) | instskip(SKIP_1) | instid1(VALU_DEP_1)
	v_ldexp_f32 v7, v7, 1
	v_mul_f32_e32 v24, v34, v24
	v_add_f32_e32 v22, v25, v24
	s_delay_alu instid0(VALU_DEP_1) | instskip(NEXT) | instid1(VALU_DEP_1)
	v_sub_f32_e32 v13, v22, v25
	v_sub_f32_e32 v13, v24, v13
	s_delay_alu instid0(VALU_DEP_1) | instskip(NEXT) | instid1(VALU_DEP_1)
	v_add_f32_e32 v7, v7, v13
	v_add_f32_e32 v24, v22, v7
	v_mul_f32_e32 v34, 0x3f317218, v6
	s_delay_alu instid0(VALU_DEP_1) | instskip(NEXT) | instid1(VALU_DEP_1)
	v_fma_f32 v25, 0x3f317218, v6, -v34
	v_fmamk_f32 v6, v6, 0xb102e308, v25
	s_delay_alu instid0(VALU_DEP_1) | instskip(NEXT) | instid1(VALU_DEP_1)
	v_add_f32_e32 v13, v34, v6
	v_add_f32_e32 v25, v13, v24
	s_delay_alu instid0(VALU_DEP_1) | instskip(NEXT) | instid1(VALU_DEP_1)
	v_dual_sub_f32 v35, v25, v13 :: v_dual_sub_f32 v22, v24, v22
	v_sub_f32_e32 v51, v25, v35
	s_delay_alu instid0(VALU_DEP_2) | instskip(SKIP_1) | instid1(VALU_DEP_3)
	v_dual_sub_f32 v7, v7, v22 :: v_dual_sub_f32 v22, v24, v35
	v_sub_f32_e32 v34, v13, v34
	v_sub_f32_e32 v13, v13, v51
	s_delay_alu instid0(VALU_DEP_1) | instskip(NEXT) | instid1(VALU_DEP_3)
	v_add_f32_e32 v13, v22, v13
	v_sub_f32_e32 v6, v6, v34
	s_delay_alu instid0(VALU_DEP_1) | instskip(NEXT) | instid1(VALU_DEP_1)
	v_add_f32_e32 v24, v6, v7
	v_add_f32_e32 v13, v24, v13
	v_sub_f32_e32 v22, v24, v6
	s_delay_alu instid0(VALU_DEP_1) | instskip(SKIP_1) | instid1(VALU_DEP_2)
	v_dual_add_f32 v34, v25, v13 :: v_dual_sub_f32 v7, v7, v22
	v_sub_f32_e32 v24, v24, v22
	v_sub_f32_e32 v22, v34, v25
	s_delay_alu instid0(VALU_DEP_2) | instskip(NEXT) | instid1(VALU_DEP_1)
	v_sub_f32_e32 v6, v6, v24
	v_add_f32_e32 v6, v7, v6
	s_delay_alu instid0(VALU_DEP_3) | instskip(NEXT) | instid1(VALU_DEP_1)
	v_sub_f32_e32 v7, v13, v22
	v_add_f32_e32 v6, v6, v7
	s_delay_alu instid0(VALU_DEP_1) | instskip(NEXT) | instid1(VALU_DEP_1)
	v_add_f32_e32 v6, v34, v6
	v_cndmask_b32_e32 v2, v6, v2, vcc_lo
	s_delay_alu instid0(VALU_DEP_1) | instskip(NEXT) | instid1(VALU_DEP_1)
	v_add_f32_e32 v2, v3, v2
	v_cvt_f16_f32_e32 v35, v2
	s_delay_alu instid0(VALU_DEP_1)
	v_cvt_f32_f16_e32 v2, v35
	v_mov_b32_e32 v67, v35
.LBB410_336:
	s_or_b32 exec_lo, exec_lo, s1
	s_delay_alu instid0(VALU_DEP_1) | instskip(NEXT) | instid1(VALU_DEP_3)
	v_dual_max_f32 v3, v50, v50 :: v_dual_mov_b32 v68, v67
	v_max_f32_e32 v6, v2, v2
	v_cmp_u_f16_e32 vcc_lo, v35, v35
	s_delay_alu instid0(VALU_DEP_2) | instskip(NEXT) | instid1(VALU_DEP_1)
	v_min_f32_e32 v7, v6, v3
	v_dual_max_f32 v3, v6, v3 :: v_dual_cndmask_b32 v6, v7, v2
	s_delay_alu instid0(VALU_DEP_1) | instskip(NEXT) | instid1(VALU_DEP_2)
	v_cndmask_b32_e32 v3, v3, v2, vcc_lo
	v_cndmask_b32_e64 v6, v6, v50, s10
	s_delay_alu instid0(VALU_DEP_2) | instskip(NEXT) | instid1(VALU_DEP_2)
	v_cndmask_b32_e64 v3, v3, v50, s10
	v_cmp_class_f32_e64 s1, v6, 0x1f8
	s_delay_alu instid0(VALU_DEP_2) | instskip(NEXT) | instid1(VALU_DEP_2)
	v_cmp_neq_f32_e32 vcc_lo, v6, v3
	s_or_b32 s2, vcc_lo, s1
	s_delay_alu instid0(SALU_CYCLE_1)
	s_and_saveexec_b32 s1, s2
	s_cbranch_execz .LBB410_338
; %bb.337:
	v_sub_f32_e32 v2, v6, v3
	s_mov_b32 s2, 0x3e9b6dac
	s_delay_alu instid0(VALU_DEP_1) | instskip(SKIP_1) | instid1(VALU_DEP_2)
	v_mul_f32_e32 v6, 0x3fb8aa3b, v2
	v_cmp_ngt_f32_e32 vcc_lo, 0xc2ce8ed0, v2
	v_fma_f32 v7, 0x3fb8aa3b, v2, -v6
	v_rndne_f32_e32 v13, v6
	s_delay_alu instid0(VALU_DEP_2) | instskip(NEXT) | instid1(VALU_DEP_2)
	v_fmamk_f32 v7, v2, 0x32a5705f, v7
	v_sub_f32_e32 v6, v6, v13
	s_delay_alu instid0(VALU_DEP_1) | instskip(SKIP_1) | instid1(VALU_DEP_2)
	v_add_f32_e32 v6, v6, v7
	v_cvt_i32_f32_e32 v7, v13
	v_exp_f32_e32 v6, v6
	s_waitcnt_depctr 0xfff
	v_ldexp_f32 v6, v6, v7
	s_delay_alu instid0(VALU_DEP_1) | instskip(SKIP_1) | instid1(VALU_DEP_2)
	v_cndmask_b32_e32 v6, 0, v6, vcc_lo
	v_cmp_nlt_f32_e32 vcc_lo, 0x42b17218, v2
	v_cndmask_b32_e32 v2, 0x7f800000, v6, vcc_lo
	s_delay_alu instid0(VALU_DEP_1) | instskip(NEXT) | instid1(VALU_DEP_1)
	v_add_f32_e32 v13, 1.0, v2
	v_cvt_f64_f32_e32 v[6:7], v13
	s_delay_alu instid0(VALU_DEP_1) | instskip(SKIP_1) | instid1(VALU_DEP_1)
	v_frexp_exp_i32_f64_e32 v6, v[6:7]
	v_frexp_mant_f32_e32 v7, v13
	v_cmp_gt_f32_e32 vcc_lo, 0x3f2aaaab, v7
	v_add_f32_e32 v7, -1.0, v13
	s_delay_alu instid0(VALU_DEP_1) | instskip(NEXT) | instid1(VALU_DEP_1)
	v_dual_sub_f32 v24, v7, v13 :: v_dual_sub_f32 v7, v2, v7
	v_add_f32_e32 v24, 1.0, v24
	s_delay_alu instid0(VALU_DEP_1) | instskip(SKIP_2) | instid1(VALU_DEP_2)
	v_add_f32_e32 v7, v7, v24
	v_subrev_co_ci_u32_e32 v6, vcc_lo, 0, v6, vcc_lo
	v_cmp_eq_f32_e32 vcc_lo, 0x7f800000, v2
	v_sub_nc_u32_e32 v22, 0, v6
	v_cvt_f32_i32_e32 v6, v6
	s_delay_alu instid0(VALU_DEP_2) | instskip(SKIP_1) | instid1(VALU_DEP_2)
	v_ldexp_f32 v13, v13, v22
	v_ldexp_f32 v7, v7, v22
	v_add_f32_e32 v25, 1.0, v13
	v_add_f32_e32 v22, -1.0, v13
	s_delay_alu instid0(VALU_DEP_2) | instskip(NEXT) | instid1(VALU_DEP_2)
	v_add_f32_e32 v24, -1.0, v25
	v_add_f32_e32 v34, 1.0, v22
	s_delay_alu instid0(VALU_DEP_2) | instskip(NEXT) | instid1(VALU_DEP_1)
	v_sub_f32_e32 v24, v13, v24
	v_dual_sub_f32 v13, v13, v34 :: v_dual_add_f32 v24, v7, v24
	s_delay_alu instid0(VALU_DEP_1) | instskip(NEXT) | instid1(VALU_DEP_1)
	v_dual_add_f32 v7, v7, v13 :: v_dual_add_f32 v34, v25, v24
	v_rcp_f32_e32 v13, v34
	v_sub_f32_e32 v25, v25, v34
	s_delay_alu instid0(VALU_DEP_1) | instskip(SKIP_2) | instid1(VALU_DEP_1)
	v_dual_add_f32 v35, v22, v7 :: v_dual_add_f32 v24, v24, v25
	s_waitcnt_depctr 0xfff
	v_mul_f32_e32 v50, v35, v13
	v_mul_f32_e32 v51, v34, v50
	s_delay_alu instid0(VALU_DEP_1) | instskip(NEXT) | instid1(VALU_DEP_1)
	v_fma_f32 v25, v50, v34, -v51
	v_fmac_f32_e32 v25, v50, v24
	s_delay_alu instid0(VALU_DEP_1) | instskip(NEXT) | instid1(VALU_DEP_1)
	v_add_f32_e32 v52, v51, v25
	v_dual_sub_f32 v22, v22, v35 :: v_dual_sub_f32 v53, v35, v52
	s_delay_alu instid0(VALU_DEP_1) | instskip(NEXT) | instid1(VALU_DEP_1)
	v_sub_f32_e32 v35, v35, v53
	v_sub_f32_e32 v35, v35, v52
	s_delay_alu instid0(VALU_DEP_3) | instskip(NEXT) | instid1(VALU_DEP_1)
	v_dual_add_f32 v7, v7, v22 :: v_dual_sub_f32 v22, v52, v51
	v_dual_add_f32 v7, v7, v35 :: v_dual_sub_f32 v22, v22, v25
	s_delay_alu instid0(VALU_DEP_1) | instskip(NEXT) | instid1(VALU_DEP_1)
	v_add_f32_e32 v7, v22, v7
	v_add_f32_e32 v22, v53, v7
	s_delay_alu instid0(VALU_DEP_1) | instskip(NEXT) | instid1(VALU_DEP_1)
	v_mul_f32_e32 v25, v13, v22
	v_dual_mul_f32 v35, v34, v25 :: v_dual_sub_f32 v52, v53, v22
	s_delay_alu instid0(VALU_DEP_1) | instskip(NEXT) | instid1(VALU_DEP_2)
	v_fma_f32 v34, v25, v34, -v35
	v_add_f32_e32 v7, v7, v52
	s_delay_alu instid0(VALU_DEP_2) | instskip(NEXT) | instid1(VALU_DEP_1)
	v_fmac_f32_e32 v34, v25, v24
	v_add_f32_e32 v24, v35, v34
	s_delay_alu instid0(VALU_DEP_1) | instskip(SKIP_1) | instid1(VALU_DEP_2)
	v_sub_f32_e32 v51, v22, v24
	v_sub_f32_e32 v35, v24, v35
	;; [unrolled: 1-line block ×3, first 2 shown]
	s_delay_alu instid0(VALU_DEP_1) | instskip(NEXT) | instid1(VALU_DEP_1)
	v_sub_f32_e32 v22, v22, v24
	v_dual_add_f32 v7, v7, v22 :: v_dual_add_f32 v22, v50, v25
	s_delay_alu instid0(VALU_DEP_4) | instskip(NEXT) | instid1(VALU_DEP_1)
	v_sub_f32_e32 v24, v35, v34
	v_dual_add_f32 v7, v24, v7 :: v_dual_sub_f32 v24, v22, v50
	s_delay_alu instid0(VALU_DEP_1) | instskip(NEXT) | instid1(VALU_DEP_1)
	v_dual_add_f32 v7, v51, v7 :: v_dual_sub_f32 v24, v25, v24
	v_mul_f32_e32 v7, v13, v7
	s_delay_alu instid0(VALU_DEP_1) | instskip(NEXT) | instid1(VALU_DEP_1)
	v_add_f32_e32 v7, v24, v7
	v_add_f32_e32 v13, v22, v7
	s_delay_alu instid0(VALU_DEP_1) | instskip(NEXT) | instid1(VALU_DEP_1)
	v_mul_f32_e32 v24, v13, v13
	v_fmaak_f32 v25, s2, v24, 0x3ecc95a3
	v_mul_f32_e32 v34, v13, v24
	v_cmp_gt_f32_e64 s2, 0x33800000, |v2|
	s_delay_alu instid0(VALU_DEP_3) | instskip(SKIP_2) | instid1(VALU_DEP_4)
	v_fmaak_f32 v24, v24, v25, 0x3f2aaada
	v_ldexp_f32 v25, v13, 1
	v_sub_f32_e32 v13, v13, v22
	s_or_b32 vcc_lo, vcc_lo, s2
	s_delay_alu instid0(VALU_DEP_1) | instskip(NEXT) | instid1(VALU_DEP_1)
	v_sub_f32_e32 v7, v7, v13
	v_ldexp_f32 v7, v7, 1
	v_mul_f32_e32 v24, v34, v24
	v_mul_f32_e32 v34, 0x3f317218, v6
	s_delay_alu instid0(VALU_DEP_2) | instskip(NEXT) | instid1(VALU_DEP_1)
	v_add_f32_e32 v22, v25, v24
	v_sub_f32_e32 v13, v22, v25
	s_delay_alu instid0(VALU_DEP_3) | instskip(NEXT) | instid1(VALU_DEP_1)
	v_fma_f32 v25, 0x3f317218, v6, -v34
	v_dual_sub_f32 v13, v24, v13 :: v_dual_fmamk_f32 v6, v6, 0xb102e308, v25
	s_delay_alu instid0(VALU_DEP_1) | instskip(NEXT) | instid1(VALU_DEP_2)
	v_add_f32_e32 v7, v7, v13
	v_add_f32_e32 v13, v34, v6
	s_delay_alu instid0(VALU_DEP_2) | instskip(NEXT) | instid1(VALU_DEP_1)
	v_add_f32_e32 v24, v22, v7
	v_dual_add_f32 v25, v13, v24 :: v_dual_sub_f32 v22, v24, v22
	s_delay_alu instid0(VALU_DEP_1) | instskip(NEXT) | instid1(VALU_DEP_1)
	v_sub_f32_e32 v35, v25, v13
	v_dual_sub_f32 v7, v7, v22 :: v_dual_sub_f32 v50, v25, v35
	v_sub_f32_e32 v22, v24, v35
	v_sub_f32_e32 v34, v13, v34
	s_delay_alu instid0(VALU_DEP_3) | instskip(NEXT) | instid1(VALU_DEP_1)
	v_sub_f32_e32 v13, v13, v50
	v_add_f32_e32 v13, v22, v13
	s_delay_alu instid0(VALU_DEP_3) | instskip(NEXT) | instid1(VALU_DEP_1)
	v_sub_f32_e32 v6, v6, v34
	v_add_f32_e32 v24, v6, v7
	s_delay_alu instid0(VALU_DEP_1) | instskip(SKIP_1) | instid1(VALU_DEP_1)
	v_add_f32_e32 v13, v24, v13
	v_sub_f32_e32 v22, v24, v6
	v_dual_add_f32 v34, v25, v13 :: v_dual_sub_f32 v7, v7, v22
	v_sub_f32_e32 v24, v24, v22
	s_delay_alu instid0(VALU_DEP_2) | instskip(NEXT) | instid1(VALU_DEP_2)
	v_sub_f32_e32 v22, v34, v25
	v_sub_f32_e32 v6, v6, v24
	s_delay_alu instid0(VALU_DEP_1) | instskip(NEXT) | instid1(VALU_DEP_3)
	v_add_f32_e32 v6, v7, v6
	v_sub_f32_e32 v7, v13, v22
	s_delay_alu instid0(VALU_DEP_1) | instskip(NEXT) | instid1(VALU_DEP_1)
	v_add_f32_e32 v6, v6, v7
	v_add_f32_e32 v6, v34, v6
	s_delay_alu instid0(VALU_DEP_1) | instskip(NEXT) | instid1(VALU_DEP_1)
	v_cndmask_b32_e32 v2, v6, v2, vcc_lo
	v_add_f32_e32 v2, v3, v2
	s_delay_alu instid0(VALU_DEP_1) | instskip(NEXT) | instid1(VALU_DEP_1)
	v_cvt_f16_f32_e32 v35, v2
	v_cvt_f32_f16_e32 v2, v35
	v_mov_b32_e32 v68, v35
.LBB410_338:
	s_or_b32 exec_lo, exec_lo, s1
	s_delay_alu instid0(VALU_DEP_2) | instskip(SKIP_1) | instid1(VALU_DEP_3)
	v_dual_max_f32 v3, v23, v23 :: v_dual_max_f32 v6, v2, v2
	v_cmp_u_f16_e32 vcc_lo, v35, v35
	v_mov_b32_e32 v69, v68
	s_delay_alu instid0(VALU_DEP_3) | instskip(NEXT) | instid1(VALU_DEP_1)
	v_min_f32_e32 v7, v6, v3
	v_dual_max_f32 v3, v6, v3 :: v_dual_cndmask_b32 v6, v7, v2
	s_delay_alu instid0(VALU_DEP_1) | instskip(NEXT) | instid1(VALU_DEP_2)
	v_cndmask_b32_e32 v3, v3, v2, vcc_lo
	v_cndmask_b32_e64 v6, v6, v23, s11
	s_delay_alu instid0(VALU_DEP_2) | instskip(NEXT) | instid1(VALU_DEP_2)
	v_cndmask_b32_e64 v3, v3, v23, s11
	v_cmp_class_f32_e64 s1, v6, 0x1f8
	s_delay_alu instid0(VALU_DEP_2) | instskip(NEXT) | instid1(VALU_DEP_2)
	v_cmp_neq_f32_e32 vcc_lo, v6, v3
	s_or_b32 s2, vcc_lo, s1
	s_delay_alu instid0(SALU_CYCLE_1)
	s_and_saveexec_b32 s1, s2
	s_cbranch_execz .LBB410_340
; %bb.339:
	v_sub_f32_e32 v2, v6, v3
	s_mov_b32 s2, 0x3e9b6dac
	s_delay_alu instid0(VALU_DEP_1) | instskip(SKIP_1) | instid1(VALU_DEP_2)
	v_mul_f32_e32 v6, 0x3fb8aa3b, v2
	v_cmp_ngt_f32_e32 vcc_lo, 0xc2ce8ed0, v2
	v_fma_f32 v7, 0x3fb8aa3b, v2, -v6
	v_rndne_f32_e32 v13, v6
	s_delay_alu instid0(VALU_DEP_2) | instskip(NEXT) | instid1(VALU_DEP_2)
	v_fmamk_f32 v7, v2, 0x32a5705f, v7
	v_sub_f32_e32 v6, v6, v13
	s_delay_alu instid0(VALU_DEP_1) | instskip(SKIP_1) | instid1(VALU_DEP_2)
	v_add_f32_e32 v6, v6, v7
	v_cvt_i32_f32_e32 v7, v13
	v_exp_f32_e32 v6, v6
	s_waitcnt_depctr 0xfff
	v_ldexp_f32 v6, v6, v7
	s_delay_alu instid0(VALU_DEP_1) | instskip(SKIP_1) | instid1(VALU_DEP_2)
	v_cndmask_b32_e32 v6, 0, v6, vcc_lo
	v_cmp_nlt_f32_e32 vcc_lo, 0x42b17218, v2
	v_cndmask_b32_e32 v2, 0x7f800000, v6, vcc_lo
	s_delay_alu instid0(VALU_DEP_1) | instskip(NEXT) | instid1(VALU_DEP_1)
	v_add_f32_e32 v13, 1.0, v2
	v_cvt_f64_f32_e32 v[6:7], v13
	s_delay_alu instid0(VALU_DEP_1) | instskip(SKIP_1) | instid1(VALU_DEP_1)
	v_frexp_exp_i32_f64_e32 v6, v[6:7]
	v_frexp_mant_f32_e32 v7, v13
	v_cmp_gt_f32_e32 vcc_lo, 0x3f2aaaab, v7
	v_add_f32_e32 v7, -1.0, v13
	s_delay_alu instid0(VALU_DEP_1) | instskip(NEXT) | instid1(VALU_DEP_1)
	v_sub_f32_e32 v23, v7, v13
	v_add_f32_e32 v23, 1.0, v23
	v_subrev_co_ci_u32_e32 v6, vcc_lo, 0, v6, vcc_lo
	v_cmp_eq_f32_e32 vcc_lo, 0x7f800000, v2
	s_delay_alu instid0(VALU_DEP_2) | instskip(SKIP_1) | instid1(VALU_DEP_2)
	v_sub_nc_u32_e32 v22, 0, v6
	v_cvt_f32_i32_e32 v6, v6
	v_ldexp_f32 v13, v13, v22
	s_delay_alu instid0(VALU_DEP_1) | instskip(NEXT) | instid1(VALU_DEP_1)
	v_dual_sub_f32 v7, v2, v7 :: v_dual_add_f32 v24, 1.0, v13
	v_add_f32_e32 v7, v7, v23
	s_delay_alu instid0(VALU_DEP_2) | instskip(NEXT) | instid1(VALU_DEP_2)
	v_add_f32_e32 v23, -1.0, v24
	v_ldexp_f32 v7, v7, v22
	s_delay_alu instid0(VALU_DEP_2) | instskip(NEXT) | instid1(VALU_DEP_1)
	v_dual_add_f32 v22, -1.0, v13 :: v_dual_sub_f32 v23, v13, v23
	v_add_f32_e32 v25, 1.0, v22
	s_delay_alu instid0(VALU_DEP_2) | instskip(NEXT) | instid1(VALU_DEP_2)
	v_add_f32_e32 v23, v7, v23
	v_sub_f32_e32 v13, v13, v25
	s_delay_alu instid0(VALU_DEP_1) | instskip(NEXT) | instid1(VALU_DEP_1)
	v_add_f32_e32 v7, v7, v13
	v_add_f32_e32 v34, v22, v7
	s_delay_alu instid0(VALU_DEP_1) | instskip(NEXT) | instid1(VALU_DEP_1)
	v_dual_sub_f32 v22, v22, v34 :: v_dual_add_f32 v25, v24, v23
	v_rcp_f32_e32 v13, v25
	v_sub_f32_e32 v24, v24, v25
	s_delay_alu instid0(VALU_DEP_1) | instskip(SKIP_2) | instid1(VALU_DEP_1)
	v_add_f32_e32 v23, v23, v24
	s_waitcnt_depctr 0xfff
	v_mul_f32_e32 v35, v34, v13
	v_mul_f32_e32 v50, v25, v35
	s_delay_alu instid0(VALU_DEP_1) | instskip(NEXT) | instid1(VALU_DEP_1)
	v_fma_f32 v24, v35, v25, -v50
	v_fmac_f32_e32 v24, v35, v23
	s_delay_alu instid0(VALU_DEP_1) | instskip(NEXT) | instid1(VALU_DEP_1)
	v_add_f32_e32 v51, v50, v24
	v_sub_f32_e32 v52, v34, v51
	s_delay_alu instid0(VALU_DEP_1) | instskip(SKIP_1) | instid1(VALU_DEP_2)
	v_dual_sub_f32 v34, v34, v52 :: v_dual_add_f32 v7, v7, v22
	v_sub_f32_e32 v22, v51, v50
	v_sub_f32_e32 v34, v34, v51
	s_delay_alu instid0(VALU_DEP_1) | instskip(NEXT) | instid1(VALU_DEP_1)
	v_dual_sub_f32 v22, v22, v24 :: v_dual_add_f32 v7, v7, v34
	v_add_f32_e32 v7, v22, v7
	s_delay_alu instid0(VALU_DEP_1) | instskip(NEXT) | instid1(VALU_DEP_1)
	v_add_f32_e32 v22, v52, v7
	v_mul_f32_e32 v24, v13, v22
	s_delay_alu instid0(VALU_DEP_1) | instskip(NEXT) | instid1(VALU_DEP_1)
	v_dual_sub_f32 v51, v52, v22 :: v_dual_mul_f32 v34, v25, v24
	v_add_f32_e32 v7, v7, v51
	s_delay_alu instid0(VALU_DEP_2) | instskip(NEXT) | instid1(VALU_DEP_1)
	v_fma_f32 v25, v24, v25, -v34
	v_fmac_f32_e32 v25, v24, v23
	s_delay_alu instid0(VALU_DEP_1) | instskip(NEXT) | instid1(VALU_DEP_1)
	v_add_f32_e32 v23, v34, v25
	v_sub_f32_e32 v50, v22, v23
	s_delay_alu instid0(VALU_DEP_1) | instskip(NEXT) | instid1(VALU_DEP_1)
	v_sub_f32_e32 v22, v22, v50
	v_sub_f32_e32 v22, v22, v23
	s_delay_alu instid0(VALU_DEP_1) | instskip(SKIP_2) | instid1(VALU_DEP_1)
	v_add_f32_e32 v7, v7, v22
	v_add_f32_e32 v22, v35, v24
	v_sub_f32_e32 v34, v23, v34
	v_sub_f32_e32 v23, v34, v25
	s_delay_alu instid0(VALU_DEP_1) | instskip(NEXT) | instid1(VALU_DEP_4)
	v_add_f32_e32 v7, v23, v7
	v_sub_f32_e32 v23, v22, v35
	s_delay_alu instid0(VALU_DEP_2) | instskip(NEXT) | instid1(VALU_DEP_2)
	v_add_f32_e32 v7, v50, v7
	v_sub_f32_e32 v23, v24, v23
	s_delay_alu instid0(VALU_DEP_2) | instskip(NEXT) | instid1(VALU_DEP_1)
	v_mul_f32_e32 v7, v13, v7
	v_add_f32_e32 v7, v23, v7
	s_delay_alu instid0(VALU_DEP_1) | instskip(NEXT) | instid1(VALU_DEP_1)
	v_add_f32_e32 v13, v22, v7
	v_mul_f32_e32 v23, v13, v13
	s_delay_alu instid0(VALU_DEP_1) | instskip(SKIP_2) | instid1(VALU_DEP_3)
	v_fmaak_f32 v24, s2, v23, 0x3ecc95a3
	v_mul_f32_e32 v25, v13, v23
	v_cmp_gt_f32_e64 s2, 0x33800000, |v2|
	v_fmaak_f32 v23, v23, v24, 0x3f2aaada
	v_ldexp_f32 v24, v13, 1
	s_delay_alu instid0(VALU_DEP_3) | instskip(NEXT) | instid1(VALU_DEP_2)
	s_or_b32 vcc_lo, vcc_lo, s2
	v_mul_f32_e32 v23, v25, v23
	s_delay_alu instid0(VALU_DEP_1) | instskip(NEXT) | instid1(VALU_DEP_1)
	v_dual_sub_f32 v13, v13, v22 :: v_dual_add_f32 v22, v24, v23
	v_sub_f32_e32 v7, v7, v13
	s_delay_alu instid0(VALU_DEP_2) | instskip(NEXT) | instid1(VALU_DEP_2)
	v_sub_f32_e32 v13, v22, v24
	v_ldexp_f32 v7, v7, 1
	s_delay_alu instid0(VALU_DEP_2) | instskip(NEXT) | instid1(VALU_DEP_1)
	v_sub_f32_e32 v13, v23, v13
	v_add_f32_e32 v7, v7, v13
	s_delay_alu instid0(VALU_DEP_1) | instskip(SKIP_1) | instid1(VALU_DEP_2)
	v_add_f32_e32 v23, v22, v7
	v_mul_f32_e32 v25, 0x3f317218, v6
	v_sub_f32_e32 v22, v23, v22
	s_delay_alu instid0(VALU_DEP_2) | instskip(NEXT) | instid1(VALU_DEP_1)
	v_fma_f32 v24, 0x3f317218, v6, -v25
	v_dual_sub_f32 v7, v7, v22 :: v_dual_fmamk_f32 v6, v6, 0xb102e308, v24
	s_delay_alu instid0(VALU_DEP_1) | instskip(NEXT) | instid1(VALU_DEP_1)
	v_add_f32_e32 v13, v25, v6
	v_add_f32_e32 v24, v13, v23
	v_sub_f32_e32 v25, v13, v25
	s_delay_alu instid0(VALU_DEP_2) | instskip(NEXT) | instid1(VALU_DEP_1)
	v_sub_f32_e32 v34, v24, v13
	v_dual_sub_f32 v6, v6, v25 :: v_dual_sub_f32 v35, v24, v34
	s_delay_alu instid0(VALU_DEP_1) | instskip(NEXT) | instid1(VALU_DEP_2)
	v_dual_sub_f32 v22, v23, v34 :: v_dual_add_f32 v23, v6, v7
	v_sub_f32_e32 v13, v13, v35
	s_delay_alu instid0(VALU_DEP_1) | instskip(NEXT) | instid1(VALU_DEP_1)
	v_dual_add_f32 v13, v22, v13 :: v_dual_sub_f32 v22, v23, v6
	v_add_f32_e32 v13, v23, v13
	s_delay_alu instid0(VALU_DEP_2) | instskip(SKIP_1) | instid1(VALU_DEP_2)
	v_sub_f32_e32 v23, v23, v22
	v_sub_f32_e32 v7, v7, v22
	v_dual_add_f32 v25, v24, v13 :: v_dual_sub_f32 v6, v6, v23
	s_delay_alu instid0(VALU_DEP_1) | instskip(NEXT) | instid1(VALU_DEP_2)
	v_sub_f32_e32 v22, v25, v24
	v_add_f32_e32 v6, v7, v6
	s_delay_alu instid0(VALU_DEP_2) | instskip(NEXT) | instid1(VALU_DEP_1)
	v_sub_f32_e32 v7, v13, v22
	v_add_f32_e32 v6, v6, v7
	s_delay_alu instid0(VALU_DEP_1) | instskip(NEXT) | instid1(VALU_DEP_1)
	v_add_f32_e32 v6, v25, v6
	v_cndmask_b32_e32 v2, v6, v2, vcc_lo
	s_delay_alu instid0(VALU_DEP_1) | instskip(NEXT) | instid1(VALU_DEP_1)
	v_add_f32_e32 v2, v3, v2
	v_cvt_f16_f32_e32 v35, v2
	s_delay_alu instid0(VALU_DEP_1)
	v_cvt_f32_f16_e32 v2, v35
	v_mov_b32_e32 v69, v35
.LBB410_340:
	s_or_b32 exec_lo, exec_lo, s1
	s_delay_alu instid0(VALU_DEP_2) | instskip(SKIP_1) | instid1(VALU_DEP_2)
	v_dual_max_f32 v3, v49, v49 :: v_dual_max_f32 v6, v2, v2
	v_cmp_u_f16_e32 vcc_lo, v35, v35
	v_dual_mov_b32 v70, v69 :: v_dual_min_f32 v7, v6, v3
	s_delay_alu instid0(VALU_DEP_1) | instskip(NEXT) | instid1(VALU_DEP_1)
	v_dual_max_f32 v3, v6, v3 :: v_dual_cndmask_b32 v6, v7, v2
	v_cndmask_b32_e32 v3, v3, v2, vcc_lo
	s_delay_alu instid0(VALU_DEP_2) | instskip(NEXT) | instid1(VALU_DEP_2)
	v_cndmask_b32_e64 v6, v6, v49, s12
	v_cndmask_b32_e64 v3, v3, v49, s12
	s_delay_alu instid0(VALU_DEP_2) | instskip(NEXT) | instid1(VALU_DEP_2)
	v_cmp_class_f32_e64 s1, v6, 0x1f8
	v_cmp_neq_f32_e32 vcc_lo, v6, v3
	s_delay_alu instid0(VALU_DEP_2) | instskip(NEXT) | instid1(SALU_CYCLE_1)
	s_or_b32 s2, vcc_lo, s1
	s_and_saveexec_b32 s1, s2
	s_cbranch_execz .LBB410_342
; %bb.341:
	v_sub_f32_e32 v2, v6, v3
	s_mov_b32 s2, 0x3e9b6dac
	s_delay_alu instid0(VALU_DEP_1) | instskip(SKIP_1) | instid1(VALU_DEP_2)
	v_mul_f32_e32 v6, 0x3fb8aa3b, v2
	v_cmp_ngt_f32_e32 vcc_lo, 0xc2ce8ed0, v2
	v_fma_f32 v7, 0x3fb8aa3b, v2, -v6
	v_rndne_f32_e32 v13, v6
	s_delay_alu instid0(VALU_DEP_2) | instskip(NEXT) | instid1(VALU_DEP_2)
	v_fmamk_f32 v7, v2, 0x32a5705f, v7
	v_sub_f32_e32 v6, v6, v13
	s_delay_alu instid0(VALU_DEP_1) | instskip(SKIP_1) | instid1(VALU_DEP_2)
	v_add_f32_e32 v6, v6, v7
	v_cvt_i32_f32_e32 v7, v13
	v_exp_f32_e32 v6, v6
	s_waitcnt_depctr 0xfff
	v_ldexp_f32 v6, v6, v7
	s_delay_alu instid0(VALU_DEP_1) | instskip(SKIP_1) | instid1(VALU_DEP_2)
	v_cndmask_b32_e32 v6, 0, v6, vcc_lo
	v_cmp_nlt_f32_e32 vcc_lo, 0x42b17218, v2
	v_cndmask_b32_e32 v2, 0x7f800000, v6, vcc_lo
	s_delay_alu instid0(VALU_DEP_1) | instskip(NEXT) | instid1(VALU_DEP_1)
	v_add_f32_e32 v13, 1.0, v2
	v_cvt_f64_f32_e32 v[6:7], v13
	s_delay_alu instid0(VALU_DEP_1) | instskip(SKIP_1) | instid1(VALU_DEP_1)
	v_frexp_exp_i32_f64_e32 v6, v[6:7]
	v_frexp_mant_f32_e32 v7, v13
	v_cmp_gt_f32_e32 vcc_lo, 0x3f2aaaab, v7
	v_add_f32_e32 v7, -1.0, v13
	s_delay_alu instid0(VALU_DEP_1) | instskip(NEXT) | instid1(VALU_DEP_1)
	v_sub_f32_e32 v23, v7, v13
	v_add_f32_e32 v23, 1.0, v23
	v_subrev_co_ci_u32_e32 v6, vcc_lo, 0, v6, vcc_lo
	v_cmp_eq_f32_e32 vcc_lo, 0x7f800000, v2
	s_delay_alu instid0(VALU_DEP_2) | instskip(SKIP_1) | instid1(VALU_DEP_2)
	v_sub_nc_u32_e32 v22, 0, v6
	v_cvt_f32_i32_e32 v6, v6
	v_ldexp_f32 v13, v13, v22
	s_delay_alu instid0(VALU_DEP_1) | instskip(NEXT) | instid1(VALU_DEP_1)
	v_dual_sub_f32 v7, v2, v7 :: v_dual_add_f32 v24, 1.0, v13
	v_add_f32_e32 v7, v7, v23
	s_delay_alu instid0(VALU_DEP_2) | instskip(NEXT) | instid1(VALU_DEP_2)
	v_add_f32_e32 v23, -1.0, v24
	v_ldexp_f32 v7, v7, v22
	s_delay_alu instid0(VALU_DEP_2) | instskip(NEXT) | instid1(VALU_DEP_1)
	v_dual_add_f32 v22, -1.0, v13 :: v_dual_sub_f32 v23, v13, v23
	v_add_f32_e32 v25, 1.0, v22
	s_delay_alu instid0(VALU_DEP_2) | instskip(NEXT) | instid1(VALU_DEP_2)
	v_add_f32_e32 v23, v7, v23
	v_sub_f32_e32 v13, v13, v25
	s_delay_alu instid0(VALU_DEP_1) | instskip(NEXT) | instid1(VALU_DEP_1)
	v_add_f32_e32 v7, v7, v13
	v_add_f32_e32 v34, v22, v7
	s_delay_alu instid0(VALU_DEP_1) | instskip(NEXT) | instid1(VALU_DEP_1)
	v_dual_add_f32 v25, v24, v23 :: v_dual_sub_f32 v22, v22, v34
	v_rcp_f32_e32 v13, v25
	v_sub_f32_e32 v24, v24, v25
	s_waitcnt_depctr 0xfff
	v_mul_f32_e32 v35, v34, v13
	s_delay_alu instid0(VALU_DEP_1) | instskip(SKIP_1) | instid1(VALU_DEP_2)
	v_mul_f32_e32 v49, v25, v35
	v_add_f32_e32 v23, v23, v24
	v_fma_f32 v24, v35, v25, -v49
	s_delay_alu instid0(VALU_DEP_1) | instskip(NEXT) | instid1(VALU_DEP_1)
	v_fmac_f32_e32 v24, v35, v23
	v_add_f32_e32 v50, v49, v24
	s_delay_alu instid0(VALU_DEP_1) | instskip(NEXT) | instid1(VALU_DEP_1)
	v_sub_f32_e32 v51, v34, v50
	v_dual_sub_f32 v34, v34, v51 :: v_dual_add_f32 v7, v7, v22
	s_delay_alu instid0(VALU_DEP_1) | instskip(SKIP_1) | instid1(VALU_DEP_1)
	v_sub_f32_e32 v34, v34, v50
	v_sub_f32_e32 v22, v50, v49
	v_dual_sub_f32 v22, v22, v24 :: v_dual_add_f32 v7, v7, v34
	s_delay_alu instid0(VALU_DEP_1) | instskip(NEXT) | instid1(VALU_DEP_1)
	v_add_f32_e32 v7, v22, v7
	v_add_f32_e32 v22, v51, v7
	s_delay_alu instid0(VALU_DEP_1) | instskip(NEXT) | instid1(VALU_DEP_1)
	v_mul_f32_e32 v24, v13, v22
	v_mul_f32_e32 v34, v25, v24
	v_sub_f32_e32 v50, v51, v22
	s_delay_alu instid0(VALU_DEP_2) | instskip(NEXT) | instid1(VALU_DEP_1)
	v_fma_f32 v25, v24, v25, -v34
	v_fmac_f32_e32 v25, v24, v23
	s_delay_alu instid0(VALU_DEP_1) | instskip(NEXT) | instid1(VALU_DEP_1)
	v_add_f32_e32 v23, v34, v25
	v_sub_f32_e32 v49, v22, v23
	s_delay_alu instid0(VALU_DEP_1) | instskip(NEXT) | instid1(VALU_DEP_1)
	v_dual_sub_f32 v22, v22, v49 :: v_dual_add_f32 v7, v7, v50
	v_sub_f32_e32 v22, v22, v23
	s_delay_alu instid0(VALU_DEP_1) | instskip(SKIP_2) | instid1(VALU_DEP_1)
	v_add_f32_e32 v7, v7, v22
	v_add_f32_e32 v22, v35, v24
	v_sub_f32_e32 v34, v23, v34
	v_sub_f32_e32 v23, v34, v25
	s_delay_alu instid0(VALU_DEP_1) | instskip(NEXT) | instid1(VALU_DEP_4)
	v_add_f32_e32 v7, v23, v7
	v_sub_f32_e32 v23, v22, v35
	s_delay_alu instid0(VALU_DEP_2) | instskip(NEXT) | instid1(VALU_DEP_2)
	v_add_f32_e32 v7, v49, v7
	v_sub_f32_e32 v23, v24, v23
	s_delay_alu instid0(VALU_DEP_2) | instskip(NEXT) | instid1(VALU_DEP_1)
	v_mul_f32_e32 v7, v13, v7
	v_add_f32_e32 v7, v23, v7
	s_delay_alu instid0(VALU_DEP_1) | instskip(NEXT) | instid1(VALU_DEP_1)
	v_add_f32_e32 v13, v22, v7
	v_mul_f32_e32 v23, v13, v13
	s_delay_alu instid0(VALU_DEP_1) | instskip(SKIP_1) | instid1(VALU_DEP_1)
	v_fmaak_f32 v24, s2, v23, 0x3ecc95a3
	v_cmp_gt_f32_e64 s2, 0x33800000, |v2|
	s_or_b32 vcc_lo, vcc_lo, s2
	v_mul_f32_e32 v25, v13, v23
	s_delay_alu instid0(VALU_DEP_3) | instskip(SKIP_1) | instid1(VALU_DEP_2)
	v_fmaak_f32 v23, v23, v24, 0x3f2aaada
	v_ldexp_f32 v24, v13, 1
	v_mul_f32_e32 v23, v25, v23
	s_delay_alu instid0(VALU_DEP_1) | instskip(NEXT) | instid1(VALU_DEP_1)
	v_dual_sub_f32 v13, v13, v22 :: v_dual_add_f32 v22, v24, v23
	v_sub_f32_e32 v7, v7, v13
	s_delay_alu instid0(VALU_DEP_2) | instskip(NEXT) | instid1(VALU_DEP_2)
	v_sub_f32_e32 v13, v22, v24
	v_ldexp_f32 v7, v7, 1
	s_delay_alu instid0(VALU_DEP_2) | instskip(NEXT) | instid1(VALU_DEP_1)
	v_sub_f32_e32 v13, v23, v13
	v_add_f32_e32 v7, v7, v13
	s_delay_alu instid0(VALU_DEP_1) | instskip(SKIP_1) | instid1(VALU_DEP_2)
	v_add_f32_e32 v23, v22, v7
	v_mul_f32_e32 v25, 0x3f317218, v6
	v_sub_f32_e32 v22, v23, v22
	s_delay_alu instid0(VALU_DEP_2) | instskip(NEXT) | instid1(VALU_DEP_1)
	v_fma_f32 v24, 0x3f317218, v6, -v25
	v_dual_sub_f32 v7, v7, v22 :: v_dual_fmamk_f32 v6, v6, 0xb102e308, v24
	s_delay_alu instid0(VALU_DEP_1) | instskip(NEXT) | instid1(VALU_DEP_1)
	v_add_f32_e32 v13, v25, v6
	v_add_f32_e32 v24, v13, v23
	v_sub_f32_e32 v25, v13, v25
	s_delay_alu instid0(VALU_DEP_2) | instskip(NEXT) | instid1(VALU_DEP_1)
	v_sub_f32_e32 v34, v24, v13
	v_dual_sub_f32 v6, v6, v25 :: v_dual_sub_f32 v35, v24, v34
	s_delay_alu instid0(VALU_DEP_1) | instskip(NEXT) | instid1(VALU_DEP_2)
	v_dual_sub_f32 v22, v23, v34 :: v_dual_add_f32 v23, v6, v7
	v_sub_f32_e32 v13, v13, v35
	s_delay_alu instid0(VALU_DEP_1) | instskip(NEXT) | instid1(VALU_DEP_1)
	v_dual_add_f32 v13, v22, v13 :: v_dual_sub_f32 v22, v23, v6
	v_add_f32_e32 v13, v23, v13
	s_delay_alu instid0(VALU_DEP_2) | instskip(SKIP_1) | instid1(VALU_DEP_2)
	v_sub_f32_e32 v23, v23, v22
	v_sub_f32_e32 v7, v7, v22
	v_dual_add_f32 v25, v24, v13 :: v_dual_sub_f32 v6, v6, v23
	s_delay_alu instid0(VALU_DEP_1) | instskip(NEXT) | instid1(VALU_DEP_2)
	v_sub_f32_e32 v22, v25, v24
	v_add_f32_e32 v6, v7, v6
	s_delay_alu instid0(VALU_DEP_2) | instskip(NEXT) | instid1(VALU_DEP_1)
	v_sub_f32_e32 v7, v13, v22
	v_add_f32_e32 v6, v6, v7
	s_delay_alu instid0(VALU_DEP_1) | instskip(NEXT) | instid1(VALU_DEP_1)
	v_add_f32_e32 v6, v25, v6
	v_cndmask_b32_e32 v2, v6, v2, vcc_lo
	s_delay_alu instid0(VALU_DEP_1) | instskip(NEXT) | instid1(VALU_DEP_1)
	v_add_f32_e32 v2, v3, v2
	v_cvt_f16_f32_e32 v35, v2
	s_delay_alu instid0(VALU_DEP_1)
	v_cvt_f32_f16_e32 v2, v35
	v_mov_b32_e32 v70, v35
.LBB410_342:
	s_or_b32 exec_lo, exec_lo, s1
	s_delay_alu instid0(VALU_DEP_2) | instskip(SKIP_1) | instid1(VALU_DEP_3)
	v_dual_max_f32 v3, v20, v20 :: v_dual_max_f32 v6, v2, v2
	v_cmp_u_f16_e32 vcc_lo, v35, v35
	v_mov_b32_e32 v71, v70
	s_delay_alu instid0(VALU_DEP_3) | instskip(NEXT) | instid1(VALU_DEP_1)
	v_min_f32_e32 v7, v6, v3
	v_dual_max_f32 v3, v6, v3 :: v_dual_cndmask_b32 v6, v7, v2
	s_delay_alu instid0(VALU_DEP_1) | instskip(NEXT) | instid1(VALU_DEP_2)
	v_cndmask_b32_e32 v3, v3, v2, vcc_lo
	v_cndmask_b32_e64 v6, v6, v20, s13
	s_delay_alu instid0(VALU_DEP_2) | instskip(NEXT) | instid1(VALU_DEP_2)
	v_cndmask_b32_e64 v3, v3, v20, s13
	v_cmp_class_f32_e64 s1, v6, 0x1f8
	s_delay_alu instid0(VALU_DEP_2) | instskip(NEXT) | instid1(VALU_DEP_2)
	v_cmp_neq_f32_e32 vcc_lo, v6, v3
	s_or_b32 s2, vcc_lo, s1
	s_delay_alu instid0(SALU_CYCLE_1)
	s_and_saveexec_b32 s1, s2
	s_cbranch_execz .LBB410_344
; %bb.343:
	v_sub_f32_e32 v2, v6, v3
	s_mov_b32 s2, 0x3e9b6dac
	s_delay_alu instid0(VALU_DEP_1) | instskip(SKIP_1) | instid1(VALU_DEP_2)
	v_mul_f32_e32 v6, 0x3fb8aa3b, v2
	v_cmp_ngt_f32_e32 vcc_lo, 0xc2ce8ed0, v2
	v_fma_f32 v7, 0x3fb8aa3b, v2, -v6
	v_rndne_f32_e32 v13, v6
	s_delay_alu instid0(VALU_DEP_2) | instskip(NEXT) | instid1(VALU_DEP_2)
	v_fmamk_f32 v7, v2, 0x32a5705f, v7
	v_sub_f32_e32 v6, v6, v13
	s_delay_alu instid0(VALU_DEP_1) | instskip(SKIP_1) | instid1(VALU_DEP_2)
	v_add_f32_e32 v6, v6, v7
	v_cvt_i32_f32_e32 v7, v13
	v_exp_f32_e32 v6, v6
	s_waitcnt_depctr 0xfff
	v_ldexp_f32 v6, v6, v7
	s_delay_alu instid0(VALU_DEP_1) | instskip(SKIP_1) | instid1(VALU_DEP_2)
	v_cndmask_b32_e32 v6, 0, v6, vcc_lo
	v_cmp_nlt_f32_e32 vcc_lo, 0x42b17218, v2
	v_cndmask_b32_e32 v2, 0x7f800000, v6, vcc_lo
	s_delay_alu instid0(VALU_DEP_1) | instskip(NEXT) | instid1(VALU_DEP_1)
	v_add_f32_e32 v13, 1.0, v2
	v_cvt_f64_f32_e32 v[6:7], v13
	s_delay_alu instid0(VALU_DEP_1) | instskip(SKIP_1) | instid1(VALU_DEP_1)
	v_frexp_exp_i32_f64_e32 v6, v[6:7]
	v_frexp_mant_f32_e32 v7, v13
	v_cmp_gt_f32_e32 vcc_lo, 0x3f2aaaab, v7
	v_add_f32_e32 v7, -1.0, v13
	s_delay_alu instid0(VALU_DEP_1) | instskip(NEXT) | instid1(VALU_DEP_1)
	v_dual_sub_f32 v22, v7, v13 :: v_dual_sub_f32 v7, v2, v7
	v_add_f32_e32 v22, 1.0, v22
	v_subrev_co_ci_u32_e32 v6, vcc_lo, 0, v6, vcc_lo
	s_delay_alu instid0(VALU_DEP_1) | instskip(SKIP_1) | instid1(VALU_DEP_2)
	v_sub_nc_u32_e32 v20, 0, v6
	v_cvt_f32_i32_e32 v6, v6
	v_ldexp_f32 v13, v13, v20
	s_delay_alu instid0(VALU_DEP_1) | instskip(NEXT) | instid1(VALU_DEP_1)
	v_add_f32_e32 v23, 1.0, v13
	v_dual_add_f32 v7, v7, v22 :: v_dual_add_f32 v22, -1.0, v23
	s_delay_alu instid0(VALU_DEP_1) | instskip(SKIP_1) | instid1(VALU_DEP_3)
	v_ldexp_f32 v7, v7, v20
	v_add_f32_e32 v20, -1.0, v13
	v_sub_f32_e32 v22, v13, v22
	s_delay_alu instid0(VALU_DEP_2) | instskip(NEXT) | instid1(VALU_DEP_1)
	v_add_f32_e32 v24, 1.0, v20
	v_dual_add_f32 v22, v7, v22 :: v_dual_sub_f32 v13, v13, v24
	v_cmp_eq_f32_e32 vcc_lo, 0x7f800000, v2
	s_delay_alu instid0(VALU_DEP_2) | instskip(NEXT) | instid1(VALU_DEP_3)
	v_add_f32_e32 v24, v23, v22
	v_add_f32_e32 v7, v7, v13
	s_delay_alu instid0(VALU_DEP_2) | instskip(SKIP_1) | instid1(VALU_DEP_2)
	v_rcp_f32_e32 v13, v24
	v_sub_f32_e32 v23, v23, v24
	v_add_f32_e32 v25, v20, v7
	s_delay_alu instid0(VALU_DEP_2) | instskip(NEXT) | instid1(VALU_DEP_2)
	v_add_f32_e32 v22, v22, v23
	v_sub_f32_e32 v20, v20, v25
	s_waitcnt_depctr 0xfff
	v_dual_mul_f32 v34, v25, v13 :: v_dual_add_f32 v7, v7, v20
	s_delay_alu instid0(VALU_DEP_1) | instskip(NEXT) | instid1(VALU_DEP_1)
	v_mul_f32_e32 v35, v24, v34
	v_fma_f32 v23, v34, v24, -v35
	s_delay_alu instid0(VALU_DEP_1) | instskip(NEXT) | instid1(VALU_DEP_1)
	v_fmac_f32_e32 v23, v34, v22
	v_add_f32_e32 v49, v35, v23
	s_delay_alu instid0(VALU_DEP_1) | instskip(NEXT) | instid1(VALU_DEP_1)
	v_sub_f32_e32 v50, v25, v49
	v_sub_f32_e32 v25, v25, v50
	s_delay_alu instid0(VALU_DEP_1) | instskip(NEXT) | instid1(VALU_DEP_1)
	v_sub_f32_e32 v25, v25, v49
	v_dual_sub_f32 v20, v49, v35 :: v_dual_add_f32 v7, v7, v25
	s_delay_alu instid0(VALU_DEP_1) | instskip(NEXT) | instid1(VALU_DEP_1)
	v_sub_f32_e32 v20, v20, v23
	v_add_f32_e32 v7, v20, v7
	s_delay_alu instid0(VALU_DEP_1) | instskip(NEXT) | instid1(VALU_DEP_1)
	v_add_f32_e32 v20, v50, v7
	v_mul_f32_e32 v23, v13, v20
	s_delay_alu instid0(VALU_DEP_1) | instskip(SKIP_1) | instid1(VALU_DEP_2)
	v_mul_f32_e32 v25, v24, v23
	v_sub_f32_e32 v49, v50, v20
	v_fma_f32 v24, v23, v24, -v25
	s_delay_alu instid0(VALU_DEP_2) | instskip(NEXT) | instid1(VALU_DEP_2)
	v_add_f32_e32 v7, v7, v49
	v_fmac_f32_e32 v24, v23, v22
	s_delay_alu instid0(VALU_DEP_1) | instskip(NEXT) | instid1(VALU_DEP_1)
	v_add_f32_e32 v22, v25, v24
	v_sub_f32_e32 v25, v22, v25
	v_sub_f32_e32 v35, v20, v22
	s_delay_alu instid0(VALU_DEP_1) | instskip(NEXT) | instid1(VALU_DEP_1)
	v_sub_f32_e32 v20, v20, v35
	v_sub_f32_e32 v20, v20, v22
	s_delay_alu instid0(VALU_DEP_4) | instskip(NEXT) | instid1(VALU_DEP_2)
	v_sub_f32_e32 v22, v25, v24
	v_dual_add_f32 v7, v7, v20 :: v_dual_add_f32 v20, v34, v23
	s_delay_alu instid0(VALU_DEP_1) | instskip(NEXT) | instid1(VALU_DEP_1)
	v_dual_add_f32 v7, v22, v7 :: v_dual_sub_f32 v22, v20, v34
	v_add_f32_e32 v7, v35, v7
	s_delay_alu instid0(VALU_DEP_1) | instskip(NEXT) | instid1(VALU_DEP_1)
	v_dual_sub_f32 v22, v23, v22 :: v_dual_mul_f32 v7, v13, v7
	v_add_f32_e32 v7, v22, v7
	s_delay_alu instid0(VALU_DEP_1) | instskip(NEXT) | instid1(VALU_DEP_1)
	v_add_f32_e32 v13, v20, v7
	v_mul_f32_e32 v22, v13, v13
	s_delay_alu instid0(VALU_DEP_1) | instskip(SKIP_2) | instid1(VALU_DEP_3)
	v_fmaak_f32 v23, s2, v22, 0x3ecc95a3
	v_mul_f32_e32 v24, v13, v22
	v_cmp_gt_f32_e64 s2, 0x33800000, |v2|
	v_fmaak_f32 v22, v22, v23, 0x3f2aaada
	v_ldexp_f32 v23, v13, 1
	v_sub_f32_e32 v13, v13, v20
	s_delay_alu instid0(VALU_DEP_4) | instskip(NEXT) | instid1(VALU_DEP_1)
	s_or_b32 vcc_lo, vcc_lo, s2
	v_sub_f32_e32 v7, v7, v13
	s_delay_alu instid0(VALU_DEP_1) | instskip(SKIP_1) | instid1(VALU_DEP_1)
	v_ldexp_f32 v7, v7, 1
	v_mul_f32_e32 v22, v24, v22
	v_add_f32_e32 v20, v23, v22
	s_delay_alu instid0(VALU_DEP_1) | instskip(NEXT) | instid1(VALU_DEP_1)
	v_dual_mul_f32 v24, 0x3f317218, v6 :: v_dual_sub_f32 v13, v20, v23
	v_fma_f32 v23, 0x3f317218, v6, -v24
	s_delay_alu instid0(VALU_DEP_2) | instskip(NEXT) | instid1(VALU_DEP_1)
	v_sub_f32_e32 v13, v22, v13
	v_add_f32_e32 v7, v7, v13
	s_delay_alu instid0(VALU_DEP_1) | instskip(NEXT) | instid1(VALU_DEP_4)
	v_add_f32_e32 v22, v20, v7
	v_fmamk_f32 v6, v6, 0xb102e308, v23
	s_delay_alu instid0(VALU_DEP_1) | instskip(NEXT) | instid1(VALU_DEP_1)
	v_dual_sub_f32 v20, v22, v20 :: v_dual_add_f32 v13, v24, v6
	v_add_f32_e32 v23, v13, v22
	s_delay_alu instid0(VALU_DEP_1) | instskip(NEXT) | instid1(VALU_DEP_1)
	v_dual_sub_f32 v24, v13, v24 :: v_dual_sub_f32 v25, v23, v13
	v_dual_sub_f32 v7, v7, v20 :: v_dual_sub_f32 v20, v22, v25
	v_sub_f32_e32 v34, v23, v25
	s_delay_alu instid0(VALU_DEP_1) | instskip(NEXT) | instid1(VALU_DEP_1)
	v_dual_sub_f32 v6, v6, v24 :: v_dual_sub_f32 v13, v13, v34
	v_dual_add_f32 v22, v6, v7 :: v_dual_add_f32 v13, v20, v13
	s_delay_alu instid0(VALU_DEP_1) | instskip(NEXT) | instid1(VALU_DEP_2)
	v_sub_f32_e32 v20, v22, v6
	v_add_f32_e32 v13, v22, v13
	s_delay_alu instid0(VALU_DEP_2) | instskip(SKIP_1) | instid1(VALU_DEP_3)
	v_sub_f32_e32 v22, v22, v20
	v_sub_f32_e32 v7, v7, v20
	v_add_f32_e32 v24, v23, v13
	s_delay_alu instid0(VALU_DEP_3) | instskip(NEXT) | instid1(VALU_DEP_2)
	v_sub_f32_e32 v6, v6, v22
	v_sub_f32_e32 v20, v24, v23
	s_delay_alu instid0(VALU_DEP_1) | instskip(NEXT) | instid1(VALU_DEP_1)
	v_dual_add_f32 v6, v7, v6 :: v_dual_sub_f32 v7, v13, v20
	v_add_f32_e32 v6, v6, v7
	s_delay_alu instid0(VALU_DEP_1) | instskip(NEXT) | instid1(VALU_DEP_1)
	v_add_f32_e32 v6, v24, v6
	v_cndmask_b32_e32 v2, v6, v2, vcc_lo
	s_delay_alu instid0(VALU_DEP_1) | instskip(NEXT) | instid1(VALU_DEP_1)
	v_add_f32_e32 v2, v3, v2
	v_cvt_f16_f32_e32 v35, v2
	s_delay_alu instid0(VALU_DEP_1)
	v_cvt_f32_f16_e32 v2, v35
	v_mov_b32_e32 v71, v35
.LBB410_344:
	s_or_b32 exec_lo, exec_lo, s1
	s_delay_alu instid0(VALU_DEP_2) | instskip(SKIP_1) | instid1(VALU_DEP_2)
	v_dual_max_f32 v3, v48, v48 :: v_dual_max_f32 v6, v2, v2
	v_cmp_u_f16_e32 vcc_lo, v35, v35
	v_dual_mov_b32 v80, v71 :: v_dual_min_f32 v7, v6, v3
	s_delay_alu instid0(VALU_DEP_1) | instskip(NEXT) | instid1(VALU_DEP_1)
	v_dual_max_f32 v3, v6, v3 :: v_dual_cndmask_b32 v6, v7, v2
	v_cndmask_b32_e32 v3, v3, v2, vcc_lo
	s_delay_alu instid0(VALU_DEP_2) | instskip(NEXT) | instid1(VALU_DEP_2)
	v_cndmask_b32_e64 v6, v6, v48, s14
	v_cndmask_b32_e64 v3, v3, v48, s14
	s_delay_alu instid0(VALU_DEP_2) | instskip(NEXT) | instid1(VALU_DEP_2)
	v_cmp_class_f32_e64 s1, v6, 0x1f8
	v_cmp_neq_f32_e32 vcc_lo, v6, v3
	s_delay_alu instid0(VALU_DEP_2) | instskip(NEXT) | instid1(SALU_CYCLE_1)
	s_or_b32 s2, vcc_lo, s1
	s_and_saveexec_b32 s1, s2
	s_cbranch_execz .LBB410_346
; %bb.345:
	v_sub_f32_e32 v2, v6, v3
	s_mov_b32 s2, 0x3e9b6dac
	s_delay_alu instid0(VALU_DEP_1) | instskip(SKIP_1) | instid1(VALU_DEP_2)
	v_mul_f32_e32 v6, 0x3fb8aa3b, v2
	v_cmp_ngt_f32_e32 vcc_lo, 0xc2ce8ed0, v2
	v_fma_f32 v7, 0x3fb8aa3b, v2, -v6
	v_rndne_f32_e32 v13, v6
	s_delay_alu instid0(VALU_DEP_2) | instskip(NEXT) | instid1(VALU_DEP_2)
	v_fmamk_f32 v7, v2, 0x32a5705f, v7
	v_sub_f32_e32 v6, v6, v13
	s_delay_alu instid0(VALU_DEP_1) | instskip(SKIP_1) | instid1(VALU_DEP_2)
	v_add_f32_e32 v6, v6, v7
	v_cvt_i32_f32_e32 v7, v13
	v_exp_f32_e32 v6, v6
	s_waitcnt_depctr 0xfff
	v_ldexp_f32 v6, v6, v7
	s_delay_alu instid0(VALU_DEP_1) | instskip(SKIP_1) | instid1(VALU_DEP_2)
	v_cndmask_b32_e32 v6, 0, v6, vcc_lo
	v_cmp_nlt_f32_e32 vcc_lo, 0x42b17218, v2
	v_cndmask_b32_e32 v2, 0x7f800000, v6, vcc_lo
	s_delay_alu instid0(VALU_DEP_1) | instskip(NEXT) | instid1(VALU_DEP_1)
	v_add_f32_e32 v13, 1.0, v2
	v_cvt_f64_f32_e32 v[6:7], v13
	s_delay_alu instid0(VALU_DEP_1) | instskip(SKIP_1) | instid1(VALU_DEP_1)
	v_frexp_exp_i32_f64_e32 v6, v[6:7]
	v_frexp_mant_f32_e32 v7, v13
	v_cmp_gt_f32_e32 vcc_lo, 0x3f2aaaab, v7
	v_add_f32_e32 v7, -1.0, v13
	s_delay_alu instid0(VALU_DEP_1) | instskip(NEXT) | instid1(VALU_DEP_1)
	v_dual_sub_f32 v22, v7, v13 :: v_dual_sub_f32 v7, v2, v7
	v_add_f32_e32 v22, 1.0, v22
	v_subrev_co_ci_u32_e32 v6, vcc_lo, 0, v6, vcc_lo
	s_delay_alu instid0(VALU_DEP_1) | instskip(SKIP_1) | instid1(VALU_DEP_2)
	v_sub_nc_u32_e32 v20, 0, v6
	v_cvt_f32_i32_e32 v6, v6
	v_ldexp_f32 v13, v13, v20
	s_delay_alu instid0(VALU_DEP_1) | instskip(NEXT) | instid1(VALU_DEP_1)
	v_add_f32_e32 v23, 1.0, v13
	v_dual_add_f32 v7, v7, v22 :: v_dual_add_f32 v22, -1.0, v23
	s_delay_alu instid0(VALU_DEP_1) | instskip(SKIP_1) | instid1(VALU_DEP_3)
	v_ldexp_f32 v7, v7, v20
	v_add_f32_e32 v20, -1.0, v13
	v_sub_f32_e32 v22, v13, v22
	s_delay_alu instid0(VALU_DEP_2) | instskip(NEXT) | instid1(VALU_DEP_1)
	v_add_f32_e32 v24, 1.0, v20
	v_dual_add_f32 v22, v7, v22 :: v_dual_sub_f32 v13, v13, v24
	v_cmp_eq_f32_e32 vcc_lo, 0x7f800000, v2
	s_delay_alu instid0(VALU_DEP_2) | instskip(NEXT) | instid1(VALU_DEP_3)
	v_add_f32_e32 v24, v23, v22
	v_add_f32_e32 v7, v7, v13
	s_delay_alu instid0(VALU_DEP_2) | instskip(SKIP_1) | instid1(VALU_DEP_2)
	v_rcp_f32_e32 v13, v24
	v_sub_f32_e32 v23, v23, v24
	v_add_f32_e32 v25, v20, v7
	s_delay_alu instid0(VALU_DEP_2) | instskip(SKIP_2) | instid1(VALU_DEP_1)
	v_add_f32_e32 v22, v22, v23
	s_waitcnt_depctr 0xfff
	v_mul_f32_e32 v34, v25, v13
	v_mul_f32_e32 v35, v24, v34
	s_delay_alu instid0(VALU_DEP_1) | instskip(NEXT) | instid1(VALU_DEP_1)
	v_fma_f32 v23, v34, v24, -v35
	v_fmac_f32_e32 v23, v34, v22
	s_delay_alu instid0(VALU_DEP_1) | instskip(NEXT) | instid1(VALU_DEP_1)
	v_add_f32_e32 v48, v35, v23
	v_dual_sub_f32 v20, v20, v25 :: v_dual_sub_f32 v49, v25, v48
	s_delay_alu instid0(VALU_DEP_1) | instskip(NEXT) | instid1(VALU_DEP_1)
	v_sub_f32_e32 v25, v25, v49
	v_sub_f32_e32 v25, v25, v48
	s_delay_alu instid0(VALU_DEP_3) | instskip(NEXT) | instid1(VALU_DEP_1)
	v_dual_add_f32 v7, v7, v20 :: v_dual_sub_f32 v20, v48, v35
	v_dual_add_f32 v7, v7, v25 :: v_dual_sub_f32 v20, v20, v23
	s_delay_alu instid0(VALU_DEP_1) | instskip(NEXT) | instid1(VALU_DEP_1)
	v_add_f32_e32 v7, v20, v7
	v_add_f32_e32 v20, v49, v7
	s_delay_alu instid0(VALU_DEP_1) | instskip(NEXT) | instid1(VALU_DEP_1)
	v_mul_f32_e32 v23, v13, v20
	v_mul_f32_e32 v25, v24, v23
	s_delay_alu instid0(VALU_DEP_1) | instskip(NEXT) | instid1(VALU_DEP_1)
	v_fma_f32 v24, v23, v24, -v25
	v_fmac_f32_e32 v24, v23, v22
	s_delay_alu instid0(VALU_DEP_1) | instskip(NEXT) | instid1(VALU_DEP_1)
	v_add_f32_e32 v22, v25, v24
	v_sub_f32_e32 v25, v22, v25
	v_dual_sub_f32 v35, v20, v22 :: v_dual_sub_f32 v48, v49, v20
	s_delay_alu instid0(VALU_DEP_1) | instskip(NEXT) | instid1(VALU_DEP_1)
	v_dual_sub_f32 v20, v20, v35 :: v_dual_add_f32 v7, v7, v48
	v_sub_f32_e32 v20, v20, v22
	s_delay_alu instid0(VALU_DEP_1) | instskip(SKIP_1) | instid1(VALU_DEP_1)
	v_dual_add_f32 v7, v7, v20 :: v_dual_add_f32 v20, v34, v23
	v_sub_f32_e32 v22, v25, v24
	v_add_f32_e32 v7, v22, v7
	s_delay_alu instid0(VALU_DEP_1) | instskip(NEXT) | instid1(VALU_DEP_1)
	v_dual_add_f32 v7, v35, v7 :: v_dual_sub_f32 v22, v20, v34
	v_dual_mul_f32 v7, v13, v7 :: v_dual_sub_f32 v22, v23, v22
	s_delay_alu instid0(VALU_DEP_1) | instskip(NEXT) | instid1(VALU_DEP_1)
	v_add_f32_e32 v7, v22, v7
	v_add_f32_e32 v13, v20, v7
	s_delay_alu instid0(VALU_DEP_1) | instskip(NEXT) | instid1(VALU_DEP_1)
	v_mul_f32_e32 v22, v13, v13
	v_fmaak_f32 v23, s2, v22, 0x3ecc95a3
	v_mul_f32_e32 v24, v13, v22
	v_cmp_gt_f32_e64 s2, 0x33800000, |v2|
	s_delay_alu instid0(VALU_DEP_3) | instskip(SKIP_2) | instid1(VALU_DEP_4)
	v_fmaak_f32 v22, v22, v23, 0x3f2aaada
	v_ldexp_f32 v23, v13, 1
	v_sub_f32_e32 v13, v13, v20
	s_or_b32 vcc_lo, vcc_lo, s2
	s_delay_alu instid0(VALU_DEP_1) | instskip(NEXT) | instid1(VALU_DEP_1)
	v_dual_sub_f32 v7, v7, v13 :: v_dual_mul_f32 v22, v24, v22
	v_ldexp_f32 v7, v7, 1
	s_delay_alu instid0(VALU_DEP_2) | instskip(NEXT) | instid1(VALU_DEP_1)
	v_add_f32_e32 v20, v23, v22
	v_dual_mul_f32 v24, 0x3f317218, v6 :: v_dual_sub_f32 v13, v20, v23
	s_delay_alu instid0(VALU_DEP_1) | instskip(NEXT) | instid1(VALU_DEP_2)
	v_fma_f32 v23, 0x3f317218, v6, -v24
	v_sub_f32_e32 v13, v22, v13
	s_delay_alu instid0(VALU_DEP_1) | instskip(NEXT) | instid1(VALU_DEP_1)
	v_add_f32_e32 v7, v7, v13
	v_add_f32_e32 v22, v20, v7
	s_delay_alu instid0(VALU_DEP_4) | instskip(NEXT) | instid1(VALU_DEP_1)
	v_fmamk_f32 v6, v6, 0xb102e308, v23
	v_dual_sub_f32 v20, v22, v20 :: v_dual_add_f32 v13, v24, v6
	s_delay_alu instid0(VALU_DEP_1) | instskip(NEXT) | instid1(VALU_DEP_2)
	v_sub_f32_e32 v7, v7, v20
	v_add_f32_e32 v23, v13, v22
	s_delay_alu instid0(VALU_DEP_1) | instskip(NEXT) | instid1(VALU_DEP_1)
	v_sub_f32_e32 v25, v23, v13
	v_sub_f32_e32 v34, v23, v25
	;; [unrolled: 1-line block ×4, first 2 shown]
	s_delay_alu instid0(VALU_DEP_3) | instskip(NEXT) | instid1(VALU_DEP_1)
	v_sub_f32_e32 v13, v13, v34
	v_dual_add_f32 v13, v20, v13 :: v_dual_sub_f32 v6, v6, v24
	s_delay_alu instid0(VALU_DEP_1) | instskip(NEXT) | instid1(VALU_DEP_1)
	v_add_f32_e32 v22, v6, v7
	v_sub_f32_e32 v20, v22, v6
	s_delay_alu instid0(VALU_DEP_1) | instskip(NEXT) | instid1(VALU_DEP_4)
	v_sub_f32_e32 v7, v7, v20
	v_add_f32_e32 v13, v22, v13
	v_sub_f32_e32 v22, v22, v20
	s_delay_alu instid0(VALU_DEP_2) | instskip(NEXT) | instid1(VALU_DEP_2)
	v_add_f32_e32 v24, v23, v13
	v_sub_f32_e32 v6, v6, v22
	s_delay_alu instid0(VALU_DEP_2) | instskip(NEXT) | instid1(VALU_DEP_1)
	v_sub_f32_e32 v20, v24, v23
	v_dual_add_f32 v6, v7, v6 :: v_dual_sub_f32 v7, v13, v20
	s_delay_alu instid0(VALU_DEP_1) | instskip(NEXT) | instid1(VALU_DEP_1)
	v_add_f32_e32 v6, v6, v7
	v_add_f32_e32 v6, v24, v6
	s_delay_alu instid0(VALU_DEP_1) | instskip(NEXT) | instid1(VALU_DEP_1)
	v_cndmask_b32_e32 v2, v6, v2, vcc_lo
	v_add_f32_e32 v2, v3, v2
	s_delay_alu instid0(VALU_DEP_1) | instskip(NEXT) | instid1(VALU_DEP_1)
	v_cvt_f16_f32_e32 v35, v2
	v_cvt_f32_f16_e32 v2, v35
	v_mov_b32_e32 v80, v35
.LBB410_346:
	s_or_b32 exec_lo, exec_lo, s1
	s_delay_alu instid0(VALU_DEP_2) | instskip(SKIP_1) | instid1(VALU_DEP_3)
	v_dual_max_f32 v3, v21, v21 :: v_dual_max_f32 v6, v2, v2
	v_cmp_u_f16_e32 vcc_lo, v35, v35
	v_mov_b32_e32 v81, v80
	s_delay_alu instid0(VALU_DEP_3) | instskip(NEXT) | instid1(VALU_DEP_1)
	v_min_f32_e32 v7, v6, v3
	v_dual_max_f32 v3, v6, v3 :: v_dual_cndmask_b32 v6, v7, v2
	s_delay_alu instid0(VALU_DEP_1) | instskip(NEXT) | instid1(VALU_DEP_2)
	v_cndmask_b32_e32 v3, v3, v2, vcc_lo
	v_cndmask_b32_e64 v6, v6, v21, s15
	s_delay_alu instid0(VALU_DEP_2) | instskip(NEXT) | instid1(VALU_DEP_2)
	v_cndmask_b32_e64 v3, v3, v21, s15
	v_cmp_class_f32_e64 s1, v6, 0x1f8
	s_delay_alu instid0(VALU_DEP_2) | instskip(NEXT) | instid1(VALU_DEP_2)
	v_cmp_neq_f32_e32 vcc_lo, v6, v3
	s_or_b32 s2, vcc_lo, s1
	s_delay_alu instid0(SALU_CYCLE_1)
	s_and_saveexec_b32 s1, s2
	s_cbranch_execz .LBB410_348
; %bb.347:
	v_sub_f32_e32 v2, v6, v3
	s_mov_b32 s2, 0x3e9b6dac
	s_delay_alu instid0(VALU_DEP_1) | instskip(SKIP_1) | instid1(VALU_DEP_2)
	v_mul_f32_e32 v6, 0x3fb8aa3b, v2
	v_cmp_ngt_f32_e32 vcc_lo, 0xc2ce8ed0, v2
	v_fma_f32 v7, 0x3fb8aa3b, v2, -v6
	v_rndne_f32_e32 v13, v6
	s_delay_alu instid0(VALU_DEP_2) | instskip(NEXT) | instid1(VALU_DEP_2)
	v_fmamk_f32 v7, v2, 0x32a5705f, v7
	v_sub_f32_e32 v6, v6, v13
	s_delay_alu instid0(VALU_DEP_1) | instskip(SKIP_1) | instid1(VALU_DEP_2)
	v_add_f32_e32 v6, v6, v7
	v_cvt_i32_f32_e32 v7, v13
	v_exp_f32_e32 v6, v6
	s_waitcnt_depctr 0xfff
	v_ldexp_f32 v6, v6, v7
	s_delay_alu instid0(VALU_DEP_1) | instskip(SKIP_1) | instid1(VALU_DEP_2)
	v_cndmask_b32_e32 v6, 0, v6, vcc_lo
	v_cmp_nlt_f32_e32 vcc_lo, 0x42b17218, v2
	v_cndmask_b32_e32 v2, 0x7f800000, v6, vcc_lo
	s_delay_alu instid0(VALU_DEP_1) | instskip(NEXT) | instid1(VALU_DEP_1)
	v_add_f32_e32 v13, 1.0, v2
	v_cvt_f64_f32_e32 v[6:7], v13
	s_delay_alu instid0(VALU_DEP_1) | instskip(SKIP_1) | instid1(VALU_DEP_1)
	v_frexp_exp_i32_f64_e32 v6, v[6:7]
	v_frexp_mant_f32_e32 v7, v13
	v_cmp_gt_f32_e32 vcc_lo, 0x3f2aaaab, v7
	v_add_f32_e32 v7, -1.0, v13
	s_delay_alu instid0(VALU_DEP_1) | instskip(NEXT) | instid1(VALU_DEP_1)
	v_sub_f32_e32 v21, v7, v13
	v_add_f32_e32 v21, 1.0, v21
	v_subrev_co_ci_u32_e32 v6, vcc_lo, 0, v6, vcc_lo
	s_delay_alu instid0(VALU_DEP_1) | instskip(SKIP_1) | instid1(VALU_DEP_2)
	v_sub_nc_u32_e32 v20, 0, v6
	v_cvt_f32_i32_e32 v6, v6
	v_ldexp_f32 v13, v13, v20
	s_delay_alu instid0(VALU_DEP_1) | instskip(NEXT) | instid1(VALU_DEP_1)
	v_dual_sub_f32 v7, v2, v7 :: v_dual_add_f32 v22, 1.0, v13
	v_add_f32_e32 v7, v7, v21
	v_cmp_eq_f32_e32 vcc_lo, 0x7f800000, v2
	s_delay_alu instid0(VALU_DEP_3) | instskip(NEXT) | instid1(VALU_DEP_3)
	v_add_f32_e32 v21, -1.0, v22
	v_ldexp_f32 v7, v7, v20
	v_add_f32_e32 v20, -1.0, v13
	s_delay_alu instid0(VALU_DEP_3) | instskip(NEXT) | instid1(VALU_DEP_2)
	v_sub_f32_e32 v21, v13, v21
	v_add_f32_e32 v23, 1.0, v20
	s_delay_alu instid0(VALU_DEP_2) | instskip(NEXT) | instid1(VALU_DEP_2)
	v_add_f32_e32 v21, v7, v21
	v_sub_f32_e32 v13, v13, v23
	s_delay_alu instid0(VALU_DEP_1) | instskip(NEXT) | instid1(VALU_DEP_1)
	v_add_f32_e32 v7, v7, v13
	v_dual_add_f32 v24, v20, v7 :: v_dual_add_f32 v23, v22, v21
	s_delay_alu instid0(VALU_DEP_1) | instskip(NEXT) | instid1(VALU_DEP_2)
	v_sub_f32_e32 v20, v20, v24
	v_rcp_f32_e32 v13, v23
	v_sub_f32_e32 v22, v22, v23
	s_delay_alu instid0(VALU_DEP_1) | instskip(SKIP_2) | instid1(VALU_DEP_1)
	v_add_f32_e32 v21, v21, v22
	s_waitcnt_depctr 0xfff
	v_mul_f32_e32 v25, v24, v13
	v_mul_f32_e32 v34, v23, v25
	s_delay_alu instid0(VALU_DEP_1) | instskip(NEXT) | instid1(VALU_DEP_1)
	v_fma_f32 v22, v25, v23, -v34
	v_fmac_f32_e32 v22, v25, v21
	s_delay_alu instid0(VALU_DEP_1) | instskip(NEXT) | instid1(VALU_DEP_1)
	v_add_f32_e32 v35, v34, v22
	v_sub_f32_e32 v48, v24, v35
	s_delay_alu instid0(VALU_DEP_1) | instskip(SKIP_2) | instid1(VALU_DEP_3)
	v_sub_f32_e32 v24, v24, v48
	v_add_f32_e32 v7, v7, v20
	v_sub_f32_e32 v20, v35, v34
	v_sub_f32_e32 v24, v24, v35
	s_delay_alu instid0(VALU_DEP_1) | instskip(NEXT) | instid1(VALU_DEP_1)
	v_dual_sub_f32 v20, v20, v22 :: v_dual_add_f32 v7, v7, v24
	v_add_f32_e32 v7, v20, v7
	s_delay_alu instid0(VALU_DEP_1) | instskip(NEXT) | instid1(VALU_DEP_1)
	v_add_f32_e32 v20, v48, v7
	v_mul_f32_e32 v22, v13, v20
	s_delay_alu instid0(VALU_DEP_1) | instskip(NEXT) | instid1(VALU_DEP_1)
	v_dual_sub_f32 v35, v48, v20 :: v_dual_mul_f32 v24, v23, v22
	v_add_f32_e32 v7, v7, v35
	s_delay_alu instid0(VALU_DEP_2) | instskip(NEXT) | instid1(VALU_DEP_1)
	v_fma_f32 v23, v22, v23, -v24
	v_fmac_f32_e32 v23, v22, v21
	s_delay_alu instid0(VALU_DEP_1) | instskip(NEXT) | instid1(VALU_DEP_1)
	v_add_f32_e32 v21, v24, v23
	v_sub_f32_e32 v34, v20, v21
	s_delay_alu instid0(VALU_DEP_1) | instskip(NEXT) | instid1(VALU_DEP_1)
	v_sub_f32_e32 v20, v20, v34
	v_sub_f32_e32 v20, v20, v21
	s_delay_alu instid0(VALU_DEP_1) | instskip(SKIP_1) | instid1(VALU_DEP_1)
	v_dual_add_f32 v7, v7, v20 :: v_dual_add_f32 v20, v25, v22
	v_sub_f32_e32 v24, v21, v24
	v_sub_f32_e32 v21, v24, v23
	s_delay_alu instid0(VALU_DEP_1) | instskip(NEXT) | instid1(VALU_DEP_4)
	v_add_f32_e32 v7, v21, v7
	v_sub_f32_e32 v21, v20, v25
	s_delay_alu instid0(VALU_DEP_2) | instskip(NEXT) | instid1(VALU_DEP_2)
	v_add_f32_e32 v7, v34, v7
	v_sub_f32_e32 v21, v22, v21
	s_delay_alu instid0(VALU_DEP_2) | instskip(NEXT) | instid1(VALU_DEP_1)
	v_mul_f32_e32 v7, v13, v7
	v_add_f32_e32 v7, v21, v7
	s_delay_alu instid0(VALU_DEP_1) | instskip(NEXT) | instid1(VALU_DEP_1)
	v_add_f32_e32 v13, v20, v7
	v_mul_f32_e32 v21, v13, v13
	s_delay_alu instid0(VALU_DEP_1) | instskip(SKIP_2) | instid1(VALU_DEP_3)
	v_fmaak_f32 v22, s2, v21, 0x3ecc95a3
	v_mul_f32_e32 v23, v13, v21
	v_cmp_gt_f32_e64 s2, 0x33800000, |v2|
	v_fmaak_f32 v21, v21, v22, 0x3f2aaada
	v_ldexp_f32 v22, v13, 1
	s_delay_alu instid0(VALU_DEP_3) | instskip(SKIP_1) | instid1(VALU_DEP_3)
	s_or_b32 vcc_lo, vcc_lo, s2
	v_sub_f32_e32 v13, v13, v20
	v_mul_f32_e32 v21, v23, v21
	s_delay_alu instid0(VALU_DEP_2) | instskip(NEXT) | instid1(VALU_DEP_2)
	v_sub_f32_e32 v7, v7, v13
	v_add_f32_e32 v20, v22, v21
	s_delay_alu instid0(VALU_DEP_2) | instskip(NEXT) | instid1(VALU_DEP_2)
	v_ldexp_f32 v7, v7, 1
	v_sub_f32_e32 v13, v20, v22
	s_delay_alu instid0(VALU_DEP_1) | instskip(NEXT) | instid1(VALU_DEP_1)
	v_sub_f32_e32 v13, v21, v13
	v_add_f32_e32 v7, v7, v13
	s_delay_alu instid0(VALU_DEP_1) | instskip(NEXT) | instid1(VALU_DEP_1)
	v_add_f32_e32 v21, v20, v7
	v_dual_mul_f32 v23, 0x3f317218, v6 :: v_dual_sub_f32 v20, v21, v20
	s_delay_alu instid0(VALU_DEP_1) | instskip(NEXT) | instid1(VALU_DEP_1)
	v_fma_f32 v22, 0x3f317218, v6, -v23
	v_dual_sub_f32 v7, v7, v20 :: v_dual_fmamk_f32 v6, v6, 0xb102e308, v22
	s_delay_alu instid0(VALU_DEP_1) | instskip(NEXT) | instid1(VALU_DEP_1)
	v_add_f32_e32 v13, v23, v6
	v_add_f32_e32 v22, v13, v21
	s_delay_alu instid0(VALU_DEP_1) | instskip(NEXT) | instid1(VALU_DEP_1)
	v_dual_sub_f32 v23, v13, v23 :: v_dual_sub_f32 v24, v22, v13
	v_sub_f32_e32 v6, v6, v23
	s_delay_alu instid0(VALU_DEP_2) | instskip(NEXT) | instid1(VALU_DEP_2)
	v_sub_f32_e32 v25, v22, v24
	v_dual_sub_f32 v20, v21, v24 :: v_dual_add_f32 v21, v6, v7
	s_delay_alu instid0(VALU_DEP_2) | instskip(NEXT) | instid1(VALU_DEP_1)
	v_sub_f32_e32 v13, v13, v25
	v_dual_add_f32 v13, v20, v13 :: v_dual_sub_f32 v20, v21, v6
	s_delay_alu instid0(VALU_DEP_1) | instskip(NEXT) | instid1(VALU_DEP_2)
	v_add_f32_e32 v13, v21, v13
	v_sub_f32_e32 v21, v21, v20
	v_sub_f32_e32 v7, v7, v20
	s_delay_alu instid0(VALU_DEP_3) | instskip(NEXT) | instid1(VALU_DEP_3)
	v_add_f32_e32 v23, v22, v13
	v_sub_f32_e32 v6, v6, v21
	s_delay_alu instid0(VALU_DEP_2) | instskip(NEXT) | instid1(VALU_DEP_1)
	v_sub_f32_e32 v20, v23, v22
	v_dual_add_f32 v6, v7, v6 :: v_dual_sub_f32 v7, v13, v20
	s_delay_alu instid0(VALU_DEP_1) | instskip(NEXT) | instid1(VALU_DEP_1)
	v_add_f32_e32 v6, v6, v7
	v_add_f32_e32 v6, v23, v6
	s_delay_alu instid0(VALU_DEP_1) | instskip(NEXT) | instid1(VALU_DEP_1)
	v_cndmask_b32_e32 v2, v6, v2, vcc_lo
	v_add_f32_e32 v2, v3, v2
	s_delay_alu instid0(VALU_DEP_1) | instskip(NEXT) | instid1(VALU_DEP_1)
	v_cvt_f16_f32_e32 v35, v2
	v_cvt_f32_f16_e32 v2, v35
	v_mov_b32_e32 v81, v35
.LBB410_348:
	s_or_b32 exec_lo, exec_lo, s1
	s_delay_alu instid0(VALU_DEP_2) | instskip(SKIP_1) | instid1(VALU_DEP_2)
	v_dual_max_f32 v3, v39, v39 :: v_dual_max_f32 v6, v2, v2
	v_cmp_u_f16_e32 vcc_lo, v35, v35
	v_dual_mov_b32 v82, v81 :: v_dual_min_f32 v7, v6, v3
	s_delay_alu instid0(VALU_DEP_1) | instskip(NEXT) | instid1(VALU_DEP_1)
	v_dual_max_f32 v3, v6, v3 :: v_dual_cndmask_b32 v6, v7, v2
	v_cndmask_b32_e32 v3, v3, v2, vcc_lo
	s_delay_alu instid0(VALU_DEP_2) | instskip(NEXT) | instid1(VALU_DEP_2)
	v_cndmask_b32_e64 v6, v6, v39, s16
	v_cndmask_b32_e64 v3, v3, v39, s16
	s_delay_alu instid0(VALU_DEP_2) | instskip(NEXT) | instid1(VALU_DEP_2)
	v_cmp_class_f32_e64 s1, v6, 0x1f8
	v_cmp_neq_f32_e32 vcc_lo, v6, v3
	s_delay_alu instid0(VALU_DEP_2) | instskip(NEXT) | instid1(SALU_CYCLE_1)
	s_or_b32 s2, vcc_lo, s1
	s_and_saveexec_b32 s1, s2
	s_cbranch_execz .LBB410_350
; %bb.349:
	v_sub_f32_e32 v2, v6, v3
	s_mov_b32 s2, 0x3e9b6dac
	s_delay_alu instid0(VALU_DEP_1) | instskip(SKIP_1) | instid1(VALU_DEP_2)
	v_mul_f32_e32 v6, 0x3fb8aa3b, v2
	v_cmp_ngt_f32_e32 vcc_lo, 0xc2ce8ed0, v2
	v_fma_f32 v7, 0x3fb8aa3b, v2, -v6
	v_rndne_f32_e32 v13, v6
	s_delay_alu instid0(VALU_DEP_2) | instskip(NEXT) | instid1(VALU_DEP_2)
	v_fmamk_f32 v7, v2, 0x32a5705f, v7
	v_sub_f32_e32 v6, v6, v13
	s_delay_alu instid0(VALU_DEP_1) | instskip(SKIP_1) | instid1(VALU_DEP_2)
	v_add_f32_e32 v6, v6, v7
	v_cvt_i32_f32_e32 v7, v13
	v_exp_f32_e32 v6, v6
	s_waitcnt_depctr 0xfff
	v_ldexp_f32 v6, v6, v7
	s_delay_alu instid0(VALU_DEP_1) | instskip(SKIP_1) | instid1(VALU_DEP_2)
	v_cndmask_b32_e32 v6, 0, v6, vcc_lo
	v_cmp_nlt_f32_e32 vcc_lo, 0x42b17218, v2
	v_cndmask_b32_e32 v2, 0x7f800000, v6, vcc_lo
	s_delay_alu instid0(VALU_DEP_1) | instskip(NEXT) | instid1(VALU_DEP_1)
	v_add_f32_e32 v13, 1.0, v2
	v_cvt_f64_f32_e32 v[6:7], v13
	s_delay_alu instid0(VALU_DEP_1) | instskip(SKIP_1) | instid1(VALU_DEP_1)
	v_frexp_exp_i32_f64_e32 v6, v[6:7]
	v_frexp_mant_f32_e32 v7, v13
	v_cmp_gt_f32_e32 vcc_lo, 0x3f2aaaab, v7
	v_add_f32_e32 v7, -1.0, v13
	s_delay_alu instid0(VALU_DEP_1) | instskip(NEXT) | instid1(VALU_DEP_1)
	v_sub_f32_e32 v21, v7, v13
	v_add_f32_e32 v21, 1.0, v21
	v_subrev_co_ci_u32_e32 v6, vcc_lo, 0, v6, vcc_lo
	s_delay_alu instid0(VALU_DEP_1) | instskip(SKIP_1) | instid1(VALU_DEP_2)
	v_sub_nc_u32_e32 v20, 0, v6
	v_cvt_f32_i32_e32 v6, v6
	v_ldexp_f32 v13, v13, v20
	s_delay_alu instid0(VALU_DEP_1) | instskip(NEXT) | instid1(VALU_DEP_1)
	v_dual_sub_f32 v7, v2, v7 :: v_dual_add_f32 v22, 1.0, v13
	v_add_f32_e32 v7, v7, v21
	v_cmp_eq_f32_e32 vcc_lo, 0x7f800000, v2
	s_delay_alu instid0(VALU_DEP_3) | instskip(NEXT) | instid1(VALU_DEP_3)
	v_add_f32_e32 v21, -1.0, v22
	v_ldexp_f32 v7, v7, v20
	v_add_f32_e32 v20, -1.0, v13
	s_delay_alu instid0(VALU_DEP_3) | instskip(NEXT) | instid1(VALU_DEP_2)
	v_sub_f32_e32 v21, v13, v21
	v_add_f32_e32 v23, 1.0, v20
	s_delay_alu instid0(VALU_DEP_2) | instskip(NEXT) | instid1(VALU_DEP_2)
	v_add_f32_e32 v21, v7, v21
	v_sub_f32_e32 v13, v13, v23
	s_delay_alu instid0(VALU_DEP_1) | instskip(NEXT) | instid1(VALU_DEP_1)
	v_add_f32_e32 v7, v7, v13
	v_dual_add_f32 v24, v20, v7 :: v_dual_add_f32 v23, v22, v21
	s_delay_alu instid0(VALU_DEP_1) | instskip(NEXT) | instid1(VALU_DEP_2)
	v_sub_f32_e32 v20, v20, v24
	v_rcp_f32_e32 v13, v23
	v_sub_f32_e32 v22, v22, v23
	s_delay_alu instid0(VALU_DEP_1) | instskip(SKIP_2) | instid1(VALU_DEP_1)
	v_add_f32_e32 v21, v21, v22
	s_waitcnt_depctr 0xfff
	v_mul_f32_e32 v25, v24, v13
	v_mul_f32_e32 v34, v23, v25
	s_delay_alu instid0(VALU_DEP_1) | instskip(NEXT) | instid1(VALU_DEP_1)
	v_fma_f32 v22, v25, v23, -v34
	v_fmac_f32_e32 v22, v25, v21
	s_delay_alu instid0(VALU_DEP_1) | instskip(NEXT) | instid1(VALU_DEP_1)
	v_add_f32_e32 v35, v34, v22
	v_sub_f32_e32 v39, v24, v35
	s_delay_alu instid0(VALU_DEP_1) | instskip(SKIP_1) | instid1(VALU_DEP_2)
	v_dual_sub_f32 v24, v24, v39 :: v_dual_add_f32 v7, v7, v20
	v_sub_f32_e32 v20, v35, v34
	v_sub_f32_e32 v24, v24, v35
	s_delay_alu instid0(VALU_DEP_1) | instskip(NEXT) | instid1(VALU_DEP_1)
	v_dual_sub_f32 v20, v20, v22 :: v_dual_add_f32 v7, v7, v24
	v_add_f32_e32 v7, v20, v7
	s_delay_alu instid0(VALU_DEP_1) | instskip(NEXT) | instid1(VALU_DEP_1)
	v_add_f32_e32 v20, v39, v7
	v_mul_f32_e32 v22, v13, v20
	s_delay_alu instid0(VALU_DEP_1) | instskip(NEXT) | instid1(VALU_DEP_1)
	v_mul_f32_e32 v24, v23, v22
	v_fma_f32 v23, v22, v23, -v24
	s_delay_alu instid0(VALU_DEP_1) | instskip(NEXT) | instid1(VALU_DEP_1)
	v_fmac_f32_e32 v23, v22, v21
	v_add_f32_e32 v21, v24, v23
	s_delay_alu instid0(VALU_DEP_1) | instskip(NEXT) | instid1(VALU_DEP_1)
	v_dual_sub_f32 v35, v39, v20 :: v_dual_sub_f32 v34, v20, v21
	v_sub_f32_e32 v20, v20, v34
	s_delay_alu instid0(VALU_DEP_1) | instskip(NEXT) | instid1(VALU_DEP_1)
	v_dual_sub_f32 v20, v20, v21 :: v_dual_add_f32 v7, v7, v35
	v_dual_add_f32 v7, v7, v20 :: v_dual_add_f32 v20, v25, v22
	v_sub_f32_e32 v24, v21, v24
	s_delay_alu instid0(VALU_DEP_1) | instskip(NEXT) | instid1(VALU_DEP_1)
	v_sub_f32_e32 v21, v24, v23
	v_add_f32_e32 v7, v21, v7
	s_delay_alu instid0(VALU_DEP_4) | instskip(NEXT) | instid1(VALU_DEP_2)
	v_sub_f32_e32 v21, v20, v25
	v_add_f32_e32 v7, v34, v7
	s_delay_alu instid0(VALU_DEP_2) | instskip(NEXT) | instid1(VALU_DEP_2)
	v_sub_f32_e32 v21, v22, v21
	v_mul_f32_e32 v7, v13, v7
	s_delay_alu instid0(VALU_DEP_1) | instskip(NEXT) | instid1(VALU_DEP_1)
	v_add_f32_e32 v7, v21, v7
	v_add_f32_e32 v13, v20, v7
	s_delay_alu instid0(VALU_DEP_1) | instskip(NEXT) | instid1(VALU_DEP_1)
	v_mul_f32_e32 v21, v13, v13
	v_fmaak_f32 v22, s2, v21, 0x3ecc95a3
	v_mul_f32_e32 v23, v13, v21
	v_cmp_gt_f32_e64 s2, 0x33800000, |v2|
	s_delay_alu instid0(VALU_DEP_3) | instskip(SKIP_1) | instid1(VALU_DEP_3)
	v_fmaak_f32 v21, v21, v22, 0x3f2aaada
	v_ldexp_f32 v22, v13, 1
	s_or_b32 vcc_lo, vcc_lo, s2
	v_sub_f32_e32 v13, v13, v20
	s_delay_alu instid0(VALU_DEP_3) | instskip(NEXT) | instid1(VALU_DEP_2)
	v_mul_f32_e32 v21, v23, v21
	v_sub_f32_e32 v7, v7, v13
	s_delay_alu instid0(VALU_DEP_2) | instskip(NEXT) | instid1(VALU_DEP_2)
	v_add_f32_e32 v20, v22, v21
	v_ldexp_f32 v7, v7, 1
	s_delay_alu instid0(VALU_DEP_2) | instskip(NEXT) | instid1(VALU_DEP_1)
	v_sub_f32_e32 v13, v20, v22
	v_sub_f32_e32 v13, v21, v13
	s_delay_alu instid0(VALU_DEP_1) | instskip(NEXT) | instid1(VALU_DEP_1)
	v_add_f32_e32 v7, v7, v13
	v_add_f32_e32 v21, v20, v7
	s_delay_alu instid0(VALU_DEP_1) | instskip(NEXT) | instid1(VALU_DEP_1)
	v_dual_mul_f32 v23, 0x3f317218, v6 :: v_dual_sub_f32 v20, v21, v20
	v_fma_f32 v22, 0x3f317218, v6, -v23
	s_delay_alu instid0(VALU_DEP_1) | instskip(NEXT) | instid1(VALU_DEP_1)
	v_dual_sub_f32 v7, v7, v20 :: v_dual_fmamk_f32 v6, v6, 0xb102e308, v22
	v_add_f32_e32 v13, v23, v6
	s_delay_alu instid0(VALU_DEP_1) | instskip(NEXT) | instid1(VALU_DEP_1)
	v_add_f32_e32 v22, v13, v21
	v_sub_f32_e32 v24, v22, v13
	s_delay_alu instid0(VALU_DEP_1) | instskip(SKIP_2) | instid1(VALU_DEP_1)
	v_sub_f32_e32 v20, v21, v24
	v_sub_f32_e32 v23, v13, v23
	;; [unrolled: 1-line block ×3, first 2 shown]
	v_dual_sub_f32 v6, v6, v23 :: v_dual_sub_f32 v13, v13, v25
	s_delay_alu instid0(VALU_DEP_1) | instskip(NEXT) | instid1(VALU_DEP_1)
	v_add_f32_e32 v21, v6, v7
	v_dual_add_f32 v13, v20, v13 :: v_dual_sub_f32 v20, v21, v6
	s_delay_alu instid0(VALU_DEP_1) | instskip(NEXT) | instid1(VALU_DEP_2)
	v_add_f32_e32 v13, v21, v13
	v_sub_f32_e32 v21, v21, v20
	s_delay_alu instid0(VALU_DEP_2) | instskip(NEXT) | instid1(VALU_DEP_2)
	v_add_f32_e32 v23, v22, v13
	v_dual_sub_f32 v7, v7, v20 :: v_dual_sub_f32 v6, v6, v21
	s_delay_alu instid0(VALU_DEP_2) | instskip(NEXT) | instid1(VALU_DEP_1)
	v_sub_f32_e32 v20, v23, v22
	v_dual_add_f32 v6, v7, v6 :: v_dual_sub_f32 v7, v13, v20
	s_delay_alu instid0(VALU_DEP_1) | instskip(NEXT) | instid1(VALU_DEP_1)
	v_add_f32_e32 v6, v6, v7
	v_add_f32_e32 v6, v23, v6
	s_delay_alu instid0(VALU_DEP_1) | instskip(NEXT) | instid1(VALU_DEP_1)
	v_cndmask_b32_e32 v2, v6, v2, vcc_lo
	v_add_f32_e32 v2, v3, v2
	s_delay_alu instid0(VALU_DEP_1) | instskip(NEXT) | instid1(VALU_DEP_1)
	v_cvt_f16_f32_e32 v35, v2
	v_cvt_f32_f16_e32 v2, v35
	v_mov_b32_e32 v82, v35
.LBB410_350:
	s_or_b32 exec_lo, exec_lo, s1
	v_max_f32_e32 v3, v18, v18
	s_delay_alu instid0(VALU_DEP_3) | instskip(SKIP_2) | instid1(VALU_DEP_3)
	v_max_f32_e32 v6, v2, v2
	v_cmp_u_f16_e32 vcc_lo, v35, v35
	v_mov_b32_e32 v83, v82
	v_min_f32_e32 v7, v6, v3
	s_delay_alu instid0(VALU_DEP_1) | instskip(NEXT) | instid1(VALU_DEP_1)
	v_dual_max_f32 v3, v6, v3 :: v_dual_cndmask_b32 v6, v7, v2
	v_cndmask_b32_e32 v3, v3, v2, vcc_lo
	s_delay_alu instid0(VALU_DEP_2) | instskip(NEXT) | instid1(VALU_DEP_2)
	v_cndmask_b32_e64 v6, v6, v18, s17
	v_cndmask_b32_e64 v3, v3, v18, s17
	s_delay_alu instid0(VALU_DEP_2) | instskip(NEXT) | instid1(VALU_DEP_2)
	v_cmp_class_f32_e64 s1, v6, 0x1f8
	v_cmp_neq_f32_e32 vcc_lo, v6, v3
	s_delay_alu instid0(VALU_DEP_2) | instskip(NEXT) | instid1(SALU_CYCLE_1)
	s_or_b32 s2, vcc_lo, s1
	s_and_saveexec_b32 s1, s2
	s_cbranch_execz .LBB410_352
; %bb.351:
	v_sub_f32_e32 v2, v6, v3
	s_mov_b32 s2, 0x3e9b6dac
	s_delay_alu instid0(VALU_DEP_1) | instskip(SKIP_1) | instid1(VALU_DEP_2)
	v_mul_f32_e32 v6, 0x3fb8aa3b, v2
	v_cmp_ngt_f32_e32 vcc_lo, 0xc2ce8ed0, v2
	v_fma_f32 v7, 0x3fb8aa3b, v2, -v6
	v_rndne_f32_e32 v13, v6
	s_delay_alu instid0(VALU_DEP_2) | instskip(NEXT) | instid1(VALU_DEP_2)
	v_fmamk_f32 v7, v2, 0x32a5705f, v7
	v_sub_f32_e32 v6, v6, v13
	s_delay_alu instid0(VALU_DEP_1) | instskip(SKIP_1) | instid1(VALU_DEP_2)
	v_add_f32_e32 v6, v6, v7
	v_cvt_i32_f32_e32 v7, v13
	v_exp_f32_e32 v6, v6
	s_waitcnt_depctr 0xfff
	v_ldexp_f32 v6, v6, v7
	s_delay_alu instid0(VALU_DEP_1) | instskip(SKIP_1) | instid1(VALU_DEP_2)
	v_cndmask_b32_e32 v6, 0, v6, vcc_lo
	v_cmp_nlt_f32_e32 vcc_lo, 0x42b17218, v2
	v_cndmask_b32_e32 v2, 0x7f800000, v6, vcc_lo
	s_delay_alu instid0(VALU_DEP_1) | instskip(NEXT) | instid1(VALU_DEP_1)
	v_add_f32_e32 v13, 1.0, v2
	v_cvt_f64_f32_e32 v[6:7], v13
	s_delay_alu instid0(VALU_DEP_1) | instskip(SKIP_1) | instid1(VALU_DEP_1)
	v_frexp_exp_i32_f64_e32 v6, v[6:7]
	v_frexp_mant_f32_e32 v7, v13
	v_cmp_gt_f32_e32 vcc_lo, 0x3f2aaaab, v7
	v_add_f32_e32 v7, -1.0, v13
	s_delay_alu instid0(VALU_DEP_1) | instskip(NEXT) | instid1(VALU_DEP_1)
	v_dual_sub_f32 v20, v7, v13 :: v_dual_sub_f32 v7, v2, v7
	v_add_f32_e32 v20, 1.0, v20
	s_delay_alu instid0(VALU_DEP_1) | instskip(SKIP_2) | instid1(VALU_DEP_2)
	v_add_f32_e32 v7, v7, v20
	v_subrev_co_ci_u32_e32 v6, vcc_lo, 0, v6, vcc_lo
	v_cmp_eq_f32_e32 vcc_lo, 0x7f800000, v2
	v_sub_nc_u32_e32 v18, 0, v6
	v_cvt_f32_i32_e32 v6, v6
	s_delay_alu instid0(VALU_DEP_2) | instskip(SKIP_1) | instid1(VALU_DEP_2)
	v_ldexp_f32 v13, v13, v18
	v_ldexp_f32 v7, v7, v18
	v_add_f32_e32 v21, 1.0, v13
	v_add_f32_e32 v18, -1.0, v13
	s_delay_alu instid0(VALU_DEP_2) | instskip(NEXT) | instid1(VALU_DEP_2)
	v_add_f32_e32 v20, -1.0, v21
	v_add_f32_e32 v22, 1.0, v18
	s_delay_alu instid0(VALU_DEP_2) | instskip(NEXT) | instid1(VALU_DEP_1)
	v_sub_f32_e32 v20, v13, v20
	v_dual_sub_f32 v13, v13, v22 :: v_dual_add_f32 v20, v7, v20
	s_delay_alu instid0(VALU_DEP_1) | instskip(NEXT) | instid1(VALU_DEP_1)
	v_dual_add_f32 v7, v7, v13 :: v_dual_add_f32 v22, v21, v20
	v_rcp_f32_e32 v13, v22
	v_sub_f32_e32 v21, v21, v22
	s_delay_alu instid0(VALU_DEP_1) | instskip(NEXT) | instid1(VALU_DEP_1)
	v_dual_add_f32 v23, v18, v7 :: v_dual_add_f32 v20, v20, v21
	v_sub_f32_e32 v18, v18, v23
	s_waitcnt_depctr 0xfff
	v_mul_f32_e32 v24, v23, v13
	v_add_f32_e32 v7, v7, v18
	s_delay_alu instid0(VALU_DEP_2) | instskip(NEXT) | instid1(VALU_DEP_1)
	v_mul_f32_e32 v25, v22, v24
	v_fma_f32 v21, v24, v22, -v25
	s_delay_alu instid0(VALU_DEP_1) | instskip(NEXT) | instid1(VALU_DEP_1)
	v_fmac_f32_e32 v21, v24, v20
	v_add_f32_e32 v34, v25, v21
	s_delay_alu instid0(VALU_DEP_1) | instskip(NEXT) | instid1(VALU_DEP_1)
	v_sub_f32_e32 v35, v23, v34
	v_sub_f32_e32 v23, v23, v35
	s_delay_alu instid0(VALU_DEP_1) | instskip(NEXT) | instid1(VALU_DEP_1)
	v_dual_sub_f32 v23, v23, v34 :: v_dual_sub_f32 v18, v34, v25
	v_dual_add_f32 v7, v7, v23 :: v_dual_sub_f32 v18, v18, v21
	s_delay_alu instid0(VALU_DEP_1) | instskip(NEXT) | instid1(VALU_DEP_1)
	v_add_f32_e32 v7, v18, v7
	v_add_f32_e32 v18, v35, v7
	s_delay_alu instid0(VALU_DEP_1) | instskip(NEXT) | instid1(VALU_DEP_1)
	v_mul_f32_e32 v21, v13, v18
	v_dual_mul_f32 v23, v22, v21 :: v_dual_sub_f32 v34, v35, v18
	s_delay_alu instid0(VALU_DEP_1) | instskip(NEXT) | instid1(VALU_DEP_1)
	v_fma_f32 v22, v21, v22, -v23
	v_dual_add_f32 v7, v7, v34 :: v_dual_fmac_f32 v22, v21, v20
	s_delay_alu instid0(VALU_DEP_1) | instskip(NEXT) | instid1(VALU_DEP_1)
	v_add_f32_e32 v20, v23, v22
	v_sub_f32_e32 v25, v18, v20
	s_delay_alu instid0(VALU_DEP_1) | instskip(NEXT) | instid1(VALU_DEP_1)
	v_dual_sub_f32 v23, v20, v23 :: v_dual_sub_f32 v18, v18, v25
	v_sub_f32_e32 v18, v18, v20
	s_delay_alu instid0(VALU_DEP_1) | instskip(NEXT) | instid1(VALU_DEP_3)
	v_dual_add_f32 v7, v7, v18 :: v_dual_add_f32 v18, v24, v21
	v_sub_f32_e32 v20, v23, v22
	s_delay_alu instid0(VALU_DEP_1) | instskip(NEXT) | instid1(VALU_DEP_1)
	v_dual_add_f32 v7, v20, v7 :: v_dual_sub_f32 v20, v18, v24
	v_add_f32_e32 v7, v25, v7
	s_delay_alu instid0(VALU_DEP_2) | instskip(NEXT) | instid1(VALU_DEP_2)
	v_sub_f32_e32 v20, v21, v20
	v_mul_f32_e32 v7, v13, v7
	s_delay_alu instid0(VALU_DEP_1) | instskip(NEXT) | instid1(VALU_DEP_1)
	v_add_f32_e32 v7, v20, v7
	v_add_f32_e32 v13, v18, v7
	s_delay_alu instid0(VALU_DEP_1) | instskip(NEXT) | instid1(VALU_DEP_1)
	v_mul_f32_e32 v20, v13, v13
	v_fmaak_f32 v21, s2, v20, 0x3ecc95a3
	v_mul_f32_e32 v22, v13, v20
	v_cmp_gt_f32_e64 s2, 0x33800000, |v2|
	s_delay_alu instid0(VALU_DEP_3) | instskip(SKIP_2) | instid1(VALU_DEP_4)
	v_fmaak_f32 v20, v20, v21, 0x3f2aaada
	v_ldexp_f32 v21, v13, 1
	v_sub_f32_e32 v13, v13, v18
	s_or_b32 vcc_lo, vcc_lo, s2
	s_delay_alu instid0(VALU_DEP_1) | instskip(NEXT) | instid1(VALU_DEP_1)
	v_sub_f32_e32 v7, v7, v13
	v_ldexp_f32 v7, v7, 1
	v_mul_f32_e32 v20, v22, v20
	s_delay_alu instid0(VALU_DEP_1) | instskip(NEXT) | instid1(VALU_DEP_1)
	v_add_f32_e32 v18, v21, v20
	v_sub_f32_e32 v13, v18, v21
	s_delay_alu instid0(VALU_DEP_1) | instskip(NEXT) | instid1(VALU_DEP_1)
	v_sub_f32_e32 v13, v20, v13
	v_add_f32_e32 v7, v7, v13
	s_delay_alu instid0(VALU_DEP_1) | instskip(SKIP_1) | instid1(VALU_DEP_1)
	v_add_f32_e32 v20, v18, v7
	v_mul_f32_e32 v22, 0x3f317218, v6
	v_fma_f32 v21, 0x3f317218, v6, -v22
	s_delay_alu instid0(VALU_DEP_1) | instskip(NEXT) | instid1(VALU_DEP_1)
	v_fmamk_f32 v6, v6, 0xb102e308, v21
	v_add_f32_e32 v13, v22, v6
	s_delay_alu instid0(VALU_DEP_1) | instskip(NEXT) | instid1(VALU_DEP_1)
	v_add_f32_e32 v21, v13, v20
	v_sub_f32_e32 v23, v21, v13
	s_delay_alu instid0(VALU_DEP_1) | instskip(SKIP_1) | instid1(VALU_DEP_1)
	v_sub_f32_e32 v24, v21, v23
	v_sub_f32_e32 v18, v20, v18
	v_dual_sub_f32 v7, v7, v18 :: v_dual_sub_f32 v18, v20, v23
	v_sub_f32_e32 v22, v13, v22
	s_delay_alu instid0(VALU_DEP_4) | instskip(NEXT) | instid1(VALU_DEP_1)
	v_sub_f32_e32 v13, v13, v24
	v_add_f32_e32 v13, v18, v13
	s_delay_alu instid0(VALU_DEP_3) | instskip(NEXT) | instid1(VALU_DEP_1)
	v_sub_f32_e32 v6, v6, v22
	v_add_f32_e32 v20, v6, v7
	s_delay_alu instid0(VALU_DEP_1) | instskip(SKIP_1) | instid1(VALU_DEP_1)
	v_add_f32_e32 v13, v20, v13
	v_sub_f32_e32 v18, v20, v6
	v_dual_add_f32 v22, v21, v13 :: v_dual_sub_f32 v7, v7, v18
	v_sub_f32_e32 v20, v20, v18
	s_delay_alu instid0(VALU_DEP_2) | instskip(NEXT) | instid1(VALU_DEP_2)
	v_sub_f32_e32 v18, v22, v21
	v_sub_f32_e32 v6, v6, v20
	s_delay_alu instid0(VALU_DEP_1) | instskip(NEXT) | instid1(VALU_DEP_3)
	v_add_f32_e32 v6, v7, v6
	v_sub_f32_e32 v7, v13, v18
	s_delay_alu instid0(VALU_DEP_1) | instskip(NEXT) | instid1(VALU_DEP_1)
	v_add_f32_e32 v6, v6, v7
	v_add_f32_e32 v6, v22, v6
	s_delay_alu instid0(VALU_DEP_1) | instskip(NEXT) | instid1(VALU_DEP_1)
	v_cndmask_b32_e32 v2, v6, v2, vcc_lo
	v_add_f32_e32 v2, v3, v2
	s_delay_alu instid0(VALU_DEP_1) | instskip(NEXT) | instid1(VALU_DEP_1)
	v_cvt_f16_f32_e32 v35, v2
	v_cvt_f32_f16_e32 v2, v35
	v_mov_b32_e32 v83, v35
.LBB410_352:
	s_or_b32 exec_lo, exec_lo, s1
	s_delay_alu instid0(VALU_DEP_1) | instskip(NEXT) | instid1(VALU_DEP_3)
	v_dual_max_f32 v3, v38, v38 :: v_dual_mov_b32 v84, v83
	v_max_f32_e32 v6, v2, v2
	v_cmp_u_f16_e32 vcc_lo, v35, v35
	s_delay_alu instid0(VALU_DEP_2) | instskip(NEXT) | instid1(VALU_DEP_1)
	v_min_f32_e32 v7, v6, v3
	v_dual_max_f32 v3, v6, v3 :: v_dual_cndmask_b32 v6, v7, v2
	s_delay_alu instid0(VALU_DEP_1) | instskip(NEXT) | instid1(VALU_DEP_2)
	v_cndmask_b32_e32 v3, v3, v2, vcc_lo
	v_cndmask_b32_e64 v6, v6, v38, s18
	s_delay_alu instid0(VALU_DEP_2) | instskip(NEXT) | instid1(VALU_DEP_2)
	v_cndmask_b32_e64 v3, v3, v38, s18
	v_cmp_class_f32_e64 s1, v6, 0x1f8
	s_delay_alu instid0(VALU_DEP_2) | instskip(NEXT) | instid1(VALU_DEP_2)
	v_cmp_neq_f32_e32 vcc_lo, v6, v3
	s_or_b32 s2, vcc_lo, s1
	s_delay_alu instid0(SALU_CYCLE_1)
	s_and_saveexec_b32 s1, s2
	s_cbranch_execz .LBB410_354
; %bb.353:
	v_sub_f32_e32 v2, v6, v3
	s_mov_b32 s2, 0x3e9b6dac
	s_delay_alu instid0(VALU_DEP_1) | instskip(SKIP_1) | instid1(VALU_DEP_2)
	v_mul_f32_e32 v6, 0x3fb8aa3b, v2
	v_cmp_ngt_f32_e32 vcc_lo, 0xc2ce8ed0, v2
	v_fma_f32 v7, 0x3fb8aa3b, v2, -v6
	v_rndne_f32_e32 v13, v6
	s_delay_alu instid0(VALU_DEP_2) | instskip(NEXT) | instid1(VALU_DEP_2)
	v_fmamk_f32 v7, v2, 0x32a5705f, v7
	v_sub_f32_e32 v6, v6, v13
	s_delay_alu instid0(VALU_DEP_1) | instskip(SKIP_1) | instid1(VALU_DEP_2)
	v_add_f32_e32 v6, v6, v7
	v_cvt_i32_f32_e32 v7, v13
	v_exp_f32_e32 v6, v6
	s_waitcnt_depctr 0xfff
	v_ldexp_f32 v6, v6, v7
	s_delay_alu instid0(VALU_DEP_1) | instskip(SKIP_1) | instid1(VALU_DEP_2)
	v_cndmask_b32_e32 v6, 0, v6, vcc_lo
	v_cmp_nlt_f32_e32 vcc_lo, 0x42b17218, v2
	v_cndmask_b32_e32 v2, 0x7f800000, v6, vcc_lo
	s_delay_alu instid0(VALU_DEP_1) | instskip(NEXT) | instid1(VALU_DEP_1)
	v_add_f32_e32 v13, 1.0, v2
	v_cvt_f64_f32_e32 v[6:7], v13
	s_delay_alu instid0(VALU_DEP_1) | instskip(SKIP_1) | instid1(VALU_DEP_1)
	v_frexp_exp_i32_f64_e32 v6, v[6:7]
	v_frexp_mant_f32_e32 v7, v13
	v_cmp_gt_f32_e32 vcc_lo, 0x3f2aaaab, v7
	v_add_f32_e32 v7, -1.0, v13
	s_delay_alu instid0(VALU_DEP_1) | instskip(NEXT) | instid1(VALU_DEP_1)
	v_dual_sub_f32 v20, v7, v13 :: v_dual_sub_f32 v7, v2, v7
	v_add_f32_e32 v20, 1.0, v20
	s_delay_alu instid0(VALU_DEP_1) | instskip(SKIP_2) | instid1(VALU_DEP_2)
	v_add_f32_e32 v7, v7, v20
	v_subrev_co_ci_u32_e32 v6, vcc_lo, 0, v6, vcc_lo
	v_cmp_eq_f32_e32 vcc_lo, 0x7f800000, v2
	v_sub_nc_u32_e32 v18, 0, v6
	v_cvt_f32_i32_e32 v6, v6
	s_delay_alu instid0(VALU_DEP_2) | instskip(SKIP_1) | instid1(VALU_DEP_2)
	v_ldexp_f32 v13, v13, v18
	v_ldexp_f32 v7, v7, v18
	v_add_f32_e32 v21, 1.0, v13
	v_add_f32_e32 v18, -1.0, v13
	s_delay_alu instid0(VALU_DEP_2) | instskip(NEXT) | instid1(VALU_DEP_2)
	v_add_f32_e32 v20, -1.0, v21
	v_add_f32_e32 v22, 1.0, v18
	s_delay_alu instid0(VALU_DEP_2) | instskip(NEXT) | instid1(VALU_DEP_1)
	v_sub_f32_e32 v20, v13, v20
	v_dual_sub_f32 v13, v13, v22 :: v_dual_add_f32 v20, v7, v20
	s_delay_alu instid0(VALU_DEP_1) | instskip(NEXT) | instid1(VALU_DEP_1)
	v_dual_add_f32 v7, v7, v13 :: v_dual_add_f32 v22, v21, v20
	v_rcp_f32_e32 v13, v22
	v_sub_f32_e32 v21, v21, v22
	s_delay_alu instid0(VALU_DEP_1) | instskip(NEXT) | instid1(VALU_DEP_1)
	v_dual_add_f32 v23, v18, v7 :: v_dual_add_f32 v20, v20, v21
	v_sub_f32_e32 v18, v18, v23
	s_waitcnt_depctr 0xfff
	v_mul_f32_e32 v24, v23, v13
	v_add_f32_e32 v7, v7, v18
	s_delay_alu instid0(VALU_DEP_2) | instskip(NEXT) | instid1(VALU_DEP_1)
	v_mul_f32_e32 v25, v22, v24
	v_fma_f32 v21, v24, v22, -v25
	s_delay_alu instid0(VALU_DEP_1) | instskip(NEXT) | instid1(VALU_DEP_1)
	v_fmac_f32_e32 v21, v24, v20
	v_add_f32_e32 v34, v25, v21
	s_delay_alu instid0(VALU_DEP_1) | instskip(NEXT) | instid1(VALU_DEP_1)
	v_sub_f32_e32 v35, v23, v34
	v_sub_f32_e32 v23, v23, v35
	s_delay_alu instid0(VALU_DEP_1) | instskip(NEXT) | instid1(VALU_DEP_1)
	v_dual_sub_f32 v23, v23, v34 :: v_dual_sub_f32 v18, v34, v25
	v_dual_add_f32 v7, v7, v23 :: v_dual_sub_f32 v18, v18, v21
	s_delay_alu instid0(VALU_DEP_1) | instskip(NEXT) | instid1(VALU_DEP_1)
	v_add_f32_e32 v7, v18, v7
	v_add_f32_e32 v18, v35, v7
	s_delay_alu instid0(VALU_DEP_1) | instskip(NEXT) | instid1(VALU_DEP_1)
	v_mul_f32_e32 v21, v13, v18
	v_dual_mul_f32 v23, v22, v21 :: v_dual_sub_f32 v34, v35, v18
	s_delay_alu instid0(VALU_DEP_1) | instskip(NEXT) | instid1(VALU_DEP_1)
	v_fma_f32 v22, v21, v22, -v23
	v_dual_add_f32 v7, v7, v34 :: v_dual_fmac_f32 v22, v21, v20
	s_delay_alu instid0(VALU_DEP_1) | instskip(NEXT) | instid1(VALU_DEP_1)
	v_add_f32_e32 v20, v23, v22
	v_sub_f32_e32 v25, v18, v20
	s_delay_alu instid0(VALU_DEP_1) | instskip(NEXT) | instid1(VALU_DEP_1)
	v_dual_sub_f32 v23, v20, v23 :: v_dual_sub_f32 v18, v18, v25
	v_sub_f32_e32 v18, v18, v20
	s_delay_alu instid0(VALU_DEP_1) | instskip(NEXT) | instid1(VALU_DEP_3)
	v_dual_add_f32 v7, v7, v18 :: v_dual_add_f32 v18, v24, v21
	v_sub_f32_e32 v20, v23, v22
	s_delay_alu instid0(VALU_DEP_1) | instskip(NEXT) | instid1(VALU_DEP_1)
	v_dual_add_f32 v7, v20, v7 :: v_dual_sub_f32 v20, v18, v24
	v_add_f32_e32 v7, v25, v7
	s_delay_alu instid0(VALU_DEP_2) | instskip(NEXT) | instid1(VALU_DEP_2)
	v_sub_f32_e32 v20, v21, v20
	v_mul_f32_e32 v7, v13, v7
	s_delay_alu instid0(VALU_DEP_1) | instskip(NEXT) | instid1(VALU_DEP_1)
	v_add_f32_e32 v7, v20, v7
	v_add_f32_e32 v13, v18, v7
	s_delay_alu instid0(VALU_DEP_1) | instskip(NEXT) | instid1(VALU_DEP_1)
	v_mul_f32_e32 v20, v13, v13
	v_fmaak_f32 v21, s2, v20, 0x3ecc95a3
	v_mul_f32_e32 v22, v13, v20
	v_cmp_gt_f32_e64 s2, 0x33800000, |v2|
	s_delay_alu instid0(VALU_DEP_3) | instskip(SKIP_2) | instid1(VALU_DEP_4)
	v_fmaak_f32 v20, v20, v21, 0x3f2aaada
	v_ldexp_f32 v21, v13, 1
	v_sub_f32_e32 v13, v13, v18
	s_or_b32 vcc_lo, vcc_lo, s2
	s_delay_alu instid0(VALU_DEP_1) | instskip(NEXT) | instid1(VALU_DEP_1)
	v_sub_f32_e32 v7, v7, v13
	v_ldexp_f32 v7, v7, 1
	v_mul_f32_e32 v20, v22, v20
	s_delay_alu instid0(VALU_DEP_1) | instskip(NEXT) | instid1(VALU_DEP_1)
	v_add_f32_e32 v18, v21, v20
	v_sub_f32_e32 v13, v18, v21
	s_delay_alu instid0(VALU_DEP_1) | instskip(NEXT) | instid1(VALU_DEP_1)
	v_sub_f32_e32 v13, v20, v13
	v_add_f32_e32 v7, v7, v13
	s_delay_alu instid0(VALU_DEP_1) | instskip(SKIP_1) | instid1(VALU_DEP_1)
	v_add_f32_e32 v20, v18, v7
	v_mul_f32_e32 v22, 0x3f317218, v6
	v_fma_f32 v21, 0x3f317218, v6, -v22
	s_delay_alu instid0(VALU_DEP_1) | instskip(NEXT) | instid1(VALU_DEP_1)
	v_fmamk_f32 v6, v6, 0xb102e308, v21
	v_add_f32_e32 v13, v22, v6
	s_delay_alu instid0(VALU_DEP_1) | instskip(NEXT) | instid1(VALU_DEP_1)
	v_add_f32_e32 v21, v13, v20
	v_sub_f32_e32 v23, v21, v13
	s_delay_alu instid0(VALU_DEP_1) | instskip(SKIP_1) | instid1(VALU_DEP_1)
	v_sub_f32_e32 v24, v21, v23
	v_sub_f32_e32 v18, v20, v18
	v_dual_sub_f32 v7, v7, v18 :: v_dual_sub_f32 v18, v20, v23
	v_sub_f32_e32 v22, v13, v22
	s_delay_alu instid0(VALU_DEP_4) | instskip(NEXT) | instid1(VALU_DEP_1)
	v_sub_f32_e32 v13, v13, v24
	v_add_f32_e32 v13, v18, v13
	s_delay_alu instid0(VALU_DEP_3) | instskip(NEXT) | instid1(VALU_DEP_1)
	v_sub_f32_e32 v6, v6, v22
	v_add_f32_e32 v20, v6, v7
	s_delay_alu instid0(VALU_DEP_1) | instskip(SKIP_1) | instid1(VALU_DEP_1)
	v_add_f32_e32 v13, v20, v13
	v_sub_f32_e32 v18, v20, v6
	v_dual_add_f32 v22, v21, v13 :: v_dual_sub_f32 v7, v7, v18
	v_sub_f32_e32 v20, v20, v18
	s_delay_alu instid0(VALU_DEP_2) | instskip(NEXT) | instid1(VALU_DEP_2)
	v_sub_f32_e32 v18, v22, v21
	v_sub_f32_e32 v6, v6, v20
	s_delay_alu instid0(VALU_DEP_1) | instskip(NEXT) | instid1(VALU_DEP_3)
	v_add_f32_e32 v6, v7, v6
	v_sub_f32_e32 v7, v13, v18
	s_delay_alu instid0(VALU_DEP_1) | instskip(NEXT) | instid1(VALU_DEP_1)
	v_add_f32_e32 v6, v6, v7
	v_add_f32_e32 v6, v22, v6
	s_delay_alu instid0(VALU_DEP_1) | instskip(NEXT) | instid1(VALU_DEP_1)
	v_cndmask_b32_e32 v2, v6, v2, vcc_lo
	v_add_f32_e32 v2, v3, v2
	s_delay_alu instid0(VALU_DEP_1) | instskip(NEXT) | instid1(VALU_DEP_1)
	v_cvt_f16_f32_e32 v35, v2
	v_cvt_f32_f16_e32 v2, v35
	v_mov_b32_e32 v84, v35
.LBB410_354:
	s_or_b32 exec_lo, exec_lo, s1
	s_delay_alu instid0(VALU_DEP_2) | instskip(SKIP_1) | instid1(VALU_DEP_3)
	v_dual_max_f32 v3, v19, v19 :: v_dual_max_f32 v6, v2, v2
	v_cmp_u_f16_e32 vcc_lo, v35, v35
	v_mov_b32_e32 v85, v84
	s_delay_alu instid0(VALU_DEP_3) | instskip(NEXT) | instid1(VALU_DEP_1)
	v_min_f32_e32 v7, v6, v3
	v_dual_max_f32 v3, v6, v3 :: v_dual_cndmask_b32 v6, v7, v2
	s_delay_alu instid0(VALU_DEP_1) | instskip(NEXT) | instid1(VALU_DEP_2)
	v_cndmask_b32_e32 v3, v3, v2, vcc_lo
	v_cndmask_b32_e64 v6, v6, v19, s19
	s_delay_alu instid0(VALU_DEP_2) | instskip(NEXT) | instid1(VALU_DEP_2)
	v_cndmask_b32_e64 v3, v3, v19, s19
	v_cmp_class_f32_e64 s1, v6, 0x1f8
	s_delay_alu instid0(VALU_DEP_2) | instskip(NEXT) | instid1(VALU_DEP_2)
	v_cmp_neq_f32_e32 vcc_lo, v6, v3
	s_or_b32 s2, vcc_lo, s1
	s_delay_alu instid0(SALU_CYCLE_1)
	s_and_saveexec_b32 s1, s2
	s_cbranch_execz .LBB410_356
; %bb.355:
	v_sub_f32_e32 v2, v6, v3
	s_mov_b32 s2, 0x3e9b6dac
	s_delay_alu instid0(VALU_DEP_1) | instskip(SKIP_1) | instid1(VALU_DEP_2)
	v_mul_f32_e32 v6, 0x3fb8aa3b, v2
	v_cmp_ngt_f32_e32 vcc_lo, 0xc2ce8ed0, v2
	v_fma_f32 v7, 0x3fb8aa3b, v2, -v6
	v_rndne_f32_e32 v13, v6
	s_delay_alu instid0(VALU_DEP_2) | instskip(NEXT) | instid1(VALU_DEP_2)
	v_fmamk_f32 v7, v2, 0x32a5705f, v7
	v_sub_f32_e32 v6, v6, v13
	s_delay_alu instid0(VALU_DEP_1) | instskip(SKIP_1) | instid1(VALU_DEP_2)
	v_add_f32_e32 v6, v6, v7
	v_cvt_i32_f32_e32 v7, v13
	v_exp_f32_e32 v6, v6
	s_waitcnt_depctr 0xfff
	v_ldexp_f32 v6, v6, v7
	s_delay_alu instid0(VALU_DEP_1) | instskip(SKIP_1) | instid1(VALU_DEP_2)
	v_cndmask_b32_e32 v6, 0, v6, vcc_lo
	v_cmp_nlt_f32_e32 vcc_lo, 0x42b17218, v2
	v_cndmask_b32_e32 v2, 0x7f800000, v6, vcc_lo
	s_delay_alu instid0(VALU_DEP_1) | instskip(NEXT) | instid1(VALU_DEP_1)
	v_add_f32_e32 v13, 1.0, v2
	v_cvt_f64_f32_e32 v[6:7], v13
	s_delay_alu instid0(VALU_DEP_1) | instskip(SKIP_1) | instid1(VALU_DEP_1)
	v_frexp_exp_i32_f64_e32 v6, v[6:7]
	v_frexp_mant_f32_e32 v7, v13
	v_cmp_gt_f32_e32 vcc_lo, 0x3f2aaaab, v7
	v_add_f32_e32 v7, -1.0, v13
	s_delay_alu instid0(VALU_DEP_1) | instskip(NEXT) | instid1(VALU_DEP_1)
	v_sub_f32_e32 v19, v7, v13
	v_add_f32_e32 v19, 1.0, v19
	v_subrev_co_ci_u32_e32 v6, vcc_lo, 0, v6, vcc_lo
	v_cmp_eq_f32_e32 vcc_lo, 0x7f800000, v2
	s_delay_alu instid0(VALU_DEP_2) | instskip(SKIP_1) | instid1(VALU_DEP_2)
	v_sub_nc_u32_e32 v18, 0, v6
	v_cvt_f32_i32_e32 v6, v6
	v_ldexp_f32 v13, v13, v18
	s_delay_alu instid0(VALU_DEP_1) | instskip(NEXT) | instid1(VALU_DEP_1)
	v_dual_sub_f32 v7, v2, v7 :: v_dual_add_f32 v20, 1.0, v13
	v_add_f32_e32 v7, v7, v19
	s_delay_alu instid0(VALU_DEP_2) | instskip(NEXT) | instid1(VALU_DEP_2)
	v_add_f32_e32 v19, -1.0, v20
	v_ldexp_f32 v7, v7, v18
	s_delay_alu instid0(VALU_DEP_2) | instskip(NEXT) | instid1(VALU_DEP_1)
	v_dual_add_f32 v18, -1.0, v13 :: v_dual_sub_f32 v19, v13, v19
	v_add_f32_e32 v21, 1.0, v18
	s_delay_alu instid0(VALU_DEP_2) | instskip(NEXT) | instid1(VALU_DEP_2)
	v_add_f32_e32 v19, v7, v19
	v_sub_f32_e32 v13, v13, v21
	s_delay_alu instid0(VALU_DEP_1) | instskip(NEXT) | instid1(VALU_DEP_1)
	v_add_f32_e32 v7, v7, v13
	v_add_f32_e32 v22, v18, v7
	s_delay_alu instid0(VALU_DEP_1) | instskip(NEXT) | instid1(VALU_DEP_1)
	v_dual_add_f32 v21, v20, v19 :: v_dual_sub_f32 v18, v18, v22
	v_rcp_f32_e32 v13, v21
	v_sub_f32_e32 v20, v20, v21
	s_delay_alu instid0(VALU_DEP_1) | instskip(SKIP_2) | instid1(VALU_DEP_1)
	v_add_f32_e32 v19, v19, v20
	s_waitcnt_depctr 0xfff
	v_mul_f32_e32 v23, v22, v13
	v_mul_f32_e32 v24, v21, v23
	s_delay_alu instid0(VALU_DEP_1) | instskip(NEXT) | instid1(VALU_DEP_1)
	v_fma_f32 v20, v23, v21, -v24
	v_fmac_f32_e32 v20, v23, v19
	s_delay_alu instid0(VALU_DEP_1) | instskip(NEXT) | instid1(VALU_DEP_1)
	v_add_f32_e32 v25, v24, v20
	v_sub_f32_e32 v34, v22, v25
	s_delay_alu instid0(VALU_DEP_1) | instskip(SKIP_1) | instid1(VALU_DEP_2)
	v_sub_f32_e32 v22, v22, v34
	v_dual_add_f32 v7, v7, v18 :: v_dual_sub_f32 v18, v25, v24
	v_sub_f32_e32 v22, v22, v25
	s_delay_alu instid0(VALU_DEP_1) | instskip(NEXT) | instid1(VALU_DEP_1)
	v_dual_sub_f32 v18, v18, v20 :: v_dual_add_f32 v7, v7, v22
	v_add_f32_e32 v7, v18, v7
	s_delay_alu instid0(VALU_DEP_1) | instskip(NEXT) | instid1(VALU_DEP_1)
	v_add_f32_e32 v18, v34, v7
	v_mul_f32_e32 v20, v13, v18
	s_delay_alu instid0(VALU_DEP_1) | instskip(NEXT) | instid1(VALU_DEP_1)
	v_dual_sub_f32 v25, v34, v18 :: v_dual_mul_f32 v22, v21, v20
	v_add_f32_e32 v7, v7, v25
	s_delay_alu instid0(VALU_DEP_2) | instskip(NEXT) | instid1(VALU_DEP_1)
	v_fma_f32 v21, v20, v21, -v22
	v_fmac_f32_e32 v21, v20, v19
	s_delay_alu instid0(VALU_DEP_1) | instskip(NEXT) | instid1(VALU_DEP_1)
	v_add_f32_e32 v19, v22, v21
	v_sub_f32_e32 v24, v18, v19
	s_delay_alu instid0(VALU_DEP_1) | instskip(NEXT) | instid1(VALU_DEP_1)
	v_sub_f32_e32 v18, v18, v24
	v_sub_f32_e32 v18, v18, v19
	s_delay_alu instid0(VALU_DEP_1) | instskip(SKIP_2) | instid1(VALU_DEP_1)
	v_add_f32_e32 v7, v7, v18
	v_add_f32_e32 v18, v23, v20
	v_sub_f32_e32 v22, v19, v22
	v_sub_f32_e32 v19, v22, v21
	s_delay_alu instid0(VALU_DEP_1) | instskip(NEXT) | instid1(VALU_DEP_4)
	v_add_f32_e32 v7, v19, v7
	v_sub_f32_e32 v19, v18, v23
	s_delay_alu instid0(VALU_DEP_2) | instskip(NEXT) | instid1(VALU_DEP_2)
	v_add_f32_e32 v7, v24, v7
	v_sub_f32_e32 v19, v20, v19
	s_delay_alu instid0(VALU_DEP_2) | instskip(NEXT) | instid1(VALU_DEP_1)
	v_mul_f32_e32 v7, v13, v7
	v_add_f32_e32 v7, v19, v7
	s_delay_alu instid0(VALU_DEP_1) | instskip(NEXT) | instid1(VALU_DEP_1)
	v_add_f32_e32 v13, v18, v7
	v_mul_f32_e32 v19, v13, v13
	s_delay_alu instid0(VALU_DEP_1) | instskip(SKIP_2) | instid1(VALU_DEP_3)
	v_fmaak_f32 v20, s2, v19, 0x3ecc95a3
	v_mul_f32_e32 v21, v13, v19
	v_cmp_gt_f32_e64 s2, 0x33800000, |v2|
	v_fmaak_f32 v19, v19, v20, 0x3f2aaada
	v_ldexp_f32 v20, v13, 1
	v_sub_f32_e32 v13, v13, v18
	s_delay_alu instid0(VALU_DEP_4) | instskip(NEXT) | instid1(VALU_DEP_3)
	s_or_b32 vcc_lo, vcc_lo, s2
	v_mul_f32_e32 v19, v21, v19
	s_delay_alu instid0(VALU_DEP_1) | instskip(NEXT) | instid1(VALU_DEP_1)
	v_dual_sub_f32 v7, v7, v13 :: v_dual_add_f32 v18, v20, v19
	v_ldexp_f32 v7, v7, 1
	s_delay_alu instid0(VALU_DEP_2) | instskip(NEXT) | instid1(VALU_DEP_1)
	v_sub_f32_e32 v13, v18, v20
	v_sub_f32_e32 v13, v19, v13
	s_delay_alu instid0(VALU_DEP_1) | instskip(NEXT) | instid1(VALU_DEP_1)
	v_add_f32_e32 v7, v7, v13
	v_add_f32_e32 v19, v18, v7
	v_mul_f32_e32 v21, 0x3f317218, v6
	s_delay_alu instid0(VALU_DEP_2) | instskip(NEXT) | instid1(VALU_DEP_2)
	v_sub_f32_e32 v18, v19, v18
	v_fma_f32 v20, 0x3f317218, v6, -v21
	s_delay_alu instid0(VALU_DEP_1) | instskip(NEXT) | instid1(VALU_DEP_1)
	v_dual_sub_f32 v7, v7, v18 :: v_dual_fmamk_f32 v6, v6, 0xb102e308, v20
	v_add_f32_e32 v13, v21, v6
	s_delay_alu instid0(VALU_DEP_1) | instskip(SKIP_1) | instid1(VALU_DEP_2)
	v_add_f32_e32 v20, v13, v19
	v_sub_f32_e32 v21, v13, v21
	v_sub_f32_e32 v22, v20, v13
	s_delay_alu instid0(VALU_DEP_1) | instskip(NEXT) | instid1(VALU_DEP_1)
	v_dual_sub_f32 v6, v6, v21 :: v_dual_sub_f32 v23, v20, v22
	v_dual_sub_f32 v18, v19, v22 :: v_dual_add_f32 v19, v6, v7
	s_delay_alu instid0(VALU_DEP_2) | instskip(NEXT) | instid1(VALU_DEP_1)
	v_sub_f32_e32 v13, v13, v23
	v_dual_add_f32 v13, v18, v13 :: v_dual_sub_f32 v18, v19, v6
	s_delay_alu instid0(VALU_DEP_1) | instskip(NEXT) | instid1(VALU_DEP_2)
	v_add_f32_e32 v13, v19, v13
	v_sub_f32_e32 v19, v19, v18
	v_sub_f32_e32 v7, v7, v18
	s_delay_alu instid0(VALU_DEP_2) | instskip(NEXT) | instid1(VALU_DEP_1)
	v_dual_add_f32 v21, v20, v13 :: v_dual_sub_f32 v6, v6, v19
	v_sub_f32_e32 v18, v21, v20
	s_delay_alu instid0(VALU_DEP_2) | instskip(NEXT) | instid1(VALU_DEP_2)
	v_add_f32_e32 v6, v7, v6
	v_sub_f32_e32 v7, v13, v18
	s_delay_alu instid0(VALU_DEP_1) | instskip(NEXT) | instid1(VALU_DEP_1)
	v_add_f32_e32 v6, v6, v7
	v_add_f32_e32 v6, v21, v6
	s_delay_alu instid0(VALU_DEP_1) | instskip(NEXT) | instid1(VALU_DEP_1)
	v_cndmask_b32_e32 v2, v6, v2, vcc_lo
	v_add_f32_e32 v2, v3, v2
	s_delay_alu instid0(VALU_DEP_1) | instskip(NEXT) | instid1(VALU_DEP_1)
	v_cvt_f16_f32_e32 v35, v2
	v_cvt_f32_f16_e32 v2, v35
	v_mov_b32_e32 v85, v35
.LBB410_356:
	s_or_b32 exec_lo, exec_lo, s1
	s_delay_alu instid0(VALU_DEP_2) | instskip(SKIP_1) | instid1(VALU_DEP_2)
	v_dual_max_f32 v3, v37, v37 :: v_dual_max_f32 v6, v2, v2
	v_cmp_u_f16_e32 vcc_lo, v35, v35
	v_dual_mov_b32 v86, v85 :: v_dual_min_f32 v7, v6, v3
	s_delay_alu instid0(VALU_DEP_1) | instskip(NEXT) | instid1(VALU_DEP_1)
	v_dual_max_f32 v3, v6, v3 :: v_dual_cndmask_b32 v6, v7, v2
	v_cndmask_b32_e32 v3, v3, v2, vcc_lo
	s_delay_alu instid0(VALU_DEP_2) | instskip(NEXT) | instid1(VALU_DEP_2)
	v_cndmask_b32_e64 v6, v6, v37, s20
	v_cndmask_b32_e64 v3, v3, v37, s20
	s_delay_alu instid0(VALU_DEP_2) | instskip(NEXT) | instid1(VALU_DEP_2)
	v_cmp_class_f32_e64 s1, v6, 0x1f8
	v_cmp_neq_f32_e32 vcc_lo, v6, v3
	s_delay_alu instid0(VALU_DEP_2) | instskip(NEXT) | instid1(SALU_CYCLE_1)
	s_or_b32 s2, vcc_lo, s1
	s_and_saveexec_b32 s1, s2
	s_cbranch_execz .LBB410_358
; %bb.357:
	v_sub_f32_e32 v2, v6, v3
	s_mov_b32 s2, 0x3e9b6dac
	s_delay_alu instid0(VALU_DEP_1) | instskip(SKIP_1) | instid1(VALU_DEP_2)
	v_mul_f32_e32 v6, 0x3fb8aa3b, v2
	v_cmp_ngt_f32_e32 vcc_lo, 0xc2ce8ed0, v2
	v_fma_f32 v7, 0x3fb8aa3b, v2, -v6
	v_rndne_f32_e32 v13, v6
	s_delay_alu instid0(VALU_DEP_2) | instskip(NEXT) | instid1(VALU_DEP_2)
	v_fmamk_f32 v7, v2, 0x32a5705f, v7
	v_sub_f32_e32 v6, v6, v13
	s_delay_alu instid0(VALU_DEP_1) | instskip(SKIP_1) | instid1(VALU_DEP_2)
	v_add_f32_e32 v6, v6, v7
	v_cvt_i32_f32_e32 v7, v13
	v_exp_f32_e32 v6, v6
	s_waitcnt_depctr 0xfff
	v_ldexp_f32 v6, v6, v7
	s_delay_alu instid0(VALU_DEP_1) | instskip(SKIP_1) | instid1(VALU_DEP_2)
	v_cndmask_b32_e32 v6, 0, v6, vcc_lo
	v_cmp_nlt_f32_e32 vcc_lo, 0x42b17218, v2
	v_cndmask_b32_e32 v2, 0x7f800000, v6, vcc_lo
	s_delay_alu instid0(VALU_DEP_1) | instskip(NEXT) | instid1(VALU_DEP_1)
	v_add_f32_e32 v13, 1.0, v2
	v_cvt_f64_f32_e32 v[6:7], v13
	s_delay_alu instid0(VALU_DEP_1) | instskip(SKIP_1) | instid1(VALU_DEP_1)
	v_frexp_exp_i32_f64_e32 v6, v[6:7]
	v_frexp_mant_f32_e32 v7, v13
	v_cmp_gt_f32_e32 vcc_lo, 0x3f2aaaab, v7
	v_add_f32_e32 v7, -1.0, v13
	s_delay_alu instid0(VALU_DEP_1) | instskip(NEXT) | instid1(VALU_DEP_1)
	v_sub_f32_e32 v19, v7, v13
	v_add_f32_e32 v19, 1.0, v19
	v_subrev_co_ci_u32_e32 v6, vcc_lo, 0, v6, vcc_lo
	v_cmp_eq_f32_e32 vcc_lo, 0x7f800000, v2
	s_delay_alu instid0(VALU_DEP_2) | instskip(SKIP_1) | instid1(VALU_DEP_2)
	v_sub_nc_u32_e32 v18, 0, v6
	v_cvt_f32_i32_e32 v6, v6
	v_ldexp_f32 v13, v13, v18
	s_delay_alu instid0(VALU_DEP_1) | instskip(NEXT) | instid1(VALU_DEP_1)
	v_dual_sub_f32 v7, v2, v7 :: v_dual_add_f32 v20, 1.0, v13
	v_add_f32_e32 v7, v7, v19
	s_delay_alu instid0(VALU_DEP_2) | instskip(NEXT) | instid1(VALU_DEP_2)
	v_add_f32_e32 v19, -1.0, v20
	v_ldexp_f32 v7, v7, v18
	s_delay_alu instid0(VALU_DEP_2) | instskip(NEXT) | instid1(VALU_DEP_1)
	v_dual_add_f32 v18, -1.0, v13 :: v_dual_sub_f32 v19, v13, v19
	v_add_f32_e32 v21, 1.0, v18
	s_delay_alu instid0(VALU_DEP_2) | instskip(NEXT) | instid1(VALU_DEP_2)
	v_add_f32_e32 v19, v7, v19
	v_sub_f32_e32 v13, v13, v21
	s_delay_alu instid0(VALU_DEP_1) | instskip(NEXT) | instid1(VALU_DEP_1)
	v_add_f32_e32 v7, v7, v13
	v_add_f32_e32 v22, v18, v7
	s_delay_alu instid0(VALU_DEP_1) | instskip(NEXT) | instid1(VALU_DEP_1)
	v_dual_add_f32 v21, v20, v19 :: v_dual_sub_f32 v18, v18, v22
	v_rcp_f32_e32 v13, v21
	v_sub_f32_e32 v20, v20, v21
	s_delay_alu instid0(VALU_DEP_1) | instskip(SKIP_2) | instid1(VALU_DEP_1)
	v_add_f32_e32 v19, v19, v20
	s_waitcnt_depctr 0xfff
	v_mul_f32_e32 v23, v22, v13
	v_mul_f32_e32 v24, v21, v23
	s_delay_alu instid0(VALU_DEP_1) | instskip(NEXT) | instid1(VALU_DEP_1)
	v_fma_f32 v20, v23, v21, -v24
	v_fmac_f32_e32 v20, v23, v19
	s_delay_alu instid0(VALU_DEP_1) | instskip(NEXT) | instid1(VALU_DEP_1)
	v_add_f32_e32 v25, v24, v20
	v_sub_f32_e32 v34, v22, v25
	s_delay_alu instid0(VALU_DEP_1) | instskip(SKIP_1) | instid1(VALU_DEP_2)
	v_sub_f32_e32 v22, v22, v34
	v_dual_add_f32 v7, v7, v18 :: v_dual_sub_f32 v18, v25, v24
	v_sub_f32_e32 v22, v22, v25
	s_delay_alu instid0(VALU_DEP_1) | instskip(NEXT) | instid1(VALU_DEP_1)
	v_dual_sub_f32 v18, v18, v20 :: v_dual_add_f32 v7, v7, v22
	v_add_f32_e32 v7, v18, v7
	s_delay_alu instid0(VALU_DEP_1) | instskip(NEXT) | instid1(VALU_DEP_1)
	v_add_f32_e32 v18, v34, v7
	v_mul_f32_e32 v20, v13, v18
	s_delay_alu instid0(VALU_DEP_1) | instskip(NEXT) | instid1(VALU_DEP_1)
	v_dual_sub_f32 v25, v34, v18 :: v_dual_mul_f32 v22, v21, v20
	v_add_f32_e32 v7, v7, v25
	s_delay_alu instid0(VALU_DEP_2) | instskip(NEXT) | instid1(VALU_DEP_1)
	v_fma_f32 v21, v20, v21, -v22
	v_fmac_f32_e32 v21, v20, v19
	s_delay_alu instid0(VALU_DEP_1) | instskip(NEXT) | instid1(VALU_DEP_1)
	v_add_f32_e32 v19, v22, v21
	v_sub_f32_e32 v24, v18, v19
	s_delay_alu instid0(VALU_DEP_1) | instskip(NEXT) | instid1(VALU_DEP_1)
	v_sub_f32_e32 v18, v18, v24
	v_sub_f32_e32 v18, v18, v19
	s_delay_alu instid0(VALU_DEP_1) | instskip(SKIP_2) | instid1(VALU_DEP_1)
	v_add_f32_e32 v7, v7, v18
	v_add_f32_e32 v18, v23, v20
	v_sub_f32_e32 v22, v19, v22
	v_sub_f32_e32 v19, v22, v21
	s_delay_alu instid0(VALU_DEP_1) | instskip(NEXT) | instid1(VALU_DEP_4)
	v_add_f32_e32 v7, v19, v7
	v_sub_f32_e32 v19, v18, v23
	s_delay_alu instid0(VALU_DEP_2) | instskip(NEXT) | instid1(VALU_DEP_2)
	v_add_f32_e32 v7, v24, v7
	v_sub_f32_e32 v19, v20, v19
	s_delay_alu instid0(VALU_DEP_2) | instskip(NEXT) | instid1(VALU_DEP_1)
	v_mul_f32_e32 v7, v13, v7
	v_add_f32_e32 v7, v19, v7
	s_delay_alu instid0(VALU_DEP_1) | instskip(NEXT) | instid1(VALU_DEP_1)
	v_add_f32_e32 v13, v18, v7
	v_mul_f32_e32 v19, v13, v13
	s_delay_alu instid0(VALU_DEP_1) | instskip(SKIP_2) | instid1(VALU_DEP_3)
	v_fmaak_f32 v20, s2, v19, 0x3ecc95a3
	v_mul_f32_e32 v21, v13, v19
	v_cmp_gt_f32_e64 s2, 0x33800000, |v2|
	v_fmaak_f32 v19, v19, v20, 0x3f2aaada
	v_ldexp_f32 v20, v13, 1
	v_sub_f32_e32 v13, v13, v18
	s_delay_alu instid0(VALU_DEP_4) | instskip(NEXT) | instid1(VALU_DEP_3)
	s_or_b32 vcc_lo, vcc_lo, s2
	v_mul_f32_e32 v19, v21, v19
	s_delay_alu instid0(VALU_DEP_1) | instskip(NEXT) | instid1(VALU_DEP_1)
	v_dual_sub_f32 v7, v7, v13 :: v_dual_add_f32 v18, v20, v19
	v_ldexp_f32 v7, v7, 1
	s_delay_alu instid0(VALU_DEP_2) | instskip(NEXT) | instid1(VALU_DEP_1)
	v_sub_f32_e32 v13, v18, v20
	v_sub_f32_e32 v13, v19, v13
	s_delay_alu instid0(VALU_DEP_1) | instskip(NEXT) | instid1(VALU_DEP_1)
	v_add_f32_e32 v7, v7, v13
	v_add_f32_e32 v19, v18, v7
	v_mul_f32_e32 v21, 0x3f317218, v6
	s_delay_alu instid0(VALU_DEP_2) | instskip(NEXT) | instid1(VALU_DEP_2)
	v_sub_f32_e32 v18, v19, v18
	v_fma_f32 v20, 0x3f317218, v6, -v21
	s_delay_alu instid0(VALU_DEP_1) | instskip(NEXT) | instid1(VALU_DEP_1)
	v_dual_sub_f32 v7, v7, v18 :: v_dual_fmamk_f32 v6, v6, 0xb102e308, v20
	v_add_f32_e32 v13, v21, v6
	s_delay_alu instid0(VALU_DEP_1) | instskip(SKIP_1) | instid1(VALU_DEP_2)
	v_add_f32_e32 v20, v13, v19
	v_sub_f32_e32 v21, v13, v21
	v_sub_f32_e32 v22, v20, v13
	s_delay_alu instid0(VALU_DEP_1) | instskip(NEXT) | instid1(VALU_DEP_1)
	v_dual_sub_f32 v6, v6, v21 :: v_dual_sub_f32 v23, v20, v22
	v_dual_sub_f32 v18, v19, v22 :: v_dual_add_f32 v19, v6, v7
	s_delay_alu instid0(VALU_DEP_2) | instskip(NEXT) | instid1(VALU_DEP_1)
	v_sub_f32_e32 v13, v13, v23
	v_dual_add_f32 v13, v18, v13 :: v_dual_sub_f32 v18, v19, v6
	s_delay_alu instid0(VALU_DEP_1) | instskip(NEXT) | instid1(VALU_DEP_2)
	v_add_f32_e32 v13, v19, v13
	v_sub_f32_e32 v19, v19, v18
	v_sub_f32_e32 v7, v7, v18
	s_delay_alu instid0(VALU_DEP_2) | instskip(NEXT) | instid1(VALU_DEP_1)
	v_dual_add_f32 v21, v20, v13 :: v_dual_sub_f32 v6, v6, v19
	v_sub_f32_e32 v18, v21, v20
	s_delay_alu instid0(VALU_DEP_2) | instskip(NEXT) | instid1(VALU_DEP_2)
	v_add_f32_e32 v6, v7, v6
	v_sub_f32_e32 v7, v13, v18
	s_delay_alu instid0(VALU_DEP_1) | instskip(NEXT) | instid1(VALU_DEP_1)
	v_add_f32_e32 v6, v6, v7
	v_add_f32_e32 v6, v21, v6
	s_delay_alu instid0(VALU_DEP_1) | instskip(NEXT) | instid1(VALU_DEP_1)
	v_cndmask_b32_e32 v2, v6, v2, vcc_lo
	v_add_f32_e32 v2, v3, v2
	s_delay_alu instid0(VALU_DEP_1) | instskip(NEXT) | instid1(VALU_DEP_1)
	v_cvt_f16_f32_e32 v35, v2
	v_mov_b32_e32 v86, v35
	v_cvt_f32_f16_e32 v2, v35
.LBB410_358:
	s_or_b32 exec_lo, exec_lo, s1
	s_delay_alu instid0(VALU_DEP_1) | instskip(SKIP_2) | instid1(VALU_DEP_3)
	v_dual_max_f32 v3, v36, v36 :: v_dual_max_f32 v6, v2, v2
	v_cmp_u_f16_e32 vcc_lo, v35, v35
	v_mov_b32_e32 v96, v86
	v_min_f32_e32 v7, v6, v3
	s_delay_alu instid0(VALU_DEP_1) | instskip(NEXT) | instid1(VALU_DEP_1)
	v_dual_max_f32 v3, v6, v3 :: v_dual_cndmask_b32 v6, v7, v2
	v_cndmask_b32_e32 v2, v3, v2, vcc_lo
	s_delay_alu instid0(VALU_DEP_2) | instskip(NEXT) | instid1(VALU_DEP_2)
	v_cndmask_b32_e64 v3, v6, v36, s21
	v_cndmask_b32_e64 v2, v2, v36, s21
	s_delay_alu instid0(VALU_DEP_2) | instskip(NEXT) | instid1(VALU_DEP_2)
	v_cmp_class_f32_e64 s1, v3, 0x1f8
	v_cmp_neq_f32_e32 vcc_lo, v3, v2
	s_delay_alu instid0(VALU_DEP_2) | instskip(NEXT) | instid1(SALU_CYCLE_1)
	s_or_b32 s2, vcc_lo, s1
	s_and_saveexec_b32 s1, s2
	s_cbranch_execz .LBB410_360
; %bb.359:
	v_sub_f32_e32 v3, v3, v2
	s_mov_b32 s2, 0x3e9b6dac
	s_delay_alu instid0(VALU_DEP_1) | instskip(NEXT) | instid1(VALU_DEP_1)
	v_mul_f32_e32 v6, 0x3fb8aa3b, v3
	v_fma_f32 v7, 0x3fb8aa3b, v3, -v6
	v_rndne_f32_e32 v13, v6
	s_delay_alu instid0(VALU_DEP_1) | instskip(SKIP_1) | instid1(VALU_DEP_4)
	v_sub_f32_e32 v6, v6, v13
	v_cmp_ngt_f32_e32 vcc_lo, 0xc2ce8ed0, v3
	v_fmamk_f32 v7, v3, 0x32a5705f, v7
	s_delay_alu instid0(VALU_DEP_1) | instskip(SKIP_1) | instid1(VALU_DEP_2)
	v_add_f32_e32 v6, v6, v7
	v_cvt_i32_f32_e32 v7, v13
	v_exp_f32_e32 v6, v6
	s_waitcnt_depctr 0xfff
	v_ldexp_f32 v6, v6, v7
	s_delay_alu instid0(VALU_DEP_1) | instskip(SKIP_1) | instid1(VALU_DEP_2)
	v_cndmask_b32_e32 v6, 0, v6, vcc_lo
	v_cmp_nlt_f32_e32 vcc_lo, 0x42b17218, v3
	v_cndmask_b32_e32 v3, 0x7f800000, v6, vcc_lo
	s_delay_alu instid0(VALU_DEP_1) | instskip(NEXT) | instid1(VALU_DEP_1)
	v_add_f32_e32 v13, 1.0, v3
	v_cvt_f64_f32_e32 v[6:7], v13
	s_delay_alu instid0(VALU_DEP_1) | instskip(SKIP_1) | instid1(VALU_DEP_1)
	v_frexp_exp_i32_f64_e32 v6, v[6:7]
	v_frexp_mant_f32_e32 v7, v13
	v_cmp_gt_f32_e32 vcc_lo, 0x3f2aaaab, v7
	v_add_f32_e32 v7, -1.0, v13
	s_delay_alu instid0(VALU_DEP_1) | instskip(NEXT) | instid1(VALU_DEP_1)
	v_sub_f32_e32 v19, v7, v13
	v_add_f32_e32 v19, 1.0, v19
	v_subrev_co_ci_u32_e32 v6, vcc_lo, 0, v6, vcc_lo
	s_delay_alu instid0(VALU_DEP_1) | instskip(SKIP_1) | instid1(VALU_DEP_2)
	v_sub_nc_u32_e32 v18, 0, v6
	v_cvt_f32_i32_e32 v6, v6
	v_ldexp_f32 v13, v13, v18
	s_delay_alu instid0(VALU_DEP_1) | instskip(SKIP_1) | instid1(VALU_DEP_2)
	v_dual_add_f32 v20, 1.0, v13 :: v_dual_sub_f32 v7, v3, v7
	v_cmp_eq_f32_e32 vcc_lo, 0x7f800000, v3
	v_add_f32_e32 v7, v7, v19
	s_delay_alu instid0(VALU_DEP_1) | instskip(NEXT) | instid1(VALU_DEP_4)
	v_ldexp_f32 v7, v7, v18
	v_dual_add_f32 v18, -1.0, v13 :: v_dual_add_f32 v19, -1.0, v20
	s_delay_alu instid0(VALU_DEP_1) | instskip(NEXT) | instid1(VALU_DEP_2)
	v_add_f32_e32 v21, 1.0, v18
	v_sub_f32_e32 v19, v13, v19
	s_delay_alu instid0(VALU_DEP_2) | instskip(NEXT) | instid1(VALU_DEP_2)
	v_sub_f32_e32 v13, v13, v21
	v_add_f32_e32 v19, v7, v19
	s_delay_alu instid0(VALU_DEP_1) | instskip(NEXT) | instid1(VALU_DEP_3)
	v_add_f32_e32 v21, v20, v19
	v_add_f32_e32 v7, v7, v13
	s_delay_alu instid0(VALU_DEP_2) | instskip(NEXT) | instid1(VALU_DEP_1)
	v_rcp_f32_e32 v13, v21
	v_add_f32_e32 v22, v18, v7
	v_sub_f32_e32 v20, v20, v21
	s_delay_alu instid0(VALU_DEP_1) | instskip(SKIP_2) | instid1(VALU_DEP_1)
	v_dual_sub_f32 v18, v18, v22 :: v_dual_add_f32 v19, v19, v20
	s_waitcnt_depctr 0xfff
	v_mul_f32_e32 v23, v22, v13
	v_dual_mul_f32 v24, v21, v23 :: v_dual_add_f32 v7, v7, v18
	s_delay_alu instid0(VALU_DEP_1) | instskip(NEXT) | instid1(VALU_DEP_1)
	v_fma_f32 v20, v23, v21, -v24
	v_fmac_f32_e32 v20, v23, v19
	s_delay_alu instid0(VALU_DEP_1) | instskip(NEXT) | instid1(VALU_DEP_1)
	v_add_f32_e32 v25, v24, v20
	v_sub_f32_e32 v34, v22, v25
	v_sub_f32_e32 v18, v25, v24
	s_delay_alu instid0(VALU_DEP_2) | instskip(NEXT) | instid1(VALU_DEP_2)
	v_sub_f32_e32 v22, v22, v34
	v_sub_f32_e32 v18, v18, v20
	s_delay_alu instid0(VALU_DEP_2) | instskip(NEXT) | instid1(VALU_DEP_1)
	v_sub_f32_e32 v22, v22, v25
	v_add_f32_e32 v7, v7, v22
	s_delay_alu instid0(VALU_DEP_1) | instskip(NEXT) | instid1(VALU_DEP_1)
	v_add_f32_e32 v7, v18, v7
	v_add_f32_e32 v18, v34, v7
	s_delay_alu instid0(VALU_DEP_1) | instskip(NEXT) | instid1(VALU_DEP_1)
	v_mul_f32_e32 v20, v13, v18
	v_dual_sub_f32 v25, v34, v18 :: v_dual_mul_f32 v22, v21, v20
	s_delay_alu instid0(VALU_DEP_1) | instskip(NEXT) | instid1(VALU_DEP_1)
	v_fma_f32 v21, v20, v21, -v22
	v_fmac_f32_e32 v21, v20, v19
	s_delay_alu instid0(VALU_DEP_1) | instskip(NEXT) | instid1(VALU_DEP_1)
	v_add_f32_e32 v19, v22, v21
	v_sub_f32_e32 v24, v18, v19
	v_sub_f32_e32 v22, v19, v22
	s_delay_alu instid0(VALU_DEP_2) | instskip(NEXT) | instid1(VALU_DEP_1)
	v_dual_sub_f32 v18, v18, v24 :: v_dual_add_f32 v7, v7, v25
	v_sub_f32_e32 v18, v18, v19
	s_delay_alu instid0(VALU_DEP_1) | instskip(NEXT) | instid1(VALU_DEP_4)
	v_add_f32_e32 v7, v7, v18
	v_dual_add_f32 v18, v23, v20 :: v_dual_sub_f32 v19, v22, v21
	s_delay_alu instid0(VALU_DEP_1) | instskip(NEXT) | instid1(VALU_DEP_2)
	v_add_f32_e32 v7, v19, v7
	v_sub_f32_e32 v19, v18, v23
	s_delay_alu instid0(VALU_DEP_2) | instskip(NEXT) | instid1(VALU_DEP_2)
	v_add_f32_e32 v7, v24, v7
	v_sub_f32_e32 v19, v20, v19
	s_delay_alu instid0(VALU_DEP_2) | instskip(NEXT) | instid1(VALU_DEP_1)
	v_mul_f32_e32 v7, v13, v7
	v_add_f32_e32 v7, v19, v7
	s_delay_alu instid0(VALU_DEP_1) | instskip(NEXT) | instid1(VALU_DEP_1)
	v_add_f32_e32 v13, v18, v7
	v_mul_f32_e32 v19, v13, v13
	s_delay_alu instid0(VALU_DEP_1) | instskip(SKIP_2) | instid1(VALU_DEP_3)
	v_fmaak_f32 v20, s2, v19, 0x3ecc95a3
	v_mul_f32_e32 v21, v13, v19
	v_cmp_gt_f32_e64 s2, 0x33800000, |v3|
	v_fmaak_f32 v19, v19, v20, 0x3f2aaada
	v_ldexp_f32 v20, v13, 1
	v_sub_f32_e32 v13, v13, v18
	s_delay_alu instid0(VALU_DEP_4) | instskip(NEXT) | instid1(VALU_DEP_3)
	s_or_b32 vcc_lo, vcc_lo, s2
	v_mul_f32_e32 v19, v21, v19
	s_delay_alu instid0(VALU_DEP_1) | instskip(NEXT) | instid1(VALU_DEP_1)
	v_dual_sub_f32 v7, v7, v13 :: v_dual_add_f32 v18, v20, v19
	v_ldexp_f32 v7, v7, 1
	s_delay_alu instid0(VALU_DEP_2) | instskip(NEXT) | instid1(VALU_DEP_1)
	v_sub_f32_e32 v13, v18, v20
	v_sub_f32_e32 v13, v19, v13
	s_delay_alu instid0(VALU_DEP_1) | instskip(NEXT) | instid1(VALU_DEP_1)
	v_add_f32_e32 v7, v7, v13
	v_add_f32_e32 v19, v18, v7
	v_mul_f32_e32 v21, 0x3f317218, v6
	s_delay_alu instid0(VALU_DEP_2) | instskip(NEXT) | instid1(VALU_DEP_2)
	v_sub_f32_e32 v18, v19, v18
	v_fma_f32 v20, 0x3f317218, v6, -v21
	s_delay_alu instid0(VALU_DEP_1) | instskip(NEXT) | instid1(VALU_DEP_1)
	v_dual_sub_f32 v7, v7, v18 :: v_dual_fmamk_f32 v6, v6, 0xb102e308, v20
	v_add_f32_e32 v13, v21, v6
	s_delay_alu instid0(VALU_DEP_1) | instskip(SKIP_1) | instid1(VALU_DEP_2)
	v_add_f32_e32 v20, v13, v19
	v_sub_f32_e32 v21, v13, v21
	v_sub_f32_e32 v22, v20, v13
	s_delay_alu instid0(VALU_DEP_1) | instskip(NEXT) | instid1(VALU_DEP_1)
	v_dual_sub_f32 v6, v6, v21 :: v_dual_sub_f32 v23, v20, v22
	v_dual_sub_f32 v18, v19, v22 :: v_dual_add_f32 v19, v6, v7
	s_delay_alu instid0(VALU_DEP_2) | instskip(NEXT) | instid1(VALU_DEP_1)
	v_sub_f32_e32 v13, v13, v23
	v_dual_add_f32 v13, v18, v13 :: v_dual_sub_f32 v18, v19, v6
	s_delay_alu instid0(VALU_DEP_1) | instskip(NEXT) | instid1(VALU_DEP_2)
	v_add_f32_e32 v13, v19, v13
	v_sub_f32_e32 v19, v19, v18
	v_sub_f32_e32 v7, v7, v18
	s_delay_alu instid0(VALU_DEP_2) | instskip(NEXT) | instid1(VALU_DEP_1)
	v_dual_add_f32 v21, v20, v13 :: v_dual_sub_f32 v6, v6, v19
	v_sub_f32_e32 v18, v21, v20
	s_delay_alu instid0(VALU_DEP_2) | instskip(NEXT) | instid1(VALU_DEP_2)
	v_add_f32_e32 v6, v7, v6
	v_sub_f32_e32 v7, v13, v18
	s_delay_alu instid0(VALU_DEP_1) | instskip(NEXT) | instid1(VALU_DEP_1)
	v_add_f32_e32 v6, v6, v7
	v_add_f32_e32 v6, v21, v6
	s_delay_alu instid0(VALU_DEP_1) | instskip(NEXT) | instid1(VALU_DEP_1)
	v_cndmask_b32_e32 v3, v6, v3, vcc_lo
	v_add_f32_e32 v2, v2, v3
	s_delay_alu instid0(VALU_DEP_1)
	v_cvt_f16_f32_e32 v96, v2
.LBB410_360:
	s_or_b32 exec_lo, exec_lo, s1
	s_delay_alu instid0(SALU_CYCLE_1)
	s_mov_b32 s1, exec_lo
	v_cmpx_eq_u32_e32 63, v0
	s_cbranch_execz .LBB410_362
; %bb.361:
	v_and_b32_e32 v2, 0xffff, v96
	s_delay_alu instid0(VALU_DEP_1)
	v_or_b32_e32 v2, 0x20000, v2
	flat_store_b32 v[14:15], v2 offset:128
.LBB410_362:
	s_or_b32 exec_lo, exec_lo, s1
	v_mov_b32_e32 v101, v12
.LBB410_363:
	v_add_co_u32 v2, vcc_lo, v10, v16
	v_add_co_ci_u32_e32 v3, vcc_lo, v11, v17, vcc_lo
	v_perm_b32 v6, v28, v27, 0x5040100
	s_delay_alu instid0(VALU_DEP_3) | instskip(NEXT) | instid1(VALU_DEP_3)
	v_add_co_u32 v2, vcc_lo, v2, s28
	v_add_co_ci_u32_e32 v3, vcc_lo, s29, v3, vcc_lo
	v_perm_b32 v7, v26, v101, 0x5040100
	v_perm_b32 v10, v65, v64, 0x5040100
	;; [unrolled: 1-line block ×10, first 2 shown]
	s_waitcnt lgkmcnt(0)
	s_waitcnt_vscnt null, 0x0
	s_barrier
	buffer_gl0_inv
	s_and_saveexec_b32 s1, s0
	s_delay_alu instid0(SALU_CYCLE_1)
	s_xor_b32 s0, exec_lo, s1
	s_cbranch_execz .LBB410_365
; %bb.364:
	v_add_co_u32 v0, vcc_lo, v2, v32
	ds_store_2addr_b32 v1, v7, v6 offset1:1
	ds_store_2addr_b32 v1, v11, v10 offset0:2 offset1:3
	ds_store_2addr_b32 v1, v13, v12 offset0:4 offset1:5
	;; [unrolled: 1-line block ×4, first 2 shown]
	ds_store_b32 v1, v18 offset:40
	s_waitcnt lgkmcnt(0)
	s_barrier
	buffer_gl0_inv
	ds_load_u16 v4, v32
	ds_load_u16 v5, v32 offset:128
	ds_load_u16 v6, v32 offset:256
	ds_load_u16 v7, v32 offset:384
	ds_load_u16 v8, v32 offset:512
	ds_load_u16 v9, v32 offset:640
	ds_load_u16 v10, v32 offset:768
	ds_load_u16 v11, v32 offset:896
	ds_load_u16 v12, v32 offset:1024
	ds_load_u16 v13, v32 offset:1152
	ds_load_u16 v14, v32 offset:1280
	ds_load_u16 v15, v32 offset:1408
	ds_load_u16 v16, v32 offset:1536
	ds_load_u16 v17, v32 offset:1664
	ds_load_u16 v18, v32 offset:1792
	ds_load_u16 v19, v32 offset:1920
	v_add_co_ci_u32_e32 v1, vcc_lo, 0, v3, vcc_lo
	ds_load_u16 v2, v32 offset:2048
	ds_load_u16 v3, v32 offset:2176
	ds_load_u16 v20, v32 offset:2304
	ds_load_u16 v21, v32 offset:2432
	ds_load_u16 v22, v32 offset:2560
	ds_load_u16 v23, v32 offset:2688
                                        ; implicit-def: $vgpr33
                                        ; implicit-def: $vgpr30
                                        ; implicit-def: $vgpr31
                                        ; implicit-def: $vgpr32
	s_waitcnt lgkmcnt(21)
	flat_store_b16 v[0:1], v4
	s_waitcnt lgkmcnt(21)
	flat_store_b16 v[0:1], v5 offset:128
	s_waitcnt lgkmcnt(21)
	flat_store_b16 v[0:1], v6 offset:256
	;; [unrolled: 2-line block ×21, first 2 shown]
                                        ; implicit-def: $vgpr2_vgpr3_vgpr4_vgpr5
                                        ; implicit-def: $vgpr6_vgpr7_vgpr8_vgpr9
                                        ; implicit-def: $vgpr0
                                        ; implicit-def: $vgpr1
                                        ; implicit-def: $vgpr2
                                        ; implicit-def: $vgpr3
                                        ; implicit-def: $vgpr6
                                        ; implicit-def: $vgpr7
                                        ; implicit-def: $vgpr10
                                        ; implicit-def: $vgpr11
                                        ; implicit-def: $vgpr12
                                        ; implicit-def: $vgpr13
                                        ; implicit-def: $vgpr14
                                        ; implicit-def: $vgpr15
                                        ; implicit-def: $vgpr16
                                        ; implicit-def: $vgpr17
                                        ; implicit-def: $vgpr18
.LBB410_365:
	s_and_not1_saveexec_b32 s1, s0
	s_cbranch_execz .LBB410_493
; %bb.366:
	ds_store_2addr_b32 v1, v7, v6 offset1:1
	ds_store_2addr_b32 v1, v11, v10 offset0:2 offset1:3
	ds_store_2addr_b32 v1, v13, v12 offset0:4 offset1:5
	ds_store_2addr_b32 v1, v15, v14 offset0:6 offset1:7
	ds_store_2addr_b32 v1, v17, v16 offset0:8 offset1:9
	ds_store_b32 v1, v18 offset:40
	s_waitcnt lgkmcnt(0)
	s_waitcnt_vscnt null, 0x0
	s_barrier
	buffer_gl0_inv
	ds_load_u16 v7, v32
	ds_load_u16 v6, v32 offset:128
	ds_load_u16 v11, v32 offset:256
	;; [unrolled: 1-line block ×21, first 2 shown]
	v_add_co_u32 v2, vcc_lo, v2, v32
	v_mov_b32_e32 v1, 0
	v_add_co_ci_u32_e32 v3, vcc_lo, 0, v3, vcc_lo
	s_mov_b32 s0, exec_lo
	v_cmpx_lt_u32_e64 v0, v30
	s_cbranch_execz .LBB410_368
; %bb.367:
	s_waitcnt lgkmcnt(21)
	flat_store_b16 v[2:3], v7
.LBB410_368:
	s_or_b32 exec_lo, exec_lo, s0
	v_add_nc_u32_e32 v32, 64, v0
	s_mov_b32 s0, exec_lo
	s_delay_alu instid0(VALU_DEP_1)
	v_cmpx_lt_u32_e64 v32, v30
	s_cbranch_execz .LBB410_370
; %bb.369:
	s_waitcnt lgkmcnt(20)
	flat_store_b16 v[2:3], v6 offset:128
.LBB410_370:
	s_or_b32 exec_lo, exec_lo, s0
	v_add_nc_u32_e32 v32, 0x80, v0
	s_mov_b32 s0, exec_lo
	s_delay_alu instid0(VALU_DEP_1)
	v_cmpx_lt_u32_e64 v32, v30
	s_cbranch_execz .LBB410_372
; %bb.371:
	s_waitcnt lgkmcnt(19)
	flat_store_b16 v[2:3], v11 offset:256
.LBB410_372:
	;; [unrolled: 10-line block ×15, first 2 shown]
	s_or_b32 exec_lo, exec_lo, s0
	v_or_b32_e32 v32, 0x400, v0
	s_mov_b32 s0, exec_lo
	s_delay_alu instid0(VALU_DEP_1)
	v_cmpx_lt_u32_e64 v32, v30
	s_cbranch_execz .LBB410_400
; %bb.399:
	s_waitcnt lgkmcnt(5)
	flat_store_b16 v[2:3], v25 offset:2048
.LBB410_400:
	s_or_b32 exec_lo, exec_lo, s0
	v_add_nc_u32_e32 v32, 0x440, v0
	s_mov_b32 s0, exec_lo
	s_delay_alu instid0(VALU_DEP_1)
	v_cmpx_lt_u32_e64 v32, v30
	s_cbranch_execz .LBB410_402
; %bb.401:
	s_waitcnt lgkmcnt(4)
	flat_store_b16 v[2:3], v23 offset:2176
.LBB410_402:
	s_or_b32 exec_lo, exec_lo, s0
	v_add_nc_u32_e32 v32, 0x480, v0
	s_mov_b32 s0, exec_lo
	s_delay_alu instid0(VALU_DEP_1)
	v_cmpx_lt_u32_e64 v32, v30
	s_cbranch_execz .LBB410_404
; %bb.403:
	s_waitcnt lgkmcnt(3)
	flat_store_b16 v[2:3], v27 offset:2304
.LBB410_404:
	s_or_b32 exec_lo, exec_lo, s0
	v_add_nc_u32_e32 v32, 0x4c0, v0
	s_mov_b32 s0, exec_lo
	s_delay_alu instid0(VALU_DEP_1)
	v_cmpx_lt_u32_e64 v32, v30
	s_cbranch_execz .LBB410_406
; %bb.405:
	s_waitcnt lgkmcnt(2)
	flat_store_b16 v[2:3], v28 offset:2432
.LBB410_406:
	s_or_b32 exec_lo, exec_lo, s0
	v_add_nc_u32_e32 v32, 0x500, v0
	s_mov_b32 s0, exec_lo
	s_delay_alu instid0(VALU_DEP_1)
	v_cmpx_lt_u32_e64 v32, v30
	s_cbranch_execz .LBB410_408
; %bb.407:
	s_waitcnt lgkmcnt(1)
	flat_store_b16 v[2:3], v21 offset:2560
.LBB410_408:
	s_or_b32 exec_lo, exec_lo, s0
	v_add_nc_u32_e32 v32, 0x540, v0
	s_mov_b32 s0, exec_lo
	s_delay_alu instid0(VALU_DEP_1)
	v_cmpx_lt_u32_e64 v32, v30
	s_cbranch_execz .LBB410_410
; %bb.409:
	s_waitcnt lgkmcnt(0)
	flat_store_b16 v[2:3], v29 offset:2688
.LBB410_410:
	s_or_b32 exec_lo, exec_lo, s0
	s_delay_alu instid0(SALU_CYCLE_1)
	s_mov_b32 s2, exec_lo
	v_cmpx_lt_u64_e32 1, v[8:9]
	s_cbranch_execz .LBB410_492
; %bb.411:
	s_add_u32 s0, 0, 0x2e8b0a00
	s_addc_u32 s3, 0, 42
	s_mul_hi_u32 s5, s0, 0xffffffea
	s_add_i32 s3, s3, 0xba2e890
	s_sub_i32 s5, s5, s0
	s_mul_i32 s6, s3, 0xffffffea
	s_mul_i32 s4, s0, 0xffffffea
	s_add_i32 s5, s5, s6
	s_mul_hi_u32 s7, s3, s4
	s_mul_i32 s6, s3, s4
	s_mul_i32 s8, s0, s5
	s_mul_hi_u32 s4, s0, s4
	s_mul_hi_u32 s9, s0, s5
	s_add_u32 s4, s4, s8
	s_addc_u32 s8, 0, s9
	s_mul_hi_u32 s9, s3, s5
	s_add_u32 s4, s4, s6
	s_addc_u32 s4, s8, s7
	s_mul_i32 s5, s3, s5
	s_addc_u32 s6, s9, 0
	s_add_u32 s4, s4, s5
	v_add_co_u32 v2, vcc_lo, v30, -1
	v_add_co_u32 v32, s0, s0, s4
	s_addc_u32 s4, 0, s6
	s_cmp_lg_u32 s0, 0
	v_add_co_ci_u32_e32 v3, vcc_lo, -1, v31, vcc_lo
	s_addc_u32 s0, s3, s4
	v_mul_hi_u32 v34, v2, v32
	v_mad_u64_u32 v[8:9], null, v2, s0, 0
	s_delay_alu instid0(VALU_DEP_3) | instskip(NEXT) | instid1(VALU_DEP_2)
	v_mad_u64_u32 v[30:31], null, v3, v32, 0
	v_add_co_u32 v32, vcc_lo, v34, v8
	s_delay_alu instid0(VALU_DEP_3) | instskip(SKIP_1) | instid1(VALU_DEP_3)
	v_add_co_ci_u32_e32 v34, vcc_lo, 0, v9, vcc_lo
	v_mad_u64_u32 v[8:9], null, v3, s0, 0
	v_add_co_u32 v30, vcc_lo, v32, v30
	s_delay_alu instid0(VALU_DEP_3) | instskip(NEXT) | instid1(VALU_DEP_3)
	v_add_co_ci_u32_e32 v30, vcc_lo, v34, v31, vcc_lo
	v_add_co_ci_u32_e32 v9, vcc_lo, 0, v9, vcc_lo
	s_delay_alu instid0(VALU_DEP_2) | instskip(NEXT) | instid1(VALU_DEP_2)
	v_add_co_u32 v32, vcc_lo, v30, v8
	v_add_co_ci_u32_e32 v34, vcc_lo, 0, v9, vcc_lo
	s_delay_alu instid0(VALU_DEP_2) | instskip(SKIP_1) | instid1(VALU_DEP_1)
	v_mad_u64_u32 v[8:9], null, v32, 22, 0
	s_waitcnt lgkmcnt(17)
	v_mad_u64_u32 v[30:31], null, v34, 22, v[9:10]
	s_delay_alu instid0(VALU_DEP_2) | instskip(NEXT) | instid1(VALU_DEP_2)
	v_sub_co_u32 v8, vcc_lo, v2, v8
	v_sub_co_ci_u32_e32 v9, vcc_lo, v3, v30, vcc_lo
	s_delay_alu instid0(VALU_DEP_2) | instskip(NEXT) | instid1(VALU_DEP_2)
	v_sub_co_u32 v30, vcc_lo, v8, 22
	v_subrev_co_ci_u32_e32 v31, vcc_lo, 0, v9, vcc_lo
	s_delay_alu instid0(VALU_DEP_2)
	v_cmp_lt_u32_e32 vcc_lo, 21, v30
	v_cmp_eq_u32_e64 s0, 0, v9
	v_cndmask_b32_e64 v30, 0, -1, vcc_lo
	v_add_co_u32 v35, vcc_lo, v32, 2
	v_add_co_ci_u32_e32 v36, vcc_lo, 0, v34, vcc_lo
	v_cmp_lt_u32_e32 vcc_lo, 21, v8
	v_cndmask_b32_e64 v8, 0, -1, vcc_lo
	v_cmp_eq_u32_e32 vcc_lo, 0, v31
	s_delay_alu instid0(VALU_DEP_2) | instskip(SKIP_3) | instid1(VALU_DEP_3)
	v_cndmask_b32_e64 v8, -1, v8, s0
	v_cndmask_b32_e32 v30, -1, v30, vcc_lo
	v_add_co_u32 v31, vcc_lo, v32, 1
	v_add_co_ci_u32_e32 v37, vcc_lo, 0, v34, vcc_lo
	v_cmp_ne_u32_e32 vcc_lo, 0, v30
	s_delay_alu instid0(VALU_DEP_2) | instskip(SKIP_1) | instid1(VALU_DEP_2)
	v_dual_cndmask_b32 v9, v37, v36 :: v_dual_cndmask_b32 v30, v31, v35
	v_cmp_ne_u32_e32 vcc_lo, 0, v8
	v_dual_cndmask_b32 v9, v34, v9 :: v_dual_cndmask_b32 v8, v32, v30
	s_delay_alu instid0(VALU_DEP_1)
	v_cmp_eq_u64_e32 vcc_lo, v[8:9], v[0:1]
	s_and_b32 exec_lo, exec_lo, vcc_lo
	s_cbranch_execz .LBB410_492
; %bb.412:
	v_mul_hi_u32_u24_e32 v1, 22, v0
	v_sub_co_u32 v0, vcc_lo, v2, v33
	s_mov_b32 s0, 0
	s_mov_b32 s4, 0
	s_delay_alu instid0(VALU_DEP_2) | instskip(SKIP_1) | instid1(VALU_DEP_1)
	v_sub_co_ci_u32_e32 v1, vcc_lo, v3, v1, vcc_lo
	s_mov_b32 s3, exec_lo
	v_cmpx_lt_i64_e32 10, v[0:1]
	s_xor_b32 s3, exec_lo, s3
	s_cbranch_execnz .LBB410_416
; %bb.413:
	s_or_saveexec_b32 s3, s3
	s_mov_b32 s5, 0
	s_xor_b32 exec_lo, exec_lo, s3
	s_cbranch_execnz .LBB410_457
.LBB410_414:
	s_or_b32 exec_lo, exec_lo, s3
	s_and_saveexec_b32 s3, s4
	s_cbranch_execnz .LBB410_468
.LBB410_415:
	s_or_b32 exec_lo, exec_lo, s3
	s_and_saveexec_b32 s3, s0
	s_cbranch_execnz .LBB410_469
	s_branch .LBB410_473
.LBB410_416:
	s_mov_b32 s5, 0
	s_mov_b32 s4, exec_lo
	v_cmpx_lt_i64_e32 15, v[0:1]
	s_xor_b32 s4, exec_lo, s4
	s_cbranch_execz .LBB410_438
; %bb.417:
	s_mov_b32 s6, exec_lo
                                        ; implicit-def: $vgpr16
	v_cmpx_lt_i64_e32 18, v[0:1]
	s_xor_b32 s6, exec_lo, s6
	s_cbranch_execz .LBB410_427
; %bb.418:
	s_mov_b32 s7, 0
	s_mov_b32 s5, exec_lo
                                        ; implicit-def: $vgpr16
	v_cmpx_lt_i64_e32 19, v[0:1]
	s_xor_b32 s5, exec_lo, s5
	s_cbranch_execz .LBB410_424
; %bb.419:
	s_mov_b32 s7, exec_lo
	v_cmpx_lt_i64_e32 20, v[0:1]
	s_xor_b32 s7, exec_lo, s7
	s_cbranch_execz .LBB410_421
; %bb.420:
	s_waitcnt lgkmcnt(0)
	flat_store_b16 v[4:5], v29
                                        ; implicit-def: $vgpr21
.LBB410_421:
	s_or_saveexec_b32 s7, s7
	s_mov_b32 s8, 0
	s_xor_b32 exec_lo, exec_lo, s7
; %bb.422:
	s_delay_alu instid0(SALU_CYCLE_1)
	s_mov_b32 s8, exec_lo
; %bb.423:
	s_or_b32 exec_lo, exec_lo, s7
	s_waitcnt lgkmcnt(1)
	v_mov_b32_e32 v16, v21
	s_and_b32 s7, s8, exec_lo
                                        ; implicit-def: $vgpr28
.LBB410_424:
	s_and_not1_saveexec_b32 s5, s5
	s_cbranch_execz .LBB410_426
; %bb.425:
	s_waitcnt lgkmcnt(2)
	flat_store_b16 v[4:5], v28
                                        ; implicit-def: $vgpr16
.LBB410_426:
	s_or_b32 exec_lo, exec_lo, s5
	s_delay_alu instid0(SALU_CYCLE_1)
	s_and_b32 s5, s7, exec_lo
                                        ; implicit-def: $vgpr25
                                        ; implicit-def: $vgpr23
                                        ; implicit-def: $vgpr27
.LBB410_427:
	s_and_not1_saveexec_b32 s6, s6
	s_cbranch_execz .LBB410_437
; %bb.428:
	s_mov_b32 s7, exec_lo
	v_cmpx_lt_i64_e32 16, v[0:1]
	s_xor_b32 s7, exec_lo, s7
	s_cbranch_execz .LBB410_434
; %bb.429:
	s_mov_b32 s8, exec_lo
	v_cmpx_lt_i64_e32 17, v[0:1]
	s_xor_b32 s8, exec_lo, s8
	s_cbranch_execz .LBB410_431
; %bb.430:
	s_waitcnt lgkmcnt(3)
	flat_store_b16 v[4:5], v27
                                        ; implicit-def: $vgpr23
.LBB410_431:
	s_and_not1_saveexec_b32 s8, s8
	s_cbranch_execz .LBB410_433
; %bb.432:
	s_waitcnt lgkmcnt(4)
	flat_store_b16 v[4:5], v23
.LBB410_433:
	s_or_b32 exec_lo, exec_lo, s8
                                        ; implicit-def: $vgpr25
.LBB410_434:
	s_and_not1_saveexec_b32 s7, s7
	s_cbranch_execz .LBB410_436
; %bb.435:
	s_waitcnt lgkmcnt(5)
	flat_store_b16 v[4:5], v25
.LBB410_436:
	s_or_b32 exec_lo, exec_lo, s7
                                        ; implicit-def: $vgpr16
.LBB410_437:
	s_delay_alu instid0(SALU_CYCLE_1) | instskip(NEXT) | instid1(SALU_CYCLE_1)
	s_or_b32 exec_lo, exec_lo, s6
	s_and_b32 s5, s5, exec_lo
                                        ; implicit-def: $vgpr24
                                        ; implicit-def: $vgpr22
                                        ; implicit-def: $vgpr20
                                        ; implicit-def: $vgpr26
.LBB410_438:
	s_and_not1_saveexec_b32 s4, s4
	s_cbranch_execz .LBB410_456
; %bb.439:
	s_mov_b32 s6, exec_lo
	v_cmpx_lt_i64_e32 12, v[0:1]
	s_xor_b32 s6, exec_lo, s6
	s_cbranch_execz .LBB410_449
; %bb.440:
	s_mov_b32 s7, exec_lo
	v_cmpx_lt_i64_e32 13, v[0:1]
	s_xor_b32 s7, exec_lo, s7
	;; [unrolled: 5-line block ×3, first 2 shown]
	s_cbranch_execz .LBB410_443
; %bb.442:
	s_waitcnt lgkmcnt(6)
	flat_store_b16 v[4:5], v26
                                        ; implicit-def: $vgpr20
.LBB410_443:
	s_and_not1_saveexec_b32 s8, s8
	s_cbranch_execz .LBB410_445
; %bb.444:
	s_waitcnt lgkmcnt(7)
	flat_store_b16 v[4:5], v20
.LBB410_445:
	s_or_b32 exec_lo, exec_lo, s8
                                        ; implicit-def: $vgpr24
.LBB410_446:
	s_and_not1_saveexec_b32 s7, s7
	s_cbranch_execz .LBB410_448
; %bb.447:
	s_waitcnt lgkmcnt(8)
	flat_store_b16 v[4:5], v24
.LBB410_448:
	s_or_b32 exec_lo, exec_lo, s7
                                        ; implicit-def: $vgpr16
                                        ; implicit-def: $vgpr22
.LBB410_449:
	s_or_saveexec_b32 s6, s6
	s_mov_b32 s7, s5
	s_xor_b32 exec_lo, exec_lo, s6
	s_cbranch_execz .LBB410_455
; %bb.450:
	s_mov_b32 s7, exec_lo
	v_cmpx_lt_i64_e32 11, v[0:1]
	s_xor_b32 s7, exec_lo, s7
	s_cbranch_execz .LBB410_452
; %bb.451:
	s_waitcnt lgkmcnt(9)
	flat_store_b16 v[4:5], v22
                                        ; implicit-def: $vgpr16
.LBB410_452:
	s_or_saveexec_b32 s7, s7
	s_mov_b32 s8, s5
	s_xor_b32 exec_lo, exec_lo, s7
; %bb.453:
	s_delay_alu instid0(SALU_CYCLE_1)
	s_or_b32 s8, s5, exec_lo
; %bb.454:
	s_or_b32 exec_lo, exec_lo, s7
	s_delay_alu instid0(SALU_CYCLE_1) | instskip(SKIP_1) | instid1(SALU_CYCLE_1)
	s_and_not1_b32 s7, s5, exec_lo
	s_and_b32 s8, s8, exec_lo
	s_or_b32 s7, s7, s8
.LBB410_455:
	s_or_b32 exec_lo, exec_lo, s6
	s_delay_alu instid0(SALU_CYCLE_1) | instskip(SKIP_1) | instid1(SALU_CYCLE_1)
	s_and_not1_b32 s5, s5, exec_lo
	s_and_b32 s6, s7, exec_lo
	s_or_b32 s5, s5, s6
.LBB410_456:
	s_or_b32 exec_lo, exec_lo, s4
	s_delay_alu instid0(SALU_CYCLE_1)
	s_and_b32 s4, s5, exec_lo
                                        ; implicit-def: $vgpr18
                                        ; implicit-def: $vgpr19
                                        ; implicit-def: $vgpr17
	s_or_saveexec_b32 s3, s3
	s_mov_b32 s5, 0
	s_xor_b32 exec_lo, exec_lo, s3
	s_cbranch_execz .LBB410_414
.LBB410_457:
	s_mov_b32 s6, 0
	s_mov_b32 s5, -1
	s_mov_b32 s7, s4
	s_mov_b32 s0, exec_lo
                                        ; implicit-def: $vgpr16
	v_cmpx_lt_i64_e32 5, v[0:1]
	s_cbranch_execz .LBB410_467
; %bb.458:
	s_mov_b32 s6, -1
	s_mov_b32 s7, s4
	s_mov_b32 s5, exec_lo
	v_cmpx_lt_i64_e32 7, v[0:1]
	s_cbranch_execz .LBB410_466
; %bb.459:
	s_mov_b32 s6, exec_lo
	v_cmpx_lt_i64_e32 8, v[0:1]
	s_cbranch_execz .LBB410_465
; %bb.460:
	s_mov_b32 s7, exec_lo
	v_cmpx_lt_i64_e32 9, v[0:1]
	s_xor_b32 s7, exec_lo, s7
; %bb.461:
                                        ; implicit-def: $vgpr19
; %bb.462:
	s_delay_alu instid0(SALU_CYCLE_1)
	s_and_not1_saveexec_b32 s7, s7
	s_cbranch_execz .LBB410_464
; %bb.463:
	s_waitcnt lgkmcnt(11)
	v_mov_b32_e32 v17, v19
.LBB410_464:
	s_or_b32 exec_lo, exec_lo, s7
	s_waitcnt lgkmcnt(11)
	s_delay_alu instid0(VALU_DEP_1)
	v_mov_b32_e32 v18, v17
.LBB410_465:
	s_or_b32 exec_lo, exec_lo, s6
	s_delay_alu instid0(SALU_CYCLE_1)
	s_xor_b32 s6, exec_lo, -1
	s_or_b32 s7, s4, exec_lo
.LBB410_466:
	s_or_b32 exec_lo, exec_lo, s5
	s_waitcnt lgkmcnt(10)
	v_mov_b32_e32 v16, v18
	s_and_not1_b32 s8, s4, exec_lo
	s_and_b32 s7, s7, exec_lo
	s_xor_b32 s5, exec_lo, -1
	s_and_b32 s6, s6, exec_lo
	s_or_b32 s7, s8, s7
.LBB410_467:
	s_or_b32 exec_lo, exec_lo, s0
	s_delay_alu instid0(SALU_CYCLE_1)
	s_and_not1_b32 s4, s4, exec_lo
	s_and_b32 s7, s7, exec_lo
	s_and_b32 s5, s5, exec_lo
	;; [unrolled: 1-line block ×3, first 2 shown]
	s_or_b32 s4, s4, s7
	s_or_b32 exec_lo, exec_lo, s3
	s_and_saveexec_b32 s3, s4
	s_cbranch_execz .LBB410_415
.LBB410_468:
	s_waitcnt lgkmcnt(10)
	flat_store_b16 v[4:5], v16
	s_or_b32 exec_lo, exec_lo, s3
	s_and_saveexec_b32 s3, s0
	s_cbranch_execz .LBB410_473
.LBB410_469:
	s_mov_b32 s0, exec_lo
	v_cmpx_lt_i64_e32 6, v[0:1]
	s_xor_b32 s0, exec_lo, s0
	s_cbranch_execz .LBB410_471
; %bb.470:
	s_waitcnt lgkmcnt(14)
	flat_store_b16 v[4:5], v15
                                        ; implicit-def: $vgpr14
.LBB410_471:
	s_and_not1_saveexec_b32 s0, s0
	s_cbranch_execz .LBB410_473
; %bb.472:
	s_waitcnt lgkmcnt(15)
	flat_store_b16 v[4:5], v14
.LBB410_473:
	s_or_b32 exec_lo, exec_lo, s3
	s_delay_alu instid0(SALU_CYCLE_1)
	s_and_b32 exec_lo, exec_lo, s5
	s_cbranch_execz .LBB410_492
; %bb.474:
	s_mov_b32 s0, exec_lo
	v_cmpx_lt_i64_e32 2, v[0:1]
	s_xor_b32 s0, exec_lo, s0
	s_cbranch_execz .LBB410_484
; %bb.475:
	s_mov_b32 s3, exec_lo
	v_cmpx_lt_i64_e32 3, v[0:1]
	s_xor_b32 s3, exec_lo, s3
	;; [unrolled: 5-line block ×3, first 2 shown]
	s_cbranch_execz .LBB410_478
; %bb.477:
	s_waitcnt lgkmcnt(16)
	flat_store_b16 v[4:5], v13
                                        ; implicit-def: $vgpr4_vgpr5
                                        ; implicit-def: $vgpr10
.LBB410_478:
	s_and_not1_saveexec_b32 s4, s4
	s_cbranch_execz .LBB410_480
; %bb.479:
	flat_store_b16 v[4:5], v10
.LBB410_480:
	s_or_b32 exec_lo, exec_lo, s4
                                        ; implicit-def: $vgpr4_vgpr5
                                        ; implicit-def: $vgpr12
.LBB410_481:
	s_and_not1_saveexec_b32 s3, s3
	s_cbranch_execz .LBB410_483
; %bb.482:
	flat_store_b16 v[4:5], v12
.LBB410_483:
	s_or_b32 exec_lo, exec_lo, s3
                                        ; implicit-def: $vgpr0_vgpr1
                                        ; implicit-def: $vgpr4_vgpr5
                                        ; implicit-def: $vgpr11
                                        ; implicit-def: $vgpr6
                                        ; implicit-def: $vgpr7
.LBB410_484:
	s_and_not1_saveexec_b32 s0, s0
	s_cbranch_execz .LBB410_492
; %bb.485:
	s_mov_b32 s0, exec_lo
	v_cmpx_lt_i64_e32 1, v[0:1]
	s_xor_b32 s0, exec_lo, s0
	s_cbranch_execz .LBB410_487
; %bb.486:
	flat_store_b16 v[4:5], v11
                                        ; implicit-def: $vgpr4_vgpr5
                                        ; implicit-def: $vgpr6
                                        ; implicit-def: $vgpr0_vgpr1
                                        ; implicit-def: $vgpr7
.LBB410_487:
	s_and_not1_saveexec_b32 s0, s0
	s_cbranch_execz .LBB410_492
; %bb.488:
	s_mov_b32 s0, exec_lo
	v_cmpx_ne_u64_e32 1, v[0:1]
	s_xor_b32 s0, exec_lo, s0
	s_cbranch_execz .LBB410_490
; %bb.489:
	flat_store_b16 v[4:5], v7
                                        ; implicit-def: $vgpr4_vgpr5
                                        ; implicit-def: $vgpr6
.LBB410_490:
	s_and_not1_saveexec_b32 s0, s0
	s_cbranch_execz .LBB410_492
; %bb.491:
	flat_store_b16 v[4:5], v6
.LBB410_492:
	s_or_b32 exec_lo, exec_lo, s2
.LBB410_493:
	s_delay_alu instid0(SALU_CYCLE_1)
	s_or_b32 exec_lo, exec_lo, s1
	v_readlane_b32 s30, v40, 0
	v_readlane_b32 s31, v40, 1
	s_or_saveexec_b32 s0, -1
	scratch_load_b32 v40, off, s32          ; 4-byte Folded Reload
	s_mov_b32 exec_lo, s0
	s_waitcnt vmcnt(0) lgkmcnt(0)
	s_setpc_b64 s[30:31]
.Lfunc_end410:
	.size	_ZZZN7rocprim17ROCPRIM_400000_NS6detail9scan_implILNS1_25lookback_scan_determinismE0ELb0ELb0ENS0_14default_configEPKN3c104HalfEPS6_S6_ZZZN2at6native31launch_logcumsumexp_cuda_kernelERKNSA_10TensorBaseESE_lENKUlvE_clEvENKUlvE3_clEvEUlS6_S6_E_S6_EEDaPvRmT3_T4_T5_mT6_P12ihipStream_tbENKUlT_T0_E_clISt17integral_constantIbLb1EESU_IbLb0EEEEDaSQ_SR_ENKUlSQ_E_clINS1_13target_configIS4_NS1_20scan_config_selectorIS6_EENS1_11comp_targetILNS1_3genE9ELNS1_11target_archE1100ELNS1_3gpuE3ELNS1_3repE0EEELNS0_4arch9wavefront6targetE0EEEEEDaSQ_, .Lfunc_end410-_ZZZN7rocprim17ROCPRIM_400000_NS6detail9scan_implILNS1_25lookback_scan_determinismE0ELb0ELb0ENS0_14default_configEPKN3c104HalfEPS6_S6_ZZZN2at6native31launch_logcumsumexp_cuda_kernelERKNSA_10TensorBaseESE_lENKUlvE_clEvENKUlvE3_clEvEUlS6_S6_E_S6_EEDaPvRmT3_T4_T5_mT6_P12ihipStream_tbENKUlT_T0_E_clISt17integral_constantIbLb1EESU_IbLb0EEEEDaSQ_SR_ENKUlSQ_E_clINS1_13target_configIS4_NS1_20scan_config_selectorIS6_EENS1_11comp_targetILNS1_3genE9ELNS1_11target_archE1100ELNS1_3gpuE3ELNS1_3repE0EEELNS0_4arch9wavefront6targetE0EEEEEDaSQ_
                                        ; -- End function
	.section	.AMDGPU.csdata,"",@progbits
; Function info:
; codeLenInByte = 113792
; NumSgprs: 38
; NumVgprs: 151
; ScratchSize: 8
; MemoryBound: 0
	.section	.text._ZN7rocprim17ROCPRIM_400000_NS6detail17trampoline_kernelINS0_14default_configENS1_20scan_config_selectorIN3c104HalfEEEZZNS1_9scan_implILNS1_25lookback_scan_determinismE0ELb0ELb0ES3_PKS6_PS6_S6_ZZZN2at6native31launch_logcumsumexp_cuda_kernelERKNSD_10TensorBaseESH_lENKUlvE_clEvENKUlvE3_clEvEUlS6_S6_E_S6_EEDaPvRmT3_T4_T5_mT6_P12ihipStream_tbENKUlT_T0_E_clISt17integral_constantIbLb1EESX_IbLb0EEEEDaST_SU_EUlST_E_NS1_11comp_targetILNS1_3genE9ELNS1_11target_archE1100ELNS1_3gpuE3ELNS1_3repE0EEENS1_30default_config_static_selectorELNS0_4arch9wavefront6targetE0EEEvT1_,"axG",@progbits,_ZN7rocprim17ROCPRIM_400000_NS6detail17trampoline_kernelINS0_14default_configENS1_20scan_config_selectorIN3c104HalfEEEZZNS1_9scan_implILNS1_25lookback_scan_determinismE0ELb0ELb0ES3_PKS6_PS6_S6_ZZZN2at6native31launch_logcumsumexp_cuda_kernelERKNSD_10TensorBaseESH_lENKUlvE_clEvENKUlvE3_clEvEUlS6_S6_E_S6_EEDaPvRmT3_T4_T5_mT6_P12ihipStream_tbENKUlT_T0_E_clISt17integral_constantIbLb1EESX_IbLb0EEEEDaST_SU_EUlST_E_NS1_11comp_targetILNS1_3genE9ELNS1_11target_archE1100ELNS1_3gpuE3ELNS1_3repE0EEENS1_30default_config_static_selectorELNS0_4arch9wavefront6targetE0EEEvT1_,comdat
	.globl	_ZN7rocprim17ROCPRIM_400000_NS6detail17trampoline_kernelINS0_14default_configENS1_20scan_config_selectorIN3c104HalfEEEZZNS1_9scan_implILNS1_25lookback_scan_determinismE0ELb0ELb0ES3_PKS6_PS6_S6_ZZZN2at6native31launch_logcumsumexp_cuda_kernelERKNSD_10TensorBaseESH_lENKUlvE_clEvENKUlvE3_clEvEUlS6_S6_E_S6_EEDaPvRmT3_T4_T5_mT6_P12ihipStream_tbENKUlT_T0_E_clISt17integral_constantIbLb1EESX_IbLb0EEEEDaST_SU_EUlST_E_NS1_11comp_targetILNS1_3genE9ELNS1_11target_archE1100ELNS1_3gpuE3ELNS1_3repE0EEENS1_30default_config_static_selectorELNS0_4arch9wavefront6targetE0EEEvT1_ ; -- Begin function _ZN7rocprim17ROCPRIM_400000_NS6detail17trampoline_kernelINS0_14default_configENS1_20scan_config_selectorIN3c104HalfEEEZZNS1_9scan_implILNS1_25lookback_scan_determinismE0ELb0ELb0ES3_PKS6_PS6_S6_ZZZN2at6native31launch_logcumsumexp_cuda_kernelERKNSD_10TensorBaseESH_lENKUlvE_clEvENKUlvE3_clEvEUlS6_S6_E_S6_EEDaPvRmT3_T4_T5_mT6_P12ihipStream_tbENKUlT_T0_E_clISt17integral_constantIbLb1EESX_IbLb0EEEEDaST_SU_EUlST_E_NS1_11comp_targetILNS1_3genE9ELNS1_11target_archE1100ELNS1_3gpuE3ELNS1_3repE0EEENS1_30default_config_static_selectorELNS0_4arch9wavefront6targetE0EEEvT1_
	.p2align	8
	.type	_ZN7rocprim17ROCPRIM_400000_NS6detail17trampoline_kernelINS0_14default_configENS1_20scan_config_selectorIN3c104HalfEEEZZNS1_9scan_implILNS1_25lookback_scan_determinismE0ELb0ELb0ES3_PKS6_PS6_S6_ZZZN2at6native31launch_logcumsumexp_cuda_kernelERKNSD_10TensorBaseESH_lENKUlvE_clEvENKUlvE3_clEvEUlS6_S6_E_S6_EEDaPvRmT3_T4_T5_mT6_P12ihipStream_tbENKUlT_T0_E_clISt17integral_constantIbLb1EESX_IbLb0EEEEDaST_SU_EUlST_E_NS1_11comp_targetILNS1_3genE9ELNS1_11target_archE1100ELNS1_3gpuE3ELNS1_3repE0EEENS1_30default_config_static_selectorELNS0_4arch9wavefront6targetE0EEEvT1_,@function
_ZN7rocprim17ROCPRIM_400000_NS6detail17trampoline_kernelINS0_14default_configENS1_20scan_config_selectorIN3c104HalfEEEZZNS1_9scan_implILNS1_25lookback_scan_determinismE0ELb0ELb0ES3_PKS6_PS6_S6_ZZZN2at6native31launch_logcumsumexp_cuda_kernelERKNSD_10TensorBaseESH_lENKUlvE_clEvENKUlvE3_clEvEUlS6_S6_E_S6_EEDaPvRmT3_T4_T5_mT6_P12ihipStream_tbENKUlT_T0_E_clISt17integral_constantIbLb1EESX_IbLb0EEEEDaST_SU_EUlST_E_NS1_11comp_targetILNS1_3genE9ELNS1_11target_archE1100ELNS1_3gpuE3ELNS1_3repE0EEENS1_30default_config_static_selectorELNS0_4arch9wavefront6targetE0EEEvT1_: ; @_ZN7rocprim17ROCPRIM_400000_NS6detail17trampoline_kernelINS0_14default_configENS1_20scan_config_selectorIN3c104HalfEEEZZNS1_9scan_implILNS1_25lookback_scan_determinismE0ELb0ELb0ES3_PKS6_PS6_S6_ZZZN2at6native31launch_logcumsumexp_cuda_kernelERKNSD_10TensorBaseESH_lENKUlvE_clEvENKUlvE3_clEvEUlS6_S6_E_S6_EEDaPvRmT3_T4_T5_mT6_P12ihipStream_tbENKUlT_T0_E_clISt17integral_constantIbLb1EESX_IbLb0EEEEDaST_SU_EUlST_E_NS1_11comp_targetILNS1_3genE9ELNS1_11target_archE1100ELNS1_3gpuE3ELNS1_3repE0EEENS1_30default_config_static_selectorELNS0_4arch9wavefront6targetE0EEEvT1_
; %bb.0:
	s_clause 0x2
	s_load_b256 s[16:23], s[0:1], 0x0
	s_load_b256 s[24:31], s[0:1], 0x20
	;; [unrolled: 1-line block ×3, first 2 shown]
	v_mov_b32_e32 v31, v0
	s_mov_b64 s[2:3], src_private_base
	s_add_u32 s8, s0, 0x60
	s_mov_b32 s12, s15
	s_addc_u32 s9, s1, 0
	s_movk_i32 s32, 0x70
	s_getpc_b64 s[0:1]
	s_add_u32 s0, s0, _ZZZN7rocprim17ROCPRIM_400000_NS6detail9scan_implILNS1_25lookback_scan_determinismE0ELb0ELb0ENS0_14default_configEPKN3c104HalfEPS6_S6_ZZZN2at6native31launch_logcumsumexp_cuda_kernelERKNSA_10TensorBaseESE_lENKUlvE_clEvENKUlvE3_clEvEUlS6_S6_E_S6_EEDaPvRmT3_T4_T5_mT6_P12ihipStream_tbENKUlT_T0_E_clISt17integral_constantIbLb1EESU_IbLb0EEEEDaSQ_SR_ENKUlSQ_E_clINS1_13target_configIS4_NS1_20scan_config_selectorIS6_EENS1_11comp_targetILNS1_3genE9ELNS1_11target_archE1100ELNS1_3gpuE3ELNS1_3repE0EEELNS0_4arch9wavefront6targetE0EEEEEDaSQ_@rel32@lo+4
	s_addc_u32 s1, s1, _ZZZN7rocprim17ROCPRIM_400000_NS6detail9scan_implILNS1_25lookback_scan_determinismE0ELb0ELb0ENS0_14default_configEPKN3c104HalfEPS6_S6_ZZZN2at6native31launch_logcumsumexp_cuda_kernelERKNSA_10TensorBaseESE_lENKUlvE_clEvENKUlvE3_clEvEUlS6_S6_E_S6_EEDaPvRmT3_T4_T5_mT6_P12ihipStream_tbENKUlT_T0_E_clISt17integral_constantIbLb1EESU_IbLb0EEEEDaSQ_SR_ENKUlSQ_E_clINS1_13target_configIS4_NS1_20scan_config_selectorIS6_EENS1_11comp_targetILNS1_3genE9ELNS1_11target_archE1100ELNS1_3gpuE3ELNS1_3repE0EEELNS0_4arch9wavefront6targetE0EEEEEDaSQ_@rel32@hi+12
	s_waitcnt lgkmcnt(0)
	v_dual_mov_b32 v0, s16 :: v_dual_mov_b32 v1, s17
	v_dual_mov_b32 v2, s18 :: v_dual_mov_b32 v3, s19
	v_dual_mov_b32 v4, s20 :: v_dual_mov_b32 v5, s21
	v_dual_mov_b32 v6, s22 :: v_dual_mov_b32 v7, s23
	v_dual_mov_b32 v8, s24 :: v_dual_mov_b32 v9, s25
	v_dual_mov_b32 v10, s26 :: v_dual_mov_b32 v11, s27
	v_dual_mov_b32 v12, s28 :: v_dual_mov_b32 v13, s29
	v_dual_mov_b32 v14, s30 :: v_dual_mov_b32 v15, s31
	v_dual_mov_b32 v16, s36 :: v_dual_mov_b32 v17, s37
	v_dual_mov_b32 v18, s38 :: v_dual_mov_b32 v19, s39
	v_dual_mov_b32 v20, s40 :: v_dual_mov_b32 v21, s41
	v_dual_mov_b32 v22, s42 :: v_dual_mov_b32 v23, s43
	s_clause 0x5
	scratch_store_b128 off, v[0:3], off
	scratch_store_b128 off, v[4:7], off offset:16
	scratch_store_b128 off, v[8:11], off offset:32
	;; [unrolled: 1-line block ×5, first 2 shown]
	v_dual_mov_b32 v0, 0 :: v_dual_mov_b32 v1, s3
	s_swappc_b64 s[30:31], s[0:1]
	s_endpgm
	.section	.rodata,"a",@progbits
	.p2align	6, 0x0
	.amdhsa_kernel _ZN7rocprim17ROCPRIM_400000_NS6detail17trampoline_kernelINS0_14default_configENS1_20scan_config_selectorIN3c104HalfEEEZZNS1_9scan_implILNS1_25lookback_scan_determinismE0ELb0ELb0ES3_PKS6_PS6_S6_ZZZN2at6native31launch_logcumsumexp_cuda_kernelERKNSD_10TensorBaseESH_lENKUlvE_clEvENKUlvE3_clEvEUlS6_S6_E_S6_EEDaPvRmT3_T4_T5_mT6_P12ihipStream_tbENKUlT_T0_E_clISt17integral_constantIbLb1EESX_IbLb0EEEEDaST_SU_EUlST_E_NS1_11comp_targetILNS1_3genE9ELNS1_11target_archE1100ELNS1_3gpuE3ELNS1_3repE0EEENS1_30default_config_static_selectorELNS0_4arch9wavefront6targetE0EEEvT1_
		.amdhsa_group_segment_fixed_size 2816
		.amdhsa_private_segment_fixed_size 120
		.amdhsa_kernarg_size 352
		.amdhsa_user_sgpr_count 15
		.amdhsa_user_sgpr_dispatch_ptr 0
		.amdhsa_user_sgpr_queue_ptr 0
		.amdhsa_user_sgpr_kernarg_segment_ptr 1
		.amdhsa_user_sgpr_dispatch_id 0
		.amdhsa_user_sgpr_private_segment_size 0
		.amdhsa_wavefront_size32 1
		.amdhsa_uses_dynamic_stack 0
		.amdhsa_enable_private_segment 1
		.amdhsa_system_sgpr_workgroup_id_x 1
		.amdhsa_system_sgpr_workgroup_id_y 0
		.amdhsa_system_sgpr_workgroup_id_z 0
		.amdhsa_system_sgpr_workgroup_info 0
		.amdhsa_system_vgpr_workitem_id 0
		.amdhsa_next_free_vgpr 151
		.amdhsa_next_free_sgpr 44
		.amdhsa_reserve_vcc 1
		.amdhsa_float_round_mode_32 0
		.amdhsa_float_round_mode_16_64 0
		.amdhsa_float_denorm_mode_32 3
		.amdhsa_float_denorm_mode_16_64 3
		.amdhsa_dx10_clamp 1
		.amdhsa_ieee_mode 1
		.amdhsa_fp16_overflow 0
		.amdhsa_workgroup_processor_mode 1
		.amdhsa_memory_ordered 1
		.amdhsa_forward_progress 0
		.amdhsa_shared_vgpr_count 0
		.amdhsa_exception_fp_ieee_invalid_op 0
		.amdhsa_exception_fp_denorm_src 0
		.amdhsa_exception_fp_ieee_div_zero 0
		.amdhsa_exception_fp_ieee_overflow 0
		.amdhsa_exception_fp_ieee_underflow 0
		.amdhsa_exception_fp_ieee_inexact 0
		.amdhsa_exception_int_div_zero 0
	.end_amdhsa_kernel
	.section	.text._ZN7rocprim17ROCPRIM_400000_NS6detail17trampoline_kernelINS0_14default_configENS1_20scan_config_selectorIN3c104HalfEEEZZNS1_9scan_implILNS1_25lookback_scan_determinismE0ELb0ELb0ES3_PKS6_PS6_S6_ZZZN2at6native31launch_logcumsumexp_cuda_kernelERKNSD_10TensorBaseESH_lENKUlvE_clEvENKUlvE3_clEvEUlS6_S6_E_S6_EEDaPvRmT3_T4_T5_mT6_P12ihipStream_tbENKUlT_T0_E_clISt17integral_constantIbLb1EESX_IbLb0EEEEDaST_SU_EUlST_E_NS1_11comp_targetILNS1_3genE9ELNS1_11target_archE1100ELNS1_3gpuE3ELNS1_3repE0EEENS1_30default_config_static_selectorELNS0_4arch9wavefront6targetE0EEEvT1_,"axG",@progbits,_ZN7rocprim17ROCPRIM_400000_NS6detail17trampoline_kernelINS0_14default_configENS1_20scan_config_selectorIN3c104HalfEEEZZNS1_9scan_implILNS1_25lookback_scan_determinismE0ELb0ELb0ES3_PKS6_PS6_S6_ZZZN2at6native31launch_logcumsumexp_cuda_kernelERKNSD_10TensorBaseESH_lENKUlvE_clEvENKUlvE3_clEvEUlS6_S6_E_S6_EEDaPvRmT3_T4_T5_mT6_P12ihipStream_tbENKUlT_T0_E_clISt17integral_constantIbLb1EESX_IbLb0EEEEDaST_SU_EUlST_E_NS1_11comp_targetILNS1_3genE9ELNS1_11target_archE1100ELNS1_3gpuE3ELNS1_3repE0EEENS1_30default_config_static_selectorELNS0_4arch9wavefront6targetE0EEEvT1_,comdat
.Lfunc_end411:
	.size	_ZN7rocprim17ROCPRIM_400000_NS6detail17trampoline_kernelINS0_14default_configENS1_20scan_config_selectorIN3c104HalfEEEZZNS1_9scan_implILNS1_25lookback_scan_determinismE0ELb0ELb0ES3_PKS6_PS6_S6_ZZZN2at6native31launch_logcumsumexp_cuda_kernelERKNSD_10TensorBaseESH_lENKUlvE_clEvENKUlvE3_clEvEUlS6_S6_E_S6_EEDaPvRmT3_T4_T5_mT6_P12ihipStream_tbENKUlT_T0_E_clISt17integral_constantIbLb1EESX_IbLb0EEEEDaST_SU_EUlST_E_NS1_11comp_targetILNS1_3genE9ELNS1_11target_archE1100ELNS1_3gpuE3ELNS1_3repE0EEENS1_30default_config_static_selectorELNS0_4arch9wavefront6targetE0EEEvT1_, .Lfunc_end411-_ZN7rocprim17ROCPRIM_400000_NS6detail17trampoline_kernelINS0_14default_configENS1_20scan_config_selectorIN3c104HalfEEEZZNS1_9scan_implILNS1_25lookback_scan_determinismE0ELb0ELb0ES3_PKS6_PS6_S6_ZZZN2at6native31launch_logcumsumexp_cuda_kernelERKNSD_10TensorBaseESH_lENKUlvE_clEvENKUlvE3_clEvEUlS6_S6_E_S6_EEDaPvRmT3_T4_T5_mT6_P12ihipStream_tbENKUlT_T0_E_clISt17integral_constantIbLb1EESX_IbLb0EEEEDaST_SU_EUlST_E_NS1_11comp_targetILNS1_3genE9ELNS1_11target_archE1100ELNS1_3gpuE3ELNS1_3repE0EEENS1_30default_config_static_selectorELNS0_4arch9wavefront6targetE0EEEvT1_
                                        ; -- End function
	.section	.AMDGPU.csdata,"",@progbits
; Kernel info:
; codeLenInByte = 244
; NumSgprs: 46
; NumVgprs: 151
; ScratchSize: 120
; MemoryBound: 0
; FloatMode: 240
; IeeeMode: 1
; LDSByteSize: 2816 bytes/workgroup (compile time only)
; SGPRBlocks: 5
; VGPRBlocks: 18
; NumSGPRsForWavesPerEU: 46
; NumVGPRsForWavesPerEU: 151
; Occupancy: 9
; WaveLimiterHint : 1
; COMPUTE_PGM_RSRC2:SCRATCH_EN: 1
; COMPUTE_PGM_RSRC2:USER_SGPR: 15
; COMPUTE_PGM_RSRC2:TRAP_HANDLER: 0
; COMPUTE_PGM_RSRC2:TGID_X_EN: 1
; COMPUTE_PGM_RSRC2:TGID_Y_EN: 0
; COMPUTE_PGM_RSRC2:TGID_Z_EN: 0
; COMPUTE_PGM_RSRC2:TIDIG_COMP_CNT: 0
	.section	.text._ZN7rocprim17ROCPRIM_400000_NS6detail17trampoline_kernelINS0_14default_configENS1_20scan_config_selectorIN3c104HalfEEEZZNS1_9scan_implILNS1_25lookback_scan_determinismE0ELb0ELb0ES3_PKS6_PS6_S6_ZZZN2at6native31launch_logcumsumexp_cuda_kernelERKNSD_10TensorBaseESH_lENKUlvE_clEvENKUlvE3_clEvEUlS6_S6_E_S6_EEDaPvRmT3_T4_T5_mT6_P12ihipStream_tbENKUlT_T0_E_clISt17integral_constantIbLb1EESX_IbLb0EEEEDaST_SU_EUlST_E_NS1_11comp_targetILNS1_3genE8ELNS1_11target_archE1030ELNS1_3gpuE2ELNS1_3repE0EEENS1_30default_config_static_selectorELNS0_4arch9wavefront6targetE0EEEvT1_,"axG",@progbits,_ZN7rocprim17ROCPRIM_400000_NS6detail17trampoline_kernelINS0_14default_configENS1_20scan_config_selectorIN3c104HalfEEEZZNS1_9scan_implILNS1_25lookback_scan_determinismE0ELb0ELb0ES3_PKS6_PS6_S6_ZZZN2at6native31launch_logcumsumexp_cuda_kernelERKNSD_10TensorBaseESH_lENKUlvE_clEvENKUlvE3_clEvEUlS6_S6_E_S6_EEDaPvRmT3_T4_T5_mT6_P12ihipStream_tbENKUlT_T0_E_clISt17integral_constantIbLb1EESX_IbLb0EEEEDaST_SU_EUlST_E_NS1_11comp_targetILNS1_3genE8ELNS1_11target_archE1030ELNS1_3gpuE2ELNS1_3repE0EEENS1_30default_config_static_selectorELNS0_4arch9wavefront6targetE0EEEvT1_,comdat
	.globl	_ZN7rocprim17ROCPRIM_400000_NS6detail17trampoline_kernelINS0_14default_configENS1_20scan_config_selectorIN3c104HalfEEEZZNS1_9scan_implILNS1_25lookback_scan_determinismE0ELb0ELb0ES3_PKS6_PS6_S6_ZZZN2at6native31launch_logcumsumexp_cuda_kernelERKNSD_10TensorBaseESH_lENKUlvE_clEvENKUlvE3_clEvEUlS6_S6_E_S6_EEDaPvRmT3_T4_T5_mT6_P12ihipStream_tbENKUlT_T0_E_clISt17integral_constantIbLb1EESX_IbLb0EEEEDaST_SU_EUlST_E_NS1_11comp_targetILNS1_3genE8ELNS1_11target_archE1030ELNS1_3gpuE2ELNS1_3repE0EEENS1_30default_config_static_selectorELNS0_4arch9wavefront6targetE0EEEvT1_ ; -- Begin function _ZN7rocprim17ROCPRIM_400000_NS6detail17trampoline_kernelINS0_14default_configENS1_20scan_config_selectorIN3c104HalfEEEZZNS1_9scan_implILNS1_25lookback_scan_determinismE0ELb0ELb0ES3_PKS6_PS6_S6_ZZZN2at6native31launch_logcumsumexp_cuda_kernelERKNSD_10TensorBaseESH_lENKUlvE_clEvENKUlvE3_clEvEUlS6_S6_E_S6_EEDaPvRmT3_T4_T5_mT6_P12ihipStream_tbENKUlT_T0_E_clISt17integral_constantIbLb1EESX_IbLb0EEEEDaST_SU_EUlST_E_NS1_11comp_targetILNS1_3genE8ELNS1_11target_archE1030ELNS1_3gpuE2ELNS1_3repE0EEENS1_30default_config_static_selectorELNS0_4arch9wavefront6targetE0EEEvT1_
	.p2align	8
	.type	_ZN7rocprim17ROCPRIM_400000_NS6detail17trampoline_kernelINS0_14default_configENS1_20scan_config_selectorIN3c104HalfEEEZZNS1_9scan_implILNS1_25lookback_scan_determinismE0ELb0ELb0ES3_PKS6_PS6_S6_ZZZN2at6native31launch_logcumsumexp_cuda_kernelERKNSD_10TensorBaseESH_lENKUlvE_clEvENKUlvE3_clEvEUlS6_S6_E_S6_EEDaPvRmT3_T4_T5_mT6_P12ihipStream_tbENKUlT_T0_E_clISt17integral_constantIbLb1EESX_IbLb0EEEEDaST_SU_EUlST_E_NS1_11comp_targetILNS1_3genE8ELNS1_11target_archE1030ELNS1_3gpuE2ELNS1_3repE0EEENS1_30default_config_static_selectorELNS0_4arch9wavefront6targetE0EEEvT1_,@function
_ZN7rocprim17ROCPRIM_400000_NS6detail17trampoline_kernelINS0_14default_configENS1_20scan_config_selectorIN3c104HalfEEEZZNS1_9scan_implILNS1_25lookback_scan_determinismE0ELb0ELb0ES3_PKS6_PS6_S6_ZZZN2at6native31launch_logcumsumexp_cuda_kernelERKNSD_10TensorBaseESH_lENKUlvE_clEvENKUlvE3_clEvEUlS6_S6_E_S6_EEDaPvRmT3_T4_T5_mT6_P12ihipStream_tbENKUlT_T0_E_clISt17integral_constantIbLb1EESX_IbLb0EEEEDaST_SU_EUlST_E_NS1_11comp_targetILNS1_3genE8ELNS1_11target_archE1030ELNS1_3gpuE2ELNS1_3repE0EEENS1_30default_config_static_selectorELNS0_4arch9wavefront6targetE0EEEvT1_: ; @_ZN7rocprim17ROCPRIM_400000_NS6detail17trampoline_kernelINS0_14default_configENS1_20scan_config_selectorIN3c104HalfEEEZZNS1_9scan_implILNS1_25lookback_scan_determinismE0ELb0ELb0ES3_PKS6_PS6_S6_ZZZN2at6native31launch_logcumsumexp_cuda_kernelERKNSD_10TensorBaseESH_lENKUlvE_clEvENKUlvE3_clEvEUlS6_S6_E_S6_EEDaPvRmT3_T4_T5_mT6_P12ihipStream_tbENKUlT_T0_E_clISt17integral_constantIbLb1EESX_IbLb0EEEEDaST_SU_EUlST_E_NS1_11comp_targetILNS1_3genE8ELNS1_11target_archE1030ELNS1_3gpuE2ELNS1_3repE0EEENS1_30default_config_static_selectorELNS0_4arch9wavefront6targetE0EEEvT1_
; %bb.0:
	.section	.rodata,"a",@progbits
	.p2align	6, 0x0
	.amdhsa_kernel _ZN7rocprim17ROCPRIM_400000_NS6detail17trampoline_kernelINS0_14default_configENS1_20scan_config_selectorIN3c104HalfEEEZZNS1_9scan_implILNS1_25lookback_scan_determinismE0ELb0ELb0ES3_PKS6_PS6_S6_ZZZN2at6native31launch_logcumsumexp_cuda_kernelERKNSD_10TensorBaseESH_lENKUlvE_clEvENKUlvE3_clEvEUlS6_S6_E_S6_EEDaPvRmT3_T4_T5_mT6_P12ihipStream_tbENKUlT_T0_E_clISt17integral_constantIbLb1EESX_IbLb0EEEEDaST_SU_EUlST_E_NS1_11comp_targetILNS1_3genE8ELNS1_11target_archE1030ELNS1_3gpuE2ELNS1_3repE0EEENS1_30default_config_static_selectorELNS0_4arch9wavefront6targetE0EEEvT1_
		.amdhsa_group_segment_fixed_size 0
		.amdhsa_private_segment_fixed_size 0
		.amdhsa_kernarg_size 96
		.amdhsa_user_sgpr_count 15
		.amdhsa_user_sgpr_dispatch_ptr 0
		.amdhsa_user_sgpr_queue_ptr 0
		.amdhsa_user_sgpr_kernarg_segment_ptr 1
		.amdhsa_user_sgpr_dispatch_id 0
		.amdhsa_user_sgpr_private_segment_size 0
		.amdhsa_wavefront_size32 1
		.amdhsa_uses_dynamic_stack 0
		.amdhsa_enable_private_segment 0
		.amdhsa_system_sgpr_workgroup_id_x 1
		.amdhsa_system_sgpr_workgroup_id_y 0
		.amdhsa_system_sgpr_workgroup_id_z 0
		.amdhsa_system_sgpr_workgroup_info 0
		.amdhsa_system_vgpr_workitem_id 0
		.amdhsa_next_free_vgpr 1
		.amdhsa_next_free_sgpr 1
		.amdhsa_reserve_vcc 0
		.amdhsa_float_round_mode_32 0
		.amdhsa_float_round_mode_16_64 0
		.amdhsa_float_denorm_mode_32 3
		.amdhsa_float_denorm_mode_16_64 3
		.amdhsa_dx10_clamp 1
		.amdhsa_ieee_mode 1
		.amdhsa_fp16_overflow 0
		.amdhsa_workgroup_processor_mode 1
		.amdhsa_memory_ordered 1
		.amdhsa_forward_progress 0
		.amdhsa_shared_vgpr_count 0
		.amdhsa_exception_fp_ieee_invalid_op 0
		.amdhsa_exception_fp_denorm_src 0
		.amdhsa_exception_fp_ieee_div_zero 0
		.amdhsa_exception_fp_ieee_overflow 0
		.amdhsa_exception_fp_ieee_underflow 0
		.amdhsa_exception_fp_ieee_inexact 0
		.amdhsa_exception_int_div_zero 0
	.end_amdhsa_kernel
	.section	.text._ZN7rocprim17ROCPRIM_400000_NS6detail17trampoline_kernelINS0_14default_configENS1_20scan_config_selectorIN3c104HalfEEEZZNS1_9scan_implILNS1_25lookback_scan_determinismE0ELb0ELb0ES3_PKS6_PS6_S6_ZZZN2at6native31launch_logcumsumexp_cuda_kernelERKNSD_10TensorBaseESH_lENKUlvE_clEvENKUlvE3_clEvEUlS6_S6_E_S6_EEDaPvRmT3_T4_T5_mT6_P12ihipStream_tbENKUlT_T0_E_clISt17integral_constantIbLb1EESX_IbLb0EEEEDaST_SU_EUlST_E_NS1_11comp_targetILNS1_3genE8ELNS1_11target_archE1030ELNS1_3gpuE2ELNS1_3repE0EEENS1_30default_config_static_selectorELNS0_4arch9wavefront6targetE0EEEvT1_,"axG",@progbits,_ZN7rocprim17ROCPRIM_400000_NS6detail17trampoline_kernelINS0_14default_configENS1_20scan_config_selectorIN3c104HalfEEEZZNS1_9scan_implILNS1_25lookback_scan_determinismE0ELb0ELb0ES3_PKS6_PS6_S6_ZZZN2at6native31launch_logcumsumexp_cuda_kernelERKNSD_10TensorBaseESH_lENKUlvE_clEvENKUlvE3_clEvEUlS6_S6_E_S6_EEDaPvRmT3_T4_T5_mT6_P12ihipStream_tbENKUlT_T0_E_clISt17integral_constantIbLb1EESX_IbLb0EEEEDaST_SU_EUlST_E_NS1_11comp_targetILNS1_3genE8ELNS1_11target_archE1030ELNS1_3gpuE2ELNS1_3repE0EEENS1_30default_config_static_selectorELNS0_4arch9wavefront6targetE0EEEvT1_,comdat
.Lfunc_end412:
	.size	_ZN7rocprim17ROCPRIM_400000_NS6detail17trampoline_kernelINS0_14default_configENS1_20scan_config_selectorIN3c104HalfEEEZZNS1_9scan_implILNS1_25lookback_scan_determinismE0ELb0ELb0ES3_PKS6_PS6_S6_ZZZN2at6native31launch_logcumsumexp_cuda_kernelERKNSD_10TensorBaseESH_lENKUlvE_clEvENKUlvE3_clEvEUlS6_S6_E_S6_EEDaPvRmT3_T4_T5_mT6_P12ihipStream_tbENKUlT_T0_E_clISt17integral_constantIbLb1EESX_IbLb0EEEEDaST_SU_EUlST_E_NS1_11comp_targetILNS1_3genE8ELNS1_11target_archE1030ELNS1_3gpuE2ELNS1_3repE0EEENS1_30default_config_static_selectorELNS0_4arch9wavefront6targetE0EEEvT1_, .Lfunc_end412-_ZN7rocprim17ROCPRIM_400000_NS6detail17trampoline_kernelINS0_14default_configENS1_20scan_config_selectorIN3c104HalfEEEZZNS1_9scan_implILNS1_25lookback_scan_determinismE0ELb0ELb0ES3_PKS6_PS6_S6_ZZZN2at6native31launch_logcumsumexp_cuda_kernelERKNSD_10TensorBaseESH_lENKUlvE_clEvENKUlvE3_clEvEUlS6_S6_E_S6_EEDaPvRmT3_T4_T5_mT6_P12ihipStream_tbENKUlT_T0_E_clISt17integral_constantIbLb1EESX_IbLb0EEEEDaST_SU_EUlST_E_NS1_11comp_targetILNS1_3genE8ELNS1_11target_archE1030ELNS1_3gpuE2ELNS1_3repE0EEENS1_30default_config_static_selectorELNS0_4arch9wavefront6targetE0EEEvT1_
                                        ; -- End function
	.section	.AMDGPU.csdata,"",@progbits
; Kernel info:
; codeLenInByte = 0
; NumSgprs: 0
; NumVgprs: 0
; ScratchSize: 0
; MemoryBound: 0
; FloatMode: 240
; IeeeMode: 1
; LDSByteSize: 0 bytes/workgroup (compile time only)
; SGPRBlocks: 0
; VGPRBlocks: 0
; NumSGPRsForWavesPerEU: 1
; NumVGPRsForWavesPerEU: 1
; Occupancy: 16
; WaveLimiterHint : 0
; COMPUTE_PGM_RSRC2:SCRATCH_EN: 0
; COMPUTE_PGM_RSRC2:USER_SGPR: 15
; COMPUTE_PGM_RSRC2:TRAP_HANDLER: 0
; COMPUTE_PGM_RSRC2:TGID_X_EN: 1
; COMPUTE_PGM_RSRC2:TGID_Y_EN: 0
; COMPUTE_PGM_RSRC2:TGID_Z_EN: 0
; COMPUTE_PGM_RSRC2:TIDIG_COMP_CNT: 0
	.section	.text._ZN7rocprim17ROCPRIM_400000_NS6detail17trampoline_kernelINS0_14default_configENS1_20scan_config_selectorIN3c104HalfEEEZZNS1_9scan_implILNS1_25lookback_scan_determinismE0ELb0ELb0ES3_PKS6_PS6_S6_ZZZN2at6native31launch_logcumsumexp_cuda_kernelERKNSD_10TensorBaseESH_lENKUlvE_clEvENKUlvE3_clEvEUlS6_S6_E_S6_EEDaPvRmT3_T4_T5_mT6_P12ihipStream_tbENKUlT_T0_E_clISt17integral_constantIbLb1EESX_IbLb0EEEEDaST_SU_EUlST_E0_NS1_11comp_targetILNS1_3genE0ELNS1_11target_archE4294967295ELNS1_3gpuE0ELNS1_3repE0EEENS1_30default_config_static_selectorELNS0_4arch9wavefront6targetE0EEEvT1_,"axG",@progbits,_ZN7rocprim17ROCPRIM_400000_NS6detail17trampoline_kernelINS0_14default_configENS1_20scan_config_selectorIN3c104HalfEEEZZNS1_9scan_implILNS1_25lookback_scan_determinismE0ELb0ELb0ES3_PKS6_PS6_S6_ZZZN2at6native31launch_logcumsumexp_cuda_kernelERKNSD_10TensorBaseESH_lENKUlvE_clEvENKUlvE3_clEvEUlS6_S6_E_S6_EEDaPvRmT3_T4_T5_mT6_P12ihipStream_tbENKUlT_T0_E_clISt17integral_constantIbLb1EESX_IbLb0EEEEDaST_SU_EUlST_E0_NS1_11comp_targetILNS1_3genE0ELNS1_11target_archE4294967295ELNS1_3gpuE0ELNS1_3repE0EEENS1_30default_config_static_selectorELNS0_4arch9wavefront6targetE0EEEvT1_,comdat
	.globl	_ZN7rocprim17ROCPRIM_400000_NS6detail17trampoline_kernelINS0_14default_configENS1_20scan_config_selectorIN3c104HalfEEEZZNS1_9scan_implILNS1_25lookback_scan_determinismE0ELb0ELb0ES3_PKS6_PS6_S6_ZZZN2at6native31launch_logcumsumexp_cuda_kernelERKNSD_10TensorBaseESH_lENKUlvE_clEvENKUlvE3_clEvEUlS6_S6_E_S6_EEDaPvRmT3_T4_T5_mT6_P12ihipStream_tbENKUlT_T0_E_clISt17integral_constantIbLb1EESX_IbLb0EEEEDaST_SU_EUlST_E0_NS1_11comp_targetILNS1_3genE0ELNS1_11target_archE4294967295ELNS1_3gpuE0ELNS1_3repE0EEENS1_30default_config_static_selectorELNS0_4arch9wavefront6targetE0EEEvT1_ ; -- Begin function _ZN7rocprim17ROCPRIM_400000_NS6detail17trampoline_kernelINS0_14default_configENS1_20scan_config_selectorIN3c104HalfEEEZZNS1_9scan_implILNS1_25lookback_scan_determinismE0ELb0ELb0ES3_PKS6_PS6_S6_ZZZN2at6native31launch_logcumsumexp_cuda_kernelERKNSD_10TensorBaseESH_lENKUlvE_clEvENKUlvE3_clEvEUlS6_S6_E_S6_EEDaPvRmT3_T4_T5_mT6_P12ihipStream_tbENKUlT_T0_E_clISt17integral_constantIbLb1EESX_IbLb0EEEEDaST_SU_EUlST_E0_NS1_11comp_targetILNS1_3genE0ELNS1_11target_archE4294967295ELNS1_3gpuE0ELNS1_3repE0EEENS1_30default_config_static_selectorELNS0_4arch9wavefront6targetE0EEEvT1_
	.p2align	8
	.type	_ZN7rocprim17ROCPRIM_400000_NS6detail17trampoline_kernelINS0_14default_configENS1_20scan_config_selectorIN3c104HalfEEEZZNS1_9scan_implILNS1_25lookback_scan_determinismE0ELb0ELb0ES3_PKS6_PS6_S6_ZZZN2at6native31launch_logcumsumexp_cuda_kernelERKNSD_10TensorBaseESH_lENKUlvE_clEvENKUlvE3_clEvEUlS6_S6_E_S6_EEDaPvRmT3_T4_T5_mT6_P12ihipStream_tbENKUlT_T0_E_clISt17integral_constantIbLb1EESX_IbLb0EEEEDaST_SU_EUlST_E0_NS1_11comp_targetILNS1_3genE0ELNS1_11target_archE4294967295ELNS1_3gpuE0ELNS1_3repE0EEENS1_30default_config_static_selectorELNS0_4arch9wavefront6targetE0EEEvT1_,@function
_ZN7rocprim17ROCPRIM_400000_NS6detail17trampoline_kernelINS0_14default_configENS1_20scan_config_selectorIN3c104HalfEEEZZNS1_9scan_implILNS1_25lookback_scan_determinismE0ELb0ELb0ES3_PKS6_PS6_S6_ZZZN2at6native31launch_logcumsumexp_cuda_kernelERKNSD_10TensorBaseESH_lENKUlvE_clEvENKUlvE3_clEvEUlS6_S6_E_S6_EEDaPvRmT3_T4_T5_mT6_P12ihipStream_tbENKUlT_T0_E_clISt17integral_constantIbLb1EESX_IbLb0EEEEDaST_SU_EUlST_E0_NS1_11comp_targetILNS1_3genE0ELNS1_11target_archE4294967295ELNS1_3gpuE0ELNS1_3repE0EEENS1_30default_config_static_selectorELNS0_4arch9wavefront6targetE0EEEvT1_: ; @_ZN7rocprim17ROCPRIM_400000_NS6detail17trampoline_kernelINS0_14default_configENS1_20scan_config_selectorIN3c104HalfEEEZZNS1_9scan_implILNS1_25lookback_scan_determinismE0ELb0ELb0ES3_PKS6_PS6_S6_ZZZN2at6native31launch_logcumsumexp_cuda_kernelERKNSD_10TensorBaseESH_lENKUlvE_clEvENKUlvE3_clEvEUlS6_S6_E_S6_EEDaPvRmT3_T4_T5_mT6_P12ihipStream_tbENKUlT_T0_E_clISt17integral_constantIbLb1EESX_IbLb0EEEEDaST_SU_EUlST_E0_NS1_11comp_targetILNS1_3genE0ELNS1_11target_archE4294967295ELNS1_3gpuE0ELNS1_3repE0EEENS1_30default_config_static_selectorELNS0_4arch9wavefront6targetE0EEEvT1_
; %bb.0:
	.section	.rodata,"a",@progbits
	.p2align	6, 0x0
	.amdhsa_kernel _ZN7rocprim17ROCPRIM_400000_NS6detail17trampoline_kernelINS0_14default_configENS1_20scan_config_selectorIN3c104HalfEEEZZNS1_9scan_implILNS1_25lookback_scan_determinismE0ELb0ELb0ES3_PKS6_PS6_S6_ZZZN2at6native31launch_logcumsumexp_cuda_kernelERKNSD_10TensorBaseESH_lENKUlvE_clEvENKUlvE3_clEvEUlS6_S6_E_S6_EEDaPvRmT3_T4_T5_mT6_P12ihipStream_tbENKUlT_T0_E_clISt17integral_constantIbLb1EESX_IbLb0EEEEDaST_SU_EUlST_E0_NS1_11comp_targetILNS1_3genE0ELNS1_11target_archE4294967295ELNS1_3gpuE0ELNS1_3repE0EEENS1_30default_config_static_selectorELNS0_4arch9wavefront6targetE0EEEvT1_
		.amdhsa_group_segment_fixed_size 0
		.amdhsa_private_segment_fixed_size 0
		.amdhsa_kernarg_size 32
		.amdhsa_user_sgpr_count 15
		.amdhsa_user_sgpr_dispatch_ptr 0
		.amdhsa_user_sgpr_queue_ptr 0
		.amdhsa_user_sgpr_kernarg_segment_ptr 1
		.amdhsa_user_sgpr_dispatch_id 0
		.amdhsa_user_sgpr_private_segment_size 0
		.amdhsa_wavefront_size32 1
		.amdhsa_uses_dynamic_stack 0
		.amdhsa_enable_private_segment 0
		.amdhsa_system_sgpr_workgroup_id_x 1
		.amdhsa_system_sgpr_workgroup_id_y 0
		.amdhsa_system_sgpr_workgroup_id_z 0
		.amdhsa_system_sgpr_workgroup_info 0
		.amdhsa_system_vgpr_workitem_id 0
		.amdhsa_next_free_vgpr 1
		.amdhsa_next_free_sgpr 1
		.amdhsa_reserve_vcc 0
		.amdhsa_float_round_mode_32 0
		.amdhsa_float_round_mode_16_64 0
		.amdhsa_float_denorm_mode_32 3
		.amdhsa_float_denorm_mode_16_64 3
		.amdhsa_dx10_clamp 1
		.amdhsa_ieee_mode 1
		.amdhsa_fp16_overflow 0
		.amdhsa_workgroup_processor_mode 1
		.amdhsa_memory_ordered 1
		.amdhsa_forward_progress 0
		.amdhsa_shared_vgpr_count 0
		.amdhsa_exception_fp_ieee_invalid_op 0
		.amdhsa_exception_fp_denorm_src 0
		.amdhsa_exception_fp_ieee_div_zero 0
		.amdhsa_exception_fp_ieee_overflow 0
		.amdhsa_exception_fp_ieee_underflow 0
		.amdhsa_exception_fp_ieee_inexact 0
		.amdhsa_exception_int_div_zero 0
	.end_amdhsa_kernel
	.section	.text._ZN7rocprim17ROCPRIM_400000_NS6detail17trampoline_kernelINS0_14default_configENS1_20scan_config_selectorIN3c104HalfEEEZZNS1_9scan_implILNS1_25lookback_scan_determinismE0ELb0ELb0ES3_PKS6_PS6_S6_ZZZN2at6native31launch_logcumsumexp_cuda_kernelERKNSD_10TensorBaseESH_lENKUlvE_clEvENKUlvE3_clEvEUlS6_S6_E_S6_EEDaPvRmT3_T4_T5_mT6_P12ihipStream_tbENKUlT_T0_E_clISt17integral_constantIbLb1EESX_IbLb0EEEEDaST_SU_EUlST_E0_NS1_11comp_targetILNS1_3genE0ELNS1_11target_archE4294967295ELNS1_3gpuE0ELNS1_3repE0EEENS1_30default_config_static_selectorELNS0_4arch9wavefront6targetE0EEEvT1_,"axG",@progbits,_ZN7rocprim17ROCPRIM_400000_NS6detail17trampoline_kernelINS0_14default_configENS1_20scan_config_selectorIN3c104HalfEEEZZNS1_9scan_implILNS1_25lookback_scan_determinismE0ELb0ELb0ES3_PKS6_PS6_S6_ZZZN2at6native31launch_logcumsumexp_cuda_kernelERKNSD_10TensorBaseESH_lENKUlvE_clEvENKUlvE3_clEvEUlS6_S6_E_S6_EEDaPvRmT3_T4_T5_mT6_P12ihipStream_tbENKUlT_T0_E_clISt17integral_constantIbLb1EESX_IbLb0EEEEDaST_SU_EUlST_E0_NS1_11comp_targetILNS1_3genE0ELNS1_11target_archE4294967295ELNS1_3gpuE0ELNS1_3repE0EEENS1_30default_config_static_selectorELNS0_4arch9wavefront6targetE0EEEvT1_,comdat
.Lfunc_end413:
	.size	_ZN7rocprim17ROCPRIM_400000_NS6detail17trampoline_kernelINS0_14default_configENS1_20scan_config_selectorIN3c104HalfEEEZZNS1_9scan_implILNS1_25lookback_scan_determinismE0ELb0ELb0ES3_PKS6_PS6_S6_ZZZN2at6native31launch_logcumsumexp_cuda_kernelERKNSD_10TensorBaseESH_lENKUlvE_clEvENKUlvE3_clEvEUlS6_S6_E_S6_EEDaPvRmT3_T4_T5_mT6_P12ihipStream_tbENKUlT_T0_E_clISt17integral_constantIbLb1EESX_IbLb0EEEEDaST_SU_EUlST_E0_NS1_11comp_targetILNS1_3genE0ELNS1_11target_archE4294967295ELNS1_3gpuE0ELNS1_3repE0EEENS1_30default_config_static_selectorELNS0_4arch9wavefront6targetE0EEEvT1_, .Lfunc_end413-_ZN7rocprim17ROCPRIM_400000_NS6detail17trampoline_kernelINS0_14default_configENS1_20scan_config_selectorIN3c104HalfEEEZZNS1_9scan_implILNS1_25lookback_scan_determinismE0ELb0ELb0ES3_PKS6_PS6_S6_ZZZN2at6native31launch_logcumsumexp_cuda_kernelERKNSD_10TensorBaseESH_lENKUlvE_clEvENKUlvE3_clEvEUlS6_S6_E_S6_EEDaPvRmT3_T4_T5_mT6_P12ihipStream_tbENKUlT_T0_E_clISt17integral_constantIbLb1EESX_IbLb0EEEEDaST_SU_EUlST_E0_NS1_11comp_targetILNS1_3genE0ELNS1_11target_archE4294967295ELNS1_3gpuE0ELNS1_3repE0EEENS1_30default_config_static_selectorELNS0_4arch9wavefront6targetE0EEEvT1_
                                        ; -- End function
	.section	.AMDGPU.csdata,"",@progbits
; Kernel info:
; codeLenInByte = 0
; NumSgprs: 0
; NumVgprs: 0
; ScratchSize: 0
; MemoryBound: 0
; FloatMode: 240
; IeeeMode: 1
; LDSByteSize: 0 bytes/workgroup (compile time only)
; SGPRBlocks: 0
; VGPRBlocks: 0
; NumSGPRsForWavesPerEU: 1
; NumVGPRsForWavesPerEU: 1
; Occupancy: 16
; WaveLimiterHint : 0
; COMPUTE_PGM_RSRC2:SCRATCH_EN: 0
; COMPUTE_PGM_RSRC2:USER_SGPR: 15
; COMPUTE_PGM_RSRC2:TRAP_HANDLER: 0
; COMPUTE_PGM_RSRC2:TGID_X_EN: 1
; COMPUTE_PGM_RSRC2:TGID_Y_EN: 0
; COMPUTE_PGM_RSRC2:TGID_Z_EN: 0
; COMPUTE_PGM_RSRC2:TIDIG_COMP_CNT: 0
	.section	.text._ZN7rocprim17ROCPRIM_400000_NS6detail17trampoline_kernelINS0_14default_configENS1_20scan_config_selectorIN3c104HalfEEEZZNS1_9scan_implILNS1_25lookback_scan_determinismE0ELb0ELb0ES3_PKS6_PS6_S6_ZZZN2at6native31launch_logcumsumexp_cuda_kernelERKNSD_10TensorBaseESH_lENKUlvE_clEvENKUlvE3_clEvEUlS6_S6_E_S6_EEDaPvRmT3_T4_T5_mT6_P12ihipStream_tbENKUlT_T0_E_clISt17integral_constantIbLb1EESX_IbLb0EEEEDaST_SU_EUlST_E0_NS1_11comp_targetILNS1_3genE5ELNS1_11target_archE942ELNS1_3gpuE9ELNS1_3repE0EEENS1_30default_config_static_selectorELNS0_4arch9wavefront6targetE0EEEvT1_,"axG",@progbits,_ZN7rocprim17ROCPRIM_400000_NS6detail17trampoline_kernelINS0_14default_configENS1_20scan_config_selectorIN3c104HalfEEEZZNS1_9scan_implILNS1_25lookback_scan_determinismE0ELb0ELb0ES3_PKS6_PS6_S6_ZZZN2at6native31launch_logcumsumexp_cuda_kernelERKNSD_10TensorBaseESH_lENKUlvE_clEvENKUlvE3_clEvEUlS6_S6_E_S6_EEDaPvRmT3_T4_T5_mT6_P12ihipStream_tbENKUlT_T0_E_clISt17integral_constantIbLb1EESX_IbLb0EEEEDaST_SU_EUlST_E0_NS1_11comp_targetILNS1_3genE5ELNS1_11target_archE942ELNS1_3gpuE9ELNS1_3repE0EEENS1_30default_config_static_selectorELNS0_4arch9wavefront6targetE0EEEvT1_,comdat
	.globl	_ZN7rocprim17ROCPRIM_400000_NS6detail17trampoline_kernelINS0_14default_configENS1_20scan_config_selectorIN3c104HalfEEEZZNS1_9scan_implILNS1_25lookback_scan_determinismE0ELb0ELb0ES3_PKS6_PS6_S6_ZZZN2at6native31launch_logcumsumexp_cuda_kernelERKNSD_10TensorBaseESH_lENKUlvE_clEvENKUlvE3_clEvEUlS6_S6_E_S6_EEDaPvRmT3_T4_T5_mT6_P12ihipStream_tbENKUlT_T0_E_clISt17integral_constantIbLb1EESX_IbLb0EEEEDaST_SU_EUlST_E0_NS1_11comp_targetILNS1_3genE5ELNS1_11target_archE942ELNS1_3gpuE9ELNS1_3repE0EEENS1_30default_config_static_selectorELNS0_4arch9wavefront6targetE0EEEvT1_ ; -- Begin function _ZN7rocprim17ROCPRIM_400000_NS6detail17trampoline_kernelINS0_14default_configENS1_20scan_config_selectorIN3c104HalfEEEZZNS1_9scan_implILNS1_25lookback_scan_determinismE0ELb0ELb0ES3_PKS6_PS6_S6_ZZZN2at6native31launch_logcumsumexp_cuda_kernelERKNSD_10TensorBaseESH_lENKUlvE_clEvENKUlvE3_clEvEUlS6_S6_E_S6_EEDaPvRmT3_T4_T5_mT6_P12ihipStream_tbENKUlT_T0_E_clISt17integral_constantIbLb1EESX_IbLb0EEEEDaST_SU_EUlST_E0_NS1_11comp_targetILNS1_3genE5ELNS1_11target_archE942ELNS1_3gpuE9ELNS1_3repE0EEENS1_30default_config_static_selectorELNS0_4arch9wavefront6targetE0EEEvT1_
	.p2align	8
	.type	_ZN7rocprim17ROCPRIM_400000_NS6detail17trampoline_kernelINS0_14default_configENS1_20scan_config_selectorIN3c104HalfEEEZZNS1_9scan_implILNS1_25lookback_scan_determinismE0ELb0ELb0ES3_PKS6_PS6_S6_ZZZN2at6native31launch_logcumsumexp_cuda_kernelERKNSD_10TensorBaseESH_lENKUlvE_clEvENKUlvE3_clEvEUlS6_S6_E_S6_EEDaPvRmT3_T4_T5_mT6_P12ihipStream_tbENKUlT_T0_E_clISt17integral_constantIbLb1EESX_IbLb0EEEEDaST_SU_EUlST_E0_NS1_11comp_targetILNS1_3genE5ELNS1_11target_archE942ELNS1_3gpuE9ELNS1_3repE0EEENS1_30default_config_static_selectorELNS0_4arch9wavefront6targetE0EEEvT1_,@function
_ZN7rocprim17ROCPRIM_400000_NS6detail17trampoline_kernelINS0_14default_configENS1_20scan_config_selectorIN3c104HalfEEEZZNS1_9scan_implILNS1_25lookback_scan_determinismE0ELb0ELb0ES3_PKS6_PS6_S6_ZZZN2at6native31launch_logcumsumexp_cuda_kernelERKNSD_10TensorBaseESH_lENKUlvE_clEvENKUlvE3_clEvEUlS6_S6_E_S6_EEDaPvRmT3_T4_T5_mT6_P12ihipStream_tbENKUlT_T0_E_clISt17integral_constantIbLb1EESX_IbLb0EEEEDaST_SU_EUlST_E0_NS1_11comp_targetILNS1_3genE5ELNS1_11target_archE942ELNS1_3gpuE9ELNS1_3repE0EEENS1_30default_config_static_selectorELNS0_4arch9wavefront6targetE0EEEvT1_: ; @_ZN7rocprim17ROCPRIM_400000_NS6detail17trampoline_kernelINS0_14default_configENS1_20scan_config_selectorIN3c104HalfEEEZZNS1_9scan_implILNS1_25lookback_scan_determinismE0ELb0ELb0ES3_PKS6_PS6_S6_ZZZN2at6native31launch_logcumsumexp_cuda_kernelERKNSD_10TensorBaseESH_lENKUlvE_clEvENKUlvE3_clEvEUlS6_S6_E_S6_EEDaPvRmT3_T4_T5_mT6_P12ihipStream_tbENKUlT_T0_E_clISt17integral_constantIbLb1EESX_IbLb0EEEEDaST_SU_EUlST_E0_NS1_11comp_targetILNS1_3genE5ELNS1_11target_archE942ELNS1_3gpuE9ELNS1_3repE0EEENS1_30default_config_static_selectorELNS0_4arch9wavefront6targetE0EEEvT1_
; %bb.0:
	.section	.rodata,"a",@progbits
	.p2align	6, 0x0
	.amdhsa_kernel _ZN7rocprim17ROCPRIM_400000_NS6detail17trampoline_kernelINS0_14default_configENS1_20scan_config_selectorIN3c104HalfEEEZZNS1_9scan_implILNS1_25lookback_scan_determinismE0ELb0ELb0ES3_PKS6_PS6_S6_ZZZN2at6native31launch_logcumsumexp_cuda_kernelERKNSD_10TensorBaseESH_lENKUlvE_clEvENKUlvE3_clEvEUlS6_S6_E_S6_EEDaPvRmT3_T4_T5_mT6_P12ihipStream_tbENKUlT_T0_E_clISt17integral_constantIbLb1EESX_IbLb0EEEEDaST_SU_EUlST_E0_NS1_11comp_targetILNS1_3genE5ELNS1_11target_archE942ELNS1_3gpuE9ELNS1_3repE0EEENS1_30default_config_static_selectorELNS0_4arch9wavefront6targetE0EEEvT1_
		.amdhsa_group_segment_fixed_size 0
		.amdhsa_private_segment_fixed_size 0
		.amdhsa_kernarg_size 32
		.amdhsa_user_sgpr_count 15
		.amdhsa_user_sgpr_dispatch_ptr 0
		.amdhsa_user_sgpr_queue_ptr 0
		.amdhsa_user_sgpr_kernarg_segment_ptr 1
		.amdhsa_user_sgpr_dispatch_id 0
		.amdhsa_user_sgpr_private_segment_size 0
		.amdhsa_wavefront_size32 1
		.amdhsa_uses_dynamic_stack 0
		.amdhsa_enable_private_segment 0
		.amdhsa_system_sgpr_workgroup_id_x 1
		.amdhsa_system_sgpr_workgroup_id_y 0
		.amdhsa_system_sgpr_workgroup_id_z 0
		.amdhsa_system_sgpr_workgroup_info 0
		.amdhsa_system_vgpr_workitem_id 0
		.amdhsa_next_free_vgpr 1
		.amdhsa_next_free_sgpr 1
		.amdhsa_reserve_vcc 0
		.amdhsa_float_round_mode_32 0
		.amdhsa_float_round_mode_16_64 0
		.amdhsa_float_denorm_mode_32 3
		.amdhsa_float_denorm_mode_16_64 3
		.amdhsa_dx10_clamp 1
		.amdhsa_ieee_mode 1
		.amdhsa_fp16_overflow 0
		.amdhsa_workgroup_processor_mode 1
		.amdhsa_memory_ordered 1
		.amdhsa_forward_progress 0
		.amdhsa_shared_vgpr_count 0
		.amdhsa_exception_fp_ieee_invalid_op 0
		.amdhsa_exception_fp_denorm_src 0
		.amdhsa_exception_fp_ieee_div_zero 0
		.amdhsa_exception_fp_ieee_overflow 0
		.amdhsa_exception_fp_ieee_underflow 0
		.amdhsa_exception_fp_ieee_inexact 0
		.amdhsa_exception_int_div_zero 0
	.end_amdhsa_kernel
	.section	.text._ZN7rocprim17ROCPRIM_400000_NS6detail17trampoline_kernelINS0_14default_configENS1_20scan_config_selectorIN3c104HalfEEEZZNS1_9scan_implILNS1_25lookback_scan_determinismE0ELb0ELb0ES3_PKS6_PS6_S6_ZZZN2at6native31launch_logcumsumexp_cuda_kernelERKNSD_10TensorBaseESH_lENKUlvE_clEvENKUlvE3_clEvEUlS6_S6_E_S6_EEDaPvRmT3_T4_T5_mT6_P12ihipStream_tbENKUlT_T0_E_clISt17integral_constantIbLb1EESX_IbLb0EEEEDaST_SU_EUlST_E0_NS1_11comp_targetILNS1_3genE5ELNS1_11target_archE942ELNS1_3gpuE9ELNS1_3repE0EEENS1_30default_config_static_selectorELNS0_4arch9wavefront6targetE0EEEvT1_,"axG",@progbits,_ZN7rocprim17ROCPRIM_400000_NS6detail17trampoline_kernelINS0_14default_configENS1_20scan_config_selectorIN3c104HalfEEEZZNS1_9scan_implILNS1_25lookback_scan_determinismE0ELb0ELb0ES3_PKS6_PS6_S6_ZZZN2at6native31launch_logcumsumexp_cuda_kernelERKNSD_10TensorBaseESH_lENKUlvE_clEvENKUlvE3_clEvEUlS6_S6_E_S6_EEDaPvRmT3_T4_T5_mT6_P12ihipStream_tbENKUlT_T0_E_clISt17integral_constantIbLb1EESX_IbLb0EEEEDaST_SU_EUlST_E0_NS1_11comp_targetILNS1_3genE5ELNS1_11target_archE942ELNS1_3gpuE9ELNS1_3repE0EEENS1_30default_config_static_selectorELNS0_4arch9wavefront6targetE0EEEvT1_,comdat
.Lfunc_end414:
	.size	_ZN7rocprim17ROCPRIM_400000_NS6detail17trampoline_kernelINS0_14default_configENS1_20scan_config_selectorIN3c104HalfEEEZZNS1_9scan_implILNS1_25lookback_scan_determinismE0ELb0ELb0ES3_PKS6_PS6_S6_ZZZN2at6native31launch_logcumsumexp_cuda_kernelERKNSD_10TensorBaseESH_lENKUlvE_clEvENKUlvE3_clEvEUlS6_S6_E_S6_EEDaPvRmT3_T4_T5_mT6_P12ihipStream_tbENKUlT_T0_E_clISt17integral_constantIbLb1EESX_IbLb0EEEEDaST_SU_EUlST_E0_NS1_11comp_targetILNS1_3genE5ELNS1_11target_archE942ELNS1_3gpuE9ELNS1_3repE0EEENS1_30default_config_static_selectorELNS0_4arch9wavefront6targetE0EEEvT1_, .Lfunc_end414-_ZN7rocprim17ROCPRIM_400000_NS6detail17trampoline_kernelINS0_14default_configENS1_20scan_config_selectorIN3c104HalfEEEZZNS1_9scan_implILNS1_25lookback_scan_determinismE0ELb0ELb0ES3_PKS6_PS6_S6_ZZZN2at6native31launch_logcumsumexp_cuda_kernelERKNSD_10TensorBaseESH_lENKUlvE_clEvENKUlvE3_clEvEUlS6_S6_E_S6_EEDaPvRmT3_T4_T5_mT6_P12ihipStream_tbENKUlT_T0_E_clISt17integral_constantIbLb1EESX_IbLb0EEEEDaST_SU_EUlST_E0_NS1_11comp_targetILNS1_3genE5ELNS1_11target_archE942ELNS1_3gpuE9ELNS1_3repE0EEENS1_30default_config_static_selectorELNS0_4arch9wavefront6targetE0EEEvT1_
                                        ; -- End function
	.section	.AMDGPU.csdata,"",@progbits
; Kernel info:
; codeLenInByte = 0
; NumSgprs: 0
; NumVgprs: 0
; ScratchSize: 0
; MemoryBound: 0
; FloatMode: 240
; IeeeMode: 1
; LDSByteSize: 0 bytes/workgroup (compile time only)
; SGPRBlocks: 0
; VGPRBlocks: 0
; NumSGPRsForWavesPerEU: 1
; NumVGPRsForWavesPerEU: 1
; Occupancy: 16
; WaveLimiterHint : 0
; COMPUTE_PGM_RSRC2:SCRATCH_EN: 0
; COMPUTE_PGM_RSRC2:USER_SGPR: 15
; COMPUTE_PGM_RSRC2:TRAP_HANDLER: 0
; COMPUTE_PGM_RSRC2:TGID_X_EN: 1
; COMPUTE_PGM_RSRC2:TGID_Y_EN: 0
; COMPUTE_PGM_RSRC2:TGID_Z_EN: 0
; COMPUTE_PGM_RSRC2:TIDIG_COMP_CNT: 0
	.section	.text._ZN7rocprim17ROCPRIM_400000_NS6detail17trampoline_kernelINS0_14default_configENS1_20scan_config_selectorIN3c104HalfEEEZZNS1_9scan_implILNS1_25lookback_scan_determinismE0ELb0ELb0ES3_PKS6_PS6_S6_ZZZN2at6native31launch_logcumsumexp_cuda_kernelERKNSD_10TensorBaseESH_lENKUlvE_clEvENKUlvE3_clEvEUlS6_S6_E_S6_EEDaPvRmT3_T4_T5_mT6_P12ihipStream_tbENKUlT_T0_E_clISt17integral_constantIbLb1EESX_IbLb0EEEEDaST_SU_EUlST_E0_NS1_11comp_targetILNS1_3genE4ELNS1_11target_archE910ELNS1_3gpuE8ELNS1_3repE0EEENS1_30default_config_static_selectorELNS0_4arch9wavefront6targetE0EEEvT1_,"axG",@progbits,_ZN7rocprim17ROCPRIM_400000_NS6detail17trampoline_kernelINS0_14default_configENS1_20scan_config_selectorIN3c104HalfEEEZZNS1_9scan_implILNS1_25lookback_scan_determinismE0ELb0ELb0ES3_PKS6_PS6_S6_ZZZN2at6native31launch_logcumsumexp_cuda_kernelERKNSD_10TensorBaseESH_lENKUlvE_clEvENKUlvE3_clEvEUlS6_S6_E_S6_EEDaPvRmT3_T4_T5_mT6_P12ihipStream_tbENKUlT_T0_E_clISt17integral_constantIbLb1EESX_IbLb0EEEEDaST_SU_EUlST_E0_NS1_11comp_targetILNS1_3genE4ELNS1_11target_archE910ELNS1_3gpuE8ELNS1_3repE0EEENS1_30default_config_static_selectorELNS0_4arch9wavefront6targetE0EEEvT1_,comdat
	.globl	_ZN7rocprim17ROCPRIM_400000_NS6detail17trampoline_kernelINS0_14default_configENS1_20scan_config_selectorIN3c104HalfEEEZZNS1_9scan_implILNS1_25lookback_scan_determinismE0ELb0ELb0ES3_PKS6_PS6_S6_ZZZN2at6native31launch_logcumsumexp_cuda_kernelERKNSD_10TensorBaseESH_lENKUlvE_clEvENKUlvE3_clEvEUlS6_S6_E_S6_EEDaPvRmT3_T4_T5_mT6_P12ihipStream_tbENKUlT_T0_E_clISt17integral_constantIbLb1EESX_IbLb0EEEEDaST_SU_EUlST_E0_NS1_11comp_targetILNS1_3genE4ELNS1_11target_archE910ELNS1_3gpuE8ELNS1_3repE0EEENS1_30default_config_static_selectorELNS0_4arch9wavefront6targetE0EEEvT1_ ; -- Begin function _ZN7rocprim17ROCPRIM_400000_NS6detail17trampoline_kernelINS0_14default_configENS1_20scan_config_selectorIN3c104HalfEEEZZNS1_9scan_implILNS1_25lookback_scan_determinismE0ELb0ELb0ES3_PKS6_PS6_S6_ZZZN2at6native31launch_logcumsumexp_cuda_kernelERKNSD_10TensorBaseESH_lENKUlvE_clEvENKUlvE3_clEvEUlS6_S6_E_S6_EEDaPvRmT3_T4_T5_mT6_P12ihipStream_tbENKUlT_T0_E_clISt17integral_constantIbLb1EESX_IbLb0EEEEDaST_SU_EUlST_E0_NS1_11comp_targetILNS1_3genE4ELNS1_11target_archE910ELNS1_3gpuE8ELNS1_3repE0EEENS1_30default_config_static_selectorELNS0_4arch9wavefront6targetE0EEEvT1_
	.p2align	8
	.type	_ZN7rocprim17ROCPRIM_400000_NS6detail17trampoline_kernelINS0_14default_configENS1_20scan_config_selectorIN3c104HalfEEEZZNS1_9scan_implILNS1_25lookback_scan_determinismE0ELb0ELb0ES3_PKS6_PS6_S6_ZZZN2at6native31launch_logcumsumexp_cuda_kernelERKNSD_10TensorBaseESH_lENKUlvE_clEvENKUlvE3_clEvEUlS6_S6_E_S6_EEDaPvRmT3_T4_T5_mT6_P12ihipStream_tbENKUlT_T0_E_clISt17integral_constantIbLb1EESX_IbLb0EEEEDaST_SU_EUlST_E0_NS1_11comp_targetILNS1_3genE4ELNS1_11target_archE910ELNS1_3gpuE8ELNS1_3repE0EEENS1_30default_config_static_selectorELNS0_4arch9wavefront6targetE0EEEvT1_,@function
_ZN7rocprim17ROCPRIM_400000_NS6detail17trampoline_kernelINS0_14default_configENS1_20scan_config_selectorIN3c104HalfEEEZZNS1_9scan_implILNS1_25lookback_scan_determinismE0ELb0ELb0ES3_PKS6_PS6_S6_ZZZN2at6native31launch_logcumsumexp_cuda_kernelERKNSD_10TensorBaseESH_lENKUlvE_clEvENKUlvE3_clEvEUlS6_S6_E_S6_EEDaPvRmT3_T4_T5_mT6_P12ihipStream_tbENKUlT_T0_E_clISt17integral_constantIbLb1EESX_IbLb0EEEEDaST_SU_EUlST_E0_NS1_11comp_targetILNS1_3genE4ELNS1_11target_archE910ELNS1_3gpuE8ELNS1_3repE0EEENS1_30default_config_static_selectorELNS0_4arch9wavefront6targetE0EEEvT1_: ; @_ZN7rocprim17ROCPRIM_400000_NS6detail17trampoline_kernelINS0_14default_configENS1_20scan_config_selectorIN3c104HalfEEEZZNS1_9scan_implILNS1_25lookback_scan_determinismE0ELb0ELb0ES3_PKS6_PS6_S6_ZZZN2at6native31launch_logcumsumexp_cuda_kernelERKNSD_10TensorBaseESH_lENKUlvE_clEvENKUlvE3_clEvEUlS6_S6_E_S6_EEDaPvRmT3_T4_T5_mT6_P12ihipStream_tbENKUlT_T0_E_clISt17integral_constantIbLb1EESX_IbLb0EEEEDaST_SU_EUlST_E0_NS1_11comp_targetILNS1_3genE4ELNS1_11target_archE910ELNS1_3gpuE8ELNS1_3repE0EEENS1_30default_config_static_selectorELNS0_4arch9wavefront6targetE0EEEvT1_
; %bb.0:
	.section	.rodata,"a",@progbits
	.p2align	6, 0x0
	.amdhsa_kernel _ZN7rocprim17ROCPRIM_400000_NS6detail17trampoline_kernelINS0_14default_configENS1_20scan_config_selectorIN3c104HalfEEEZZNS1_9scan_implILNS1_25lookback_scan_determinismE0ELb0ELb0ES3_PKS6_PS6_S6_ZZZN2at6native31launch_logcumsumexp_cuda_kernelERKNSD_10TensorBaseESH_lENKUlvE_clEvENKUlvE3_clEvEUlS6_S6_E_S6_EEDaPvRmT3_T4_T5_mT6_P12ihipStream_tbENKUlT_T0_E_clISt17integral_constantIbLb1EESX_IbLb0EEEEDaST_SU_EUlST_E0_NS1_11comp_targetILNS1_3genE4ELNS1_11target_archE910ELNS1_3gpuE8ELNS1_3repE0EEENS1_30default_config_static_selectorELNS0_4arch9wavefront6targetE0EEEvT1_
		.amdhsa_group_segment_fixed_size 0
		.amdhsa_private_segment_fixed_size 0
		.amdhsa_kernarg_size 32
		.amdhsa_user_sgpr_count 15
		.amdhsa_user_sgpr_dispatch_ptr 0
		.amdhsa_user_sgpr_queue_ptr 0
		.amdhsa_user_sgpr_kernarg_segment_ptr 1
		.amdhsa_user_sgpr_dispatch_id 0
		.amdhsa_user_sgpr_private_segment_size 0
		.amdhsa_wavefront_size32 1
		.amdhsa_uses_dynamic_stack 0
		.amdhsa_enable_private_segment 0
		.amdhsa_system_sgpr_workgroup_id_x 1
		.amdhsa_system_sgpr_workgroup_id_y 0
		.amdhsa_system_sgpr_workgroup_id_z 0
		.amdhsa_system_sgpr_workgroup_info 0
		.amdhsa_system_vgpr_workitem_id 0
		.amdhsa_next_free_vgpr 1
		.amdhsa_next_free_sgpr 1
		.amdhsa_reserve_vcc 0
		.amdhsa_float_round_mode_32 0
		.amdhsa_float_round_mode_16_64 0
		.amdhsa_float_denorm_mode_32 3
		.amdhsa_float_denorm_mode_16_64 3
		.amdhsa_dx10_clamp 1
		.amdhsa_ieee_mode 1
		.amdhsa_fp16_overflow 0
		.amdhsa_workgroup_processor_mode 1
		.amdhsa_memory_ordered 1
		.amdhsa_forward_progress 0
		.amdhsa_shared_vgpr_count 0
		.amdhsa_exception_fp_ieee_invalid_op 0
		.amdhsa_exception_fp_denorm_src 0
		.amdhsa_exception_fp_ieee_div_zero 0
		.amdhsa_exception_fp_ieee_overflow 0
		.amdhsa_exception_fp_ieee_underflow 0
		.amdhsa_exception_fp_ieee_inexact 0
		.amdhsa_exception_int_div_zero 0
	.end_amdhsa_kernel
	.section	.text._ZN7rocprim17ROCPRIM_400000_NS6detail17trampoline_kernelINS0_14default_configENS1_20scan_config_selectorIN3c104HalfEEEZZNS1_9scan_implILNS1_25lookback_scan_determinismE0ELb0ELb0ES3_PKS6_PS6_S6_ZZZN2at6native31launch_logcumsumexp_cuda_kernelERKNSD_10TensorBaseESH_lENKUlvE_clEvENKUlvE3_clEvEUlS6_S6_E_S6_EEDaPvRmT3_T4_T5_mT6_P12ihipStream_tbENKUlT_T0_E_clISt17integral_constantIbLb1EESX_IbLb0EEEEDaST_SU_EUlST_E0_NS1_11comp_targetILNS1_3genE4ELNS1_11target_archE910ELNS1_3gpuE8ELNS1_3repE0EEENS1_30default_config_static_selectorELNS0_4arch9wavefront6targetE0EEEvT1_,"axG",@progbits,_ZN7rocprim17ROCPRIM_400000_NS6detail17trampoline_kernelINS0_14default_configENS1_20scan_config_selectorIN3c104HalfEEEZZNS1_9scan_implILNS1_25lookback_scan_determinismE0ELb0ELb0ES3_PKS6_PS6_S6_ZZZN2at6native31launch_logcumsumexp_cuda_kernelERKNSD_10TensorBaseESH_lENKUlvE_clEvENKUlvE3_clEvEUlS6_S6_E_S6_EEDaPvRmT3_T4_T5_mT6_P12ihipStream_tbENKUlT_T0_E_clISt17integral_constantIbLb1EESX_IbLb0EEEEDaST_SU_EUlST_E0_NS1_11comp_targetILNS1_3genE4ELNS1_11target_archE910ELNS1_3gpuE8ELNS1_3repE0EEENS1_30default_config_static_selectorELNS0_4arch9wavefront6targetE0EEEvT1_,comdat
.Lfunc_end415:
	.size	_ZN7rocprim17ROCPRIM_400000_NS6detail17trampoline_kernelINS0_14default_configENS1_20scan_config_selectorIN3c104HalfEEEZZNS1_9scan_implILNS1_25lookback_scan_determinismE0ELb0ELb0ES3_PKS6_PS6_S6_ZZZN2at6native31launch_logcumsumexp_cuda_kernelERKNSD_10TensorBaseESH_lENKUlvE_clEvENKUlvE3_clEvEUlS6_S6_E_S6_EEDaPvRmT3_T4_T5_mT6_P12ihipStream_tbENKUlT_T0_E_clISt17integral_constantIbLb1EESX_IbLb0EEEEDaST_SU_EUlST_E0_NS1_11comp_targetILNS1_3genE4ELNS1_11target_archE910ELNS1_3gpuE8ELNS1_3repE0EEENS1_30default_config_static_selectorELNS0_4arch9wavefront6targetE0EEEvT1_, .Lfunc_end415-_ZN7rocprim17ROCPRIM_400000_NS6detail17trampoline_kernelINS0_14default_configENS1_20scan_config_selectorIN3c104HalfEEEZZNS1_9scan_implILNS1_25lookback_scan_determinismE0ELb0ELb0ES3_PKS6_PS6_S6_ZZZN2at6native31launch_logcumsumexp_cuda_kernelERKNSD_10TensorBaseESH_lENKUlvE_clEvENKUlvE3_clEvEUlS6_S6_E_S6_EEDaPvRmT3_T4_T5_mT6_P12ihipStream_tbENKUlT_T0_E_clISt17integral_constantIbLb1EESX_IbLb0EEEEDaST_SU_EUlST_E0_NS1_11comp_targetILNS1_3genE4ELNS1_11target_archE910ELNS1_3gpuE8ELNS1_3repE0EEENS1_30default_config_static_selectorELNS0_4arch9wavefront6targetE0EEEvT1_
                                        ; -- End function
	.section	.AMDGPU.csdata,"",@progbits
; Kernel info:
; codeLenInByte = 0
; NumSgprs: 0
; NumVgprs: 0
; ScratchSize: 0
; MemoryBound: 0
; FloatMode: 240
; IeeeMode: 1
; LDSByteSize: 0 bytes/workgroup (compile time only)
; SGPRBlocks: 0
; VGPRBlocks: 0
; NumSGPRsForWavesPerEU: 1
; NumVGPRsForWavesPerEU: 1
; Occupancy: 16
; WaveLimiterHint : 0
; COMPUTE_PGM_RSRC2:SCRATCH_EN: 0
; COMPUTE_PGM_RSRC2:USER_SGPR: 15
; COMPUTE_PGM_RSRC2:TRAP_HANDLER: 0
; COMPUTE_PGM_RSRC2:TGID_X_EN: 1
; COMPUTE_PGM_RSRC2:TGID_Y_EN: 0
; COMPUTE_PGM_RSRC2:TGID_Z_EN: 0
; COMPUTE_PGM_RSRC2:TIDIG_COMP_CNT: 0
	.section	.text._ZN7rocprim17ROCPRIM_400000_NS6detail17trampoline_kernelINS0_14default_configENS1_20scan_config_selectorIN3c104HalfEEEZZNS1_9scan_implILNS1_25lookback_scan_determinismE0ELb0ELb0ES3_PKS6_PS6_S6_ZZZN2at6native31launch_logcumsumexp_cuda_kernelERKNSD_10TensorBaseESH_lENKUlvE_clEvENKUlvE3_clEvEUlS6_S6_E_S6_EEDaPvRmT3_T4_T5_mT6_P12ihipStream_tbENKUlT_T0_E_clISt17integral_constantIbLb1EESX_IbLb0EEEEDaST_SU_EUlST_E0_NS1_11comp_targetILNS1_3genE3ELNS1_11target_archE908ELNS1_3gpuE7ELNS1_3repE0EEENS1_30default_config_static_selectorELNS0_4arch9wavefront6targetE0EEEvT1_,"axG",@progbits,_ZN7rocprim17ROCPRIM_400000_NS6detail17trampoline_kernelINS0_14default_configENS1_20scan_config_selectorIN3c104HalfEEEZZNS1_9scan_implILNS1_25lookback_scan_determinismE0ELb0ELb0ES3_PKS6_PS6_S6_ZZZN2at6native31launch_logcumsumexp_cuda_kernelERKNSD_10TensorBaseESH_lENKUlvE_clEvENKUlvE3_clEvEUlS6_S6_E_S6_EEDaPvRmT3_T4_T5_mT6_P12ihipStream_tbENKUlT_T0_E_clISt17integral_constantIbLb1EESX_IbLb0EEEEDaST_SU_EUlST_E0_NS1_11comp_targetILNS1_3genE3ELNS1_11target_archE908ELNS1_3gpuE7ELNS1_3repE0EEENS1_30default_config_static_selectorELNS0_4arch9wavefront6targetE0EEEvT1_,comdat
	.globl	_ZN7rocprim17ROCPRIM_400000_NS6detail17trampoline_kernelINS0_14default_configENS1_20scan_config_selectorIN3c104HalfEEEZZNS1_9scan_implILNS1_25lookback_scan_determinismE0ELb0ELb0ES3_PKS6_PS6_S6_ZZZN2at6native31launch_logcumsumexp_cuda_kernelERKNSD_10TensorBaseESH_lENKUlvE_clEvENKUlvE3_clEvEUlS6_S6_E_S6_EEDaPvRmT3_T4_T5_mT6_P12ihipStream_tbENKUlT_T0_E_clISt17integral_constantIbLb1EESX_IbLb0EEEEDaST_SU_EUlST_E0_NS1_11comp_targetILNS1_3genE3ELNS1_11target_archE908ELNS1_3gpuE7ELNS1_3repE0EEENS1_30default_config_static_selectorELNS0_4arch9wavefront6targetE0EEEvT1_ ; -- Begin function _ZN7rocprim17ROCPRIM_400000_NS6detail17trampoline_kernelINS0_14default_configENS1_20scan_config_selectorIN3c104HalfEEEZZNS1_9scan_implILNS1_25lookback_scan_determinismE0ELb0ELb0ES3_PKS6_PS6_S6_ZZZN2at6native31launch_logcumsumexp_cuda_kernelERKNSD_10TensorBaseESH_lENKUlvE_clEvENKUlvE3_clEvEUlS6_S6_E_S6_EEDaPvRmT3_T4_T5_mT6_P12ihipStream_tbENKUlT_T0_E_clISt17integral_constantIbLb1EESX_IbLb0EEEEDaST_SU_EUlST_E0_NS1_11comp_targetILNS1_3genE3ELNS1_11target_archE908ELNS1_3gpuE7ELNS1_3repE0EEENS1_30default_config_static_selectorELNS0_4arch9wavefront6targetE0EEEvT1_
	.p2align	8
	.type	_ZN7rocprim17ROCPRIM_400000_NS6detail17trampoline_kernelINS0_14default_configENS1_20scan_config_selectorIN3c104HalfEEEZZNS1_9scan_implILNS1_25lookback_scan_determinismE0ELb0ELb0ES3_PKS6_PS6_S6_ZZZN2at6native31launch_logcumsumexp_cuda_kernelERKNSD_10TensorBaseESH_lENKUlvE_clEvENKUlvE3_clEvEUlS6_S6_E_S6_EEDaPvRmT3_T4_T5_mT6_P12ihipStream_tbENKUlT_T0_E_clISt17integral_constantIbLb1EESX_IbLb0EEEEDaST_SU_EUlST_E0_NS1_11comp_targetILNS1_3genE3ELNS1_11target_archE908ELNS1_3gpuE7ELNS1_3repE0EEENS1_30default_config_static_selectorELNS0_4arch9wavefront6targetE0EEEvT1_,@function
_ZN7rocprim17ROCPRIM_400000_NS6detail17trampoline_kernelINS0_14default_configENS1_20scan_config_selectorIN3c104HalfEEEZZNS1_9scan_implILNS1_25lookback_scan_determinismE0ELb0ELb0ES3_PKS6_PS6_S6_ZZZN2at6native31launch_logcumsumexp_cuda_kernelERKNSD_10TensorBaseESH_lENKUlvE_clEvENKUlvE3_clEvEUlS6_S6_E_S6_EEDaPvRmT3_T4_T5_mT6_P12ihipStream_tbENKUlT_T0_E_clISt17integral_constantIbLb1EESX_IbLb0EEEEDaST_SU_EUlST_E0_NS1_11comp_targetILNS1_3genE3ELNS1_11target_archE908ELNS1_3gpuE7ELNS1_3repE0EEENS1_30default_config_static_selectorELNS0_4arch9wavefront6targetE0EEEvT1_: ; @_ZN7rocprim17ROCPRIM_400000_NS6detail17trampoline_kernelINS0_14default_configENS1_20scan_config_selectorIN3c104HalfEEEZZNS1_9scan_implILNS1_25lookback_scan_determinismE0ELb0ELb0ES3_PKS6_PS6_S6_ZZZN2at6native31launch_logcumsumexp_cuda_kernelERKNSD_10TensorBaseESH_lENKUlvE_clEvENKUlvE3_clEvEUlS6_S6_E_S6_EEDaPvRmT3_T4_T5_mT6_P12ihipStream_tbENKUlT_T0_E_clISt17integral_constantIbLb1EESX_IbLb0EEEEDaST_SU_EUlST_E0_NS1_11comp_targetILNS1_3genE3ELNS1_11target_archE908ELNS1_3gpuE7ELNS1_3repE0EEENS1_30default_config_static_selectorELNS0_4arch9wavefront6targetE0EEEvT1_
; %bb.0:
	.section	.rodata,"a",@progbits
	.p2align	6, 0x0
	.amdhsa_kernel _ZN7rocprim17ROCPRIM_400000_NS6detail17trampoline_kernelINS0_14default_configENS1_20scan_config_selectorIN3c104HalfEEEZZNS1_9scan_implILNS1_25lookback_scan_determinismE0ELb0ELb0ES3_PKS6_PS6_S6_ZZZN2at6native31launch_logcumsumexp_cuda_kernelERKNSD_10TensorBaseESH_lENKUlvE_clEvENKUlvE3_clEvEUlS6_S6_E_S6_EEDaPvRmT3_T4_T5_mT6_P12ihipStream_tbENKUlT_T0_E_clISt17integral_constantIbLb1EESX_IbLb0EEEEDaST_SU_EUlST_E0_NS1_11comp_targetILNS1_3genE3ELNS1_11target_archE908ELNS1_3gpuE7ELNS1_3repE0EEENS1_30default_config_static_selectorELNS0_4arch9wavefront6targetE0EEEvT1_
		.amdhsa_group_segment_fixed_size 0
		.amdhsa_private_segment_fixed_size 0
		.amdhsa_kernarg_size 32
		.amdhsa_user_sgpr_count 15
		.amdhsa_user_sgpr_dispatch_ptr 0
		.amdhsa_user_sgpr_queue_ptr 0
		.amdhsa_user_sgpr_kernarg_segment_ptr 1
		.amdhsa_user_sgpr_dispatch_id 0
		.amdhsa_user_sgpr_private_segment_size 0
		.amdhsa_wavefront_size32 1
		.amdhsa_uses_dynamic_stack 0
		.amdhsa_enable_private_segment 0
		.amdhsa_system_sgpr_workgroup_id_x 1
		.amdhsa_system_sgpr_workgroup_id_y 0
		.amdhsa_system_sgpr_workgroup_id_z 0
		.amdhsa_system_sgpr_workgroup_info 0
		.amdhsa_system_vgpr_workitem_id 0
		.amdhsa_next_free_vgpr 1
		.amdhsa_next_free_sgpr 1
		.amdhsa_reserve_vcc 0
		.amdhsa_float_round_mode_32 0
		.amdhsa_float_round_mode_16_64 0
		.amdhsa_float_denorm_mode_32 3
		.amdhsa_float_denorm_mode_16_64 3
		.amdhsa_dx10_clamp 1
		.amdhsa_ieee_mode 1
		.amdhsa_fp16_overflow 0
		.amdhsa_workgroup_processor_mode 1
		.amdhsa_memory_ordered 1
		.amdhsa_forward_progress 0
		.amdhsa_shared_vgpr_count 0
		.amdhsa_exception_fp_ieee_invalid_op 0
		.amdhsa_exception_fp_denorm_src 0
		.amdhsa_exception_fp_ieee_div_zero 0
		.amdhsa_exception_fp_ieee_overflow 0
		.amdhsa_exception_fp_ieee_underflow 0
		.amdhsa_exception_fp_ieee_inexact 0
		.amdhsa_exception_int_div_zero 0
	.end_amdhsa_kernel
	.section	.text._ZN7rocprim17ROCPRIM_400000_NS6detail17trampoline_kernelINS0_14default_configENS1_20scan_config_selectorIN3c104HalfEEEZZNS1_9scan_implILNS1_25lookback_scan_determinismE0ELb0ELb0ES3_PKS6_PS6_S6_ZZZN2at6native31launch_logcumsumexp_cuda_kernelERKNSD_10TensorBaseESH_lENKUlvE_clEvENKUlvE3_clEvEUlS6_S6_E_S6_EEDaPvRmT3_T4_T5_mT6_P12ihipStream_tbENKUlT_T0_E_clISt17integral_constantIbLb1EESX_IbLb0EEEEDaST_SU_EUlST_E0_NS1_11comp_targetILNS1_3genE3ELNS1_11target_archE908ELNS1_3gpuE7ELNS1_3repE0EEENS1_30default_config_static_selectorELNS0_4arch9wavefront6targetE0EEEvT1_,"axG",@progbits,_ZN7rocprim17ROCPRIM_400000_NS6detail17trampoline_kernelINS0_14default_configENS1_20scan_config_selectorIN3c104HalfEEEZZNS1_9scan_implILNS1_25lookback_scan_determinismE0ELb0ELb0ES3_PKS6_PS6_S6_ZZZN2at6native31launch_logcumsumexp_cuda_kernelERKNSD_10TensorBaseESH_lENKUlvE_clEvENKUlvE3_clEvEUlS6_S6_E_S6_EEDaPvRmT3_T4_T5_mT6_P12ihipStream_tbENKUlT_T0_E_clISt17integral_constantIbLb1EESX_IbLb0EEEEDaST_SU_EUlST_E0_NS1_11comp_targetILNS1_3genE3ELNS1_11target_archE908ELNS1_3gpuE7ELNS1_3repE0EEENS1_30default_config_static_selectorELNS0_4arch9wavefront6targetE0EEEvT1_,comdat
.Lfunc_end416:
	.size	_ZN7rocprim17ROCPRIM_400000_NS6detail17trampoline_kernelINS0_14default_configENS1_20scan_config_selectorIN3c104HalfEEEZZNS1_9scan_implILNS1_25lookback_scan_determinismE0ELb0ELb0ES3_PKS6_PS6_S6_ZZZN2at6native31launch_logcumsumexp_cuda_kernelERKNSD_10TensorBaseESH_lENKUlvE_clEvENKUlvE3_clEvEUlS6_S6_E_S6_EEDaPvRmT3_T4_T5_mT6_P12ihipStream_tbENKUlT_T0_E_clISt17integral_constantIbLb1EESX_IbLb0EEEEDaST_SU_EUlST_E0_NS1_11comp_targetILNS1_3genE3ELNS1_11target_archE908ELNS1_3gpuE7ELNS1_3repE0EEENS1_30default_config_static_selectorELNS0_4arch9wavefront6targetE0EEEvT1_, .Lfunc_end416-_ZN7rocprim17ROCPRIM_400000_NS6detail17trampoline_kernelINS0_14default_configENS1_20scan_config_selectorIN3c104HalfEEEZZNS1_9scan_implILNS1_25lookback_scan_determinismE0ELb0ELb0ES3_PKS6_PS6_S6_ZZZN2at6native31launch_logcumsumexp_cuda_kernelERKNSD_10TensorBaseESH_lENKUlvE_clEvENKUlvE3_clEvEUlS6_S6_E_S6_EEDaPvRmT3_T4_T5_mT6_P12ihipStream_tbENKUlT_T0_E_clISt17integral_constantIbLb1EESX_IbLb0EEEEDaST_SU_EUlST_E0_NS1_11comp_targetILNS1_3genE3ELNS1_11target_archE908ELNS1_3gpuE7ELNS1_3repE0EEENS1_30default_config_static_selectorELNS0_4arch9wavefront6targetE0EEEvT1_
                                        ; -- End function
	.section	.AMDGPU.csdata,"",@progbits
; Kernel info:
; codeLenInByte = 0
; NumSgprs: 0
; NumVgprs: 0
; ScratchSize: 0
; MemoryBound: 0
; FloatMode: 240
; IeeeMode: 1
; LDSByteSize: 0 bytes/workgroup (compile time only)
; SGPRBlocks: 0
; VGPRBlocks: 0
; NumSGPRsForWavesPerEU: 1
; NumVGPRsForWavesPerEU: 1
; Occupancy: 16
; WaveLimiterHint : 0
; COMPUTE_PGM_RSRC2:SCRATCH_EN: 0
; COMPUTE_PGM_RSRC2:USER_SGPR: 15
; COMPUTE_PGM_RSRC2:TRAP_HANDLER: 0
; COMPUTE_PGM_RSRC2:TGID_X_EN: 1
; COMPUTE_PGM_RSRC2:TGID_Y_EN: 0
; COMPUTE_PGM_RSRC2:TGID_Z_EN: 0
; COMPUTE_PGM_RSRC2:TIDIG_COMP_CNT: 0
	.section	.text._ZN7rocprim17ROCPRIM_400000_NS6detail17trampoline_kernelINS0_14default_configENS1_20scan_config_selectorIN3c104HalfEEEZZNS1_9scan_implILNS1_25lookback_scan_determinismE0ELb0ELb0ES3_PKS6_PS6_S6_ZZZN2at6native31launch_logcumsumexp_cuda_kernelERKNSD_10TensorBaseESH_lENKUlvE_clEvENKUlvE3_clEvEUlS6_S6_E_S6_EEDaPvRmT3_T4_T5_mT6_P12ihipStream_tbENKUlT_T0_E_clISt17integral_constantIbLb1EESX_IbLb0EEEEDaST_SU_EUlST_E0_NS1_11comp_targetILNS1_3genE2ELNS1_11target_archE906ELNS1_3gpuE6ELNS1_3repE0EEENS1_30default_config_static_selectorELNS0_4arch9wavefront6targetE0EEEvT1_,"axG",@progbits,_ZN7rocprim17ROCPRIM_400000_NS6detail17trampoline_kernelINS0_14default_configENS1_20scan_config_selectorIN3c104HalfEEEZZNS1_9scan_implILNS1_25lookback_scan_determinismE0ELb0ELb0ES3_PKS6_PS6_S6_ZZZN2at6native31launch_logcumsumexp_cuda_kernelERKNSD_10TensorBaseESH_lENKUlvE_clEvENKUlvE3_clEvEUlS6_S6_E_S6_EEDaPvRmT3_T4_T5_mT6_P12ihipStream_tbENKUlT_T0_E_clISt17integral_constantIbLb1EESX_IbLb0EEEEDaST_SU_EUlST_E0_NS1_11comp_targetILNS1_3genE2ELNS1_11target_archE906ELNS1_3gpuE6ELNS1_3repE0EEENS1_30default_config_static_selectorELNS0_4arch9wavefront6targetE0EEEvT1_,comdat
	.globl	_ZN7rocprim17ROCPRIM_400000_NS6detail17trampoline_kernelINS0_14default_configENS1_20scan_config_selectorIN3c104HalfEEEZZNS1_9scan_implILNS1_25lookback_scan_determinismE0ELb0ELb0ES3_PKS6_PS6_S6_ZZZN2at6native31launch_logcumsumexp_cuda_kernelERKNSD_10TensorBaseESH_lENKUlvE_clEvENKUlvE3_clEvEUlS6_S6_E_S6_EEDaPvRmT3_T4_T5_mT6_P12ihipStream_tbENKUlT_T0_E_clISt17integral_constantIbLb1EESX_IbLb0EEEEDaST_SU_EUlST_E0_NS1_11comp_targetILNS1_3genE2ELNS1_11target_archE906ELNS1_3gpuE6ELNS1_3repE0EEENS1_30default_config_static_selectorELNS0_4arch9wavefront6targetE0EEEvT1_ ; -- Begin function _ZN7rocprim17ROCPRIM_400000_NS6detail17trampoline_kernelINS0_14default_configENS1_20scan_config_selectorIN3c104HalfEEEZZNS1_9scan_implILNS1_25lookback_scan_determinismE0ELb0ELb0ES3_PKS6_PS6_S6_ZZZN2at6native31launch_logcumsumexp_cuda_kernelERKNSD_10TensorBaseESH_lENKUlvE_clEvENKUlvE3_clEvEUlS6_S6_E_S6_EEDaPvRmT3_T4_T5_mT6_P12ihipStream_tbENKUlT_T0_E_clISt17integral_constantIbLb1EESX_IbLb0EEEEDaST_SU_EUlST_E0_NS1_11comp_targetILNS1_3genE2ELNS1_11target_archE906ELNS1_3gpuE6ELNS1_3repE0EEENS1_30default_config_static_selectorELNS0_4arch9wavefront6targetE0EEEvT1_
	.p2align	8
	.type	_ZN7rocprim17ROCPRIM_400000_NS6detail17trampoline_kernelINS0_14default_configENS1_20scan_config_selectorIN3c104HalfEEEZZNS1_9scan_implILNS1_25lookback_scan_determinismE0ELb0ELb0ES3_PKS6_PS6_S6_ZZZN2at6native31launch_logcumsumexp_cuda_kernelERKNSD_10TensorBaseESH_lENKUlvE_clEvENKUlvE3_clEvEUlS6_S6_E_S6_EEDaPvRmT3_T4_T5_mT6_P12ihipStream_tbENKUlT_T0_E_clISt17integral_constantIbLb1EESX_IbLb0EEEEDaST_SU_EUlST_E0_NS1_11comp_targetILNS1_3genE2ELNS1_11target_archE906ELNS1_3gpuE6ELNS1_3repE0EEENS1_30default_config_static_selectorELNS0_4arch9wavefront6targetE0EEEvT1_,@function
_ZN7rocprim17ROCPRIM_400000_NS6detail17trampoline_kernelINS0_14default_configENS1_20scan_config_selectorIN3c104HalfEEEZZNS1_9scan_implILNS1_25lookback_scan_determinismE0ELb0ELb0ES3_PKS6_PS6_S6_ZZZN2at6native31launch_logcumsumexp_cuda_kernelERKNSD_10TensorBaseESH_lENKUlvE_clEvENKUlvE3_clEvEUlS6_S6_E_S6_EEDaPvRmT3_T4_T5_mT6_P12ihipStream_tbENKUlT_T0_E_clISt17integral_constantIbLb1EESX_IbLb0EEEEDaST_SU_EUlST_E0_NS1_11comp_targetILNS1_3genE2ELNS1_11target_archE906ELNS1_3gpuE6ELNS1_3repE0EEENS1_30default_config_static_selectorELNS0_4arch9wavefront6targetE0EEEvT1_: ; @_ZN7rocprim17ROCPRIM_400000_NS6detail17trampoline_kernelINS0_14default_configENS1_20scan_config_selectorIN3c104HalfEEEZZNS1_9scan_implILNS1_25lookback_scan_determinismE0ELb0ELb0ES3_PKS6_PS6_S6_ZZZN2at6native31launch_logcumsumexp_cuda_kernelERKNSD_10TensorBaseESH_lENKUlvE_clEvENKUlvE3_clEvEUlS6_S6_E_S6_EEDaPvRmT3_T4_T5_mT6_P12ihipStream_tbENKUlT_T0_E_clISt17integral_constantIbLb1EESX_IbLb0EEEEDaST_SU_EUlST_E0_NS1_11comp_targetILNS1_3genE2ELNS1_11target_archE906ELNS1_3gpuE6ELNS1_3repE0EEENS1_30default_config_static_selectorELNS0_4arch9wavefront6targetE0EEEvT1_
; %bb.0:
	.section	.rodata,"a",@progbits
	.p2align	6, 0x0
	.amdhsa_kernel _ZN7rocprim17ROCPRIM_400000_NS6detail17trampoline_kernelINS0_14default_configENS1_20scan_config_selectorIN3c104HalfEEEZZNS1_9scan_implILNS1_25lookback_scan_determinismE0ELb0ELb0ES3_PKS6_PS6_S6_ZZZN2at6native31launch_logcumsumexp_cuda_kernelERKNSD_10TensorBaseESH_lENKUlvE_clEvENKUlvE3_clEvEUlS6_S6_E_S6_EEDaPvRmT3_T4_T5_mT6_P12ihipStream_tbENKUlT_T0_E_clISt17integral_constantIbLb1EESX_IbLb0EEEEDaST_SU_EUlST_E0_NS1_11comp_targetILNS1_3genE2ELNS1_11target_archE906ELNS1_3gpuE6ELNS1_3repE0EEENS1_30default_config_static_selectorELNS0_4arch9wavefront6targetE0EEEvT1_
		.amdhsa_group_segment_fixed_size 0
		.amdhsa_private_segment_fixed_size 0
		.amdhsa_kernarg_size 32
		.amdhsa_user_sgpr_count 15
		.amdhsa_user_sgpr_dispatch_ptr 0
		.amdhsa_user_sgpr_queue_ptr 0
		.amdhsa_user_sgpr_kernarg_segment_ptr 1
		.amdhsa_user_sgpr_dispatch_id 0
		.amdhsa_user_sgpr_private_segment_size 0
		.amdhsa_wavefront_size32 1
		.amdhsa_uses_dynamic_stack 0
		.amdhsa_enable_private_segment 0
		.amdhsa_system_sgpr_workgroup_id_x 1
		.amdhsa_system_sgpr_workgroup_id_y 0
		.amdhsa_system_sgpr_workgroup_id_z 0
		.amdhsa_system_sgpr_workgroup_info 0
		.amdhsa_system_vgpr_workitem_id 0
		.amdhsa_next_free_vgpr 1
		.amdhsa_next_free_sgpr 1
		.amdhsa_reserve_vcc 0
		.amdhsa_float_round_mode_32 0
		.amdhsa_float_round_mode_16_64 0
		.amdhsa_float_denorm_mode_32 3
		.amdhsa_float_denorm_mode_16_64 3
		.amdhsa_dx10_clamp 1
		.amdhsa_ieee_mode 1
		.amdhsa_fp16_overflow 0
		.amdhsa_workgroup_processor_mode 1
		.amdhsa_memory_ordered 1
		.amdhsa_forward_progress 0
		.amdhsa_shared_vgpr_count 0
		.amdhsa_exception_fp_ieee_invalid_op 0
		.amdhsa_exception_fp_denorm_src 0
		.amdhsa_exception_fp_ieee_div_zero 0
		.amdhsa_exception_fp_ieee_overflow 0
		.amdhsa_exception_fp_ieee_underflow 0
		.amdhsa_exception_fp_ieee_inexact 0
		.amdhsa_exception_int_div_zero 0
	.end_amdhsa_kernel
	.section	.text._ZN7rocprim17ROCPRIM_400000_NS6detail17trampoline_kernelINS0_14default_configENS1_20scan_config_selectorIN3c104HalfEEEZZNS1_9scan_implILNS1_25lookback_scan_determinismE0ELb0ELb0ES3_PKS6_PS6_S6_ZZZN2at6native31launch_logcumsumexp_cuda_kernelERKNSD_10TensorBaseESH_lENKUlvE_clEvENKUlvE3_clEvEUlS6_S6_E_S6_EEDaPvRmT3_T4_T5_mT6_P12ihipStream_tbENKUlT_T0_E_clISt17integral_constantIbLb1EESX_IbLb0EEEEDaST_SU_EUlST_E0_NS1_11comp_targetILNS1_3genE2ELNS1_11target_archE906ELNS1_3gpuE6ELNS1_3repE0EEENS1_30default_config_static_selectorELNS0_4arch9wavefront6targetE0EEEvT1_,"axG",@progbits,_ZN7rocprim17ROCPRIM_400000_NS6detail17trampoline_kernelINS0_14default_configENS1_20scan_config_selectorIN3c104HalfEEEZZNS1_9scan_implILNS1_25lookback_scan_determinismE0ELb0ELb0ES3_PKS6_PS6_S6_ZZZN2at6native31launch_logcumsumexp_cuda_kernelERKNSD_10TensorBaseESH_lENKUlvE_clEvENKUlvE3_clEvEUlS6_S6_E_S6_EEDaPvRmT3_T4_T5_mT6_P12ihipStream_tbENKUlT_T0_E_clISt17integral_constantIbLb1EESX_IbLb0EEEEDaST_SU_EUlST_E0_NS1_11comp_targetILNS1_3genE2ELNS1_11target_archE906ELNS1_3gpuE6ELNS1_3repE0EEENS1_30default_config_static_selectorELNS0_4arch9wavefront6targetE0EEEvT1_,comdat
.Lfunc_end417:
	.size	_ZN7rocprim17ROCPRIM_400000_NS6detail17trampoline_kernelINS0_14default_configENS1_20scan_config_selectorIN3c104HalfEEEZZNS1_9scan_implILNS1_25lookback_scan_determinismE0ELb0ELb0ES3_PKS6_PS6_S6_ZZZN2at6native31launch_logcumsumexp_cuda_kernelERKNSD_10TensorBaseESH_lENKUlvE_clEvENKUlvE3_clEvEUlS6_S6_E_S6_EEDaPvRmT3_T4_T5_mT6_P12ihipStream_tbENKUlT_T0_E_clISt17integral_constantIbLb1EESX_IbLb0EEEEDaST_SU_EUlST_E0_NS1_11comp_targetILNS1_3genE2ELNS1_11target_archE906ELNS1_3gpuE6ELNS1_3repE0EEENS1_30default_config_static_selectorELNS0_4arch9wavefront6targetE0EEEvT1_, .Lfunc_end417-_ZN7rocprim17ROCPRIM_400000_NS6detail17trampoline_kernelINS0_14default_configENS1_20scan_config_selectorIN3c104HalfEEEZZNS1_9scan_implILNS1_25lookback_scan_determinismE0ELb0ELb0ES3_PKS6_PS6_S6_ZZZN2at6native31launch_logcumsumexp_cuda_kernelERKNSD_10TensorBaseESH_lENKUlvE_clEvENKUlvE3_clEvEUlS6_S6_E_S6_EEDaPvRmT3_T4_T5_mT6_P12ihipStream_tbENKUlT_T0_E_clISt17integral_constantIbLb1EESX_IbLb0EEEEDaST_SU_EUlST_E0_NS1_11comp_targetILNS1_3genE2ELNS1_11target_archE906ELNS1_3gpuE6ELNS1_3repE0EEENS1_30default_config_static_selectorELNS0_4arch9wavefront6targetE0EEEvT1_
                                        ; -- End function
	.section	.AMDGPU.csdata,"",@progbits
; Kernel info:
; codeLenInByte = 0
; NumSgprs: 0
; NumVgprs: 0
; ScratchSize: 0
; MemoryBound: 0
; FloatMode: 240
; IeeeMode: 1
; LDSByteSize: 0 bytes/workgroup (compile time only)
; SGPRBlocks: 0
; VGPRBlocks: 0
; NumSGPRsForWavesPerEU: 1
; NumVGPRsForWavesPerEU: 1
; Occupancy: 16
; WaveLimiterHint : 0
; COMPUTE_PGM_RSRC2:SCRATCH_EN: 0
; COMPUTE_PGM_RSRC2:USER_SGPR: 15
; COMPUTE_PGM_RSRC2:TRAP_HANDLER: 0
; COMPUTE_PGM_RSRC2:TGID_X_EN: 1
; COMPUTE_PGM_RSRC2:TGID_Y_EN: 0
; COMPUTE_PGM_RSRC2:TGID_Z_EN: 0
; COMPUTE_PGM_RSRC2:TIDIG_COMP_CNT: 0
	.section	.text._ZN7rocprim17ROCPRIM_400000_NS6detail17trampoline_kernelINS0_14default_configENS1_20scan_config_selectorIN3c104HalfEEEZZNS1_9scan_implILNS1_25lookback_scan_determinismE0ELb0ELb0ES3_PKS6_PS6_S6_ZZZN2at6native31launch_logcumsumexp_cuda_kernelERKNSD_10TensorBaseESH_lENKUlvE_clEvENKUlvE3_clEvEUlS6_S6_E_S6_EEDaPvRmT3_T4_T5_mT6_P12ihipStream_tbENKUlT_T0_E_clISt17integral_constantIbLb1EESX_IbLb0EEEEDaST_SU_EUlST_E0_NS1_11comp_targetILNS1_3genE10ELNS1_11target_archE1201ELNS1_3gpuE5ELNS1_3repE0EEENS1_30default_config_static_selectorELNS0_4arch9wavefront6targetE0EEEvT1_,"axG",@progbits,_ZN7rocprim17ROCPRIM_400000_NS6detail17trampoline_kernelINS0_14default_configENS1_20scan_config_selectorIN3c104HalfEEEZZNS1_9scan_implILNS1_25lookback_scan_determinismE0ELb0ELb0ES3_PKS6_PS6_S6_ZZZN2at6native31launch_logcumsumexp_cuda_kernelERKNSD_10TensorBaseESH_lENKUlvE_clEvENKUlvE3_clEvEUlS6_S6_E_S6_EEDaPvRmT3_T4_T5_mT6_P12ihipStream_tbENKUlT_T0_E_clISt17integral_constantIbLb1EESX_IbLb0EEEEDaST_SU_EUlST_E0_NS1_11comp_targetILNS1_3genE10ELNS1_11target_archE1201ELNS1_3gpuE5ELNS1_3repE0EEENS1_30default_config_static_selectorELNS0_4arch9wavefront6targetE0EEEvT1_,comdat
	.globl	_ZN7rocprim17ROCPRIM_400000_NS6detail17trampoline_kernelINS0_14default_configENS1_20scan_config_selectorIN3c104HalfEEEZZNS1_9scan_implILNS1_25lookback_scan_determinismE0ELb0ELb0ES3_PKS6_PS6_S6_ZZZN2at6native31launch_logcumsumexp_cuda_kernelERKNSD_10TensorBaseESH_lENKUlvE_clEvENKUlvE3_clEvEUlS6_S6_E_S6_EEDaPvRmT3_T4_T5_mT6_P12ihipStream_tbENKUlT_T0_E_clISt17integral_constantIbLb1EESX_IbLb0EEEEDaST_SU_EUlST_E0_NS1_11comp_targetILNS1_3genE10ELNS1_11target_archE1201ELNS1_3gpuE5ELNS1_3repE0EEENS1_30default_config_static_selectorELNS0_4arch9wavefront6targetE0EEEvT1_ ; -- Begin function _ZN7rocprim17ROCPRIM_400000_NS6detail17trampoline_kernelINS0_14default_configENS1_20scan_config_selectorIN3c104HalfEEEZZNS1_9scan_implILNS1_25lookback_scan_determinismE0ELb0ELb0ES3_PKS6_PS6_S6_ZZZN2at6native31launch_logcumsumexp_cuda_kernelERKNSD_10TensorBaseESH_lENKUlvE_clEvENKUlvE3_clEvEUlS6_S6_E_S6_EEDaPvRmT3_T4_T5_mT6_P12ihipStream_tbENKUlT_T0_E_clISt17integral_constantIbLb1EESX_IbLb0EEEEDaST_SU_EUlST_E0_NS1_11comp_targetILNS1_3genE10ELNS1_11target_archE1201ELNS1_3gpuE5ELNS1_3repE0EEENS1_30default_config_static_selectorELNS0_4arch9wavefront6targetE0EEEvT1_
	.p2align	8
	.type	_ZN7rocprim17ROCPRIM_400000_NS6detail17trampoline_kernelINS0_14default_configENS1_20scan_config_selectorIN3c104HalfEEEZZNS1_9scan_implILNS1_25lookback_scan_determinismE0ELb0ELb0ES3_PKS6_PS6_S6_ZZZN2at6native31launch_logcumsumexp_cuda_kernelERKNSD_10TensorBaseESH_lENKUlvE_clEvENKUlvE3_clEvEUlS6_S6_E_S6_EEDaPvRmT3_T4_T5_mT6_P12ihipStream_tbENKUlT_T0_E_clISt17integral_constantIbLb1EESX_IbLb0EEEEDaST_SU_EUlST_E0_NS1_11comp_targetILNS1_3genE10ELNS1_11target_archE1201ELNS1_3gpuE5ELNS1_3repE0EEENS1_30default_config_static_selectorELNS0_4arch9wavefront6targetE0EEEvT1_,@function
_ZN7rocprim17ROCPRIM_400000_NS6detail17trampoline_kernelINS0_14default_configENS1_20scan_config_selectorIN3c104HalfEEEZZNS1_9scan_implILNS1_25lookback_scan_determinismE0ELb0ELb0ES3_PKS6_PS6_S6_ZZZN2at6native31launch_logcumsumexp_cuda_kernelERKNSD_10TensorBaseESH_lENKUlvE_clEvENKUlvE3_clEvEUlS6_S6_E_S6_EEDaPvRmT3_T4_T5_mT6_P12ihipStream_tbENKUlT_T0_E_clISt17integral_constantIbLb1EESX_IbLb0EEEEDaST_SU_EUlST_E0_NS1_11comp_targetILNS1_3genE10ELNS1_11target_archE1201ELNS1_3gpuE5ELNS1_3repE0EEENS1_30default_config_static_selectorELNS0_4arch9wavefront6targetE0EEEvT1_: ; @_ZN7rocprim17ROCPRIM_400000_NS6detail17trampoline_kernelINS0_14default_configENS1_20scan_config_selectorIN3c104HalfEEEZZNS1_9scan_implILNS1_25lookback_scan_determinismE0ELb0ELb0ES3_PKS6_PS6_S6_ZZZN2at6native31launch_logcumsumexp_cuda_kernelERKNSD_10TensorBaseESH_lENKUlvE_clEvENKUlvE3_clEvEUlS6_S6_E_S6_EEDaPvRmT3_T4_T5_mT6_P12ihipStream_tbENKUlT_T0_E_clISt17integral_constantIbLb1EESX_IbLb0EEEEDaST_SU_EUlST_E0_NS1_11comp_targetILNS1_3genE10ELNS1_11target_archE1201ELNS1_3gpuE5ELNS1_3repE0EEENS1_30default_config_static_selectorELNS0_4arch9wavefront6targetE0EEEvT1_
; %bb.0:
	.section	.rodata,"a",@progbits
	.p2align	6, 0x0
	.amdhsa_kernel _ZN7rocprim17ROCPRIM_400000_NS6detail17trampoline_kernelINS0_14default_configENS1_20scan_config_selectorIN3c104HalfEEEZZNS1_9scan_implILNS1_25lookback_scan_determinismE0ELb0ELb0ES3_PKS6_PS6_S6_ZZZN2at6native31launch_logcumsumexp_cuda_kernelERKNSD_10TensorBaseESH_lENKUlvE_clEvENKUlvE3_clEvEUlS6_S6_E_S6_EEDaPvRmT3_T4_T5_mT6_P12ihipStream_tbENKUlT_T0_E_clISt17integral_constantIbLb1EESX_IbLb0EEEEDaST_SU_EUlST_E0_NS1_11comp_targetILNS1_3genE10ELNS1_11target_archE1201ELNS1_3gpuE5ELNS1_3repE0EEENS1_30default_config_static_selectorELNS0_4arch9wavefront6targetE0EEEvT1_
		.amdhsa_group_segment_fixed_size 0
		.amdhsa_private_segment_fixed_size 0
		.amdhsa_kernarg_size 32
		.amdhsa_user_sgpr_count 15
		.amdhsa_user_sgpr_dispatch_ptr 0
		.amdhsa_user_sgpr_queue_ptr 0
		.amdhsa_user_sgpr_kernarg_segment_ptr 1
		.amdhsa_user_sgpr_dispatch_id 0
		.amdhsa_user_sgpr_private_segment_size 0
		.amdhsa_wavefront_size32 1
		.amdhsa_uses_dynamic_stack 0
		.amdhsa_enable_private_segment 0
		.amdhsa_system_sgpr_workgroup_id_x 1
		.amdhsa_system_sgpr_workgroup_id_y 0
		.amdhsa_system_sgpr_workgroup_id_z 0
		.amdhsa_system_sgpr_workgroup_info 0
		.amdhsa_system_vgpr_workitem_id 0
		.amdhsa_next_free_vgpr 1
		.amdhsa_next_free_sgpr 1
		.amdhsa_reserve_vcc 0
		.amdhsa_float_round_mode_32 0
		.amdhsa_float_round_mode_16_64 0
		.amdhsa_float_denorm_mode_32 3
		.amdhsa_float_denorm_mode_16_64 3
		.amdhsa_dx10_clamp 1
		.amdhsa_ieee_mode 1
		.amdhsa_fp16_overflow 0
		.amdhsa_workgroup_processor_mode 1
		.amdhsa_memory_ordered 1
		.amdhsa_forward_progress 0
		.amdhsa_shared_vgpr_count 0
		.amdhsa_exception_fp_ieee_invalid_op 0
		.amdhsa_exception_fp_denorm_src 0
		.amdhsa_exception_fp_ieee_div_zero 0
		.amdhsa_exception_fp_ieee_overflow 0
		.amdhsa_exception_fp_ieee_underflow 0
		.amdhsa_exception_fp_ieee_inexact 0
		.amdhsa_exception_int_div_zero 0
	.end_amdhsa_kernel
	.section	.text._ZN7rocprim17ROCPRIM_400000_NS6detail17trampoline_kernelINS0_14default_configENS1_20scan_config_selectorIN3c104HalfEEEZZNS1_9scan_implILNS1_25lookback_scan_determinismE0ELb0ELb0ES3_PKS6_PS6_S6_ZZZN2at6native31launch_logcumsumexp_cuda_kernelERKNSD_10TensorBaseESH_lENKUlvE_clEvENKUlvE3_clEvEUlS6_S6_E_S6_EEDaPvRmT3_T4_T5_mT6_P12ihipStream_tbENKUlT_T0_E_clISt17integral_constantIbLb1EESX_IbLb0EEEEDaST_SU_EUlST_E0_NS1_11comp_targetILNS1_3genE10ELNS1_11target_archE1201ELNS1_3gpuE5ELNS1_3repE0EEENS1_30default_config_static_selectorELNS0_4arch9wavefront6targetE0EEEvT1_,"axG",@progbits,_ZN7rocprim17ROCPRIM_400000_NS6detail17trampoline_kernelINS0_14default_configENS1_20scan_config_selectorIN3c104HalfEEEZZNS1_9scan_implILNS1_25lookback_scan_determinismE0ELb0ELb0ES3_PKS6_PS6_S6_ZZZN2at6native31launch_logcumsumexp_cuda_kernelERKNSD_10TensorBaseESH_lENKUlvE_clEvENKUlvE3_clEvEUlS6_S6_E_S6_EEDaPvRmT3_T4_T5_mT6_P12ihipStream_tbENKUlT_T0_E_clISt17integral_constantIbLb1EESX_IbLb0EEEEDaST_SU_EUlST_E0_NS1_11comp_targetILNS1_3genE10ELNS1_11target_archE1201ELNS1_3gpuE5ELNS1_3repE0EEENS1_30default_config_static_selectorELNS0_4arch9wavefront6targetE0EEEvT1_,comdat
.Lfunc_end418:
	.size	_ZN7rocprim17ROCPRIM_400000_NS6detail17trampoline_kernelINS0_14default_configENS1_20scan_config_selectorIN3c104HalfEEEZZNS1_9scan_implILNS1_25lookback_scan_determinismE0ELb0ELb0ES3_PKS6_PS6_S6_ZZZN2at6native31launch_logcumsumexp_cuda_kernelERKNSD_10TensorBaseESH_lENKUlvE_clEvENKUlvE3_clEvEUlS6_S6_E_S6_EEDaPvRmT3_T4_T5_mT6_P12ihipStream_tbENKUlT_T0_E_clISt17integral_constantIbLb1EESX_IbLb0EEEEDaST_SU_EUlST_E0_NS1_11comp_targetILNS1_3genE10ELNS1_11target_archE1201ELNS1_3gpuE5ELNS1_3repE0EEENS1_30default_config_static_selectorELNS0_4arch9wavefront6targetE0EEEvT1_, .Lfunc_end418-_ZN7rocprim17ROCPRIM_400000_NS6detail17trampoline_kernelINS0_14default_configENS1_20scan_config_selectorIN3c104HalfEEEZZNS1_9scan_implILNS1_25lookback_scan_determinismE0ELb0ELb0ES3_PKS6_PS6_S6_ZZZN2at6native31launch_logcumsumexp_cuda_kernelERKNSD_10TensorBaseESH_lENKUlvE_clEvENKUlvE3_clEvEUlS6_S6_E_S6_EEDaPvRmT3_T4_T5_mT6_P12ihipStream_tbENKUlT_T0_E_clISt17integral_constantIbLb1EESX_IbLb0EEEEDaST_SU_EUlST_E0_NS1_11comp_targetILNS1_3genE10ELNS1_11target_archE1201ELNS1_3gpuE5ELNS1_3repE0EEENS1_30default_config_static_selectorELNS0_4arch9wavefront6targetE0EEEvT1_
                                        ; -- End function
	.section	.AMDGPU.csdata,"",@progbits
; Kernel info:
; codeLenInByte = 0
; NumSgprs: 0
; NumVgprs: 0
; ScratchSize: 0
; MemoryBound: 0
; FloatMode: 240
; IeeeMode: 1
; LDSByteSize: 0 bytes/workgroup (compile time only)
; SGPRBlocks: 0
; VGPRBlocks: 0
; NumSGPRsForWavesPerEU: 1
; NumVGPRsForWavesPerEU: 1
; Occupancy: 16
; WaveLimiterHint : 0
; COMPUTE_PGM_RSRC2:SCRATCH_EN: 0
; COMPUTE_PGM_RSRC2:USER_SGPR: 15
; COMPUTE_PGM_RSRC2:TRAP_HANDLER: 0
; COMPUTE_PGM_RSRC2:TGID_X_EN: 1
; COMPUTE_PGM_RSRC2:TGID_Y_EN: 0
; COMPUTE_PGM_RSRC2:TGID_Z_EN: 0
; COMPUTE_PGM_RSRC2:TIDIG_COMP_CNT: 0
	.section	.text._ZN7rocprim17ROCPRIM_400000_NS6detail17trampoline_kernelINS0_14default_configENS1_20scan_config_selectorIN3c104HalfEEEZZNS1_9scan_implILNS1_25lookback_scan_determinismE0ELb0ELb0ES3_PKS6_PS6_S6_ZZZN2at6native31launch_logcumsumexp_cuda_kernelERKNSD_10TensorBaseESH_lENKUlvE_clEvENKUlvE3_clEvEUlS6_S6_E_S6_EEDaPvRmT3_T4_T5_mT6_P12ihipStream_tbENKUlT_T0_E_clISt17integral_constantIbLb1EESX_IbLb0EEEEDaST_SU_EUlST_E0_NS1_11comp_targetILNS1_3genE10ELNS1_11target_archE1200ELNS1_3gpuE4ELNS1_3repE0EEENS1_30default_config_static_selectorELNS0_4arch9wavefront6targetE0EEEvT1_,"axG",@progbits,_ZN7rocprim17ROCPRIM_400000_NS6detail17trampoline_kernelINS0_14default_configENS1_20scan_config_selectorIN3c104HalfEEEZZNS1_9scan_implILNS1_25lookback_scan_determinismE0ELb0ELb0ES3_PKS6_PS6_S6_ZZZN2at6native31launch_logcumsumexp_cuda_kernelERKNSD_10TensorBaseESH_lENKUlvE_clEvENKUlvE3_clEvEUlS6_S6_E_S6_EEDaPvRmT3_T4_T5_mT6_P12ihipStream_tbENKUlT_T0_E_clISt17integral_constantIbLb1EESX_IbLb0EEEEDaST_SU_EUlST_E0_NS1_11comp_targetILNS1_3genE10ELNS1_11target_archE1200ELNS1_3gpuE4ELNS1_3repE0EEENS1_30default_config_static_selectorELNS0_4arch9wavefront6targetE0EEEvT1_,comdat
	.globl	_ZN7rocprim17ROCPRIM_400000_NS6detail17trampoline_kernelINS0_14default_configENS1_20scan_config_selectorIN3c104HalfEEEZZNS1_9scan_implILNS1_25lookback_scan_determinismE0ELb0ELb0ES3_PKS6_PS6_S6_ZZZN2at6native31launch_logcumsumexp_cuda_kernelERKNSD_10TensorBaseESH_lENKUlvE_clEvENKUlvE3_clEvEUlS6_S6_E_S6_EEDaPvRmT3_T4_T5_mT6_P12ihipStream_tbENKUlT_T0_E_clISt17integral_constantIbLb1EESX_IbLb0EEEEDaST_SU_EUlST_E0_NS1_11comp_targetILNS1_3genE10ELNS1_11target_archE1200ELNS1_3gpuE4ELNS1_3repE0EEENS1_30default_config_static_selectorELNS0_4arch9wavefront6targetE0EEEvT1_ ; -- Begin function _ZN7rocprim17ROCPRIM_400000_NS6detail17trampoline_kernelINS0_14default_configENS1_20scan_config_selectorIN3c104HalfEEEZZNS1_9scan_implILNS1_25lookback_scan_determinismE0ELb0ELb0ES3_PKS6_PS6_S6_ZZZN2at6native31launch_logcumsumexp_cuda_kernelERKNSD_10TensorBaseESH_lENKUlvE_clEvENKUlvE3_clEvEUlS6_S6_E_S6_EEDaPvRmT3_T4_T5_mT6_P12ihipStream_tbENKUlT_T0_E_clISt17integral_constantIbLb1EESX_IbLb0EEEEDaST_SU_EUlST_E0_NS1_11comp_targetILNS1_3genE10ELNS1_11target_archE1200ELNS1_3gpuE4ELNS1_3repE0EEENS1_30default_config_static_selectorELNS0_4arch9wavefront6targetE0EEEvT1_
	.p2align	8
	.type	_ZN7rocprim17ROCPRIM_400000_NS6detail17trampoline_kernelINS0_14default_configENS1_20scan_config_selectorIN3c104HalfEEEZZNS1_9scan_implILNS1_25lookback_scan_determinismE0ELb0ELb0ES3_PKS6_PS6_S6_ZZZN2at6native31launch_logcumsumexp_cuda_kernelERKNSD_10TensorBaseESH_lENKUlvE_clEvENKUlvE3_clEvEUlS6_S6_E_S6_EEDaPvRmT3_T4_T5_mT6_P12ihipStream_tbENKUlT_T0_E_clISt17integral_constantIbLb1EESX_IbLb0EEEEDaST_SU_EUlST_E0_NS1_11comp_targetILNS1_3genE10ELNS1_11target_archE1200ELNS1_3gpuE4ELNS1_3repE0EEENS1_30default_config_static_selectorELNS0_4arch9wavefront6targetE0EEEvT1_,@function
_ZN7rocprim17ROCPRIM_400000_NS6detail17trampoline_kernelINS0_14default_configENS1_20scan_config_selectorIN3c104HalfEEEZZNS1_9scan_implILNS1_25lookback_scan_determinismE0ELb0ELb0ES3_PKS6_PS6_S6_ZZZN2at6native31launch_logcumsumexp_cuda_kernelERKNSD_10TensorBaseESH_lENKUlvE_clEvENKUlvE3_clEvEUlS6_S6_E_S6_EEDaPvRmT3_T4_T5_mT6_P12ihipStream_tbENKUlT_T0_E_clISt17integral_constantIbLb1EESX_IbLb0EEEEDaST_SU_EUlST_E0_NS1_11comp_targetILNS1_3genE10ELNS1_11target_archE1200ELNS1_3gpuE4ELNS1_3repE0EEENS1_30default_config_static_selectorELNS0_4arch9wavefront6targetE0EEEvT1_: ; @_ZN7rocprim17ROCPRIM_400000_NS6detail17trampoline_kernelINS0_14default_configENS1_20scan_config_selectorIN3c104HalfEEEZZNS1_9scan_implILNS1_25lookback_scan_determinismE0ELb0ELb0ES3_PKS6_PS6_S6_ZZZN2at6native31launch_logcumsumexp_cuda_kernelERKNSD_10TensorBaseESH_lENKUlvE_clEvENKUlvE3_clEvEUlS6_S6_E_S6_EEDaPvRmT3_T4_T5_mT6_P12ihipStream_tbENKUlT_T0_E_clISt17integral_constantIbLb1EESX_IbLb0EEEEDaST_SU_EUlST_E0_NS1_11comp_targetILNS1_3genE10ELNS1_11target_archE1200ELNS1_3gpuE4ELNS1_3repE0EEENS1_30default_config_static_selectorELNS0_4arch9wavefront6targetE0EEEvT1_
; %bb.0:
	.section	.rodata,"a",@progbits
	.p2align	6, 0x0
	.amdhsa_kernel _ZN7rocprim17ROCPRIM_400000_NS6detail17trampoline_kernelINS0_14default_configENS1_20scan_config_selectorIN3c104HalfEEEZZNS1_9scan_implILNS1_25lookback_scan_determinismE0ELb0ELb0ES3_PKS6_PS6_S6_ZZZN2at6native31launch_logcumsumexp_cuda_kernelERKNSD_10TensorBaseESH_lENKUlvE_clEvENKUlvE3_clEvEUlS6_S6_E_S6_EEDaPvRmT3_T4_T5_mT6_P12ihipStream_tbENKUlT_T0_E_clISt17integral_constantIbLb1EESX_IbLb0EEEEDaST_SU_EUlST_E0_NS1_11comp_targetILNS1_3genE10ELNS1_11target_archE1200ELNS1_3gpuE4ELNS1_3repE0EEENS1_30default_config_static_selectorELNS0_4arch9wavefront6targetE0EEEvT1_
		.amdhsa_group_segment_fixed_size 0
		.amdhsa_private_segment_fixed_size 0
		.amdhsa_kernarg_size 32
		.amdhsa_user_sgpr_count 15
		.amdhsa_user_sgpr_dispatch_ptr 0
		.amdhsa_user_sgpr_queue_ptr 0
		.amdhsa_user_sgpr_kernarg_segment_ptr 1
		.amdhsa_user_sgpr_dispatch_id 0
		.amdhsa_user_sgpr_private_segment_size 0
		.amdhsa_wavefront_size32 1
		.amdhsa_uses_dynamic_stack 0
		.amdhsa_enable_private_segment 0
		.amdhsa_system_sgpr_workgroup_id_x 1
		.amdhsa_system_sgpr_workgroup_id_y 0
		.amdhsa_system_sgpr_workgroup_id_z 0
		.amdhsa_system_sgpr_workgroup_info 0
		.amdhsa_system_vgpr_workitem_id 0
		.amdhsa_next_free_vgpr 1
		.amdhsa_next_free_sgpr 1
		.amdhsa_reserve_vcc 0
		.amdhsa_float_round_mode_32 0
		.amdhsa_float_round_mode_16_64 0
		.amdhsa_float_denorm_mode_32 3
		.amdhsa_float_denorm_mode_16_64 3
		.amdhsa_dx10_clamp 1
		.amdhsa_ieee_mode 1
		.amdhsa_fp16_overflow 0
		.amdhsa_workgroup_processor_mode 1
		.amdhsa_memory_ordered 1
		.amdhsa_forward_progress 0
		.amdhsa_shared_vgpr_count 0
		.amdhsa_exception_fp_ieee_invalid_op 0
		.amdhsa_exception_fp_denorm_src 0
		.amdhsa_exception_fp_ieee_div_zero 0
		.amdhsa_exception_fp_ieee_overflow 0
		.amdhsa_exception_fp_ieee_underflow 0
		.amdhsa_exception_fp_ieee_inexact 0
		.amdhsa_exception_int_div_zero 0
	.end_amdhsa_kernel
	.section	.text._ZN7rocprim17ROCPRIM_400000_NS6detail17trampoline_kernelINS0_14default_configENS1_20scan_config_selectorIN3c104HalfEEEZZNS1_9scan_implILNS1_25lookback_scan_determinismE0ELb0ELb0ES3_PKS6_PS6_S6_ZZZN2at6native31launch_logcumsumexp_cuda_kernelERKNSD_10TensorBaseESH_lENKUlvE_clEvENKUlvE3_clEvEUlS6_S6_E_S6_EEDaPvRmT3_T4_T5_mT6_P12ihipStream_tbENKUlT_T0_E_clISt17integral_constantIbLb1EESX_IbLb0EEEEDaST_SU_EUlST_E0_NS1_11comp_targetILNS1_3genE10ELNS1_11target_archE1200ELNS1_3gpuE4ELNS1_3repE0EEENS1_30default_config_static_selectorELNS0_4arch9wavefront6targetE0EEEvT1_,"axG",@progbits,_ZN7rocprim17ROCPRIM_400000_NS6detail17trampoline_kernelINS0_14default_configENS1_20scan_config_selectorIN3c104HalfEEEZZNS1_9scan_implILNS1_25lookback_scan_determinismE0ELb0ELb0ES3_PKS6_PS6_S6_ZZZN2at6native31launch_logcumsumexp_cuda_kernelERKNSD_10TensorBaseESH_lENKUlvE_clEvENKUlvE3_clEvEUlS6_S6_E_S6_EEDaPvRmT3_T4_T5_mT6_P12ihipStream_tbENKUlT_T0_E_clISt17integral_constantIbLb1EESX_IbLb0EEEEDaST_SU_EUlST_E0_NS1_11comp_targetILNS1_3genE10ELNS1_11target_archE1200ELNS1_3gpuE4ELNS1_3repE0EEENS1_30default_config_static_selectorELNS0_4arch9wavefront6targetE0EEEvT1_,comdat
.Lfunc_end419:
	.size	_ZN7rocprim17ROCPRIM_400000_NS6detail17trampoline_kernelINS0_14default_configENS1_20scan_config_selectorIN3c104HalfEEEZZNS1_9scan_implILNS1_25lookback_scan_determinismE0ELb0ELb0ES3_PKS6_PS6_S6_ZZZN2at6native31launch_logcumsumexp_cuda_kernelERKNSD_10TensorBaseESH_lENKUlvE_clEvENKUlvE3_clEvEUlS6_S6_E_S6_EEDaPvRmT3_T4_T5_mT6_P12ihipStream_tbENKUlT_T0_E_clISt17integral_constantIbLb1EESX_IbLb0EEEEDaST_SU_EUlST_E0_NS1_11comp_targetILNS1_3genE10ELNS1_11target_archE1200ELNS1_3gpuE4ELNS1_3repE0EEENS1_30default_config_static_selectorELNS0_4arch9wavefront6targetE0EEEvT1_, .Lfunc_end419-_ZN7rocprim17ROCPRIM_400000_NS6detail17trampoline_kernelINS0_14default_configENS1_20scan_config_selectorIN3c104HalfEEEZZNS1_9scan_implILNS1_25lookback_scan_determinismE0ELb0ELb0ES3_PKS6_PS6_S6_ZZZN2at6native31launch_logcumsumexp_cuda_kernelERKNSD_10TensorBaseESH_lENKUlvE_clEvENKUlvE3_clEvEUlS6_S6_E_S6_EEDaPvRmT3_T4_T5_mT6_P12ihipStream_tbENKUlT_T0_E_clISt17integral_constantIbLb1EESX_IbLb0EEEEDaST_SU_EUlST_E0_NS1_11comp_targetILNS1_3genE10ELNS1_11target_archE1200ELNS1_3gpuE4ELNS1_3repE0EEENS1_30default_config_static_selectorELNS0_4arch9wavefront6targetE0EEEvT1_
                                        ; -- End function
	.section	.AMDGPU.csdata,"",@progbits
; Kernel info:
; codeLenInByte = 0
; NumSgprs: 0
; NumVgprs: 0
; ScratchSize: 0
; MemoryBound: 0
; FloatMode: 240
; IeeeMode: 1
; LDSByteSize: 0 bytes/workgroup (compile time only)
; SGPRBlocks: 0
; VGPRBlocks: 0
; NumSGPRsForWavesPerEU: 1
; NumVGPRsForWavesPerEU: 1
; Occupancy: 16
; WaveLimiterHint : 0
; COMPUTE_PGM_RSRC2:SCRATCH_EN: 0
; COMPUTE_PGM_RSRC2:USER_SGPR: 15
; COMPUTE_PGM_RSRC2:TRAP_HANDLER: 0
; COMPUTE_PGM_RSRC2:TGID_X_EN: 1
; COMPUTE_PGM_RSRC2:TGID_Y_EN: 0
; COMPUTE_PGM_RSRC2:TGID_Z_EN: 0
; COMPUTE_PGM_RSRC2:TIDIG_COMP_CNT: 0
	.section	.text._ZN7rocprim17ROCPRIM_400000_NS6detail17trampoline_kernelINS0_14default_configENS1_20scan_config_selectorIN3c104HalfEEEZZNS1_9scan_implILNS1_25lookback_scan_determinismE0ELb0ELb0ES3_PKS6_PS6_S6_ZZZN2at6native31launch_logcumsumexp_cuda_kernelERKNSD_10TensorBaseESH_lENKUlvE_clEvENKUlvE3_clEvEUlS6_S6_E_S6_EEDaPvRmT3_T4_T5_mT6_P12ihipStream_tbENKUlT_T0_E_clISt17integral_constantIbLb1EESX_IbLb0EEEEDaST_SU_EUlST_E0_NS1_11comp_targetILNS1_3genE9ELNS1_11target_archE1100ELNS1_3gpuE3ELNS1_3repE0EEENS1_30default_config_static_selectorELNS0_4arch9wavefront6targetE0EEEvT1_,"axG",@progbits,_ZN7rocprim17ROCPRIM_400000_NS6detail17trampoline_kernelINS0_14default_configENS1_20scan_config_selectorIN3c104HalfEEEZZNS1_9scan_implILNS1_25lookback_scan_determinismE0ELb0ELb0ES3_PKS6_PS6_S6_ZZZN2at6native31launch_logcumsumexp_cuda_kernelERKNSD_10TensorBaseESH_lENKUlvE_clEvENKUlvE3_clEvEUlS6_S6_E_S6_EEDaPvRmT3_T4_T5_mT6_P12ihipStream_tbENKUlT_T0_E_clISt17integral_constantIbLb1EESX_IbLb0EEEEDaST_SU_EUlST_E0_NS1_11comp_targetILNS1_3genE9ELNS1_11target_archE1100ELNS1_3gpuE3ELNS1_3repE0EEENS1_30default_config_static_selectorELNS0_4arch9wavefront6targetE0EEEvT1_,comdat
	.globl	_ZN7rocprim17ROCPRIM_400000_NS6detail17trampoline_kernelINS0_14default_configENS1_20scan_config_selectorIN3c104HalfEEEZZNS1_9scan_implILNS1_25lookback_scan_determinismE0ELb0ELb0ES3_PKS6_PS6_S6_ZZZN2at6native31launch_logcumsumexp_cuda_kernelERKNSD_10TensorBaseESH_lENKUlvE_clEvENKUlvE3_clEvEUlS6_S6_E_S6_EEDaPvRmT3_T4_T5_mT6_P12ihipStream_tbENKUlT_T0_E_clISt17integral_constantIbLb1EESX_IbLb0EEEEDaST_SU_EUlST_E0_NS1_11comp_targetILNS1_3genE9ELNS1_11target_archE1100ELNS1_3gpuE3ELNS1_3repE0EEENS1_30default_config_static_selectorELNS0_4arch9wavefront6targetE0EEEvT1_ ; -- Begin function _ZN7rocprim17ROCPRIM_400000_NS6detail17trampoline_kernelINS0_14default_configENS1_20scan_config_selectorIN3c104HalfEEEZZNS1_9scan_implILNS1_25lookback_scan_determinismE0ELb0ELb0ES3_PKS6_PS6_S6_ZZZN2at6native31launch_logcumsumexp_cuda_kernelERKNSD_10TensorBaseESH_lENKUlvE_clEvENKUlvE3_clEvEUlS6_S6_E_S6_EEDaPvRmT3_T4_T5_mT6_P12ihipStream_tbENKUlT_T0_E_clISt17integral_constantIbLb1EESX_IbLb0EEEEDaST_SU_EUlST_E0_NS1_11comp_targetILNS1_3genE9ELNS1_11target_archE1100ELNS1_3gpuE3ELNS1_3repE0EEENS1_30default_config_static_selectorELNS0_4arch9wavefront6targetE0EEEvT1_
	.p2align	8
	.type	_ZN7rocprim17ROCPRIM_400000_NS6detail17trampoline_kernelINS0_14default_configENS1_20scan_config_selectorIN3c104HalfEEEZZNS1_9scan_implILNS1_25lookback_scan_determinismE0ELb0ELb0ES3_PKS6_PS6_S6_ZZZN2at6native31launch_logcumsumexp_cuda_kernelERKNSD_10TensorBaseESH_lENKUlvE_clEvENKUlvE3_clEvEUlS6_S6_E_S6_EEDaPvRmT3_T4_T5_mT6_P12ihipStream_tbENKUlT_T0_E_clISt17integral_constantIbLb1EESX_IbLb0EEEEDaST_SU_EUlST_E0_NS1_11comp_targetILNS1_3genE9ELNS1_11target_archE1100ELNS1_3gpuE3ELNS1_3repE0EEENS1_30default_config_static_selectorELNS0_4arch9wavefront6targetE0EEEvT1_,@function
_ZN7rocprim17ROCPRIM_400000_NS6detail17trampoline_kernelINS0_14default_configENS1_20scan_config_selectorIN3c104HalfEEEZZNS1_9scan_implILNS1_25lookback_scan_determinismE0ELb0ELb0ES3_PKS6_PS6_S6_ZZZN2at6native31launch_logcumsumexp_cuda_kernelERKNSD_10TensorBaseESH_lENKUlvE_clEvENKUlvE3_clEvEUlS6_S6_E_S6_EEDaPvRmT3_T4_T5_mT6_P12ihipStream_tbENKUlT_T0_E_clISt17integral_constantIbLb1EESX_IbLb0EEEEDaST_SU_EUlST_E0_NS1_11comp_targetILNS1_3genE9ELNS1_11target_archE1100ELNS1_3gpuE3ELNS1_3repE0EEENS1_30default_config_static_selectorELNS0_4arch9wavefront6targetE0EEEvT1_: ; @_ZN7rocprim17ROCPRIM_400000_NS6detail17trampoline_kernelINS0_14default_configENS1_20scan_config_selectorIN3c104HalfEEEZZNS1_9scan_implILNS1_25lookback_scan_determinismE0ELb0ELb0ES3_PKS6_PS6_S6_ZZZN2at6native31launch_logcumsumexp_cuda_kernelERKNSD_10TensorBaseESH_lENKUlvE_clEvENKUlvE3_clEvEUlS6_S6_E_S6_EEDaPvRmT3_T4_T5_mT6_P12ihipStream_tbENKUlT_T0_E_clISt17integral_constantIbLb1EESX_IbLb0EEEEDaST_SU_EUlST_E0_NS1_11comp_targetILNS1_3genE9ELNS1_11target_archE1100ELNS1_3gpuE3ELNS1_3repE0EEENS1_30default_config_static_selectorELNS0_4arch9wavefront6targetE0EEEvT1_
; %bb.0:
	s_load_b128 s[24:27], s[0:1], 0x0
	v_dual_mov_b32 v1, 0 :: v_dual_lshlrev_b32 v12, 1, v0
	s_waitcnt lgkmcnt(0)
	global_load_u16 v2, v1, s[24:25]
	v_cmp_gt_u32_e32 vcc_lo, s26, v0
	s_waitcnt vmcnt(0)
	v_mov_b32_e32 v3, v2
	s_and_saveexec_b32 s2, vcc_lo
	s_cbranch_execz .LBB420_2
; %bb.1:
	global_load_u16 v3, v12, s[24:25]
.LBB420_2:
	s_or_b32 exec_lo, exec_lo, s2
	v_or_b32_e32 v1, 64, v0
	v_mov_b32_e32 v4, v2
	s_delay_alu instid0(VALU_DEP_2) | instskip(NEXT) | instid1(VALU_DEP_1)
	v_cmp_gt_u32_e64 s2, s26, v1
	s_and_saveexec_b32 s3, s2
	s_cbranch_execz .LBB420_4
; %bb.3:
	global_load_u16 v4, v12, s[24:25] offset:128
.LBB420_4:
	s_or_b32 exec_lo, exec_lo, s3
	v_or_b32_e32 v1, 0x80, v0
	v_mov_b32_e32 v5, v2
	s_delay_alu instid0(VALU_DEP_2) | instskip(NEXT) | instid1(VALU_DEP_1)
	v_cmp_gt_u32_e64 s3, s26, v1
	s_and_saveexec_b32 s4, s3
	s_cbranch_execz .LBB420_6
; %bb.5:
	global_load_u16 v5, v12, s[24:25] offset:256
.LBB420_6:
	;; [unrolled: 10-line block ×20, first 2 shown]
	s_or_b32 exec_lo, exec_lo, s22
	v_or_b32_e32 v1, 0x540, v0
	s_delay_alu instid0(VALU_DEP_1) | instskip(SKIP_1) | instid1(VALU_DEP_1)
	v_cmp_gt_u32_e64 s22, s26, v1
	v_cmp_le_u32_e64 s23, s26, v1
	s_and_saveexec_b32 s26, s23
	s_delay_alu instid0(SALU_CYCLE_1)
	s_xor_b32 s23, exec_lo, s26
; %bb.43:
	v_mov_b32_e32 v1, 0
; %bb.44:
	s_and_not1_saveexec_b32 s23, s23
	s_cbranch_execz .LBB420_46
; %bb.45:
	global_load_u16 v2, v12, s[24:25] offset:2688
	v_mov_b32_e32 v1, 0
.LBB420_46:
	s_or_b32 exec_lo, exec_lo, s23
	s_waitcnt vmcnt(0)
	ds_store_b16 v12, v3
	ds_store_b16 v12, v4 offset:128
	ds_store_b16 v12, v5 offset:256
	;; [unrolled: 1-line block ×15, first 2 shown]
	v_mad_u32_u24 v15, v0, 42, v12
	ds_store_b16 v12, v20 offset:2048
	ds_store_b16 v12, v21 offset:2176
	;; [unrolled: 1-line block ×6, first 2 shown]
	s_waitcnt lgkmcnt(0)
	s_barrier
	buffer_gl0_inv
	ds_load_2addr_b32 v[2:3], v15 offset1:1
	ds_load_2addr_b32 v[10:11], v15 offset0:2 offset1:3
	ds_load_2addr_b32 v[8:9], v15 offset0:4 offset1:5
	;; [unrolled: 1-line block ×4, first 2 shown]
	ds_load_b32 v25, v15 offset:40
	s_waitcnt lgkmcnt(0)
	s_barrier
	buffer_gl0_inv
	v_lshrrev_b32_e32 v16, 16, v2
	v_cvt_f32_f16_e32 v13, v2
	v_cmp_u_f16_e64 s45, v2, v2
	v_mov_b32_e32 v28, v2
	v_mov_b32_e32 v29, v2
	v_cvt_f32_f16_e32 v14, v16
	v_cmp_u_f16_e64 s23, v16, v16
	v_mov_b32_e32 v30, v13
	s_delay_alu instid0(VALU_DEP_3) | instskip(SKIP_1) | instid1(VALU_DEP_2)
	v_min_f32_e32 v26, v13, v14
	v_max_f32_e32 v27, v13, v14
	v_cndmask_b32_e64 v15, v26, v13, s45
	s_delay_alu instid0(VALU_DEP_2) | instskip(NEXT) | instid1(VALU_DEP_2)
	v_cndmask_b32_e64 v17, v27, v13, s45
	v_cndmask_b32_e64 v16, v15, v14, s23
	s_delay_alu instid0(VALU_DEP_2) | instskip(NEXT) | instid1(VALU_DEP_2)
	v_cndmask_b32_e64 v15, v17, v14, s23
	v_cmp_class_f32_e64 s25, v16, 0x1f8
	s_delay_alu instid0(VALU_DEP_2) | instskip(NEXT) | instid1(VALU_DEP_1)
	v_cmp_neq_f32_e64 s24, v16, v15
	s_or_b32 s24, s24, s25
	s_delay_alu instid0(SALU_CYCLE_1)
	s_and_saveexec_b32 s25, s24
	s_cbranch_execz .LBB420_48
; %bb.47:
	v_sub_f32_e32 v16, v16, v15
	s_delay_alu instid0(VALU_DEP_1) | instskip(NEXT) | instid1(VALU_DEP_1)
	v_mul_f32_e32 v17, 0x3fb8aa3b, v16
	v_fma_f32 v18, 0x3fb8aa3b, v16, -v17
	v_rndne_f32_e32 v19, v17
	s_delay_alu instid0(VALU_DEP_1) | instskip(NEXT) | instid1(VALU_DEP_1)
	v_dual_fmamk_f32 v18, v16, 0x32a5705f, v18 :: v_dual_sub_f32 v17, v17, v19
	v_add_f32_e32 v17, v17, v18
	v_cvt_i32_f32_e32 v18, v19
	v_cmp_ngt_f32_e64 s24, 0xc2ce8ed0, v16
	s_delay_alu instid0(VALU_DEP_3) | instskip(SKIP_2) | instid1(VALU_DEP_1)
	v_exp_f32_e32 v17, v17
	s_waitcnt_depctr 0xfff
	v_ldexp_f32 v17, v17, v18
	v_cndmask_b32_e64 v17, 0, v17, s24
	v_cmp_nlt_f32_e64 s24, 0x42b17218, v16
	s_delay_alu instid0(VALU_DEP_1) | instskip(NEXT) | instid1(VALU_DEP_1)
	v_cndmask_b32_e64 v18, 0x7f800000, v17, s24
	v_add_f32_e32 v19, 1.0, v18
	v_cmp_gt_f32_e64 s26, 0x33800000, |v18|
	s_delay_alu instid0(VALU_DEP_2) | instskip(NEXT) | instid1(VALU_DEP_1)
	v_cvt_f64_f32_e32 v[16:17], v19
	v_frexp_exp_i32_f64_e32 v16, v[16:17]
	v_frexp_mant_f32_e32 v17, v19
	s_delay_alu instid0(VALU_DEP_1) | instskip(SKIP_1) | instid1(VALU_DEP_1)
	v_cmp_gt_f32_e64 s24, 0x3f2aaaab, v17
	v_add_f32_e32 v17, -1.0, v19
	v_sub_f32_e32 v21, v17, v19
	s_delay_alu instid0(VALU_DEP_1) | instskip(NEXT) | instid1(VALU_DEP_4)
	v_add_f32_e32 v21, 1.0, v21
	v_subrev_co_ci_u32_e64 v16, s24, 0, v16, s24
	s_mov_b32 s24, 0x3e9b6dac
	s_delay_alu instid0(VALU_DEP_1) | instskip(SKIP_1) | instid1(VALU_DEP_2)
	v_sub_nc_u32_e32 v20, 0, v16
	v_cvt_f32_i32_e32 v16, v16
	v_ldexp_f32 v19, v19, v20
	s_delay_alu instid0(VALU_DEP_1) | instskip(NEXT) | instid1(VALU_DEP_1)
	v_dual_sub_f32 v17, v18, v17 :: v_dual_add_f32 v22, 1.0, v19
	v_add_f32_e32 v17, v17, v21
	s_delay_alu instid0(VALU_DEP_2) | instskip(NEXT) | instid1(VALU_DEP_2)
	v_add_f32_e32 v21, -1.0, v22
	v_ldexp_f32 v17, v17, v20
	s_delay_alu instid0(VALU_DEP_2) | instskip(NEXT) | instid1(VALU_DEP_1)
	v_dual_add_f32 v20, -1.0, v19 :: v_dual_sub_f32 v21, v19, v21
	v_add_f32_e32 v23, 1.0, v20
	s_delay_alu instid0(VALU_DEP_2) | instskip(NEXT) | instid1(VALU_DEP_2)
	v_add_f32_e32 v21, v17, v21
	v_sub_f32_e32 v19, v19, v23
	s_delay_alu instid0(VALU_DEP_2) | instskip(NEXT) | instid1(VALU_DEP_2)
	v_add_f32_e32 v23, v22, v21
	v_add_f32_e32 v17, v17, v19
	s_delay_alu instid0(VALU_DEP_2) | instskip(SKIP_1) | instid1(VALU_DEP_1)
	v_rcp_f32_e32 v19, v23
	v_sub_f32_e32 v22, v22, v23
	v_dual_add_f32 v24, v20, v17 :: v_dual_add_f32 v21, v21, v22
	s_delay_alu instid0(VALU_DEP_1) | instskip(SKIP_2) | instid1(VALU_DEP_1)
	v_sub_f32_e32 v20, v20, v24
	s_waitcnt_depctr 0xfff
	v_dual_mul_f32 v28, v24, v19 :: v_dual_add_f32 v17, v17, v20
	v_mul_f32_e32 v29, v23, v28
	s_delay_alu instid0(VALU_DEP_1) | instskip(NEXT) | instid1(VALU_DEP_1)
	v_fma_f32 v22, v28, v23, -v29
	v_fmac_f32_e32 v22, v28, v21
	s_delay_alu instid0(VALU_DEP_1) | instskip(NEXT) | instid1(VALU_DEP_1)
	v_add_f32_e32 v30, v29, v22
	v_dual_sub_f32 v31, v24, v30 :: v_dual_sub_f32 v20, v30, v29
	s_delay_alu instid0(VALU_DEP_1) | instskip(NEXT) | instid1(VALU_DEP_2)
	v_sub_f32_e32 v24, v24, v31
	v_sub_f32_e32 v20, v20, v22
	s_delay_alu instid0(VALU_DEP_2) | instskip(NEXT) | instid1(VALU_DEP_1)
	v_sub_f32_e32 v24, v24, v30
	v_add_f32_e32 v17, v17, v24
	s_delay_alu instid0(VALU_DEP_1) | instskip(NEXT) | instid1(VALU_DEP_1)
	v_add_f32_e32 v17, v20, v17
	v_add_f32_e32 v20, v31, v17
	s_delay_alu instid0(VALU_DEP_1) | instskip(NEXT) | instid1(VALU_DEP_1)
	v_mul_f32_e32 v22, v19, v20
	v_mul_f32_e32 v24, v23, v22
	s_delay_alu instid0(VALU_DEP_1) | instskip(NEXT) | instid1(VALU_DEP_1)
	v_fma_f32 v23, v22, v23, -v24
	v_fmac_f32_e32 v23, v22, v21
	s_delay_alu instid0(VALU_DEP_1) | instskip(NEXT) | instid1(VALU_DEP_1)
	v_add_f32_e32 v21, v24, v23
	v_dual_sub_f32 v29, v20, v21 :: v_dual_sub_f32 v24, v21, v24
	v_sub_f32_e32 v30, v31, v20
	s_delay_alu instid0(VALU_DEP_1) | instskip(NEXT) | instid1(VALU_DEP_1)
	v_dual_sub_f32 v20, v20, v29 :: v_dual_add_f32 v17, v17, v30
	v_sub_f32_e32 v20, v20, v21
	s_delay_alu instid0(VALU_DEP_4) | instskip(NEXT) | instid1(VALU_DEP_2)
	v_sub_f32_e32 v21, v24, v23
	v_dual_add_f32 v17, v17, v20 :: v_dual_add_f32 v20, v28, v22
	s_delay_alu instid0(VALU_DEP_1) | instskip(NEXT) | instid1(VALU_DEP_2)
	v_add_f32_e32 v17, v21, v17
	v_sub_f32_e32 v21, v20, v28
	s_delay_alu instid0(VALU_DEP_2) | instskip(NEXT) | instid1(VALU_DEP_2)
	v_add_f32_e32 v17, v29, v17
	v_sub_f32_e32 v21, v22, v21
	s_delay_alu instid0(VALU_DEP_2) | instskip(NEXT) | instid1(VALU_DEP_1)
	v_mul_f32_e32 v17, v19, v17
	v_add_f32_e32 v17, v21, v17
	s_delay_alu instid0(VALU_DEP_1) | instskip(NEXT) | instid1(VALU_DEP_1)
	v_add_f32_e32 v19, v20, v17
	v_mul_f32_e32 v21, v19, v19
	s_delay_alu instid0(VALU_DEP_1) | instskip(SKIP_2) | instid1(VALU_DEP_3)
	v_fmaak_f32 v22, s24, v21, 0x3ecc95a3
	v_mul_f32_e32 v23, v19, v21
	v_cmp_eq_f32_e64 s24, 0x7f800000, v18
	v_fmaak_f32 v21, v21, v22, 0x3f2aaada
	v_ldexp_f32 v22, v19, 1
	v_sub_f32_e32 v19, v19, v20
	s_delay_alu instid0(VALU_DEP_4) | instskip(NEXT) | instid1(VALU_DEP_3)
	s_or_b32 s24, s24, s26
	v_mul_f32_e32 v21, v23, v21
	s_delay_alu instid0(VALU_DEP_1) | instskip(NEXT) | instid1(VALU_DEP_1)
	v_dual_sub_f32 v17, v17, v19 :: v_dual_add_f32 v20, v22, v21
	v_ldexp_f32 v17, v17, 1
	s_delay_alu instid0(VALU_DEP_2) | instskip(NEXT) | instid1(VALU_DEP_1)
	v_sub_f32_e32 v19, v20, v22
	v_sub_f32_e32 v19, v21, v19
	s_delay_alu instid0(VALU_DEP_1) | instskip(NEXT) | instid1(VALU_DEP_1)
	v_add_f32_e32 v17, v17, v19
	v_add_f32_e32 v21, v20, v17
	v_mul_f32_e32 v23, 0x3f317218, v16
	s_delay_alu instid0(VALU_DEP_2) | instskip(NEXT) | instid1(VALU_DEP_2)
	v_sub_f32_e32 v20, v21, v20
	v_fma_f32 v22, 0x3f317218, v16, -v23
	s_delay_alu instid0(VALU_DEP_1) | instskip(NEXT) | instid1(VALU_DEP_1)
	v_dual_sub_f32 v17, v17, v20 :: v_dual_fmamk_f32 v16, v16, 0xb102e308, v22
	v_add_f32_e32 v19, v23, v16
	s_delay_alu instid0(VALU_DEP_1) | instskip(SKIP_1) | instid1(VALU_DEP_2)
	v_add_f32_e32 v22, v19, v21
	v_sub_f32_e32 v23, v19, v23
	v_sub_f32_e32 v24, v22, v19
	s_delay_alu instid0(VALU_DEP_2) | instskip(NEXT) | instid1(VALU_DEP_2)
	v_sub_f32_e32 v16, v16, v23
	v_sub_f32_e32 v28, v22, v24
	s_delay_alu instid0(VALU_DEP_2) | instskip(NEXT) | instid1(VALU_DEP_2)
	v_dual_sub_f32 v20, v21, v24 :: v_dual_add_f32 v21, v16, v17
	v_sub_f32_e32 v19, v19, v28
	s_delay_alu instid0(VALU_DEP_1) | instskip(NEXT) | instid1(VALU_DEP_1)
	v_dual_add_f32 v19, v20, v19 :: v_dual_sub_f32 v20, v21, v16
	v_add_f32_e32 v19, v21, v19
	s_delay_alu instid0(VALU_DEP_2) | instskip(SKIP_1) | instid1(VALU_DEP_2)
	v_sub_f32_e32 v21, v21, v20
	v_sub_f32_e32 v17, v17, v20
	v_dual_add_f32 v23, v22, v19 :: v_dual_sub_f32 v16, v16, v21
	s_delay_alu instid0(VALU_DEP_1) | instskip(NEXT) | instid1(VALU_DEP_2)
	v_sub_f32_e32 v20, v23, v22
	v_add_f32_e32 v16, v17, v16
	s_delay_alu instid0(VALU_DEP_2) | instskip(NEXT) | instid1(VALU_DEP_1)
	v_sub_f32_e32 v17, v19, v20
	v_add_f32_e32 v16, v16, v17
	s_delay_alu instid0(VALU_DEP_1) | instskip(NEXT) | instid1(VALU_DEP_1)
	v_add_f32_e32 v16, v23, v16
	v_cndmask_b32_e64 v16, v16, v18, s24
	s_delay_alu instid0(VALU_DEP_1) | instskip(NEXT) | instid1(VALU_DEP_1)
	v_add_f32_e32 v15, v15, v16
	v_cvt_f16_f32_e32 v28, v15
	s_delay_alu instid0(VALU_DEP_1)
	v_cvt_f32_f16_e32 v30, v28
	v_mov_b32_e32 v29, v28
.LBB420_48:
	s_or_b32 exec_lo, exec_lo, s25
	v_cvt_f32_f16_e32 v15, v3
	s_delay_alu instid0(VALU_DEP_3) | instskip(SKIP_1) | instid1(VALU_DEP_2)
	v_max_f32_e32 v16, v30, v30
	v_cmp_u_f16_e64 s24, v28, v28
	v_min_f32_e32 v17, v16, v15
	v_max_f32_e32 v16, v16, v15
	s_delay_alu instid0(VALU_DEP_2) | instskip(NEXT) | instid1(VALU_DEP_2)
	v_cndmask_b32_e64 v17, v17, v30, s24
	v_cndmask_b32_e64 v16, v16, v30, s24
	v_cmp_u_f16_e64 s24, v3, v3
	s_delay_alu instid0(VALU_DEP_1) | instskip(NEXT) | instid1(VALU_DEP_3)
	v_cndmask_b32_e64 v17, v17, v15, s24
	v_cndmask_b32_e64 v16, v16, v15, s24
	s_delay_alu instid0(VALU_DEP_2) | instskip(NEXT) | instid1(VALU_DEP_2)
	v_cmp_class_f32_e64 s26, v17, 0x1f8
	v_cmp_neq_f32_e64 s25, v17, v16
	s_delay_alu instid0(VALU_DEP_1) | instskip(NEXT) | instid1(SALU_CYCLE_1)
	s_or_b32 s25, s25, s26
	s_and_saveexec_b32 s26, s25
	s_cbranch_execz .LBB420_50
; %bb.49:
	v_sub_f32_e32 v17, v17, v16
	s_delay_alu instid0(VALU_DEP_1) | instskip(NEXT) | instid1(VALU_DEP_1)
	v_mul_f32_e32 v18, 0x3fb8aa3b, v17
	v_fma_f32 v19, 0x3fb8aa3b, v17, -v18
	v_rndne_f32_e32 v20, v18
	s_delay_alu instid0(VALU_DEP_1) | instskip(NEXT) | instid1(VALU_DEP_1)
	v_dual_fmamk_f32 v19, v17, 0x32a5705f, v19 :: v_dual_sub_f32 v18, v18, v20
	v_add_f32_e32 v18, v18, v19
	v_cvt_i32_f32_e32 v19, v20
	v_cmp_ngt_f32_e64 s25, 0xc2ce8ed0, v17
	s_delay_alu instid0(VALU_DEP_3) | instskip(SKIP_2) | instid1(VALU_DEP_1)
	v_exp_f32_e32 v18, v18
	s_waitcnt_depctr 0xfff
	v_ldexp_f32 v18, v18, v19
	v_cndmask_b32_e64 v18, 0, v18, s25
	v_cmp_nlt_f32_e64 s25, 0x42b17218, v17
	s_delay_alu instid0(VALU_DEP_1) | instskip(NEXT) | instid1(VALU_DEP_1)
	v_cndmask_b32_e64 v19, 0x7f800000, v18, s25
	v_add_f32_e32 v20, 1.0, v19
	v_cmp_gt_f32_e64 s27, 0x33800000, |v19|
	s_delay_alu instid0(VALU_DEP_2) | instskip(NEXT) | instid1(VALU_DEP_1)
	v_cvt_f64_f32_e32 v[17:18], v20
	v_frexp_exp_i32_f64_e32 v17, v[17:18]
	v_frexp_mant_f32_e32 v18, v20
	s_delay_alu instid0(VALU_DEP_1) | instskip(SKIP_1) | instid1(VALU_DEP_1)
	v_cmp_gt_f32_e64 s25, 0x3f2aaaab, v18
	v_add_f32_e32 v18, -1.0, v20
	v_sub_f32_e32 v22, v18, v20
	s_delay_alu instid0(VALU_DEP_1) | instskip(NEXT) | instid1(VALU_DEP_4)
	v_add_f32_e32 v22, 1.0, v22
	v_subrev_co_ci_u32_e64 v17, s25, 0, v17, s25
	s_mov_b32 s25, 0x3e9b6dac
	s_delay_alu instid0(VALU_DEP_1) | instskip(SKIP_1) | instid1(VALU_DEP_2)
	v_sub_nc_u32_e32 v21, 0, v17
	v_cvt_f32_i32_e32 v17, v17
	v_ldexp_f32 v20, v20, v21
	s_delay_alu instid0(VALU_DEP_1) | instskip(NEXT) | instid1(VALU_DEP_1)
	v_dual_sub_f32 v18, v19, v18 :: v_dual_add_f32 v23, 1.0, v20
	v_add_f32_e32 v18, v18, v22
	s_delay_alu instid0(VALU_DEP_2) | instskip(NEXT) | instid1(VALU_DEP_2)
	v_add_f32_e32 v22, -1.0, v23
	v_ldexp_f32 v18, v18, v21
	s_delay_alu instid0(VALU_DEP_2) | instskip(NEXT) | instid1(VALU_DEP_1)
	v_dual_add_f32 v21, -1.0, v20 :: v_dual_sub_f32 v22, v20, v22
	v_add_f32_e32 v24, 1.0, v21
	s_delay_alu instid0(VALU_DEP_2) | instskip(NEXT) | instid1(VALU_DEP_2)
	v_add_f32_e32 v22, v18, v22
	v_sub_f32_e32 v20, v20, v24
	s_delay_alu instid0(VALU_DEP_2) | instskip(NEXT) | instid1(VALU_DEP_2)
	v_add_f32_e32 v24, v23, v22
	v_add_f32_e32 v18, v18, v20
	s_delay_alu instid0(VALU_DEP_2) | instskip(NEXT) | instid1(VALU_DEP_1)
	v_rcp_f32_e32 v20, v24
	v_dual_sub_f32 v23, v23, v24 :: v_dual_add_f32 v28, v21, v18
	s_delay_alu instid0(VALU_DEP_1) | instskip(SKIP_2) | instid1(VALU_DEP_1)
	v_dual_add_f32 v22, v22, v23 :: v_dual_sub_f32 v21, v21, v28
	s_waitcnt_depctr 0xfff
	v_dual_mul_f32 v29, v28, v20 :: v_dual_add_f32 v18, v18, v21
	v_mul_f32_e32 v30, v24, v29
	s_delay_alu instid0(VALU_DEP_1) | instskip(NEXT) | instid1(VALU_DEP_1)
	v_fma_f32 v23, v29, v24, -v30
	v_fmac_f32_e32 v23, v29, v22
	s_delay_alu instid0(VALU_DEP_1) | instskip(NEXT) | instid1(VALU_DEP_1)
	v_add_f32_e32 v31, v30, v23
	v_dual_sub_f32 v32, v28, v31 :: v_dual_sub_f32 v21, v31, v30
	s_delay_alu instid0(VALU_DEP_1) | instskip(NEXT) | instid1(VALU_DEP_1)
	v_dual_sub_f32 v28, v28, v32 :: v_dual_sub_f32 v21, v21, v23
	v_sub_f32_e32 v28, v28, v31
	s_delay_alu instid0(VALU_DEP_1) | instskip(NEXT) | instid1(VALU_DEP_1)
	v_add_f32_e32 v18, v18, v28
	v_add_f32_e32 v18, v21, v18
	s_delay_alu instid0(VALU_DEP_1) | instskip(NEXT) | instid1(VALU_DEP_1)
	v_add_f32_e32 v21, v32, v18
	v_mul_f32_e32 v23, v20, v21
	v_sub_f32_e32 v31, v32, v21
	s_delay_alu instid0(VALU_DEP_2) | instskip(NEXT) | instid1(VALU_DEP_2)
	v_mul_f32_e32 v28, v24, v23
	v_add_f32_e32 v18, v18, v31
	s_delay_alu instid0(VALU_DEP_2) | instskip(NEXT) | instid1(VALU_DEP_1)
	v_fma_f32 v24, v23, v24, -v28
	v_fmac_f32_e32 v24, v23, v22
	s_delay_alu instid0(VALU_DEP_1) | instskip(NEXT) | instid1(VALU_DEP_1)
	v_add_f32_e32 v22, v28, v24
	v_sub_f32_e32 v30, v21, v22
	s_delay_alu instid0(VALU_DEP_1) | instskip(NEXT) | instid1(VALU_DEP_1)
	v_dual_sub_f32 v28, v22, v28 :: v_dual_sub_f32 v21, v21, v30
	v_dual_sub_f32 v21, v21, v22 :: v_dual_sub_f32 v22, v28, v24
	s_delay_alu instid0(VALU_DEP_1) | instskip(NEXT) | instid1(VALU_DEP_1)
	v_dual_add_f32 v18, v18, v21 :: v_dual_add_f32 v21, v29, v23
	v_add_f32_e32 v18, v22, v18
	s_delay_alu instid0(VALU_DEP_2) | instskip(NEXT) | instid1(VALU_DEP_2)
	v_sub_f32_e32 v22, v21, v29
	v_add_f32_e32 v18, v30, v18
	s_delay_alu instid0(VALU_DEP_2) | instskip(NEXT) | instid1(VALU_DEP_2)
	v_sub_f32_e32 v22, v23, v22
	v_mul_f32_e32 v18, v20, v18
	s_delay_alu instid0(VALU_DEP_1) | instskip(NEXT) | instid1(VALU_DEP_1)
	v_add_f32_e32 v18, v22, v18
	v_add_f32_e32 v20, v21, v18
	s_delay_alu instid0(VALU_DEP_1) | instskip(NEXT) | instid1(VALU_DEP_1)
	v_mul_f32_e32 v22, v20, v20
	v_fmaak_f32 v23, s25, v22, 0x3ecc95a3
	v_mul_f32_e32 v24, v20, v22
	v_cmp_eq_f32_e64 s25, 0x7f800000, v19
	s_delay_alu instid0(VALU_DEP_3) | instskip(SKIP_2) | instid1(VALU_DEP_4)
	v_fmaak_f32 v22, v22, v23, 0x3f2aaada
	v_ldexp_f32 v23, v20, 1
	v_sub_f32_e32 v20, v20, v21
	s_or_b32 s25, s25, s27
	s_delay_alu instid0(VALU_DEP_3) | instskip(SKIP_1) | instid1(VALU_DEP_2)
	v_mul_f32_e32 v22, v24, v22
	v_mul_f32_e32 v24, 0x3f317218, v17
	v_dual_sub_f32 v18, v18, v20 :: v_dual_add_f32 v21, v23, v22
	s_delay_alu instid0(VALU_DEP_1) | instskip(NEXT) | instid1(VALU_DEP_2)
	v_ldexp_f32 v18, v18, 1
	v_sub_f32_e32 v20, v21, v23
	s_delay_alu instid0(VALU_DEP_4) | instskip(NEXT) | instid1(VALU_DEP_1)
	v_fma_f32 v23, 0x3f317218, v17, -v24
	v_dual_sub_f32 v20, v22, v20 :: v_dual_fmamk_f32 v17, v17, 0xb102e308, v23
	s_delay_alu instid0(VALU_DEP_1) | instskip(NEXT) | instid1(VALU_DEP_2)
	v_add_f32_e32 v18, v18, v20
	v_add_f32_e32 v20, v24, v17
	s_delay_alu instid0(VALU_DEP_2) | instskip(NEXT) | instid1(VALU_DEP_2)
	v_add_f32_e32 v22, v21, v18
	v_sub_f32_e32 v24, v20, v24
	s_delay_alu instid0(VALU_DEP_2) | instskip(SKIP_1) | instid1(VALU_DEP_3)
	v_add_f32_e32 v23, v20, v22
	v_sub_f32_e32 v21, v22, v21
	v_sub_f32_e32 v17, v17, v24
	s_delay_alu instid0(VALU_DEP_3) | instskip(NEXT) | instid1(VALU_DEP_1)
	v_sub_f32_e32 v28, v23, v20
	v_dual_sub_f32 v18, v18, v21 :: v_dual_sub_f32 v29, v23, v28
	s_delay_alu instid0(VALU_DEP_1) | instskip(NEXT) | instid1(VALU_DEP_2)
	v_dual_sub_f32 v21, v22, v28 :: v_dual_add_f32 v22, v17, v18
	v_sub_f32_e32 v20, v20, v29
	s_delay_alu instid0(VALU_DEP_1) | instskip(NEXT) | instid1(VALU_DEP_1)
	v_dual_add_f32 v20, v21, v20 :: v_dual_sub_f32 v21, v22, v17
	v_add_f32_e32 v20, v22, v20
	s_delay_alu instid0(VALU_DEP_2) | instskip(SKIP_1) | instid1(VALU_DEP_2)
	v_sub_f32_e32 v22, v22, v21
	v_sub_f32_e32 v18, v18, v21
	v_dual_add_f32 v24, v23, v20 :: v_dual_sub_f32 v17, v17, v22
	s_delay_alu instid0(VALU_DEP_1) | instskip(NEXT) | instid1(VALU_DEP_2)
	v_sub_f32_e32 v21, v24, v23
	v_add_f32_e32 v17, v18, v17
	s_delay_alu instid0(VALU_DEP_2) | instskip(NEXT) | instid1(VALU_DEP_1)
	v_sub_f32_e32 v18, v20, v21
	v_add_f32_e32 v17, v17, v18
	s_delay_alu instid0(VALU_DEP_1) | instskip(NEXT) | instid1(VALU_DEP_1)
	v_add_f32_e32 v17, v24, v17
	v_cndmask_b32_e64 v17, v17, v19, s25
	s_delay_alu instid0(VALU_DEP_1) | instskip(NEXT) | instid1(VALU_DEP_1)
	v_add_f32_e32 v16, v16, v17
	v_cvt_f16_f32_e32 v28, v16
	s_delay_alu instid0(VALU_DEP_1)
	v_mov_b32_e32 v29, v28
	v_cvt_f32_f16_e32 v30, v28
.LBB420_50:
	s_or_b32 exec_lo, exec_lo, s26
	v_lshrrev_b32_e32 v3, 16, v3
	s_delay_alu instid0(VALU_DEP_2) | instskip(SKIP_1) | instid1(VALU_DEP_3)
	v_max_f32_e32 v17, v30, v30
	v_cmp_u_f16_e64 s25, v28, v28
	v_cvt_f32_f16_e32 v16, v3
	s_delay_alu instid0(VALU_DEP_1) | instskip(SKIP_1) | instid1(VALU_DEP_2)
	v_min_f32_e32 v18, v17, v16
	v_max_f32_e32 v17, v17, v16
	v_cndmask_b32_e64 v18, v18, v30, s25
	s_delay_alu instid0(VALU_DEP_2) | instskip(SKIP_1) | instid1(VALU_DEP_1)
	v_cndmask_b32_e64 v19, v17, v30, s25
	v_cmp_u_f16_e64 s25, v3, v3
	v_cndmask_b32_e64 v17, v18, v16, s25
	s_delay_alu instid0(VALU_DEP_3) | instskip(NEXT) | instid1(VALU_DEP_2)
	v_cndmask_b32_e64 v3, v19, v16, s25
	v_cmp_class_f32_e64 s27, v17, 0x1f8
	s_delay_alu instid0(VALU_DEP_2) | instskip(NEXT) | instid1(VALU_DEP_1)
	v_cmp_neq_f32_e64 s26, v17, v3
	s_or_b32 s26, s26, s27
	s_delay_alu instid0(SALU_CYCLE_1)
	s_and_saveexec_b32 s27, s26
	s_cbranch_execz .LBB420_52
; %bb.51:
	v_sub_f32_e32 v17, v17, v3
	s_delay_alu instid0(VALU_DEP_1) | instskip(NEXT) | instid1(VALU_DEP_1)
	v_mul_f32_e32 v18, 0x3fb8aa3b, v17
	v_fma_f32 v19, 0x3fb8aa3b, v17, -v18
	v_rndne_f32_e32 v20, v18
	s_delay_alu instid0(VALU_DEP_1) | instskip(SKIP_1) | instid1(VALU_DEP_2)
	v_dual_sub_f32 v18, v18, v20 :: v_dual_fmamk_f32 v19, v17, 0x32a5705f, v19
	v_cmp_ngt_f32_e64 s26, 0xc2ce8ed0, v17
	v_add_f32_e32 v18, v18, v19
	v_cvt_i32_f32_e32 v19, v20
	s_delay_alu instid0(VALU_DEP_2) | instskip(SKIP_2) | instid1(VALU_DEP_1)
	v_exp_f32_e32 v18, v18
	s_waitcnt_depctr 0xfff
	v_ldexp_f32 v18, v18, v19
	v_cndmask_b32_e64 v18, 0, v18, s26
	v_cmp_nlt_f32_e64 s26, 0x42b17218, v17
	s_delay_alu instid0(VALU_DEP_1) | instskip(NEXT) | instid1(VALU_DEP_1)
	v_cndmask_b32_e64 v19, 0x7f800000, v18, s26
	v_add_f32_e32 v20, 1.0, v19
	v_cmp_gt_f32_e64 s28, 0x33800000, |v19|
	s_delay_alu instid0(VALU_DEP_2) | instskip(NEXT) | instid1(VALU_DEP_1)
	v_cvt_f64_f32_e32 v[17:18], v20
	v_frexp_exp_i32_f64_e32 v17, v[17:18]
	v_frexp_mant_f32_e32 v18, v20
	s_delay_alu instid0(VALU_DEP_1) | instskip(SKIP_1) | instid1(VALU_DEP_1)
	v_cmp_gt_f32_e64 s26, 0x3f2aaaab, v18
	v_add_f32_e32 v18, -1.0, v20
	v_sub_f32_e32 v22, v18, v20
	v_sub_f32_e32 v18, v19, v18
	s_delay_alu instid0(VALU_DEP_2) | instskip(NEXT) | instid1(VALU_DEP_1)
	v_add_f32_e32 v22, 1.0, v22
	v_add_f32_e32 v18, v18, v22
	v_subrev_co_ci_u32_e64 v17, s26, 0, v17, s26
	s_mov_b32 s26, 0x3e9b6dac
	s_delay_alu instid0(VALU_DEP_1) | instskip(SKIP_1) | instid1(VALU_DEP_2)
	v_sub_nc_u32_e32 v21, 0, v17
	v_cvt_f32_i32_e32 v17, v17
	v_ldexp_f32 v20, v20, v21
	v_ldexp_f32 v18, v18, v21
	s_delay_alu instid0(VALU_DEP_2) | instskip(NEXT) | instid1(VALU_DEP_1)
	v_add_f32_e32 v23, 1.0, v20
	v_dual_add_f32 v21, -1.0, v20 :: v_dual_add_f32 v22, -1.0, v23
	s_delay_alu instid0(VALU_DEP_1) | instskip(NEXT) | instid1(VALU_DEP_2)
	v_add_f32_e32 v24, 1.0, v21
	v_sub_f32_e32 v22, v20, v22
	s_delay_alu instid0(VALU_DEP_2) | instskip(NEXT) | instid1(VALU_DEP_2)
	v_sub_f32_e32 v20, v20, v24
	v_add_f32_e32 v22, v18, v22
	s_delay_alu instid0(VALU_DEP_2) | instskip(NEXT) | instid1(VALU_DEP_2)
	v_add_f32_e32 v18, v18, v20
	v_add_f32_e32 v24, v23, v22
	s_delay_alu instid0(VALU_DEP_2) | instskip(NEXT) | instid1(VALU_DEP_2)
	v_add_f32_e32 v28, v21, v18
	v_rcp_f32_e32 v20, v24
	v_sub_f32_e32 v23, v23, v24
	s_delay_alu instid0(VALU_DEP_1) | instskip(SKIP_2) | instid1(VALU_DEP_1)
	v_dual_sub_f32 v21, v21, v28 :: v_dual_add_f32 v22, v22, v23
	s_waitcnt_depctr 0xfff
	v_dual_add_f32 v18, v18, v21 :: v_dual_mul_f32 v29, v28, v20
	v_mul_f32_e32 v30, v24, v29
	s_delay_alu instid0(VALU_DEP_1) | instskip(NEXT) | instid1(VALU_DEP_1)
	v_fma_f32 v23, v29, v24, -v30
	v_fmac_f32_e32 v23, v29, v22
	s_delay_alu instid0(VALU_DEP_1) | instskip(NEXT) | instid1(VALU_DEP_1)
	v_add_f32_e32 v31, v30, v23
	v_dual_sub_f32 v32, v28, v31 :: v_dual_sub_f32 v21, v31, v30
	s_delay_alu instid0(VALU_DEP_1) | instskip(NEXT) | instid1(VALU_DEP_1)
	v_dual_sub_f32 v28, v28, v32 :: v_dual_sub_f32 v21, v21, v23
	v_sub_f32_e32 v28, v28, v31
	s_delay_alu instid0(VALU_DEP_1) | instskip(NEXT) | instid1(VALU_DEP_1)
	v_add_f32_e32 v18, v18, v28
	v_add_f32_e32 v18, v21, v18
	s_delay_alu instid0(VALU_DEP_1) | instskip(NEXT) | instid1(VALU_DEP_1)
	v_add_f32_e32 v21, v32, v18
	v_mul_f32_e32 v23, v20, v21
	v_sub_f32_e32 v31, v32, v21
	s_delay_alu instid0(VALU_DEP_2) | instskip(NEXT) | instid1(VALU_DEP_2)
	v_mul_f32_e32 v28, v24, v23
	v_add_f32_e32 v18, v18, v31
	s_delay_alu instid0(VALU_DEP_2) | instskip(NEXT) | instid1(VALU_DEP_1)
	v_fma_f32 v24, v23, v24, -v28
	v_fmac_f32_e32 v24, v23, v22
	s_delay_alu instid0(VALU_DEP_1) | instskip(NEXT) | instid1(VALU_DEP_1)
	v_add_f32_e32 v22, v28, v24
	v_sub_f32_e32 v30, v21, v22
	s_delay_alu instid0(VALU_DEP_1) | instskip(NEXT) | instid1(VALU_DEP_1)
	v_dual_sub_f32 v28, v22, v28 :: v_dual_sub_f32 v21, v21, v30
	v_dual_sub_f32 v21, v21, v22 :: v_dual_sub_f32 v22, v28, v24
	s_delay_alu instid0(VALU_DEP_1) | instskip(NEXT) | instid1(VALU_DEP_1)
	v_dual_add_f32 v18, v18, v21 :: v_dual_add_f32 v21, v29, v23
	v_add_f32_e32 v18, v22, v18
	s_delay_alu instid0(VALU_DEP_2) | instskip(NEXT) | instid1(VALU_DEP_2)
	v_sub_f32_e32 v22, v21, v29
	v_add_f32_e32 v18, v30, v18
	s_delay_alu instid0(VALU_DEP_2) | instskip(NEXT) | instid1(VALU_DEP_2)
	v_sub_f32_e32 v22, v23, v22
	v_mul_f32_e32 v18, v20, v18
	s_delay_alu instid0(VALU_DEP_1) | instskip(NEXT) | instid1(VALU_DEP_1)
	v_add_f32_e32 v18, v22, v18
	v_add_f32_e32 v20, v21, v18
	s_delay_alu instid0(VALU_DEP_1) | instskip(NEXT) | instid1(VALU_DEP_1)
	v_mul_f32_e32 v22, v20, v20
	v_fmaak_f32 v23, s26, v22, 0x3ecc95a3
	v_mul_f32_e32 v24, v20, v22
	v_cmp_eq_f32_e64 s26, 0x7f800000, v19
	s_delay_alu instid0(VALU_DEP_3) | instskip(SKIP_2) | instid1(VALU_DEP_4)
	v_fmaak_f32 v22, v22, v23, 0x3f2aaada
	v_ldexp_f32 v23, v20, 1
	v_sub_f32_e32 v20, v20, v21
	s_or_b32 s26, s26, s28
	s_delay_alu instid0(VALU_DEP_3) | instskip(SKIP_1) | instid1(VALU_DEP_2)
	v_mul_f32_e32 v22, v24, v22
	v_mul_f32_e32 v24, 0x3f317218, v17
	v_dual_sub_f32 v18, v18, v20 :: v_dual_add_f32 v21, v23, v22
	s_delay_alu instid0(VALU_DEP_1) | instskip(NEXT) | instid1(VALU_DEP_2)
	v_ldexp_f32 v18, v18, 1
	v_sub_f32_e32 v20, v21, v23
	s_delay_alu instid0(VALU_DEP_4) | instskip(NEXT) | instid1(VALU_DEP_1)
	v_fma_f32 v23, 0x3f317218, v17, -v24
	v_dual_sub_f32 v20, v22, v20 :: v_dual_fmamk_f32 v17, v17, 0xb102e308, v23
	s_delay_alu instid0(VALU_DEP_1) | instskip(NEXT) | instid1(VALU_DEP_2)
	v_add_f32_e32 v18, v18, v20
	v_add_f32_e32 v20, v24, v17
	s_delay_alu instid0(VALU_DEP_2) | instskip(NEXT) | instid1(VALU_DEP_2)
	v_add_f32_e32 v22, v21, v18
	v_sub_f32_e32 v24, v20, v24
	s_delay_alu instid0(VALU_DEP_2) | instskip(SKIP_1) | instid1(VALU_DEP_3)
	v_add_f32_e32 v23, v20, v22
	v_sub_f32_e32 v21, v22, v21
	v_sub_f32_e32 v17, v17, v24
	s_delay_alu instid0(VALU_DEP_3) | instskip(NEXT) | instid1(VALU_DEP_1)
	v_sub_f32_e32 v28, v23, v20
	v_dual_sub_f32 v18, v18, v21 :: v_dual_sub_f32 v29, v23, v28
	s_delay_alu instid0(VALU_DEP_1) | instskip(NEXT) | instid1(VALU_DEP_2)
	v_dual_sub_f32 v21, v22, v28 :: v_dual_add_f32 v22, v17, v18
	v_sub_f32_e32 v20, v20, v29
	s_delay_alu instid0(VALU_DEP_1) | instskip(NEXT) | instid1(VALU_DEP_1)
	v_dual_add_f32 v20, v21, v20 :: v_dual_sub_f32 v21, v22, v17
	v_add_f32_e32 v20, v22, v20
	s_delay_alu instid0(VALU_DEP_2) | instskip(SKIP_1) | instid1(VALU_DEP_2)
	v_sub_f32_e32 v22, v22, v21
	v_sub_f32_e32 v18, v18, v21
	v_dual_add_f32 v24, v23, v20 :: v_dual_sub_f32 v17, v17, v22
	s_delay_alu instid0(VALU_DEP_1) | instskip(NEXT) | instid1(VALU_DEP_2)
	v_sub_f32_e32 v21, v24, v23
	v_add_f32_e32 v17, v18, v17
	s_delay_alu instid0(VALU_DEP_2) | instskip(NEXT) | instid1(VALU_DEP_1)
	v_sub_f32_e32 v18, v20, v21
	v_add_f32_e32 v17, v17, v18
	s_delay_alu instid0(VALU_DEP_1) | instskip(NEXT) | instid1(VALU_DEP_1)
	v_add_f32_e32 v17, v24, v17
	v_cndmask_b32_e64 v17, v17, v19, s26
	s_delay_alu instid0(VALU_DEP_1) | instskip(NEXT) | instid1(VALU_DEP_1)
	v_add_f32_e32 v3, v3, v17
	v_cvt_f16_f32_e32 v28, v3
	s_delay_alu instid0(VALU_DEP_1)
	v_mov_b32_e32 v29, v28
	v_cvt_f32_f16_e32 v30, v28
.LBB420_52:
	s_or_b32 exec_lo, exec_lo, s27
	v_cvt_f32_f16_e32 v3, v10
	s_delay_alu instid0(VALU_DEP_2) | instskip(SKIP_1) | instid1(VALU_DEP_2)
	v_max_f32_e32 v17, v30, v30
	v_cmp_u_f16_e64 s26, v28, v28
	v_min_f32_e32 v18, v17, v3
	v_max_f32_e32 v17, v17, v3
	s_delay_alu instid0(VALU_DEP_2) | instskip(NEXT) | instid1(VALU_DEP_2)
	v_cndmask_b32_e64 v18, v18, v30, s26
	v_cndmask_b32_e64 v17, v17, v30, s26
	v_cmp_u_f16_e64 s26, v10, v10
	s_delay_alu instid0(VALU_DEP_1) | instskip(NEXT) | instid1(VALU_DEP_3)
	v_cndmask_b32_e64 v18, v18, v3, s26
	v_cndmask_b32_e64 v17, v17, v3, s26
	s_delay_alu instid0(VALU_DEP_2) | instskip(NEXT) | instid1(VALU_DEP_2)
	v_cmp_class_f32_e64 s28, v18, 0x1f8
	v_cmp_neq_f32_e64 s27, v18, v17
	s_delay_alu instid0(VALU_DEP_1) | instskip(NEXT) | instid1(SALU_CYCLE_1)
	s_or_b32 s27, s27, s28
	s_and_saveexec_b32 s28, s27
	s_cbranch_execz .LBB420_54
; %bb.53:
	v_sub_f32_e32 v18, v18, v17
	s_delay_alu instid0(VALU_DEP_1) | instskip(NEXT) | instid1(VALU_DEP_1)
	v_mul_f32_e32 v19, 0x3fb8aa3b, v18
	v_fma_f32 v20, 0x3fb8aa3b, v18, -v19
	v_rndne_f32_e32 v21, v19
	s_delay_alu instid0(VALU_DEP_1) | instskip(NEXT) | instid1(VALU_DEP_1)
	v_dual_fmamk_f32 v20, v18, 0x32a5705f, v20 :: v_dual_sub_f32 v19, v19, v21
	v_add_f32_e32 v19, v19, v20
	v_cvt_i32_f32_e32 v20, v21
	v_cmp_ngt_f32_e64 s27, 0xc2ce8ed0, v18
	s_delay_alu instid0(VALU_DEP_3) | instskip(SKIP_2) | instid1(VALU_DEP_1)
	v_exp_f32_e32 v19, v19
	s_waitcnt_depctr 0xfff
	v_ldexp_f32 v19, v19, v20
	v_cndmask_b32_e64 v19, 0, v19, s27
	v_cmp_nlt_f32_e64 s27, 0x42b17218, v18
	s_delay_alu instid0(VALU_DEP_1) | instskip(NEXT) | instid1(VALU_DEP_1)
	v_cndmask_b32_e64 v20, 0x7f800000, v19, s27
	v_add_f32_e32 v21, 1.0, v20
	v_cmp_gt_f32_e64 s29, 0x33800000, |v20|
	s_delay_alu instid0(VALU_DEP_2) | instskip(NEXT) | instid1(VALU_DEP_1)
	v_cvt_f64_f32_e32 v[18:19], v21
	v_frexp_exp_i32_f64_e32 v18, v[18:19]
	v_frexp_mant_f32_e32 v19, v21
	s_delay_alu instid0(VALU_DEP_1) | instskip(SKIP_1) | instid1(VALU_DEP_1)
	v_cmp_gt_f32_e64 s27, 0x3f2aaaab, v19
	v_add_f32_e32 v19, -1.0, v21
	v_sub_f32_e32 v23, v19, v21
	s_delay_alu instid0(VALU_DEP_1) | instskip(NEXT) | instid1(VALU_DEP_4)
	v_add_f32_e32 v23, 1.0, v23
	v_subrev_co_ci_u32_e64 v18, s27, 0, v18, s27
	s_mov_b32 s27, 0x3e9b6dac
	s_delay_alu instid0(VALU_DEP_1) | instskip(SKIP_1) | instid1(VALU_DEP_2)
	v_sub_nc_u32_e32 v22, 0, v18
	v_cvt_f32_i32_e32 v18, v18
	v_ldexp_f32 v21, v21, v22
	s_delay_alu instid0(VALU_DEP_1) | instskip(NEXT) | instid1(VALU_DEP_1)
	v_dual_sub_f32 v19, v20, v19 :: v_dual_add_f32 v24, 1.0, v21
	v_add_f32_e32 v19, v19, v23
	s_delay_alu instid0(VALU_DEP_2) | instskip(NEXT) | instid1(VALU_DEP_2)
	v_add_f32_e32 v23, -1.0, v24
	v_ldexp_f32 v19, v19, v22
	s_delay_alu instid0(VALU_DEP_2) | instskip(NEXT) | instid1(VALU_DEP_1)
	v_dual_add_f32 v22, -1.0, v21 :: v_dual_sub_f32 v23, v21, v23
	v_dual_add_f32 v28, 1.0, v22 :: v_dual_add_f32 v23, v19, v23
	s_delay_alu instid0(VALU_DEP_1) | instskip(NEXT) | instid1(VALU_DEP_1)
	v_dual_sub_f32 v21, v21, v28 :: v_dual_add_f32 v28, v24, v23
	v_add_f32_e32 v19, v19, v21
	s_delay_alu instid0(VALU_DEP_2) | instskip(NEXT) | instid1(VALU_DEP_1)
	v_rcp_f32_e32 v21, v28
	v_dual_sub_f32 v24, v24, v28 :: v_dual_add_f32 v29, v22, v19
	s_delay_alu instid0(VALU_DEP_1) | instskip(SKIP_2) | instid1(VALU_DEP_1)
	v_dual_add_f32 v23, v23, v24 :: v_dual_sub_f32 v22, v22, v29
	s_waitcnt_depctr 0xfff
	v_dual_mul_f32 v30, v29, v21 :: v_dual_add_f32 v19, v19, v22
	v_mul_f32_e32 v31, v28, v30
	s_delay_alu instid0(VALU_DEP_1) | instskip(NEXT) | instid1(VALU_DEP_1)
	v_fma_f32 v24, v30, v28, -v31
	v_fmac_f32_e32 v24, v30, v23
	s_delay_alu instid0(VALU_DEP_1) | instskip(NEXT) | instid1(VALU_DEP_1)
	v_add_f32_e32 v32, v31, v24
	v_dual_sub_f32 v33, v29, v32 :: v_dual_sub_f32 v22, v32, v31
	s_delay_alu instid0(VALU_DEP_1) | instskip(NEXT) | instid1(VALU_DEP_1)
	v_dual_sub_f32 v29, v29, v33 :: v_dual_sub_f32 v22, v22, v24
	v_sub_f32_e32 v29, v29, v32
	s_delay_alu instid0(VALU_DEP_1) | instskip(NEXT) | instid1(VALU_DEP_1)
	v_add_f32_e32 v19, v19, v29
	v_add_f32_e32 v19, v22, v19
	s_delay_alu instid0(VALU_DEP_1) | instskip(NEXT) | instid1(VALU_DEP_1)
	v_add_f32_e32 v22, v33, v19
	v_mul_f32_e32 v24, v21, v22
	s_delay_alu instid0(VALU_DEP_1) | instskip(NEXT) | instid1(VALU_DEP_1)
	v_mul_f32_e32 v29, v28, v24
	v_fma_f32 v28, v24, v28, -v29
	s_delay_alu instid0(VALU_DEP_1) | instskip(SKIP_1) | instid1(VALU_DEP_2)
	v_fmac_f32_e32 v28, v24, v23
	v_sub_f32_e32 v32, v33, v22
	v_add_f32_e32 v23, v29, v28
	s_delay_alu instid0(VALU_DEP_2) | instskip(NEXT) | instid1(VALU_DEP_2)
	v_add_f32_e32 v19, v19, v32
	v_sub_f32_e32 v31, v22, v23
	s_delay_alu instid0(VALU_DEP_1) | instskip(NEXT) | instid1(VALU_DEP_1)
	v_dual_sub_f32 v29, v23, v29 :: v_dual_sub_f32 v22, v22, v31
	v_dual_sub_f32 v22, v22, v23 :: v_dual_sub_f32 v23, v29, v28
	s_delay_alu instid0(VALU_DEP_1) | instskip(NEXT) | instid1(VALU_DEP_1)
	v_dual_add_f32 v19, v19, v22 :: v_dual_add_f32 v22, v30, v24
	v_add_f32_e32 v19, v23, v19
	s_delay_alu instid0(VALU_DEP_2) | instskip(NEXT) | instid1(VALU_DEP_2)
	v_sub_f32_e32 v23, v22, v30
	v_add_f32_e32 v19, v31, v19
	s_delay_alu instid0(VALU_DEP_2) | instskip(NEXT) | instid1(VALU_DEP_2)
	v_sub_f32_e32 v23, v24, v23
	v_mul_f32_e32 v19, v21, v19
	s_delay_alu instid0(VALU_DEP_1) | instskip(NEXT) | instid1(VALU_DEP_1)
	v_add_f32_e32 v19, v23, v19
	v_add_f32_e32 v21, v22, v19
	s_delay_alu instid0(VALU_DEP_1) | instskip(NEXT) | instid1(VALU_DEP_1)
	v_mul_f32_e32 v23, v21, v21
	v_fmaak_f32 v24, s27, v23, 0x3ecc95a3
	v_mul_f32_e32 v28, v21, v23
	v_cmp_eq_f32_e64 s27, 0x7f800000, v20
	s_delay_alu instid0(VALU_DEP_3) | instskip(SKIP_2) | instid1(VALU_DEP_4)
	v_fmaak_f32 v23, v23, v24, 0x3f2aaada
	v_ldexp_f32 v24, v21, 1
	v_sub_f32_e32 v21, v21, v22
	s_or_b32 s27, s27, s29
	s_delay_alu instid0(VALU_DEP_3) | instskip(NEXT) | instid1(VALU_DEP_1)
	v_dual_mul_f32 v23, v28, v23 :: v_dual_mul_f32 v28, 0x3f317218, v18
	v_dual_sub_f32 v19, v19, v21 :: v_dual_add_f32 v22, v24, v23
	s_delay_alu instid0(VALU_DEP_1) | instskip(NEXT) | instid1(VALU_DEP_2)
	v_ldexp_f32 v19, v19, 1
	v_sub_f32_e32 v21, v22, v24
	s_delay_alu instid0(VALU_DEP_4) | instskip(NEXT) | instid1(VALU_DEP_1)
	v_fma_f32 v24, 0x3f317218, v18, -v28
	v_dual_sub_f32 v21, v23, v21 :: v_dual_fmamk_f32 v18, v18, 0xb102e308, v24
	s_delay_alu instid0(VALU_DEP_1) | instskip(NEXT) | instid1(VALU_DEP_2)
	v_add_f32_e32 v19, v19, v21
	v_add_f32_e32 v21, v28, v18
	s_delay_alu instid0(VALU_DEP_1) | instskip(NEXT) | instid1(VALU_DEP_1)
	v_dual_add_f32 v23, v22, v19 :: v_dual_sub_f32 v28, v21, v28
	v_add_f32_e32 v24, v21, v23
	v_sub_f32_e32 v22, v23, v22
	s_delay_alu instid0(VALU_DEP_2) | instskip(NEXT) | instid1(VALU_DEP_1)
	v_dual_sub_f32 v18, v18, v28 :: v_dual_sub_f32 v29, v24, v21
	v_dual_sub_f32 v19, v19, v22 :: v_dual_sub_f32 v30, v24, v29
	s_delay_alu instid0(VALU_DEP_1) | instskip(NEXT) | instid1(VALU_DEP_2)
	v_dual_sub_f32 v22, v23, v29 :: v_dual_add_f32 v23, v18, v19
	v_sub_f32_e32 v21, v21, v30
	s_delay_alu instid0(VALU_DEP_1) | instskip(NEXT) | instid1(VALU_DEP_1)
	v_dual_add_f32 v21, v22, v21 :: v_dual_sub_f32 v22, v23, v18
	v_add_f32_e32 v21, v23, v21
	s_delay_alu instid0(VALU_DEP_2) | instskip(NEXT) | instid1(VALU_DEP_2)
	v_sub_f32_e32 v23, v23, v22
	v_dual_sub_f32 v19, v19, v22 :: v_dual_add_f32 v28, v24, v21
	s_delay_alu instid0(VALU_DEP_2) | instskip(NEXT) | instid1(VALU_DEP_2)
	v_sub_f32_e32 v18, v18, v23
	v_sub_f32_e32 v22, v28, v24
	s_delay_alu instid0(VALU_DEP_2) | instskip(NEXT) | instid1(VALU_DEP_2)
	v_add_f32_e32 v18, v19, v18
	v_sub_f32_e32 v19, v21, v22
	s_delay_alu instid0(VALU_DEP_1) | instskip(NEXT) | instid1(VALU_DEP_1)
	v_add_f32_e32 v18, v18, v19
	v_add_f32_e32 v18, v28, v18
	s_delay_alu instid0(VALU_DEP_1) | instskip(NEXT) | instid1(VALU_DEP_1)
	v_cndmask_b32_e64 v18, v18, v20, s27
	v_add_f32_e32 v17, v17, v18
	s_delay_alu instid0(VALU_DEP_1) | instskip(NEXT) | instid1(VALU_DEP_1)
	v_cvt_f16_f32_e32 v28, v17
	v_cvt_f32_f16_e32 v30, v28
	v_mov_b32_e32 v29, v28
.LBB420_54:
	s_or_b32 exec_lo, exec_lo, s28
	v_lshrrev_b32_e32 v10, 16, v10
	s_delay_alu instid0(VALU_DEP_3) | instskip(SKIP_1) | instid1(VALU_DEP_3)
	v_max_f32_e32 v18, v30, v30
	v_cmp_u_f16_e64 s27, v28, v28
	v_cvt_f32_f16_e32 v17, v10
	s_delay_alu instid0(VALU_DEP_1) | instskip(SKIP_1) | instid1(VALU_DEP_2)
	v_min_f32_e32 v19, v18, v17
	v_max_f32_e32 v18, v18, v17
	v_cndmask_b32_e64 v19, v19, v30, s27
	s_delay_alu instid0(VALU_DEP_2) | instskip(SKIP_1) | instid1(VALU_DEP_1)
	v_cndmask_b32_e64 v20, v18, v30, s27
	v_cmp_u_f16_e64 s27, v10, v10
	v_cndmask_b32_e64 v18, v19, v17, s27
	s_delay_alu instid0(VALU_DEP_3) | instskip(NEXT) | instid1(VALU_DEP_2)
	v_cndmask_b32_e64 v10, v20, v17, s27
	v_cmp_class_f32_e64 s29, v18, 0x1f8
	s_delay_alu instid0(VALU_DEP_2) | instskip(NEXT) | instid1(VALU_DEP_1)
	v_cmp_neq_f32_e64 s28, v18, v10
	s_or_b32 s28, s28, s29
	s_delay_alu instid0(SALU_CYCLE_1)
	s_and_saveexec_b32 s29, s28
	s_cbranch_execz .LBB420_56
; %bb.55:
	v_sub_f32_e32 v18, v18, v10
	s_delay_alu instid0(VALU_DEP_1) | instskip(NEXT) | instid1(VALU_DEP_1)
	v_mul_f32_e32 v19, 0x3fb8aa3b, v18
	v_fma_f32 v20, 0x3fb8aa3b, v18, -v19
	v_rndne_f32_e32 v21, v19
	s_delay_alu instid0(VALU_DEP_1) | instskip(SKIP_1) | instid1(VALU_DEP_2)
	v_dual_sub_f32 v19, v19, v21 :: v_dual_fmamk_f32 v20, v18, 0x32a5705f, v20
	v_cmp_ngt_f32_e64 s28, 0xc2ce8ed0, v18
	v_add_f32_e32 v19, v19, v20
	v_cvt_i32_f32_e32 v20, v21
	s_delay_alu instid0(VALU_DEP_2) | instskip(SKIP_2) | instid1(VALU_DEP_1)
	v_exp_f32_e32 v19, v19
	s_waitcnt_depctr 0xfff
	v_ldexp_f32 v19, v19, v20
	v_cndmask_b32_e64 v19, 0, v19, s28
	v_cmp_nlt_f32_e64 s28, 0x42b17218, v18
	s_delay_alu instid0(VALU_DEP_1) | instskip(NEXT) | instid1(VALU_DEP_1)
	v_cndmask_b32_e64 v20, 0x7f800000, v19, s28
	v_add_f32_e32 v21, 1.0, v20
	v_cmp_gt_f32_e64 s30, 0x33800000, |v20|
	s_delay_alu instid0(VALU_DEP_2) | instskip(NEXT) | instid1(VALU_DEP_1)
	v_cvt_f64_f32_e32 v[18:19], v21
	v_frexp_exp_i32_f64_e32 v18, v[18:19]
	v_frexp_mant_f32_e32 v19, v21
	s_delay_alu instid0(VALU_DEP_1) | instskip(SKIP_1) | instid1(VALU_DEP_1)
	v_cmp_gt_f32_e64 s28, 0x3f2aaaab, v19
	v_add_f32_e32 v19, -1.0, v21
	v_sub_f32_e32 v23, v19, v21
	v_sub_f32_e32 v19, v20, v19
	s_delay_alu instid0(VALU_DEP_2) | instskip(NEXT) | instid1(VALU_DEP_1)
	v_add_f32_e32 v23, 1.0, v23
	v_add_f32_e32 v19, v19, v23
	v_subrev_co_ci_u32_e64 v18, s28, 0, v18, s28
	s_mov_b32 s28, 0x3e9b6dac
	s_delay_alu instid0(VALU_DEP_1) | instskip(SKIP_1) | instid1(VALU_DEP_2)
	v_sub_nc_u32_e32 v22, 0, v18
	v_cvt_f32_i32_e32 v18, v18
	v_ldexp_f32 v21, v21, v22
	v_ldexp_f32 v19, v19, v22
	s_delay_alu instid0(VALU_DEP_2) | instskip(NEXT) | instid1(VALU_DEP_1)
	v_add_f32_e32 v24, 1.0, v21
	v_dual_add_f32 v22, -1.0, v21 :: v_dual_add_f32 v23, -1.0, v24
	s_delay_alu instid0(VALU_DEP_1) | instskip(NEXT) | instid1(VALU_DEP_1)
	v_dual_add_f32 v28, 1.0, v22 :: v_dual_sub_f32 v23, v21, v23
	v_add_f32_e32 v23, v19, v23
	s_delay_alu instid0(VALU_DEP_1) | instskip(NEXT) | instid1(VALU_DEP_1)
	v_dual_sub_f32 v21, v21, v28 :: v_dual_add_f32 v28, v24, v23
	v_sub_f32_e32 v24, v24, v28
	s_delay_alu instid0(VALU_DEP_1) | instskip(NEXT) | instid1(VALU_DEP_3)
	v_add_f32_e32 v23, v23, v24
	v_add_f32_e32 v19, v19, v21
	v_rcp_f32_e32 v21, v28
	s_delay_alu instid0(VALU_DEP_1) | instskip(NEXT) | instid1(VALU_DEP_1)
	v_add_f32_e32 v29, v22, v19
	v_sub_f32_e32 v22, v22, v29
	s_waitcnt_depctr 0xfff
	v_mul_f32_e32 v30, v29, v21
	s_delay_alu instid0(VALU_DEP_1) | instskip(NEXT) | instid1(VALU_DEP_1)
	v_mul_f32_e32 v31, v28, v30
	v_fma_f32 v24, v30, v28, -v31
	s_delay_alu instid0(VALU_DEP_1) | instskip(NEXT) | instid1(VALU_DEP_1)
	v_dual_fmac_f32 v24, v30, v23 :: v_dual_add_f32 v19, v19, v22
	v_add_f32_e32 v32, v31, v24
	s_delay_alu instid0(VALU_DEP_1) | instskip(NEXT) | instid1(VALU_DEP_1)
	v_dual_sub_f32 v33, v29, v32 :: v_dual_sub_f32 v22, v32, v31
	v_dual_sub_f32 v29, v29, v33 :: v_dual_sub_f32 v22, v22, v24
	s_delay_alu instid0(VALU_DEP_1) | instskip(NEXT) | instid1(VALU_DEP_1)
	v_sub_f32_e32 v29, v29, v32
	v_add_f32_e32 v19, v19, v29
	s_delay_alu instid0(VALU_DEP_1) | instskip(NEXT) | instid1(VALU_DEP_1)
	v_add_f32_e32 v19, v22, v19
	v_add_f32_e32 v22, v33, v19
	s_delay_alu instid0(VALU_DEP_1) | instskip(NEXT) | instid1(VALU_DEP_1)
	v_mul_f32_e32 v24, v21, v22
	v_mul_f32_e32 v29, v28, v24
	s_delay_alu instid0(VALU_DEP_1) | instskip(NEXT) | instid1(VALU_DEP_1)
	v_fma_f32 v28, v24, v28, -v29
	v_fmac_f32_e32 v28, v24, v23
	v_sub_f32_e32 v32, v33, v22
	s_delay_alu instid0(VALU_DEP_2) | instskip(NEXT) | instid1(VALU_DEP_2)
	v_add_f32_e32 v23, v29, v28
	v_add_f32_e32 v19, v19, v32
	s_delay_alu instid0(VALU_DEP_2) | instskip(NEXT) | instid1(VALU_DEP_1)
	v_sub_f32_e32 v31, v22, v23
	v_dual_sub_f32 v29, v23, v29 :: v_dual_sub_f32 v22, v22, v31
	s_delay_alu instid0(VALU_DEP_1) | instskip(NEXT) | instid1(VALU_DEP_1)
	v_dual_sub_f32 v22, v22, v23 :: v_dual_sub_f32 v23, v29, v28
	v_dual_add_f32 v19, v19, v22 :: v_dual_add_f32 v22, v30, v24
	s_delay_alu instid0(VALU_DEP_1) | instskip(NEXT) | instid1(VALU_DEP_2)
	v_add_f32_e32 v19, v23, v19
	v_sub_f32_e32 v23, v22, v30
	s_delay_alu instid0(VALU_DEP_2) | instskip(NEXT) | instid1(VALU_DEP_2)
	v_add_f32_e32 v19, v31, v19
	v_sub_f32_e32 v23, v24, v23
	s_delay_alu instid0(VALU_DEP_2) | instskip(NEXT) | instid1(VALU_DEP_1)
	v_mul_f32_e32 v19, v21, v19
	v_add_f32_e32 v19, v23, v19
	s_delay_alu instid0(VALU_DEP_1) | instskip(NEXT) | instid1(VALU_DEP_1)
	v_add_f32_e32 v21, v22, v19
	v_mul_f32_e32 v23, v21, v21
	s_delay_alu instid0(VALU_DEP_1) | instskip(SKIP_2) | instid1(VALU_DEP_3)
	v_fmaak_f32 v24, s28, v23, 0x3ecc95a3
	v_mul_f32_e32 v28, v21, v23
	v_cmp_eq_f32_e64 s28, 0x7f800000, v20
	v_fmaak_f32 v23, v23, v24, 0x3f2aaada
	v_ldexp_f32 v24, v21, 1
	v_sub_f32_e32 v21, v21, v22
	s_delay_alu instid0(VALU_DEP_4) | instskip(NEXT) | instid1(VALU_DEP_3)
	s_or_b32 s28, s28, s30
	v_dual_mul_f32 v23, v28, v23 :: v_dual_mul_f32 v28, 0x3f317218, v18
	s_delay_alu instid0(VALU_DEP_1) | instskip(NEXT) | instid1(VALU_DEP_1)
	v_dual_sub_f32 v19, v19, v21 :: v_dual_add_f32 v22, v24, v23
	v_ldexp_f32 v19, v19, 1
	s_delay_alu instid0(VALU_DEP_2) | instskip(NEXT) | instid1(VALU_DEP_4)
	v_sub_f32_e32 v21, v22, v24
	v_fma_f32 v24, 0x3f317218, v18, -v28
	s_delay_alu instid0(VALU_DEP_1) | instskip(NEXT) | instid1(VALU_DEP_1)
	v_dual_sub_f32 v21, v23, v21 :: v_dual_fmamk_f32 v18, v18, 0xb102e308, v24
	v_add_f32_e32 v19, v19, v21
	s_delay_alu instid0(VALU_DEP_2) | instskip(NEXT) | instid1(VALU_DEP_1)
	v_add_f32_e32 v21, v28, v18
	v_dual_add_f32 v23, v22, v19 :: v_dual_sub_f32 v28, v21, v28
	s_delay_alu instid0(VALU_DEP_1) | instskip(SKIP_1) | instid1(VALU_DEP_2)
	v_add_f32_e32 v24, v21, v23
	v_sub_f32_e32 v22, v23, v22
	v_dual_sub_f32 v18, v18, v28 :: v_dual_sub_f32 v29, v24, v21
	s_delay_alu instid0(VALU_DEP_1) | instskip(NEXT) | instid1(VALU_DEP_1)
	v_dual_sub_f32 v19, v19, v22 :: v_dual_sub_f32 v30, v24, v29
	v_dual_sub_f32 v22, v23, v29 :: v_dual_add_f32 v23, v18, v19
	s_delay_alu instid0(VALU_DEP_2) | instskip(NEXT) | instid1(VALU_DEP_1)
	v_sub_f32_e32 v21, v21, v30
	v_dual_add_f32 v21, v22, v21 :: v_dual_sub_f32 v22, v23, v18
	s_delay_alu instid0(VALU_DEP_1) | instskip(NEXT) | instid1(VALU_DEP_2)
	v_add_f32_e32 v21, v23, v21
	v_sub_f32_e32 v23, v23, v22
	s_delay_alu instid0(VALU_DEP_2) | instskip(NEXT) | instid1(VALU_DEP_2)
	v_dual_sub_f32 v19, v19, v22 :: v_dual_add_f32 v28, v24, v21
	v_sub_f32_e32 v18, v18, v23
	s_delay_alu instid0(VALU_DEP_2) | instskip(NEXT) | instid1(VALU_DEP_2)
	v_sub_f32_e32 v22, v28, v24
	v_add_f32_e32 v18, v19, v18
	s_delay_alu instid0(VALU_DEP_2) | instskip(NEXT) | instid1(VALU_DEP_1)
	v_sub_f32_e32 v19, v21, v22
	v_add_f32_e32 v18, v18, v19
	s_delay_alu instid0(VALU_DEP_1) | instskip(NEXT) | instid1(VALU_DEP_1)
	v_add_f32_e32 v18, v28, v18
	v_cndmask_b32_e64 v18, v18, v20, s28
	s_delay_alu instid0(VALU_DEP_1) | instskip(NEXT) | instid1(VALU_DEP_1)
	v_add_f32_e32 v10, v10, v18
	v_cvt_f16_f32_e32 v28, v10
	s_delay_alu instid0(VALU_DEP_1)
	v_cvt_f32_f16_e32 v30, v28
	v_mov_b32_e32 v29, v28
.LBB420_56:
	s_or_b32 exec_lo, exec_lo, s29
	v_cvt_f32_f16_e32 v10, v11
	s_delay_alu instid0(VALU_DEP_3) | instskip(SKIP_1) | instid1(VALU_DEP_2)
	v_max_f32_e32 v18, v30, v30
	v_cmp_u_f16_e64 s28, v28, v28
	v_min_f32_e32 v19, v18, v10
	v_max_f32_e32 v18, v18, v10
	s_delay_alu instid0(VALU_DEP_2) | instskip(NEXT) | instid1(VALU_DEP_2)
	v_cndmask_b32_e64 v19, v19, v30, s28
	v_cndmask_b32_e64 v18, v18, v30, s28
	v_cmp_u_f16_e64 s28, v11, v11
	s_delay_alu instid0(VALU_DEP_1) | instskip(NEXT) | instid1(VALU_DEP_3)
	v_cndmask_b32_e64 v19, v19, v10, s28
	v_cndmask_b32_e64 v18, v18, v10, s28
	s_delay_alu instid0(VALU_DEP_2) | instskip(NEXT) | instid1(VALU_DEP_2)
	v_cmp_class_f32_e64 s30, v19, 0x1f8
	v_cmp_neq_f32_e64 s29, v19, v18
	s_delay_alu instid0(VALU_DEP_1) | instskip(NEXT) | instid1(SALU_CYCLE_1)
	s_or_b32 s29, s29, s30
	s_and_saveexec_b32 s30, s29
	s_cbranch_execz .LBB420_58
; %bb.57:
	v_sub_f32_e32 v19, v19, v18
	s_delay_alu instid0(VALU_DEP_1) | instskip(NEXT) | instid1(VALU_DEP_1)
	v_mul_f32_e32 v20, 0x3fb8aa3b, v19
	v_fma_f32 v21, 0x3fb8aa3b, v19, -v20
	v_rndne_f32_e32 v22, v20
	s_delay_alu instid0(VALU_DEP_1) | instskip(NEXT) | instid1(VALU_DEP_1)
	v_dual_fmamk_f32 v21, v19, 0x32a5705f, v21 :: v_dual_sub_f32 v20, v20, v22
	v_add_f32_e32 v20, v20, v21
	v_cvt_i32_f32_e32 v21, v22
	v_cmp_ngt_f32_e64 s29, 0xc2ce8ed0, v19
	s_delay_alu instid0(VALU_DEP_3) | instskip(SKIP_2) | instid1(VALU_DEP_1)
	v_exp_f32_e32 v20, v20
	s_waitcnt_depctr 0xfff
	v_ldexp_f32 v20, v20, v21
	v_cndmask_b32_e64 v20, 0, v20, s29
	v_cmp_nlt_f32_e64 s29, 0x42b17218, v19
	s_delay_alu instid0(VALU_DEP_1) | instskip(NEXT) | instid1(VALU_DEP_1)
	v_cndmask_b32_e64 v21, 0x7f800000, v20, s29
	v_add_f32_e32 v22, 1.0, v21
	v_cmp_gt_f32_e64 s31, 0x33800000, |v21|
	s_delay_alu instid0(VALU_DEP_2) | instskip(NEXT) | instid1(VALU_DEP_1)
	v_cvt_f64_f32_e32 v[19:20], v22
	v_frexp_exp_i32_f64_e32 v19, v[19:20]
	v_frexp_mant_f32_e32 v20, v22
	s_delay_alu instid0(VALU_DEP_1) | instskip(SKIP_1) | instid1(VALU_DEP_1)
	v_cmp_gt_f32_e64 s29, 0x3f2aaaab, v20
	v_add_f32_e32 v20, -1.0, v22
	v_sub_f32_e32 v24, v20, v22
	v_sub_f32_e32 v20, v21, v20
	s_delay_alu instid0(VALU_DEP_2) | instskip(NEXT) | instid1(VALU_DEP_1)
	v_add_f32_e32 v24, 1.0, v24
	v_add_f32_e32 v20, v20, v24
	v_subrev_co_ci_u32_e64 v19, s29, 0, v19, s29
	s_mov_b32 s29, 0x3e9b6dac
	s_delay_alu instid0(VALU_DEP_1) | instskip(SKIP_1) | instid1(VALU_DEP_2)
	v_sub_nc_u32_e32 v23, 0, v19
	v_cvt_f32_i32_e32 v19, v19
	v_ldexp_f32 v22, v22, v23
	v_ldexp_f32 v20, v20, v23
	s_delay_alu instid0(VALU_DEP_2) | instskip(NEXT) | instid1(VALU_DEP_1)
	v_add_f32_e32 v28, 1.0, v22
	v_dual_add_f32 v23, -1.0, v22 :: v_dual_add_f32 v24, -1.0, v28
	s_delay_alu instid0(VALU_DEP_1) | instskip(NEXT) | instid1(VALU_DEP_1)
	v_dual_add_f32 v29, 1.0, v23 :: v_dual_sub_f32 v24, v22, v24
	v_sub_f32_e32 v22, v22, v29
	s_delay_alu instid0(VALU_DEP_2) | instskip(NEXT) | instid1(VALU_DEP_2)
	v_add_f32_e32 v24, v20, v24
	v_add_f32_e32 v20, v20, v22
	s_delay_alu instid0(VALU_DEP_2) | instskip(NEXT) | instid1(VALU_DEP_2)
	v_add_f32_e32 v29, v28, v24
	v_add_f32_e32 v30, v23, v20
	s_delay_alu instid0(VALU_DEP_2) | instskip(NEXT) | instid1(VALU_DEP_1)
	v_rcp_f32_e32 v22, v29
	v_dual_sub_f32 v28, v28, v29 :: v_dual_sub_f32 v23, v23, v30
	s_delay_alu instid0(VALU_DEP_1) | instskip(SKIP_2) | instid1(VALU_DEP_1)
	v_add_f32_e32 v24, v24, v28
	s_waitcnt_depctr 0xfff
	v_dual_add_f32 v20, v20, v23 :: v_dual_mul_f32 v31, v30, v22
	v_mul_f32_e32 v32, v29, v31
	s_delay_alu instid0(VALU_DEP_1) | instskip(NEXT) | instid1(VALU_DEP_1)
	v_fma_f32 v28, v31, v29, -v32
	v_fmac_f32_e32 v28, v31, v24
	s_delay_alu instid0(VALU_DEP_1) | instskip(NEXT) | instid1(VALU_DEP_1)
	v_add_f32_e32 v33, v32, v28
	v_dual_sub_f32 v34, v30, v33 :: v_dual_sub_f32 v23, v33, v32
	s_delay_alu instid0(VALU_DEP_1) | instskip(NEXT) | instid1(VALU_DEP_1)
	v_dual_sub_f32 v30, v30, v34 :: v_dual_sub_f32 v23, v23, v28
	v_sub_f32_e32 v30, v30, v33
	s_delay_alu instid0(VALU_DEP_1) | instskip(NEXT) | instid1(VALU_DEP_1)
	v_add_f32_e32 v20, v20, v30
	v_add_f32_e32 v20, v23, v20
	s_delay_alu instid0(VALU_DEP_1) | instskip(NEXT) | instid1(VALU_DEP_1)
	v_add_f32_e32 v23, v34, v20
	v_mul_f32_e32 v28, v22, v23
	s_delay_alu instid0(VALU_DEP_1) | instskip(NEXT) | instid1(VALU_DEP_1)
	v_dual_sub_f32 v33, v34, v23 :: v_dual_mul_f32 v30, v29, v28
	v_add_f32_e32 v20, v20, v33
	s_delay_alu instid0(VALU_DEP_2) | instskip(NEXT) | instid1(VALU_DEP_1)
	v_fma_f32 v29, v28, v29, -v30
	v_fmac_f32_e32 v29, v28, v24
	s_delay_alu instid0(VALU_DEP_1) | instskip(NEXT) | instid1(VALU_DEP_1)
	v_add_f32_e32 v24, v30, v29
	v_sub_f32_e32 v32, v23, v24
	s_delay_alu instid0(VALU_DEP_1) | instskip(NEXT) | instid1(VALU_DEP_1)
	v_dual_sub_f32 v30, v24, v30 :: v_dual_sub_f32 v23, v23, v32
	v_dual_sub_f32 v23, v23, v24 :: v_dual_sub_f32 v24, v30, v29
	s_delay_alu instid0(VALU_DEP_1) | instskip(NEXT) | instid1(VALU_DEP_1)
	v_dual_add_f32 v20, v20, v23 :: v_dual_add_f32 v23, v31, v28
	v_add_f32_e32 v20, v24, v20
	s_delay_alu instid0(VALU_DEP_2) | instskip(NEXT) | instid1(VALU_DEP_2)
	v_sub_f32_e32 v24, v23, v31
	v_add_f32_e32 v20, v32, v20
	s_delay_alu instid0(VALU_DEP_2) | instskip(NEXT) | instid1(VALU_DEP_2)
	v_sub_f32_e32 v24, v28, v24
	v_mul_f32_e32 v20, v22, v20
	s_delay_alu instid0(VALU_DEP_1) | instskip(NEXT) | instid1(VALU_DEP_1)
	v_add_f32_e32 v20, v24, v20
	v_add_f32_e32 v22, v23, v20
	s_delay_alu instid0(VALU_DEP_1) | instskip(NEXT) | instid1(VALU_DEP_1)
	v_mul_f32_e32 v24, v22, v22
	v_fmaak_f32 v28, s29, v24, 0x3ecc95a3
	v_mul_f32_e32 v29, v22, v24
	v_cmp_eq_f32_e64 s29, 0x7f800000, v21
	s_delay_alu instid0(VALU_DEP_3) | instskip(SKIP_2) | instid1(VALU_DEP_4)
	v_fmaak_f32 v24, v24, v28, 0x3f2aaada
	v_ldexp_f32 v28, v22, 1
	v_sub_f32_e32 v22, v22, v23
	s_or_b32 s29, s29, s31
	s_delay_alu instid0(VALU_DEP_3) | instskip(NEXT) | instid1(VALU_DEP_2)
	v_dual_mul_f32 v24, v29, v24 :: v_dual_mul_f32 v29, 0x3f317218, v19
	v_sub_f32_e32 v20, v20, v22
	s_delay_alu instid0(VALU_DEP_2) | instskip(NEXT) | instid1(VALU_DEP_2)
	v_add_f32_e32 v23, v28, v24
	v_ldexp_f32 v20, v20, 1
	s_delay_alu instid0(VALU_DEP_2) | instskip(SKIP_1) | instid1(VALU_DEP_1)
	v_sub_f32_e32 v22, v23, v28
	v_fma_f32 v28, 0x3f317218, v19, -v29
	v_dual_sub_f32 v22, v24, v22 :: v_dual_fmamk_f32 v19, v19, 0xb102e308, v28
	s_delay_alu instid0(VALU_DEP_1) | instskip(NEXT) | instid1(VALU_DEP_2)
	v_add_f32_e32 v20, v20, v22
	v_add_f32_e32 v22, v29, v19
	s_delay_alu instid0(VALU_DEP_1) | instskip(NEXT) | instid1(VALU_DEP_1)
	v_dual_add_f32 v24, v23, v20 :: v_dual_sub_f32 v29, v22, v29
	v_dual_add_f32 v28, v22, v24 :: v_dual_sub_f32 v23, v24, v23
	s_delay_alu instid0(VALU_DEP_1) | instskip(NEXT) | instid1(VALU_DEP_2)
	v_dual_sub_f32 v19, v19, v29 :: v_dual_sub_f32 v30, v28, v22
	v_sub_f32_e32 v20, v20, v23
	s_delay_alu instid0(VALU_DEP_2) | instskip(NEXT) | instid1(VALU_DEP_2)
	v_sub_f32_e32 v31, v28, v30
	v_dual_sub_f32 v23, v24, v30 :: v_dual_add_f32 v24, v19, v20
	s_delay_alu instid0(VALU_DEP_2) | instskip(NEXT) | instid1(VALU_DEP_1)
	v_sub_f32_e32 v22, v22, v31
	v_dual_add_f32 v22, v23, v22 :: v_dual_sub_f32 v23, v24, v19
	s_delay_alu instid0(VALU_DEP_1) | instskip(NEXT) | instid1(VALU_DEP_2)
	v_add_f32_e32 v22, v24, v22
	v_sub_f32_e32 v24, v24, v23
	v_sub_f32_e32 v20, v20, v23
	s_delay_alu instid0(VALU_DEP_3) | instskip(NEXT) | instid1(VALU_DEP_3)
	v_add_f32_e32 v29, v28, v22
	v_sub_f32_e32 v19, v19, v24
	s_delay_alu instid0(VALU_DEP_2) | instskip(NEXT) | instid1(VALU_DEP_2)
	v_sub_f32_e32 v23, v29, v28
	v_add_f32_e32 v19, v20, v19
	s_delay_alu instid0(VALU_DEP_2) | instskip(NEXT) | instid1(VALU_DEP_1)
	v_sub_f32_e32 v20, v22, v23
	v_add_f32_e32 v19, v19, v20
	s_delay_alu instid0(VALU_DEP_1) | instskip(NEXT) | instid1(VALU_DEP_1)
	v_add_f32_e32 v19, v29, v19
	v_cndmask_b32_e64 v19, v19, v21, s29
	s_delay_alu instid0(VALU_DEP_1) | instskip(NEXT) | instid1(VALU_DEP_1)
	v_add_f32_e32 v18, v18, v19
	v_cvt_f16_f32_e32 v28, v18
	s_delay_alu instid0(VALU_DEP_1)
	v_mov_b32_e32 v29, v28
	v_cvt_f32_f16_e32 v30, v28
.LBB420_58:
	s_or_b32 exec_lo, exec_lo, s30
	v_lshrrev_b32_e32 v11, 16, v11
	s_delay_alu instid0(VALU_DEP_2) | instskip(SKIP_1) | instid1(VALU_DEP_3)
	v_max_f32_e32 v19, v30, v30
	v_cmp_u_f16_e64 s29, v28, v28
	v_cvt_f32_f16_e32 v18, v11
	s_delay_alu instid0(VALU_DEP_1) | instskip(SKIP_1) | instid1(VALU_DEP_2)
	v_min_f32_e32 v20, v19, v18
	v_max_f32_e32 v19, v19, v18
	v_cndmask_b32_e64 v20, v20, v30, s29
	s_delay_alu instid0(VALU_DEP_2) | instskip(SKIP_1) | instid1(VALU_DEP_1)
	v_cndmask_b32_e64 v21, v19, v30, s29
	v_cmp_u_f16_e64 s29, v11, v11
	v_cndmask_b32_e64 v19, v20, v18, s29
	s_delay_alu instid0(VALU_DEP_3) | instskip(NEXT) | instid1(VALU_DEP_2)
	v_cndmask_b32_e64 v11, v21, v18, s29
	v_cmp_class_f32_e64 s31, v19, 0x1f8
	s_delay_alu instid0(VALU_DEP_2) | instskip(NEXT) | instid1(VALU_DEP_1)
	v_cmp_neq_f32_e64 s30, v19, v11
	s_or_b32 s30, s30, s31
	s_delay_alu instid0(SALU_CYCLE_1)
	s_and_saveexec_b32 s31, s30
	s_cbranch_execz .LBB420_60
; %bb.59:
	v_sub_f32_e32 v19, v19, v11
	s_delay_alu instid0(VALU_DEP_1) | instskip(NEXT) | instid1(VALU_DEP_1)
	v_mul_f32_e32 v20, 0x3fb8aa3b, v19
	v_fma_f32 v21, 0x3fb8aa3b, v19, -v20
	v_rndne_f32_e32 v22, v20
	s_delay_alu instid0(VALU_DEP_1) | instskip(SKIP_1) | instid1(VALU_DEP_2)
	v_dual_sub_f32 v20, v20, v22 :: v_dual_fmamk_f32 v21, v19, 0x32a5705f, v21
	v_cmp_ngt_f32_e64 s30, 0xc2ce8ed0, v19
	v_add_f32_e32 v20, v20, v21
	v_cvt_i32_f32_e32 v21, v22
	s_delay_alu instid0(VALU_DEP_2) | instskip(SKIP_2) | instid1(VALU_DEP_1)
	v_exp_f32_e32 v20, v20
	s_waitcnt_depctr 0xfff
	v_ldexp_f32 v20, v20, v21
	v_cndmask_b32_e64 v20, 0, v20, s30
	v_cmp_nlt_f32_e64 s30, 0x42b17218, v19
	s_delay_alu instid0(VALU_DEP_1) | instskip(NEXT) | instid1(VALU_DEP_1)
	v_cndmask_b32_e64 v21, 0x7f800000, v20, s30
	v_add_f32_e32 v22, 1.0, v21
	v_cmp_gt_f32_e64 s33, 0x33800000, |v21|
	s_delay_alu instid0(VALU_DEP_2) | instskip(NEXT) | instid1(VALU_DEP_1)
	v_cvt_f64_f32_e32 v[19:20], v22
	v_frexp_exp_i32_f64_e32 v19, v[19:20]
	v_frexp_mant_f32_e32 v20, v22
	s_delay_alu instid0(VALU_DEP_1) | instskip(SKIP_1) | instid1(VALU_DEP_1)
	v_cmp_gt_f32_e64 s30, 0x3f2aaaab, v20
	v_add_f32_e32 v20, -1.0, v22
	v_sub_f32_e32 v24, v20, v22
	v_sub_f32_e32 v20, v21, v20
	s_delay_alu instid0(VALU_DEP_2) | instskip(NEXT) | instid1(VALU_DEP_1)
	v_add_f32_e32 v24, 1.0, v24
	v_add_f32_e32 v20, v20, v24
	v_subrev_co_ci_u32_e64 v19, s30, 0, v19, s30
	s_mov_b32 s30, 0x3e9b6dac
	s_delay_alu instid0(VALU_DEP_1) | instskip(SKIP_1) | instid1(VALU_DEP_2)
	v_sub_nc_u32_e32 v23, 0, v19
	v_cvt_f32_i32_e32 v19, v19
	v_ldexp_f32 v22, v22, v23
	v_ldexp_f32 v20, v20, v23
	s_delay_alu instid0(VALU_DEP_2) | instskip(NEXT) | instid1(VALU_DEP_1)
	v_add_f32_e32 v28, 1.0, v22
	v_dual_add_f32 v23, -1.0, v22 :: v_dual_add_f32 v24, -1.0, v28
	s_delay_alu instid0(VALU_DEP_1) | instskip(NEXT) | instid1(VALU_DEP_1)
	v_dual_add_f32 v29, 1.0, v23 :: v_dual_sub_f32 v24, v22, v24
	v_sub_f32_e32 v22, v22, v29
	s_delay_alu instid0(VALU_DEP_2) | instskip(NEXT) | instid1(VALU_DEP_2)
	v_add_f32_e32 v24, v20, v24
	v_add_f32_e32 v20, v20, v22
	s_delay_alu instid0(VALU_DEP_2) | instskip(NEXT) | instid1(VALU_DEP_2)
	v_add_f32_e32 v29, v28, v24
	v_add_f32_e32 v30, v23, v20
	s_delay_alu instid0(VALU_DEP_2) | instskip(NEXT) | instid1(VALU_DEP_1)
	v_rcp_f32_e32 v22, v29
	v_dual_sub_f32 v28, v28, v29 :: v_dual_sub_f32 v23, v23, v30
	s_delay_alu instid0(VALU_DEP_1) | instskip(SKIP_2) | instid1(VALU_DEP_1)
	v_add_f32_e32 v24, v24, v28
	s_waitcnt_depctr 0xfff
	v_dual_add_f32 v20, v20, v23 :: v_dual_mul_f32 v31, v30, v22
	v_mul_f32_e32 v32, v29, v31
	s_delay_alu instid0(VALU_DEP_1) | instskip(NEXT) | instid1(VALU_DEP_1)
	v_fma_f32 v28, v31, v29, -v32
	v_fmac_f32_e32 v28, v31, v24
	s_delay_alu instid0(VALU_DEP_1) | instskip(NEXT) | instid1(VALU_DEP_1)
	v_add_f32_e32 v33, v32, v28
	v_dual_sub_f32 v34, v30, v33 :: v_dual_sub_f32 v23, v33, v32
	s_delay_alu instid0(VALU_DEP_1) | instskip(NEXT) | instid1(VALU_DEP_1)
	v_dual_sub_f32 v30, v30, v34 :: v_dual_sub_f32 v23, v23, v28
	v_sub_f32_e32 v30, v30, v33
	s_delay_alu instid0(VALU_DEP_1) | instskip(NEXT) | instid1(VALU_DEP_1)
	v_add_f32_e32 v20, v20, v30
	v_add_f32_e32 v20, v23, v20
	s_delay_alu instid0(VALU_DEP_1) | instskip(NEXT) | instid1(VALU_DEP_1)
	v_add_f32_e32 v23, v34, v20
	v_mul_f32_e32 v28, v22, v23
	s_delay_alu instid0(VALU_DEP_1) | instskip(NEXT) | instid1(VALU_DEP_1)
	v_dual_sub_f32 v33, v34, v23 :: v_dual_mul_f32 v30, v29, v28
	v_add_f32_e32 v20, v20, v33
	s_delay_alu instid0(VALU_DEP_2) | instskip(NEXT) | instid1(VALU_DEP_1)
	v_fma_f32 v29, v28, v29, -v30
	v_fmac_f32_e32 v29, v28, v24
	s_delay_alu instid0(VALU_DEP_1) | instskip(NEXT) | instid1(VALU_DEP_1)
	v_add_f32_e32 v24, v30, v29
	v_sub_f32_e32 v32, v23, v24
	s_delay_alu instid0(VALU_DEP_1) | instskip(NEXT) | instid1(VALU_DEP_1)
	v_dual_sub_f32 v30, v24, v30 :: v_dual_sub_f32 v23, v23, v32
	v_dual_sub_f32 v23, v23, v24 :: v_dual_sub_f32 v24, v30, v29
	s_delay_alu instid0(VALU_DEP_1) | instskip(NEXT) | instid1(VALU_DEP_1)
	v_dual_add_f32 v20, v20, v23 :: v_dual_add_f32 v23, v31, v28
	v_add_f32_e32 v20, v24, v20
	s_delay_alu instid0(VALU_DEP_2) | instskip(NEXT) | instid1(VALU_DEP_2)
	v_sub_f32_e32 v24, v23, v31
	v_add_f32_e32 v20, v32, v20
	s_delay_alu instid0(VALU_DEP_2) | instskip(NEXT) | instid1(VALU_DEP_2)
	v_sub_f32_e32 v24, v28, v24
	v_mul_f32_e32 v20, v22, v20
	s_delay_alu instid0(VALU_DEP_1) | instskip(NEXT) | instid1(VALU_DEP_1)
	v_add_f32_e32 v20, v24, v20
	v_add_f32_e32 v22, v23, v20
	s_delay_alu instid0(VALU_DEP_1) | instskip(NEXT) | instid1(VALU_DEP_1)
	v_mul_f32_e32 v24, v22, v22
	v_fmaak_f32 v28, s30, v24, 0x3ecc95a3
	v_mul_f32_e32 v29, v22, v24
	v_cmp_eq_f32_e64 s30, 0x7f800000, v21
	s_delay_alu instid0(VALU_DEP_3) | instskip(SKIP_2) | instid1(VALU_DEP_4)
	v_fmaak_f32 v24, v24, v28, 0x3f2aaada
	v_ldexp_f32 v28, v22, 1
	v_sub_f32_e32 v22, v22, v23
	s_or_b32 s30, s30, s33
	s_delay_alu instid0(VALU_DEP_3) | instskip(NEXT) | instid1(VALU_DEP_2)
	v_dual_mul_f32 v24, v29, v24 :: v_dual_mul_f32 v29, 0x3f317218, v19
	v_sub_f32_e32 v20, v20, v22
	s_delay_alu instid0(VALU_DEP_2) | instskip(NEXT) | instid1(VALU_DEP_2)
	v_add_f32_e32 v23, v28, v24
	v_ldexp_f32 v20, v20, 1
	s_delay_alu instid0(VALU_DEP_2) | instskip(SKIP_1) | instid1(VALU_DEP_1)
	v_sub_f32_e32 v22, v23, v28
	v_fma_f32 v28, 0x3f317218, v19, -v29
	v_dual_sub_f32 v22, v24, v22 :: v_dual_fmamk_f32 v19, v19, 0xb102e308, v28
	s_delay_alu instid0(VALU_DEP_1) | instskip(NEXT) | instid1(VALU_DEP_2)
	v_add_f32_e32 v20, v20, v22
	v_add_f32_e32 v22, v29, v19
	s_delay_alu instid0(VALU_DEP_1) | instskip(NEXT) | instid1(VALU_DEP_1)
	v_dual_add_f32 v24, v23, v20 :: v_dual_sub_f32 v29, v22, v29
	v_dual_add_f32 v28, v22, v24 :: v_dual_sub_f32 v23, v24, v23
	s_delay_alu instid0(VALU_DEP_1) | instskip(NEXT) | instid1(VALU_DEP_2)
	v_dual_sub_f32 v19, v19, v29 :: v_dual_sub_f32 v30, v28, v22
	v_sub_f32_e32 v20, v20, v23
	s_delay_alu instid0(VALU_DEP_2) | instskip(NEXT) | instid1(VALU_DEP_2)
	v_sub_f32_e32 v31, v28, v30
	v_dual_sub_f32 v23, v24, v30 :: v_dual_add_f32 v24, v19, v20
	s_delay_alu instid0(VALU_DEP_2) | instskip(NEXT) | instid1(VALU_DEP_1)
	v_sub_f32_e32 v22, v22, v31
	v_dual_add_f32 v22, v23, v22 :: v_dual_sub_f32 v23, v24, v19
	s_delay_alu instid0(VALU_DEP_1) | instskip(NEXT) | instid1(VALU_DEP_2)
	v_add_f32_e32 v22, v24, v22
	v_sub_f32_e32 v24, v24, v23
	v_sub_f32_e32 v20, v20, v23
	s_delay_alu instid0(VALU_DEP_3) | instskip(NEXT) | instid1(VALU_DEP_3)
	v_add_f32_e32 v29, v28, v22
	v_sub_f32_e32 v19, v19, v24
	s_delay_alu instid0(VALU_DEP_2) | instskip(NEXT) | instid1(VALU_DEP_2)
	v_sub_f32_e32 v23, v29, v28
	v_add_f32_e32 v19, v20, v19
	s_delay_alu instid0(VALU_DEP_2) | instskip(NEXT) | instid1(VALU_DEP_1)
	v_sub_f32_e32 v20, v22, v23
	v_add_f32_e32 v19, v19, v20
	s_delay_alu instid0(VALU_DEP_1) | instskip(NEXT) | instid1(VALU_DEP_1)
	v_add_f32_e32 v19, v29, v19
	v_cndmask_b32_e64 v19, v19, v21, s30
	s_delay_alu instid0(VALU_DEP_1) | instskip(NEXT) | instid1(VALU_DEP_1)
	v_add_f32_e32 v11, v11, v19
	v_cvt_f16_f32_e32 v28, v11
	s_delay_alu instid0(VALU_DEP_1)
	v_mov_b32_e32 v29, v28
	v_cvt_f32_f16_e32 v30, v28
.LBB420_60:
	s_or_b32 exec_lo, exec_lo, s31
	v_cvt_f32_f16_e32 v11, v8
	s_delay_alu instid0(VALU_DEP_2) | instskip(SKIP_1) | instid1(VALU_DEP_2)
	v_max_f32_e32 v19, v30, v30
	v_cmp_u_f16_e64 s30, v28, v28
	v_min_f32_e32 v20, v19, v11
	v_max_f32_e32 v19, v19, v11
	s_delay_alu instid0(VALU_DEP_2) | instskip(NEXT) | instid1(VALU_DEP_2)
	v_cndmask_b32_e64 v20, v20, v30, s30
	v_cndmask_b32_e64 v19, v19, v30, s30
	v_cmp_u_f16_e64 s30, v8, v8
	s_delay_alu instid0(VALU_DEP_1) | instskip(NEXT) | instid1(VALU_DEP_3)
	v_cndmask_b32_e64 v20, v20, v11, s30
	v_cndmask_b32_e64 v19, v19, v11, s30
	s_delay_alu instid0(VALU_DEP_2) | instskip(NEXT) | instid1(VALU_DEP_2)
	v_cmp_class_f32_e64 s33, v20, 0x1f8
	v_cmp_neq_f32_e64 s31, v20, v19
	s_delay_alu instid0(VALU_DEP_1) | instskip(NEXT) | instid1(SALU_CYCLE_1)
	s_or_b32 s31, s31, s33
	s_and_saveexec_b32 s33, s31
	s_cbranch_execz .LBB420_62
; %bb.61:
	v_sub_f32_e32 v20, v20, v19
	s_delay_alu instid0(VALU_DEP_1) | instskip(NEXT) | instid1(VALU_DEP_1)
	v_mul_f32_e32 v21, 0x3fb8aa3b, v20
	v_fma_f32 v22, 0x3fb8aa3b, v20, -v21
	v_rndne_f32_e32 v23, v21
	s_delay_alu instid0(VALU_DEP_1) | instskip(NEXT) | instid1(VALU_DEP_1)
	v_dual_fmamk_f32 v22, v20, 0x32a5705f, v22 :: v_dual_sub_f32 v21, v21, v23
	v_add_f32_e32 v21, v21, v22
	v_cvt_i32_f32_e32 v22, v23
	v_cmp_ngt_f32_e64 s31, 0xc2ce8ed0, v20
	s_delay_alu instid0(VALU_DEP_3) | instskip(SKIP_2) | instid1(VALU_DEP_1)
	v_exp_f32_e32 v21, v21
	s_waitcnt_depctr 0xfff
	v_ldexp_f32 v21, v21, v22
	v_cndmask_b32_e64 v21, 0, v21, s31
	v_cmp_nlt_f32_e64 s31, 0x42b17218, v20
	s_delay_alu instid0(VALU_DEP_1) | instskip(NEXT) | instid1(VALU_DEP_1)
	v_cndmask_b32_e64 v22, 0x7f800000, v21, s31
	v_add_f32_e32 v23, 1.0, v22
	v_cmp_gt_f32_e64 s34, 0x33800000, |v22|
	s_delay_alu instid0(VALU_DEP_2) | instskip(NEXT) | instid1(VALU_DEP_1)
	v_cvt_f64_f32_e32 v[20:21], v23
	v_frexp_exp_i32_f64_e32 v20, v[20:21]
	v_frexp_mant_f32_e32 v21, v23
	s_delay_alu instid0(VALU_DEP_1) | instskip(SKIP_1) | instid1(VALU_DEP_1)
	v_cmp_gt_f32_e64 s31, 0x3f2aaaab, v21
	v_add_f32_e32 v21, -1.0, v23
	v_dual_sub_f32 v28, v21, v23 :: v_dual_sub_f32 v21, v22, v21
	s_delay_alu instid0(VALU_DEP_1) | instskip(NEXT) | instid1(VALU_DEP_4)
	v_add_f32_e32 v28, 1.0, v28
	v_subrev_co_ci_u32_e64 v20, s31, 0, v20, s31
	s_mov_b32 s31, 0x3e9b6dac
	s_delay_alu instid0(VALU_DEP_1) | instskip(SKIP_1) | instid1(VALU_DEP_2)
	v_sub_nc_u32_e32 v24, 0, v20
	v_cvt_f32_i32_e32 v20, v20
	v_ldexp_f32 v23, v23, v24
	v_add_f32_e32 v21, v21, v28
	s_delay_alu instid0(VALU_DEP_1) | instskip(NEXT) | instid1(VALU_DEP_3)
	v_ldexp_f32 v21, v21, v24
	v_add_f32_e32 v24, -1.0, v23
	s_delay_alu instid0(VALU_DEP_1) | instskip(NEXT) | instid1(VALU_DEP_1)
	v_dual_add_f32 v29, 1.0, v23 :: v_dual_add_f32 v30, 1.0, v24
	v_add_f32_e32 v28, -1.0, v29
	s_delay_alu instid0(VALU_DEP_1) | instskip(NEXT) | instid1(VALU_DEP_1)
	v_sub_f32_e32 v28, v23, v28
	v_dual_sub_f32 v23, v23, v30 :: v_dual_add_f32 v28, v21, v28
	s_delay_alu instid0(VALU_DEP_1) | instskip(NEXT) | instid1(VALU_DEP_1)
	v_add_f32_e32 v21, v21, v23
	v_dual_add_f32 v30, v29, v28 :: v_dual_add_f32 v31, v24, v21
	s_delay_alu instid0(VALU_DEP_1) | instskip(NEXT) | instid1(VALU_DEP_1)
	v_rcp_f32_e32 v23, v30
	v_dual_sub_f32 v29, v29, v30 :: v_dual_sub_f32 v24, v24, v31
	s_delay_alu instid0(VALU_DEP_1) | instskip(SKIP_2) | instid1(VALU_DEP_1)
	v_dual_add_f32 v28, v28, v29 :: v_dual_add_f32 v21, v21, v24
	s_waitcnt_depctr 0xfff
	v_mul_f32_e32 v32, v31, v23
	v_mul_f32_e32 v33, v30, v32
	s_delay_alu instid0(VALU_DEP_1) | instskip(NEXT) | instid1(VALU_DEP_1)
	v_fma_f32 v29, v32, v30, -v33
	v_fmac_f32_e32 v29, v32, v28
	s_delay_alu instid0(VALU_DEP_1) | instskip(NEXT) | instid1(VALU_DEP_1)
	v_add_f32_e32 v34, v33, v29
	v_sub_f32_e32 v35, v31, v34
	s_delay_alu instid0(VALU_DEP_1) | instskip(NEXT) | instid1(VALU_DEP_1)
	v_dual_sub_f32 v31, v31, v35 :: v_dual_sub_f32 v24, v34, v33
	v_dual_sub_f32 v31, v31, v34 :: v_dual_sub_f32 v24, v24, v29
	s_delay_alu instid0(VALU_DEP_1) | instskip(NEXT) | instid1(VALU_DEP_1)
	v_add_f32_e32 v21, v21, v31
	v_add_f32_e32 v21, v24, v21
	s_delay_alu instid0(VALU_DEP_1) | instskip(NEXT) | instid1(VALU_DEP_1)
	v_add_f32_e32 v24, v35, v21
	v_mul_f32_e32 v29, v23, v24
	s_delay_alu instid0(VALU_DEP_1) | instskip(NEXT) | instid1(VALU_DEP_1)
	v_dual_sub_f32 v34, v35, v24 :: v_dual_mul_f32 v31, v30, v29
	v_fma_f32 v30, v29, v30, -v31
	s_delay_alu instid0(VALU_DEP_1) | instskip(NEXT) | instid1(VALU_DEP_1)
	v_fmac_f32_e32 v30, v29, v28
	v_add_f32_e32 v28, v31, v30
	s_delay_alu instid0(VALU_DEP_1) | instskip(NEXT) | instid1(VALU_DEP_1)
	v_sub_f32_e32 v33, v24, v28
	v_sub_f32_e32 v24, v24, v33
	s_delay_alu instid0(VALU_DEP_1) | instskip(SKIP_1) | instid1(VALU_DEP_1)
	v_sub_f32_e32 v24, v24, v28
	v_sub_f32_e32 v31, v28, v31
	;; [unrolled: 1-line block ×3, first 2 shown]
	v_add_f32_e32 v21, v21, v34
	s_delay_alu instid0(VALU_DEP_1) | instskip(NEXT) | instid1(VALU_DEP_1)
	v_dual_add_f32 v21, v21, v24 :: v_dual_add_f32 v24, v32, v29
	v_add_f32_e32 v21, v28, v21
	s_delay_alu instid0(VALU_DEP_1) | instskip(NEXT) | instid1(VALU_DEP_1)
	v_dual_sub_f32 v28, v24, v32 :: v_dual_add_f32 v21, v33, v21
	v_dual_sub_f32 v28, v29, v28 :: v_dual_mul_f32 v21, v23, v21
	s_delay_alu instid0(VALU_DEP_1) | instskip(NEXT) | instid1(VALU_DEP_1)
	v_add_f32_e32 v21, v28, v21
	v_add_f32_e32 v23, v24, v21
	s_delay_alu instid0(VALU_DEP_1) | instskip(NEXT) | instid1(VALU_DEP_1)
	v_mul_f32_e32 v28, v23, v23
	v_fmaak_f32 v29, s31, v28, 0x3ecc95a3
	v_mul_f32_e32 v30, v23, v28
	v_cmp_eq_f32_e64 s31, 0x7f800000, v22
	s_delay_alu instid0(VALU_DEP_3) | instskip(NEXT) | instid1(VALU_DEP_2)
	v_fmaak_f32 v28, v28, v29, 0x3f2aaada
	s_or_b32 s31, s31, s34
	s_delay_alu instid0(VALU_DEP_1) | instskip(SKIP_3) | instid1(VALU_DEP_2)
	v_mul_f32_e32 v28, v30, v28
	v_mul_f32_e32 v30, 0x3f317218, v20
	v_ldexp_f32 v29, v23, 1
	v_sub_f32_e32 v23, v23, v24
	v_add_f32_e32 v24, v29, v28
	s_delay_alu instid0(VALU_DEP_2) | instskip(NEXT) | instid1(VALU_DEP_2)
	v_sub_f32_e32 v21, v21, v23
	v_sub_f32_e32 v23, v24, v29
	v_fma_f32 v29, 0x3f317218, v20, -v30
	s_delay_alu instid0(VALU_DEP_2) | instskip(NEXT) | instid1(VALU_DEP_2)
	v_sub_f32_e32 v23, v28, v23
	v_fmamk_f32 v20, v20, 0xb102e308, v29
	v_ldexp_f32 v21, v21, 1
	s_delay_alu instid0(VALU_DEP_1) | instskip(NEXT) | instid1(VALU_DEP_3)
	v_add_f32_e32 v21, v21, v23
	v_add_f32_e32 v23, v30, v20
	s_delay_alu instid0(VALU_DEP_1) | instskip(NEXT) | instid1(VALU_DEP_3)
	v_sub_f32_e32 v30, v23, v30
	v_add_f32_e32 v28, v24, v21
	s_delay_alu instid0(VALU_DEP_1) | instskip(NEXT) | instid1(VALU_DEP_1)
	v_dual_sub_f32 v20, v20, v30 :: v_dual_add_f32 v29, v23, v28
	v_dual_sub_f32 v24, v28, v24 :: v_dual_sub_f32 v31, v29, v23
	s_delay_alu instid0(VALU_DEP_1) | instskip(SKIP_1) | instid1(VALU_DEP_1)
	v_dual_sub_f32 v21, v21, v24 :: v_dual_sub_f32 v24, v28, v31
	v_sub_f32_e32 v32, v29, v31
	v_dual_add_f32 v28, v20, v21 :: v_dual_sub_f32 v23, v23, v32
	s_delay_alu instid0(VALU_DEP_1) | instskip(NEXT) | instid1(VALU_DEP_2)
	v_add_f32_e32 v23, v24, v23
	v_sub_f32_e32 v24, v28, v20
	s_delay_alu instid0(VALU_DEP_2) | instskip(NEXT) | instid1(VALU_DEP_2)
	v_add_f32_e32 v23, v28, v23
	v_sub_f32_e32 v28, v28, v24
	v_sub_f32_e32 v21, v21, v24
	s_delay_alu instid0(VALU_DEP_3) | instskip(NEXT) | instid1(VALU_DEP_3)
	v_add_f32_e32 v30, v29, v23
	v_sub_f32_e32 v20, v20, v28
	s_delay_alu instid0(VALU_DEP_2) | instskip(NEXT) | instid1(VALU_DEP_2)
	v_sub_f32_e32 v24, v30, v29
	v_add_f32_e32 v20, v21, v20
	s_delay_alu instid0(VALU_DEP_2) | instskip(NEXT) | instid1(VALU_DEP_1)
	v_sub_f32_e32 v21, v23, v24
	v_add_f32_e32 v20, v20, v21
	s_delay_alu instid0(VALU_DEP_1) | instskip(NEXT) | instid1(VALU_DEP_1)
	v_add_f32_e32 v20, v30, v20
	v_cndmask_b32_e64 v20, v20, v22, s31
	s_delay_alu instid0(VALU_DEP_1) | instskip(NEXT) | instid1(VALU_DEP_1)
	v_add_f32_e32 v19, v19, v20
	v_cvt_f16_f32_e32 v28, v19
	s_delay_alu instid0(VALU_DEP_1)
	v_cvt_f32_f16_e32 v30, v28
	v_mov_b32_e32 v29, v28
.LBB420_62:
	s_or_b32 exec_lo, exec_lo, s33
	v_lshrrev_b32_e32 v8, 16, v8
	s_delay_alu instid0(VALU_DEP_3) | instskip(SKIP_1) | instid1(VALU_DEP_3)
	v_max_f32_e32 v20, v30, v30
	v_cmp_u_f16_e64 s31, v28, v28
	v_cvt_f32_f16_e32 v19, v8
	s_delay_alu instid0(VALU_DEP_1) | instskip(SKIP_1) | instid1(VALU_DEP_2)
	v_min_f32_e32 v21, v20, v19
	v_max_f32_e32 v20, v20, v19
	v_cndmask_b32_e64 v21, v21, v30, s31
	s_delay_alu instid0(VALU_DEP_2) | instskip(SKIP_1) | instid1(VALU_DEP_1)
	v_cndmask_b32_e64 v22, v20, v30, s31
	v_cmp_u_f16_e64 s31, v8, v8
	v_cndmask_b32_e64 v20, v21, v19, s31
	s_delay_alu instid0(VALU_DEP_3) | instskip(NEXT) | instid1(VALU_DEP_2)
	v_cndmask_b32_e64 v8, v22, v19, s31
	v_cmp_class_f32_e64 s34, v20, 0x1f8
	s_delay_alu instid0(VALU_DEP_2) | instskip(NEXT) | instid1(VALU_DEP_1)
	v_cmp_neq_f32_e64 s33, v20, v8
	s_or_b32 s33, s33, s34
	s_delay_alu instid0(SALU_CYCLE_1)
	s_and_saveexec_b32 s34, s33
	s_cbranch_execz .LBB420_64
; %bb.63:
	v_sub_f32_e32 v20, v20, v8
	s_delay_alu instid0(VALU_DEP_1) | instskip(NEXT) | instid1(VALU_DEP_1)
	v_mul_f32_e32 v21, 0x3fb8aa3b, v20
	v_fma_f32 v22, 0x3fb8aa3b, v20, -v21
	v_rndne_f32_e32 v23, v21
	s_delay_alu instid0(VALU_DEP_1) | instskip(SKIP_1) | instid1(VALU_DEP_2)
	v_dual_sub_f32 v21, v21, v23 :: v_dual_fmamk_f32 v22, v20, 0x32a5705f, v22
	v_cmp_ngt_f32_e64 s33, 0xc2ce8ed0, v20
	v_add_f32_e32 v21, v21, v22
	v_cvt_i32_f32_e32 v22, v23
	s_delay_alu instid0(VALU_DEP_2) | instskip(SKIP_2) | instid1(VALU_DEP_1)
	v_exp_f32_e32 v21, v21
	s_waitcnt_depctr 0xfff
	v_ldexp_f32 v21, v21, v22
	v_cndmask_b32_e64 v21, 0, v21, s33
	v_cmp_nlt_f32_e64 s33, 0x42b17218, v20
	s_delay_alu instid0(VALU_DEP_1) | instskip(NEXT) | instid1(VALU_DEP_1)
	v_cndmask_b32_e64 v22, 0x7f800000, v21, s33
	v_add_f32_e32 v23, 1.0, v22
	v_cmp_gt_f32_e64 s35, 0x33800000, |v22|
	s_delay_alu instid0(VALU_DEP_2) | instskip(NEXT) | instid1(VALU_DEP_1)
	v_cvt_f64_f32_e32 v[20:21], v23
	v_frexp_exp_i32_f64_e32 v20, v[20:21]
	v_frexp_mant_f32_e32 v21, v23
	s_delay_alu instid0(VALU_DEP_1) | instskip(SKIP_1) | instid1(VALU_DEP_1)
	v_cmp_gt_f32_e64 s33, 0x3f2aaaab, v21
	v_add_f32_e32 v21, -1.0, v23
	v_dual_sub_f32 v28, v21, v23 :: v_dual_sub_f32 v21, v22, v21
	s_delay_alu instid0(VALU_DEP_1) | instskip(NEXT) | instid1(VALU_DEP_4)
	v_add_f32_e32 v28, 1.0, v28
	v_subrev_co_ci_u32_e64 v20, s33, 0, v20, s33
	s_mov_b32 s33, 0x3e9b6dac
	s_delay_alu instid0(VALU_DEP_1) | instskip(SKIP_1) | instid1(VALU_DEP_2)
	v_sub_nc_u32_e32 v24, 0, v20
	v_cvt_f32_i32_e32 v20, v20
	v_ldexp_f32 v23, v23, v24
	v_add_f32_e32 v21, v21, v28
	s_delay_alu instid0(VALU_DEP_2) | instskip(NEXT) | instid1(VALU_DEP_2)
	v_add_f32_e32 v29, 1.0, v23
	v_ldexp_f32 v21, v21, v24
	v_add_f32_e32 v24, -1.0, v23
	s_delay_alu instid0(VALU_DEP_3) | instskip(NEXT) | instid1(VALU_DEP_2)
	v_add_f32_e32 v28, -1.0, v29
	v_add_f32_e32 v30, 1.0, v24
	s_delay_alu instid0(VALU_DEP_2) | instskip(NEXT) | instid1(VALU_DEP_1)
	v_sub_f32_e32 v28, v23, v28
	v_dual_sub_f32 v23, v23, v30 :: v_dual_add_f32 v28, v21, v28
	s_delay_alu instid0(VALU_DEP_1) | instskip(NEXT) | instid1(VALU_DEP_1)
	v_add_f32_e32 v21, v21, v23
	v_dual_add_f32 v30, v29, v28 :: v_dual_add_f32 v31, v24, v21
	s_delay_alu instid0(VALU_DEP_1) | instskip(NEXT) | instid1(VALU_DEP_1)
	v_rcp_f32_e32 v23, v30
	v_dual_sub_f32 v29, v29, v30 :: v_dual_sub_f32 v24, v24, v31
	s_delay_alu instid0(VALU_DEP_1) | instskip(SKIP_2) | instid1(VALU_DEP_1)
	v_dual_add_f32 v28, v28, v29 :: v_dual_add_f32 v21, v21, v24
	s_waitcnt_depctr 0xfff
	v_mul_f32_e32 v32, v31, v23
	v_mul_f32_e32 v33, v30, v32
	s_delay_alu instid0(VALU_DEP_1) | instskip(NEXT) | instid1(VALU_DEP_1)
	v_fma_f32 v29, v32, v30, -v33
	v_fmac_f32_e32 v29, v32, v28
	s_delay_alu instid0(VALU_DEP_1) | instskip(NEXT) | instid1(VALU_DEP_1)
	v_add_f32_e32 v34, v33, v29
	v_sub_f32_e32 v35, v31, v34
	s_delay_alu instid0(VALU_DEP_1) | instskip(NEXT) | instid1(VALU_DEP_1)
	v_dual_sub_f32 v31, v31, v35 :: v_dual_sub_f32 v24, v34, v33
	v_dual_sub_f32 v31, v31, v34 :: v_dual_sub_f32 v24, v24, v29
	s_delay_alu instid0(VALU_DEP_1) | instskip(NEXT) | instid1(VALU_DEP_1)
	v_add_f32_e32 v21, v21, v31
	v_add_f32_e32 v21, v24, v21
	s_delay_alu instid0(VALU_DEP_1) | instskip(NEXT) | instid1(VALU_DEP_1)
	v_add_f32_e32 v24, v35, v21
	v_mul_f32_e32 v29, v23, v24
	s_delay_alu instid0(VALU_DEP_1) | instskip(NEXT) | instid1(VALU_DEP_1)
	v_dual_sub_f32 v34, v35, v24 :: v_dual_mul_f32 v31, v30, v29
	v_fma_f32 v30, v29, v30, -v31
	s_delay_alu instid0(VALU_DEP_1) | instskip(NEXT) | instid1(VALU_DEP_1)
	v_fmac_f32_e32 v30, v29, v28
	v_add_f32_e32 v28, v31, v30
	s_delay_alu instid0(VALU_DEP_1) | instskip(NEXT) | instid1(VALU_DEP_1)
	v_sub_f32_e32 v33, v24, v28
	v_sub_f32_e32 v24, v24, v33
	s_delay_alu instid0(VALU_DEP_1) | instskip(SKIP_1) | instid1(VALU_DEP_1)
	v_sub_f32_e32 v24, v24, v28
	v_sub_f32_e32 v31, v28, v31
	;; [unrolled: 1-line block ×3, first 2 shown]
	v_add_f32_e32 v21, v21, v34
	s_delay_alu instid0(VALU_DEP_1) | instskip(NEXT) | instid1(VALU_DEP_1)
	v_dual_add_f32 v21, v21, v24 :: v_dual_add_f32 v24, v32, v29
	v_add_f32_e32 v21, v28, v21
	s_delay_alu instid0(VALU_DEP_1) | instskip(NEXT) | instid1(VALU_DEP_1)
	v_dual_sub_f32 v28, v24, v32 :: v_dual_add_f32 v21, v33, v21
	v_dual_sub_f32 v28, v29, v28 :: v_dual_mul_f32 v21, v23, v21
	s_delay_alu instid0(VALU_DEP_1) | instskip(NEXT) | instid1(VALU_DEP_1)
	v_add_f32_e32 v21, v28, v21
	v_add_f32_e32 v23, v24, v21
	s_delay_alu instid0(VALU_DEP_1) | instskip(NEXT) | instid1(VALU_DEP_1)
	v_mul_f32_e32 v28, v23, v23
	v_fmaak_f32 v29, s33, v28, 0x3ecc95a3
	v_mul_f32_e32 v30, v23, v28
	v_cmp_eq_f32_e64 s33, 0x7f800000, v22
	s_delay_alu instid0(VALU_DEP_3) | instskip(NEXT) | instid1(VALU_DEP_2)
	v_fmaak_f32 v28, v28, v29, 0x3f2aaada
	s_or_b32 s33, s33, s35
	s_delay_alu instid0(VALU_DEP_1) | instskip(SKIP_3) | instid1(VALU_DEP_2)
	v_mul_f32_e32 v28, v30, v28
	v_mul_f32_e32 v30, 0x3f317218, v20
	v_ldexp_f32 v29, v23, 1
	v_sub_f32_e32 v23, v23, v24
	v_add_f32_e32 v24, v29, v28
	s_delay_alu instid0(VALU_DEP_2) | instskip(NEXT) | instid1(VALU_DEP_2)
	v_sub_f32_e32 v21, v21, v23
	v_sub_f32_e32 v23, v24, v29
	v_fma_f32 v29, 0x3f317218, v20, -v30
	s_delay_alu instid0(VALU_DEP_2) | instskip(NEXT) | instid1(VALU_DEP_2)
	v_sub_f32_e32 v23, v28, v23
	v_fmamk_f32 v20, v20, 0xb102e308, v29
	v_ldexp_f32 v21, v21, 1
	s_delay_alu instid0(VALU_DEP_1) | instskip(NEXT) | instid1(VALU_DEP_3)
	v_add_f32_e32 v21, v21, v23
	v_add_f32_e32 v23, v30, v20
	s_delay_alu instid0(VALU_DEP_1) | instskip(NEXT) | instid1(VALU_DEP_3)
	v_sub_f32_e32 v30, v23, v30
	v_add_f32_e32 v28, v24, v21
	s_delay_alu instid0(VALU_DEP_1) | instskip(NEXT) | instid1(VALU_DEP_1)
	v_dual_sub_f32 v20, v20, v30 :: v_dual_add_f32 v29, v23, v28
	v_dual_sub_f32 v24, v28, v24 :: v_dual_sub_f32 v31, v29, v23
	s_delay_alu instid0(VALU_DEP_1) | instskip(SKIP_1) | instid1(VALU_DEP_1)
	v_dual_sub_f32 v21, v21, v24 :: v_dual_sub_f32 v24, v28, v31
	v_sub_f32_e32 v32, v29, v31
	v_dual_add_f32 v28, v20, v21 :: v_dual_sub_f32 v23, v23, v32
	s_delay_alu instid0(VALU_DEP_1) | instskip(NEXT) | instid1(VALU_DEP_2)
	v_add_f32_e32 v23, v24, v23
	v_sub_f32_e32 v24, v28, v20
	s_delay_alu instid0(VALU_DEP_2) | instskip(NEXT) | instid1(VALU_DEP_2)
	v_add_f32_e32 v23, v28, v23
	v_sub_f32_e32 v28, v28, v24
	v_sub_f32_e32 v21, v21, v24
	s_delay_alu instid0(VALU_DEP_3) | instskip(NEXT) | instid1(VALU_DEP_3)
	v_add_f32_e32 v30, v29, v23
	v_sub_f32_e32 v20, v20, v28
	s_delay_alu instid0(VALU_DEP_2) | instskip(NEXT) | instid1(VALU_DEP_2)
	v_sub_f32_e32 v24, v30, v29
	v_add_f32_e32 v20, v21, v20
	s_delay_alu instid0(VALU_DEP_2) | instskip(NEXT) | instid1(VALU_DEP_1)
	v_sub_f32_e32 v21, v23, v24
	v_add_f32_e32 v20, v20, v21
	s_delay_alu instid0(VALU_DEP_1) | instskip(NEXT) | instid1(VALU_DEP_1)
	v_add_f32_e32 v20, v30, v20
	v_cndmask_b32_e64 v20, v20, v22, s33
	s_delay_alu instid0(VALU_DEP_1) | instskip(NEXT) | instid1(VALU_DEP_1)
	v_add_f32_e32 v8, v8, v20
	v_cvt_f16_f32_e32 v28, v8
	s_delay_alu instid0(VALU_DEP_1)
	v_cvt_f32_f16_e32 v30, v28
	v_mov_b32_e32 v29, v28
.LBB420_64:
	s_or_b32 exec_lo, exec_lo, s34
	v_cvt_f32_f16_e32 v8, v9
	s_delay_alu instid0(VALU_DEP_3) | instskip(SKIP_1) | instid1(VALU_DEP_2)
	v_max_f32_e32 v20, v30, v30
	v_cmp_u_f16_e64 s33, v28, v28
	v_min_f32_e32 v21, v20, v8
	v_max_f32_e32 v20, v20, v8
	s_delay_alu instid0(VALU_DEP_2) | instskip(NEXT) | instid1(VALU_DEP_2)
	v_cndmask_b32_e64 v21, v21, v30, s33
	v_cndmask_b32_e64 v20, v20, v30, s33
	v_cmp_u_f16_e64 s33, v9, v9
	s_delay_alu instid0(VALU_DEP_1) | instskip(NEXT) | instid1(VALU_DEP_3)
	v_cndmask_b32_e64 v21, v21, v8, s33
	v_cndmask_b32_e64 v20, v20, v8, s33
	s_delay_alu instid0(VALU_DEP_2) | instskip(NEXT) | instid1(VALU_DEP_2)
	v_cmp_class_f32_e64 s35, v21, 0x1f8
	v_cmp_neq_f32_e64 s34, v21, v20
	s_delay_alu instid0(VALU_DEP_1) | instskip(NEXT) | instid1(SALU_CYCLE_1)
	s_or_b32 s34, s34, s35
	s_and_saveexec_b32 s35, s34
	s_cbranch_execz .LBB420_66
; %bb.65:
	v_sub_f32_e32 v21, v21, v20
	s_delay_alu instid0(VALU_DEP_1) | instskip(NEXT) | instid1(VALU_DEP_1)
	v_mul_f32_e32 v22, 0x3fb8aa3b, v21
	v_fma_f32 v23, 0x3fb8aa3b, v21, -v22
	v_rndne_f32_e32 v24, v22
	s_delay_alu instid0(VALU_DEP_1) | instskip(NEXT) | instid1(VALU_DEP_1)
	v_dual_fmamk_f32 v23, v21, 0x32a5705f, v23 :: v_dual_sub_f32 v22, v22, v24
	v_add_f32_e32 v22, v22, v23
	v_cvt_i32_f32_e32 v23, v24
	v_cmp_ngt_f32_e64 s34, 0xc2ce8ed0, v21
	s_delay_alu instid0(VALU_DEP_3) | instskip(SKIP_2) | instid1(VALU_DEP_1)
	v_exp_f32_e32 v22, v22
	s_waitcnt_depctr 0xfff
	v_ldexp_f32 v22, v22, v23
	v_cndmask_b32_e64 v22, 0, v22, s34
	v_cmp_nlt_f32_e64 s34, 0x42b17218, v21
	s_delay_alu instid0(VALU_DEP_1) | instskip(NEXT) | instid1(VALU_DEP_1)
	v_cndmask_b32_e64 v23, 0x7f800000, v22, s34
	v_add_f32_e32 v24, 1.0, v23
	v_cmp_gt_f32_e64 s36, 0x33800000, |v23|
	s_delay_alu instid0(VALU_DEP_2) | instskip(NEXT) | instid1(VALU_DEP_1)
	v_cvt_f64_f32_e32 v[21:22], v24
	v_frexp_exp_i32_f64_e32 v21, v[21:22]
	v_frexp_mant_f32_e32 v22, v24
	s_delay_alu instid0(VALU_DEP_1) | instskip(SKIP_1) | instid1(VALU_DEP_1)
	v_cmp_gt_f32_e64 s34, 0x3f2aaaab, v22
	v_add_f32_e32 v22, -1.0, v24
	v_dual_sub_f32 v29, v22, v24 :: v_dual_sub_f32 v22, v23, v22
	s_delay_alu instid0(VALU_DEP_1) | instskip(NEXT) | instid1(VALU_DEP_1)
	v_add_f32_e32 v29, 1.0, v29
	v_add_f32_e32 v22, v22, v29
	v_subrev_co_ci_u32_e64 v21, s34, 0, v21, s34
	s_mov_b32 s34, 0x3e9b6dac
	s_delay_alu instid0(VALU_DEP_1) | instskip(SKIP_1) | instid1(VALU_DEP_2)
	v_sub_nc_u32_e32 v28, 0, v21
	v_cvt_f32_i32_e32 v21, v21
	v_ldexp_f32 v24, v24, v28
	v_ldexp_f32 v22, v22, v28
	s_delay_alu instid0(VALU_DEP_2) | instskip(NEXT) | instid1(VALU_DEP_1)
	v_add_f32_e32 v30, 1.0, v24
	v_add_f32_e32 v29, -1.0, v30
	s_delay_alu instid0(VALU_DEP_1) | instskip(NEXT) | instid1(VALU_DEP_1)
	v_sub_f32_e32 v29, v24, v29
	v_dual_add_f32 v29, v22, v29 :: v_dual_add_f32 v28, -1.0, v24
	s_delay_alu instid0(VALU_DEP_1) | instskip(NEXT) | instid1(VALU_DEP_1)
	v_add_f32_e32 v31, 1.0, v28
	v_dual_sub_f32 v24, v24, v31 :: v_dual_add_f32 v31, v30, v29
	s_delay_alu instid0(VALU_DEP_1) | instskip(NEXT) | instid1(VALU_DEP_1)
	v_sub_f32_e32 v30, v30, v31
	v_dual_add_f32 v29, v29, v30 :: v_dual_add_f32 v22, v22, v24
	v_rcp_f32_e32 v24, v31
	s_delay_alu instid0(VALU_DEP_1) | instskip(NEXT) | instid1(VALU_DEP_1)
	v_add_f32_e32 v32, v28, v22
	v_sub_f32_e32 v28, v28, v32
	s_waitcnt_depctr 0xfff
	v_mul_f32_e32 v33, v32, v24
	v_add_f32_e32 v22, v22, v28
	s_delay_alu instid0(VALU_DEP_2) | instskip(NEXT) | instid1(VALU_DEP_1)
	v_mul_f32_e32 v34, v31, v33
	v_fma_f32 v30, v33, v31, -v34
	s_delay_alu instid0(VALU_DEP_1) | instskip(NEXT) | instid1(VALU_DEP_1)
	v_fmac_f32_e32 v30, v33, v29
	v_add_f32_e32 v35, v34, v30
	s_delay_alu instid0(VALU_DEP_1) | instskip(SKIP_1) | instid1(VALU_DEP_2)
	v_sub_f32_e32 v36, v32, v35
	v_sub_f32_e32 v28, v35, v34
	;; [unrolled: 1-line block ×3, first 2 shown]
	s_delay_alu instid0(VALU_DEP_2) | instskip(NEXT) | instid1(VALU_DEP_2)
	v_sub_f32_e32 v28, v28, v30
	v_sub_f32_e32 v32, v32, v35
	s_delay_alu instid0(VALU_DEP_1) | instskip(NEXT) | instid1(VALU_DEP_1)
	v_add_f32_e32 v22, v22, v32
	v_add_f32_e32 v22, v28, v22
	s_delay_alu instid0(VALU_DEP_1) | instskip(NEXT) | instid1(VALU_DEP_1)
	v_add_f32_e32 v28, v36, v22
	v_mul_f32_e32 v30, v24, v28
	s_delay_alu instid0(VALU_DEP_1) | instskip(NEXT) | instid1(VALU_DEP_1)
	v_dual_sub_f32 v35, v36, v28 :: v_dual_mul_f32 v32, v31, v30
	v_add_f32_e32 v22, v22, v35
	s_delay_alu instid0(VALU_DEP_2) | instskip(NEXT) | instid1(VALU_DEP_1)
	v_fma_f32 v31, v30, v31, -v32
	v_fmac_f32_e32 v31, v30, v29
	s_delay_alu instid0(VALU_DEP_1) | instskip(NEXT) | instid1(VALU_DEP_1)
	v_add_f32_e32 v29, v32, v31
	v_sub_f32_e32 v34, v28, v29
	v_sub_f32_e32 v32, v29, v32
	s_delay_alu instid0(VALU_DEP_2) | instskip(NEXT) | instid1(VALU_DEP_1)
	v_sub_f32_e32 v28, v28, v34
	v_sub_f32_e32 v28, v28, v29
	s_delay_alu instid0(VALU_DEP_1) | instskip(SKIP_1) | instid1(VALU_DEP_1)
	v_dual_sub_f32 v29, v32, v31 :: v_dual_add_f32 v22, v22, v28
	v_add_f32_e32 v28, v33, v30
	v_dual_add_f32 v22, v29, v22 :: v_dual_sub_f32 v29, v28, v33
	s_delay_alu instid0(VALU_DEP_1) | instskip(NEXT) | instid1(VALU_DEP_1)
	v_add_f32_e32 v22, v34, v22
	v_dual_sub_f32 v29, v30, v29 :: v_dual_mul_f32 v22, v24, v22
	s_delay_alu instid0(VALU_DEP_1) | instskip(NEXT) | instid1(VALU_DEP_1)
	v_add_f32_e32 v22, v29, v22
	v_add_f32_e32 v24, v28, v22
	s_delay_alu instid0(VALU_DEP_1) | instskip(NEXT) | instid1(VALU_DEP_1)
	v_mul_f32_e32 v29, v24, v24
	v_fmaak_f32 v30, s34, v29, 0x3ecc95a3
	v_mul_f32_e32 v31, v24, v29
	v_cmp_eq_f32_e64 s34, 0x7f800000, v23
	s_delay_alu instid0(VALU_DEP_3) | instskip(SKIP_2) | instid1(VALU_DEP_4)
	v_fmaak_f32 v29, v29, v30, 0x3f2aaada
	v_ldexp_f32 v30, v24, 1
	v_sub_f32_e32 v24, v24, v28
	s_or_b32 s34, s34, s36
	s_delay_alu instid0(VALU_DEP_3) | instskip(NEXT) | instid1(VALU_DEP_2)
	v_mul_f32_e32 v29, v31, v29
	v_dual_mul_f32 v31, 0x3f317218, v21 :: v_dual_sub_f32 v22, v22, v24
	s_delay_alu instid0(VALU_DEP_2) | instskip(NEXT) | instid1(VALU_DEP_2)
	v_add_f32_e32 v28, v30, v29
	v_ldexp_f32 v22, v22, 1
	s_delay_alu instid0(VALU_DEP_2) | instskip(NEXT) | instid1(VALU_DEP_4)
	v_sub_f32_e32 v24, v28, v30
	v_fma_f32 v30, 0x3f317218, v21, -v31
	s_delay_alu instid0(VALU_DEP_2) | instskip(NEXT) | instid1(VALU_DEP_1)
	v_sub_f32_e32 v24, v29, v24
	v_dual_fmamk_f32 v21, v21, 0xb102e308, v30 :: v_dual_add_f32 v22, v22, v24
	s_delay_alu instid0(VALU_DEP_1) | instskip(NEXT) | instid1(VALU_DEP_1)
	v_dual_add_f32 v24, v31, v21 :: v_dual_add_f32 v29, v28, v22
	v_sub_f32_e32 v31, v24, v31
	s_delay_alu instid0(VALU_DEP_2) | instskip(SKIP_1) | instid1(VALU_DEP_2)
	v_add_f32_e32 v30, v24, v29
	v_sub_f32_e32 v28, v29, v28
	v_dual_sub_f32 v21, v21, v31 :: v_dual_sub_f32 v32, v30, v24
	s_delay_alu instid0(VALU_DEP_2) | instskip(NEXT) | instid1(VALU_DEP_2)
	v_sub_f32_e32 v22, v22, v28
	v_sub_f32_e32 v33, v30, v32
	v_sub_f32_e32 v28, v29, v32
	s_delay_alu instid0(VALU_DEP_2) | instskip(NEXT) | instid1(VALU_DEP_1)
	v_dual_add_f32 v29, v21, v22 :: v_dual_sub_f32 v24, v24, v33
	v_add_f32_e32 v24, v28, v24
	s_delay_alu instid0(VALU_DEP_2) | instskip(NEXT) | instid1(VALU_DEP_2)
	v_sub_f32_e32 v28, v29, v21
	v_add_f32_e32 v24, v29, v24
	s_delay_alu instid0(VALU_DEP_2) | instskip(SKIP_1) | instid1(VALU_DEP_3)
	v_sub_f32_e32 v29, v29, v28
	v_sub_f32_e32 v22, v22, v28
	v_add_f32_e32 v31, v30, v24
	s_delay_alu instid0(VALU_DEP_1) | instskip(NEXT) | instid1(VALU_DEP_1)
	v_dual_sub_f32 v21, v21, v29 :: v_dual_sub_f32 v28, v31, v30
	v_dual_add_f32 v21, v22, v21 :: v_dual_sub_f32 v22, v24, v28
	s_delay_alu instid0(VALU_DEP_1) | instskip(NEXT) | instid1(VALU_DEP_1)
	v_add_f32_e32 v21, v21, v22
	v_add_f32_e32 v21, v31, v21
	s_delay_alu instid0(VALU_DEP_1) | instskip(NEXT) | instid1(VALU_DEP_1)
	v_cndmask_b32_e64 v21, v21, v23, s34
	v_add_f32_e32 v20, v20, v21
	s_delay_alu instid0(VALU_DEP_1) | instskip(NEXT) | instid1(VALU_DEP_1)
	v_cvt_f16_f32_e32 v28, v20
	v_mov_b32_e32 v29, v28
	v_cvt_f32_f16_e32 v30, v28
.LBB420_66:
	s_or_b32 exec_lo, exec_lo, s35
	v_lshrrev_b32_e32 v9, 16, v9
	s_delay_alu instid0(VALU_DEP_2) | instskip(SKIP_1) | instid1(VALU_DEP_3)
	v_max_f32_e32 v21, v30, v30
	v_cmp_u_f16_e64 s34, v28, v28
	v_cvt_f32_f16_e32 v20, v9
	s_delay_alu instid0(VALU_DEP_1) | instskip(SKIP_1) | instid1(VALU_DEP_2)
	v_min_f32_e32 v22, v21, v20
	v_max_f32_e32 v21, v21, v20
	v_cndmask_b32_e64 v22, v22, v30, s34
	s_delay_alu instid0(VALU_DEP_2) | instskip(SKIP_1) | instid1(VALU_DEP_1)
	v_cndmask_b32_e64 v23, v21, v30, s34
	v_cmp_u_f16_e64 s34, v9, v9
	v_cndmask_b32_e64 v21, v22, v20, s34
	s_delay_alu instid0(VALU_DEP_3) | instskip(NEXT) | instid1(VALU_DEP_2)
	v_cndmask_b32_e64 v9, v23, v20, s34
	v_cmp_class_f32_e64 s36, v21, 0x1f8
	s_delay_alu instid0(VALU_DEP_2) | instskip(NEXT) | instid1(VALU_DEP_1)
	v_cmp_neq_f32_e64 s35, v21, v9
	s_or_b32 s35, s35, s36
	s_delay_alu instid0(SALU_CYCLE_1)
	s_and_saveexec_b32 s36, s35
	s_cbranch_execz .LBB420_68
; %bb.67:
	v_sub_f32_e32 v21, v21, v9
	s_delay_alu instid0(VALU_DEP_1) | instskip(NEXT) | instid1(VALU_DEP_1)
	v_mul_f32_e32 v22, 0x3fb8aa3b, v21
	v_fma_f32 v23, 0x3fb8aa3b, v21, -v22
	v_rndne_f32_e32 v24, v22
	s_delay_alu instid0(VALU_DEP_1) | instskip(SKIP_1) | instid1(VALU_DEP_2)
	v_dual_sub_f32 v22, v22, v24 :: v_dual_fmamk_f32 v23, v21, 0x32a5705f, v23
	v_cmp_ngt_f32_e64 s35, 0xc2ce8ed0, v21
	v_add_f32_e32 v22, v22, v23
	v_cvt_i32_f32_e32 v23, v24
	s_delay_alu instid0(VALU_DEP_2) | instskip(SKIP_2) | instid1(VALU_DEP_1)
	v_exp_f32_e32 v22, v22
	s_waitcnt_depctr 0xfff
	v_ldexp_f32 v22, v22, v23
	v_cndmask_b32_e64 v22, 0, v22, s35
	v_cmp_nlt_f32_e64 s35, 0x42b17218, v21
	s_delay_alu instid0(VALU_DEP_1) | instskip(NEXT) | instid1(VALU_DEP_1)
	v_cndmask_b32_e64 v23, 0x7f800000, v22, s35
	v_add_f32_e32 v24, 1.0, v23
	v_cmp_gt_f32_e64 s37, 0x33800000, |v23|
	s_delay_alu instid0(VALU_DEP_2) | instskip(NEXT) | instid1(VALU_DEP_1)
	v_cvt_f64_f32_e32 v[21:22], v24
	v_frexp_exp_i32_f64_e32 v21, v[21:22]
	v_frexp_mant_f32_e32 v22, v24
	s_delay_alu instid0(VALU_DEP_1) | instskip(SKIP_1) | instid1(VALU_DEP_1)
	v_cmp_gt_f32_e64 s35, 0x3f2aaaab, v22
	v_add_f32_e32 v22, -1.0, v24
	v_dual_sub_f32 v29, v22, v24 :: v_dual_sub_f32 v22, v23, v22
	s_delay_alu instid0(VALU_DEP_1) | instskip(NEXT) | instid1(VALU_DEP_1)
	v_add_f32_e32 v29, 1.0, v29
	v_add_f32_e32 v22, v22, v29
	v_subrev_co_ci_u32_e64 v21, s35, 0, v21, s35
	s_mov_b32 s35, 0x3e9b6dac
	s_delay_alu instid0(VALU_DEP_1) | instskip(SKIP_1) | instid1(VALU_DEP_2)
	v_sub_nc_u32_e32 v28, 0, v21
	v_cvt_f32_i32_e32 v21, v21
	v_ldexp_f32 v24, v24, v28
	v_ldexp_f32 v22, v22, v28
	s_delay_alu instid0(VALU_DEP_2) | instskip(NEXT) | instid1(VALU_DEP_1)
	v_add_f32_e32 v30, 1.0, v24
	v_add_f32_e32 v29, -1.0, v30
	s_delay_alu instid0(VALU_DEP_1) | instskip(NEXT) | instid1(VALU_DEP_1)
	v_dual_sub_f32 v29, v24, v29 :: v_dual_add_f32 v28, -1.0, v24
	v_add_f32_e32 v29, v22, v29
	s_delay_alu instid0(VALU_DEP_2) | instskip(NEXT) | instid1(VALU_DEP_1)
	v_add_f32_e32 v31, 1.0, v28
	v_dual_sub_f32 v24, v24, v31 :: v_dual_add_f32 v31, v30, v29
	s_delay_alu instid0(VALU_DEP_1) | instskip(NEXT) | instid1(VALU_DEP_2)
	v_sub_f32_e32 v30, v30, v31
	v_add_f32_e32 v22, v22, v24
	v_rcp_f32_e32 v24, v31
	s_delay_alu instid0(VALU_DEP_2) | instskip(NEXT) | instid1(VALU_DEP_2)
	v_add_f32_e32 v29, v29, v30
	v_add_f32_e32 v32, v28, v22
	s_delay_alu instid0(VALU_DEP_1) | instskip(SKIP_3) | instid1(VALU_DEP_2)
	v_sub_f32_e32 v28, v28, v32
	s_waitcnt_depctr 0xfff
	v_mul_f32_e32 v33, v32, v24
	v_add_f32_e32 v22, v22, v28
	v_mul_f32_e32 v34, v31, v33
	s_delay_alu instid0(VALU_DEP_1) | instskip(NEXT) | instid1(VALU_DEP_1)
	v_fma_f32 v30, v33, v31, -v34
	v_fmac_f32_e32 v30, v33, v29
	s_delay_alu instid0(VALU_DEP_1) | instskip(NEXT) | instid1(VALU_DEP_1)
	v_add_f32_e32 v35, v34, v30
	v_sub_f32_e32 v36, v32, v35
	v_sub_f32_e32 v28, v35, v34
	s_delay_alu instid0(VALU_DEP_2) | instskip(NEXT) | instid1(VALU_DEP_2)
	v_sub_f32_e32 v32, v32, v36
	v_sub_f32_e32 v28, v28, v30
	s_delay_alu instid0(VALU_DEP_2) | instskip(NEXT) | instid1(VALU_DEP_1)
	v_sub_f32_e32 v32, v32, v35
	v_add_f32_e32 v22, v22, v32
	s_delay_alu instid0(VALU_DEP_1) | instskip(NEXT) | instid1(VALU_DEP_1)
	v_add_f32_e32 v22, v28, v22
	v_add_f32_e32 v28, v36, v22
	s_delay_alu instid0(VALU_DEP_1) | instskip(NEXT) | instid1(VALU_DEP_1)
	v_mul_f32_e32 v30, v24, v28
	v_dual_sub_f32 v35, v36, v28 :: v_dual_mul_f32 v32, v31, v30
	s_delay_alu instid0(VALU_DEP_1) | instskip(NEXT) | instid1(VALU_DEP_2)
	v_add_f32_e32 v22, v22, v35
	v_fma_f32 v31, v30, v31, -v32
	s_delay_alu instid0(VALU_DEP_1) | instskip(NEXT) | instid1(VALU_DEP_1)
	v_fmac_f32_e32 v31, v30, v29
	v_add_f32_e32 v29, v32, v31
	s_delay_alu instid0(VALU_DEP_1) | instskip(SKIP_1) | instid1(VALU_DEP_2)
	v_sub_f32_e32 v34, v28, v29
	v_sub_f32_e32 v32, v29, v32
	;; [unrolled: 1-line block ×3, first 2 shown]
	s_delay_alu instid0(VALU_DEP_1) | instskip(NEXT) | instid1(VALU_DEP_1)
	v_sub_f32_e32 v28, v28, v29
	v_dual_sub_f32 v29, v32, v31 :: v_dual_add_f32 v22, v22, v28
	v_add_f32_e32 v28, v33, v30
	s_delay_alu instid0(VALU_DEP_1) | instskip(NEXT) | instid1(VALU_DEP_1)
	v_dual_add_f32 v22, v29, v22 :: v_dual_sub_f32 v29, v28, v33
	v_add_f32_e32 v22, v34, v22
	s_delay_alu instid0(VALU_DEP_1) | instskip(NEXT) | instid1(VALU_DEP_1)
	v_dual_sub_f32 v29, v30, v29 :: v_dual_mul_f32 v22, v24, v22
	v_add_f32_e32 v22, v29, v22
	s_delay_alu instid0(VALU_DEP_1) | instskip(NEXT) | instid1(VALU_DEP_1)
	v_add_f32_e32 v24, v28, v22
	v_mul_f32_e32 v29, v24, v24
	s_delay_alu instid0(VALU_DEP_1) | instskip(SKIP_2) | instid1(VALU_DEP_3)
	v_fmaak_f32 v30, s35, v29, 0x3ecc95a3
	v_mul_f32_e32 v31, v24, v29
	v_cmp_eq_f32_e64 s35, 0x7f800000, v23
	v_fmaak_f32 v29, v29, v30, 0x3f2aaada
	v_ldexp_f32 v30, v24, 1
	v_sub_f32_e32 v24, v24, v28
	s_delay_alu instid0(VALU_DEP_4) | instskip(NEXT) | instid1(VALU_DEP_3)
	s_or_b32 s35, s35, s37
	v_mul_f32_e32 v29, v31, v29
	s_delay_alu instid0(VALU_DEP_2) | instskip(NEXT) | instid1(VALU_DEP_2)
	v_dual_mul_f32 v31, 0x3f317218, v21 :: v_dual_sub_f32 v22, v22, v24
	v_add_f32_e32 v28, v30, v29
	s_delay_alu instid0(VALU_DEP_2) | instskip(NEXT) | instid1(VALU_DEP_2)
	v_ldexp_f32 v22, v22, 1
	v_sub_f32_e32 v24, v28, v30
	s_delay_alu instid0(VALU_DEP_4) | instskip(NEXT) | instid1(VALU_DEP_2)
	v_fma_f32 v30, 0x3f317218, v21, -v31
	v_sub_f32_e32 v24, v29, v24
	s_delay_alu instid0(VALU_DEP_1) | instskip(NEXT) | instid1(VALU_DEP_1)
	v_dual_fmamk_f32 v21, v21, 0xb102e308, v30 :: v_dual_add_f32 v22, v22, v24
	v_dual_add_f32 v24, v31, v21 :: v_dual_add_f32 v29, v28, v22
	s_delay_alu instid0(VALU_DEP_1) | instskip(NEXT) | instid1(VALU_DEP_2)
	v_sub_f32_e32 v31, v24, v31
	v_add_f32_e32 v30, v24, v29
	v_sub_f32_e32 v28, v29, v28
	s_delay_alu instid0(VALU_DEP_2) | instskip(NEXT) | instid1(VALU_DEP_2)
	v_dual_sub_f32 v21, v21, v31 :: v_dual_sub_f32 v32, v30, v24
	v_sub_f32_e32 v22, v22, v28
	s_delay_alu instid0(VALU_DEP_2) | instskip(SKIP_1) | instid1(VALU_DEP_2)
	v_sub_f32_e32 v33, v30, v32
	v_sub_f32_e32 v28, v29, v32
	v_dual_add_f32 v29, v21, v22 :: v_dual_sub_f32 v24, v24, v33
	s_delay_alu instid0(VALU_DEP_1) | instskip(NEXT) | instid1(VALU_DEP_2)
	v_add_f32_e32 v24, v28, v24
	v_sub_f32_e32 v28, v29, v21
	s_delay_alu instid0(VALU_DEP_2) | instskip(NEXT) | instid1(VALU_DEP_2)
	v_add_f32_e32 v24, v29, v24
	v_sub_f32_e32 v29, v29, v28
	v_sub_f32_e32 v22, v22, v28
	s_delay_alu instid0(VALU_DEP_3) | instskip(NEXT) | instid1(VALU_DEP_1)
	v_add_f32_e32 v31, v30, v24
	v_dual_sub_f32 v21, v21, v29 :: v_dual_sub_f32 v28, v31, v30
	s_delay_alu instid0(VALU_DEP_1) | instskip(NEXT) | instid1(VALU_DEP_1)
	v_dual_add_f32 v21, v22, v21 :: v_dual_sub_f32 v22, v24, v28
	v_add_f32_e32 v21, v21, v22
	s_delay_alu instid0(VALU_DEP_1) | instskip(NEXT) | instid1(VALU_DEP_1)
	v_add_f32_e32 v21, v31, v21
	v_cndmask_b32_e64 v21, v21, v23, s35
	s_delay_alu instid0(VALU_DEP_1) | instskip(NEXT) | instid1(VALU_DEP_1)
	v_add_f32_e32 v9, v9, v21
	v_cvt_f16_f32_e32 v28, v9
	s_delay_alu instid0(VALU_DEP_1)
	v_mov_b32_e32 v29, v28
	v_cvt_f32_f16_e32 v30, v28
.LBB420_68:
	s_or_b32 exec_lo, exec_lo, s36
	v_cvt_f32_f16_e32 v9, v6
	s_delay_alu instid0(VALU_DEP_2) | instskip(SKIP_1) | instid1(VALU_DEP_2)
	v_max_f32_e32 v21, v30, v30
	v_cmp_u_f16_e64 s35, v28, v28
	v_min_f32_e32 v22, v21, v9
	v_max_f32_e32 v21, v21, v9
	s_delay_alu instid0(VALU_DEP_2) | instskip(NEXT) | instid1(VALU_DEP_2)
	v_cndmask_b32_e64 v22, v22, v30, s35
	v_cndmask_b32_e64 v21, v21, v30, s35
	v_cmp_u_f16_e64 s35, v6, v6
	s_delay_alu instid0(VALU_DEP_1) | instskip(NEXT) | instid1(VALU_DEP_3)
	v_cndmask_b32_e64 v22, v22, v9, s35
	v_cndmask_b32_e64 v21, v21, v9, s35
	s_delay_alu instid0(VALU_DEP_2) | instskip(NEXT) | instid1(VALU_DEP_2)
	v_cmp_class_f32_e64 s37, v22, 0x1f8
	v_cmp_neq_f32_e64 s36, v22, v21
	s_delay_alu instid0(VALU_DEP_1) | instskip(NEXT) | instid1(SALU_CYCLE_1)
	s_or_b32 s36, s36, s37
	s_and_saveexec_b32 s37, s36
	s_cbranch_execz .LBB420_70
; %bb.69:
	v_sub_f32_e32 v22, v22, v21
	s_delay_alu instid0(VALU_DEP_1) | instskip(NEXT) | instid1(VALU_DEP_1)
	v_mul_f32_e32 v23, 0x3fb8aa3b, v22
	v_fma_f32 v24, 0x3fb8aa3b, v22, -v23
	v_rndne_f32_e32 v28, v23
	s_delay_alu instid0(VALU_DEP_1) | instskip(SKIP_1) | instid1(VALU_DEP_2)
	v_dual_sub_f32 v23, v23, v28 :: v_dual_fmamk_f32 v24, v22, 0x32a5705f, v24
	v_cmp_ngt_f32_e64 s36, 0xc2ce8ed0, v22
	v_add_f32_e32 v23, v23, v24
	v_cvt_i32_f32_e32 v24, v28
	s_delay_alu instid0(VALU_DEP_2) | instskip(SKIP_2) | instid1(VALU_DEP_1)
	v_exp_f32_e32 v23, v23
	s_waitcnt_depctr 0xfff
	v_ldexp_f32 v23, v23, v24
	v_cndmask_b32_e64 v23, 0, v23, s36
	v_cmp_nlt_f32_e64 s36, 0x42b17218, v22
	s_delay_alu instid0(VALU_DEP_1) | instskip(NEXT) | instid1(VALU_DEP_1)
	v_cndmask_b32_e64 v24, 0x7f800000, v23, s36
	v_add_f32_e32 v28, 1.0, v24
	v_cmp_gt_f32_e64 s38, 0x33800000, |v24|
	s_delay_alu instid0(VALU_DEP_2) | instskip(NEXT) | instid1(VALU_DEP_1)
	v_cvt_f64_f32_e32 v[22:23], v28
	v_frexp_exp_i32_f64_e32 v22, v[22:23]
	v_frexp_mant_f32_e32 v23, v28
	s_delay_alu instid0(VALU_DEP_1) | instskip(SKIP_1) | instid1(VALU_DEP_1)
	v_cmp_gt_f32_e64 s36, 0x3f2aaaab, v23
	v_add_f32_e32 v23, -1.0, v28
	v_dual_sub_f32 v30, v23, v28 :: v_dual_sub_f32 v23, v24, v23
	s_delay_alu instid0(VALU_DEP_1) | instskip(NEXT) | instid1(VALU_DEP_4)
	v_add_f32_e32 v30, 1.0, v30
	v_subrev_co_ci_u32_e64 v22, s36, 0, v22, s36
	s_mov_b32 s36, 0x3e9b6dac
	s_delay_alu instid0(VALU_DEP_1) | instskip(SKIP_1) | instid1(VALU_DEP_2)
	v_sub_nc_u32_e32 v29, 0, v22
	v_cvt_f32_i32_e32 v22, v22
	v_ldexp_f32 v28, v28, v29
	s_delay_alu instid0(VALU_DEP_1) | instskip(NEXT) | instid1(VALU_DEP_1)
	v_add_f32_e32 v31, 1.0, v28
	v_dual_add_f32 v23, v23, v30 :: v_dual_add_f32 v30, -1.0, v31
	s_delay_alu instid0(VALU_DEP_1) | instskip(NEXT) | instid1(VALU_DEP_2)
	v_ldexp_f32 v23, v23, v29
	v_dual_sub_f32 v30, v28, v30 :: v_dual_add_f32 v29, -1.0, v28
	s_delay_alu instid0(VALU_DEP_1) | instskip(NEXT) | instid1(VALU_DEP_2)
	v_add_f32_e32 v30, v23, v30
	v_add_f32_e32 v32, 1.0, v29
	s_delay_alu instid0(VALU_DEP_1) | instskip(NEXT) | instid1(VALU_DEP_1)
	v_sub_f32_e32 v28, v28, v32
	v_add_f32_e32 v23, v23, v28
	s_delay_alu instid0(VALU_DEP_1) | instskip(NEXT) | instid1(VALU_DEP_1)
	v_dual_add_f32 v33, v29, v23 :: v_dual_add_f32 v32, v31, v30
	v_sub_f32_e32 v29, v29, v33
	s_delay_alu instid0(VALU_DEP_2) | instskip(SKIP_1) | instid1(VALU_DEP_1)
	v_rcp_f32_e32 v28, v32
	v_sub_f32_e32 v31, v31, v32
	v_dual_add_f32 v23, v23, v29 :: v_dual_add_f32 v30, v30, v31
	s_waitcnt_depctr 0xfff
	v_mul_f32_e32 v34, v33, v28
	s_delay_alu instid0(VALU_DEP_1) | instskip(NEXT) | instid1(VALU_DEP_1)
	v_mul_f32_e32 v35, v32, v34
	v_fma_f32 v31, v34, v32, -v35
	s_delay_alu instid0(VALU_DEP_1) | instskip(NEXT) | instid1(VALU_DEP_1)
	v_fmac_f32_e32 v31, v34, v30
	v_add_f32_e32 v36, v35, v31
	s_delay_alu instid0(VALU_DEP_1) | instskip(NEXT) | instid1(VALU_DEP_1)
	v_sub_f32_e32 v37, v33, v36
	v_sub_f32_e32 v33, v33, v37
	;; [unrolled: 1-line block ×3, first 2 shown]
	s_delay_alu instid0(VALU_DEP_2) | instskip(NEXT) | instid1(VALU_DEP_2)
	v_sub_f32_e32 v33, v33, v36
	v_sub_f32_e32 v29, v29, v31
	s_delay_alu instid0(VALU_DEP_2) | instskip(NEXT) | instid1(VALU_DEP_1)
	v_add_f32_e32 v23, v23, v33
	v_add_f32_e32 v23, v29, v23
	s_delay_alu instid0(VALU_DEP_1) | instskip(NEXT) | instid1(VALU_DEP_1)
	v_add_f32_e32 v29, v37, v23
	v_mul_f32_e32 v31, v28, v29
	s_delay_alu instid0(VALU_DEP_1) | instskip(NEXT) | instid1(VALU_DEP_1)
	v_dual_sub_f32 v36, v37, v29 :: v_dual_mul_f32 v33, v32, v31
	v_add_f32_e32 v23, v23, v36
	s_delay_alu instid0(VALU_DEP_2) | instskip(NEXT) | instid1(VALU_DEP_1)
	v_fma_f32 v32, v31, v32, -v33
	v_fmac_f32_e32 v32, v31, v30
	s_delay_alu instid0(VALU_DEP_1) | instskip(NEXT) | instid1(VALU_DEP_1)
	v_add_f32_e32 v30, v33, v32
	v_sub_f32_e32 v35, v29, v30
	v_sub_f32_e32 v33, v30, v33
	s_delay_alu instid0(VALU_DEP_2) | instskip(NEXT) | instid1(VALU_DEP_1)
	v_sub_f32_e32 v29, v29, v35
	v_sub_f32_e32 v29, v29, v30
	s_delay_alu instid0(VALU_DEP_1) | instskip(SKIP_1) | instid1(VALU_DEP_1)
	v_dual_sub_f32 v30, v33, v32 :: v_dual_add_f32 v23, v23, v29
	v_add_f32_e32 v29, v34, v31
	v_dual_add_f32 v23, v30, v23 :: v_dual_sub_f32 v30, v29, v34
	s_delay_alu instid0(VALU_DEP_1) | instskip(NEXT) | instid1(VALU_DEP_1)
	v_add_f32_e32 v23, v35, v23
	v_dual_sub_f32 v30, v31, v30 :: v_dual_mul_f32 v23, v28, v23
	s_delay_alu instid0(VALU_DEP_1) | instskip(NEXT) | instid1(VALU_DEP_1)
	v_add_f32_e32 v23, v30, v23
	v_add_f32_e32 v28, v29, v23
	s_delay_alu instid0(VALU_DEP_1) | instskip(NEXT) | instid1(VALU_DEP_1)
	v_mul_f32_e32 v30, v28, v28
	v_fmaak_f32 v31, s36, v30, 0x3ecc95a3
	v_mul_f32_e32 v32, v28, v30
	v_cmp_eq_f32_e64 s36, 0x7f800000, v24
	s_delay_alu instid0(VALU_DEP_3) | instskip(SKIP_2) | instid1(VALU_DEP_4)
	v_fmaak_f32 v30, v30, v31, 0x3f2aaada
	v_ldexp_f32 v31, v28, 1
	v_sub_f32_e32 v28, v28, v29
	s_or_b32 s36, s36, s38
	s_delay_alu instid0(VALU_DEP_3) | instskip(NEXT) | instid1(VALU_DEP_2)
	v_mul_f32_e32 v30, v32, v30
	v_dual_mul_f32 v32, 0x3f317218, v22 :: v_dual_sub_f32 v23, v23, v28
	s_delay_alu instid0(VALU_DEP_2) | instskip(NEXT) | instid1(VALU_DEP_2)
	v_add_f32_e32 v29, v31, v30
	v_ldexp_f32 v23, v23, 1
	s_delay_alu instid0(VALU_DEP_2) | instskip(NEXT) | instid1(VALU_DEP_4)
	v_sub_f32_e32 v28, v29, v31
	v_fma_f32 v31, 0x3f317218, v22, -v32
	s_delay_alu instid0(VALU_DEP_2) | instskip(NEXT) | instid1(VALU_DEP_1)
	v_sub_f32_e32 v28, v30, v28
	v_dual_fmamk_f32 v22, v22, 0xb102e308, v31 :: v_dual_add_f32 v23, v23, v28
	s_delay_alu instid0(VALU_DEP_1) | instskip(NEXT) | instid1(VALU_DEP_2)
	v_add_f32_e32 v28, v32, v22
	v_add_f32_e32 v30, v29, v23
	s_delay_alu instid0(VALU_DEP_2) | instskip(NEXT) | instid1(VALU_DEP_2)
	v_sub_f32_e32 v32, v28, v32
	v_add_f32_e32 v31, v28, v30
	v_sub_f32_e32 v29, v30, v29
	s_delay_alu instid0(VALU_DEP_3) | instskip(NEXT) | instid1(VALU_DEP_3)
	v_sub_f32_e32 v22, v22, v32
	v_sub_f32_e32 v33, v31, v28
	s_delay_alu instid0(VALU_DEP_3) | instskip(NEXT) | instid1(VALU_DEP_2)
	v_sub_f32_e32 v23, v23, v29
	v_sub_f32_e32 v34, v31, v33
	;; [unrolled: 1-line block ×3, first 2 shown]
	s_delay_alu instid0(VALU_DEP_3) | instskip(NEXT) | instid1(VALU_DEP_3)
	v_add_f32_e32 v30, v22, v23
	v_sub_f32_e32 v28, v28, v34
	s_delay_alu instid0(VALU_DEP_1) | instskip(NEXT) | instid1(VALU_DEP_1)
	v_dual_add_f32 v28, v29, v28 :: v_dual_sub_f32 v29, v30, v22
	v_add_f32_e32 v28, v30, v28
	s_delay_alu instid0(VALU_DEP_2) | instskip(SKIP_1) | instid1(VALU_DEP_3)
	v_sub_f32_e32 v30, v30, v29
	v_sub_f32_e32 v23, v23, v29
	v_add_f32_e32 v32, v31, v28
	s_delay_alu instid0(VALU_DEP_1) | instskip(NEXT) | instid1(VALU_DEP_1)
	v_dual_sub_f32 v22, v22, v30 :: v_dual_sub_f32 v29, v32, v31
	v_dual_add_f32 v22, v23, v22 :: v_dual_sub_f32 v23, v28, v29
	s_delay_alu instid0(VALU_DEP_1) | instskip(NEXT) | instid1(VALU_DEP_1)
	v_add_f32_e32 v22, v22, v23
	v_add_f32_e32 v22, v32, v22
	s_delay_alu instid0(VALU_DEP_1) | instskip(NEXT) | instid1(VALU_DEP_1)
	v_cndmask_b32_e64 v22, v22, v24, s36
	v_add_f32_e32 v21, v21, v22
	s_delay_alu instid0(VALU_DEP_1) | instskip(NEXT) | instid1(VALU_DEP_1)
	v_cvt_f16_f32_e32 v28, v21
	v_cvt_f32_f16_e32 v30, v28
	v_mov_b32_e32 v29, v28
.LBB420_70:
	s_or_b32 exec_lo, exec_lo, s37
	v_lshrrev_b32_e32 v6, 16, v6
	s_delay_alu instid0(VALU_DEP_3) | instskip(SKIP_1) | instid1(VALU_DEP_3)
	v_max_f32_e32 v22, v30, v30
	v_cmp_u_f16_e64 s36, v28, v28
	v_cvt_f32_f16_e32 v21, v6
	s_delay_alu instid0(VALU_DEP_1) | instskip(SKIP_1) | instid1(VALU_DEP_2)
	v_min_f32_e32 v23, v22, v21
	v_max_f32_e32 v22, v22, v21
	v_cndmask_b32_e64 v23, v23, v30, s36
	s_delay_alu instid0(VALU_DEP_2) | instskip(SKIP_1) | instid1(VALU_DEP_1)
	v_cndmask_b32_e64 v24, v22, v30, s36
	v_cmp_u_f16_e64 s36, v6, v6
	v_cndmask_b32_e64 v22, v23, v21, s36
	s_delay_alu instid0(VALU_DEP_3) | instskip(NEXT) | instid1(VALU_DEP_2)
	v_cndmask_b32_e64 v6, v24, v21, s36
	v_cmp_class_f32_e64 s38, v22, 0x1f8
	s_delay_alu instid0(VALU_DEP_2) | instskip(NEXT) | instid1(VALU_DEP_1)
	v_cmp_neq_f32_e64 s37, v22, v6
	s_or_b32 s37, s37, s38
	s_delay_alu instid0(SALU_CYCLE_1)
	s_and_saveexec_b32 s38, s37
	s_cbranch_execz .LBB420_72
; %bb.71:
	v_sub_f32_e32 v22, v22, v6
	s_delay_alu instid0(VALU_DEP_1) | instskip(NEXT) | instid1(VALU_DEP_1)
	v_mul_f32_e32 v23, 0x3fb8aa3b, v22
	v_fma_f32 v24, 0x3fb8aa3b, v22, -v23
	v_rndne_f32_e32 v28, v23
	s_delay_alu instid0(VALU_DEP_1) | instskip(SKIP_1) | instid1(VALU_DEP_2)
	v_dual_sub_f32 v23, v23, v28 :: v_dual_fmamk_f32 v24, v22, 0x32a5705f, v24
	v_cmp_ngt_f32_e64 s37, 0xc2ce8ed0, v22
	v_add_f32_e32 v23, v23, v24
	v_cvt_i32_f32_e32 v24, v28
	s_delay_alu instid0(VALU_DEP_2) | instskip(SKIP_2) | instid1(VALU_DEP_1)
	v_exp_f32_e32 v23, v23
	s_waitcnt_depctr 0xfff
	v_ldexp_f32 v23, v23, v24
	v_cndmask_b32_e64 v23, 0, v23, s37
	v_cmp_nlt_f32_e64 s37, 0x42b17218, v22
	s_delay_alu instid0(VALU_DEP_1) | instskip(NEXT) | instid1(VALU_DEP_1)
	v_cndmask_b32_e64 v24, 0x7f800000, v23, s37
	v_add_f32_e32 v28, 1.0, v24
	v_cmp_gt_f32_e64 s39, 0x33800000, |v24|
	s_delay_alu instid0(VALU_DEP_2) | instskip(NEXT) | instid1(VALU_DEP_1)
	v_cvt_f64_f32_e32 v[22:23], v28
	v_frexp_exp_i32_f64_e32 v22, v[22:23]
	v_frexp_mant_f32_e32 v23, v28
	s_delay_alu instid0(VALU_DEP_1) | instskip(SKIP_1) | instid1(VALU_DEP_1)
	v_cmp_gt_f32_e64 s37, 0x3f2aaaab, v23
	v_add_f32_e32 v23, -1.0, v28
	v_dual_sub_f32 v30, v23, v28 :: v_dual_sub_f32 v23, v24, v23
	s_delay_alu instid0(VALU_DEP_1) | instskip(NEXT) | instid1(VALU_DEP_4)
	v_add_f32_e32 v30, 1.0, v30
	v_subrev_co_ci_u32_e64 v22, s37, 0, v22, s37
	s_mov_b32 s37, 0x3e9b6dac
	s_delay_alu instid0(VALU_DEP_1) | instskip(SKIP_1) | instid1(VALU_DEP_2)
	v_sub_nc_u32_e32 v29, 0, v22
	v_cvt_f32_i32_e32 v22, v22
	v_ldexp_f32 v28, v28, v29
	s_delay_alu instid0(VALU_DEP_1) | instskip(NEXT) | instid1(VALU_DEP_1)
	v_add_f32_e32 v31, 1.0, v28
	v_dual_add_f32 v23, v23, v30 :: v_dual_add_f32 v30, -1.0, v31
	s_delay_alu instid0(VALU_DEP_1) | instskip(NEXT) | instid1(VALU_DEP_2)
	v_ldexp_f32 v23, v23, v29
	v_dual_sub_f32 v30, v28, v30 :: v_dual_add_f32 v29, -1.0, v28
	s_delay_alu instid0(VALU_DEP_1) | instskip(NEXT) | instid1(VALU_DEP_2)
	v_add_f32_e32 v30, v23, v30
	v_add_f32_e32 v32, 1.0, v29
	s_delay_alu instid0(VALU_DEP_1) | instskip(NEXT) | instid1(VALU_DEP_1)
	v_sub_f32_e32 v28, v28, v32
	v_add_f32_e32 v23, v23, v28
	s_delay_alu instid0(VALU_DEP_1) | instskip(NEXT) | instid1(VALU_DEP_1)
	v_dual_add_f32 v33, v29, v23 :: v_dual_add_f32 v32, v31, v30
	v_sub_f32_e32 v29, v29, v33
	s_delay_alu instid0(VALU_DEP_2) | instskip(SKIP_1) | instid1(VALU_DEP_1)
	v_rcp_f32_e32 v28, v32
	v_sub_f32_e32 v31, v31, v32
	v_dual_add_f32 v23, v23, v29 :: v_dual_add_f32 v30, v30, v31
	s_waitcnt_depctr 0xfff
	v_mul_f32_e32 v34, v33, v28
	s_delay_alu instid0(VALU_DEP_1) | instskip(NEXT) | instid1(VALU_DEP_1)
	v_mul_f32_e32 v35, v32, v34
	v_fma_f32 v31, v34, v32, -v35
	s_delay_alu instid0(VALU_DEP_1) | instskip(NEXT) | instid1(VALU_DEP_1)
	v_fmac_f32_e32 v31, v34, v30
	v_add_f32_e32 v36, v35, v31
	s_delay_alu instid0(VALU_DEP_1) | instskip(NEXT) | instid1(VALU_DEP_1)
	v_sub_f32_e32 v37, v33, v36
	v_sub_f32_e32 v33, v33, v37
	;; [unrolled: 1-line block ×3, first 2 shown]
	s_delay_alu instid0(VALU_DEP_2) | instskip(NEXT) | instid1(VALU_DEP_2)
	v_sub_f32_e32 v33, v33, v36
	v_sub_f32_e32 v29, v29, v31
	s_delay_alu instid0(VALU_DEP_2) | instskip(NEXT) | instid1(VALU_DEP_1)
	v_add_f32_e32 v23, v23, v33
	v_add_f32_e32 v23, v29, v23
	s_delay_alu instid0(VALU_DEP_1) | instskip(NEXT) | instid1(VALU_DEP_1)
	v_add_f32_e32 v29, v37, v23
	v_mul_f32_e32 v31, v28, v29
	s_delay_alu instid0(VALU_DEP_1) | instskip(NEXT) | instid1(VALU_DEP_1)
	v_dual_sub_f32 v36, v37, v29 :: v_dual_mul_f32 v33, v32, v31
	v_add_f32_e32 v23, v23, v36
	s_delay_alu instid0(VALU_DEP_2) | instskip(NEXT) | instid1(VALU_DEP_1)
	v_fma_f32 v32, v31, v32, -v33
	v_fmac_f32_e32 v32, v31, v30
	s_delay_alu instid0(VALU_DEP_1) | instskip(NEXT) | instid1(VALU_DEP_1)
	v_add_f32_e32 v30, v33, v32
	v_sub_f32_e32 v35, v29, v30
	v_sub_f32_e32 v33, v30, v33
	s_delay_alu instid0(VALU_DEP_2) | instskip(NEXT) | instid1(VALU_DEP_1)
	v_sub_f32_e32 v29, v29, v35
	v_sub_f32_e32 v29, v29, v30
	s_delay_alu instid0(VALU_DEP_1) | instskip(SKIP_1) | instid1(VALU_DEP_1)
	v_dual_sub_f32 v30, v33, v32 :: v_dual_add_f32 v23, v23, v29
	v_add_f32_e32 v29, v34, v31
	v_dual_add_f32 v23, v30, v23 :: v_dual_sub_f32 v30, v29, v34
	s_delay_alu instid0(VALU_DEP_1) | instskip(NEXT) | instid1(VALU_DEP_1)
	v_add_f32_e32 v23, v35, v23
	v_dual_sub_f32 v30, v31, v30 :: v_dual_mul_f32 v23, v28, v23
	s_delay_alu instid0(VALU_DEP_1) | instskip(NEXT) | instid1(VALU_DEP_1)
	v_add_f32_e32 v23, v30, v23
	v_add_f32_e32 v28, v29, v23
	s_delay_alu instid0(VALU_DEP_1) | instskip(NEXT) | instid1(VALU_DEP_1)
	v_mul_f32_e32 v30, v28, v28
	v_fmaak_f32 v31, s37, v30, 0x3ecc95a3
	v_mul_f32_e32 v32, v28, v30
	v_cmp_eq_f32_e64 s37, 0x7f800000, v24
	s_delay_alu instid0(VALU_DEP_3) | instskip(SKIP_2) | instid1(VALU_DEP_4)
	v_fmaak_f32 v30, v30, v31, 0x3f2aaada
	v_ldexp_f32 v31, v28, 1
	v_sub_f32_e32 v28, v28, v29
	s_or_b32 s37, s37, s39
	s_delay_alu instid0(VALU_DEP_3) | instskip(NEXT) | instid1(VALU_DEP_2)
	v_mul_f32_e32 v30, v32, v30
	v_dual_mul_f32 v32, 0x3f317218, v22 :: v_dual_sub_f32 v23, v23, v28
	s_delay_alu instid0(VALU_DEP_2) | instskip(NEXT) | instid1(VALU_DEP_2)
	v_add_f32_e32 v29, v31, v30
	v_ldexp_f32 v23, v23, 1
	s_delay_alu instid0(VALU_DEP_2) | instskip(NEXT) | instid1(VALU_DEP_4)
	v_sub_f32_e32 v28, v29, v31
	v_fma_f32 v31, 0x3f317218, v22, -v32
	s_delay_alu instid0(VALU_DEP_2) | instskip(NEXT) | instid1(VALU_DEP_1)
	v_sub_f32_e32 v28, v30, v28
	v_dual_fmamk_f32 v22, v22, 0xb102e308, v31 :: v_dual_add_f32 v23, v23, v28
	s_delay_alu instid0(VALU_DEP_1) | instskip(NEXT) | instid1(VALU_DEP_2)
	v_add_f32_e32 v28, v32, v22
	v_add_f32_e32 v30, v29, v23
	s_delay_alu instid0(VALU_DEP_2) | instskip(NEXT) | instid1(VALU_DEP_2)
	v_sub_f32_e32 v32, v28, v32
	v_add_f32_e32 v31, v28, v30
	v_sub_f32_e32 v29, v30, v29
	s_delay_alu instid0(VALU_DEP_3) | instskip(NEXT) | instid1(VALU_DEP_3)
	v_sub_f32_e32 v22, v22, v32
	v_sub_f32_e32 v33, v31, v28
	s_delay_alu instid0(VALU_DEP_3) | instskip(NEXT) | instid1(VALU_DEP_2)
	v_sub_f32_e32 v23, v23, v29
	v_sub_f32_e32 v34, v31, v33
	;; [unrolled: 1-line block ×3, first 2 shown]
	s_delay_alu instid0(VALU_DEP_3) | instskip(NEXT) | instid1(VALU_DEP_3)
	v_add_f32_e32 v30, v22, v23
	v_sub_f32_e32 v28, v28, v34
	s_delay_alu instid0(VALU_DEP_1) | instskip(NEXT) | instid1(VALU_DEP_1)
	v_dual_add_f32 v28, v29, v28 :: v_dual_sub_f32 v29, v30, v22
	v_add_f32_e32 v28, v30, v28
	s_delay_alu instid0(VALU_DEP_2) | instskip(SKIP_1) | instid1(VALU_DEP_3)
	v_sub_f32_e32 v30, v30, v29
	v_sub_f32_e32 v23, v23, v29
	v_add_f32_e32 v32, v31, v28
	s_delay_alu instid0(VALU_DEP_1) | instskip(NEXT) | instid1(VALU_DEP_1)
	v_dual_sub_f32 v22, v22, v30 :: v_dual_sub_f32 v29, v32, v31
	v_dual_add_f32 v22, v23, v22 :: v_dual_sub_f32 v23, v28, v29
	s_delay_alu instid0(VALU_DEP_1) | instskip(NEXT) | instid1(VALU_DEP_1)
	v_add_f32_e32 v22, v22, v23
	v_add_f32_e32 v22, v32, v22
	s_delay_alu instid0(VALU_DEP_1) | instskip(NEXT) | instid1(VALU_DEP_1)
	v_cndmask_b32_e64 v22, v22, v24, s37
	v_add_f32_e32 v6, v6, v22
	s_delay_alu instid0(VALU_DEP_1) | instskip(NEXT) | instid1(VALU_DEP_1)
	v_cvt_f16_f32_e32 v28, v6
	v_cvt_f32_f16_e32 v30, v28
	v_mov_b32_e32 v29, v28
.LBB420_72:
	s_or_b32 exec_lo, exec_lo, s38
	v_cvt_f32_f16_e32 v6, v7
	s_delay_alu instid0(VALU_DEP_3) | instskip(SKIP_1) | instid1(VALU_DEP_2)
	v_max_f32_e32 v22, v30, v30
	v_cmp_u_f16_e64 s37, v28, v28
	v_min_f32_e32 v23, v22, v6
	v_max_f32_e32 v22, v22, v6
	s_delay_alu instid0(VALU_DEP_2) | instskip(NEXT) | instid1(VALU_DEP_2)
	v_cndmask_b32_e64 v23, v23, v30, s37
	v_cndmask_b32_e64 v22, v22, v30, s37
	v_cmp_u_f16_e64 s37, v7, v7
	s_delay_alu instid0(VALU_DEP_1) | instskip(NEXT) | instid1(VALU_DEP_3)
	v_cndmask_b32_e64 v23, v23, v6, s37
	v_cndmask_b32_e64 v22, v22, v6, s37
	s_delay_alu instid0(VALU_DEP_2) | instskip(NEXT) | instid1(VALU_DEP_2)
	v_cmp_class_f32_e64 s39, v23, 0x1f8
	v_cmp_neq_f32_e64 s38, v23, v22
	s_delay_alu instid0(VALU_DEP_1) | instskip(NEXT) | instid1(SALU_CYCLE_1)
	s_or_b32 s38, s38, s39
	s_and_saveexec_b32 s39, s38
	s_cbranch_execz .LBB420_74
; %bb.73:
	v_sub_f32_e32 v23, v23, v22
	s_delay_alu instid0(VALU_DEP_1) | instskip(NEXT) | instid1(VALU_DEP_1)
	v_mul_f32_e32 v24, 0x3fb8aa3b, v23
	v_fma_f32 v28, 0x3fb8aa3b, v23, -v24
	v_rndne_f32_e32 v29, v24
	s_delay_alu instid0(VALU_DEP_1) | instskip(NEXT) | instid1(VALU_DEP_3)
	v_sub_f32_e32 v24, v24, v29
	v_fmamk_f32 v28, v23, 0x32a5705f, v28
	v_cmp_ngt_f32_e64 s38, 0xc2ce8ed0, v23
	s_delay_alu instid0(VALU_DEP_2) | instskip(SKIP_1) | instid1(VALU_DEP_2)
	v_add_f32_e32 v24, v24, v28
	v_cvt_i32_f32_e32 v28, v29
	v_exp_f32_e32 v24, v24
	s_waitcnt_depctr 0xfff
	v_ldexp_f32 v24, v24, v28
	s_delay_alu instid0(VALU_DEP_1) | instskip(SKIP_1) | instid1(VALU_DEP_1)
	v_cndmask_b32_e64 v24, 0, v24, s38
	v_cmp_nlt_f32_e64 s38, 0x42b17218, v23
	v_cndmask_b32_e64 v28, 0x7f800000, v24, s38
	s_delay_alu instid0(VALU_DEP_1) | instskip(SKIP_1) | instid1(VALU_DEP_2)
	v_add_f32_e32 v29, 1.0, v28
	v_cmp_gt_f32_e64 s40, 0x33800000, |v28|
	v_cvt_f64_f32_e32 v[23:24], v29
	s_delay_alu instid0(VALU_DEP_1) | instskip(SKIP_1) | instid1(VALU_DEP_1)
	v_frexp_exp_i32_f64_e32 v23, v[23:24]
	v_frexp_mant_f32_e32 v24, v29
	v_cmp_gt_f32_e64 s38, 0x3f2aaaab, v24
	v_add_f32_e32 v24, -1.0, v29
	s_delay_alu instid0(VALU_DEP_1) | instskip(NEXT) | instid1(VALU_DEP_1)
	v_sub_f32_e32 v31, v24, v29
	v_add_f32_e32 v31, 1.0, v31
	s_delay_alu instid0(VALU_DEP_4) | instskip(SKIP_1) | instid1(VALU_DEP_1)
	v_subrev_co_ci_u32_e64 v23, s38, 0, v23, s38
	s_mov_b32 s38, 0x3e9b6dac
	v_sub_nc_u32_e32 v30, 0, v23
	v_cvt_f32_i32_e32 v23, v23
	s_delay_alu instid0(VALU_DEP_2) | instskip(SKIP_1) | instid1(VALU_DEP_1)
	v_ldexp_f32 v29, v29, v30
	v_sub_f32_e32 v24, v28, v24
	v_add_f32_e32 v24, v24, v31
	s_delay_alu instid0(VALU_DEP_1) | instskip(NEXT) | instid1(VALU_DEP_4)
	v_ldexp_f32 v24, v24, v30
	v_add_f32_e32 v30, -1.0, v29
	s_delay_alu instid0(VALU_DEP_1) | instskip(NEXT) | instid1(VALU_DEP_1)
	v_dual_add_f32 v32, 1.0, v29 :: v_dual_add_f32 v33, 1.0, v30
	v_add_f32_e32 v31, -1.0, v32
	s_delay_alu instid0(VALU_DEP_1) | instskip(NEXT) | instid1(VALU_DEP_3)
	v_sub_f32_e32 v31, v29, v31
	v_sub_f32_e32 v29, v29, v33
	s_delay_alu instid0(VALU_DEP_2) | instskip(NEXT) | instid1(VALU_DEP_2)
	v_add_f32_e32 v31, v24, v31
	v_add_f32_e32 v24, v24, v29
	s_delay_alu instid0(VALU_DEP_1) | instskip(NEXT) | instid1(VALU_DEP_1)
	v_dual_add_f32 v33, v32, v31 :: v_dual_add_f32 v34, v30, v24
	v_rcp_f32_e32 v29, v33
	v_sub_f32_e32 v32, v32, v33
	s_delay_alu instid0(VALU_DEP_1) | instskip(SKIP_2) | instid1(VALU_DEP_1)
	v_dual_sub_f32 v30, v30, v34 :: v_dual_add_f32 v31, v31, v32
	s_waitcnt_depctr 0xfff
	v_dual_add_f32 v24, v24, v30 :: v_dual_mul_f32 v35, v34, v29
	v_mul_f32_e32 v36, v33, v35
	s_delay_alu instid0(VALU_DEP_1) | instskip(NEXT) | instid1(VALU_DEP_1)
	v_fma_f32 v32, v35, v33, -v36
	v_fmac_f32_e32 v32, v35, v31
	s_delay_alu instid0(VALU_DEP_1) | instskip(NEXT) | instid1(VALU_DEP_1)
	v_add_f32_e32 v37, v36, v32
	v_sub_f32_e32 v38, v34, v37
	s_delay_alu instid0(VALU_DEP_1) | instskip(SKIP_1) | instid1(VALU_DEP_2)
	v_sub_f32_e32 v34, v34, v38
	v_sub_f32_e32 v30, v37, v36
	;; [unrolled: 1-line block ×3, first 2 shown]
	s_delay_alu instid0(VALU_DEP_2) | instskip(NEXT) | instid1(VALU_DEP_2)
	v_sub_f32_e32 v30, v30, v32
	v_add_f32_e32 v24, v24, v34
	s_delay_alu instid0(VALU_DEP_1) | instskip(NEXT) | instid1(VALU_DEP_1)
	v_add_f32_e32 v24, v30, v24
	v_add_f32_e32 v30, v38, v24
	s_delay_alu instid0(VALU_DEP_1) | instskip(NEXT) | instid1(VALU_DEP_1)
	v_mul_f32_e32 v32, v29, v30
	v_mul_f32_e32 v34, v33, v32
	s_delay_alu instid0(VALU_DEP_1) | instskip(NEXT) | instid1(VALU_DEP_1)
	v_fma_f32 v33, v32, v33, -v34
	v_fmac_f32_e32 v33, v32, v31
	v_sub_f32_e32 v37, v38, v30
	s_delay_alu instid0(VALU_DEP_2) | instskip(NEXT) | instid1(VALU_DEP_2)
	v_add_f32_e32 v31, v34, v33
	v_add_f32_e32 v24, v24, v37
	s_delay_alu instid0(VALU_DEP_2) | instskip(SKIP_1) | instid1(VALU_DEP_2)
	v_sub_f32_e32 v36, v30, v31
	v_sub_f32_e32 v34, v31, v34
	v_sub_f32_e32 v30, v30, v36
	s_delay_alu instid0(VALU_DEP_1) | instskip(NEXT) | instid1(VALU_DEP_1)
	v_sub_f32_e32 v30, v30, v31
	v_dual_sub_f32 v31, v34, v33 :: v_dual_add_f32 v24, v24, v30
	v_add_f32_e32 v30, v35, v32
	s_delay_alu instid0(VALU_DEP_1) | instskip(NEXT) | instid1(VALU_DEP_1)
	v_dual_add_f32 v24, v31, v24 :: v_dual_sub_f32 v31, v30, v35
	v_add_f32_e32 v24, v36, v24
	s_delay_alu instid0(VALU_DEP_1) | instskip(NEXT) | instid1(VALU_DEP_1)
	v_dual_sub_f32 v31, v32, v31 :: v_dual_mul_f32 v24, v29, v24
	v_add_f32_e32 v24, v31, v24
	s_delay_alu instid0(VALU_DEP_1) | instskip(NEXT) | instid1(VALU_DEP_1)
	v_add_f32_e32 v29, v30, v24
	v_mul_f32_e32 v31, v29, v29
	s_delay_alu instid0(VALU_DEP_1) | instskip(SKIP_2) | instid1(VALU_DEP_3)
	v_fmaak_f32 v32, s38, v31, 0x3ecc95a3
	v_mul_f32_e32 v33, v29, v31
	v_cmp_eq_f32_e64 s38, 0x7f800000, v28
	v_fmaak_f32 v31, v31, v32, 0x3f2aaada
	v_ldexp_f32 v32, v29, 1
	v_sub_f32_e32 v29, v29, v30
	s_delay_alu instid0(VALU_DEP_4) | instskip(NEXT) | instid1(VALU_DEP_3)
	s_or_b32 s38, s38, s40
	v_mul_f32_e32 v31, v33, v31
	s_delay_alu instid0(VALU_DEP_2) | instskip(NEXT) | instid1(VALU_DEP_2)
	v_dual_mul_f32 v33, 0x3f317218, v23 :: v_dual_sub_f32 v24, v24, v29
	v_add_f32_e32 v30, v32, v31
	s_delay_alu instid0(VALU_DEP_2) | instskip(NEXT) | instid1(VALU_DEP_2)
	v_ldexp_f32 v24, v24, 1
	v_sub_f32_e32 v29, v30, v32
	s_delay_alu instid0(VALU_DEP_4) | instskip(NEXT) | instid1(VALU_DEP_2)
	v_fma_f32 v32, 0x3f317218, v23, -v33
	v_sub_f32_e32 v29, v31, v29
	s_delay_alu instid0(VALU_DEP_1) | instskip(NEXT) | instid1(VALU_DEP_1)
	v_dual_fmamk_f32 v23, v23, 0xb102e308, v32 :: v_dual_add_f32 v24, v24, v29
	v_add_f32_e32 v29, v33, v23
	s_delay_alu instid0(VALU_DEP_2) | instskip(NEXT) | instid1(VALU_DEP_2)
	v_add_f32_e32 v31, v30, v24
	v_sub_f32_e32 v33, v29, v33
	s_delay_alu instid0(VALU_DEP_2) | instskip(SKIP_1) | instid1(VALU_DEP_3)
	v_add_f32_e32 v32, v29, v31
	v_sub_f32_e32 v30, v31, v30
	v_sub_f32_e32 v23, v23, v33
	s_delay_alu instid0(VALU_DEP_3) | instskip(NEXT) | instid1(VALU_DEP_3)
	v_sub_f32_e32 v34, v32, v29
	v_sub_f32_e32 v24, v24, v30
	s_delay_alu instid0(VALU_DEP_2) | instskip(SKIP_1) | instid1(VALU_DEP_3)
	v_sub_f32_e32 v35, v32, v34
	v_sub_f32_e32 v30, v31, v34
	v_add_f32_e32 v31, v23, v24
	s_delay_alu instid0(VALU_DEP_3) | instskip(NEXT) | instid1(VALU_DEP_1)
	v_sub_f32_e32 v29, v29, v35
	v_dual_add_f32 v29, v30, v29 :: v_dual_sub_f32 v30, v31, v23
	s_delay_alu instid0(VALU_DEP_1) | instskip(NEXT) | instid1(VALU_DEP_2)
	v_add_f32_e32 v29, v31, v29
	v_sub_f32_e32 v31, v31, v30
	v_sub_f32_e32 v24, v24, v30
	s_delay_alu instid0(VALU_DEP_3) | instskip(NEXT) | instid1(VALU_DEP_1)
	v_add_f32_e32 v33, v32, v29
	v_dual_sub_f32 v23, v23, v31 :: v_dual_sub_f32 v30, v33, v32
	s_delay_alu instid0(VALU_DEP_1) | instskip(NEXT) | instid1(VALU_DEP_1)
	v_dual_add_f32 v23, v24, v23 :: v_dual_sub_f32 v24, v29, v30
	v_add_f32_e32 v23, v23, v24
	s_delay_alu instid0(VALU_DEP_1) | instskip(NEXT) | instid1(VALU_DEP_1)
	v_add_f32_e32 v23, v33, v23
	v_cndmask_b32_e64 v23, v23, v28, s38
	s_delay_alu instid0(VALU_DEP_1) | instskip(NEXT) | instid1(VALU_DEP_1)
	v_add_f32_e32 v22, v22, v23
	v_cvt_f16_f32_e32 v28, v22
	s_delay_alu instid0(VALU_DEP_1)
	v_mov_b32_e32 v29, v28
	v_cvt_f32_f16_e32 v30, v28
.LBB420_74:
	s_or_b32 exec_lo, exec_lo, s39
	v_lshrrev_b32_e32 v7, 16, v7
	s_delay_alu instid0(VALU_DEP_2) | instskip(SKIP_1) | instid1(VALU_DEP_3)
	v_max_f32_e32 v23, v30, v30
	v_cmp_u_f16_e64 s38, v28, v28
	v_cvt_f32_f16_e32 v22, v7
	s_delay_alu instid0(VALU_DEP_1) | instskip(SKIP_1) | instid1(VALU_DEP_2)
	v_min_f32_e32 v24, v23, v22
	v_max_f32_e32 v23, v23, v22
	v_cndmask_b32_e64 v24, v24, v30, s38
	s_delay_alu instid0(VALU_DEP_2) | instskip(SKIP_1) | instid1(VALU_DEP_1)
	v_cndmask_b32_e64 v31, v23, v30, s38
	v_cmp_u_f16_e64 s38, v7, v7
	v_cndmask_b32_e64 v23, v24, v22, s38
	s_delay_alu instid0(VALU_DEP_3) | instskip(NEXT) | instid1(VALU_DEP_2)
	v_cndmask_b32_e64 v7, v31, v22, s38
	v_cmp_class_f32_e64 s40, v23, 0x1f8
	s_delay_alu instid0(VALU_DEP_2) | instskip(NEXT) | instid1(VALU_DEP_1)
	v_cmp_neq_f32_e64 s39, v23, v7
	s_or_b32 s39, s39, s40
	s_delay_alu instid0(SALU_CYCLE_1)
	s_and_saveexec_b32 s40, s39
	s_cbranch_execz .LBB420_76
; %bb.75:
	v_sub_f32_e32 v23, v23, v7
	s_delay_alu instid0(VALU_DEP_1) | instskip(NEXT) | instid1(VALU_DEP_1)
	v_mul_f32_e32 v24, 0x3fb8aa3b, v23
	v_fma_f32 v28, 0x3fb8aa3b, v23, -v24
	v_rndne_f32_e32 v29, v24
	s_delay_alu instid0(VALU_DEP_1) | instskip(NEXT) | instid1(VALU_DEP_3)
	v_sub_f32_e32 v24, v24, v29
	v_fmamk_f32 v28, v23, 0x32a5705f, v28
	v_cmp_ngt_f32_e64 s39, 0xc2ce8ed0, v23
	s_delay_alu instid0(VALU_DEP_2) | instskip(SKIP_1) | instid1(VALU_DEP_2)
	v_add_f32_e32 v24, v24, v28
	v_cvt_i32_f32_e32 v28, v29
	v_exp_f32_e32 v24, v24
	s_waitcnt_depctr 0xfff
	v_ldexp_f32 v24, v24, v28
	s_delay_alu instid0(VALU_DEP_1) | instskip(SKIP_1) | instid1(VALU_DEP_1)
	v_cndmask_b32_e64 v24, 0, v24, s39
	v_cmp_nlt_f32_e64 s39, 0x42b17218, v23
	v_cndmask_b32_e64 v28, 0x7f800000, v24, s39
	s_delay_alu instid0(VALU_DEP_1) | instskip(SKIP_1) | instid1(VALU_DEP_2)
	v_add_f32_e32 v29, 1.0, v28
	v_cmp_gt_f32_e64 s41, 0x33800000, |v28|
	v_cvt_f64_f32_e32 v[23:24], v29
	s_delay_alu instid0(VALU_DEP_1) | instskip(SKIP_1) | instid1(VALU_DEP_1)
	v_frexp_exp_i32_f64_e32 v23, v[23:24]
	v_frexp_mant_f32_e32 v24, v29
	v_cmp_gt_f32_e64 s39, 0x3f2aaaab, v24
	v_add_f32_e32 v24, -1.0, v29
	s_delay_alu instid0(VALU_DEP_1) | instskip(NEXT) | instid1(VALU_DEP_1)
	v_sub_f32_e32 v31, v24, v29
	v_add_f32_e32 v31, 1.0, v31
	s_delay_alu instid0(VALU_DEP_4) | instskip(SKIP_1) | instid1(VALU_DEP_1)
	v_subrev_co_ci_u32_e64 v23, s39, 0, v23, s39
	s_mov_b32 s39, 0x3e9b6dac
	v_sub_nc_u32_e32 v30, 0, v23
	v_cvt_f32_i32_e32 v23, v23
	s_delay_alu instid0(VALU_DEP_2) | instskip(SKIP_1) | instid1(VALU_DEP_1)
	v_ldexp_f32 v29, v29, v30
	v_sub_f32_e32 v24, v28, v24
	v_add_f32_e32 v24, v24, v31
	s_delay_alu instid0(VALU_DEP_1) | instskip(NEXT) | instid1(VALU_DEP_4)
	v_ldexp_f32 v24, v24, v30
	v_add_f32_e32 v30, -1.0, v29
	s_delay_alu instid0(VALU_DEP_1) | instskip(NEXT) | instid1(VALU_DEP_1)
	v_dual_add_f32 v32, 1.0, v29 :: v_dual_add_f32 v33, 1.0, v30
	v_add_f32_e32 v31, -1.0, v32
	s_delay_alu instid0(VALU_DEP_1) | instskip(NEXT) | instid1(VALU_DEP_3)
	v_sub_f32_e32 v31, v29, v31
	v_sub_f32_e32 v29, v29, v33
	s_delay_alu instid0(VALU_DEP_2) | instskip(NEXT) | instid1(VALU_DEP_2)
	v_add_f32_e32 v31, v24, v31
	v_add_f32_e32 v24, v24, v29
	s_delay_alu instid0(VALU_DEP_1) | instskip(NEXT) | instid1(VALU_DEP_1)
	v_dual_add_f32 v33, v32, v31 :: v_dual_add_f32 v34, v30, v24
	v_rcp_f32_e32 v29, v33
	v_sub_f32_e32 v32, v32, v33
	s_delay_alu instid0(VALU_DEP_1) | instskip(SKIP_2) | instid1(VALU_DEP_1)
	v_dual_sub_f32 v30, v30, v34 :: v_dual_add_f32 v31, v31, v32
	s_waitcnt_depctr 0xfff
	v_dual_add_f32 v24, v24, v30 :: v_dual_mul_f32 v35, v34, v29
	v_mul_f32_e32 v36, v33, v35
	s_delay_alu instid0(VALU_DEP_1) | instskip(NEXT) | instid1(VALU_DEP_1)
	v_fma_f32 v32, v35, v33, -v36
	v_fmac_f32_e32 v32, v35, v31
	s_delay_alu instid0(VALU_DEP_1) | instskip(NEXT) | instid1(VALU_DEP_1)
	v_add_f32_e32 v37, v36, v32
	v_sub_f32_e32 v38, v34, v37
	s_delay_alu instid0(VALU_DEP_1) | instskip(SKIP_1) | instid1(VALU_DEP_2)
	v_sub_f32_e32 v34, v34, v38
	v_sub_f32_e32 v30, v37, v36
	;; [unrolled: 1-line block ×3, first 2 shown]
	s_delay_alu instid0(VALU_DEP_2) | instskip(NEXT) | instid1(VALU_DEP_2)
	v_sub_f32_e32 v30, v30, v32
	v_add_f32_e32 v24, v24, v34
	s_delay_alu instid0(VALU_DEP_1) | instskip(NEXT) | instid1(VALU_DEP_1)
	v_add_f32_e32 v24, v30, v24
	v_add_f32_e32 v30, v38, v24
	s_delay_alu instid0(VALU_DEP_1) | instskip(NEXT) | instid1(VALU_DEP_1)
	v_mul_f32_e32 v32, v29, v30
	v_mul_f32_e32 v34, v33, v32
	s_delay_alu instid0(VALU_DEP_1) | instskip(NEXT) | instid1(VALU_DEP_1)
	v_fma_f32 v33, v32, v33, -v34
	v_fmac_f32_e32 v33, v32, v31
	v_sub_f32_e32 v37, v38, v30
	s_delay_alu instid0(VALU_DEP_2) | instskip(NEXT) | instid1(VALU_DEP_2)
	v_add_f32_e32 v31, v34, v33
	v_add_f32_e32 v24, v24, v37
	s_delay_alu instid0(VALU_DEP_2) | instskip(SKIP_1) | instid1(VALU_DEP_2)
	v_sub_f32_e32 v36, v30, v31
	v_sub_f32_e32 v34, v31, v34
	;; [unrolled: 1-line block ×3, first 2 shown]
	s_delay_alu instid0(VALU_DEP_1) | instskip(NEXT) | instid1(VALU_DEP_1)
	v_sub_f32_e32 v30, v30, v31
	v_dual_sub_f32 v31, v34, v33 :: v_dual_add_f32 v24, v24, v30
	v_add_f32_e32 v30, v35, v32
	s_delay_alu instid0(VALU_DEP_1) | instskip(NEXT) | instid1(VALU_DEP_1)
	v_dual_add_f32 v24, v31, v24 :: v_dual_sub_f32 v31, v30, v35
	v_add_f32_e32 v24, v36, v24
	s_delay_alu instid0(VALU_DEP_1) | instskip(NEXT) | instid1(VALU_DEP_1)
	v_dual_sub_f32 v31, v32, v31 :: v_dual_mul_f32 v24, v29, v24
	v_add_f32_e32 v24, v31, v24
	s_delay_alu instid0(VALU_DEP_1) | instskip(NEXT) | instid1(VALU_DEP_1)
	v_add_f32_e32 v29, v30, v24
	v_mul_f32_e32 v31, v29, v29
	s_delay_alu instid0(VALU_DEP_1) | instskip(SKIP_2) | instid1(VALU_DEP_3)
	v_fmaak_f32 v32, s39, v31, 0x3ecc95a3
	v_mul_f32_e32 v33, v29, v31
	v_cmp_eq_f32_e64 s39, 0x7f800000, v28
	v_fmaak_f32 v31, v31, v32, 0x3f2aaada
	v_ldexp_f32 v32, v29, 1
	v_sub_f32_e32 v29, v29, v30
	s_delay_alu instid0(VALU_DEP_4) | instskip(NEXT) | instid1(VALU_DEP_3)
	s_or_b32 s39, s39, s41
	v_mul_f32_e32 v31, v33, v31
	s_delay_alu instid0(VALU_DEP_2) | instskip(NEXT) | instid1(VALU_DEP_2)
	v_dual_mul_f32 v33, 0x3f317218, v23 :: v_dual_sub_f32 v24, v24, v29
	v_add_f32_e32 v30, v32, v31
	s_delay_alu instid0(VALU_DEP_2) | instskip(NEXT) | instid1(VALU_DEP_2)
	v_ldexp_f32 v24, v24, 1
	v_sub_f32_e32 v29, v30, v32
	s_delay_alu instid0(VALU_DEP_4) | instskip(NEXT) | instid1(VALU_DEP_2)
	v_fma_f32 v32, 0x3f317218, v23, -v33
	v_sub_f32_e32 v29, v31, v29
	s_delay_alu instid0(VALU_DEP_1) | instskip(NEXT) | instid1(VALU_DEP_1)
	v_dual_fmamk_f32 v23, v23, 0xb102e308, v32 :: v_dual_add_f32 v24, v24, v29
	v_add_f32_e32 v29, v33, v23
	s_delay_alu instid0(VALU_DEP_2) | instskip(NEXT) | instid1(VALU_DEP_2)
	v_add_f32_e32 v31, v30, v24
	v_sub_f32_e32 v33, v29, v33
	s_delay_alu instid0(VALU_DEP_2) | instskip(SKIP_1) | instid1(VALU_DEP_3)
	v_add_f32_e32 v32, v29, v31
	v_sub_f32_e32 v30, v31, v30
	v_sub_f32_e32 v23, v23, v33
	s_delay_alu instid0(VALU_DEP_3) | instskip(NEXT) | instid1(VALU_DEP_3)
	v_sub_f32_e32 v34, v32, v29
	v_sub_f32_e32 v24, v24, v30
	s_delay_alu instid0(VALU_DEP_2) | instskip(SKIP_1) | instid1(VALU_DEP_3)
	v_sub_f32_e32 v35, v32, v34
	v_sub_f32_e32 v30, v31, v34
	v_add_f32_e32 v31, v23, v24
	s_delay_alu instid0(VALU_DEP_3) | instskip(NEXT) | instid1(VALU_DEP_1)
	v_sub_f32_e32 v29, v29, v35
	v_dual_add_f32 v29, v30, v29 :: v_dual_sub_f32 v30, v31, v23
	s_delay_alu instid0(VALU_DEP_1) | instskip(NEXT) | instid1(VALU_DEP_2)
	v_add_f32_e32 v29, v31, v29
	v_sub_f32_e32 v31, v31, v30
	v_sub_f32_e32 v24, v24, v30
	s_delay_alu instid0(VALU_DEP_3) | instskip(NEXT) | instid1(VALU_DEP_1)
	v_add_f32_e32 v33, v32, v29
	v_dual_sub_f32 v23, v23, v31 :: v_dual_sub_f32 v30, v33, v32
	s_delay_alu instid0(VALU_DEP_1) | instskip(NEXT) | instid1(VALU_DEP_1)
	v_dual_add_f32 v23, v24, v23 :: v_dual_sub_f32 v24, v29, v30
	v_add_f32_e32 v23, v23, v24
	s_delay_alu instid0(VALU_DEP_1) | instskip(NEXT) | instid1(VALU_DEP_1)
	v_add_f32_e32 v23, v33, v23
	v_cndmask_b32_e64 v23, v23, v28, s39
	s_delay_alu instid0(VALU_DEP_1) | instskip(NEXT) | instid1(VALU_DEP_1)
	v_add_f32_e32 v7, v7, v23
	v_cvt_f16_f32_e32 v28, v7
	s_delay_alu instid0(VALU_DEP_1)
	v_mov_b32_e32 v29, v28
	v_cvt_f32_f16_e32 v30, v28
.LBB420_76:
	s_or_b32 exec_lo, exec_lo, s40
	v_cvt_f32_f16_e32 v7, v4
	s_delay_alu instid0(VALU_DEP_2) | instskip(SKIP_1) | instid1(VALU_DEP_2)
	v_max_f32_e32 v23, v30, v30
	v_cmp_u_f16_e64 s39, v28, v28
	v_min_f32_e32 v24, v23, v7
	v_max_f32_e32 v23, v23, v7
	s_delay_alu instid0(VALU_DEP_2) | instskip(NEXT) | instid1(VALU_DEP_2)
	v_cndmask_b32_e64 v24, v24, v30, s39
	v_cndmask_b32_e64 v23, v23, v30, s39
	v_cmp_u_f16_e64 s39, v4, v4
	s_delay_alu instid0(VALU_DEP_1) | instskip(NEXT) | instid1(VALU_DEP_3)
	v_cndmask_b32_e64 v24, v24, v7, s39
	v_cndmask_b32_e64 v23, v23, v7, s39
	s_delay_alu instid0(VALU_DEP_2) | instskip(NEXT) | instid1(VALU_DEP_2)
	v_cmp_class_f32_e64 s41, v24, 0x1f8
	v_cmp_neq_f32_e64 s40, v24, v23
	s_delay_alu instid0(VALU_DEP_1) | instskip(NEXT) | instid1(SALU_CYCLE_1)
	s_or_b32 s40, s40, s41
	s_and_saveexec_b32 s41, s40
	s_cbranch_execz .LBB420_78
; %bb.77:
	v_sub_f32_e32 v24, v24, v23
	s_delay_alu instid0(VALU_DEP_1) | instskip(SKIP_1) | instid1(VALU_DEP_2)
	v_mul_f32_e32 v28, 0x3fb8aa3b, v24
	v_cmp_ngt_f32_e64 s40, 0xc2ce8ed0, v24
	v_fma_f32 v29, 0x3fb8aa3b, v24, -v28
	v_rndne_f32_e32 v30, v28
	s_delay_alu instid0(VALU_DEP_2) | instskip(NEXT) | instid1(VALU_DEP_2)
	v_fmamk_f32 v29, v24, 0x32a5705f, v29
	v_sub_f32_e32 v28, v28, v30
	s_delay_alu instid0(VALU_DEP_1) | instskip(SKIP_1) | instid1(VALU_DEP_2)
	v_add_f32_e32 v28, v28, v29
	v_cvt_i32_f32_e32 v29, v30
	v_exp_f32_e32 v28, v28
	s_waitcnt_depctr 0xfff
	v_ldexp_f32 v28, v28, v29
	s_delay_alu instid0(VALU_DEP_1) | instskip(SKIP_1) | instid1(VALU_DEP_1)
	v_cndmask_b32_e64 v28, 0, v28, s40
	v_cmp_nlt_f32_e64 s40, 0x42b17218, v24
	v_cndmask_b32_e64 v24, 0x7f800000, v28, s40
	s_delay_alu instid0(VALU_DEP_1) | instskip(SKIP_1) | instid1(VALU_DEP_2)
	v_add_f32_e32 v30, 1.0, v24
	v_cmp_gt_f32_e64 s42, 0x33800000, |v24|
	v_cvt_f64_f32_e32 v[28:29], v30
	s_delay_alu instid0(VALU_DEP_1) | instskip(SKIP_1) | instid1(VALU_DEP_1)
	v_frexp_exp_i32_f64_e32 v28, v[28:29]
	v_frexp_mant_f32_e32 v29, v30
	v_cmp_gt_f32_e64 s40, 0x3f2aaaab, v29
	v_add_f32_e32 v29, -1.0, v30
	s_delay_alu instid0(VALU_DEP_1) | instskip(NEXT) | instid1(VALU_DEP_3)
	v_dual_sub_f32 v32, v29, v30 :: v_dual_sub_f32 v29, v24, v29
	v_subrev_co_ci_u32_e64 v28, s40, 0, v28, s40
	s_mov_b32 s40, 0x3e9b6dac
	s_delay_alu instid0(VALU_DEP_1) | instskip(SKIP_1) | instid1(VALU_DEP_2)
	v_sub_nc_u32_e32 v31, 0, v28
	v_cvt_f32_i32_e32 v28, v28
	v_ldexp_f32 v30, v30, v31
	s_delay_alu instid0(VALU_DEP_1) | instskip(NEXT) | instid1(VALU_DEP_1)
	v_dual_add_f32 v32, 1.0, v32 :: v_dual_add_f32 v33, 1.0, v30
	v_add_f32_e32 v29, v29, v32
	s_delay_alu instid0(VALU_DEP_1) | instskip(NEXT) | instid1(VALU_DEP_3)
	v_ldexp_f32 v29, v29, v31
	v_dual_add_f32 v31, -1.0, v30 :: v_dual_add_f32 v32, -1.0, v33
	s_delay_alu instid0(VALU_DEP_1) | instskip(NEXT) | instid1(VALU_DEP_2)
	v_add_f32_e32 v34, 1.0, v31
	v_sub_f32_e32 v32, v30, v32
	s_delay_alu instid0(VALU_DEP_2) | instskip(NEXT) | instid1(VALU_DEP_2)
	v_sub_f32_e32 v30, v30, v34
	v_add_f32_e32 v32, v29, v32
	s_delay_alu instid0(VALU_DEP_2) | instskip(NEXT) | instid1(VALU_DEP_1)
	v_add_f32_e32 v29, v29, v30
	v_dual_add_f32 v35, v31, v29 :: v_dual_add_f32 v34, v33, v32
	s_delay_alu instid0(VALU_DEP_1) | instskip(NEXT) | instid1(VALU_DEP_2)
	v_sub_f32_e32 v31, v31, v35
	v_rcp_f32_e32 v30, v34
	v_sub_f32_e32 v33, v33, v34
	s_delay_alu instid0(VALU_DEP_1) | instskip(SKIP_2) | instid1(VALU_DEP_1)
	v_dual_add_f32 v29, v29, v31 :: v_dual_add_f32 v32, v32, v33
	s_waitcnt_depctr 0xfff
	v_mul_f32_e32 v36, v35, v30
	v_mul_f32_e32 v37, v34, v36
	s_delay_alu instid0(VALU_DEP_1) | instskip(NEXT) | instid1(VALU_DEP_1)
	v_fma_f32 v33, v36, v34, -v37
	v_fmac_f32_e32 v33, v36, v32
	s_delay_alu instid0(VALU_DEP_1) | instskip(NEXT) | instid1(VALU_DEP_1)
	v_add_f32_e32 v38, v37, v33
	v_sub_f32_e32 v39, v35, v38
	v_sub_f32_e32 v31, v38, v37
	s_delay_alu instid0(VALU_DEP_2) | instskip(NEXT) | instid1(VALU_DEP_2)
	v_sub_f32_e32 v35, v35, v39
	v_sub_f32_e32 v31, v31, v33
	s_delay_alu instid0(VALU_DEP_2) | instskip(NEXT) | instid1(VALU_DEP_1)
	v_sub_f32_e32 v35, v35, v38
	v_add_f32_e32 v29, v29, v35
	s_delay_alu instid0(VALU_DEP_1) | instskip(NEXT) | instid1(VALU_DEP_1)
	v_add_f32_e32 v29, v31, v29
	v_add_f32_e32 v31, v39, v29
	s_delay_alu instid0(VALU_DEP_1) | instskip(NEXT) | instid1(VALU_DEP_1)
	v_mul_f32_e32 v33, v30, v31
	v_dual_sub_f32 v38, v39, v31 :: v_dual_mul_f32 v35, v34, v33
	s_delay_alu instid0(VALU_DEP_1) | instskip(NEXT) | instid1(VALU_DEP_2)
	v_add_f32_e32 v29, v29, v38
	v_fma_f32 v34, v33, v34, -v35
	s_delay_alu instid0(VALU_DEP_1) | instskip(NEXT) | instid1(VALU_DEP_1)
	v_fmac_f32_e32 v34, v33, v32
	v_add_f32_e32 v32, v35, v34
	s_delay_alu instid0(VALU_DEP_1) | instskip(NEXT) | instid1(VALU_DEP_1)
	v_sub_f32_e32 v37, v31, v32
	v_sub_f32_e32 v31, v31, v37
	s_delay_alu instid0(VALU_DEP_1) | instskip(NEXT) | instid1(VALU_DEP_1)
	v_sub_f32_e32 v31, v31, v32
	v_add_f32_e32 v29, v29, v31
	v_add_f32_e32 v31, v36, v33
	v_sub_f32_e32 v35, v32, v35
	s_delay_alu instid0(VALU_DEP_1) | instskip(NEXT) | instid1(VALU_DEP_1)
	v_sub_f32_e32 v32, v35, v34
	v_dual_add_f32 v29, v32, v29 :: v_dual_sub_f32 v32, v31, v36
	s_delay_alu instid0(VALU_DEP_1) | instskip(NEXT) | instid1(VALU_DEP_1)
	v_add_f32_e32 v29, v37, v29
	v_dual_sub_f32 v32, v33, v32 :: v_dual_mul_f32 v29, v30, v29
	s_delay_alu instid0(VALU_DEP_1) | instskip(NEXT) | instid1(VALU_DEP_1)
	v_add_f32_e32 v29, v32, v29
	v_add_f32_e32 v30, v31, v29
	s_delay_alu instid0(VALU_DEP_1) | instskip(NEXT) | instid1(VALU_DEP_1)
	v_mul_f32_e32 v32, v30, v30
	v_fmaak_f32 v33, s40, v32, 0x3ecc95a3
	v_mul_f32_e32 v34, v30, v32
	v_cmp_eq_f32_e64 s40, 0x7f800000, v24
	s_delay_alu instid0(VALU_DEP_3) | instskip(SKIP_2) | instid1(VALU_DEP_4)
	v_fmaak_f32 v32, v32, v33, 0x3f2aaada
	v_ldexp_f32 v33, v30, 1
	v_sub_f32_e32 v30, v30, v31
	s_or_b32 s40, s40, s42
	s_delay_alu instid0(VALU_DEP_3) | instskip(NEXT) | instid1(VALU_DEP_2)
	v_mul_f32_e32 v32, v34, v32
	v_dual_mul_f32 v34, 0x3f317218, v28 :: v_dual_sub_f32 v29, v29, v30
	s_delay_alu instid0(VALU_DEP_2) | instskip(NEXT) | instid1(VALU_DEP_2)
	v_add_f32_e32 v31, v33, v32
	v_ldexp_f32 v29, v29, 1
	s_delay_alu instid0(VALU_DEP_2) | instskip(NEXT) | instid1(VALU_DEP_4)
	v_sub_f32_e32 v30, v31, v33
	v_fma_f32 v33, 0x3f317218, v28, -v34
	s_delay_alu instid0(VALU_DEP_2) | instskip(NEXT) | instid1(VALU_DEP_1)
	v_sub_f32_e32 v30, v32, v30
	v_dual_fmamk_f32 v28, v28, 0xb102e308, v33 :: v_dual_add_f32 v29, v29, v30
	s_delay_alu instid0(VALU_DEP_1) | instskip(NEXT) | instid1(VALU_DEP_1)
	v_add_f32_e32 v30, v34, v28
	v_sub_f32_e32 v34, v30, v34
	s_delay_alu instid0(VALU_DEP_1) | instskip(NEXT) | instid1(VALU_DEP_4)
	v_sub_f32_e32 v28, v28, v34
	v_add_f32_e32 v32, v31, v29
	s_delay_alu instid0(VALU_DEP_1) | instskip(NEXT) | instid1(VALU_DEP_1)
	v_sub_f32_e32 v31, v32, v31
	v_sub_f32_e32 v29, v29, v31
	v_add_f32_e32 v33, v30, v32
	s_delay_alu instid0(VALU_DEP_1) | instskip(NEXT) | instid1(VALU_DEP_1)
	v_sub_f32_e32 v35, v33, v30
	v_sub_f32_e32 v31, v32, v35
	s_delay_alu instid0(VALU_DEP_4) | instskip(SKIP_1) | instid1(VALU_DEP_1)
	v_add_f32_e32 v32, v28, v29
	v_sub_f32_e32 v36, v33, v35
	v_sub_f32_e32 v30, v30, v36
	s_delay_alu instid0(VALU_DEP_1) | instskip(NEXT) | instid1(VALU_DEP_1)
	v_dual_add_f32 v30, v31, v30 :: v_dual_sub_f32 v31, v32, v28
	v_dual_add_f32 v30, v32, v30 :: v_dual_sub_f32 v29, v29, v31
	v_sub_f32_e32 v32, v32, v31
	s_delay_alu instid0(VALU_DEP_2) | instskip(NEXT) | instid1(VALU_DEP_1)
	v_add_f32_e32 v34, v33, v30
	v_dual_sub_f32 v28, v28, v32 :: v_dual_sub_f32 v31, v34, v33
	s_delay_alu instid0(VALU_DEP_1) | instskip(NEXT) | instid1(VALU_DEP_1)
	v_dual_add_f32 v28, v29, v28 :: v_dual_sub_f32 v29, v30, v31
	v_add_f32_e32 v28, v28, v29
	s_delay_alu instid0(VALU_DEP_1) | instskip(NEXT) | instid1(VALU_DEP_1)
	v_add_f32_e32 v28, v34, v28
	v_cndmask_b32_e64 v24, v28, v24, s40
	s_delay_alu instid0(VALU_DEP_1) | instskip(NEXT) | instid1(VALU_DEP_1)
	v_add_f32_e32 v23, v23, v24
	v_cvt_f16_f32_e32 v28, v23
	s_delay_alu instid0(VALU_DEP_1)
	v_cvt_f32_f16_e32 v30, v28
	v_mov_b32_e32 v29, v28
.LBB420_78:
	s_or_b32 exec_lo, exec_lo, s41
	v_lshrrev_b32_e32 v4, 16, v4
	s_delay_alu instid0(VALU_DEP_3) | instskip(SKIP_1) | instid1(VALU_DEP_3)
	v_max_f32_e32 v24, v30, v30
	v_cmp_u_f16_e64 s40, v28, v28
	v_cvt_f32_f16_e32 v23, v4
	s_delay_alu instid0(VALU_DEP_1) | instskip(SKIP_1) | instid1(VALU_DEP_2)
	v_min_f32_e32 v31, v24, v23
	v_max_f32_e32 v24, v24, v23
	v_cndmask_b32_e64 v31, v31, v30, s40
	s_delay_alu instid0(VALU_DEP_2) | instskip(SKIP_1) | instid1(VALU_DEP_1)
	v_cndmask_b32_e64 v32, v24, v30, s40
	v_cmp_u_f16_e64 s40, v4, v4
	v_cndmask_b32_e64 v24, v31, v23, s40
	s_delay_alu instid0(VALU_DEP_3) | instskip(NEXT) | instid1(VALU_DEP_2)
	v_cndmask_b32_e64 v4, v32, v23, s40
	v_cmp_class_f32_e64 s42, v24, 0x1f8
	s_delay_alu instid0(VALU_DEP_2) | instskip(NEXT) | instid1(VALU_DEP_1)
	v_cmp_neq_f32_e64 s41, v24, v4
	s_or_b32 s41, s41, s42
	s_delay_alu instid0(SALU_CYCLE_1)
	s_and_saveexec_b32 s42, s41
	s_cbranch_execz .LBB420_80
; %bb.79:
	v_sub_f32_e32 v24, v24, v4
	s_delay_alu instid0(VALU_DEP_1) | instskip(SKIP_1) | instid1(VALU_DEP_2)
	v_mul_f32_e32 v28, 0x3fb8aa3b, v24
	v_cmp_ngt_f32_e64 s41, 0xc2ce8ed0, v24
	v_fma_f32 v29, 0x3fb8aa3b, v24, -v28
	v_rndne_f32_e32 v30, v28
	s_delay_alu instid0(VALU_DEP_2) | instskip(NEXT) | instid1(VALU_DEP_2)
	v_fmamk_f32 v29, v24, 0x32a5705f, v29
	v_sub_f32_e32 v28, v28, v30
	s_delay_alu instid0(VALU_DEP_1) | instskip(SKIP_1) | instid1(VALU_DEP_2)
	v_add_f32_e32 v28, v28, v29
	v_cvt_i32_f32_e32 v29, v30
	v_exp_f32_e32 v28, v28
	s_waitcnt_depctr 0xfff
	v_ldexp_f32 v28, v28, v29
	s_delay_alu instid0(VALU_DEP_1) | instskip(SKIP_1) | instid1(VALU_DEP_1)
	v_cndmask_b32_e64 v28, 0, v28, s41
	v_cmp_nlt_f32_e64 s41, 0x42b17218, v24
	v_cndmask_b32_e64 v24, 0x7f800000, v28, s41
	s_delay_alu instid0(VALU_DEP_1) | instskip(SKIP_1) | instid1(VALU_DEP_2)
	v_add_f32_e32 v30, 1.0, v24
	v_cmp_gt_f32_e64 s43, 0x33800000, |v24|
	v_cvt_f64_f32_e32 v[28:29], v30
	s_delay_alu instid0(VALU_DEP_1) | instskip(SKIP_1) | instid1(VALU_DEP_1)
	v_frexp_exp_i32_f64_e32 v28, v[28:29]
	v_frexp_mant_f32_e32 v29, v30
	v_cmp_gt_f32_e64 s41, 0x3f2aaaab, v29
	v_add_f32_e32 v29, -1.0, v30
	s_delay_alu instid0(VALU_DEP_1) | instskip(NEXT) | instid1(VALU_DEP_3)
	v_dual_sub_f32 v32, v29, v30 :: v_dual_sub_f32 v29, v24, v29
	v_subrev_co_ci_u32_e64 v28, s41, 0, v28, s41
	s_mov_b32 s41, 0x3e9b6dac
	s_delay_alu instid0(VALU_DEP_1) | instskip(SKIP_1) | instid1(VALU_DEP_2)
	v_sub_nc_u32_e32 v31, 0, v28
	v_cvt_f32_i32_e32 v28, v28
	v_ldexp_f32 v30, v30, v31
	s_delay_alu instid0(VALU_DEP_1) | instskip(NEXT) | instid1(VALU_DEP_1)
	v_dual_add_f32 v32, 1.0, v32 :: v_dual_add_f32 v33, 1.0, v30
	v_add_f32_e32 v29, v29, v32
	s_delay_alu instid0(VALU_DEP_1) | instskip(NEXT) | instid1(VALU_DEP_3)
	v_ldexp_f32 v29, v29, v31
	v_dual_add_f32 v31, -1.0, v30 :: v_dual_add_f32 v32, -1.0, v33
	s_delay_alu instid0(VALU_DEP_1) | instskip(NEXT) | instid1(VALU_DEP_2)
	v_add_f32_e32 v34, 1.0, v31
	v_sub_f32_e32 v32, v30, v32
	s_delay_alu instid0(VALU_DEP_2) | instskip(NEXT) | instid1(VALU_DEP_2)
	v_sub_f32_e32 v30, v30, v34
	v_add_f32_e32 v32, v29, v32
	s_delay_alu instid0(VALU_DEP_2) | instskip(NEXT) | instid1(VALU_DEP_1)
	v_add_f32_e32 v29, v29, v30
	v_dual_add_f32 v35, v31, v29 :: v_dual_add_f32 v34, v33, v32
	s_delay_alu instid0(VALU_DEP_1) | instskip(NEXT) | instid1(VALU_DEP_2)
	v_sub_f32_e32 v31, v31, v35
	v_rcp_f32_e32 v30, v34
	v_sub_f32_e32 v33, v33, v34
	s_delay_alu instid0(VALU_DEP_1) | instskip(SKIP_2) | instid1(VALU_DEP_1)
	v_dual_add_f32 v29, v29, v31 :: v_dual_add_f32 v32, v32, v33
	s_waitcnt_depctr 0xfff
	v_mul_f32_e32 v36, v35, v30
	v_mul_f32_e32 v37, v34, v36
	s_delay_alu instid0(VALU_DEP_1) | instskip(NEXT) | instid1(VALU_DEP_1)
	v_fma_f32 v33, v36, v34, -v37
	v_fmac_f32_e32 v33, v36, v32
	s_delay_alu instid0(VALU_DEP_1) | instskip(NEXT) | instid1(VALU_DEP_1)
	v_add_f32_e32 v38, v37, v33
	v_sub_f32_e32 v39, v35, v38
	v_sub_f32_e32 v31, v38, v37
	s_delay_alu instid0(VALU_DEP_2) | instskip(NEXT) | instid1(VALU_DEP_2)
	v_sub_f32_e32 v35, v35, v39
	v_sub_f32_e32 v31, v31, v33
	s_delay_alu instid0(VALU_DEP_2) | instskip(NEXT) | instid1(VALU_DEP_1)
	v_sub_f32_e32 v35, v35, v38
	v_add_f32_e32 v29, v29, v35
	s_delay_alu instid0(VALU_DEP_1) | instskip(NEXT) | instid1(VALU_DEP_1)
	v_add_f32_e32 v29, v31, v29
	v_add_f32_e32 v31, v39, v29
	s_delay_alu instid0(VALU_DEP_1) | instskip(NEXT) | instid1(VALU_DEP_1)
	v_mul_f32_e32 v33, v30, v31
	v_dual_sub_f32 v38, v39, v31 :: v_dual_mul_f32 v35, v34, v33
	s_delay_alu instid0(VALU_DEP_1) | instskip(NEXT) | instid1(VALU_DEP_2)
	v_add_f32_e32 v29, v29, v38
	v_fma_f32 v34, v33, v34, -v35
	s_delay_alu instid0(VALU_DEP_1) | instskip(NEXT) | instid1(VALU_DEP_1)
	v_fmac_f32_e32 v34, v33, v32
	v_add_f32_e32 v32, v35, v34
	s_delay_alu instid0(VALU_DEP_1) | instskip(NEXT) | instid1(VALU_DEP_1)
	v_sub_f32_e32 v37, v31, v32
	v_sub_f32_e32 v31, v31, v37
	s_delay_alu instid0(VALU_DEP_1) | instskip(NEXT) | instid1(VALU_DEP_1)
	v_sub_f32_e32 v31, v31, v32
	v_add_f32_e32 v29, v29, v31
	v_add_f32_e32 v31, v36, v33
	v_sub_f32_e32 v35, v32, v35
	s_delay_alu instid0(VALU_DEP_1) | instskip(NEXT) | instid1(VALU_DEP_1)
	v_sub_f32_e32 v32, v35, v34
	v_dual_add_f32 v29, v32, v29 :: v_dual_sub_f32 v32, v31, v36
	s_delay_alu instid0(VALU_DEP_1) | instskip(NEXT) | instid1(VALU_DEP_1)
	v_add_f32_e32 v29, v37, v29
	v_dual_sub_f32 v32, v33, v32 :: v_dual_mul_f32 v29, v30, v29
	s_delay_alu instid0(VALU_DEP_1) | instskip(NEXT) | instid1(VALU_DEP_1)
	v_add_f32_e32 v29, v32, v29
	v_add_f32_e32 v30, v31, v29
	s_delay_alu instid0(VALU_DEP_1) | instskip(NEXT) | instid1(VALU_DEP_1)
	v_mul_f32_e32 v32, v30, v30
	v_fmaak_f32 v33, s41, v32, 0x3ecc95a3
	v_mul_f32_e32 v34, v30, v32
	v_cmp_eq_f32_e64 s41, 0x7f800000, v24
	s_delay_alu instid0(VALU_DEP_3) | instskip(SKIP_2) | instid1(VALU_DEP_4)
	v_fmaak_f32 v32, v32, v33, 0x3f2aaada
	v_ldexp_f32 v33, v30, 1
	v_sub_f32_e32 v30, v30, v31
	s_or_b32 s41, s41, s43
	s_delay_alu instid0(VALU_DEP_3) | instskip(NEXT) | instid1(VALU_DEP_2)
	v_mul_f32_e32 v32, v34, v32
	v_dual_mul_f32 v34, 0x3f317218, v28 :: v_dual_sub_f32 v29, v29, v30
	s_delay_alu instid0(VALU_DEP_2) | instskip(NEXT) | instid1(VALU_DEP_2)
	v_add_f32_e32 v31, v33, v32
	v_ldexp_f32 v29, v29, 1
	s_delay_alu instid0(VALU_DEP_2) | instskip(NEXT) | instid1(VALU_DEP_4)
	v_sub_f32_e32 v30, v31, v33
	v_fma_f32 v33, 0x3f317218, v28, -v34
	s_delay_alu instid0(VALU_DEP_2) | instskip(NEXT) | instid1(VALU_DEP_1)
	v_sub_f32_e32 v30, v32, v30
	v_dual_fmamk_f32 v28, v28, 0xb102e308, v33 :: v_dual_add_f32 v29, v29, v30
	s_delay_alu instid0(VALU_DEP_1) | instskip(NEXT) | instid1(VALU_DEP_1)
	v_add_f32_e32 v30, v34, v28
	v_sub_f32_e32 v34, v30, v34
	s_delay_alu instid0(VALU_DEP_1) | instskip(NEXT) | instid1(VALU_DEP_4)
	v_sub_f32_e32 v28, v28, v34
	v_add_f32_e32 v32, v31, v29
	s_delay_alu instid0(VALU_DEP_1) | instskip(NEXT) | instid1(VALU_DEP_1)
	v_sub_f32_e32 v31, v32, v31
	v_sub_f32_e32 v29, v29, v31
	v_add_f32_e32 v33, v30, v32
	s_delay_alu instid0(VALU_DEP_1) | instskip(NEXT) | instid1(VALU_DEP_1)
	v_sub_f32_e32 v35, v33, v30
	v_sub_f32_e32 v31, v32, v35
	s_delay_alu instid0(VALU_DEP_4) | instskip(SKIP_1) | instid1(VALU_DEP_1)
	v_add_f32_e32 v32, v28, v29
	v_sub_f32_e32 v36, v33, v35
	v_sub_f32_e32 v30, v30, v36
	s_delay_alu instid0(VALU_DEP_1) | instskip(NEXT) | instid1(VALU_DEP_1)
	v_dual_add_f32 v30, v31, v30 :: v_dual_sub_f32 v31, v32, v28
	v_dual_add_f32 v30, v32, v30 :: v_dual_sub_f32 v29, v29, v31
	v_sub_f32_e32 v32, v32, v31
	s_delay_alu instid0(VALU_DEP_2) | instskip(NEXT) | instid1(VALU_DEP_1)
	v_add_f32_e32 v34, v33, v30
	v_dual_sub_f32 v28, v28, v32 :: v_dual_sub_f32 v31, v34, v33
	s_delay_alu instid0(VALU_DEP_1) | instskip(NEXT) | instid1(VALU_DEP_1)
	v_dual_add_f32 v28, v29, v28 :: v_dual_sub_f32 v29, v30, v31
	v_add_f32_e32 v28, v28, v29
	s_delay_alu instid0(VALU_DEP_1) | instskip(NEXT) | instid1(VALU_DEP_1)
	v_add_f32_e32 v28, v34, v28
	v_cndmask_b32_e64 v24, v28, v24, s41
	s_delay_alu instid0(VALU_DEP_1) | instskip(NEXT) | instid1(VALU_DEP_1)
	v_add_f32_e32 v4, v4, v24
	v_cvt_f16_f32_e32 v28, v4
	s_delay_alu instid0(VALU_DEP_1)
	v_cvt_f32_f16_e32 v30, v28
	v_mov_b32_e32 v29, v28
.LBB420_80:
	s_or_b32 exec_lo, exec_lo, s42
	v_cvt_f32_f16_e32 v4, v5
	s_delay_alu instid0(VALU_DEP_3) | instskip(SKIP_1) | instid1(VALU_DEP_2)
	v_max_f32_e32 v24, v30, v30
	v_cmp_u_f16_e64 s41, v28, v28
	v_min_f32_e32 v31, v24, v4
	v_max_f32_e32 v24, v24, v4
	s_delay_alu instid0(VALU_DEP_2) | instskip(NEXT) | instid1(VALU_DEP_2)
	v_cndmask_b32_e64 v31, v31, v30, s41
	v_cndmask_b32_e64 v24, v24, v30, s41
	v_cmp_u_f16_e64 s41, v5, v5
	s_delay_alu instid0(VALU_DEP_1) | instskip(NEXT) | instid1(VALU_DEP_3)
	v_cndmask_b32_e64 v31, v31, v4, s41
	v_cndmask_b32_e64 v24, v24, v4, s41
	s_delay_alu instid0(VALU_DEP_2) | instskip(NEXT) | instid1(VALU_DEP_2)
	v_cmp_class_f32_e64 s43, v31, 0x1f8
	v_cmp_neq_f32_e64 s42, v31, v24
	s_delay_alu instid0(VALU_DEP_1) | instskip(NEXT) | instid1(SALU_CYCLE_1)
	s_or_b32 s42, s42, s43
	s_and_saveexec_b32 s43, s42
	s_cbranch_execz .LBB420_82
; %bb.81:
	v_sub_f32_e32 v28, v31, v24
	s_delay_alu instid0(VALU_DEP_1) | instskip(NEXT) | instid1(VALU_DEP_1)
	v_mul_f32_e32 v29, 0x3fb8aa3b, v28
	v_fma_f32 v30, 0x3fb8aa3b, v28, -v29
	v_rndne_f32_e32 v31, v29
	s_delay_alu instid0(VALU_DEP_1) | instskip(SKIP_1) | instid1(VALU_DEP_2)
	v_dual_sub_f32 v29, v29, v31 :: v_dual_fmamk_f32 v30, v28, 0x32a5705f, v30
	v_cmp_ngt_f32_e64 s42, 0xc2ce8ed0, v28
	v_add_f32_e32 v29, v29, v30
	v_cvt_i32_f32_e32 v30, v31
	s_delay_alu instid0(VALU_DEP_2) | instskip(SKIP_2) | instid1(VALU_DEP_1)
	v_exp_f32_e32 v29, v29
	s_waitcnt_depctr 0xfff
	v_ldexp_f32 v29, v29, v30
	v_cndmask_b32_e64 v29, 0, v29, s42
	v_cmp_nlt_f32_e64 s42, 0x42b17218, v28
	s_delay_alu instid0(VALU_DEP_1) | instskip(NEXT) | instid1(VALU_DEP_1)
	v_cndmask_b32_e64 v30, 0x7f800000, v29, s42
	v_add_f32_e32 v31, 1.0, v30
	v_cmp_gt_f32_e64 s44, 0x33800000, |v30|
	s_delay_alu instid0(VALU_DEP_2) | instskip(NEXT) | instid1(VALU_DEP_1)
	v_cvt_f64_f32_e32 v[28:29], v31
	v_frexp_exp_i32_f64_e32 v28, v[28:29]
	v_frexp_mant_f32_e32 v29, v31
	s_delay_alu instid0(VALU_DEP_1) | instskip(SKIP_1) | instid1(VALU_DEP_1)
	v_cmp_gt_f32_e64 s42, 0x3f2aaaab, v29
	v_add_f32_e32 v29, -1.0, v31
	v_sub_f32_e32 v33, v29, v31
	v_sub_f32_e32 v29, v30, v29
	s_delay_alu instid0(VALU_DEP_4) | instskip(SKIP_1) | instid1(VALU_DEP_1)
	v_subrev_co_ci_u32_e64 v28, s42, 0, v28, s42
	s_mov_b32 s42, 0x3e9b6dac
	v_sub_nc_u32_e32 v32, 0, v28
	v_cvt_f32_i32_e32 v28, v28
	s_delay_alu instid0(VALU_DEP_2) | instskip(NEXT) | instid1(VALU_DEP_1)
	v_ldexp_f32 v31, v31, v32
	v_dual_add_f32 v34, 1.0, v31 :: v_dual_add_f32 v33, 1.0, v33
	s_delay_alu instid0(VALU_DEP_1) | instskip(NEXT) | instid1(VALU_DEP_2)
	v_add_f32_e32 v29, v29, v33
	v_add_f32_e32 v33, -1.0, v34
	s_delay_alu instid0(VALU_DEP_2) | instskip(NEXT) | instid1(VALU_DEP_2)
	v_ldexp_f32 v29, v29, v32
	v_dual_add_f32 v32, -1.0, v31 :: v_dual_sub_f32 v33, v31, v33
	s_delay_alu instid0(VALU_DEP_1) | instskip(NEXT) | instid1(VALU_DEP_2)
	v_add_f32_e32 v35, 1.0, v32
	v_add_f32_e32 v33, v29, v33
	s_delay_alu instid0(VALU_DEP_2) | instskip(NEXT) | instid1(VALU_DEP_2)
	v_sub_f32_e32 v31, v31, v35
	v_add_f32_e32 v35, v34, v33
	s_delay_alu instid0(VALU_DEP_2) | instskip(NEXT) | instid1(VALU_DEP_2)
	v_add_f32_e32 v29, v29, v31
	v_rcp_f32_e32 v31, v35
	v_sub_f32_e32 v34, v34, v35
	s_delay_alu instid0(VALU_DEP_1) | instskip(NEXT) | instid1(VALU_DEP_1)
	v_dual_add_f32 v36, v32, v29 :: v_dual_add_f32 v33, v33, v34
	v_sub_f32_e32 v32, v32, v36
	s_waitcnt_depctr 0xfff
	v_mul_f32_e32 v37, v36, v31
	s_delay_alu instid0(VALU_DEP_1) | instskip(NEXT) | instid1(VALU_DEP_1)
	v_dual_add_f32 v29, v29, v32 :: v_dual_mul_f32 v38, v35, v37
	v_fma_f32 v34, v37, v35, -v38
	s_delay_alu instid0(VALU_DEP_1) | instskip(NEXT) | instid1(VALU_DEP_1)
	v_fmac_f32_e32 v34, v37, v33
	v_add_f32_e32 v39, v38, v34
	s_delay_alu instid0(VALU_DEP_1) | instskip(SKIP_1) | instid1(VALU_DEP_2)
	v_sub_f32_e32 v40, v36, v39
	v_sub_f32_e32 v32, v39, v38
	;; [unrolled: 1-line block ×3, first 2 shown]
	s_delay_alu instid0(VALU_DEP_2) | instskip(NEXT) | instid1(VALU_DEP_2)
	v_sub_f32_e32 v32, v32, v34
	v_sub_f32_e32 v36, v36, v39
	s_delay_alu instid0(VALU_DEP_1) | instskip(NEXT) | instid1(VALU_DEP_1)
	v_add_f32_e32 v29, v29, v36
	v_add_f32_e32 v29, v32, v29
	s_delay_alu instid0(VALU_DEP_1) | instskip(NEXT) | instid1(VALU_DEP_1)
	v_add_f32_e32 v32, v40, v29
	v_mul_f32_e32 v34, v31, v32
	s_delay_alu instid0(VALU_DEP_1) | instskip(NEXT) | instid1(VALU_DEP_1)
	v_dual_sub_f32 v39, v40, v32 :: v_dual_mul_f32 v36, v35, v34
	v_add_f32_e32 v29, v29, v39
	s_delay_alu instid0(VALU_DEP_2) | instskip(NEXT) | instid1(VALU_DEP_1)
	v_fma_f32 v35, v34, v35, -v36
	v_fmac_f32_e32 v35, v34, v33
	s_delay_alu instid0(VALU_DEP_1) | instskip(NEXT) | instid1(VALU_DEP_1)
	v_add_f32_e32 v33, v36, v35
	v_sub_f32_e32 v38, v32, v33
	v_sub_f32_e32 v36, v33, v36
	s_delay_alu instid0(VALU_DEP_2) | instskip(NEXT) | instid1(VALU_DEP_1)
	v_sub_f32_e32 v32, v32, v38
	v_sub_f32_e32 v32, v32, v33
	s_delay_alu instid0(VALU_DEP_3) | instskip(NEXT) | instid1(VALU_DEP_2)
	v_sub_f32_e32 v33, v36, v35
	v_add_f32_e32 v29, v29, v32
	v_add_f32_e32 v32, v37, v34
	s_delay_alu instid0(VALU_DEP_2) | instskip(NEXT) | instid1(VALU_DEP_2)
	v_add_f32_e32 v29, v33, v29
	v_sub_f32_e32 v33, v32, v37
	s_delay_alu instid0(VALU_DEP_2) | instskip(NEXT) | instid1(VALU_DEP_2)
	v_add_f32_e32 v29, v38, v29
	v_sub_f32_e32 v33, v34, v33
	s_delay_alu instid0(VALU_DEP_2) | instskip(NEXT) | instid1(VALU_DEP_1)
	v_mul_f32_e32 v29, v31, v29
	v_add_f32_e32 v29, v33, v29
	s_delay_alu instid0(VALU_DEP_1) | instskip(NEXT) | instid1(VALU_DEP_1)
	v_add_f32_e32 v31, v32, v29
	v_mul_f32_e32 v33, v31, v31
	s_delay_alu instid0(VALU_DEP_1) | instskip(SKIP_2) | instid1(VALU_DEP_3)
	v_fmaak_f32 v34, s42, v33, 0x3ecc95a3
	v_mul_f32_e32 v35, v31, v33
	v_cmp_eq_f32_e64 s42, 0x7f800000, v30
	v_fmaak_f32 v33, v33, v34, 0x3f2aaada
	v_ldexp_f32 v34, v31, 1
	v_sub_f32_e32 v31, v31, v32
	s_delay_alu instid0(VALU_DEP_4) | instskip(NEXT) | instid1(VALU_DEP_3)
	s_or_b32 s42, s42, s44
	v_mul_f32_e32 v33, v35, v33
	v_mul_f32_e32 v35, 0x3f317218, v28
	s_delay_alu instid0(VALU_DEP_2) | instskip(NEXT) | instid1(VALU_DEP_1)
	v_dual_sub_f32 v29, v29, v31 :: v_dual_add_f32 v32, v34, v33
	v_ldexp_f32 v29, v29, 1
	s_delay_alu instid0(VALU_DEP_2) | instskip(NEXT) | instid1(VALU_DEP_4)
	v_sub_f32_e32 v31, v32, v34
	v_fma_f32 v34, 0x3f317218, v28, -v35
	s_delay_alu instid0(VALU_DEP_1) | instskip(NEXT) | instid1(VALU_DEP_1)
	v_dual_sub_f32 v31, v33, v31 :: v_dual_fmamk_f32 v28, v28, 0xb102e308, v34
	v_add_f32_e32 v29, v29, v31
	s_delay_alu instid0(VALU_DEP_2) | instskip(NEXT) | instid1(VALU_DEP_2)
	v_add_f32_e32 v31, v35, v28
	v_add_f32_e32 v33, v32, v29
	s_delay_alu instid0(VALU_DEP_2) | instskip(NEXT) | instid1(VALU_DEP_2)
	v_sub_f32_e32 v35, v31, v35
	v_add_f32_e32 v34, v31, v33
	v_sub_f32_e32 v32, v33, v32
	s_delay_alu instid0(VALU_DEP_3) | instskip(NEXT) | instid1(VALU_DEP_2)
	v_sub_f32_e32 v28, v28, v35
	v_dual_sub_f32 v36, v34, v31 :: v_dual_sub_f32 v29, v29, v32
	s_delay_alu instid0(VALU_DEP_1) | instskip(NEXT) | instid1(VALU_DEP_2)
	v_sub_f32_e32 v37, v34, v36
	v_dual_sub_f32 v32, v33, v36 :: v_dual_add_f32 v33, v28, v29
	s_delay_alu instid0(VALU_DEP_2) | instskip(NEXT) | instid1(VALU_DEP_1)
	v_sub_f32_e32 v31, v31, v37
	v_dual_add_f32 v31, v32, v31 :: v_dual_sub_f32 v32, v33, v28
	s_delay_alu instid0(VALU_DEP_1) | instskip(NEXT) | instid1(VALU_DEP_2)
	v_add_f32_e32 v31, v33, v31
	v_sub_f32_e32 v33, v33, v32
	v_sub_f32_e32 v29, v29, v32
	s_delay_alu instid0(VALU_DEP_2) | instskip(NEXT) | instid1(VALU_DEP_1)
	v_dual_add_f32 v35, v34, v31 :: v_dual_sub_f32 v28, v28, v33
	v_sub_f32_e32 v32, v35, v34
	s_delay_alu instid0(VALU_DEP_2) | instskip(NEXT) | instid1(VALU_DEP_2)
	v_add_f32_e32 v28, v29, v28
	v_sub_f32_e32 v29, v31, v32
	s_delay_alu instid0(VALU_DEP_1) | instskip(NEXT) | instid1(VALU_DEP_1)
	v_add_f32_e32 v28, v28, v29
	v_add_f32_e32 v28, v35, v28
	s_delay_alu instid0(VALU_DEP_1) | instskip(NEXT) | instid1(VALU_DEP_1)
	v_cndmask_b32_e64 v28, v28, v30, s42
	v_add_f32_e32 v24, v24, v28
	s_delay_alu instid0(VALU_DEP_1) | instskip(NEXT) | instid1(VALU_DEP_1)
	v_cvt_f16_f32_e32 v28, v24
	v_cvt_f32_f16_e32 v30, v28
	v_mov_b32_e32 v29, v28
.LBB420_82:
	s_or_b32 exec_lo, exec_lo, s43
	v_lshrrev_b32_e32 v5, 16, v5
	s_delay_alu instid0(VALU_DEP_3) | instskip(SKIP_1) | instid1(VALU_DEP_3)
	v_max_f32_e32 v31, v30, v30
	v_cmp_u_f16_e64 s42, v28, v28
	v_cvt_f32_f16_e32 v24, v5
	s_delay_alu instid0(VALU_DEP_1) | instskip(SKIP_1) | instid1(VALU_DEP_2)
	v_min_f32_e32 v32, v31, v24
	v_max_f32_e32 v31, v31, v24
	v_cndmask_b32_e64 v32, v32, v30, s42
	s_delay_alu instid0(VALU_DEP_2) | instskip(SKIP_1) | instid1(VALU_DEP_1)
	v_cndmask_b32_e64 v33, v31, v30, s42
	v_cmp_u_f16_e64 s42, v5, v5
	v_cndmask_b32_e64 v31, v32, v24, s42
	s_delay_alu instid0(VALU_DEP_3) | instskip(NEXT) | instid1(VALU_DEP_2)
	v_cndmask_b32_e64 v5, v33, v24, s42
	v_cmp_class_f32_e64 s44, v31, 0x1f8
	s_delay_alu instid0(VALU_DEP_2) | instskip(NEXT) | instid1(VALU_DEP_1)
	v_cmp_neq_f32_e64 s43, v31, v5
	s_or_b32 s43, s43, s44
	s_delay_alu instid0(SALU_CYCLE_1)
	s_and_saveexec_b32 s44, s43
	s_cbranch_execz .LBB420_84
; %bb.83:
	v_sub_f32_e32 v28, v31, v5
	s_delay_alu instid0(VALU_DEP_1) | instskip(NEXT) | instid1(VALU_DEP_1)
	v_mul_f32_e32 v29, 0x3fb8aa3b, v28
	v_fma_f32 v30, 0x3fb8aa3b, v28, -v29
	v_rndne_f32_e32 v31, v29
	s_delay_alu instid0(VALU_DEP_1) | instskip(SKIP_1) | instid1(VALU_DEP_2)
	v_dual_sub_f32 v29, v29, v31 :: v_dual_fmamk_f32 v30, v28, 0x32a5705f, v30
	v_cmp_ngt_f32_e64 s43, 0xc2ce8ed0, v28
	v_add_f32_e32 v29, v29, v30
	v_cvt_i32_f32_e32 v30, v31
	s_delay_alu instid0(VALU_DEP_2) | instskip(SKIP_2) | instid1(VALU_DEP_1)
	v_exp_f32_e32 v29, v29
	s_waitcnt_depctr 0xfff
	v_ldexp_f32 v29, v29, v30
	v_cndmask_b32_e64 v29, 0, v29, s43
	v_cmp_nlt_f32_e64 s43, 0x42b17218, v28
	s_delay_alu instid0(VALU_DEP_1) | instskip(NEXT) | instid1(VALU_DEP_1)
	v_cndmask_b32_e64 v30, 0x7f800000, v29, s43
	v_add_f32_e32 v31, 1.0, v30
	v_cmp_gt_f32_e64 s46, 0x33800000, |v30|
	s_delay_alu instid0(VALU_DEP_2) | instskip(NEXT) | instid1(VALU_DEP_1)
	v_cvt_f64_f32_e32 v[28:29], v31
	v_frexp_exp_i32_f64_e32 v28, v[28:29]
	v_frexp_mant_f32_e32 v29, v31
	s_delay_alu instid0(VALU_DEP_1) | instskip(SKIP_1) | instid1(VALU_DEP_1)
	v_cmp_gt_f32_e64 s43, 0x3f2aaaab, v29
	v_add_f32_e32 v29, -1.0, v31
	v_sub_f32_e32 v33, v29, v31
	v_sub_f32_e32 v29, v30, v29
	s_delay_alu instid0(VALU_DEP_4) | instskip(SKIP_1) | instid1(VALU_DEP_1)
	v_subrev_co_ci_u32_e64 v28, s43, 0, v28, s43
	s_mov_b32 s43, 0x3e9b6dac
	v_sub_nc_u32_e32 v32, 0, v28
	v_cvt_f32_i32_e32 v28, v28
	s_delay_alu instid0(VALU_DEP_2) | instskip(NEXT) | instid1(VALU_DEP_1)
	v_ldexp_f32 v31, v31, v32
	v_dual_add_f32 v34, 1.0, v31 :: v_dual_add_f32 v33, 1.0, v33
	s_delay_alu instid0(VALU_DEP_1) | instskip(NEXT) | instid1(VALU_DEP_2)
	v_add_f32_e32 v29, v29, v33
	v_add_f32_e32 v33, -1.0, v34
	s_delay_alu instid0(VALU_DEP_2) | instskip(NEXT) | instid1(VALU_DEP_2)
	v_ldexp_f32 v29, v29, v32
	v_dual_add_f32 v32, -1.0, v31 :: v_dual_sub_f32 v33, v31, v33
	s_delay_alu instid0(VALU_DEP_1) | instskip(NEXT) | instid1(VALU_DEP_2)
	v_add_f32_e32 v35, 1.0, v32
	v_add_f32_e32 v33, v29, v33
	s_delay_alu instid0(VALU_DEP_2) | instskip(NEXT) | instid1(VALU_DEP_2)
	v_sub_f32_e32 v31, v31, v35
	v_add_f32_e32 v35, v34, v33
	s_delay_alu instid0(VALU_DEP_2) | instskip(NEXT) | instid1(VALU_DEP_2)
	v_add_f32_e32 v29, v29, v31
	v_rcp_f32_e32 v31, v35
	v_sub_f32_e32 v34, v34, v35
	s_delay_alu instid0(VALU_DEP_1) | instskip(NEXT) | instid1(VALU_DEP_1)
	v_dual_add_f32 v36, v32, v29 :: v_dual_add_f32 v33, v33, v34
	v_sub_f32_e32 v32, v32, v36
	s_waitcnt_depctr 0xfff
	v_mul_f32_e32 v37, v36, v31
	s_delay_alu instid0(VALU_DEP_1) | instskip(NEXT) | instid1(VALU_DEP_1)
	v_dual_add_f32 v29, v29, v32 :: v_dual_mul_f32 v38, v35, v37
	v_fma_f32 v34, v37, v35, -v38
	s_delay_alu instid0(VALU_DEP_1) | instskip(NEXT) | instid1(VALU_DEP_1)
	v_fmac_f32_e32 v34, v37, v33
	v_add_f32_e32 v39, v38, v34
	s_delay_alu instid0(VALU_DEP_1) | instskip(SKIP_1) | instid1(VALU_DEP_2)
	v_sub_f32_e32 v40, v36, v39
	v_sub_f32_e32 v32, v39, v38
	;; [unrolled: 1-line block ×3, first 2 shown]
	s_delay_alu instid0(VALU_DEP_2) | instskip(NEXT) | instid1(VALU_DEP_2)
	v_sub_f32_e32 v32, v32, v34
	v_sub_f32_e32 v36, v36, v39
	s_delay_alu instid0(VALU_DEP_1) | instskip(NEXT) | instid1(VALU_DEP_1)
	v_add_f32_e32 v29, v29, v36
	v_add_f32_e32 v29, v32, v29
	s_delay_alu instid0(VALU_DEP_1) | instskip(NEXT) | instid1(VALU_DEP_1)
	v_add_f32_e32 v32, v40, v29
	v_mul_f32_e32 v34, v31, v32
	s_delay_alu instid0(VALU_DEP_1) | instskip(NEXT) | instid1(VALU_DEP_1)
	v_dual_sub_f32 v39, v40, v32 :: v_dual_mul_f32 v36, v35, v34
	v_add_f32_e32 v29, v29, v39
	s_delay_alu instid0(VALU_DEP_2) | instskip(NEXT) | instid1(VALU_DEP_1)
	v_fma_f32 v35, v34, v35, -v36
	v_fmac_f32_e32 v35, v34, v33
	s_delay_alu instid0(VALU_DEP_1) | instskip(NEXT) | instid1(VALU_DEP_1)
	v_add_f32_e32 v33, v36, v35
	v_sub_f32_e32 v38, v32, v33
	v_sub_f32_e32 v36, v33, v36
	s_delay_alu instid0(VALU_DEP_2) | instskip(NEXT) | instid1(VALU_DEP_1)
	v_sub_f32_e32 v32, v32, v38
	v_sub_f32_e32 v32, v32, v33
	s_delay_alu instid0(VALU_DEP_3) | instskip(NEXT) | instid1(VALU_DEP_2)
	v_sub_f32_e32 v33, v36, v35
	v_add_f32_e32 v29, v29, v32
	v_add_f32_e32 v32, v37, v34
	s_delay_alu instid0(VALU_DEP_2) | instskip(NEXT) | instid1(VALU_DEP_2)
	v_add_f32_e32 v29, v33, v29
	v_sub_f32_e32 v33, v32, v37
	s_delay_alu instid0(VALU_DEP_2) | instskip(NEXT) | instid1(VALU_DEP_2)
	v_add_f32_e32 v29, v38, v29
	v_sub_f32_e32 v33, v34, v33
	s_delay_alu instid0(VALU_DEP_2) | instskip(NEXT) | instid1(VALU_DEP_1)
	v_mul_f32_e32 v29, v31, v29
	v_add_f32_e32 v29, v33, v29
	s_delay_alu instid0(VALU_DEP_1) | instskip(NEXT) | instid1(VALU_DEP_1)
	v_add_f32_e32 v31, v32, v29
	v_mul_f32_e32 v33, v31, v31
	s_delay_alu instid0(VALU_DEP_1) | instskip(SKIP_2) | instid1(VALU_DEP_3)
	v_fmaak_f32 v34, s43, v33, 0x3ecc95a3
	v_mul_f32_e32 v35, v31, v33
	v_cmp_eq_f32_e64 s43, 0x7f800000, v30
	v_fmaak_f32 v33, v33, v34, 0x3f2aaada
	v_ldexp_f32 v34, v31, 1
	v_sub_f32_e32 v31, v31, v32
	s_delay_alu instid0(VALU_DEP_4) | instskip(NEXT) | instid1(VALU_DEP_3)
	s_or_b32 s43, s43, s46
	v_mul_f32_e32 v33, v35, v33
	v_mul_f32_e32 v35, 0x3f317218, v28
	s_delay_alu instid0(VALU_DEP_2) | instskip(NEXT) | instid1(VALU_DEP_1)
	v_dual_sub_f32 v29, v29, v31 :: v_dual_add_f32 v32, v34, v33
	v_ldexp_f32 v29, v29, 1
	s_delay_alu instid0(VALU_DEP_2) | instskip(NEXT) | instid1(VALU_DEP_4)
	v_sub_f32_e32 v31, v32, v34
	v_fma_f32 v34, 0x3f317218, v28, -v35
	s_delay_alu instid0(VALU_DEP_1) | instskip(NEXT) | instid1(VALU_DEP_1)
	v_dual_sub_f32 v31, v33, v31 :: v_dual_fmamk_f32 v28, v28, 0xb102e308, v34
	v_add_f32_e32 v29, v29, v31
	s_delay_alu instid0(VALU_DEP_2) | instskip(NEXT) | instid1(VALU_DEP_2)
	v_add_f32_e32 v31, v35, v28
	v_add_f32_e32 v33, v32, v29
	s_delay_alu instid0(VALU_DEP_2) | instskip(NEXT) | instid1(VALU_DEP_2)
	v_sub_f32_e32 v35, v31, v35
	v_add_f32_e32 v34, v31, v33
	v_sub_f32_e32 v32, v33, v32
	s_delay_alu instid0(VALU_DEP_3) | instskip(NEXT) | instid1(VALU_DEP_2)
	v_sub_f32_e32 v28, v28, v35
	v_dual_sub_f32 v36, v34, v31 :: v_dual_sub_f32 v29, v29, v32
	s_delay_alu instid0(VALU_DEP_1) | instskip(NEXT) | instid1(VALU_DEP_2)
	v_sub_f32_e32 v37, v34, v36
	v_dual_sub_f32 v32, v33, v36 :: v_dual_add_f32 v33, v28, v29
	s_delay_alu instid0(VALU_DEP_2) | instskip(NEXT) | instid1(VALU_DEP_1)
	v_sub_f32_e32 v31, v31, v37
	v_dual_add_f32 v31, v32, v31 :: v_dual_sub_f32 v32, v33, v28
	s_delay_alu instid0(VALU_DEP_1) | instskip(NEXT) | instid1(VALU_DEP_2)
	v_add_f32_e32 v31, v33, v31
	v_sub_f32_e32 v33, v33, v32
	v_sub_f32_e32 v29, v29, v32
	s_delay_alu instid0(VALU_DEP_2) | instskip(NEXT) | instid1(VALU_DEP_1)
	v_dual_add_f32 v35, v34, v31 :: v_dual_sub_f32 v28, v28, v33
	v_sub_f32_e32 v32, v35, v34
	s_delay_alu instid0(VALU_DEP_2) | instskip(NEXT) | instid1(VALU_DEP_2)
	v_add_f32_e32 v28, v29, v28
	v_sub_f32_e32 v29, v31, v32
	s_delay_alu instid0(VALU_DEP_1) | instskip(NEXT) | instid1(VALU_DEP_1)
	v_add_f32_e32 v28, v28, v29
	v_add_f32_e32 v28, v35, v28
	s_delay_alu instid0(VALU_DEP_1) | instskip(NEXT) | instid1(VALU_DEP_1)
	v_cndmask_b32_e64 v28, v28, v30, s43
	v_add_f32_e32 v5, v5, v28
	s_delay_alu instid0(VALU_DEP_1) | instskip(NEXT) | instid1(VALU_DEP_1)
	v_cvt_f16_f32_e32 v28, v5
	v_cvt_f32_f16_e32 v30, v28
	v_mov_b32_e32 v29, v28
.LBB420_84:
	s_or_b32 exec_lo, exec_lo, s44
	v_cvt_f32_f16_e32 v5, v25
	s_delay_alu instid0(VALU_DEP_3) | instskip(SKIP_1) | instid1(VALU_DEP_2)
	v_max_f32_e32 v31, v30, v30
	v_cmp_u_f16_e64 s43, v28, v28
	v_min_f32_e32 v32, v31, v5
	v_max_f32_e32 v31, v31, v5
	s_delay_alu instid0(VALU_DEP_2) | instskip(NEXT) | instid1(VALU_DEP_2)
	v_cndmask_b32_e64 v32, v32, v30, s43
	v_cndmask_b32_e64 v31, v31, v30, s43
	v_cmp_u_f16_e64 s43, v25, v25
	s_delay_alu instid0(VALU_DEP_1) | instskip(NEXT) | instid1(VALU_DEP_3)
	v_cndmask_b32_e64 v32, v32, v5, s43
	v_cndmask_b32_e64 v31, v31, v5, s43
	s_delay_alu instid0(VALU_DEP_2) | instskip(NEXT) | instid1(VALU_DEP_2)
	v_cmp_class_f32_e64 s46, v32, 0x1f8
	v_cmp_neq_f32_e64 s44, v32, v31
	s_delay_alu instid0(VALU_DEP_1) | instskip(NEXT) | instid1(SALU_CYCLE_1)
	s_or_b32 s44, s44, s46
	s_and_saveexec_b32 s46, s44
	s_cbranch_execz .LBB420_86
; %bb.85:
	v_sub_f32_e32 v28, v32, v31
	s_delay_alu instid0(VALU_DEP_1) | instskip(NEXT) | instid1(VALU_DEP_1)
	v_mul_f32_e32 v29, 0x3fb8aa3b, v28
	v_fma_f32 v30, 0x3fb8aa3b, v28, -v29
	v_rndne_f32_e32 v32, v29
	s_delay_alu instid0(VALU_DEP_1) | instskip(SKIP_1) | instid1(VALU_DEP_2)
	v_dual_sub_f32 v29, v29, v32 :: v_dual_fmamk_f32 v30, v28, 0x32a5705f, v30
	v_cmp_ngt_f32_e64 s44, 0xc2ce8ed0, v28
	v_add_f32_e32 v29, v29, v30
	v_cvt_i32_f32_e32 v30, v32
	s_delay_alu instid0(VALU_DEP_2) | instskip(SKIP_2) | instid1(VALU_DEP_1)
	v_exp_f32_e32 v29, v29
	s_waitcnt_depctr 0xfff
	v_ldexp_f32 v29, v29, v30
	v_cndmask_b32_e64 v29, 0, v29, s44
	v_cmp_nlt_f32_e64 s44, 0x42b17218, v28
	s_delay_alu instid0(VALU_DEP_1) | instskip(NEXT) | instid1(VALU_DEP_1)
	v_cndmask_b32_e64 v30, 0x7f800000, v29, s44
	v_add_f32_e32 v32, 1.0, v30
	v_cmp_gt_f32_e64 s47, 0x33800000, |v30|
	s_delay_alu instid0(VALU_DEP_2) | instskip(NEXT) | instid1(VALU_DEP_1)
	v_cvt_f64_f32_e32 v[28:29], v32
	v_frexp_exp_i32_f64_e32 v28, v[28:29]
	v_frexp_mant_f32_e32 v29, v32
	s_delay_alu instid0(VALU_DEP_1) | instskip(SKIP_1) | instid1(VALU_DEP_1)
	v_cmp_gt_f32_e64 s44, 0x3f2aaaab, v29
	v_add_f32_e32 v29, -1.0, v32
	v_dual_sub_f32 v34, v29, v32 :: v_dual_sub_f32 v29, v30, v29
	s_delay_alu instid0(VALU_DEP_3) | instskip(SKIP_1) | instid1(VALU_DEP_1)
	v_subrev_co_ci_u32_e64 v28, s44, 0, v28, s44
	s_mov_b32 s44, 0x3e9b6dac
	v_sub_nc_u32_e32 v33, 0, v28
	v_cvt_f32_i32_e32 v28, v28
	s_delay_alu instid0(VALU_DEP_2) | instskip(NEXT) | instid1(VALU_DEP_1)
	v_ldexp_f32 v32, v32, v33
	v_dual_add_f32 v34, 1.0, v34 :: v_dual_add_f32 v35, 1.0, v32
	s_delay_alu instid0(VALU_DEP_1) | instskip(NEXT) | instid1(VALU_DEP_1)
	v_dual_add_f32 v29, v29, v34 :: v_dual_add_f32 v34, -1.0, v35
	v_ldexp_f32 v29, v29, v33
	s_delay_alu instid0(VALU_DEP_2) | instskip(NEXT) | instid1(VALU_DEP_1)
	v_dual_add_f32 v33, -1.0, v32 :: v_dual_sub_f32 v34, v32, v34
	v_add_f32_e32 v36, 1.0, v33
	s_delay_alu instid0(VALU_DEP_2) | instskip(NEXT) | instid1(VALU_DEP_2)
	v_add_f32_e32 v34, v29, v34
	v_sub_f32_e32 v32, v32, v36
	s_delay_alu instid0(VALU_DEP_1) | instskip(NEXT) | instid1(VALU_DEP_1)
	v_dual_add_f32 v36, v35, v34 :: v_dual_add_f32 v29, v29, v32
	v_rcp_f32_e32 v32, v36
	v_sub_f32_e32 v35, v35, v36
	s_delay_alu instid0(VALU_DEP_1) | instskip(NEXT) | instid1(VALU_DEP_1)
	v_dual_add_f32 v37, v33, v29 :: v_dual_add_f32 v34, v34, v35
	v_sub_f32_e32 v33, v33, v37
	s_waitcnt_depctr 0xfff
	v_mul_f32_e32 v38, v37, v32
	v_add_f32_e32 v29, v29, v33
	s_delay_alu instid0(VALU_DEP_2) | instskip(NEXT) | instid1(VALU_DEP_1)
	v_mul_f32_e32 v39, v36, v38
	v_fma_f32 v35, v38, v36, -v39
	s_delay_alu instid0(VALU_DEP_1) | instskip(NEXT) | instid1(VALU_DEP_1)
	v_fmac_f32_e32 v35, v38, v34
	v_add_f32_e32 v40, v39, v35
	s_delay_alu instid0(VALU_DEP_1) | instskip(SKIP_1) | instid1(VALU_DEP_2)
	v_sub_f32_e32 v41, v37, v40
	v_sub_f32_e32 v33, v40, v39
	;; [unrolled: 1-line block ×3, first 2 shown]
	s_delay_alu instid0(VALU_DEP_2) | instskip(NEXT) | instid1(VALU_DEP_2)
	v_sub_f32_e32 v33, v33, v35
	v_sub_f32_e32 v37, v37, v40
	s_delay_alu instid0(VALU_DEP_1) | instskip(NEXT) | instid1(VALU_DEP_1)
	v_add_f32_e32 v29, v29, v37
	v_add_f32_e32 v29, v33, v29
	s_delay_alu instid0(VALU_DEP_1) | instskip(NEXT) | instid1(VALU_DEP_1)
	v_add_f32_e32 v33, v41, v29
	v_mul_f32_e32 v35, v32, v33
	s_delay_alu instid0(VALU_DEP_1) | instskip(NEXT) | instid1(VALU_DEP_1)
	v_mul_f32_e32 v37, v36, v35
	v_fma_f32 v36, v35, v36, -v37
	s_delay_alu instid0(VALU_DEP_1) | instskip(SKIP_1) | instid1(VALU_DEP_2)
	v_fmac_f32_e32 v36, v35, v34
	v_sub_f32_e32 v40, v41, v33
	v_add_f32_e32 v34, v37, v36
	s_delay_alu instid0(VALU_DEP_2) | instskip(NEXT) | instid1(VALU_DEP_2)
	v_add_f32_e32 v29, v29, v40
	v_sub_f32_e32 v39, v33, v34
	v_sub_f32_e32 v37, v34, v37
	s_delay_alu instid0(VALU_DEP_2) | instskip(NEXT) | instid1(VALU_DEP_1)
	v_sub_f32_e32 v33, v33, v39
	v_sub_f32_e32 v33, v33, v34
	s_delay_alu instid0(VALU_DEP_3) | instskip(NEXT) | instid1(VALU_DEP_2)
	v_sub_f32_e32 v34, v37, v36
	v_add_f32_e32 v29, v29, v33
	v_add_f32_e32 v33, v38, v35
	s_delay_alu instid0(VALU_DEP_1) | instskip(NEXT) | instid1(VALU_DEP_1)
	v_dual_add_f32 v29, v34, v29 :: v_dual_sub_f32 v34, v33, v38
	v_add_f32_e32 v29, v39, v29
	s_delay_alu instid0(VALU_DEP_1) | instskip(NEXT) | instid1(VALU_DEP_1)
	v_dual_sub_f32 v34, v35, v34 :: v_dual_mul_f32 v29, v32, v29
	v_add_f32_e32 v29, v34, v29
	s_delay_alu instid0(VALU_DEP_1) | instskip(NEXT) | instid1(VALU_DEP_1)
	v_add_f32_e32 v32, v33, v29
	v_mul_f32_e32 v34, v32, v32
	s_delay_alu instid0(VALU_DEP_1) | instskip(SKIP_2) | instid1(VALU_DEP_3)
	v_fmaak_f32 v35, s44, v34, 0x3ecc95a3
	v_mul_f32_e32 v36, v32, v34
	v_cmp_eq_f32_e64 s44, 0x7f800000, v30
	v_fmaak_f32 v34, v34, v35, 0x3f2aaada
	v_ldexp_f32 v35, v32, 1
	v_sub_f32_e32 v32, v32, v33
	s_delay_alu instid0(VALU_DEP_4) | instskip(NEXT) | instid1(VALU_DEP_3)
	s_or_b32 s44, s44, s47
	v_mul_f32_e32 v34, v36, v34
	v_mul_f32_e32 v36, 0x3f317218, v28
	s_delay_alu instid0(VALU_DEP_3) | instskip(NEXT) | instid1(VALU_DEP_3)
	v_sub_f32_e32 v29, v29, v32
	v_add_f32_e32 v33, v35, v34
	s_delay_alu instid0(VALU_DEP_2) | instskip(NEXT) | instid1(VALU_DEP_2)
	v_ldexp_f32 v29, v29, 1
	v_sub_f32_e32 v32, v33, v35
	v_fma_f32 v35, 0x3f317218, v28, -v36
	s_delay_alu instid0(VALU_DEP_2) | instskip(NEXT) | instid1(VALU_DEP_1)
	v_sub_f32_e32 v32, v34, v32
	v_dual_fmamk_f32 v28, v28, 0xb102e308, v35 :: v_dual_add_f32 v29, v29, v32
	s_delay_alu instid0(VALU_DEP_1) | instskip(NEXT) | instid1(VALU_DEP_2)
	v_add_f32_e32 v32, v36, v28
	v_add_f32_e32 v34, v33, v29
	s_delay_alu instid0(VALU_DEP_2) | instskip(NEXT) | instid1(VALU_DEP_2)
	v_sub_f32_e32 v36, v32, v36
	v_add_f32_e32 v35, v32, v34
	s_delay_alu instid0(VALU_DEP_2) | instskip(NEXT) | instid1(VALU_DEP_2)
	v_sub_f32_e32 v28, v28, v36
	v_sub_f32_e32 v37, v35, v32
	;; [unrolled: 1-line block ×3, first 2 shown]
	s_delay_alu instid0(VALU_DEP_2) | instskip(NEXT) | instid1(VALU_DEP_2)
	v_sub_f32_e32 v38, v35, v37
	v_sub_f32_e32 v29, v29, v33
	s_delay_alu instid0(VALU_DEP_2) | instskip(NEXT) | instid1(VALU_DEP_2)
	v_dual_sub_f32 v33, v34, v37 :: v_dual_sub_f32 v32, v32, v38
	v_add_f32_e32 v34, v28, v29
	s_delay_alu instid0(VALU_DEP_2) | instskip(NEXT) | instid1(VALU_DEP_2)
	v_add_f32_e32 v32, v33, v32
	v_sub_f32_e32 v33, v34, v28
	s_delay_alu instid0(VALU_DEP_2) | instskip(NEXT) | instid1(VALU_DEP_2)
	v_add_f32_e32 v32, v34, v32
	v_sub_f32_e32 v34, v34, v33
	s_delay_alu instid0(VALU_DEP_2) | instskip(NEXT) | instid1(VALU_DEP_2)
	v_dual_sub_f32 v29, v29, v33 :: v_dual_add_f32 v36, v35, v32
	v_sub_f32_e32 v28, v28, v34
	s_delay_alu instid0(VALU_DEP_1) | instskip(NEXT) | instid1(VALU_DEP_1)
	v_dual_sub_f32 v33, v36, v35 :: v_dual_add_f32 v28, v29, v28
	v_sub_f32_e32 v29, v32, v33
	s_delay_alu instid0(VALU_DEP_1) | instskip(NEXT) | instid1(VALU_DEP_1)
	v_add_f32_e32 v28, v28, v29
	v_add_f32_e32 v28, v36, v28
	s_delay_alu instid0(VALU_DEP_1) | instskip(NEXT) | instid1(VALU_DEP_1)
	v_cndmask_b32_e64 v28, v28, v30, s44
	v_add_f32_e32 v28, v31, v28
	s_delay_alu instid0(VALU_DEP_1) | instskip(NEXT) | instid1(VALU_DEP_1)
	v_cvt_f16_f32_e32 v28, v28
	v_cvt_f32_f16_e32 v30, v28
	v_mov_b32_e32 v29, v28
.LBB420_86:
	s_or_b32 exec_lo, exec_lo, s46
	v_lshrrev_b32_e32 v31, 16, v25
	s_delay_alu instid0(VALU_DEP_3) | instskip(SKIP_1) | instid1(VALU_DEP_3)
	v_max_f32_e32 v32, v30, v30
	v_cmp_u_f16_e64 s44, v28, v28
	v_cvt_f32_f16_e32 v25, v31
	s_delay_alu instid0(VALU_DEP_1) | instskip(SKIP_1) | instid1(VALU_DEP_2)
	v_min_f32_e32 v33, v32, v25
	v_max_f32_e32 v32, v32, v25
	v_cndmask_b32_e64 v28, v33, v30, s44
	s_delay_alu instid0(VALU_DEP_2) | instskip(SKIP_1) | instid1(VALU_DEP_1)
	v_cndmask_b32_e64 v32, v32, v30, s44
	v_cmp_u_f16_e64 s44, v31, v31
	v_cndmask_b32_e64 v30, v28, v25, s44
	s_delay_alu instid0(VALU_DEP_3) | instskip(NEXT) | instid1(VALU_DEP_2)
	v_cndmask_b32_e64 v28, v32, v25, s44
	v_cmp_class_f32_e64 s47, v30, 0x1f8
	s_delay_alu instid0(VALU_DEP_2) | instskip(NEXT) | instid1(VALU_DEP_1)
	v_cmp_neq_f32_e64 s46, v30, v28
	s_or_b32 s46, s46, s47
	s_delay_alu instid0(SALU_CYCLE_1)
	s_and_saveexec_b32 s47, s46
	s_cbranch_execz .LBB420_88
; %bb.87:
	v_sub_f32_e32 v29, v30, v28
	s_delay_alu instid0(VALU_DEP_1) | instskip(SKIP_1) | instid1(VALU_DEP_2)
	v_mul_f32_e32 v30, 0x3fb8aa3b, v29
	v_cmp_ngt_f32_e64 s46, 0xc2ce8ed0, v29
	v_fma_f32 v31, 0x3fb8aa3b, v29, -v30
	v_rndne_f32_e32 v32, v30
	s_delay_alu instid0(VALU_DEP_1) | instskip(NEXT) | instid1(VALU_DEP_1)
	v_dual_fmamk_f32 v31, v29, 0x32a5705f, v31 :: v_dual_sub_f32 v30, v30, v32
	v_add_f32_e32 v30, v30, v31
	v_cvt_i32_f32_e32 v31, v32
	s_delay_alu instid0(VALU_DEP_2) | instskip(SKIP_2) | instid1(VALU_DEP_1)
	v_exp_f32_e32 v30, v30
	s_waitcnt_depctr 0xfff
	v_ldexp_f32 v30, v30, v31
	v_cndmask_b32_e64 v30, 0, v30, s46
	v_cmp_nlt_f32_e64 s46, 0x42b17218, v29
	s_delay_alu instid0(VALU_DEP_1) | instskip(NEXT) | instid1(VALU_DEP_1)
	v_cndmask_b32_e64 v31, 0x7f800000, v30, s46
	v_add_f32_e32 v32, 1.0, v31
	v_cmp_gt_f32_e64 s48, 0x33800000, |v31|
	s_delay_alu instid0(VALU_DEP_2) | instskip(NEXT) | instid1(VALU_DEP_1)
	v_cvt_f64_f32_e32 v[29:30], v32
	v_frexp_exp_i32_f64_e32 v29, v[29:30]
	v_frexp_mant_f32_e32 v30, v32
	s_delay_alu instid0(VALU_DEP_1) | instskip(SKIP_1) | instid1(VALU_DEP_1)
	v_cmp_gt_f32_e64 s46, 0x3f2aaaab, v30
	v_add_f32_e32 v30, -1.0, v32
	v_sub_f32_e32 v34, v30, v32
	v_sub_f32_e32 v30, v31, v30
	s_delay_alu instid0(VALU_DEP_4) | instskip(SKIP_1) | instid1(VALU_DEP_1)
	v_subrev_co_ci_u32_e64 v29, s46, 0, v29, s46
	s_mov_b32 s46, 0x3e9b6dac
	v_sub_nc_u32_e32 v33, 0, v29
	v_cvt_f32_i32_e32 v29, v29
	s_delay_alu instid0(VALU_DEP_2) | instskip(NEXT) | instid1(VALU_DEP_1)
	v_ldexp_f32 v32, v32, v33
	v_dual_add_f32 v35, 1.0, v32 :: v_dual_add_f32 v34, 1.0, v34
	s_delay_alu instid0(VALU_DEP_1) | instskip(NEXT) | instid1(VALU_DEP_2)
	v_add_f32_e32 v30, v30, v34
	v_add_f32_e32 v34, -1.0, v35
	s_delay_alu instid0(VALU_DEP_2) | instskip(NEXT) | instid1(VALU_DEP_2)
	v_ldexp_f32 v30, v30, v33
	v_dual_add_f32 v33, -1.0, v32 :: v_dual_sub_f32 v34, v32, v34
	s_delay_alu instid0(VALU_DEP_1) | instskip(NEXT) | instid1(VALU_DEP_2)
	v_add_f32_e32 v36, 1.0, v33
	v_add_f32_e32 v34, v30, v34
	s_delay_alu instid0(VALU_DEP_2) | instskip(NEXT) | instid1(VALU_DEP_2)
	v_sub_f32_e32 v32, v32, v36
	v_add_f32_e32 v36, v35, v34
	s_delay_alu instid0(VALU_DEP_2) | instskip(NEXT) | instid1(VALU_DEP_2)
	v_add_f32_e32 v30, v30, v32
	v_rcp_f32_e32 v32, v36
	v_sub_f32_e32 v35, v35, v36
	s_delay_alu instid0(VALU_DEP_1) | instskip(NEXT) | instid1(VALU_DEP_1)
	v_dual_add_f32 v37, v33, v30 :: v_dual_add_f32 v34, v34, v35
	v_sub_f32_e32 v33, v33, v37
	s_waitcnt_depctr 0xfff
	v_mul_f32_e32 v38, v37, v32
	s_delay_alu instid0(VALU_DEP_1) | instskip(NEXT) | instid1(VALU_DEP_1)
	v_dual_add_f32 v30, v30, v33 :: v_dual_mul_f32 v39, v36, v38
	v_fma_f32 v35, v38, v36, -v39
	s_delay_alu instid0(VALU_DEP_1) | instskip(NEXT) | instid1(VALU_DEP_1)
	v_fmac_f32_e32 v35, v38, v34
	v_add_f32_e32 v40, v39, v35
	s_delay_alu instid0(VALU_DEP_1) | instskip(SKIP_1) | instid1(VALU_DEP_2)
	v_sub_f32_e32 v41, v37, v40
	v_sub_f32_e32 v33, v40, v39
	;; [unrolled: 1-line block ×3, first 2 shown]
	s_delay_alu instid0(VALU_DEP_2) | instskip(NEXT) | instid1(VALU_DEP_2)
	v_sub_f32_e32 v33, v33, v35
	v_sub_f32_e32 v37, v37, v40
	s_delay_alu instid0(VALU_DEP_1) | instskip(NEXT) | instid1(VALU_DEP_1)
	v_add_f32_e32 v30, v30, v37
	v_add_f32_e32 v30, v33, v30
	s_delay_alu instid0(VALU_DEP_1) | instskip(NEXT) | instid1(VALU_DEP_1)
	v_add_f32_e32 v33, v41, v30
	v_mul_f32_e32 v35, v32, v33
	s_delay_alu instid0(VALU_DEP_1) | instskip(NEXT) | instid1(VALU_DEP_1)
	v_dual_sub_f32 v40, v41, v33 :: v_dual_mul_f32 v37, v36, v35
	v_add_f32_e32 v30, v30, v40
	s_delay_alu instid0(VALU_DEP_2) | instskip(NEXT) | instid1(VALU_DEP_1)
	v_fma_f32 v36, v35, v36, -v37
	v_fmac_f32_e32 v36, v35, v34
	s_delay_alu instid0(VALU_DEP_1) | instskip(NEXT) | instid1(VALU_DEP_1)
	v_add_f32_e32 v34, v37, v36
	v_sub_f32_e32 v39, v33, v34
	v_sub_f32_e32 v37, v34, v37
	s_delay_alu instid0(VALU_DEP_2) | instskip(NEXT) | instid1(VALU_DEP_1)
	v_sub_f32_e32 v33, v33, v39
	v_sub_f32_e32 v33, v33, v34
	s_delay_alu instid0(VALU_DEP_3) | instskip(NEXT) | instid1(VALU_DEP_2)
	v_sub_f32_e32 v34, v37, v36
	v_add_f32_e32 v30, v30, v33
	v_add_f32_e32 v33, v38, v35
	s_delay_alu instid0(VALU_DEP_2) | instskip(NEXT) | instid1(VALU_DEP_2)
	v_add_f32_e32 v30, v34, v30
	v_sub_f32_e32 v34, v33, v38
	s_delay_alu instid0(VALU_DEP_2) | instskip(NEXT) | instid1(VALU_DEP_2)
	v_add_f32_e32 v30, v39, v30
	v_sub_f32_e32 v34, v35, v34
	s_delay_alu instid0(VALU_DEP_2) | instskip(NEXT) | instid1(VALU_DEP_1)
	v_mul_f32_e32 v30, v32, v30
	v_add_f32_e32 v30, v34, v30
	s_delay_alu instid0(VALU_DEP_1) | instskip(NEXT) | instid1(VALU_DEP_1)
	v_add_f32_e32 v32, v33, v30
	v_mul_f32_e32 v34, v32, v32
	s_delay_alu instid0(VALU_DEP_1) | instskip(SKIP_2) | instid1(VALU_DEP_3)
	v_fmaak_f32 v35, s46, v34, 0x3ecc95a3
	v_mul_f32_e32 v36, v32, v34
	v_cmp_eq_f32_e64 s46, 0x7f800000, v31
	v_fmaak_f32 v34, v34, v35, 0x3f2aaada
	v_ldexp_f32 v35, v32, 1
	v_sub_f32_e32 v32, v32, v33
	s_delay_alu instid0(VALU_DEP_4) | instskip(NEXT) | instid1(VALU_DEP_3)
	s_or_b32 s46, s46, s48
	v_mul_f32_e32 v34, v36, v34
	v_mul_f32_e32 v36, 0x3f317218, v29
	s_delay_alu instid0(VALU_DEP_2) | instskip(NEXT) | instid1(VALU_DEP_1)
	v_dual_sub_f32 v30, v30, v32 :: v_dual_add_f32 v33, v35, v34
	v_ldexp_f32 v30, v30, 1
	s_delay_alu instid0(VALU_DEP_2) | instskip(NEXT) | instid1(VALU_DEP_4)
	v_sub_f32_e32 v32, v33, v35
	v_fma_f32 v35, 0x3f317218, v29, -v36
	s_delay_alu instid0(VALU_DEP_1) | instskip(NEXT) | instid1(VALU_DEP_1)
	v_dual_sub_f32 v32, v34, v32 :: v_dual_fmamk_f32 v29, v29, 0xb102e308, v35
	v_add_f32_e32 v30, v30, v32
	s_delay_alu instid0(VALU_DEP_2) | instskip(NEXT) | instid1(VALU_DEP_2)
	v_add_f32_e32 v32, v36, v29
	v_add_f32_e32 v34, v33, v30
	s_delay_alu instid0(VALU_DEP_2) | instskip(NEXT) | instid1(VALU_DEP_2)
	v_sub_f32_e32 v36, v32, v36
	v_add_f32_e32 v35, v32, v34
	v_sub_f32_e32 v33, v34, v33
	s_delay_alu instid0(VALU_DEP_3) | instskip(NEXT) | instid1(VALU_DEP_2)
	v_sub_f32_e32 v29, v29, v36
	v_dual_sub_f32 v37, v35, v32 :: v_dual_sub_f32 v30, v30, v33
	s_delay_alu instid0(VALU_DEP_1) | instskip(NEXT) | instid1(VALU_DEP_2)
	v_sub_f32_e32 v38, v35, v37
	v_dual_sub_f32 v33, v34, v37 :: v_dual_add_f32 v34, v29, v30
	s_delay_alu instid0(VALU_DEP_2) | instskip(NEXT) | instid1(VALU_DEP_1)
	v_sub_f32_e32 v32, v32, v38
	v_dual_add_f32 v32, v33, v32 :: v_dual_sub_f32 v33, v34, v29
	s_delay_alu instid0(VALU_DEP_1) | instskip(NEXT) | instid1(VALU_DEP_2)
	v_add_f32_e32 v32, v34, v32
	v_sub_f32_e32 v34, v34, v33
	v_sub_f32_e32 v30, v30, v33
	s_delay_alu instid0(VALU_DEP_2) | instskip(NEXT) | instid1(VALU_DEP_1)
	v_dual_add_f32 v36, v35, v32 :: v_dual_sub_f32 v29, v29, v34
	v_sub_f32_e32 v33, v36, v35
	s_delay_alu instid0(VALU_DEP_2) | instskip(NEXT) | instid1(VALU_DEP_2)
	v_add_f32_e32 v29, v30, v29
	v_sub_f32_e32 v30, v32, v33
	s_delay_alu instid0(VALU_DEP_1) | instskip(NEXT) | instid1(VALU_DEP_1)
	v_add_f32_e32 v29, v29, v30
	v_add_f32_e32 v29, v36, v29
	s_delay_alu instid0(VALU_DEP_1) | instskip(NEXT) | instid1(VALU_DEP_1)
	v_cndmask_b32_e64 v29, v29, v31, s46
	v_add_f32_e32 v28, v28, v29
	s_delay_alu instid0(VALU_DEP_1)
	v_cvt_f16_f32_e32 v29, v28
.LBB420_88:
	s_or_b32 exec_lo, exec_lo, s47
	s_load_b64 s[46:47], s[0:1], 0x18
	v_lshrrev_b32_e32 v28, 4, v0
	s_mov_b32 s48, exec_lo
	s_delay_alu instid0(VALU_DEP_1) | instskip(NEXT) | instid1(VALU_DEP_1)
	v_and_b32_e32 v28, 2, v28
	v_add_nc_u32_e32 v28, v12, v28
	ds_store_b16 v28, v29
	s_waitcnt lgkmcnt(0)
	s_barrier
	buffer_gl0_inv
	v_cmpx_gt_u32_e32 32, v0
	s_cbranch_execz .LBB420_116
; %bb.89:
	v_lshrrev_b32_e32 v28, 3, v0
	s_delay_alu instid0(VALU_DEP_1) | instskip(NEXT) | instid1(VALU_DEP_1)
	v_and_b32_e32 v28, 6, v28
	v_lshl_or_b32 v28, v0, 2, v28
	ds_load_u16 v33, v28
	ds_load_u16 v31, v28 offset:2
	s_waitcnt lgkmcnt(1)
	v_cvt_f32_f16_e32 v30, v33
	s_waitcnt lgkmcnt(0)
	v_cvt_f32_f16_e32 v34, v31
	v_cmp_u_f16_e64 s0, v33, v33
	v_cmp_u_f16_e64 s1, v31, v31
	s_delay_alu instid0(VALU_DEP_3) | instskip(SKIP_1) | instid1(VALU_DEP_2)
	v_max_f32_e32 v35, v30, v34
	v_min_f32_e32 v32, v30, v34
	v_cndmask_b32_e64 v35, v35, v30, s0
	s_delay_alu instid0(VALU_DEP_2) | instskip(NEXT) | instid1(VALU_DEP_2)
	v_cndmask_b32_e64 v32, v32, v30, s0
	v_cndmask_b32_e64 v31, v35, v34, s1
	s_delay_alu instid0(VALU_DEP_2) | instskip(NEXT) | instid1(VALU_DEP_1)
	v_cndmask_b32_e64 v32, v32, v34, s1
	v_cmp_neq_f32_e64 s1, v32, v31
	v_cmp_class_f32_e64 s49, v32, 0x1f8
	s_delay_alu instid0(VALU_DEP_1) | instskip(NEXT) | instid1(SALU_CYCLE_1)
	s_or_b32 s1, s1, s49
	s_and_saveexec_b32 s49, s1
	s_cbranch_execz .LBB420_91
; %bb.90:
	v_sub_f32_e32 v32, v32, v31
	s_delay_alu instid0(VALU_DEP_1) | instskip(NEXT) | instid1(VALU_DEP_1)
	v_mul_f32_e32 v33, 0x3fb8aa3b, v32
	v_fma_f32 v34, 0x3fb8aa3b, v32, -v33
	v_rndne_f32_e32 v35, v33
	s_delay_alu instid0(VALU_DEP_1) | instskip(NEXT) | instid1(VALU_DEP_1)
	v_dual_fmamk_f32 v34, v32, 0x32a5705f, v34 :: v_dual_sub_f32 v33, v33, v35
	v_add_f32_e32 v33, v33, v34
	v_cvt_i32_f32_e32 v34, v35
	v_cmp_ngt_f32_e64 s1, 0xc2ce8ed0, v32
	s_delay_alu instid0(VALU_DEP_3) | instskip(SKIP_2) | instid1(VALU_DEP_1)
	v_exp_f32_e32 v33, v33
	s_waitcnt_depctr 0xfff
	v_ldexp_f32 v33, v33, v34
	v_cndmask_b32_e64 v33, 0, v33, s1
	v_cmp_nlt_f32_e64 s1, 0x42b17218, v32
	s_delay_alu instid0(VALU_DEP_1) | instskip(NEXT) | instid1(VALU_DEP_1)
	v_cndmask_b32_e64 v34, 0x7f800000, v33, s1
	v_add_f32_e32 v35, 1.0, v34
	v_cmp_gt_f32_e64 s50, 0x33800000, |v34|
	s_delay_alu instid0(VALU_DEP_2) | instskip(NEXT) | instid1(VALU_DEP_1)
	v_cvt_f64_f32_e32 v[32:33], v35
	v_frexp_exp_i32_f64_e32 v32, v[32:33]
	v_frexp_mant_f32_e32 v33, v35
	s_delay_alu instid0(VALU_DEP_1) | instskip(SKIP_1) | instid1(VALU_DEP_1)
	v_cmp_gt_f32_e64 s1, 0x3f2aaaab, v33
	v_add_f32_e32 v33, -1.0, v35
	v_sub_f32_e32 v37, v33, v35
	s_delay_alu instid0(VALU_DEP_3) | instskip(SKIP_1) | instid1(VALU_DEP_1)
	v_subrev_co_ci_u32_e64 v32, s1, 0, v32, s1
	s_mov_b32 s1, 0x3e9b6dac
	v_sub_nc_u32_e32 v36, 0, v32
	v_cvt_f32_i32_e32 v32, v32
	s_delay_alu instid0(VALU_DEP_2) | instskip(NEXT) | instid1(VALU_DEP_1)
	v_ldexp_f32 v35, v35, v36
	v_dual_sub_f32 v33, v34, v33 :: v_dual_add_f32 v38, 1.0, v35
	v_add_f32_e32 v37, 1.0, v37
	s_delay_alu instid0(VALU_DEP_1) | instskip(NEXT) | instid1(VALU_DEP_3)
	v_add_f32_e32 v33, v33, v37
	v_add_f32_e32 v37, -1.0, v38
	s_delay_alu instid0(VALU_DEP_2) | instskip(NEXT) | instid1(VALU_DEP_2)
	v_ldexp_f32 v33, v33, v36
	v_dual_add_f32 v36, -1.0, v35 :: v_dual_sub_f32 v37, v35, v37
	s_delay_alu instid0(VALU_DEP_1) | instskip(NEXT) | instid1(VALU_DEP_2)
	v_add_f32_e32 v39, 1.0, v36
	v_add_f32_e32 v37, v33, v37
	s_delay_alu instid0(VALU_DEP_2) | instskip(NEXT) | instid1(VALU_DEP_2)
	v_sub_f32_e32 v35, v35, v39
	v_add_f32_e32 v39, v38, v37
	s_delay_alu instid0(VALU_DEP_2) | instskip(NEXT) | instid1(VALU_DEP_2)
	v_add_f32_e32 v33, v33, v35
	v_rcp_f32_e32 v35, v39
	v_sub_f32_e32 v38, v38, v39
	s_delay_alu instid0(VALU_DEP_1) | instskip(NEXT) | instid1(VALU_DEP_1)
	v_dual_add_f32 v40, v36, v33 :: v_dual_add_f32 v37, v37, v38
	v_sub_f32_e32 v36, v36, v40
	s_waitcnt_depctr 0xfff
	v_mul_f32_e32 v41, v40, v35
	s_delay_alu instid0(VALU_DEP_1) | instskip(NEXT) | instid1(VALU_DEP_1)
	v_dual_add_f32 v33, v33, v36 :: v_dual_mul_f32 v42, v39, v41
	v_fma_f32 v38, v41, v39, -v42
	s_delay_alu instid0(VALU_DEP_1) | instskip(NEXT) | instid1(VALU_DEP_1)
	v_fmac_f32_e32 v38, v41, v37
	v_add_f32_e32 v43, v42, v38
	s_delay_alu instid0(VALU_DEP_1) | instskip(SKIP_1) | instid1(VALU_DEP_2)
	v_sub_f32_e32 v44, v40, v43
	v_sub_f32_e32 v36, v43, v42
	;; [unrolled: 1-line block ×3, first 2 shown]
	s_delay_alu instid0(VALU_DEP_2) | instskip(NEXT) | instid1(VALU_DEP_2)
	v_sub_f32_e32 v36, v36, v38
	v_sub_f32_e32 v40, v40, v43
	s_delay_alu instid0(VALU_DEP_1) | instskip(NEXT) | instid1(VALU_DEP_1)
	v_add_f32_e32 v33, v33, v40
	v_add_f32_e32 v33, v36, v33
	s_delay_alu instid0(VALU_DEP_1) | instskip(NEXT) | instid1(VALU_DEP_1)
	v_add_f32_e32 v36, v44, v33
	v_mul_f32_e32 v38, v35, v36
	s_delay_alu instid0(VALU_DEP_1) | instskip(NEXT) | instid1(VALU_DEP_1)
	v_dual_sub_f32 v43, v44, v36 :: v_dual_mul_f32 v40, v39, v38
	v_add_f32_e32 v33, v33, v43
	s_delay_alu instid0(VALU_DEP_2) | instskip(NEXT) | instid1(VALU_DEP_1)
	v_fma_f32 v39, v38, v39, -v40
	v_fmac_f32_e32 v39, v38, v37
	s_delay_alu instid0(VALU_DEP_1) | instskip(NEXT) | instid1(VALU_DEP_1)
	v_add_f32_e32 v37, v40, v39
	v_sub_f32_e32 v42, v36, v37
	v_sub_f32_e32 v40, v37, v40
	s_delay_alu instid0(VALU_DEP_2) | instskip(NEXT) | instid1(VALU_DEP_1)
	v_sub_f32_e32 v36, v36, v42
	v_sub_f32_e32 v36, v36, v37
	s_delay_alu instid0(VALU_DEP_3) | instskip(NEXT) | instid1(VALU_DEP_2)
	v_sub_f32_e32 v37, v40, v39
	v_add_f32_e32 v33, v33, v36
	v_add_f32_e32 v36, v41, v38
	s_delay_alu instid0(VALU_DEP_2) | instskip(NEXT) | instid1(VALU_DEP_2)
	v_add_f32_e32 v33, v37, v33
	v_sub_f32_e32 v37, v36, v41
	s_delay_alu instid0(VALU_DEP_2) | instskip(NEXT) | instid1(VALU_DEP_2)
	v_add_f32_e32 v33, v42, v33
	v_sub_f32_e32 v37, v38, v37
	s_delay_alu instid0(VALU_DEP_2) | instskip(NEXT) | instid1(VALU_DEP_1)
	v_mul_f32_e32 v33, v35, v33
	v_add_f32_e32 v33, v37, v33
	s_delay_alu instid0(VALU_DEP_1) | instskip(NEXT) | instid1(VALU_DEP_1)
	v_add_f32_e32 v35, v36, v33
	v_mul_f32_e32 v37, v35, v35
	s_delay_alu instid0(VALU_DEP_1) | instskip(SKIP_2) | instid1(VALU_DEP_3)
	v_fmaak_f32 v38, s1, v37, 0x3ecc95a3
	v_mul_f32_e32 v39, v35, v37
	v_cmp_eq_f32_e64 s1, 0x7f800000, v34
	v_fmaak_f32 v37, v37, v38, 0x3f2aaada
	v_ldexp_f32 v38, v35, 1
	v_sub_f32_e32 v35, v35, v36
	s_delay_alu instid0(VALU_DEP_4) | instskip(NEXT) | instid1(VALU_DEP_3)
	s_or_b32 s1, s1, s50
	v_mul_f32_e32 v37, v39, v37
	v_mul_f32_e32 v39, 0x3f317218, v32
	s_delay_alu instid0(VALU_DEP_2) | instskip(NEXT) | instid1(VALU_DEP_1)
	v_dual_sub_f32 v33, v33, v35 :: v_dual_add_f32 v36, v38, v37
	v_ldexp_f32 v33, v33, 1
	s_delay_alu instid0(VALU_DEP_2) | instskip(NEXT) | instid1(VALU_DEP_4)
	v_sub_f32_e32 v35, v36, v38
	v_fma_f32 v38, 0x3f317218, v32, -v39
	s_delay_alu instid0(VALU_DEP_1) | instskip(NEXT) | instid1(VALU_DEP_1)
	v_dual_sub_f32 v35, v37, v35 :: v_dual_fmamk_f32 v32, v32, 0xb102e308, v38
	v_add_f32_e32 v33, v33, v35
	s_delay_alu instid0(VALU_DEP_2) | instskip(NEXT) | instid1(VALU_DEP_2)
	v_add_f32_e32 v35, v39, v32
	v_add_f32_e32 v37, v36, v33
	s_delay_alu instid0(VALU_DEP_2) | instskip(NEXT) | instid1(VALU_DEP_2)
	v_sub_f32_e32 v39, v35, v39
	v_add_f32_e32 v38, v35, v37
	v_sub_f32_e32 v36, v37, v36
	s_delay_alu instid0(VALU_DEP_3) | instskip(NEXT) | instid1(VALU_DEP_2)
	v_sub_f32_e32 v32, v32, v39
	v_dual_sub_f32 v40, v38, v35 :: v_dual_sub_f32 v33, v33, v36
	s_delay_alu instid0(VALU_DEP_1) | instskip(NEXT) | instid1(VALU_DEP_2)
	v_sub_f32_e32 v41, v38, v40
	v_dual_sub_f32 v36, v37, v40 :: v_dual_add_f32 v37, v32, v33
	s_delay_alu instid0(VALU_DEP_2) | instskip(NEXT) | instid1(VALU_DEP_1)
	v_sub_f32_e32 v35, v35, v41
	v_dual_add_f32 v35, v36, v35 :: v_dual_sub_f32 v36, v37, v32
	s_delay_alu instid0(VALU_DEP_1) | instskip(NEXT) | instid1(VALU_DEP_2)
	v_add_f32_e32 v35, v37, v35
	v_sub_f32_e32 v37, v37, v36
	v_sub_f32_e32 v33, v33, v36
	s_delay_alu instid0(VALU_DEP_2) | instskip(NEXT) | instid1(VALU_DEP_1)
	v_dual_add_f32 v39, v38, v35 :: v_dual_sub_f32 v32, v32, v37
	v_sub_f32_e32 v36, v39, v38
	s_delay_alu instid0(VALU_DEP_2) | instskip(NEXT) | instid1(VALU_DEP_2)
	v_add_f32_e32 v32, v33, v32
	v_sub_f32_e32 v33, v35, v36
	s_delay_alu instid0(VALU_DEP_1) | instskip(NEXT) | instid1(VALU_DEP_1)
	v_add_f32_e32 v32, v32, v33
	v_add_f32_e32 v32, v39, v32
	s_delay_alu instid0(VALU_DEP_1) | instskip(NEXT) | instid1(VALU_DEP_1)
	v_cndmask_b32_e64 v32, v32, v34, s1
	v_add_f32_e32 v31, v31, v32
	s_delay_alu instid0(VALU_DEP_1)
	v_cvt_f16_f32_e32 v33, v31
.LBB420_91:
	s_or_b32 exec_lo, exec_lo, s49
	v_mbcnt_lo_u32_b32 v31, -1, 0
	s_delay_alu instid0(VALU_DEP_2) | instskip(SKIP_1) | instid1(VALU_DEP_2)
	v_and_b32_e32 v34, 0xffff, v33
	s_mov_b32 s49, exec_lo
	v_and_b32_e32 v32, 15, v31
	s_delay_alu instid0(VALU_DEP_2) | instskip(NEXT) | instid1(VALU_DEP_2)
	v_mov_b32_dpp v35, v34 row_shr:1 row_mask:0xf bank_mask:0xf
	v_cmpx_ne_u32_e32 0, v32
	s_cbranch_execz .LBB420_95
; %bb.92:
	s_delay_alu instid0(VALU_DEP_2) | instskip(SKIP_2) | instid1(VALU_DEP_2)
	v_cvt_f32_f16_e32 v34, v35
	v_cvt_f32_f16_e32 v36, v33
	v_cmp_u_f16_e64 s1, v35, v35
	v_min_f32_e32 v37, v34, v36
	v_max_f32_e32 v38, v34, v36
	s_delay_alu instid0(VALU_DEP_2) | instskip(NEXT) | instid1(VALU_DEP_2)
	v_cndmask_b32_e64 v37, v37, v34, s1
	v_cndmask_b32_e64 v38, v38, v34, s1
	v_cmp_u_f16_e64 s1, v33, v33
	s_delay_alu instid0(VALU_DEP_1) | instskip(NEXT) | instid1(VALU_DEP_3)
	v_cndmask_b32_e64 v34, v37, v36, s1
	v_cndmask_b32_e64 v33, v38, v36, s1
	s_delay_alu instid0(VALU_DEP_2) | instskip(NEXT) | instid1(VALU_DEP_2)
	v_cmp_class_f32_e64 s50, v34, 0x1f8
	v_cmp_neq_f32_e64 s1, v34, v33
	s_delay_alu instid0(VALU_DEP_1) | instskip(NEXT) | instid1(SALU_CYCLE_1)
	s_or_b32 s1, s1, s50
	s_and_saveexec_b32 s50, s1
	s_cbranch_execz .LBB420_94
; %bb.93:
	v_sub_f32_e32 v34, v34, v33
	s_delay_alu instid0(VALU_DEP_1) | instskip(NEXT) | instid1(VALU_DEP_1)
	v_mul_f32_e32 v35, 0x3fb8aa3b, v34
	v_fma_f32 v36, 0x3fb8aa3b, v34, -v35
	v_rndne_f32_e32 v37, v35
	s_delay_alu instid0(VALU_DEP_1) | instskip(NEXT) | instid1(VALU_DEP_1)
	v_dual_fmamk_f32 v36, v34, 0x32a5705f, v36 :: v_dual_sub_f32 v35, v35, v37
	v_add_f32_e32 v35, v35, v36
	v_cvt_i32_f32_e32 v36, v37
	v_cmp_ngt_f32_e64 s1, 0xc2ce8ed0, v34
	s_delay_alu instid0(VALU_DEP_3) | instskip(SKIP_2) | instid1(VALU_DEP_1)
	v_exp_f32_e32 v35, v35
	s_waitcnt_depctr 0xfff
	v_ldexp_f32 v35, v35, v36
	v_cndmask_b32_e64 v35, 0, v35, s1
	v_cmp_nlt_f32_e64 s1, 0x42b17218, v34
	s_delay_alu instid0(VALU_DEP_1) | instskip(NEXT) | instid1(VALU_DEP_1)
	v_cndmask_b32_e64 v36, 0x7f800000, v35, s1
	v_add_f32_e32 v37, 1.0, v36
	v_cmp_gt_f32_e64 s51, 0x33800000, |v36|
	s_delay_alu instid0(VALU_DEP_2) | instskip(NEXT) | instid1(VALU_DEP_1)
	v_cvt_f64_f32_e32 v[34:35], v37
	v_frexp_exp_i32_f64_e32 v34, v[34:35]
	v_frexp_mant_f32_e32 v35, v37
	s_delay_alu instid0(VALU_DEP_1) | instskip(SKIP_1) | instid1(VALU_DEP_1)
	v_cmp_gt_f32_e64 s1, 0x3f2aaaab, v35
	v_add_f32_e32 v35, -1.0, v37
	v_sub_f32_e32 v39, v35, v37
	s_delay_alu instid0(VALU_DEP_3) | instskip(SKIP_1) | instid1(VALU_DEP_1)
	v_subrev_co_ci_u32_e64 v34, s1, 0, v34, s1
	s_mov_b32 s1, 0x3e9b6dac
	v_sub_nc_u32_e32 v38, 0, v34
	v_cvt_f32_i32_e32 v34, v34
	s_delay_alu instid0(VALU_DEP_2) | instskip(NEXT) | instid1(VALU_DEP_1)
	v_ldexp_f32 v37, v37, v38
	v_dual_sub_f32 v35, v36, v35 :: v_dual_add_f32 v40, 1.0, v37
	v_add_f32_e32 v39, 1.0, v39
	s_delay_alu instid0(VALU_DEP_1) | instskip(NEXT) | instid1(VALU_DEP_3)
	v_add_f32_e32 v35, v35, v39
	v_add_f32_e32 v39, -1.0, v40
	s_delay_alu instid0(VALU_DEP_2) | instskip(NEXT) | instid1(VALU_DEP_2)
	v_ldexp_f32 v35, v35, v38
	v_dual_add_f32 v38, -1.0, v37 :: v_dual_sub_f32 v39, v37, v39
	s_delay_alu instid0(VALU_DEP_1) | instskip(NEXT) | instid1(VALU_DEP_2)
	v_add_f32_e32 v41, 1.0, v38
	v_add_f32_e32 v39, v35, v39
	s_delay_alu instid0(VALU_DEP_2) | instskip(NEXT) | instid1(VALU_DEP_2)
	v_sub_f32_e32 v37, v37, v41
	v_add_f32_e32 v41, v40, v39
	s_delay_alu instid0(VALU_DEP_2) | instskip(NEXT) | instid1(VALU_DEP_2)
	v_add_f32_e32 v35, v35, v37
	v_rcp_f32_e32 v37, v41
	v_sub_f32_e32 v40, v40, v41
	s_delay_alu instid0(VALU_DEP_1) | instskip(NEXT) | instid1(VALU_DEP_1)
	v_dual_add_f32 v42, v38, v35 :: v_dual_add_f32 v39, v39, v40
	v_sub_f32_e32 v38, v38, v42
	s_waitcnt_depctr 0xfff
	v_mul_f32_e32 v43, v42, v37
	s_delay_alu instid0(VALU_DEP_1) | instskip(NEXT) | instid1(VALU_DEP_1)
	v_dual_add_f32 v35, v35, v38 :: v_dual_mul_f32 v44, v41, v43
	v_fma_f32 v40, v43, v41, -v44
	s_delay_alu instid0(VALU_DEP_1) | instskip(NEXT) | instid1(VALU_DEP_1)
	v_fmac_f32_e32 v40, v43, v39
	v_add_f32_e32 v45, v44, v40
	s_delay_alu instid0(VALU_DEP_1) | instskip(SKIP_1) | instid1(VALU_DEP_2)
	v_sub_f32_e32 v46, v42, v45
	v_sub_f32_e32 v38, v45, v44
	;; [unrolled: 1-line block ×3, first 2 shown]
	s_delay_alu instid0(VALU_DEP_2) | instskip(NEXT) | instid1(VALU_DEP_2)
	v_sub_f32_e32 v38, v38, v40
	v_sub_f32_e32 v42, v42, v45
	s_delay_alu instid0(VALU_DEP_1) | instskip(NEXT) | instid1(VALU_DEP_1)
	v_add_f32_e32 v35, v35, v42
	v_add_f32_e32 v35, v38, v35
	s_delay_alu instid0(VALU_DEP_1) | instskip(NEXT) | instid1(VALU_DEP_1)
	v_add_f32_e32 v38, v46, v35
	v_mul_f32_e32 v40, v37, v38
	s_delay_alu instid0(VALU_DEP_1) | instskip(NEXT) | instid1(VALU_DEP_1)
	v_dual_sub_f32 v45, v46, v38 :: v_dual_mul_f32 v42, v41, v40
	v_add_f32_e32 v35, v35, v45
	s_delay_alu instid0(VALU_DEP_2) | instskip(NEXT) | instid1(VALU_DEP_1)
	v_fma_f32 v41, v40, v41, -v42
	v_fmac_f32_e32 v41, v40, v39
	s_delay_alu instid0(VALU_DEP_1) | instskip(NEXT) | instid1(VALU_DEP_1)
	v_add_f32_e32 v39, v42, v41
	v_sub_f32_e32 v44, v38, v39
	v_sub_f32_e32 v42, v39, v42
	s_delay_alu instid0(VALU_DEP_2) | instskip(NEXT) | instid1(VALU_DEP_1)
	v_sub_f32_e32 v38, v38, v44
	v_sub_f32_e32 v38, v38, v39
	s_delay_alu instid0(VALU_DEP_3) | instskip(NEXT) | instid1(VALU_DEP_2)
	v_sub_f32_e32 v39, v42, v41
	v_add_f32_e32 v35, v35, v38
	v_add_f32_e32 v38, v43, v40
	s_delay_alu instid0(VALU_DEP_2) | instskip(NEXT) | instid1(VALU_DEP_2)
	v_add_f32_e32 v35, v39, v35
	v_sub_f32_e32 v39, v38, v43
	s_delay_alu instid0(VALU_DEP_2) | instskip(NEXT) | instid1(VALU_DEP_2)
	v_add_f32_e32 v35, v44, v35
	v_sub_f32_e32 v39, v40, v39
	s_delay_alu instid0(VALU_DEP_2) | instskip(NEXT) | instid1(VALU_DEP_1)
	v_mul_f32_e32 v35, v37, v35
	v_add_f32_e32 v35, v39, v35
	s_delay_alu instid0(VALU_DEP_1) | instskip(NEXT) | instid1(VALU_DEP_1)
	v_add_f32_e32 v37, v38, v35
	v_mul_f32_e32 v39, v37, v37
	s_delay_alu instid0(VALU_DEP_1) | instskip(SKIP_2) | instid1(VALU_DEP_3)
	v_fmaak_f32 v40, s1, v39, 0x3ecc95a3
	v_mul_f32_e32 v41, v37, v39
	v_cmp_eq_f32_e64 s1, 0x7f800000, v36
	v_fmaak_f32 v39, v39, v40, 0x3f2aaada
	v_ldexp_f32 v40, v37, 1
	v_sub_f32_e32 v37, v37, v38
	s_delay_alu instid0(VALU_DEP_4) | instskip(NEXT) | instid1(VALU_DEP_3)
	s_or_b32 s1, s1, s51
	v_mul_f32_e32 v39, v41, v39
	v_mul_f32_e32 v41, 0x3f317218, v34
	s_delay_alu instid0(VALU_DEP_2) | instskip(NEXT) | instid1(VALU_DEP_1)
	v_dual_sub_f32 v35, v35, v37 :: v_dual_add_f32 v38, v40, v39
	v_ldexp_f32 v35, v35, 1
	s_delay_alu instid0(VALU_DEP_2) | instskip(NEXT) | instid1(VALU_DEP_4)
	v_sub_f32_e32 v37, v38, v40
	v_fma_f32 v40, 0x3f317218, v34, -v41
	s_delay_alu instid0(VALU_DEP_1) | instskip(NEXT) | instid1(VALU_DEP_1)
	v_dual_sub_f32 v37, v39, v37 :: v_dual_fmamk_f32 v34, v34, 0xb102e308, v40
	v_add_f32_e32 v35, v35, v37
	s_delay_alu instid0(VALU_DEP_2) | instskip(NEXT) | instid1(VALU_DEP_2)
	v_add_f32_e32 v37, v41, v34
	v_add_f32_e32 v39, v38, v35
	s_delay_alu instid0(VALU_DEP_2) | instskip(NEXT) | instid1(VALU_DEP_2)
	v_sub_f32_e32 v41, v37, v41
	v_add_f32_e32 v40, v37, v39
	v_sub_f32_e32 v38, v39, v38
	s_delay_alu instid0(VALU_DEP_3) | instskip(NEXT) | instid1(VALU_DEP_2)
	v_sub_f32_e32 v34, v34, v41
	v_dual_sub_f32 v42, v40, v37 :: v_dual_sub_f32 v35, v35, v38
	s_delay_alu instid0(VALU_DEP_1) | instskip(NEXT) | instid1(VALU_DEP_2)
	v_sub_f32_e32 v43, v40, v42
	v_dual_sub_f32 v38, v39, v42 :: v_dual_add_f32 v39, v34, v35
	s_delay_alu instid0(VALU_DEP_2) | instskip(NEXT) | instid1(VALU_DEP_1)
	v_sub_f32_e32 v37, v37, v43
	v_dual_add_f32 v37, v38, v37 :: v_dual_sub_f32 v38, v39, v34
	s_delay_alu instid0(VALU_DEP_1) | instskip(NEXT) | instid1(VALU_DEP_2)
	v_add_f32_e32 v37, v39, v37
	v_sub_f32_e32 v39, v39, v38
	v_sub_f32_e32 v35, v35, v38
	s_delay_alu instid0(VALU_DEP_2) | instskip(NEXT) | instid1(VALU_DEP_1)
	v_dual_add_f32 v41, v40, v37 :: v_dual_sub_f32 v34, v34, v39
	v_sub_f32_e32 v38, v41, v40
	s_delay_alu instid0(VALU_DEP_2) | instskip(NEXT) | instid1(VALU_DEP_2)
	v_add_f32_e32 v34, v35, v34
	v_sub_f32_e32 v35, v37, v38
	s_delay_alu instid0(VALU_DEP_1) | instskip(NEXT) | instid1(VALU_DEP_1)
	v_add_f32_e32 v34, v34, v35
	v_add_f32_e32 v34, v41, v34
	s_delay_alu instid0(VALU_DEP_1) | instskip(NEXT) | instid1(VALU_DEP_1)
	v_cndmask_b32_e64 v34, v34, v36, s1
	v_add_f32_e32 v33, v33, v34
	s_delay_alu instid0(VALU_DEP_1)
	v_cvt_f16_f32_e32 v35, v33
.LBB420_94:
	s_or_b32 exec_lo, exec_lo, s50
	s_delay_alu instid0(VALU_DEP_1)
	v_dual_mov_b32 v33, v35 :: v_dual_and_b32 v34, 0xffff, v35
.LBB420_95:
	s_or_b32 exec_lo, exec_lo, s49
	s_delay_alu instid0(VALU_DEP_1)
	v_mov_b32_dpp v35, v34 row_shr:2 row_mask:0xf bank_mask:0xf
	s_mov_b32 s49, exec_lo
	v_cmpx_lt_u32_e32 1, v32
	s_cbranch_execz .LBB420_99
; %bb.96:
	s_delay_alu instid0(VALU_DEP_2) | instskip(SKIP_2) | instid1(VALU_DEP_2)
	v_cvt_f32_f16_e32 v34, v35
	v_cvt_f32_f16_e32 v36, v33
	v_cmp_u_f16_e64 s1, v35, v35
	v_min_f32_e32 v37, v34, v36
	v_max_f32_e32 v38, v34, v36
	s_delay_alu instid0(VALU_DEP_2) | instskip(NEXT) | instid1(VALU_DEP_2)
	v_cndmask_b32_e64 v37, v37, v34, s1
	v_cndmask_b32_e64 v38, v38, v34, s1
	v_cmp_u_f16_e64 s1, v33, v33
	s_delay_alu instid0(VALU_DEP_1) | instskip(NEXT) | instid1(VALU_DEP_3)
	v_cndmask_b32_e64 v34, v37, v36, s1
	v_cndmask_b32_e64 v33, v38, v36, s1
	s_delay_alu instid0(VALU_DEP_2) | instskip(NEXT) | instid1(VALU_DEP_2)
	v_cmp_class_f32_e64 s50, v34, 0x1f8
	v_cmp_neq_f32_e64 s1, v34, v33
	s_delay_alu instid0(VALU_DEP_1) | instskip(NEXT) | instid1(SALU_CYCLE_1)
	s_or_b32 s1, s1, s50
	s_and_saveexec_b32 s50, s1
	s_cbranch_execz .LBB420_98
; %bb.97:
	v_sub_f32_e32 v34, v34, v33
	s_delay_alu instid0(VALU_DEP_1) | instskip(NEXT) | instid1(VALU_DEP_1)
	v_mul_f32_e32 v35, 0x3fb8aa3b, v34
	v_fma_f32 v36, 0x3fb8aa3b, v34, -v35
	v_rndne_f32_e32 v37, v35
	s_delay_alu instid0(VALU_DEP_1) | instskip(NEXT) | instid1(VALU_DEP_1)
	v_dual_fmamk_f32 v36, v34, 0x32a5705f, v36 :: v_dual_sub_f32 v35, v35, v37
	v_add_f32_e32 v35, v35, v36
	v_cvt_i32_f32_e32 v36, v37
	v_cmp_ngt_f32_e64 s1, 0xc2ce8ed0, v34
	s_delay_alu instid0(VALU_DEP_3) | instskip(SKIP_2) | instid1(VALU_DEP_1)
	v_exp_f32_e32 v35, v35
	s_waitcnt_depctr 0xfff
	v_ldexp_f32 v35, v35, v36
	v_cndmask_b32_e64 v35, 0, v35, s1
	v_cmp_nlt_f32_e64 s1, 0x42b17218, v34
	s_delay_alu instid0(VALU_DEP_1) | instskip(NEXT) | instid1(VALU_DEP_1)
	v_cndmask_b32_e64 v36, 0x7f800000, v35, s1
	v_add_f32_e32 v37, 1.0, v36
	v_cmp_gt_f32_e64 s51, 0x33800000, |v36|
	s_delay_alu instid0(VALU_DEP_2) | instskip(NEXT) | instid1(VALU_DEP_1)
	v_cvt_f64_f32_e32 v[34:35], v37
	v_frexp_exp_i32_f64_e32 v34, v[34:35]
	v_frexp_mant_f32_e32 v35, v37
	s_delay_alu instid0(VALU_DEP_1) | instskip(SKIP_1) | instid1(VALU_DEP_1)
	v_cmp_gt_f32_e64 s1, 0x3f2aaaab, v35
	v_add_f32_e32 v35, -1.0, v37
	v_sub_f32_e32 v39, v35, v37
	s_delay_alu instid0(VALU_DEP_3) | instskip(SKIP_1) | instid1(VALU_DEP_1)
	v_subrev_co_ci_u32_e64 v34, s1, 0, v34, s1
	s_mov_b32 s1, 0x3e9b6dac
	v_sub_nc_u32_e32 v38, 0, v34
	v_cvt_f32_i32_e32 v34, v34
	s_delay_alu instid0(VALU_DEP_2) | instskip(NEXT) | instid1(VALU_DEP_1)
	v_ldexp_f32 v37, v37, v38
	v_dual_sub_f32 v35, v36, v35 :: v_dual_add_f32 v40, 1.0, v37
	v_add_f32_e32 v39, 1.0, v39
	s_delay_alu instid0(VALU_DEP_1) | instskip(NEXT) | instid1(VALU_DEP_3)
	v_add_f32_e32 v35, v35, v39
	v_add_f32_e32 v39, -1.0, v40
	s_delay_alu instid0(VALU_DEP_2) | instskip(NEXT) | instid1(VALU_DEP_2)
	v_ldexp_f32 v35, v35, v38
	v_dual_add_f32 v38, -1.0, v37 :: v_dual_sub_f32 v39, v37, v39
	s_delay_alu instid0(VALU_DEP_1) | instskip(NEXT) | instid1(VALU_DEP_2)
	v_add_f32_e32 v41, 1.0, v38
	v_add_f32_e32 v39, v35, v39
	s_delay_alu instid0(VALU_DEP_2) | instskip(NEXT) | instid1(VALU_DEP_2)
	v_sub_f32_e32 v37, v37, v41
	v_add_f32_e32 v41, v40, v39
	s_delay_alu instid0(VALU_DEP_2) | instskip(NEXT) | instid1(VALU_DEP_2)
	v_add_f32_e32 v35, v35, v37
	v_rcp_f32_e32 v37, v41
	v_sub_f32_e32 v40, v40, v41
	s_delay_alu instid0(VALU_DEP_1) | instskip(NEXT) | instid1(VALU_DEP_1)
	v_dual_add_f32 v42, v38, v35 :: v_dual_add_f32 v39, v39, v40
	v_sub_f32_e32 v38, v38, v42
	s_waitcnt_depctr 0xfff
	v_mul_f32_e32 v43, v42, v37
	s_delay_alu instid0(VALU_DEP_1) | instskip(NEXT) | instid1(VALU_DEP_1)
	v_dual_add_f32 v35, v35, v38 :: v_dual_mul_f32 v44, v41, v43
	v_fma_f32 v40, v43, v41, -v44
	s_delay_alu instid0(VALU_DEP_1) | instskip(NEXT) | instid1(VALU_DEP_1)
	v_fmac_f32_e32 v40, v43, v39
	v_add_f32_e32 v45, v44, v40
	s_delay_alu instid0(VALU_DEP_1) | instskip(SKIP_1) | instid1(VALU_DEP_2)
	v_sub_f32_e32 v46, v42, v45
	v_sub_f32_e32 v38, v45, v44
	;; [unrolled: 1-line block ×3, first 2 shown]
	s_delay_alu instid0(VALU_DEP_2) | instskip(NEXT) | instid1(VALU_DEP_2)
	v_sub_f32_e32 v38, v38, v40
	v_sub_f32_e32 v42, v42, v45
	s_delay_alu instid0(VALU_DEP_1) | instskip(NEXT) | instid1(VALU_DEP_1)
	v_add_f32_e32 v35, v35, v42
	v_add_f32_e32 v35, v38, v35
	s_delay_alu instid0(VALU_DEP_1) | instskip(NEXT) | instid1(VALU_DEP_1)
	v_add_f32_e32 v38, v46, v35
	v_mul_f32_e32 v40, v37, v38
	s_delay_alu instid0(VALU_DEP_1) | instskip(NEXT) | instid1(VALU_DEP_1)
	v_dual_sub_f32 v45, v46, v38 :: v_dual_mul_f32 v42, v41, v40
	v_add_f32_e32 v35, v35, v45
	s_delay_alu instid0(VALU_DEP_2) | instskip(NEXT) | instid1(VALU_DEP_1)
	v_fma_f32 v41, v40, v41, -v42
	v_fmac_f32_e32 v41, v40, v39
	s_delay_alu instid0(VALU_DEP_1) | instskip(NEXT) | instid1(VALU_DEP_1)
	v_add_f32_e32 v39, v42, v41
	v_sub_f32_e32 v44, v38, v39
	v_sub_f32_e32 v42, v39, v42
	s_delay_alu instid0(VALU_DEP_2) | instskip(NEXT) | instid1(VALU_DEP_1)
	v_sub_f32_e32 v38, v38, v44
	v_sub_f32_e32 v38, v38, v39
	s_delay_alu instid0(VALU_DEP_3) | instskip(NEXT) | instid1(VALU_DEP_2)
	v_sub_f32_e32 v39, v42, v41
	v_add_f32_e32 v35, v35, v38
	v_add_f32_e32 v38, v43, v40
	s_delay_alu instid0(VALU_DEP_2) | instskip(NEXT) | instid1(VALU_DEP_2)
	v_add_f32_e32 v35, v39, v35
	v_sub_f32_e32 v39, v38, v43
	s_delay_alu instid0(VALU_DEP_2) | instskip(NEXT) | instid1(VALU_DEP_2)
	v_add_f32_e32 v35, v44, v35
	v_sub_f32_e32 v39, v40, v39
	s_delay_alu instid0(VALU_DEP_2) | instskip(NEXT) | instid1(VALU_DEP_1)
	v_mul_f32_e32 v35, v37, v35
	v_add_f32_e32 v35, v39, v35
	s_delay_alu instid0(VALU_DEP_1) | instskip(NEXT) | instid1(VALU_DEP_1)
	v_add_f32_e32 v37, v38, v35
	v_mul_f32_e32 v39, v37, v37
	s_delay_alu instid0(VALU_DEP_1) | instskip(SKIP_2) | instid1(VALU_DEP_3)
	v_fmaak_f32 v40, s1, v39, 0x3ecc95a3
	v_mul_f32_e32 v41, v37, v39
	v_cmp_eq_f32_e64 s1, 0x7f800000, v36
	v_fmaak_f32 v39, v39, v40, 0x3f2aaada
	v_ldexp_f32 v40, v37, 1
	v_sub_f32_e32 v37, v37, v38
	s_delay_alu instid0(VALU_DEP_4) | instskip(NEXT) | instid1(VALU_DEP_3)
	s_or_b32 s1, s1, s51
	v_mul_f32_e32 v39, v41, v39
	v_mul_f32_e32 v41, 0x3f317218, v34
	s_delay_alu instid0(VALU_DEP_2) | instskip(NEXT) | instid1(VALU_DEP_1)
	v_dual_sub_f32 v35, v35, v37 :: v_dual_add_f32 v38, v40, v39
	v_ldexp_f32 v35, v35, 1
	s_delay_alu instid0(VALU_DEP_2) | instskip(NEXT) | instid1(VALU_DEP_4)
	v_sub_f32_e32 v37, v38, v40
	v_fma_f32 v40, 0x3f317218, v34, -v41
	s_delay_alu instid0(VALU_DEP_1) | instskip(NEXT) | instid1(VALU_DEP_1)
	v_dual_sub_f32 v37, v39, v37 :: v_dual_fmamk_f32 v34, v34, 0xb102e308, v40
	v_add_f32_e32 v35, v35, v37
	s_delay_alu instid0(VALU_DEP_2) | instskip(NEXT) | instid1(VALU_DEP_2)
	v_add_f32_e32 v37, v41, v34
	v_add_f32_e32 v39, v38, v35
	s_delay_alu instid0(VALU_DEP_2) | instskip(NEXT) | instid1(VALU_DEP_2)
	v_sub_f32_e32 v41, v37, v41
	v_add_f32_e32 v40, v37, v39
	v_sub_f32_e32 v38, v39, v38
	s_delay_alu instid0(VALU_DEP_3) | instskip(NEXT) | instid1(VALU_DEP_2)
	v_sub_f32_e32 v34, v34, v41
	v_dual_sub_f32 v42, v40, v37 :: v_dual_sub_f32 v35, v35, v38
	s_delay_alu instid0(VALU_DEP_1) | instskip(NEXT) | instid1(VALU_DEP_2)
	v_sub_f32_e32 v43, v40, v42
	v_dual_sub_f32 v38, v39, v42 :: v_dual_add_f32 v39, v34, v35
	s_delay_alu instid0(VALU_DEP_2) | instskip(NEXT) | instid1(VALU_DEP_1)
	v_sub_f32_e32 v37, v37, v43
	v_dual_add_f32 v37, v38, v37 :: v_dual_sub_f32 v38, v39, v34
	s_delay_alu instid0(VALU_DEP_1) | instskip(NEXT) | instid1(VALU_DEP_2)
	v_add_f32_e32 v37, v39, v37
	v_sub_f32_e32 v39, v39, v38
	v_sub_f32_e32 v35, v35, v38
	s_delay_alu instid0(VALU_DEP_2) | instskip(NEXT) | instid1(VALU_DEP_1)
	v_dual_add_f32 v41, v40, v37 :: v_dual_sub_f32 v34, v34, v39
	v_sub_f32_e32 v38, v41, v40
	s_delay_alu instid0(VALU_DEP_2) | instskip(NEXT) | instid1(VALU_DEP_2)
	v_add_f32_e32 v34, v35, v34
	v_sub_f32_e32 v35, v37, v38
	s_delay_alu instid0(VALU_DEP_1) | instskip(NEXT) | instid1(VALU_DEP_1)
	v_add_f32_e32 v34, v34, v35
	v_add_f32_e32 v34, v41, v34
	s_delay_alu instid0(VALU_DEP_1) | instskip(NEXT) | instid1(VALU_DEP_1)
	v_cndmask_b32_e64 v34, v34, v36, s1
	v_add_f32_e32 v33, v33, v34
	s_delay_alu instid0(VALU_DEP_1)
	v_cvt_f16_f32_e32 v35, v33
.LBB420_98:
	s_or_b32 exec_lo, exec_lo, s50
	s_delay_alu instid0(VALU_DEP_1)
	v_dual_mov_b32 v33, v35 :: v_dual_and_b32 v34, 0xffff, v35
.LBB420_99:
	s_or_b32 exec_lo, exec_lo, s49
	s_delay_alu instid0(VALU_DEP_1)
	v_mov_b32_dpp v35, v34 row_shr:4 row_mask:0xf bank_mask:0xf
	s_mov_b32 s49, exec_lo
	v_cmpx_lt_u32_e32 3, v32
	s_cbranch_execz .LBB420_103
; %bb.100:
	s_delay_alu instid0(VALU_DEP_2) | instskip(SKIP_2) | instid1(VALU_DEP_2)
	v_cvt_f32_f16_e32 v34, v35
	v_cvt_f32_f16_e32 v36, v33
	v_cmp_u_f16_e64 s1, v35, v35
	v_min_f32_e32 v37, v34, v36
	v_max_f32_e32 v38, v34, v36
	s_delay_alu instid0(VALU_DEP_2) | instskip(NEXT) | instid1(VALU_DEP_2)
	v_cndmask_b32_e64 v37, v37, v34, s1
	v_cndmask_b32_e64 v38, v38, v34, s1
	v_cmp_u_f16_e64 s1, v33, v33
	s_delay_alu instid0(VALU_DEP_1) | instskip(NEXT) | instid1(VALU_DEP_3)
	v_cndmask_b32_e64 v34, v37, v36, s1
	v_cndmask_b32_e64 v33, v38, v36, s1
	s_delay_alu instid0(VALU_DEP_2) | instskip(NEXT) | instid1(VALU_DEP_2)
	v_cmp_class_f32_e64 s50, v34, 0x1f8
	v_cmp_neq_f32_e64 s1, v34, v33
	s_delay_alu instid0(VALU_DEP_1) | instskip(NEXT) | instid1(SALU_CYCLE_1)
	s_or_b32 s1, s1, s50
	s_and_saveexec_b32 s50, s1
	s_cbranch_execz .LBB420_102
; %bb.101:
	v_sub_f32_e32 v34, v34, v33
	s_delay_alu instid0(VALU_DEP_1) | instskip(NEXT) | instid1(VALU_DEP_1)
	v_mul_f32_e32 v35, 0x3fb8aa3b, v34
	v_fma_f32 v36, 0x3fb8aa3b, v34, -v35
	v_rndne_f32_e32 v37, v35
	s_delay_alu instid0(VALU_DEP_1) | instskip(NEXT) | instid1(VALU_DEP_1)
	v_dual_fmamk_f32 v36, v34, 0x32a5705f, v36 :: v_dual_sub_f32 v35, v35, v37
	v_add_f32_e32 v35, v35, v36
	v_cvt_i32_f32_e32 v36, v37
	v_cmp_ngt_f32_e64 s1, 0xc2ce8ed0, v34
	s_delay_alu instid0(VALU_DEP_3) | instskip(SKIP_2) | instid1(VALU_DEP_1)
	v_exp_f32_e32 v35, v35
	s_waitcnt_depctr 0xfff
	v_ldexp_f32 v35, v35, v36
	v_cndmask_b32_e64 v35, 0, v35, s1
	v_cmp_nlt_f32_e64 s1, 0x42b17218, v34
	s_delay_alu instid0(VALU_DEP_1) | instskip(NEXT) | instid1(VALU_DEP_1)
	v_cndmask_b32_e64 v36, 0x7f800000, v35, s1
	v_add_f32_e32 v37, 1.0, v36
	v_cmp_gt_f32_e64 s51, 0x33800000, |v36|
	s_delay_alu instid0(VALU_DEP_2) | instskip(NEXT) | instid1(VALU_DEP_1)
	v_cvt_f64_f32_e32 v[34:35], v37
	v_frexp_exp_i32_f64_e32 v34, v[34:35]
	v_frexp_mant_f32_e32 v35, v37
	s_delay_alu instid0(VALU_DEP_1) | instskip(SKIP_1) | instid1(VALU_DEP_1)
	v_cmp_gt_f32_e64 s1, 0x3f2aaaab, v35
	v_add_f32_e32 v35, -1.0, v37
	v_sub_f32_e32 v39, v35, v37
	s_delay_alu instid0(VALU_DEP_3) | instskip(SKIP_1) | instid1(VALU_DEP_1)
	v_subrev_co_ci_u32_e64 v34, s1, 0, v34, s1
	s_mov_b32 s1, 0x3e9b6dac
	v_sub_nc_u32_e32 v38, 0, v34
	v_cvt_f32_i32_e32 v34, v34
	s_delay_alu instid0(VALU_DEP_2) | instskip(NEXT) | instid1(VALU_DEP_1)
	v_ldexp_f32 v37, v37, v38
	v_dual_sub_f32 v35, v36, v35 :: v_dual_add_f32 v40, 1.0, v37
	v_add_f32_e32 v39, 1.0, v39
	s_delay_alu instid0(VALU_DEP_1) | instskip(NEXT) | instid1(VALU_DEP_3)
	v_add_f32_e32 v35, v35, v39
	v_add_f32_e32 v39, -1.0, v40
	s_delay_alu instid0(VALU_DEP_2) | instskip(NEXT) | instid1(VALU_DEP_2)
	v_ldexp_f32 v35, v35, v38
	v_dual_add_f32 v38, -1.0, v37 :: v_dual_sub_f32 v39, v37, v39
	s_delay_alu instid0(VALU_DEP_1) | instskip(NEXT) | instid1(VALU_DEP_2)
	v_add_f32_e32 v41, 1.0, v38
	v_add_f32_e32 v39, v35, v39
	s_delay_alu instid0(VALU_DEP_2) | instskip(NEXT) | instid1(VALU_DEP_2)
	v_sub_f32_e32 v37, v37, v41
	v_add_f32_e32 v41, v40, v39
	s_delay_alu instid0(VALU_DEP_2) | instskip(NEXT) | instid1(VALU_DEP_2)
	v_add_f32_e32 v35, v35, v37
	v_rcp_f32_e32 v37, v41
	v_sub_f32_e32 v40, v40, v41
	s_delay_alu instid0(VALU_DEP_1) | instskip(NEXT) | instid1(VALU_DEP_1)
	v_dual_add_f32 v42, v38, v35 :: v_dual_add_f32 v39, v39, v40
	v_sub_f32_e32 v38, v38, v42
	s_waitcnt_depctr 0xfff
	v_mul_f32_e32 v43, v42, v37
	s_delay_alu instid0(VALU_DEP_1) | instskip(NEXT) | instid1(VALU_DEP_1)
	v_dual_add_f32 v35, v35, v38 :: v_dual_mul_f32 v44, v41, v43
	v_fma_f32 v40, v43, v41, -v44
	s_delay_alu instid0(VALU_DEP_1) | instskip(NEXT) | instid1(VALU_DEP_1)
	v_fmac_f32_e32 v40, v43, v39
	v_add_f32_e32 v45, v44, v40
	s_delay_alu instid0(VALU_DEP_1) | instskip(SKIP_1) | instid1(VALU_DEP_2)
	v_sub_f32_e32 v46, v42, v45
	v_sub_f32_e32 v38, v45, v44
	;; [unrolled: 1-line block ×3, first 2 shown]
	s_delay_alu instid0(VALU_DEP_2) | instskip(NEXT) | instid1(VALU_DEP_2)
	v_sub_f32_e32 v38, v38, v40
	v_sub_f32_e32 v42, v42, v45
	s_delay_alu instid0(VALU_DEP_1) | instskip(NEXT) | instid1(VALU_DEP_1)
	v_add_f32_e32 v35, v35, v42
	v_add_f32_e32 v35, v38, v35
	s_delay_alu instid0(VALU_DEP_1) | instskip(NEXT) | instid1(VALU_DEP_1)
	v_add_f32_e32 v38, v46, v35
	v_mul_f32_e32 v40, v37, v38
	s_delay_alu instid0(VALU_DEP_1) | instskip(NEXT) | instid1(VALU_DEP_1)
	v_dual_sub_f32 v45, v46, v38 :: v_dual_mul_f32 v42, v41, v40
	v_add_f32_e32 v35, v35, v45
	s_delay_alu instid0(VALU_DEP_2) | instskip(NEXT) | instid1(VALU_DEP_1)
	v_fma_f32 v41, v40, v41, -v42
	v_fmac_f32_e32 v41, v40, v39
	s_delay_alu instid0(VALU_DEP_1) | instskip(NEXT) | instid1(VALU_DEP_1)
	v_add_f32_e32 v39, v42, v41
	v_sub_f32_e32 v44, v38, v39
	v_sub_f32_e32 v42, v39, v42
	s_delay_alu instid0(VALU_DEP_2) | instskip(NEXT) | instid1(VALU_DEP_1)
	v_sub_f32_e32 v38, v38, v44
	v_sub_f32_e32 v38, v38, v39
	s_delay_alu instid0(VALU_DEP_3) | instskip(NEXT) | instid1(VALU_DEP_2)
	v_sub_f32_e32 v39, v42, v41
	v_add_f32_e32 v35, v35, v38
	v_add_f32_e32 v38, v43, v40
	s_delay_alu instid0(VALU_DEP_2) | instskip(NEXT) | instid1(VALU_DEP_2)
	v_add_f32_e32 v35, v39, v35
	v_sub_f32_e32 v39, v38, v43
	s_delay_alu instid0(VALU_DEP_2) | instskip(NEXT) | instid1(VALU_DEP_2)
	v_add_f32_e32 v35, v44, v35
	v_sub_f32_e32 v39, v40, v39
	s_delay_alu instid0(VALU_DEP_2) | instskip(NEXT) | instid1(VALU_DEP_1)
	v_mul_f32_e32 v35, v37, v35
	v_add_f32_e32 v35, v39, v35
	s_delay_alu instid0(VALU_DEP_1) | instskip(NEXT) | instid1(VALU_DEP_1)
	v_add_f32_e32 v37, v38, v35
	v_mul_f32_e32 v39, v37, v37
	s_delay_alu instid0(VALU_DEP_1) | instskip(SKIP_2) | instid1(VALU_DEP_3)
	v_fmaak_f32 v40, s1, v39, 0x3ecc95a3
	v_mul_f32_e32 v41, v37, v39
	v_cmp_eq_f32_e64 s1, 0x7f800000, v36
	v_fmaak_f32 v39, v39, v40, 0x3f2aaada
	v_ldexp_f32 v40, v37, 1
	v_sub_f32_e32 v37, v37, v38
	s_delay_alu instid0(VALU_DEP_4) | instskip(NEXT) | instid1(VALU_DEP_3)
	s_or_b32 s1, s1, s51
	v_mul_f32_e32 v39, v41, v39
	v_mul_f32_e32 v41, 0x3f317218, v34
	s_delay_alu instid0(VALU_DEP_2) | instskip(NEXT) | instid1(VALU_DEP_1)
	v_dual_sub_f32 v35, v35, v37 :: v_dual_add_f32 v38, v40, v39
	v_ldexp_f32 v35, v35, 1
	s_delay_alu instid0(VALU_DEP_2) | instskip(NEXT) | instid1(VALU_DEP_4)
	v_sub_f32_e32 v37, v38, v40
	v_fma_f32 v40, 0x3f317218, v34, -v41
	s_delay_alu instid0(VALU_DEP_1) | instskip(NEXT) | instid1(VALU_DEP_1)
	v_dual_sub_f32 v37, v39, v37 :: v_dual_fmamk_f32 v34, v34, 0xb102e308, v40
	v_add_f32_e32 v35, v35, v37
	s_delay_alu instid0(VALU_DEP_2) | instskip(NEXT) | instid1(VALU_DEP_2)
	v_add_f32_e32 v37, v41, v34
	v_add_f32_e32 v39, v38, v35
	s_delay_alu instid0(VALU_DEP_2) | instskip(NEXT) | instid1(VALU_DEP_2)
	v_sub_f32_e32 v41, v37, v41
	v_add_f32_e32 v40, v37, v39
	v_sub_f32_e32 v38, v39, v38
	s_delay_alu instid0(VALU_DEP_3) | instskip(NEXT) | instid1(VALU_DEP_2)
	v_sub_f32_e32 v34, v34, v41
	v_dual_sub_f32 v42, v40, v37 :: v_dual_sub_f32 v35, v35, v38
	s_delay_alu instid0(VALU_DEP_1) | instskip(NEXT) | instid1(VALU_DEP_2)
	v_sub_f32_e32 v43, v40, v42
	v_dual_sub_f32 v38, v39, v42 :: v_dual_add_f32 v39, v34, v35
	s_delay_alu instid0(VALU_DEP_2) | instskip(NEXT) | instid1(VALU_DEP_1)
	v_sub_f32_e32 v37, v37, v43
	v_dual_add_f32 v37, v38, v37 :: v_dual_sub_f32 v38, v39, v34
	s_delay_alu instid0(VALU_DEP_1) | instskip(NEXT) | instid1(VALU_DEP_2)
	v_add_f32_e32 v37, v39, v37
	v_sub_f32_e32 v39, v39, v38
	v_sub_f32_e32 v35, v35, v38
	s_delay_alu instid0(VALU_DEP_2) | instskip(NEXT) | instid1(VALU_DEP_1)
	v_dual_add_f32 v41, v40, v37 :: v_dual_sub_f32 v34, v34, v39
	v_sub_f32_e32 v38, v41, v40
	s_delay_alu instid0(VALU_DEP_2) | instskip(NEXT) | instid1(VALU_DEP_2)
	v_add_f32_e32 v34, v35, v34
	v_sub_f32_e32 v35, v37, v38
	s_delay_alu instid0(VALU_DEP_1) | instskip(NEXT) | instid1(VALU_DEP_1)
	v_add_f32_e32 v34, v34, v35
	v_add_f32_e32 v34, v41, v34
	s_delay_alu instid0(VALU_DEP_1) | instskip(NEXT) | instid1(VALU_DEP_1)
	v_cndmask_b32_e64 v34, v34, v36, s1
	v_add_f32_e32 v33, v33, v34
	s_delay_alu instid0(VALU_DEP_1)
	v_cvt_f16_f32_e32 v35, v33
.LBB420_102:
	s_or_b32 exec_lo, exec_lo, s50
	s_delay_alu instid0(VALU_DEP_1)
	v_dual_mov_b32 v33, v35 :: v_dual_and_b32 v34, 0xffff, v35
.LBB420_103:
	s_or_b32 exec_lo, exec_lo, s49
	s_delay_alu instid0(VALU_DEP_1)
	v_mov_b32_dpp v35, v34 row_shr:8 row_mask:0xf bank_mask:0xf
	s_mov_b32 s49, exec_lo
	v_cmpx_lt_u32_e32 7, v32
	s_cbranch_execz .LBB420_107
; %bb.104:
	s_delay_alu instid0(VALU_DEP_2) | instskip(SKIP_2) | instid1(VALU_DEP_2)
	v_cvt_f32_f16_e32 v32, v35
	v_cvt_f32_f16_e32 v34, v33
	v_cmp_u_f16_e64 s1, v35, v35
	v_min_f32_e32 v36, v32, v34
	v_max_f32_e32 v37, v32, v34
	s_delay_alu instid0(VALU_DEP_2) | instskip(NEXT) | instid1(VALU_DEP_2)
	v_cndmask_b32_e64 v36, v36, v32, s1
	v_cndmask_b32_e64 v32, v37, v32, s1
	v_cmp_u_f16_e64 s1, v33, v33
	s_delay_alu instid0(VALU_DEP_1) | instskip(NEXT) | instid1(VALU_DEP_3)
	v_cndmask_b32_e64 v33, v36, v34, s1
	v_cndmask_b32_e64 v32, v32, v34, s1
	s_delay_alu instid0(VALU_DEP_2) | instskip(NEXT) | instid1(VALU_DEP_2)
	v_cmp_class_f32_e64 s50, v33, 0x1f8
	v_cmp_neq_f32_e64 s1, v33, v32
	s_delay_alu instid0(VALU_DEP_1) | instskip(NEXT) | instid1(SALU_CYCLE_1)
	s_or_b32 s1, s1, s50
	s_and_saveexec_b32 s50, s1
	s_cbranch_execz .LBB420_106
; %bb.105:
	v_sub_f32_e32 v33, v33, v32
	s_delay_alu instid0(VALU_DEP_1) | instskip(NEXT) | instid1(VALU_DEP_1)
	v_mul_f32_e32 v34, 0x3fb8aa3b, v33
	v_fma_f32 v35, 0x3fb8aa3b, v33, -v34
	v_rndne_f32_e32 v36, v34
	s_delay_alu instid0(VALU_DEP_1) | instskip(NEXT) | instid1(VALU_DEP_1)
	v_dual_fmamk_f32 v35, v33, 0x32a5705f, v35 :: v_dual_sub_f32 v34, v34, v36
	v_add_f32_e32 v34, v34, v35
	v_cvt_i32_f32_e32 v35, v36
	v_cmp_ngt_f32_e64 s1, 0xc2ce8ed0, v33
	s_delay_alu instid0(VALU_DEP_3) | instskip(SKIP_2) | instid1(VALU_DEP_1)
	v_exp_f32_e32 v34, v34
	s_waitcnt_depctr 0xfff
	v_ldexp_f32 v34, v34, v35
	v_cndmask_b32_e64 v34, 0, v34, s1
	v_cmp_nlt_f32_e64 s1, 0x42b17218, v33
	s_delay_alu instid0(VALU_DEP_1) | instskip(NEXT) | instid1(VALU_DEP_1)
	v_cndmask_b32_e64 v35, 0x7f800000, v34, s1
	v_add_f32_e32 v36, 1.0, v35
	v_cmp_gt_f32_e64 s51, 0x33800000, |v35|
	s_delay_alu instid0(VALU_DEP_2) | instskip(NEXT) | instid1(VALU_DEP_1)
	v_cvt_f64_f32_e32 v[33:34], v36
	v_frexp_exp_i32_f64_e32 v33, v[33:34]
	v_frexp_mant_f32_e32 v34, v36
	s_delay_alu instid0(VALU_DEP_1) | instskip(SKIP_1) | instid1(VALU_DEP_1)
	v_cmp_gt_f32_e64 s1, 0x3f2aaaab, v34
	v_add_f32_e32 v34, -1.0, v36
	v_sub_f32_e32 v38, v34, v36
	s_delay_alu instid0(VALU_DEP_3) | instskip(SKIP_1) | instid1(VALU_DEP_1)
	v_subrev_co_ci_u32_e64 v33, s1, 0, v33, s1
	s_mov_b32 s1, 0x3e9b6dac
	v_sub_nc_u32_e32 v37, 0, v33
	v_cvt_f32_i32_e32 v33, v33
	s_delay_alu instid0(VALU_DEP_2) | instskip(NEXT) | instid1(VALU_DEP_1)
	v_ldexp_f32 v36, v36, v37
	v_dual_sub_f32 v34, v35, v34 :: v_dual_add_f32 v39, 1.0, v36
	v_add_f32_e32 v38, 1.0, v38
	s_delay_alu instid0(VALU_DEP_1) | instskip(NEXT) | instid1(VALU_DEP_3)
	v_add_f32_e32 v34, v34, v38
	v_add_f32_e32 v38, -1.0, v39
	s_delay_alu instid0(VALU_DEP_2) | instskip(NEXT) | instid1(VALU_DEP_2)
	v_ldexp_f32 v34, v34, v37
	v_dual_add_f32 v37, -1.0, v36 :: v_dual_sub_f32 v38, v36, v38
	s_delay_alu instid0(VALU_DEP_1) | instskip(NEXT) | instid1(VALU_DEP_2)
	v_add_f32_e32 v40, 1.0, v37
	v_add_f32_e32 v38, v34, v38
	s_delay_alu instid0(VALU_DEP_2) | instskip(NEXT) | instid1(VALU_DEP_2)
	v_sub_f32_e32 v36, v36, v40
	v_add_f32_e32 v40, v39, v38
	s_delay_alu instid0(VALU_DEP_2) | instskip(NEXT) | instid1(VALU_DEP_2)
	v_add_f32_e32 v34, v34, v36
	v_rcp_f32_e32 v36, v40
	v_sub_f32_e32 v39, v39, v40
	s_delay_alu instid0(VALU_DEP_1) | instskip(NEXT) | instid1(VALU_DEP_1)
	v_dual_add_f32 v41, v37, v34 :: v_dual_add_f32 v38, v38, v39
	v_sub_f32_e32 v37, v37, v41
	s_waitcnt_depctr 0xfff
	v_mul_f32_e32 v42, v41, v36
	s_delay_alu instid0(VALU_DEP_1) | instskip(NEXT) | instid1(VALU_DEP_1)
	v_dual_add_f32 v34, v34, v37 :: v_dual_mul_f32 v43, v40, v42
	v_fma_f32 v39, v42, v40, -v43
	s_delay_alu instid0(VALU_DEP_1) | instskip(NEXT) | instid1(VALU_DEP_1)
	v_fmac_f32_e32 v39, v42, v38
	v_add_f32_e32 v44, v43, v39
	s_delay_alu instid0(VALU_DEP_1) | instskip(SKIP_1) | instid1(VALU_DEP_2)
	v_sub_f32_e32 v45, v41, v44
	v_sub_f32_e32 v37, v44, v43
	;; [unrolled: 1-line block ×3, first 2 shown]
	s_delay_alu instid0(VALU_DEP_2) | instskip(NEXT) | instid1(VALU_DEP_2)
	v_sub_f32_e32 v37, v37, v39
	v_sub_f32_e32 v41, v41, v44
	s_delay_alu instid0(VALU_DEP_1) | instskip(NEXT) | instid1(VALU_DEP_1)
	v_add_f32_e32 v34, v34, v41
	v_add_f32_e32 v34, v37, v34
	s_delay_alu instid0(VALU_DEP_1) | instskip(NEXT) | instid1(VALU_DEP_1)
	v_add_f32_e32 v37, v45, v34
	v_mul_f32_e32 v39, v36, v37
	s_delay_alu instid0(VALU_DEP_1) | instskip(NEXT) | instid1(VALU_DEP_1)
	v_dual_sub_f32 v44, v45, v37 :: v_dual_mul_f32 v41, v40, v39
	v_add_f32_e32 v34, v34, v44
	s_delay_alu instid0(VALU_DEP_2) | instskip(NEXT) | instid1(VALU_DEP_1)
	v_fma_f32 v40, v39, v40, -v41
	v_fmac_f32_e32 v40, v39, v38
	s_delay_alu instid0(VALU_DEP_1) | instskip(NEXT) | instid1(VALU_DEP_1)
	v_add_f32_e32 v38, v41, v40
	v_sub_f32_e32 v43, v37, v38
	v_sub_f32_e32 v41, v38, v41
	s_delay_alu instid0(VALU_DEP_2) | instskip(NEXT) | instid1(VALU_DEP_1)
	v_sub_f32_e32 v37, v37, v43
	v_sub_f32_e32 v37, v37, v38
	s_delay_alu instid0(VALU_DEP_3) | instskip(NEXT) | instid1(VALU_DEP_2)
	v_sub_f32_e32 v38, v41, v40
	v_add_f32_e32 v34, v34, v37
	v_add_f32_e32 v37, v42, v39
	s_delay_alu instid0(VALU_DEP_2) | instskip(NEXT) | instid1(VALU_DEP_2)
	v_add_f32_e32 v34, v38, v34
	v_sub_f32_e32 v38, v37, v42
	s_delay_alu instid0(VALU_DEP_2) | instskip(NEXT) | instid1(VALU_DEP_2)
	v_add_f32_e32 v34, v43, v34
	v_sub_f32_e32 v38, v39, v38
	s_delay_alu instid0(VALU_DEP_2) | instskip(NEXT) | instid1(VALU_DEP_1)
	v_mul_f32_e32 v34, v36, v34
	v_add_f32_e32 v34, v38, v34
	s_delay_alu instid0(VALU_DEP_1) | instskip(NEXT) | instid1(VALU_DEP_1)
	v_add_f32_e32 v36, v37, v34
	v_mul_f32_e32 v38, v36, v36
	s_delay_alu instid0(VALU_DEP_1) | instskip(SKIP_2) | instid1(VALU_DEP_3)
	v_fmaak_f32 v39, s1, v38, 0x3ecc95a3
	v_mul_f32_e32 v40, v36, v38
	v_cmp_eq_f32_e64 s1, 0x7f800000, v35
	v_fmaak_f32 v38, v38, v39, 0x3f2aaada
	v_ldexp_f32 v39, v36, 1
	v_sub_f32_e32 v36, v36, v37
	s_delay_alu instid0(VALU_DEP_4) | instskip(NEXT) | instid1(VALU_DEP_3)
	s_or_b32 s1, s1, s51
	v_mul_f32_e32 v38, v40, v38
	v_mul_f32_e32 v40, 0x3f317218, v33
	s_delay_alu instid0(VALU_DEP_2) | instskip(NEXT) | instid1(VALU_DEP_1)
	v_dual_sub_f32 v34, v34, v36 :: v_dual_add_f32 v37, v39, v38
	v_ldexp_f32 v34, v34, 1
	s_delay_alu instid0(VALU_DEP_2) | instskip(NEXT) | instid1(VALU_DEP_4)
	v_sub_f32_e32 v36, v37, v39
	v_fma_f32 v39, 0x3f317218, v33, -v40
	s_delay_alu instid0(VALU_DEP_1) | instskip(NEXT) | instid1(VALU_DEP_1)
	v_dual_sub_f32 v36, v38, v36 :: v_dual_fmamk_f32 v33, v33, 0xb102e308, v39
	v_add_f32_e32 v34, v34, v36
	s_delay_alu instid0(VALU_DEP_2) | instskip(NEXT) | instid1(VALU_DEP_2)
	v_add_f32_e32 v36, v40, v33
	v_add_f32_e32 v38, v37, v34
	s_delay_alu instid0(VALU_DEP_2) | instskip(NEXT) | instid1(VALU_DEP_2)
	v_sub_f32_e32 v40, v36, v40
	v_add_f32_e32 v39, v36, v38
	v_sub_f32_e32 v37, v38, v37
	s_delay_alu instid0(VALU_DEP_3) | instskip(NEXT) | instid1(VALU_DEP_2)
	v_sub_f32_e32 v33, v33, v40
	v_dual_sub_f32 v41, v39, v36 :: v_dual_sub_f32 v34, v34, v37
	s_delay_alu instid0(VALU_DEP_1) | instskip(NEXT) | instid1(VALU_DEP_2)
	v_sub_f32_e32 v42, v39, v41
	v_dual_sub_f32 v37, v38, v41 :: v_dual_add_f32 v38, v33, v34
	s_delay_alu instid0(VALU_DEP_2) | instskip(NEXT) | instid1(VALU_DEP_1)
	v_sub_f32_e32 v36, v36, v42
	v_dual_add_f32 v36, v37, v36 :: v_dual_sub_f32 v37, v38, v33
	s_delay_alu instid0(VALU_DEP_1) | instskip(NEXT) | instid1(VALU_DEP_2)
	v_add_f32_e32 v36, v38, v36
	v_sub_f32_e32 v38, v38, v37
	v_sub_f32_e32 v34, v34, v37
	s_delay_alu instid0(VALU_DEP_2) | instskip(NEXT) | instid1(VALU_DEP_1)
	v_dual_add_f32 v40, v39, v36 :: v_dual_sub_f32 v33, v33, v38
	v_sub_f32_e32 v37, v40, v39
	s_delay_alu instid0(VALU_DEP_2) | instskip(NEXT) | instid1(VALU_DEP_2)
	v_add_f32_e32 v33, v34, v33
	v_sub_f32_e32 v34, v36, v37
	s_delay_alu instid0(VALU_DEP_1) | instskip(NEXT) | instid1(VALU_DEP_1)
	v_add_f32_e32 v33, v33, v34
	v_add_f32_e32 v33, v40, v33
	s_delay_alu instid0(VALU_DEP_1) | instskip(NEXT) | instid1(VALU_DEP_1)
	v_cndmask_b32_e64 v33, v33, v35, s1
	v_add_f32_e32 v32, v32, v33
	s_delay_alu instid0(VALU_DEP_1)
	v_cvt_f16_f32_e32 v35, v32
.LBB420_106:
	s_or_b32 exec_lo, exec_lo, s50
	s_delay_alu instid0(VALU_DEP_1)
	v_dual_mov_b32 v33, v35 :: v_dual_and_b32 v34, 0xffff, v35
.LBB420_107:
	s_or_b32 exec_lo, exec_lo, s49
	ds_swizzle_b32 v34, v34 offset:swizzle(BROADCAST,32,15)
	v_and_b32_e32 v32, 16, v31
	s_mov_b32 s49, exec_lo
	s_delay_alu instid0(VALU_DEP_1)
	v_cmpx_ne_u32_e32 0, v32
	s_cbranch_execz .LBB420_111
; %bb.108:
	s_waitcnt lgkmcnt(0)
	v_cvt_f32_f16_e32 v32, v34
	v_cvt_f32_f16_e32 v35, v33
	v_cmp_u_f16_e64 s1, v34, v34
	s_delay_alu instid0(VALU_DEP_2) | instskip(SKIP_1) | instid1(VALU_DEP_2)
	v_min_f32_e32 v36, v32, v35
	v_max_f32_e32 v37, v32, v35
	v_cndmask_b32_e64 v36, v36, v32, s1
	s_delay_alu instid0(VALU_DEP_2) | instskip(SKIP_1) | instid1(VALU_DEP_1)
	v_cndmask_b32_e64 v32, v37, v32, s1
	v_cmp_u_f16_e64 s1, v33, v33
	v_cndmask_b32_e64 v33, v36, v35, s1
	s_delay_alu instid0(VALU_DEP_3) | instskip(NEXT) | instid1(VALU_DEP_2)
	v_cndmask_b32_e64 v32, v32, v35, s1
	v_cmp_class_f32_e64 s50, v33, 0x1f8
	s_delay_alu instid0(VALU_DEP_2) | instskip(NEXT) | instid1(VALU_DEP_1)
	v_cmp_neq_f32_e64 s1, v33, v32
	s_or_b32 s1, s1, s50
	s_delay_alu instid0(SALU_CYCLE_1)
	s_and_saveexec_b32 s50, s1
	s_cbranch_execz .LBB420_110
; %bb.109:
	v_sub_f32_e32 v33, v33, v32
	s_delay_alu instid0(VALU_DEP_1) | instskip(NEXT) | instid1(VALU_DEP_1)
	v_mul_f32_e32 v34, 0x3fb8aa3b, v33
	v_fma_f32 v35, 0x3fb8aa3b, v33, -v34
	v_rndne_f32_e32 v36, v34
	s_delay_alu instid0(VALU_DEP_1) | instskip(NEXT) | instid1(VALU_DEP_1)
	v_dual_fmamk_f32 v35, v33, 0x32a5705f, v35 :: v_dual_sub_f32 v34, v34, v36
	v_add_f32_e32 v34, v34, v35
	v_cvt_i32_f32_e32 v35, v36
	v_cmp_ngt_f32_e64 s1, 0xc2ce8ed0, v33
	s_delay_alu instid0(VALU_DEP_3) | instskip(SKIP_2) | instid1(VALU_DEP_1)
	v_exp_f32_e32 v34, v34
	s_waitcnt_depctr 0xfff
	v_ldexp_f32 v34, v34, v35
	v_cndmask_b32_e64 v34, 0, v34, s1
	v_cmp_nlt_f32_e64 s1, 0x42b17218, v33
	s_delay_alu instid0(VALU_DEP_1) | instskip(NEXT) | instid1(VALU_DEP_1)
	v_cndmask_b32_e64 v35, 0x7f800000, v34, s1
	v_add_f32_e32 v36, 1.0, v35
	v_cmp_gt_f32_e64 s51, 0x33800000, |v35|
	s_delay_alu instid0(VALU_DEP_2) | instskip(NEXT) | instid1(VALU_DEP_1)
	v_cvt_f64_f32_e32 v[33:34], v36
	v_frexp_exp_i32_f64_e32 v33, v[33:34]
	v_frexp_mant_f32_e32 v34, v36
	s_delay_alu instid0(VALU_DEP_1) | instskip(SKIP_1) | instid1(VALU_DEP_1)
	v_cmp_gt_f32_e64 s1, 0x3f2aaaab, v34
	v_add_f32_e32 v34, -1.0, v36
	v_sub_f32_e32 v38, v34, v36
	s_delay_alu instid0(VALU_DEP_3) | instskip(SKIP_1) | instid1(VALU_DEP_1)
	v_subrev_co_ci_u32_e64 v33, s1, 0, v33, s1
	s_mov_b32 s1, 0x3e9b6dac
	v_sub_nc_u32_e32 v37, 0, v33
	v_cvt_f32_i32_e32 v33, v33
	s_delay_alu instid0(VALU_DEP_2) | instskip(NEXT) | instid1(VALU_DEP_1)
	v_ldexp_f32 v36, v36, v37
	v_dual_sub_f32 v34, v35, v34 :: v_dual_add_f32 v39, 1.0, v36
	v_add_f32_e32 v38, 1.0, v38
	s_delay_alu instid0(VALU_DEP_1) | instskip(NEXT) | instid1(VALU_DEP_3)
	v_add_f32_e32 v34, v34, v38
	v_add_f32_e32 v38, -1.0, v39
	s_delay_alu instid0(VALU_DEP_2) | instskip(NEXT) | instid1(VALU_DEP_2)
	v_ldexp_f32 v34, v34, v37
	v_dual_add_f32 v37, -1.0, v36 :: v_dual_sub_f32 v38, v36, v38
	s_delay_alu instid0(VALU_DEP_1) | instskip(NEXT) | instid1(VALU_DEP_2)
	v_add_f32_e32 v40, 1.0, v37
	v_add_f32_e32 v38, v34, v38
	s_delay_alu instid0(VALU_DEP_2) | instskip(NEXT) | instid1(VALU_DEP_2)
	v_sub_f32_e32 v36, v36, v40
	v_add_f32_e32 v40, v39, v38
	s_delay_alu instid0(VALU_DEP_2) | instskip(NEXT) | instid1(VALU_DEP_2)
	v_add_f32_e32 v34, v34, v36
	v_rcp_f32_e32 v36, v40
	v_sub_f32_e32 v39, v39, v40
	s_delay_alu instid0(VALU_DEP_1) | instskip(NEXT) | instid1(VALU_DEP_1)
	v_dual_add_f32 v41, v37, v34 :: v_dual_add_f32 v38, v38, v39
	v_sub_f32_e32 v37, v37, v41
	s_waitcnt_depctr 0xfff
	v_mul_f32_e32 v42, v41, v36
	s_delay_alu instid0(VALU_DEP_1) | instskip(NEXT) | instid1(VALU_DEP_1)
	v_dual_add_f32 v34, v34, v37 :: v_dual_mul_f32 v43, v40, v42
	v_fma_f32 v39, v42, v40, -v43
	s_delay_alu instid0(VALU_DEP_1) | instskip(NEXT) | instid1(VALU_DEP_1)
	v_fmac_f32_e32 v39, v42, v38
	v_add_f32_e32 v44, v43, v39
	s_delay_alu instid0(VALU_DEP_1) | instskip(SKIP_1) | instid1(VALU_DEP_2)
	v_sub_f32_e32 v45, v41, v44
	v_sub_f32_e32 v37, v44, v43
	;; [unrolled: 1-line block ×3, first 2 shown]
	s_delay_alu instid0(VALU_DEP_2) | instskip(NEXT) | instid1(VALU_DEP_2)
	v_sub_f32_e32 v37, v37, v39
	v_sub_f32_e32 v41, v41, v44
	s_delay_alu instid0(VALU_DEP_1) | instskip(NEXT) | instid1(VALU_DEP_1)
	v_add_f32_e32 v34, v34, v41
	v_add_f32_e32 v34, v37, v34
	s_delay_alu instid0(VALU_DEP_1) | instskip(NEXT) | instid1(VALU_DEP_1)
	v_add_f32_e32 v37, v45, v34
	v_mul_f32_e32 v39, v36, v37
	s_delay_alu instid0(VALU_DEP_1) | instskip(NEXT) | instid1(VALU_DEP_1)
	v_dual_sub_f32 v44, v45, v37 :: v_dual_mul_f32 v41, v40, v39
	v_add_f32_e32 v34, v34, v44
	s_delay_alu instid0(VALU_DEP_2) | instskip(NEXT) | instid1(VALU_DEP_1)
	v_fma_f32 v40, v39, v40, -v41
	v_fmac_f32_e32 v40, v39, v38
	s_delay_alu instid0(VALU_DEP_1) | instskip(NEXT) | instid1(VALU_DEP_1)
	v_add_f32_e32 v38, v41, v40
	v_sub_f32_e32 v43, v37, v38
	v_sub_f32_e32 v41, v38, v41
	s_delay_alu instid0(VALU_DEP_2) | instskip(NEXT) | instid1(VALU_DEP_1)
	v_sub_f32_e32 v37, v37, v43
	v_sub_f32_e32 v37, v37, v38
	s_delay_alu instid0(VALU_DEP_3) | instskip(NEXT) | instid1(VALU_DEP_2)
	v_sub_f32_e32 v38, v41, v40
	v_add_f32_e32 v34, v34, v37
	v_add_f32_e32 v37, v42, v39
	s_delay_alu instid0(VALU_DEP_2) | instskip(NEXT) | instid1(VALU_DEP_2)
	v_add_f32_e32 v34, v38, v34
	v_sub_f32_e32 v38, v37, v42
	s_delay_alu instid0(VALU_DEP_2) | instskip(NEXT) | instid1(VALU_DEP_2)
	v_add_f32_e32 v34, v43, v34
	v_sub_f32_e32 v38, v39, v38
	s_delay_alu instid0(VALU_DEP_2) | instskip(NEXT) | instid1(VALU_DEP_1)
	v_mul_f32_e32 v34, v36, v34
	v_add_f32_e32 v34, v38, v34
	s_delay_alu instid0(VALU_DEP_1) | instskip(NEXT) | instid1(VALU_DEP_1)
	v_add_f32_e32 v36, v37, v34
	v_mul_f32_e32 v38, v36, v36
	s_delay_alu instid0(VALU_DEP_1) | instskip(SKIP_2) | instid1(VALU_DEP_3)
	v_fmaak_f32 v39, s1, v38, 0x3ecc95a3
	v_mul_f32_e32 v40, v36, v38
	v_cmp_eq_f32_e64 s1, 0x7f800000, v35
	v_fmaak_f32 v38, v38, v39, 0x3f2aaada
	v_ldexp_f32 v39, v36, 1
	v_sub_f32_e32 v36, v36, v37
	s_delay_alu instid0(VALU_DEP_4) | instskip(NEXT) | instid1(VALU_DEP_3)
	s_or_b32 s1, s1, s51
	v_mul_f32_e32 v38, v40, v38
	v_mul_f32_e32 v40, 0x3f317218, v33
	s_delay_alu instid0(VALU_DEP_2) | instskip(NEXT) | instid1(VALU_DEP_1)
	v_dual_sub_f32 v34, v34, v36 :: v_dual_add_f32 v37, v39, v38
	v_ldexp_f32 v34, v34, 1
	s_delay_alu instid0(VALU_DEP_2) | instskip(NEXT) | instid1(VALU_DEP_4)
	v_sub_f32_e32 v36, v37, v39
	v_fma_f32 v39, 0x3f317218, v33, -v40
	s_delay_alu instid0(VALU_DEP_1) | instskip(NEXT) | instid1(VALU_DEP_1)
	v_dual_sub_f32 v36, v38, v36 :: v_dual_fmamk_f32 v33, v33, 0xb102e308, v39
	v_add_f32_e32 v34, v34, v36
	s_delay_alu instid0(VALU_DEP_2) | instskip(NEXT) | instid1(VALU_DEP_2)
	v_add_f32_e32 v36, v40, v33
	v_add_f32_e32 v38, v37, v34
	s_delay_alu instid0(VALU_DEP_2) | instskip(NEXT) | instid1(VALU_DEP_2)
	v_sub_f32_e32 v40, v36, v40
	v_add_f32_e32 v39, v36, v38
	v_sub_f32_e32 v37, v38, v37
	s_delay_alu instid0(VALU_DEP_3) | instskip(NEXT) | instid1(VALU_DEP_2)
	v_sub_f32_e32 v33, v33, v40
	v_dual_sub_f32 v41, v39, v36 :: v_dual_sub_f32 v34, v34, v37
	s_delay_alu instid0(VALU_DEP_1) | instskip(NEXT) | instid1(VALU_DEP_2)
	v_sub_f32_e32 v42, v39, v41
	v_dual_sub_f32 v37, v38, v41 :: v_dual_add_f32 v38, v33, v34
	s_delay_alu instid0(VALU_DEP_2) | instskip(NEXT) | instid1(VALU_DEP_1)
	v_sub_f32_e32 v36, v36, v42
	v_dual_add_f32 v36, v37, v36 :: v_dual_sub_f32 v37, v38, v33
	s_delay_alu instid0(VALU_DEP_1) | instskip(NEXT) | instid1(VALU_DEP_2)
	v_add_f32_e32 v36, v38, v36
	v_sub_f32_e32 v38, v38, v37
	v_sub_f32_e32 v34, v34, v37
	s_delay_alu instid0(VALU_DEP_2) | instskip(NEXT) | instid1(VALU_DEP_1)
	v_dual_add_f32 v40, v39, v36 :: v_dual_sub_f32 v33, v33, v38
	v_sub_f32_e32 v37, v40, v39
	s_delay_alu instid0(VALU_DEP_2) | instskip(NEXT) | instid1(VALU_DEP_2)
	v_add_f32_e32 v33, v34, v33
	v_sub_f32_e32 v34, v36, v37
	s_delay_alu instid0(VALU_DEP_1) | instskip(NEXT) | instid1(VALU_DEP_1)
	v_add_f32_e32 v33, v33, v34
	v_add_f32_e32 v33, v40, v33
	s_delay_alu instid0(VALU_DEP_1) | instskip(NEXT) | instid1(VALU_DEP_1)
	v_cndmask_b32_e64 v33, v33, v35, s1
	v_add_f32_e32 v32, v32, v33
	s_delay_alu instid0(VALU_DEP_1)
	v_cvt_f16_f32_e32 v34, v32
.LBB420_110:
	s_or_b32 exec_lo, exec_lo, s50
	s_delay_alu instid0(VALU_DEP_1)
	v_mov_b32_e32 v33, v34
.LBB420_111:
	s_or_b32 exec_lo, exec_lo, s49
	v_add_nc_u32_e32 v32, -1, v31
	s_delay_alu instid0(VALU_DEP_1) | instskip(NEXT) | instid1(VALU_DEP_1)
	v_cmp_gt_i32_e64 s1, 0, v32
	v_cndmask_b32_e64 v31, v32, v31, s1
	v_and_b32_e32 v32, 0xffff, v33
	s_delay_alu instid0(VALU_DEP_2)
	v_lshlrev_b32_e32 v31, 2, v31
	ds_bpermute_b32 v31, v31, v32
	v_max_f32_e32 v32, v30, v30
	s_waitcnt lgkmcnt(0)
	v_cvt_f32_f16_e32 v33, v31
	v_cmp_u_f16_e64 s1, v31, v31
	s_delay_alu instid0(VALU_DEP_2) | instskip(SKIP_1) | instid1(VALU_DEP_2)
	v_min_f32_e32 v34, v33, v32
	v_max_f32_e32 v32, v33, v32
	v_cndmask_b32_e64 v34, v34, v33, s1
	s_delay_alu instid0(VALU_DEP_2) | instskip(NEXT) | instid1(VALU_DEP_2)
	v_cndmask_b32_e64 v33, v32, v33, s1
	v_cndmask_b32_e64 v32, v34, v30, s0
	s_delay_alu instid0(VALU_DEP_2) | instskip(NEXT) | instid1(VALU_DEP_2)
	v_cndmask_b32_e64 v30, v33, v30, s0
	v_cmp_class_f32_e64 s1, v32, 0x1f8
	s_delay_alu instid0(VALU_DEP_2) | instskip(NEXT) | instid1(VALU_DEP_1)
	v_cmp_neq_f32_e64 s0, v32, v30
	s_or_b32 s0, s0, s1
	s_delay_alu instid0(SALU_CYCLE_1)
	s_and_saveexec_b32 s1, s0
	s_cbranch_execz .LBB420_113
; %bb.112:
	v_sub_f32_e32 v31, v32, v30
	s_delay_alu instid0(VALU_DEP_1) | instskip(SKIP_1) | instid1(VALU_DEP_2)
	v_mul_f32_e32 v32, 0x3fb8aa3b, v31
	v_cmp_ngt_f32_e64 s0, 0xc2ce8ed0, v31
	v_fma_f32 v33, 0x3fb8aa3b, v31, -v32
	v_rndne_f32_e32 v34, v32
	s_delay_alu instid0(VALU_DEP_1) | instskip(NEXT) | instid1(VALU_DEP_1)
	v_dual_fmamk_f32 v33, v31, 0x32a5705f, v33 :: v_dual_sub_f32 v32, v32, v34
	v_add_f32_e32 v32, v32, v33
	v_cvt_i32_f32_e32 v33, v34
	s_delay_alu instid0(VALU_DEP_2) | instskip(SKIP_2) | instid1(VALU_DEP_1)
	v_exp_f32_e32 v32, v32
	s_waitcnt_depctr 0xfff
	v_ldexp_f32 v32, v32, v33
	v_cndmask_b32_e64 v32, 0, v32, s0
	v_cmp_nlt_f32_e64 s0, 0x42b17218, v31
	s_delay_alu instid0(VALU_DEP_1) | instskip(NEXT) | instid1(VALU_DEP_1)
	v_cndmask_b32_e64 v33, 0x7f800000, v32, s0
	v_add_f32_e32 v34, 1.0, v33
	v_cmp_gt_f32_e64 s49, 0x33800000, |v33|
	s_delay_alu instid0(VALU_DEP_2) | instskip(NEXT) | instid1(VALU_DEP_1)
	v_cvt_f64_f32_e32 v[31:32], v34
	v_frexp_exp_i32_f64_e32 v31, v[31:32]
	v_frexp_mant_f32_e32 v32, v34
	s_delay_alu instid0(VALU_DEP_1) | instskip(SKIP_1) | instid1(VALU_DEP_1)
	v_cmp_gt_f32_e64 s0, 0x3f2aaaab, v32
	v_add_f32_e32 v32, -1.0, v34
	v_sub_f32_e32 v36, v32, v34
	v_sub_f32_e32 v32, v33, v32
	s_delay_alu instid0(VALU_DEP_4) | instskip(SKIP_1) | instid1(VALU_DEP_1)
	v_subrev_co_ci_u32_e64 v31, s0, 0, v31, s0
	s_mov_b32 s0, 0x3e9b6dac
	v_sub_nc_u32_e32 v35, 0, v31
	v_cvt_f32_i32_e32 v31, v31
	s_delay_alu instid0(VALU_DEP_2) | instskip(NEXT) | instid1(VALU_DEP_1)
	v_ldexp_f32 v34, v34, v35
	v_dual_add_f32 v37, 1.0, v34 :: v_dual_add_f32 v36, 1.0, v36
	s_delay_alu instid0(VALU_DEP_1) | instskip(NEXT) | instid1(VALU_DEP_2)
	v_add_f32_e32 v32, v32, v36
	v_add_f32_e32 v36, -1.0, v37
	s_delay_alu instid0(VALU_DEP_2) | instskip(NEXT) | instid1(VALU_DEP_2)
	v_ldexp_f32 v32, v32, v35
	v_dual_add_f32 v35, -1.0, v34 :: v_dual_sub_f32 v36, v34, v36
	s_delay_alu instid0(VALU_DEP_1) | instskip(NEXT) | instid1(VALU_DEP_2)
	v_add_f32_e32 v38, 1.0, v35
	v_add_f32_e32 v36, v32, v36
	s_delay_alu instid0(VALU_DEP_2) | instskip(NEXT) | instid1(VALU_DEP_2)
	v_sub_f32_e32 v34, v34, v38
	v_add_f32_e32 v38, v37, v36
	s_delay_alu instid0(VALU_DEP_2) | instskip(NEXT) | instid1(VALU_DEP_2)
	v_add_f32_e32 v32, v32, v34
	v_rcp_f32_e32 v34, v38
	v_sub_f32_e32 v37, v37, v38
	s_delay_alu instid0(VALU_DEP_1) | instskip(NEXT) | instid1(VALU_DEP_1)
	v_dual_add_f32 v39, v35, v32 :: v_dual_add_f32 v36, v36, v37
	v_sub_f32_e32 v35, v35, v39
	s_waitcnt_depctr 0xfff
	v_mul_f32_e32 v40, v39, v34
	s_delay_alu instid0(VALU_DEP_1) | instskip(NEXT) | instid1(VALU_DEP_1)
	v_dual_add_f32 v32, v32, v35 :: v_dual_mul_f32 v41, v38, v40
	v_fma_f32 v37, v40, v38, -v41
	s_delay_alu instid0(VALU_DEP_1) | instskip(NEXT) | instid1(VALU_DEP_1)
	v_fmac_f32_e32 v37, v40, v36
	v_add_f32_e32 v42, v41, v37
	s_delay_alu instid0(VALU_DEP_1) | instskip(SKIP_1) | instid1(VALU_DEP_2)
	v_sub_f32_e32 v43, v39, v42
	v_sub_f32_e32 v35, v42, v41
	;; [unrolled: 1-line block ×3, first 2 shown]
	s_delay_alu instid0(VALU_DEP_2) | instskip(NEXT) | instid1(VALU_DEP_2)
	v_sub_f32_e32 v35, v35, v37
	v_sub_f32_e32 v39, v39, v42
	s_delay_alu instid0(VALU_DEP_1) | instskip(NEXT) | instid1(VALU_DEP_1)
	v_add_f32_e32 v32, v32, v39
	v_add_f32_e32 v32, v35, v32
	s_delay_alu instid0(VALU_DEP_1) | instskip(NEXT) | instid1(VALU_DEP_1)
	v_add_f32_e32 v35, v43, v32
	v_mul_f32_e32 v37, v34, v35
	s_delay_alu instid0(VALU_DEP_1) | instskip(NEXT) | instid1(VALU_DEP_1)
	v_dual_sub_f32 v42, v43, v35 :: v_dual_mul_f32 v39, v38, v37
	v_add_f32_e32 v32, v32, v42
	s_delay_alu instid0(VALU_DEP_2) | instskip(NEXT) | instid1(VALU_DEP_1)
	v_fma_f32 v38, v37, v38, -v39
	v_fmac_f32_e32 v38, v37, v36
	s_delay_alu instid0(VALU_DEP_1) | instskip(NEXT) | instid1(VALU_DEP_1)
	v_add_f32_e32 v36, v39, v38
	v_sub_f32_e32 v41, v35, v36
	v_sub_f32_e32 v39, v36, v39
	s_delay_alu instid0(VALU_DEP_2) | instskip(NEXT) | instid1(VALU_DEP_1)
	v_sub_f32_e32 v35, v35, v41
	v_sub_f32_e32 v35, v35, v36
	s_delay_alu instid0(VALU_DEP_3) | instskip(NEXT) | instid1(VALU_DEP_2)
	v_sub_f32_e32 v36, v39, v38
	v_add_f32_e32 v32, v32, v35
	v_add_f32_e32 v35, v40, v37
	s_delay_alu instid0(VALU_DEP_2) | instskip(NEXT) | instid1(VALU_DEP_2)
	v_add_f32_e32 v32, v36, v32
	v_sub_f32_e32 v36, v35, v40
	s_delay_alu instid0(VALU_DEP_2) | instskip(NEXT) | instid1(VALU_DEP_2)
	v_add_f32_e32 v32, v41, v32
	v_sub_f32_e32 v36, v37, v36
	s_delay_alu instid0(VALU_DEP_2) | instskip(NEXT) | instid1(VALU_DEP_1)
	v_mul_f32_e32 v32, v34, v32
	v_add_f32_e32 v32, v36, v32
	s_delay_alu instid0(VALU_DEP_1) | instskip(NEXT) | instid1(VALU_DEP_1)
	v_add_f32_e32 v34, v35, v32
	v_mul_f32_e32 v36, v34, v34
	s_delay_alu instid0(VALU_DEP_1) | instskip(SKIP_2) | instid1(VALU_DEP_3)
	v_fmaak_f32 v37, s0, v36, 0x3ecc95a3
	v_mul_f32_e32 v38, v34, v36
	v_cmp_eq_f32_e64 s0, 0x7f800000, v33
	v_fmaak_f32 v36, v36, v37, 0x3f2aaada
	v_ldexp_f32 v37, v34, 1
	v_sub_f32_e32 v34, v34, v35
	s_delay_alu instid0(VALU_DEP_4) | instskip(NEXT) | instid1(VALU_DEP_3)
	s_or_b32 s0, s0, s49
	v_mul_f32_e32 v36, v38, v36
	v_mul_f32_e32 v38, 0x3f317218, v31
	s_delay_alu instid0(VALU_DEP_2) | instskip(NEXT) | instid1(VALU_DEP_1)
	v_dual_sub_f32 v32, v32, v34 :: v_dual_add_f32 v35, v37, v36
	v_ldexp_f32 v32, v32, 1
	s_delay_alu instid0(VALU_DEP_2) | instskip(NEXT) | instid1(VALU_DEP_4)
	v_sub_f32_e32 v34, v35, v37
	v_fma_f32 v37, 0x3f317218, v31, -v38
	s_delay_alu instid0(VALU_DEP_1) | instskip(NEXT) | instid1(VALU_DEP_1)
	v_dual_sub_f32 v34, v36, v34 :: v_dual_fmamk_f32 v31, v31, 0xb102e308, v37
	v_add_f32_e32 v32, v32, v34
	s_delay_alu instid0(VALU_DEP_2) | instskip(NEXT) | instid1(VALU_DEP_2)
	v_add_f32_e32 v34, v38, v31
	v_add_f32_e32 v36, v35, v32
	s_delay_alu instid0(VALU_DEP_2) | instskip(NEXT) | instid1(VALU_DEP_2)
	v_sub_f32_e32 v38, v34, v38
	v_add_f32_e32 v37, v34, v36
	v_sub_f32_e32 v35, v36, v35
	s_delay_alu instid0(VALU_DEP_3) | instskip(NEXT) | instid1(VALU_DEP_2)
	v_sub_f32_e32 v31, v31, v38
	v_dual_sub_f32 v39, v37, v34 :: v_dual_sub_f32 v32, v32, v35
	s_delay_alu instid0(VALU_DEP_1) | instskip(NEXT) | instid1(VALU_DEP_2)
	v_sub_f32_e32 v40, v37, v39
	v_dual_sub_f32 v35, v36, v39 :: v_dual_add_f32 v36, v31, v32
	s_delay_alu instid0(VALU_DEP_2) | instskip(NEXT) | instid1(VALU_DEP_1)
	v_sub_f32_e32 v34, v34, v40
	v_dual_add_f32 v34, v35, v34 :: v_dual_sub_f32 v35, v36, v31
	s_delay_alu instid0(VALU_DEP_1) | instskip(NEXT) | instid1(VALU_DEP_2)
	v_add_f32_e32 v34, v36, v34
	v_sub_f32_e32 v36, v36, v35
	v_sub_f32_e32 v32, v32, v35
	s_delay_alu instid0(VALU_DEP_2) | instskip(NEXT) | instid1(VALU_DEP_1)
	v_dual_add_f32 v38, v37, v34 :: v_dual_sub_f32 v31, v31, v36
	v_sub_f32_e32 v35, v38, v37
	s_delay_alu instid0(VALU_DEP_2) | instskip(NEXT) | instid1(VALU_DEP_2)
	v_add_f32_e32 v31, v32, v31
	v_sub_f32_e32 v32, v34, v35
	s_delay_alu instid0(VALU_DEP_1) | instskip(NEXT) | instid1(VALU_DEP_1)
	v_add_f32_e32 v31, v31, v32
	v_add_f32_e32 v31, v38, v31
	s_delay_alu instid0(VALU_DEP_1) | instskip(NEXT) | instid1(VALU_DEP_1)
	v_cndmask_b32_e64 v31, v31, v33, s0
	v_add_f32_e32 v30, v30, v31
	s_delay_alu instid0(VALU_DEP_1)
	v_cvt_f16_f32_e32 v31, v30
.LBB420_113:
	s_or_b32 exec_lo, exec_lo, s1
	v_cmp_eq_u32_e64 s0, 0, v0
	; wave barrier
	s_delay_alu instid0(VALU_DEP_1)
	v_cndmask_b32_e64 v31, v31, v29, s0
	ds_store_b16 v28, v31
	; wave barrier
	ds_load_u16 v30, v28 offset:2
	v_cvt_f32_f16_e32 v32, v31
	v_cmp_u_f16_e64 s0, v31, v31
	s_waitcnt lgkmcnt(0)
	v_cvt_f32_f16_e32 v33, v30
	s_delay_alu instid0(VALU_DEP_1) | instskip(SKIP_1) | instid1(VALU_DEP_2)
	v_min_f32_e32 v34, v32, v33
	v_max_f32_e32 v35, v32, v33
	v_cndmask_b32_e64 v34, v34, v32, s0
	s_delay_alu instid0(VALU_DEP_2) | instskip(SKIP_1) | instid1(VALU_DEP_1)
	v_cndmask_b32_e64 v35, v35, v32, s0
	v_cmp_u_f16_e64 s0, v30, v30
	v_cndmask_b32_e64 v32, v34, v33, s0
	s_delay_alu instid0(VALU_DEP_3) | instskip(NEXT) | instid1(VALU_DEP_2)
	v_cndmask_b32_e64 v30, v35, v33, s0
	v_cmp_class_f32_e64 s1, v32, 0x1f8
	s_delay_alu instid0(VALU_DEP_2) | instskip(NEXT) | instid1(VALU_DEP_1)
	v_cmp_neq_f32_e64 s0, v32, v30
	s_or_b32 s0, s0, s1
	s_delay_alu instid0(SALU_CYCLE_1)
	s_and_saveexec_b32 s1, s0
	s_cbranch_execz .LBB420_115
; %bb.114:
	v_sub_f32_e32 v31, v32, v30
	s_delay_alu instid0(VALU_DEP_1) | instskip(SKIP_1) | instid1(VALU_DEP_2)
	v_mul_f32_e32 v32, 0x3fb8aa3b, v31
	v_cmp_ngt_f32_e64 s0, 0xc2ce8ed0, v31
	v_fma_f32 v33, 0x3fb8aa3b, v31, -v32
	v_rndne_f32_e32 v34, v32
	s_delay_alu instid0(VALU_DEP_1) | instskip(NEXT) | instid1(VALU_DEP_1)
	v_dual_fmamk_f32 v33, v31, 0x32a5705f, v33 :: v_dual_sub_f32 v32, v32, v34
	v_add_f32_e32 v32, v32, v33
	v_cvt_i32_f32_e32 v33, v34
	s_delay_alu instid0(VALU_DEP_2) | instskip(SKIP_2) | instid1(VALU_DEP_1)
	v_exp_f32_e32 v32, v32
	s_waitcnt_depctr 0xfff
	v_ldexp_f32 v32, v32, v33
	v_cndmask_b32_e64 v32, 0, v32, s0
	v_cmp_nlt_f32_e64 s0, 0x42b17218, v31
	s_delay_alu instid0(VALU_DEP_1) | instskip(NEXT) | instid1(VALU_DEP_1)
	v_cndmask_b32_e64 v33, 0x7f800000, v32, s0
	v_add_f32_e32 v34, 1.0, v33
	v_cmp_gt_f32_e64 s49, 0x33800000, |v33|
	s_delay_alu instid0(VALU_DEP_2) | instskip(NEXT) | instid1(VALU_DEP_1)
	v_cvt_f64_f32_e32 v[31:32], v34
	v_frexp_exp_i32_f64_e32 v31, v[31:32]
	v_frexp_mant_f32_e32 v32, v34
	s_delay_alu instid0(VALU_DEP_1) | instskip(SKIP_1) | instid1(VALU_DEP_1)
	v_cmp_gt_f32_e64 s0, 0x3f2aaaab, v32
	v_add_f32_e32 v32, -1.0, v34
	v_sub_f32_e32 v36, v32, v34
	v_sub_f32_e32 v32, v33, v32
	s_delay_alu instid0(VALU_DEP_4) | instskip(SKIP_1) | instid1(VALU_DEP_1)
	v_subrev_co_ci_u32_e64 v31, s0, 0, v31, s0
	s_mov_b32 s0, 0x3e9b6dac
	v_sub_nc_u32_e32 v35, 0, v31
	v_cvt_f32_i32_e32 v31, v31
	s_delay_alu instid0(VALU_DEP_2) | instskip(NEXT) | instid1(VALU_DEP_1)
	v_ldexp_f32 v34, v34, v35
	v_dual_add_f32 v37, 1.0, v34 :: v_dual_add_f32 v36, 1.0, v36
	s_delay_alu instid0(VALU_DEP_1) | instskip(NEXT) | instid1(VALU_DEP_2)
	v_add_f32_e32 v32, v32, v36
	v_add_f32_e32 v36, -1.0, v37
	s_delay_alu instid0(VALU_DEP_2) | instskip(NEXT) | instid1(VALU_DEP_2)
	v_ldexp_f32 v32, v32, v35
	v_dual_add_f32 v35, -1.0, v34 :: v_dual_sub_f32 v36, v34, v36
	s_delay_alu instid0(VALU_DEP_1) | instskip(NEXT) | instid1(VALU_DEP_2)
	v_add_f32_e32 v38, 1.0, v35
	v_add_f32_e32 v36, v32, v36
	s_delay_alu instid0(VALU_DEP_2) | instskip(NEXT) | instid1(VALU_DEP_2)
	v_sub_f32_e32 v34, v34, v38
	v_add_f32_e32 v38, v37, v36
	s_delay_alu instid0(VALU_DEP_2) | instskip(NEXT) | instid1(VALU_DEP_2)
	v_add_f32_e32 v32, v32, v34
	v_rcp_f32_e32 v34, v38
	v_sub_f32_e32 v37, v37, v38
	s_delay_alu instid0(VALU_DEP_1) | instskip(NEXT) | instid1(VALU_DEP_1)
	v_dual_add_f32 v39, v35, v32 :: v_dual_add_f32 v36, v36, v37
	v_sub_f32_e32 v35, v35, v39
	s_waitcnt_depctr 0xfff
	v_mul_f32_e32 v40, v39, v34
	s_delay_alu instid0(VALU_DEP_1) | instskip(NEXT) | instid1(VALU_DEP_1)
	v_dual_add_f32 v32, v32, v35 :: v_dual_mul_f32 v41, v38, v40
	v_fma_f32 v37, v40, v38, -v41
	s_delay_alu instid0(VALU_DEP_1) | instskip(NEXT) | instid1(VALU_DEP_1)
	v_fmac_f32_e32 v37, v40, v36
	v_add_f32_e32 v42, v41, v37
	s_delay_alu instid0(VALU_DEP_1) | instskip(SKIP_1) | instid1(VALU_DEP_2)
	v_sub_f32_e32 v43, v39, v42
	v_sub_f32_e32 v35, v42, v41
	;; [unrolled: 1-line block ×3, first 2 shown]
	s_delay_alu instid0(VALU_DEP_2) | instskip(NEXT) | instid1(VALU_DEP_2)
	v_sub_f32_e32 v35, v35, v37
	v_sub_f32_e32 v39, v39, v42
	s_delay_alu instid0(VALU_DEP_1) | instskip(NEXT) | instid1(VALU_DEP_1)
	v_add_f32_e32 v32, v32, v39
	v_add_f32_e32 v32, v35, v32
	s_delay_alu instid0(VALU_DEP_1) | instskip(NEXT) | instid1(VALU_DEP_1)
	v_add_f32_e32 v35, v43, v32
	v_mul_f32_e32 v37, v34, v35
	s_delay_alu instid0(VALU_DEP_1) | instskip(NEXT) | instid1(VALU_DEP_1)
	v_dual_sub_f32 v42, v43, v35 :: v_dual_mul_f32 v39, v38, v37
	v_add_f32_e32 v32, v32, v42
	s_delay_alu instid0(VALU_DEP_2) | instskip(NEXT) | instid1(VALU_DEP_1)
	v_fma_f32 v38, v37, v38, -v39
	v_fmac_f32_e32 v38, v37, v36
	s_delay_alu instid0(VALU_DEP_1) | instskip(NEXT) | instid1(VALU_DEP_1)
	v_add_f32_e32 v36, v39, v38
	v_sub_f32_e32 v41, v35, v36
	v_sub_f32_e32 v39, v36, v39
	s_delay_alu instid0(VALU_DEP_2) | instskip(NEXT) | instid1(VALU_DEP_1)
	v_sub_f32_e32 v35, v35, v41
	v_sub_f32_e32 v35, v35, v36
	s_delay_alu instid0(VALU_DEP_3) | instskip(NEXT) | instid1(VALU_DEP_2)
	v_sub_f32_e32 v36, v39, v38
	v_add_f32_e32 v32, v32, v35
	v_add_f32_e32 v35, v40, v37
	s_delay_alu instid0(VALU_DEP_2) | instskip(NEXT) | instid1(VALU_DEP_2)
	v_add_f32_e32 v32, v36, v32
	v_sub_f32_e32 v36, v35, v40
	s_delay_alu instid0(VALU_DEP_2) | instskip(NEXT) | instid1(VALU_DEP_2)
	v_add_f32_e32 v32, v41, v32
	v_sub_f32_e32 v36, v37, v36
	s_delay_alu instid0(VALU_DEP_2) | instskip(NEXT) | instid1(VALU_DEP_1)
	v_mul_f32_e32 v32, v34, v32
	v_add_f32_e32 v32, v36, v32
	s_delay_alu instid0(VALU_DEP_1) | instskip(NEXT) | instid1(VALU_DEP_1)
	v_add_f32_e32 v34, v35, v32
	v_mul_f32_e32 v36, v34, v34
	s_delay_alu instid0(VALU_DEP_1) | instskip(SKIP_2) | instid1(VALU_DEP_3)
	v_fmaak_f32 v37, s0, v36, 0x3ecc95a3
	v_mul_f32_e32 v38, v34, v36
	v_cmp_eq_f32_e64 s0, 0x7f800000, v33
	v_fmaak_f32 v36, v36, v37, 0x3f2aaada
	v_ldexp_f32 v37, v34, 1
	v_sub_f32_e32 v34, v34, v35
	s_delay_alu instid0(VALU_DEP_4) | instskip(NEXT) | instid1(VALU_DEP_3)
	s_or_b32 s0, s0, s49
	v_mul_f32_e32 v36, v38, v36
	v_mul_f32_e32 v38, 0x3f317218, v31
	s_delay_alu instid0(VALU_DEP_2) | instskip(NEXT) | instid1(VALU_DEP_1)
	v_dual_sub_f32 v32, v32, v34 :: v_dual_add_f32 v35, v37, v36
	v_ldexp_f32 v32, v32, 1
	s_delay_alu instid0(VALU_DEP_2) | instskip(NEXT) | instid1(VALU_DEP_4)
	v_sub_f32_e32 v34, v35, v37
	v_fma_f32 v37, 0x3f317218, v31, -v38
	s_delay_alu instid0(VALU_DEP_1) | instskip(NEXT) | instid1(VALU_DEP_1)
	v_dual_sub_f32 v34, v36, v34 :: v_dual_fmamk_f32 v31, v31, 0xb102e308, v37
	v_add_f32_e32 v32, v32, v34
	s_delay_alu instid0(VALU_DEP_2) | instskip(NEXT) | instid1(VALU_DEP_2)
	v_add_f32_e32 v34, v38, v31
	v_add_f32_e32 v36, v35, v32
	s_delay_alu instid0(VALU_DEP_2) | instskip(NEXT) | instid1(VALU_DEP_2)
	v_sub_f32_e32 v38, v34, v38
	v_add_f32_e32 v37, v34, v36
	v_sub_f32_e32 v35, v36, v35
	s_delay_alu instid0(VALU_DEP_3) | instskip(NEXT) | instid1(VALU_DEP_2)
	v_sub_f32_e32 v31, v31, v38
	v_dual_sub_f32 v39, v37, v34 :: v_dual_sub_f32 v32, v32, v35
	s_delay_alu instid0(VALU_DEP_1) | instskip(NEXT) | instid1(VALU_DEP_2)
	v_sub_f32_e32 v40, v37, v39
	v_dual_sub_f32 v35, v36, v39 :: v_dual_add_f32 v36, v31, v32
	s_delay_alu instid0(VALU_DEP_2) | instskip(NEXT) | instid1(VALU_DEP_1)
	v_sub_f32_e32 v34, v34, v40
	v_dual_add_f32 v34, v35, v34 :: v_dual_sub_f32 v35, v36, v31
	s_delay_alu instid0(VALU_DEP_1) | instskip(NEXT) | instid1(VALU_DEP_2)
	v_add_f32_e32 v34, v36, v34
	v_sub_f32_e32 v36, v36, v35
	v_sub_f32_e32 v32, v32, v35
	s_delay_alu instid0(VALU_DEP_2) | instskip(NEXT) | instid1(VALU_DEP_1)
	v_dual_add_f32 v38, v37, v34 :: v_dual_sub_f32 v31, v31, v36
	v_sub_f32_e32 v35, v38, v37
	s_delay_alu instid0(VALU_DEP_2) | instskip(NEXT) | instid1(VALU_DEP_2)
	v_add_f32_e32 v31, v32, v31
	v_sub_f32_e32 v32, v34, v35
	s_delay_alu instid0(VALU_DEP_1) | instskip(NEXT) | instid1(VALU_DEP_1)
	v_add_f32_e32 v31, v31, v32
	v_add_f32_e32 v31, v38, v31
	s_delay_alu instid0(VALU_DEP_1) | instskip(NEXT) | instid1(VALU_DEP_1)
	v_cndmask_b32_e64 v31, v31, v33, s0
	v_add_f32_e32 v30, v30, v31
	s_delay_alu instid0(VALU_DEP_1)
	v_cvt_f16_f32_e32 v31, v30
.LBB420_115:
	s_or_b32 exec_lo, exec_lo, s1
	ds_store_b16 v28, v31 offset:2
.LBB420_116:
	s_or_b32 exec_lo, exec_lo, s48
	v_mul_u32_u24_e32 v28, 42, v0
	v_cmp_ne_u32_e64 s0, 0, v0
	s_waitcnt lgkmcnt(0)
	s_barrier
	buffer_gl0_inv
	s_and_saveexec_b32 s1, s0
	s_cbranch_execz .LBB420_118
; %bb.117:
	v_add_nc_u32_e32 v29, -1, v0
	s_delay_alu instid0(VALU_DEP_1) | instskip(NEXT) | instid1(VALU_DEP_1)
	v_lshrrev_b32_e32 v30, 5, v29
	v_add_lshl_u32 v29, v30, v29, 1
	ds_load_u16 v29, v29
.LBB420_118:
	s_or_b32 exec_lo, exec_lo, s1
	v_mov_b32_e32 v30, v2
	s_and_saveexec_b32 s1, s0
	s_cbranch_execz .LBB420_122
; %bb.119:
	s_waitcnt lgkmcnt(0)
	v_cvt_f32_f16_e32 v31, v29
	v_max_f32_e32 v2, v13, v13
	v_cmp_u_f16_e64 s0, v29, v29
	s_delay_alu instid0(VALU_DEP_2) | instskip(SKIP_1) | instid1(VALU_DEP_2)
	v_min_f32_e32 v26, v31, v2
	v_max_f32_e32 v2, v31, v2
	v_cndmask_b32_e64 v26, v26, v31, s0
	s_delay_alu instid0(VALU_DEP_2) | instskip(NEXT) | instid1(VALU_DEP_2)
	v_cndmask_b32_e64 v2, v2, v31, s0
	v_cndmask_b32_e64 v26, v26, v13, s45
	s_delay_alu instid0(VALU_DEP_2) | instskip(NEXT) | instid1(VALU_DEP_2)
	v_cndmask_b32_e64 v2, v2, v13, s45
	v_cmp_class_f32_e64 s45, v26, 0x1f8
	s_delay_alu instid0(VALU_DEP_2) | instskip(NEXT) | instid1(VALU_DEP_1)
	v_cmp_neq_f32_e64 s0, v26, v2
	s_or_b32 s0, s0, s45
	s_delay_alu instid0(SALU_CYCLE_1)
	s_and_saveexec_b32 s45, s0
	s_cbranch_execz .LBB420_121
; %bb.120:
	v_sub_f32_e32 v13, v26, v2
	s_delay_alu instid0(VALU_DEP_1) | instskip(SKIP_1) | instid1(VALU_DEP_2)
	v_mul_f32_e32 v26, 0x3fb8aa3b, v13
	v_cmp_ngt_f32_e64 s0, 0xc2ce8ed0, v13
	v_fma_f32 v27, 0x3fb8aa3b, v13, -v26
	v_rndne_f32_e32 v29, v26
	s_delay_alu instid0(VALU_DEP_1) | instskip(NEXT) | instid1(VALU_DEP_1)
	v_dual_fmamk_f32 v27, v13, 0x32a5705f, v27 :: v_dual_sub_f32 v26, v26, v29
	v_add_f32_e32 v26, v26, v27
	v_cvt_i32_f32_e32 v27, v29
	s_delay_alu instid0(VALU_DEP_2) | instskip(SKIP_2) | instid1(VALU_DEP_1)
	v_exp_f32_e32 v26, v26
	s_waitcnt_depctr 0xfff
	v_ldexp_f32 v26, v26, v27
	v_cndmask_b32_e64 v26, 0, v26, s0
	v_cmp_nlt_f32_e64 s0, 0x42b17218, v13
	s_delay_alu instid0(VALU_DEP_1) | instskip(NEXT) | instid1(VALU_DEP_1)
	v_cndmask_b32_e64 v13, 0x7f800000, v26, s0
	v_add_f32_e32 v29, 1.0, v13
	v_cmp_gt_f32_e64 s48, 0x33800000, |v13|
	s_delay_alu instid0(VALU_DEP_2) | instskip(NEXT) | instid1(VALU_DEP_1)
	v_cvt_f64_f32_e32 v[26:27], v29
	v_frexp_exp_i32_f64_e32 v26, v[26:27]
	v_frexp_mant_f32_e32 v27, v29
	s_delay_alu instid0(VALU_DEP_1) | instskip(SKIP_1) | instid1(VALU_DEP_1)
	v_cmp_gt_f32_e64 s0, 0x3f2aaaab, v27
	v_add_f32_e32 v27, -1.0, v29
	v_sub_f32_e32 v31, v27, v29
	v_sub_f32_e32 v27, v13, v27
	s_delay_alu instid0(VALU_DEP_4) | instskip(SKIP_1) | instid1(VALU_DEP_1)
	v_subrev_co_ci_u32_e64 v26, s0, 0, v26, s0
	s_mov_b32 s0, 0x3e9b6dac
	v_sub_nc_u32_e32 v30, 0, v26
	v_cvt_f32_i32_e32 v26, v26
	s_delay_alu instid0(VALU_DEP_2) | instskip(NEXT) | instid1(VALU_DEP_1)
	v_ldexp_f32 v29, v29, v30
	v_dual_add_f32 v31, 1.0, v31 :: v_dual_add_f32 v32, 1.0, v29
	s_delay_alu instid0(VALU_DEP_1) | instskip(NEXT) | instid1(VALU_DEP_2)
	v_add_f32_e32 v27, v27, v31
	v_add_f32_e32 v31, -1.0, v32
	s_delay_alu instid0(VALU_DEP_2) | instskip(NEXT) | instid1(VALU_DEP_2)
	v_ldexp_f32 v27, v27, v30
	v_dual_add_f32 v30, -1.0, v29 :: v_dual_sub_f32 v31, v29, v31
	s_delay_alu instid0(VALU_DEP_1) | instskip(NEXT) | instid1(VALU_DEP_2)
	v_add_f32_e32 v33, 1.0, v30
	v_add_f32_e32 v31, v27, v31
	s_delay_alu instid0(VALU_DEP_2) | instskip(NEXT) | instid1(VALU_DEP_2)
	v_sub_f32_e32 v29, v29, v33
	v_add_f32_e32 v33, v32, v31
	s_delay_alu instid0(VALU_DEP_2) | instskip(NEXT) | instid1(VALU_DEP_2)
	v_add_f32_e32 v27, v27, v29
	v_rcp_f32_e32 v29, v33
	v_sub_f32_e32 v32, v32, v33
	s_delay_alu instid0(VALU_DEP_1) | instskip(NEXT) | instid1(VALU_DEP_1)
	v_dual_add_f32 v34, v30, v27 :: v_dual_add_f32 v31, v31, v32
	v_sub_f32_e32 v30, v30, v34
	s_waitcnt_depctr 0xfff
	v_mul_f32_e32 v35, v34, v29
	s_delay_alu instid0(VALU_DEP_1) | instskip(NEXT) | instid1(VALU_DEP_1)
	v_dual_add_f32 v27, v27, v30 :: v_dual_mul_f32 v36, v33, v35
	v_fma_f32 v32, v35, v33, -v36
	s_delay_alu instid0(VALU_DEP_1) | instskip(NEXT) | instid1(VALU_DEP_1)
	v_fmac_f32_e32 v32, v35, v31
	v_add_f32_e32 v37, v36, v32
	s_delay_alu instid0(VALU_DEP_1) | instskip(SKIP_1) | instid1(VALU_DEP_2)
	v_sub_f32_e32 v38, v34, v37
	v_sub_f32_e32 v30, v37, v36
	;; [unrolled: 1-line block ×3, first 2 shown]
	s_delay_alu instid0(VALU_DEP_2) | instskip(NEXT) | instid1(VALU_DEP_2)
	v_sub_f32_e32 v30, v30, v32
	v_sub_f32_e32 v34, v34, v37
	s_delay_alu instid0(VALU_DEP_1) | instskip(NEXT) | instid1(VALU_DEP_1)
	v_add_f32_e32 v27, v27, v34
	v_add_f32_e32 v27, v30, v27
	s_delay_alu instid0(VALU_DEP_1) | instskip(NEXT) | instid1(VALU_DEP_1)
	v_add_f32_e32 v30, v38, v27
	v_mul_f32_e32 v32, v29, v30
	s_delay_alu instid0(VALU_DEP_1) | instskip(NEXT) | instid1(VALU_DEP_1)
	v_dual_sub_f32 v37, v38, v30 :: v_dual_mul_f32 v34, v33, v32
	v_fma_f32 v33, v32, v33, -v34
	s_delay_alu instid0(VALU_DEP_1) | instskip(NEXT) | instid1(VALU_DEP_1)
	v_fmac_f32_e32 v33, v32, v31
	v_add_f32_e32 v31, v34, v33
	s_delay_alu instid0(VALU_DEP_1) | instskip(SKIP_1) | instid1(VALU_DEP_2)
	v_sub_f32_e32 v36, v30, v31
	v_sub_f32_e32 v34, v31, v34
	v_dual_sub_f32 v30, v30, v36 :: v_dual_add_f32 v27, v27, v37
	s_delay_alu instid0(VALU_DEP_1) | instskip(NEXT) | instid1(VALU_DEP_1)
	v_sub_f32_e32 v30, v30, v31
	v_add_f32_e32 v27, v27, v30
	s_delay_alu instid0(VALU_DEP_4) | instskip(NEXT) | instid1(VALU_DEP_1)
	v_dual_add_f32 v30, v35, v32 :: v_dual_sub_f32 v31, v34, v33
	v_add_f32_e32 v27, v31, v27
	s_delay_alu instid0(VALU_DEP_2) | instskip(NEXT) | instid1(VALU_DEP_2)
	v_sub_f32_e32 v31, v30, v35
	v_add_f32_e32 v27, v36, v27
	s_delay_alu instid0(VALU_DEP_2) | instskip(NEXT) | instid1(VALU_DEP_2)
	v_sub_f32_e32 v31, v32, v31
	v_mul_f32_e32 v27, v29, v27
	s_delay_alu instid0(VALU_DEP_1) | instskip(NEXT) | instid1(VALU_DEP_1)
	v_add_f32_e32 v27, v31, v27
	v_add_f32_e32 v29, v30, v27
	s_delay_alu instid0(VALU_DEP_1) | instskip(NEXT) | instid1(VALU_DEP_1)
	v_mul_f32_e32 v31, v29, v29
	v_fmaak_f32 v32, s0, v31, 0x3ecc95a3
	v_mul_f32_e32 v33, v29, v31
	v_cmp_eq_f32_e64 s0, 0x7f800000, v13
	s_delay_alu instid0(VALU_DEP_3) | instskip(SKIP_2) | instid1(VALU_DEP_4)
	v_fmaak_f32 v31, v31, v32, 0x3f2aaada
	v_ldexp_f32 v32, v29, 1
	v_sub_f32_e32 v29, v29, v30
	s_or_b32 s0, s0, s48
	s_delay_alu instid0(VALU_DEP_3) | instskip(NEXT) | instid1(VALU_DEP_1)
	v_mul_f32_e32 v31, v33, v31
	v_dual_sub_f32 v27, v27, v29 :: v_dual_add_f32 v30, v32, v31
	s_delay_alu instid0(VALU_DEP_1) | instskip(NEXT) | instid1(VALU_DEP_2)
	v_ldexp_f32 v27, v27, 1
	v_sub_f32_e32 v29, v30, v32
	s_delay_alu instid0(VALU_DEP_1) | instskip(NEXT) | instid1(VALU_DEP_1)
	v_sub_f32_e32 v29, v31, v29
	v_add_f32_e32 v27, v27, v29
	s_delay_alu instid0(VALU_DEP_1) | instskip(SKIP_1) | instid1(VALU_DEP_2)
	v_add_f32_e32 v31, v30, v27
	v_mul_f32_e32 v33, 0x3f317218, v26
	v_sub_f32_e32 v30, v31, v30
	s_delay_alu instid0(VALU_DEP_2) | instskip(NEXT) | instid1(VALU_DEP_1)
	v_fma_f32 v32, 0x3f317218, v26, -v33
	v_dual_sub_f32 v27, v27, v30 :: v_dual_fmamk_f32 v26, v26, 0xb102e308, v32
	s_delay_alu instid0(VALU_DEP_1) | instskip(NEXT) | instid1(VALU_DEP_1)
	v_add_f32_e32 v29, v33, v26
	v_add_f32_e32 v32, v29, v31
	v_sub_f32_e32 v33, v29, v33
	s_delay_alu instid0(VALU_DEP_2) | instskip(NEXT) | instid1(VALU_DEP_1)
	v_sub_f32_e32 v34, v32, v29
	v_dual_sub_f32 v26, v26, v33 :: v_dual_sub_f32 v35, v32, v34
	s_delay_alu instid0(VALU_DEP_1) | instskip(NEXT) | instid1(VALU_DEP_2)
	v_dual_sub_f32 v30, v31, v34 :: v_dual_add_f32 v31, v26, v27
	v_sub_f32_e32 v29, v29, v35
	s_delay_alu instid0(VALU_DEP_1) | instskip(NEXT) | instid1(VALU_DEP_1)
	v_dual_add_f32 v29, v30, v29 :: v_dual_sub_f32 v30, v31, v26
	v_add_f32_e32 v29, v31, v29
	s_delay_alu instid0(VALU_DEP_2) | instskip(SKIP_1) | instid1(VALU_DEP_2)
	v_sub_f32_e32 v31, v31, v30
	v_sub_f32_e32 v27, v27, v30
	v_dual_add_f32 v33, v32, v29 :: v_dual_sub_f32 v26, v26, v31
	s_delay_alu instid0(VALU_DEP_1) | instskip(NEXT) | instid1(VALU_DEP_2)
	v_sub_f32_e32 v30, v33, v32
	v_add_f32_e32 v26, v27, v26
	s_delay_alu instid0(VALU_DEP_2) | instskip(NEXT) | instid1(VALU_DEP_1)
	v_sub_f32_e32 v27, v29, v30
	v_add_f32_e32 v26, v26, v27
	s_delay_alu instid0(VALU_DEP_1) | instskip(NEXT) | instid1(VALU_DEP_1)
	v_add_f32_e32 v26, v33, v26
	v_cndmask_b32_e64 v13, v26, v13, s0
	s_delay_alu instid0(VALU_DEP_1) | instskip(NEXT) | instid1(VALU_DEP_1)
	v_add_f32_e32 v2, v2, v13
	v_cvt_f16_f32_e32 v29, v2
	s_delay_alu instid0(VALU_DEP_1)
	v_cvt_f32_f16_e32 v31, v29
.LBB420_121:
	s_or_b32 exec_lo, exec_lo, s45
	v_dual_max_f32 v13, v14, v14 :: v_dual_mov_b32 v2, v29
	s_delay_alu instid0(VALU_DEP_2) | instskip(SKIP_1) | instid1(VALU_DEP_1)
	v_dual_max_f32 v27, v31, v31 :: v_dual_mov_b32 v30, v29
	;;#ASMSTART
	;;#ASMEND
	v_min_f32_e32 v26, v27, v13
	v_max_f32_e32 v27, v27, v13
	v_mov_b32_e32 v13, v31
.LBB420_122:
	s_or_b32 exec_lo, exec_lo, s1
	s_delay_alu instid0(VALU_DEP_1) | instskip(NEXT) | instid1(VALU_DEP_1)
	v_cmp_u_f16_e64 s0, v30, v30
	v_cndmask_b32_e64 v26, v26, v13, s0
	s_waitcnt lgkmcnt(0)
	v_cndmask_b32_e64 v29, v27, v13, s0
	s_delay_alu instid0(VALU_DEP_2) | instskip(NEXT) | instid1(VALU_DEP_2)
	v_cndmask_b32_e64 v27, v26, v14, s23
	v_cndmask_b32_e64 v26, v29, v14, s23
	v_mov_b32_e32 v14, v2
	s_delay_alu instid0(VALU_DEP_3) | instskip(NEXT) | instid1(VALU_DEP_3)
	v_cmp_class_f32_e64 s1, v27, 0x1f8
	v_cmp_neq_f32_e64 s0, v27, v26
	s_delay_alu instid0(VALU_DEP_1) | instskip(NEXT) | instid1(SALU_CYCLE_1)
	s_or_b32 s0, s0, s1
	s_and_saveexec_b32 s1, s0
	s_cbranch_execz .LBB420_124
; %bb.123:
	v_sub_f32_e32 v13, v27, v26
	s_delay_alu instid0(VALU_DEP_1) | instskip(NEXT) | instid1(VALU_DEP_1)
	v_mul_f32_e32 v14, 0x3fb8aa3b, v13
	v_fma_f32 v27, 0x3fb8aa3b, v13, -v14
	v_rndne_f32_e32 v29, v14
	s_delay_alu instid0(VALU_DEP_1) | instskip(SKIP_1) | instid1(VALU_DEP_2)
	v_dual_sub_f32 v14, v14, v29 :: v_dual_fmamk_f32 v27, v13, 0x32a5705f, v27
	v_cmp_ngt_f32_e64 s0, 0xc2ce8ed0, v13
	v_add_f32_e32 v14, v14, v27
	v_cvt_i32_f32_e32 v27, v29
	s_delay_alu instid0(VALU_DEP_2) | instskip(SKIP_2) | instid1(VALU_DEP_1)
	v_exp_f32_e32 v14, v14
	s_waitcnt_depctr 0xfff
	v_ldexp_f32 v14, v14, v27
	v_cndmask_b32_e64 v14, 0, v14, s0
	v_cmp_nlt_f32_e64 s0, 0x42b17218, v13
	s_delay_alu instid0(VALU_DEP_1) | instskip(NEXT) | instid1(VALU_DEP_1)
	v_cndmask_b32_e64 v27, 0x7f800000, v14, s0
	v_add_f32_e32 v29, 1.0, v27
	v_cmp_gt_f32_e64 s23, 0x33800000, |v27|
	s_delay_alu instid0(VALU_DEP_2) | instskip(NEXT) | instid1(VALU_DEP_1)
	v_cvt_f64_f32_e32 v[13:14], v29
	v_frexp_exp_i32_f64_e32 v13, v[13:14]
	v_frexp_mant_f32_e32 v14, v29
	s_delay_alu instid0(VALU_DEP_1) | instskip(SKIP_1) | instid1(VALU_DEP_1)
	v_cmp_gt_f32_e64 s0, 0x3f2aaaab, v14
	v_add_f32_e32 v14, -1.0, v29
	v_dual_sub_f32 v31, v14, v29 :: v_dual_sub_f32 v14, v27, v14
	s_delay_alu instid0(VALU_DEP_3) | instskip(SKIP_1) | instid1(VALU_DEP_1)
	v_subrev_co_ci_u32_e64 v13, s0, 0, v13, s0
	s_mov_b32 s0, 0x3e9b6dac
	v_sub_nc_u32_e32 v30, 0, v13
	v_cvt_f32_i32_e32 v13, v13
	s_delay_alu instid0(VALU_DEP_2) | instskip(NEXT) | instid1(VALU_DEP_1)
	v_ldexp_f32 v29, v29, v30
	v_dual_add_f32 v31, 1.0, v31 :: v_dual_add_f32 v32, 1.0, v29
	s_delay_alu instid0(VALU_DEP_1) | instskip(NEXT) | instid1(VALU_DEP_1)
	v_dual_add_f32 v14, v14, v31 :: v_dual_add_f32 v31, -1.0, v32
	v_ldexp_f32 v14, v14, v30
	s_delay_alu instid0(VALU_DEP_2) | instskip(NEXT) | instid1(VALU_DEP_1)
	v_dual_add_f32 v30, -1.0, v29 :: v_dual_sub_f32 v31, v29, v31
	v_add_f32_e32 v33, 1.0, v30
	s_delay_alu instid0(VALU_DEP_2) | instskip(NEXT) | instid1(VALU_DEP_2)
	v_add_f32_e32 v31, v14, v31
	v_sub_f32_e32 v29, v29, v33
	s_delay_alu instid0(VALU_DEP_1) | instskip(NEXT) | instid1(VALU_DEP_1)
	v_dual_add_f32 v33, v32, v31 :: v_dual_add_f32 v14, v14, v29
	v_rcp_f32_e32 v29, v33
	v_sub_f32_e32 v32, v32, v33
	s_delay_alu instid0(VALU_DEP_1) | instskip(NEXT) | instid1(VALU_DEP_1)
	v_dual_add_f32 v34, v30, v14 :: v_dual_add_f32 v31, v31, v32
	v_sub_f32_e32 v30, v30, v34
	s_waitcnt_depctr 0xfff
	v_mul_f32_e32 v35, v34, v29
	v_add_f32_e32 v14, v14, v30
	s_delay_alu instid0(VALU_DEP_2) | instskip(NEXT) | instid1(VALU_DEP_1)
	v_mul_f32_e32 v36, v33, v35
	v_fma_f32 v32, v35, v33, -v36
	s_delay_alu instid0(VALU_DEP_1) | instskip(NEXT) | instid1(VALU_DEP_1)
	v_fmac_f32_e32 v32, v35, v31
	v_add_f32_e32 v37, v36, v32
	s_delay_alu instid0(VALU_DEP_1) | instskip(SKIP_1) | instid1(VALU_DEP_2)
	v_sub_f32_e32 v38, v34, v37
	v_sub_f32_e32 v30, v37, v36
	;; [unrolled: 1-line block ×3, first 2 shown]
	s_delay_alu instid0(VALU_DEP_2) | instskip(NEXT) | instid1(VALU_DEP_2)
	v_sub_f32_e32 v30, v30, v32
	v_sub_f32_e32 v34, v34, v37
	s_delay_alu instid0(VALU_DEP_1) | instskip(NEXT) | instid1(VALU_DEP_1)
	v_add_f32_e32 v14, v14, v34
	v_add_f32_e32 v14, v30, v14
	s_delay_alu instid0(VALU_DEP_1) | instskip(NEXT) | instid1(VALU_DEP_1)
	v_add_f32_e32 v30, v38, v14
	v_mul_f32_e32 v32, v29, v30
	s_delay_alu instid0(VALU_DEP_1) | instskip(NEXT) | instid1(VALU_DEP_1)
	v_mul_f32_e32 v34, v33, v32
	v_fma_f32 v33, v32, v33, -v34
	s_delay_alu instid0(VALU_DEP_1) | instskip(SKIP_1) | instid1(VALU_DEP_2)
	v_fmac_f32_e32 v33, v32, v31
	v_sub_f32_e32 v37, v38, v30
	v_add_f32_e32 v31, v34, v33
	s_delay_alu instid0(VALU_DEP_2) | instskip(NEXT) | instid1(VALU_DEP_2)
	v_add_f32_e32 v14, v14, v37
	v_sub_f32_e32 v36, v30, v31
	v_sub_f32_e32 v34, v31, v34
	s_delay_alu instid0(VALU_DEP_2) | instskip(NEXT) | instid1(VALU_DEP_1)
	v_sub_f32_e32 v30, v30, v36
	v_sub_f32_e32 v30, v30, v31
	s_delay_alu instid0(VALU_DEP_3) | instskip(NEXT) | instid1(VALU_DEP_2)
	v_sub_f32_e32 v31, v34, v33
	v_add_f32_e32 v14, v14, v30
	v_add_f32_e32 v30, v35, v32
	s_delay_alu instid0(VALU_DEP_1) | instskip(NEXT) | instid1(VALU_DEP_1)
	v_dual_add_f32 v14, v31, v14 :: v_dual_sub_f32 v31, v30, v35
	v_add_f32_e32 v14, v36, v14
	s_delay_alu instid0(VALU_DEP_1) | instskip(NEXT) | instid1(VALU_DEP_1)
	v_dual_sub_f32 v31, v32, v31 :: v_dual_mul_f32 v14, v29, v14
	v_add_f32_e32 v14, v31, v14
	s_delay_alu instid0(VALU_DEP_1) | instskip(NEXT) | instid1(VALU_DEP_1)
	v_add_f32_e32 v29, v30, v14
	v_mul_f32_e32 v31, v29, v29
	s_delay_alu instid0(VALU_DEP_1) | instskip(SKIP_2) | instid1(VALU_DEP_3)
	v_fmaak_f32 v32, s0, v31, 0x3ecc95a3
	v_mul_f32_e32 v33, v29, v31
	v_cmp_eq_f32_e64 s0, 0x7f800000, v27
	v_fmaak_f32 v31, v31, v32, 0x3f2aaada
	v_ldexp_f32 v32, v29, 1
	v_sub_f32_e32 v29, v29, v30
	s_delay_alu instid0(VALU_DEP_4) | instskip(NEXT) | instid1(VALU_DEP_3)
	s_or_b32 s0, s0, s23
	v_mul_f32_e32 v31, v33, v31
	v_mul_f32_e32 v33, 0x3f317218, v13
	s_delay_alu instid0(VALU_DEP_3) | instskip(NEXT) | instid1(VALU_DEP_3)
	v_sub_f32_e32 v14, v14, v29
	v_add_f32_e32 v30, v32, v31
	s_delay_alu instid0(VALU_DEP_2) | instskip(NEXT) | instid1(VALU_DEP_2)
	v_ldexp_f32 v14, v14, 1
	v_sub_f32_e32 v29, v30, v32
	v_fma_f32 v32, 0x3f317218, v13, -v33
	s_delay_alu instid0(VALU_DEP_2) | instskip(NEXT) | instid1(VALU_DEP_1)
	v_sub_f32_e32 v29, v31, v29
	v_dual_fmamk_f32 v13, v13, 0xb102e308, v32 :: v_dual_add_f32 v14, v14, v29
	s_delay_alu instid0(VALU_DEP_1) | instskip(NEXT) | instid1(VALU_DEP_2)
	v_add_f32_e32 v29, v33, v13
	v_add_f32_e32 v31, v30, v14
	s_delay_alu instid0(VALU_DEP_2) | instskip(NEXT) | instid1(VALU_DEP_2)
	v_sub_f32_e32 v33, v29, v33
	v_add_f32_e32 v32, v29, v31
	s_delay_alu instid0(VALU_DEP_2) | instskip(NEXT) | instid1(VALU_DEP_2)
	v_sub_f32_e32 v13, v13, v33
	v_sub_f32_e32 v34, v32, v29
	v_sub_f32_e32 v30, v31, v30
	s_delay_alu instid0(VALU_DEP_2) | instskip(NEXT) | instid1(VALU_DEP_2)
	v_sub_f32_e32 v35, v32, v34
	v_sub_f32_e32 v14, v14, v30
	s_delay_alu instid0(VALU_DEP_2) | instskip(NEXT) | instid1(VALU_DEP_2)
	v_dual_sub_f32 v30, v31, v34 :: v_dual_sub_f32 v29, v29, v35
	v_add_f32_e32 v31, v13, v14
	s_delay_alu instid0(VALU_DEP_2) | instskip(NEXT) | instid1(VALU_DEP_2)
	v_add_f32_e32 v29, v30, v29
	v_sub_f32_e32 v30, v31, v13
	s_delay_alu instid0(VALU_DEP_2) | instskip(NEXT) | instid1(VALU_DEP_2)
	v_add_f32_e32 v29, v31, v29
	v_sub_f32_e32 v31, v31, v30
	s_delay_alu instid0(VALU_DEP_2) | instskip(NEXT) | instid1(VALU_DEP_2)
	v_dual_sub_f32 v14, v14, v30 :: v_dual_add_f32 v33, v32, v29
	v_sub_f32_e32 v13, v13, v31
	s_delay_alu instid0(VALU_DEP_1) | instskip(NEXT) | instid1(VALU_DEP_1)
	v_dual_sub_f32 v30, v33, v32 :: v_dual_add_f32 v13, v14, v13
	v_sub_f32_e32 v14, v29, v30
	s_delay_alu instid0(VALU_DEP_1) | instskip(NEXT) | instid1(VALU_DEP_1)
	v_add_f32_e32 v13, v13, v14
	v_add_f32_e32 v13, v33, v13
	s_delay_alu instid0(VALU_DEP_1) | instskip(NEXT) | instid1(VALU_DEP_1)
	v_cndmask_b32_e64 v13, v13, v27, s0
	v_add_f32_e32 v13, v26, v13
	s_delay_alu instid0(VALU_DEP_1) | instskip(NEXT) | instid1(VALU_DEP_1)
	v_cvt_f16_f32_e32 v30, v13
	v_cvt_f32_f16_e32 v13, v30
	v_mov_b32_e32 v14, v30
.LBB420_124:
	s_or_b32 exec_lo, exec_lo, s1
	s_delay_alu instid0(VALU_DEP_2) | instskip(SKIP_1) | instid1(VALU_DEP_2)
	v_dual_max_f32 v26, v15, v15 :: v_dual_max_f32 v27, v13, v13
	v_cmp_u_f16_e64 s0, v30, v30
	v_min_f32_e32 v29, v27, v26
	v_max_f32_e32 v26, v27, v26
	s_delay_alu instid0(VALU_DEP_2) | instskip(NEXT) | instid1(VALU_DEP_2)
	v_cndmask_b32_e64 v27, v29, v13, s0
	v_cndmask_b32_e64 v26, v26, v13, s0
	s_delay_alu instid0(VALU_DEP_2) | instskip(NEXT) | instid1(VALU_DEP_2)
	v_cndmask_b32_e64 v27, v27, v15, s24
	v_cndmask_b32_e64 v26, v26, v15, s24
	v_mov_b32_e32 v15, v14
	s_delay_alu instid0(VALU_DEP_3) | instskip(NEXT) | instid1(VALU_DEP_3)
	v_cmp_class_f32_e64 s1, v27, 0x1f8
	v_cmp_neq_f32_e64 s0, v27, v26
	s_delay_alu instid0(VALU_DEP_1) | instskip(NEXT) | instid1(SALU_CYCLE_1)
	s_or_b32 s0, s0, s1
	s_and_saveexec_b32 s1, s0
	s_cbranch_execz .LBB420_126
; %bb.125:
	v_sub_f32_e32 v13, v27, v26
	s_delay_alu instid0(VALU_DEP_1) | instskip(SKIP_1) | instid1(VALU_DEP_2)
	v_mul_f32_e32 v15, 0x3fb8aa3b, v13
	v_cmp_ngt_f32_e64 s0, 0xc2ce8ed0, v13
	v_fma_f32 v27, 0x3fb8aa3b, v13, -v15
	v_rndne_f32_e32 v29, v15
	s_delay_alu instid0(VALU_DEP_2) | instskip(NEXT) | instid1(VALU_DEP_2)
	v_fmamk_f32 v27, v13, 0x32a5705f, v27
	v_sub_f32_e32 v15, v15, v29
	s_delay_alu instid0(VALU_DEP_1) | instskip(SKIP_1) | instid1(VALU_DEP_2)
	v_add_f32_e32 v15, v15, v27
	v_cvt_i32_f32_e32 v27, v29
	v_exp_f32_e32 v15, v15
	s_waitcnt_depctr 0xfff
	v_ldexp_f32 v15, v15, v27
	s_delay_alu instid0(VALU_DEP_1) | instskip(SKIP_1) | instid1(VALU_DEP_1)
	v_cndmask_b32_e64 v15, 0, v15, s0
	v_cmp_nlt_f32_e64 s0, 0x42b17218, v13
	v_cndmask_b32_e64 v13, 0x7f800000, v15, s0
	s_delay_alu instid0(VALU_DEP_1) | instskip(SKIP_1) | instid1(VALU_DEP_2)
	v_add_f32_e32 v15, 1.0, v13
	v_cmp_gt_f32_e64 s23, 0x33800000, |v13|
	v_cvt_f64_f32_e32 v[29:30], v15
	s_delay_alu instid0(VALU_DEP_1) | instskip(SKIP_1) | instid1(VALU_DEP_1)
	v_frexp_exp_i32_f64_e32 v27, v[29:30]
	v_frexp_mant_f32_e32 v29, v15
	v_cmp_gt_f32_e64 s0, 0x3f2aaaab, v29
	v_add_f32_e32 v29, -1.0, v15
	s_delay_alu instid0(VALU_DEP_1) | instskip(SKIP_1) | instid1(VALU_DEP_2)
	v_sub_f32_e32 v31, v29, v15
	v_sub_f32_e32 v29, v13, v29
	v_add_f32_e32 v31, 1.0, v31
	s_delay_alu instid0(VALU_DEP_1) | instskip(SKIP_2) | instid1(VALU_DEP_1)
	v_add_f32_e32 v29, v29, v31
	v_subrev_co_ci_u32_e64 v27, s0, 0, v27, s0
	s_mov_b32 s0, 0x3e9b6dac
	v_sub_nc_u32_e32 v30, 0, v27
	v_cvt_f32_i32_e32 v27, v27
	s_delay_alu instid0(VALU_DEP_2) | instskip(SKIP_1) | instid1(VALU_DEP_2)
	v_ldexp_f32 v15, v15, v30
	v_ldexp_f32 v29, v29, v30
	v_add_f32_e32 v32, 1.0, v15
	s_delay_alu instid0(VALU_DEP_1) | instskip(NEXT) | instid1(VALU_DEP_1)
	v_dual_add_f32 v30, -1.0, v15 :: v_dual_add_f32 v31, -1.0, v32
	v_add_f32_e32 v33, 1.0, v30
	s_delay_alu instid0(VALU_DEP_2) | instskip(NEXT) | instid1(VALU_DEP_2)
	v_sub_f32_e32 v31, v15, v31
	v_sub_f32_e32 v15, v15, v33
	s_delay_alu instid0(VALU_DEP_2) | instskip(NEXT) | instid1(VALU_DEP_2)
	v_add_f32_e32 v31, v29, v31
	v_add_f32_e32 v15, v29, v15
	s_delay_alu instid0(VALU_DEP_2) | instskip(NEXT) | instid1(VALU_DEP_2)
	v_add_f32_e32 v33, v32, v31
	v_add_f32_e32 v34, v30, v15
	s_delay_alu instid0(VALU_DEP_2) | instskip(SKIP_1) | instid1(VALU_DEP_1)
	v_rcp_f32_e32 v29, v33
	v_sub_f32_e32 v32, v32, v33
	v_dual_sub_f32 v30, v30, v34 :: v_dual_add_f32 v31, v31, v32
	s_delay_alu instid0(VALU_DEP_1) | instskip(SKIP_2) | instid1(VALU_DEP_1)
	v_add_f32_e32 v15, v15, v30
	s_waitcnt_depctr 0xfff
	v_mul_f32_e32 v35, v34, v29
	v_mul_f32_e32 v36, v33, v35
	s_delay_alu instid0(VALU_DEP_1) | instskip(NEXT) | instid1(VALU_DEP_1)
	v_fma_f32 v32, v35, v33, -v36
	v_fmac_f32_e32 v32, v35, v31
	s_delay_alu instid0(VALU_DEP_1) | instskip(NEXT) | instid1(VALU_DEP_1)
	v_add_f32_e32 v37, v36, v32
	v_sub_f32_e32 v38, v34, v37
	v_sub_f32_e32 v30, v37, v36
	s_delay_alu instid0(VALU_DEP_2) | instskip(NEXT) | instid1(VALU_DEP_2)
	v_sub_f32_e32 v34, v34, v38
	v_sub_f32_e32 v30, v30, v32
	s_delay_alu instid0(VALU_DEP_2) | instskip(NEXT) | instid1(VALU_DEP_1)
	v_sub_f32_e32 v34, v34, v37
	v_add_f32_e32 v15, v15, v34
	s_delay_alu instid0(VALU_DEP_1) | instskip(NEXT) | instid1(VALU_DEP_1)
	v_add_f32_e32 v15, v30, v15
	v_add_f32_e32 v30, v38, v15
	s_delay_alu instid0(VALU_DEP_1) | instskip(NEXT) | instid1(VALU_DEP_1)
	v_mul_f32_e32 v32, v29, v30
	v_dual_sub_f32 v37, v38, v30 :: v_dual_mul_f32 v34, v33, v32
	s_delay_alu instid0(VALU_DEP_1) | instskip(NEXT) | instid1(VALU_DEP_2)
	v_add_f32_e32 v15, v15, v37
	v_fma_f32 v33, v32, v33, -v34
	s_delay_alu instid0(VALU_DEP_1) | instskip(NEXT) | instid1(VALU_DEP_1)
	v_fmac_f32_e32 v33, v32, v31
	v_add_f32_e32 v31, v34, v33
	s_delay_alu instid0(VALU_DEP_1) | instskip(SKIP_1) | instid1(VALU_DEP_2)
	v_sub_f32_e32 v36, v30, v31
	v_sub_f32_e32 v34, v31, v34
	;; [unrolled: 1-line block ×3, first 2 shown]
	s_delay_alu instid0(VALU_DEP_1) | instskip(NEXT) | instid1(VALU_DEP_3)
	v_sub_f32_e32 v30, v30, v31
	v_sub_f32_e32 v31, v34, v33
	s_delay_alu instid0(VALU_DEP_2) | instskip(SKIP_1) | instid1(VALU_DEP_2)
	v_add_f32_e32 v15, v15, v30
	v_add_f32_e32 v30, v35, v32
	;; [unrolled: 1-line block ×3, first 2 shown]
	s_delay_alu instid0(VALU_DEP_2) | instskip(NEXT) | instid1(VALU_DEP_2)
	v_sub_f32_e32 v31, v30, v35
	v_add_f32_e32 v15, v36, v15
	s_delay_alu instid0(VALU_DEP_2) | instskip(NEXT) | instid1(VALU_DEP_2)
	v_sub_f32_e32 v31, v32, v31
	v_mul_f32_e32 v15, v29, v15
	s_delay_alu instid0(VALU_DEP_1) | instskip(NEXT) | instid1(VALU_DEP_1)
	v_add_f32_e32 v15, v31, v15
	v_add_f32_e32 v29, v30, v15
	s_delay_alu instid0(VALU_DEP_1) | instskip(NEXT) | instid1(VALU_DEP_1)
	v_mul_f32_e32 v31, v29, v29
	v_fmaak_f32 v32, s0, v31, 0x3ecc95a3
	v_mul_f32_e32 v33, v29, v31
	v_cmp_eq_f32_e64 s0, 0x7f800000, v13
	s_delay_alu instid0(VALU_DEP_3) | instskip(SKIP_2) | instid1(VALU_DEP_4)
	v_fmaak_f32 v31, v31, v32, 0x3f2aaada
	v_ldexp_f32 v32, v29, 1
	v_sub_f32_e32 v29, v29, v30
	s_or_b32 s0, s0, s23
	s_delay_alu instid0(VALU_DEP_3) | instskip(SKIP_1) | instid1(VALU_DEP_2)
	v_mul_f32_e32 v31, v33, v31
	v_mul_f32_e32 v33, 0x3f317218, v27
	v_dual_sub_f32 v15, v15, v29 :: v_dual_add_f32 v30, v32, v31
	s_delay_alu instid0(VALU_DEP_1) | instskip(NEXT) | instid1(VALU_DEP_2)
	v_ldexp_f32 v15, v15, 1
	v_sub_f32_e32 v29, v30, v32
	s_delay_alu instid0(VALU_DEP_4) | instskip(NEXT) | instid1(VALU_DEP_2)
	v_fma_f32 v32, 0x3f317218, v27, -v33
	v_sub_f32_e32 v29, v31, v29
	s_delay_alu instid0(VALU_DEP_2) | instskip(NEXT) | instid1(VALU_DEP_2)
	v_fmamk_f32 v27, v27, 0xb102e308, v32
	v_add_f32_e32 v15, v15, v29
	s_delay_alu instid0(VALU_DEP_2) | instskip(NEXT) | instid1(VALU_DEP_2)
	v_add_f32_e32 v29, v33, v27
	v_add_f32_e32 v31, v30, v15
	s_delay_alu instid0(VALU_DEP_2) | instskip(NEXT) | instid1(VALU_DEP_2)
	v_sub_f32_e32 v33, v29, v33
	v_add_f32_e32 v32, v29, v31
	v_sub_f32_e32 v30, v31, v30
	s_delay_alu instid0(VALU_DEP_3) | instskip(NEXT) | instid1(VALU_DEP_2)
	v_sub_f32_e32 v27, v27, v33
	v_dual_sub_f32 v34, v32, v29 :: v_dual_sub_f32 v15, v15, v30
	s_delay_alu instid0(VALU_DEP_1) | instskip(SKIP_1) | instid1(VALU_DEP_3)
	v_sub_f32_e32 v35, v32, v34
	v_sub_f32_e32 v30, v31, v34
	v_add_f32_e32 v31, v27, v15
	s_delay_alu instid0(VALU_DEP_3) | instskip(NEXT) | instid1(VALU_DEP_1)
	v_sub_f32_e32 v29, v29, v35
	v_dual_add_f32 v29, v30, v29 :: v_dual_sub_f32 v30, v31, v27
	s_delay_alu instid0(VALU_DEP_1) | instskip(NEXT) | instid1(VALU_DEP_2)
	v_add_f32_e32 v29, v31, v29
	v_sub_f32_e32 v31, v31, v30
	v_sub_f32_e32 v15, v15, v30
	s_delay_alu instid0(VALU_DEP_3) | instskip(NEXT) | instid1(VALU_DEP_1)
	v_add_f32_e32 v33, v32, v29
	v_dual_sub_f32 v27, v27, v31 :: v_dual_sub_f32 v30, v33, v32
	s_delay_alu instid0(VALU_DEP_1) | instskip(NEXT) | instid1(VALU_DEP_2)
	v_add_f32_e32 v15, v15, v27
	v_sub_f32_e32 v27, v29, v30
	s_delay_alu instid0(VALU_DEP_1) | instskip(NEXT) | instid1(VALU_DEP_1)
	v_add_f32_e32 v15, v15, v27
	v_add_f32_e32 v15, v33, v15
	s_delay_alu instid0(VALU_DEP_1) | instskip(NEXT) | instid1(VALU_DEP_1)
	v_cndmask_b32_e64 v13, v15, v13, s0
	v_add_f32_e32 v13, v26, v13
	s_delay_alu instid0(VALU_DEP_1) | instskip(NEXT) | instid1(VALU_DEP_1)
	v_cvt_f16_f32_e32 v30, v13
	v_cvt_f32_f16_e32 v13, v30
	v_mov_b32_e32 v15, v30
.LBB420_126:
	s_or_b32 exec_lo, exec_lo, s1
	s_delay_alu instid0(VALU_DEP_2) | instskip(SKIP_1) | instid1(VALU_DEP_2)
	v_dual_max_f32 v26, v16, v16 :: v_dual_max_f32 v27, v13, v13
	v_cmp_u_f16_e64 s0, v30, v30
	v_min_f32_e32 v29, v27, v26
	v_max_f32_e32 v26, v27, v26
	s_delay_alu instid0(VALU_DEP_2) | instskip(NEXT) | instid1(VALU_DEP_2)
	v_cndmask_b32_e64 v27, v29, v13, s0
	v_cndmask_b32_e64 v26, v26, v13, s0
	s_delay_alu instid0(VALU_DEP_2) | instskip(NEXT) | instid1(VALU_DEP_2)
	v_cndmask_b32_e64 v27, v27, v16, s25
	v_cndmask_b32_e64 v26, v26, v16, s25
	v_mov_b32_e32 v16, v15
	s_delay_alu instid0(VALU_DEP_3) | instskip(NEXT) | instid1(VALU_DEP_3)
	v_cmp_class_f32_e64 s1, v27, 0x1f8
	v_cmp_neq_f32_e64 s0, v27, v26
	s_delay_alu instid0(VALU_DEP_1) | instskip(NEXT) | instid1(SALU_CYCLE_1)
	s_or_b32 s0, s0, s1
	s_and_saveexec_b32 s1, s0
	s_cbranch_execz .LBB420_128
; %bb.127:
	v_sub_f32_e32 v13, v27, v26
	s_delay_alu instid0(VALU_DEP_1) | instskip(NEXT) | instid1(VALU_DEP_1)
	v_mul_f32_e32 v16, 0x3fb8aa3b, v13
	v_fma_f32 v27, 0x3fb8aa3b, v13, -v16
	v_rndne_f32_e32 v29, v16
	s_delay_alu instid0(VALU_DEP_1) | instskip(SKIP_1) | instid1(VALU_DEP_2)
	v_dual_sub_f32 v16, v16, v29 :: v_dual_fmamk_f32 v27, v13, 0x32a5705f, v27
	v_cmp_ngt_f32_e64 s0, 0xc2ce8ed0, v13
	v_add_f32_e32 v16, v16, v27
	v_cvt_i32_f32_e32 v27, v29
	s_delay_alu instid0(VALU_DEP_2) | instskip(SKIP_2) | instid1(VALU_DEP_1)
	v_exp_f32_e32 v16, v16
	s_waitcnt_depctr 0xfff
	v_ldexp_f32 v16, v16, v27
	v_cndmask_b32_e64 v16, 0, v16, s0
	v_cmp_nlt_f32_e64 s0, 0x42b17218, v13
	s_delay_alu instid0(VALU_DEP_1) | instskip(NEXT) | instid1(VALU_DEP_1)
	v_cndmask_b32_e64 v13, 0x7f800000, v16, s0
	v_add_f32_e32 v16, 1.0, v13
	v_cmp_gt_f32_e64 s23, 0x33800000, |v13|
	s_delay_alu instid0(VALU_DEP_2) | instskip(NEXT) | instid1(VALU_DEP_1)
	v_cvt_f64_f32_e32 v[29:30], v16
	v_frexp_exp_i32_f64_e32 v27, v[29:30]
	v_frexp_mant_f32_e32 v29, v16
	s_delay_alu instid0(VALU_DEP_1) | instskip(SKIP_1) | instid1(VALU_DEP_1)
	v_cmp_gt_f32_e64 s0, 0x3f2aaaab, v29
	v_add_f32_e32 v29, -1.0, v16
	v_sub_f32_e32 v31, v29, v16
	v_sub_f32_e32 v29, v13, v29
	s_delay_alu instid0(VALU_DEP_2) | instskip(NEXT) | instid1(VALU_DEP_1)
	v_add_f32_e32 v31, 1.0, v31
	v_add_f32_e32 v29, v29, v31
	v_subrev_co_ci_u32_e64 v27, s0, 0, v27, s0
	s_mov_b32 s0, 0x3e9b6dac
	s_delay_alu instid0(VALU_DEP_1) | instskip(SKIP_1) | instid1(VALU_DEP_2)
	v_sub_nc_u32_e32 v30, 0, v27
	v_cvt_f32_i32_e32 v27, v27
	v_ldexp_f32 v16, v16, v30
	v_ldexp_f32 v29, v29, v30
	s_delay_alu instid0(VALU_DEP_2) | instskip(NEXT) | instid1(VALU_DEP_1)
	v_add_f32_e32 v32, 1.0, v16
	v_add_f32_e32 v31, -1.0, v32
	s_delay_alu instid0(VALU_DEP_1) | instskip(NEXT) | instid1(VALU_DEP_1)
	v_dual_add_f32 v30, -1.0, v16 :: v_dual_sub_f32 v31, v16, v31
	v_add_f32_e32 v33, 1.0, v30
	s_delay_alu instid0(VALU_DEP_1) | instskip(NEXT) | instid1(VALU_DEP_1)
	v_sub_f32_e32 v16, v16, v33
	v_add_f32_e32 v16, v29, v16
	s_delay_alu instid0(VALU_DEP_1) | instskip(NEXT) | instid1(VALU_DEP_1)
	v_dual_add_f32 v31, v29, v31 :: v_dual_add_f32 v34, v30, v16
	v_dual_add_f32 v33, v32, v31 :: v_dual_sub_f32 v30, v30, v34
	s_delay_alu instid0(VALU_DEP_1) | instskip(SKIP_1) | instid1(VALU_DEP_1)
	v_rcp_f32_e32 v29, v33
	v_sub_f32_e32 v32, v32, v33
	v_dual_add_f32 v16, v16, v30 :: v_dual_add_f32 v31, v31, v32
	s_waitcnt_depctr 0xfff
	v_mul_f32_e32 v35, v34, v29
	s_delay_alu instid0(VALU_DEP_1) | instskip(NEXT) | instid1(VALU_DEP_1)
	v_mul_f32_e32 v36, v33, v35
	v_fma_f32 v32, v35, v33, -v36
	s_delay_alu instid0(VALU_DEP_1) | instskip(NEXT) | instid1(VALU_DEP_1)
	v_fmac_f32_e32 v32, v35, v31
	v_add_f32_e32 v37, v36, v32
	s_delay_alu instid0(VALU_DEP_1) | instskip(NEXT) | instid1(VALU_DEP_1)
	v_sub_f32_e32 v38, v34, v37
	v_sub_f32_e32 v34, v34, v38
	;; [unrolled: 1-line block ×3, first 2 shown]
	s_delay_alu instid0(VALU_DEP_2) | instskip(NEXT) | instid1(VALU_DEP_2)
	v_sub_f32_e32 v34, v34, v37
	v_sub_f32_e32 v30, v30, v32
	s_delay_alu instid0(VALU_DEP_2) | instskip(NEXT) | instid1(VALU_DEP_1)
	v_add_f32_e32 v16, v16, v34
	v_add_f32_e32 v16, v30, v16
	s_delay_alu instid0(VALU_DEP_1) | instskip(NEXT) | instid1(VALU_DEP_1)
	v_add_f32_e32 v30, v38, v16
	v_mul_f32_e32 v32, v29, v30
	s_delay_alu instid0(VALU_DEP_1) | instskip(NEXT) | instid1(VALU_DEP_1)
	v_dual_sub_f32 v37, v38, v30 :: v_dual_mul_f32 v34, v33, v32
	v_add_f32_e32 v16, v16, v37
	s_delay_alu instid0(VALU_DEP_2) | instskip(NEXT) | instid1(VALU_DEP_1)
	v_fma_f32 v33, v32, v33, -v34
	v_fmac_f32_e32 v33, v32, v31
	s_delay_alu instid0(VALU_DEP_1) | instskip(NEXT) | instid1(VALU_DEP_1)
	v_add_f32_e32 v31, v34, v33
	v_sub_f32_e32 v36, v30, v31
	s_delay_alu instid0(VALU_DEP_1) | instskip(NEXT) | instid1(VALU_DEP_1)
	v_sub_f32_e32 v30, v30, v36
	v_sub_f32_e32 v30, v30, v31
	s_delay_alu instid0(VALU_DEP_1) | instskip(SKIP_2) | instid1(VALU_DEP_1)
	v_add_f32_e32 v16, v16, v30
	v_add_f32_e32 v30, v35, v32
	v_sub_f32_e32 v34, v31, v34
	v_sub_f32_e32 v31, v34, v33
	s_delay_alu instid0(VALU_DEP_1) | instskip(NEXT) | instid1(VALU_DEP_1)
	v_dual_add_f32 v16, v31, v16 :: v_dual_sub_f32 v31, v30, v35
	v_add_f32_e32 v16, v36, v16
	s_delay_alu instid0(VALU_DEP_1) | instskip(NEXT) | instid1(VALU_DEP_1)
	v_dual_sub_f32 v31, v32, v31 :: v_dual_mul_f32 v16, v29, v16
	v_add_f32_e32 v16, v31, v16
	s_delay_alu instid0(VALU_DEP_1) | instskip(NEXT) | instid1(VALU_DEP_1)
	v_add_f32_e32 v29, v30, v16
	v_mul_f32_e32 v31, v29, v29
	s_delay_alu instid0(VALU_DEP_1) | instskip(SKIP_2) | instid1(VALU_DEP_3)
	v_fmaak_f32 v32, s0, v31, 0x3ecc95a3
	v_mul_f32_e32 v33, v29, v31
	v_cmp_eq_f32_e64 s0, 0x7f800000, v13
	v_fmaak_f32 v31, v31, v32, 0x3f2aaada
	v_ldexp_f32 v32, v29, 1
	v_sub_f32_e32 v29, v29, v30
	s_delay_alu instid0(VALU_DEP_4) | instskip(NEXT) | instid1(VALU_DEP_3)
	s_or_b32 s0, s0, s23
	v_mul_f32_e32 v31, v33, v31
	s_delay_alu instid0(VALU_DEP_2) | instskip(NEXT) | instid1(VALU_DEP_2)
	v_dual_mul_f32 v33, 0x3f317218, v27 :: v_dual_sub_f32 v16, v16, v29
	v_add_f32_e32 v30, v32, v31
	s_delay_alu instid0(VALU_DEP_2) | instskip(NEXT) | instid1(VALU_DEP_2)
	v_ldexp_f32 v16, v16, 1
	v_sub_f32_e32 v29, v30, v32
	s_delay_alu instid0(VALU_DEP_4) | instskip(NEXT) | instid1(VALU_DEP_2)
	v_fma_f32 v32, 0x3f317218, v27, -v33
	v_sub_f32_e32 v29, v31, v29
	s_delay_alu instid0(VALU_DEP_1) | instskip(NEXT) | instid1(VALU_DEP_1)
	v_dual_fmamk_f32 v27, v27, 0xb102e308, v32 :: v_dual_add_f32 v16, v16, v29
	v_add_f32_e32 v29, v33, v27
	s_delay_alu instid0(VALU_DEP_1) | instskip(NEXT) | instid1(VALU_DEP_1)
	v_sub_f32_e32 v33, v29, v33
	v_sub_f32_e32 v27, v27, v33
	s_delay_alu instid0(VALU_DEP_4) | instskip(NEXT) | instid1(VALU_DEP_1)
	v_add_f32_e32 v31, v30, v16
	v_sub_f32_e32 v30, v31, v30
	s_delay_alu instid0(VALU_DEP_1) | instskip(SKIP_1) | instid1(VALU_DEP_1)
	v_sub_f32_e32 v16, v16, v30
	v_add_f32_e32 v32, v29, v31
	v_sub_f32_e32 v34, v32, v29
	s_delay_alu instid0(VALU_DEP_1) | instskip(NEXT) | instid1(VALU_DEP_4)
	v_sub_f32_e32 v30, v31, v34
	v_add_f32_e32 v31, v27, v16
	v_sub_f32_e32 v35, v32, v34
	s_delay_alu instid0(VALU_DEP_1) | instskip(NEXT) | instid1(VALU_DEP_1)
	v_sub_f32_e32 v29, v29, v35
	v_dual_add_f32 v29, v30, v29 :: v_dual_sub_f32 v30, v31, v27
	s_delay_alu instid0(VALU_DEP_1) | instskip(SKIP_1) | instid1(VALU_DEP_2)
	v_dual_add_f32 v29, v31, v29 :: v_dual_sub_f32 v16, v16, v30
	v_sub_f32_e32 v31, v31, v30
	v_add_f32_e32 v33, v32, v29
	s_delay_alu instid0(VALU_DEP_1) | instskip(NEXT) | instid1(VALU_DEP_1)
	v_dual_sub_f32 v27, v27, v31 :: v_dual_sub_f32 v30, v33, v32
	v_dual_add_f32 v16, v16, v27 :: v_dual_sub_f32 v27, v29, v30
	s_delay_alu instid0(VALU_DEP_1) | instskip(NEXT) | instid1(VALU_DEP_1)
	v_add_f32_e32 v16, v16, v27
	v_add_f32_e32 v16, v33, v16
	s_delay_alu instid0(VALU_DEP_1) | instskip(NEXT) | instid1(VALU_DEP_1)
	v_cndmask_b32_e64 v13, v16, v13, s0
	v_add_f32_e32 v13, v26, v13
	s_delay_alu instid0(VALU_DEP_1) | instskip(NEXT) | instid1(VALU_DEP_1)
	v_cvt_f16_f32_e32 v30, v13
	v_cvt_f32_f16_e32 v13, v30
	v_mov_b32_e32 v16, v30
.LBB420_128:
	s_or_b32 exec_lo, exec_lo, s1
	s_delay_alu instid0(VALU_DEP_2) | instskip(SKIP_1) | instid1(VALU_DEP_2)
	v_dual_max_f32 v26, v3, v3 :: v_dual_max_f32 v27, v13, v13
	v_cmp_u_f16_e64 s0, v30, v30
	v_min_f32_e32 v29, v27, v26
	v_max_f32_e32 v26, v27, v26
	s_delay_alu instid0(VALU_DEP_2) | instskip(NEXT) | instid1(VALU_DEP_2)
	v_cndmask_b32_e64 v27, v29, v13, s0
	v_cndmask_b32_e64 v26, v26, v13, s0
	s_delay_alu instid0(VALU_DEP_2) | instskip(NEXT) | instid1(VALU_DEP_2)
	v_cndmask_b32_e64 v27, v27, v3, s26
	v_cndmask_b32_e64 v26, v26, v3, s26
	v_mov_b32_e32 v3, v16
	s_delay_alu instid0(VALU_DEP_3) | instskip(NEXT) | instid1(VALU_DEP_3)
	v_cmp_class_f32_e64 s1, v27, 0x1f8
	v_cmp_neq_f32_e64 s0, v27, v26
	s_delay_alu instid0(VALU_DEP_1) | instskip(NEXT) | instid1(SALU_CYCLE_1)
	s_or_b32 s0, s0, s1
	s_and_saveexec_b32 s1, s0
	s_cbranch_execz .LBB420_130
; %bb.129:
	v_sub_f32_e32 v3, v27, v26
	s_delay_alu instid0(VALU_DEP_1) | instskip(SKIP_1) | instid1(VALU_DEP_2)
	v_mul_f32_e32 v13, 0x3fb8aa3b, v3
	v_cmp_ngt_f32_e64 s0, 0xc2ce8ed0, v3
	v_fma_f32 v27, 0x3fb8aa3b, v3, -v13
	v_rndne_f32_e32 v29, v13
	s_delay_alu instid0(VALU_DEP_2) | instskip(NEXT) | instid1(VALU_DEP_2)
	v_fmamk_f32 v27, v3, 0x32a5705f, v27
	v_sub_f32_e32 v13, v13, v29
	s_delay_alu instid0(VALU_DEP_1) | instskip(SKIP_1) | instid1(VALU_DEP_2)
	v_add_f32_e32 v13, v13, v27
	v_cvt_i32_f32_e32 v27, v29
	v_exp_f32_e32 v13, v13
	s_waitcnt_depctr 0xfff
	v_ldexp_f32 v13, v13, v27
	s_delay_alu instid0(VALU_DEP_1) | instskip(SKIP_1) | instid1(VALU_DEP_1)
	v_cndmask_b32_e64 v13, 0, v13, s0
	v_cmp_nlt_f32_e64 s0, 0x42b17218, v3
	v_cndmask_b32_e64 v3, 0x7f800000, v13, s0
	s_delay_alu instid0(VALU_DEP_1) | instskip(SKIP_1) | instid1(VALU_DEP_2)
	v_add_f32_e32 v13, 1.0, v3
	v_cmp_gt_f32_e64 s23, 0x33800000, |v3|
	v_cvt_f64_f32_e32 v[29:30], v13
	s_delay_alu instid0(VALU_DEP_1) | instskip(SKIP_1) | instid1(VALU_DEP_1)
	v_frexp_exp_i32_f64_e32 v27, v[29:30]
	v_frexp_mant_f32_e32 v29, v13
	v_cmp_gt_f32_e64 s0, 0x3f2aaaab, v29
	v_add_f32_e32 v29, -1.0, v13
	s_delay_alu instid0(VALU_DEP_1) | instskip(SKIP_1) | instid1(VALU_DEP_2)
	v_sub_f32_e32 v31, v29, v13
	v_sub_f32_e32 v29, v3, v29
	v_add_f32_e32 v31, 1.0, v31
	s_delay_alu instid0(VALU_DEP_1) | instskip(SKIP_2) | instid1(VALU_DEP_1)
	v_add_f32_e32 v29, v29, v31
	v_subrev_co_ci_u32_e64 v27, s0, 0, v27, s0
	s_mov_b32 s0, 0x3e9b6dac
	v_sub_nc_u32_e32 v30, 0, v27
	v_cvt_f32_i32_e32 v27, v27
	s_delay_alu instid0(VALU_DEP_2) | instskip(SKIP_1) | instid1(VALU_DEP_2)
	v_ldexp_f32 v13, v13, v30
	v_ldexp_f32 v29, v29, v30
	v_add_f32_e32 v32, 1.0, v13
	s_delay_alu instid0(VALU_DEP_1) | instskip(NEXT) | instid1(VALU_DEP_1)
	v_dual_add_f32 v30, -1.0, v13 :: v_dual_add_f32 v31, -1.0, v32
	v_add_f32_e32 v33, 1.0, v30
	s_delay_alu instid0(VALU_DEP_2) | instskip(NEXT) | instid1(VALU_DEP_2)
	v_sub_f32_e32 v31, v13, v31
	v_sub_f32_e32 v13, v13, v33
	s_delay_alu instid0(VALU_DEP_2) | instskip(NEXT) | instid1(VALU_DEP_2)
	v_add_f32_e32 v31, v29, v31
	v_add_f32_e32 v13, v29, v13
	s_delay_alu instid0(VALU_DEP_1) | instskip(NEXT) | instid1(VALU_DEP_1)
	v_dual_add_f32 v33, v32, v31 :: v_dual_add_f32 v34, v30, v13
	v_rcp_f32_e32 v29, v33
	v_sub_f32_e32 v32, v32, v33
	s_delay_alu instid0(VALU_DEP_1) | instskip(SKIP_3) | instid1(VALU_DEP_2)
	v_dual_sub_f32 v30, v30, v34 :: v_dual_add_f32 v31, v31, v32
	s_waitcnt_depctr 0xfff
	v_mul_f32_e32 v35, v34, v29
	v_add_f32_e32 v13, v13, v30
	v_mul_f32_e32 v36, v33, v35
	s_delay_alu instid0(VALU_DEP_1) | instskip(NEXT) | instid1(VALU_DEP_1)
	v_fma_f32 v32, v35, v33, -v36
	v_fmac_f32_e32 v32, v35, v31
	s_delay_alu instid0(VALU_DEP_1) | instskip(NEXT) | instid1(VALU_DEP_1)
	v_add_f32_e32 v37, v36, v32
	v_sub_f32_e32 v38, v34, v37
	v_sub_f32_e32 v30, v37, v36
	s_delay_alu instid0(VALU_DEP_2) | instskip(NEXT) | instid1(VALU_DEP_2)
	v_sub_f32_e32 v34, v34, v38
	v_sub_f32_e32 v30, v30, v32
	s_delay_alu instid0(VALU_DEP_2) | instskip(NEXT) | instid1(VALU_DEP_1)
	v_sub_f32_e32 v34, v34, v37
	v_add_f32_e32 v13, v13, v34
	s_delay_alu instid0(VALU_DEP_1) | instskip(NEXT) | instid1(VALU_DEP_1)
	v_add_f32_e32 v13, v30, v13
	v_add_f32_e32 v30, v38, v13
	s_delay_alu instid0(VALU_DEP_1) | instskip(NEXT) | instid1(VALU_DEP_1)
	v_mul_f32_e32 v32, v29, v30
	v_dual_sub_f32 v37, v38, v30 :: v_dual_mul_f32 v34, v33, v32
	s_delay_alu instid0(VALU_DEP_1) | instskip(NEXT) | instid1(VALU_DEP_2)
	v_add_f32_e32 v13, v13, v37
	v_fma_f32 v33, v32, v33, -v34
	s_delay_alu instid0(VALU_DEP_1) | instskip(NEXT) | instid1(VALU_DEP_1)
	v_fmac_f32_e32 v33, v32, v31
	v_add_f32_e32 v31, v34, v33
	s_delay_alu instid0(VALU_DEP_1) | instskip(SKIP_1) | instid1(VALU_DEP_2)
	v_sub_f32_e32 v36, v30, v31
	v_sub_f32_e32 v34, v31, v34
	;; [unrolled: 1-line block ×3, first 2 shown]
	s_delay_alu instid0(VALU_DEP_1) | instskip(NEXT) | instid1(VALU_DEP_3)
	v_sub_f32_e32 v30, v30, v31
	v_sub_f32_e32 v31, v34, v33
	s_delay_alu instid0(VALU_DEP_2) | instskip(NEXT) | instid1(VALU_DEP_1)
	v_dual_add_f32 v13, v13, v30 :: v_dual_add_f32 v30, v35, v32
	v_add_f32_e32 v13, v31, v13
	s_delay_alu instid0(VALU_DEP_2) | instskip(NEXT) | instid1(VALU_DEP_2)
	v_sub_f32_e32 v31, v30, v35
	v_add_f32_e32 v13, v36, v13
	s_delay_alu instid0(VALU_DEP_2) | instskip(NEXT) | instid1(VALU_DEP_2)
	v_sub_f32_e32 v31, v32, v31
	v_mul_f32_e32 v13, v29, v13
	s_delay_alu instid0(VALU_DEP_1) | instskip(NEXT) | instid1(VALU_DEP_1)
	v_add_f32_e32 v13, v31, v13
	v_add_f32_e32 v29, v30, v13
	s_delay_alu instid0(VALU_DEP_1) | instskip(NEXT) | instid1(VALU_DEP_1)
	v_mul_f32_e32 v31, v29, v29
	v_fmaak_f32 v32, s0, v31, 0x3ecc95a3
	v_mul_f32_e32 v33, v29, v31
	v_cmp_eq_f32_e64 s0, 0x7f800000, v3
	s_delay_alu instid0(VALU_DEP_3) | instskip(SKIP_2) | instid1(VALU_DEP_4)
	v_fmaak_f32 v31, v31, v32, 0x3f2aaada
	v_ldexp_f32 v32, v29, 1
	v_sub_f32_e32 v29, v29, v30
	s_or_b32 s0, s0, s23
	s_delay_alu instid0(VALU_DEP_3) | instskip(SKIP_1) | instid1(VALU_DEP_2)
	v_mul_f32_e32 v31, v33, v31
	v_mul_f32_e32 v33, 0x3f317218, v27
	v_dual_sub_f32 v13, v13, v29 :: v_dual_add_f32 v30, v32, v31
	s_delay_alu instid0(VALU_DEP_1) | instskip(NEXT) | instid1(VALU_DEP_2)
	v_ldexp_f32 v13, v13, 1
	v_sub_f32_e32 v29, v30, v32
	s_delay_alu instid0(VALU_DEP_4) | instskip(NEXT) | instid1(VALU_DEP_2)
	v_fma_f32 v32, 0x3f317218, v27, -v33
	v_sub_f32_e32 v29, v31, v29
	s_delay_alu instid0(VALU_DEP_2) | instskip(NEXT) | instid1(VALU_DEP_2)
	v_fmamk_f32 v27, v27, 0xb102e308, v32
	v_add_f32_e32 v13, v13, v29
	s_delay_alu instid0(VALU_DEP_2) | instskip(NEXT) | instid1(VALU_DEP_2)
	v_add_f32_e32 v29, v33, v27
	v_add_f32_e32 v31, v30, v13
	s_delay_alu instid0(VALU_DEP_2) | instskip(NEXT) | instid1(VALU_DEP_2)
	v_sub_f32_e32 v33, v29, v33
	v_add_f32_e32 v32, v29, v31
	v_sub_f32_e32 v30, v31, v30
	s_delay_alu instid0(VALU_DEP_3) | instskip(NEXT) | instid1(VALU_DEP_2)
	v_sub_f32_e32 v27, v27, v33
	v_dual_sub_f32 v34, v32, v29 :: v_dual_sub_f32 v13, v13, v30
	s_delay_alu instid0(VALU_DEP_1) | instskip(SKIP_1) | instid1(VALU_DEP_3)
	v_sub_f32_e32 v35, v32, v34
	v_sub_f32_e32 v30, v31, v34
	v_add_f32_e32 v31, v27, v13
	s_delay_alu instid0(VALU_DEP_3) | instskip(NEXT) | instid1(VALU_DEP_1)
	v_sub_f32_e32 v29, v29, v35
	v_dual_add_f32 v29, v30, v29 :: v_dual_sub_f32 v30, v31, v27
	s_delay_alu instid0(VALU_DEP_1) | instskip(NEXT) | instid1(VALU_DEP_2)
	v_add_f32_e32 v29, v31, v29
	v_sub_f32_e32 v31, v31, v30
	v_sub_f32_e32 v13, v13, v30
	s_delay_alu instid0(VALU_DEP_3) | instskip(NEXT) | instid1(VALU_DEP_1)
	v_add_f32_e32 v33, v32, v29
	v_dual_sub_f32 v27, v27, v31 :: v_dual_sub_f32 v30, v33, v32
	s_delay_alu instid0(VALU_DEP_1) | instskip(NEXT) | instid1(VALU_DEP_2)
	v_add_f32_e32 v13, v13, v27
	v_sub_f32_e32 v27, v29, v30
	s_delay_alu instid0(VALU_DEP_1) | instskip(NEXT) | instid1(VALU_DEP_1)
	v_add_f32_e32 v13, v13, v27
	v_add_f32_e32 v13, v33, v13
	s_delay_alu instid0(VALU_DEP_1) | instskip(NEXT) | instid1(VALU_DEP_1)
	v_cndmask_b32_e64 v3, v13, v3, s0
	v_add_f32_e32 v3, v26, v3
	s_delay_alu instid0(VALU_DEP_1) | instskip(NEXT) | instid1(VALU_DEP_1)
	v_cvt_f16_f32_e32 v30, v3
	v_cvt_f32_f16_e32 v13, v30
	v_mov_b32_e32 v3, v30
.LBB420_130:
	s_or_b32 exec_lo, exec_lo, s1
	v_max_f32_e32 v26, v17, v17
	s_delay_alu instid0(VALU_DEP_3) | instskip(SKIP_1) | instid1(VALU_DEP_2)
	v_max_f32_e32 v27, v13, v13
	v_cmp_u_f16_e64 s0, v30, v30
	v_min_f32_e32 v29, v27, v26
	v_max_f32_e32 v26, v27, v26
	s_delay_alu instid0(VALU_DEP_2) | instskip(NEXT) | instid1(VALU_DEP_2)
	v_cndmask_b32_e64 v27, v29, v13, s0
	v_cndmask_b32_e64 v26, v26, v13, s0
	s_delay_alu instid0(VALU_DEP_2) | instskip(NEXT) | instid1(VALU_DEP_2)
	v_cndmask_b32_e64 v27, v27, v17, s27
	v_cndmask_b32_e64 v26, v26, v17, s27
	v_mov_b32_e32 v17, v3
	s_delay_alu instid0(VALU_DEP_3) | instskip(NEXT) | instid1(VALU_DEP_3)
	v_cmp_class_f32_e64 s1, v27, 0x1f8
	v_cmp_neq_f32_e64 s0, v27, v26
	s_delay_alu instid0(VALU_DEP_1) | instskip(NEXT) | instid1(SALU_CYCLE_1)
	s_or_b32 s0, s0, s1
	s_and_saveexec_b32 s1, s0
	s_cbranch_execz .LBB420_132
; %bb.131:
	v_sub_f32_e32 v13, v27, v26
	s_delay_alu instid0(VALU_DEP_1) | instskip(SKIP_1) | instid1(VALU_DEP_2)
	v_mul_f32_e32 v17, 0x3fb8aa3b, v13
	v_cmp_ngt_f32_e64 s0, 0xc2ce8ed0, v13
	v_fma_f32 v27, 0x3fb8aa3b, v13, -v17
	v_rndne_f32_e32 v29, v17
	s_delay_alu instid0(VALU_DEP_2) | instskip(NEXT) | instid1(VALU_DEP_2)
	v_fmamk_f32 v27, v13, 0x32a5705f, v27
	v_sub_f32_e32 v17, v17, v29
	s_delay_alu instid0(VALU_DEP_1) | instskip(SKIP_1) | instid1(VALU_DEP_2)
	v_add_f32_e32 v17, v17, v27
	v_cvt_i32_f32_e32 v27, v29
	v_exp_f32_e32 v17, v17
	s_waitcnt_depctr 0xfff
	v_ldexp_f32 v17, v17, v27
	s_delay_alu instid0(VALU_DEP_1) | instskip(SKIP_1) | instid1(VALU_DEP_1)
	v_cndmask_b32_e64 v17, 0, v17, s0
	v_cmp_nlt_f32_e64 s0, 0x42b17218, v13
	v_cndmask_b32_e64 v13, 0x7f800000, v17, s0
	s_delay_alu instid0(VALU_DEP_1) | instskip(SKIP_1) | instid1(VALU_DEP_2)
	v_add_f32_e32 v17, 1.0, v13
	v_cmp_gt_f32_e64 s23, 0x33800000, |v13|
	v_cvt_f64_f32_e32 v[29:30], v17
	s_delay_alu instid0(VALU_DEP_1) | instskip(SKIP_1) | instid1(VALU_DEP_1)
	v_frexp_exp_i32_f64_e32 v27, v[29:30]
	v_frexp_mant_f32_e32 v29, v17
	v_cmp_gt_f32_e64 s0, 0x3f2aaaab, v29
	v_add_f32_e32 v29, -1.0, v17
	s_delay_alu instid0(VALU_DEP_1) | instskip(SKIP_1) | instid1(VALU_DEP_2)
	v_sub_f32_e32 v31, v29, v17
	v_sub_f32_e32 v29, v13, v29
	v_add_f32_e32 v31, 1.0, v31
	s_delay_alu instid0(VALU_DEP_1) | instskip(SKIP_2) | instid1(VALU_DEP_1)
	v_add_f32_e32 v29, v29, v31
	v_subrev_co_ci_u32_e64 v27, s0, 0, v27, s0
	s_mov_b32 s0, 0x3e9b6dac
	v_sub_nc_u32_e32 v30, 0, v27
	v_cvt_f32_i32_e32 v27, v27
	s_delay_alu instid0(VALU_DEP_2) | instskip(SKIP_1) | instid1(VALU_DEP_2)
	v_ldexp_f32 v17, v17, v30
	v_ldexp_f32 v29, v29, v30
	v_add_f32_e32 v32, 1.0, v17
	s_delay_alu instid0(VALU_DEP_1) | instskip(NEXT) | instid1(VALU_DEP_1)
	v_dual_add_f32 v30, -1.0, v17 :: v_dual_add_f32 v31, -1.0, v32
	v_add_f32_e32 v33, 1.0, v30
	s_delay_alu instid0(VALU_DEP_2) | instskip(NEXT) | instid1(VALU_DEP_2)
	v_sub_f32_e32 v31, v17, v31
	v_sub_f32_e32 v17, v17, v33
	s_delay_alu instid0(VALU_DEP_2) | instskip(NEXT) | instid1(VALU_DEP_2)
	v_add_f32_e32 v31, v29, v31
	v_add_f32_e32 v17, v29, v17
	s_delay_alu instid0(VALU_DEP_1) | instskip(NEXT) | instid1(VALU_DEP_1)
	v_dual_add_f32 v33, v32, v31 :: v_dual_add_f32 v34, v30, v17
	v_rcp_f32_e32 v29, v33
	v_sub_f32_e32 v32, v32, v33
	s_delay_alu instid0(VALU_DEP_1) | instskip(SKIP_3) | instid1(VALU_DEP_2)
	v_dual_sub_f32 v30, v30, v34 :: v_dual_add_f32 v31, v31, v32
	s_waitcnt_depctr 0xfff
	v_mul_f32_e32 v35, v34, v29
	v_add_f32_e32 v17, v17, v30
	v_mul_f32_e32 v36, v33, v35
	s_delay_alu instid0(VALU_DEP_1) | instskip(NEXT) | instid1(VALU_DEP_1)
	v_fma_f32 v32, v35, v33, -v36
	v_fmac_f32_e32 v32, v35, v31
	s_delay_alu instid0(VALU_DEP_1) | instskip(NEXT) | instid1(VALU_DEP_1)
	v_add_f32_e32 v37, v36, v32
	v_sub_f32_e32 v38, v34, v37
	v_sub_f32_e32 v30, v37, v36
	s_delay_alu instid0(VALU_DEP_2) | instskip(NEXT) | instid1(VALU_DEP_2)
	v_sub_f32_e32 v34, v34, v38
	v_sub_f32_e32 v30, v30, v32
	s_delay_alu instid0(VALU_DEP_2) | instskip(NEXT) | instid1(VALU_DEP_1)
	v_sub_f32_e32 v34, v34, v37
	v_add_f32_e32 v17, v17, v34
	s_delay_alu instid0(VALU_DEP_1) | instskip(NEXT) | instid1(VALU_DEP_1)
	v_add_f32_e32 v17, v30, v17
	v_add_f32_e32 v30, v38, v17
	s_delay_alu instid0(VALU_DEP_1) | instskip(NEXT) | instid1(VALU_DEP_1)
	v_mul_f32_e32 v32, v29, v30
	v_dual_sub_f32 v37, v38, v30 :: v_dual_mul_f32 v34, v33, v32
	s_delay_alu instid0(VALU_DEP_1) | instskip(NEXT) | instid1(VALU_DEP_2)
	v_add_f32_e32 v17, v17, v37
	v_fma_f32 v33, v32, v33, -v34
	s_delay_alu instid0(VALU_DEP_1) | instskip(NEXT) | instid1(VALU_DEP_1)
	v_fmac_f32_e32 v33, v32, v31
	v_add_f32_e32 v31, v34, v33
	s_delay_alu instid0(VALU_DEP_1) | instskip(SKIP_1) | instid1(VALU_DEP_2)
	v_sub_f32_e32 v36, v30, v31
	v_sub_f32_e32 v34, v31, v34
	;; [unrolled: 1-line block ×3, first 2 shown]
	s_delay_alu instid0(VALU_DEP_1) | instskip(NEXT) | instid1(VALU_DEP_3)
	v_sub_f32_e32 v30, v30, v31
	v_sub_f32_e32 v31, v34, v33
	s_delay_alu instid0(VALU_DEP_2) | instskip(NEXT) | instid1(VALU_DEP_1)
	v_dual_add_f32 v17, v17, v30 :: v_dual_add_f32 v30, v35, v32
	v_add_f32_e32 v17, v31, v17
	s_delay_alu instid0(VALU_DEP_2) | instskip(NEXT) | instid1(VALU_DEP_2)
	v_sub_f32_e32 v31, v30, v35
	v_add_f32_e32 v17, v36, v17
	s_delay_alu instid0(VALU_DEP_2) | instskip(NEXT) | instid1(VALU_DEP_2)
	v_sub_f32_e32 v31, v32, v31
	v_mul_f32_e32 v17, v29, v17
	s_delay_alu instid0(VALU_DEP_1) | instskip(NEXT) | instid1(VALU_DEP_1)
	v_add_f32_e32 v17, v31, v17
	v_add_f32_e32 v29, v30, v17
	s_delay_alu instid0(VALU_DEP_1) | instskip(NEXT) | instid1(VALU_DEP_1)
	v_mul_f32_e32 v31, v29, v29
	v_fmaak_f32 v32, s0, v31, 0x3ecc95a3
	v_mul_f32_e32 v33, v29, v31
	v_cmp_eq_f32_e64 s0, 0x7f800000, v13
	s_delay_alu instid0(VALU_DEP_3) | instskip(SKIP_2) | instid1(VALU_DEP_4)
	v_fmaak_f32 v31, v31, v32, 0x3f2aaada
	v_ldexp_f32 v32, v29, 1
	v_sub_f32_e32 v29, v29, v30
	s_or_b32 s0, s0, s23
	s_delay_alu instid0(VALU_DEP_3) | instskip(SKIP_1) | instid1(VALU_DEP_2)
	v_mul_f32_e32 v31, v33, v31
	v_mul_f32_e32 v33, 0x3f317218, v27
	v_dual_sub_f32 v17, v17, v29 :: v_dual_add_f32 v30, v32, v31
	s_delay_alu instid0(VALU_DEP_1) | instskip(NEXT) | instid1(VALU_DEP_2)
	v_ldexp_f32 v17, v17, 1
	v_sub_f32_e32 v29, v30, v32
	s_delay_alu instid0(VALU_DEP_4) | instskip(NEXT) | instid1(VALU_DEP_2)
	v_fma_f32 v32, 0x3f317218, v27, -v33
	v_sub_f32_e32 v29, v31, v29
	s_delay_alu instid0(VALU_DEP_2) | instskip(NEXT) | instid1(VALU_DEP_2)
	v_fmamk_f32 v27, v27, 0xb102e308, v32
	v_add_f32_e32 v17, v17, v29
	s_delay_alu instid0(VALU_DEP_2) | instskip(NEXT) | instid1(VALU_DEP_2)
	v_add_f32_e32 v29, v33, v27
	v_add_f32_e32 v31, v30, v17
	s_delay_alu instid0(VALU_DEP_2) | instskip(NEXT) | instid1(VALU_DEP_2)
	v_sub_f32_e32 v33, v29, v33
	v_add_f32_e32 v32, v29, v31
	v_sub_f32_e32 v30, v31, v30
	s_delay_alu instid0(VALU_DEP_3) | instskip(NEXT) | instid1(VALU_DEP_2)
	v_sub_f32_e32 v27, v27, v33
	v_dual_sub_f32 v34, v32, v29 :: v_dual_sub_f32 v17, v17, v30
	s_delay_alu instid0(VALU_DEP_1) | instskip(SKIP_1) | instid1(VALU_DEP_3)
	v_sub_f32_e32 v35, v32, v34
	v_sub_f32_e32 v30, v31, v34
	v_add_f32_e32 v31, v27, v17
	s_delay_alu instid0(VALU_DEP_3) | instskip(NEXT) | instid1(VALU_DEP_1)
	v_sub_f32_e32 v29, v29, v35
	v_dual_add_f32 v29, v30, v29 :: v_dual_sub_f32 v30, v31, v27
	s_delay_alu instid0(VALU_DEP_1) | instskip(NEXT) | instid1(VALU_DEP_2)
	v_add_f32_e32 v29, v31, v29
	v_sub_f32_e32 v31, v31, v30
	v_sub_f32_e32 v17, v17, v30
	s_delay_alu instid0(VALU_DEP_3) | instskip(NEXT) | instid1(VALU_DEP_1)
	v_add_f32_e32 v33, v32, v29
	v_dual_sub_f32 v27, v27, v31 :: v_dual_sub_f32 v30, v33, v32
	s_delay_alu instid0(VALU_DEP_1) | instskip(NEXT) | instid1(VALU_DEP_2)
	v_add_f32_e32 v17, v17, v27
	v_sub_f32_e32 v27, v29, v30
	s_delay_alu instid0(VALU_DEP_1) | instskip(NEXT) | instid1(VALU_DEP_1)
	v_add_f32_e32 v17, v17, v27
	v_add_f32_e32 v17, v33, v17
	s_delay_alu instid0(VALU_DEP_1) | instskip(NEXT) | instid1(VALU_DEP_1)
	v_cndmask_b32_e64 v13, v17, v13, s0
	v_add_f32_e32 v13, v26, v13
	s_delay_alu instid0(VALU_DEP_1) | instskip(NEXT) | instid1(VALU_DEP_1)
	v_cvt_f16_f32_e32 v30, v13
	v_cvt_f32_f16_e32 v13, v30
	v_mov_b32_e32 v17, v30
.LBB420_132:
	s_or_b32 exec_lo, exec_lo, s1
	s_delay_alu instid0(VALU_DEP_2) | instskip(SKIP_1) | instid1(VALU_DEP_2)
	v_dual_max_f32 v26, v10, v10 :: v_dual_max_f32 v27, v13, v13
	v_cmp_u_f16_e64 s0, v30, v30
	v_min_f32_e32 v29, v27, v26
	v_max_f32_e32 v26, v27, v26
	s_delay_alu instid0(VALU_DEP_2) | instskip(NEXT) | instid1(VALU_DEP_2)
	v_cndmask_b32_e64 v27, v29, v13, s0
	v_cndmask_b32_e64 v26, v26, v13, s0
	s_delay_alu instid0(VALU_DEP_2) | instskip(NEXT) | instid1(VALU_DEP_2)
	v_cndmask_b32_e64 v27, v27, v10, s28
	v_cndmask_b32_e64 v26, v26, v10, s28
	v_mov_b32_e32 v10, v17
	s_delay_alu instid0(VALU_DEP_3) | instskip(NEXT) | instid1(VALU_DEP_3)
	v_cmp_class_f32_e64 s1, v27, 0x1f8
	v_cmp_neq_f32_e64 s0, v27, v26
	s_delay_alu instid0(VALU_DEP_1) | instskip(NEXT) | instid1(SALU_CYCLE_1)
	s_or_b32 s0, s0, s1
	s_and_saveexec_b32 s1, s0
	s_cbranch_execz .LBB420_134
; %bb.133:
	v_sub_f32_e32 v10, v27, v26
	s_delay_alu instid0(VALU_DEP_1) | instskip(NEXT) | instid1(VALU_DEP_1)
	v_mul_f32_e32 v13, 0x3fb8aa3b, v10
	v_fma_f32 v27, 0x3fb8aa3b, v10, -v13
	v_rndne_f32_e32 v29, v13
	s_delay_alu instid0(VALU_DEP_1) | instskip(NEXT) | instid1(VALU_DEP_3)
	v_sub_f32_e32 v13, v13, v29
	v_fmamk_f32 v27, v10, 0x32a5705f, v27
	v_cmp_ngt_f32_e64 s0, 0xc2ce8ed0, v10
	s_delay_alu instid0(VALU_DEP_2) | instskip(SKIP_1) | instid1(VALU_DEP_2)
	v_add_f32_e32 v13, v13, v27
	v_cvt_i32_f32_e32 v27, v29
	v_exp_f32_e32 v13, v13
	s_waitcnt_depctr 0xfff
	v_ldexp_f32 v13, v13, v27
	s_delay_alu instid0(VALU_DEP_1) | instskip(SKIP_1) | instid1(VALU_DEP_1)
	v_cndmask_b32_e64 v13, 0, v13, s0
	v_cmp_nlt_f32_e64 s0, 0x42b17218, v10
	v_cndmask_b32_e64 v10, 0x7f800000, v13, s0
	s_delay_alu instid0(VALU_DEP_1) | instskip(SKIP_1) | instid1(VALU_DEP_2)
	v_add_f32_e32 v13, 1.0, v10
	v_cmp_gt_f32_e64 s23, 0x33800000, |v10|
	v_cvt_f64_f32_e32 v[29:30], v13
	s_delay_alu instid0(VALU_DEP_1) | instskip(SKIP_1) | instid1(VALU_DEP_1)
	v_frexp_exp_i32_f64_e32 v27, v[29:30]
	v_frexp_mant_f32_e32 v29, v13
	v_cmp_gt_f32_e64 s0, 0x3f2aaaab, v29
	v_add_f32_e32 v29, -1.0, v13
	s_delay_alu instid0(VALU_DEP_1) | instskip(SKIP_1) | instid1(VALU_DEP_4)
	v_sub_f32_e32 v31, v29, v13
	v_sub_f32_e32 v29, v10, v29
	v_subrev_co_ci_u32_e64 v27, s0, 0, v27, s0
	s_mov_b32 s0, 0x3e9b6dac
	s_delay_alu instid0(VALU_DEP_1) | instskip(SKIP_1) | instid1(VALU_DEP_2)
	v_sub_nc_u32_e32 v30, 0, v27
	v_cvt_f32_i32_e32 v27, v27
	v_ldexp_f32 v13, v13, v30
	s_delay_alu instid0(VALU_DEP_1) | instskip(NEXT) | instid1(VALU_DEP_1)
	v_dual_add_f32 v31, 1.0, v31 :: v_dual_add_f32 v32, 1.0, v13
	v_add_f32_e32 v29, v29, v31
	s_delay_alu instid0(VALU_DEP_2) | instskip(NEXT) | instid1(VALU_DEP_2)
	v_add_f32_e32 v31, -1.0, v32
	v_ldexp_f32 v29, v29, v30
	s_delay_alu instid0(VALU_DEP_2) | instskip(NEXT) | instid1(VALU_DEP_1)
	v_dual_add_f32 v30, -1.0, v13 :: v_dual_sub_f32 v31, v13, v31
	v_add_f32_e32 v33, 1.0, v30
	s_delay_alu instid0(VALU_DEP_2) | instskip(NEXT) | instid1(VALU_DEP_2)
	v_add_f32_e32 v31, v29, v31
	v_sub_f32_e32 v13, v13, v33
	s_delay_alu instid0(VALU_DEP_2) | instskip(NEXT) | instid1(VALU_DEP_2)
	v_add_f32_e32 v33, v32, v31
	v_add_f32_e32 v13, v29, v13
	s_delay_alu instid0(VALU_DEP_2) | instskip(SKIP_1) | instid1(VALU_DEP_1)
	v_rcp_f32_e32 v29, v33
	v_sub_f32_e32 v32, v32, v33
	v_dual_add_f32 v34, v30, v13 :: v_dual_add_f32 v31, v31, v32
	s_delay_alu instid0(VALU_DEP_1) | instskip(SKIP_3) | instid1(VALU_DEP_2)
	v_sub_f32_e32 v30, v30, v34
	s_waitcnt_depctr 0xfff
	v_mul_f32_e32 v35, v34, v29
	v_add_f32_e32 v13, v13, v30
	v_mul_f32_e32 v36, v33, v35
	s_delay_alu instid0(VALU_DEP_1) | instskip(NEXT) | instid1(VALU_DEP_1)
	v_fma_f32 v32, v35, v33, -v36
	v_fmac_f32_e32 v32, v35, v31
	s_delay_alu instid0(VALU_DEP_1) | instskip(NEXT) | instid1(VALU_DEP_1)
	v_add_f32_e32 v37, v36, v32
	v_sub_f32_e32 v38, v34, v37
	v_sub_f32_e32 v30, v37, v36
	s_delay_alu instid0(VALU_DEP_2) | instskip(NEXT) | instid1(VALU_DEP_2)
	v_sub_f32_e32 v34, v34, v38
	v_sub_f32_e32 v30, v30, v32
	s_delay_alu instid0(VALU_DEP_2) | instskip(NEXT) | instid1(VALU_DEP_1)
	v_sub_f32_e32 v34, v34, v37
	v_add_f32_e32 v13, v13, v34
	s_delay_alu instid0(VALU_DEP_1) | instskip(NEXT) | instid1(VALU_DEP_1)
	v_add_f32_e32 v13, v30, v13
	v_add_f32_e32 v30, v38, v13
	s_delay_alu instid0(VALU_DEP_1) | instskip(NEXT) | instid1(VALU_DEP_1)
	v_mul_f32_e32 v32, v29, v30
	v_dual_sub_f32 v37, v38, v30 :: v_dual_mul_f32 v34, v33, v32
	s_delay_alu instid0(VALU_DEP_1) | instskip(NEXT) | instid1(VALU_DEP_2)
	v_add_f32_e32 v13, v13, v37
	v_fma_f32 v33, v32, v33, -v34
	s_delay_alu instid0(VALU_DEP_1) | instskip(NEXT) | instid1(VALU_DEP_1)
	v_fmac_f32_e32 v33, v32, v31
	v_add_f32_e32 v31, v34, v33
	s_delay_alu instid0(VALU_DEP_1) | instskip(SKIP_1) | instid1(VALU_DEP_2)
	v_sub_f32_e32 v36, v30, v31
	v_sub_f32_e32 v34, v31, v34
	;; [unrolled: 1-line block ×3, first 2 shown]
	s_delay_alu instid0(VALU_DEP_1) | instskip(NEXT) | instid1(VALU_DEP_3)
	v_sub_f32_e32 v30, v30, v31
	v_sub_f32_e32 v31, v34, v33
	s_delay_alu instid0(VALU_DEP_2) | instskip(NEXT) | instid1(VALU_DEP_1)
	v_dual_add_f32 v13, v13, v30 :: v_dual_add_f32 v30, v35, v32
	v_add_f32_e32 v13, v31, v13
	s_delay_alu instid0(VALU_DEP_2) | instskip(NEXT) | instid1(VALU_DEP_2)
	v_sub_f32_e32 v31, v30, v35
	v_add_f32_e32 v13, v36, v13
	s_delay_alu instid0(VALU_DEP_2) | instskip(NEXT) | instid1(VALU_DEP_2)
	v_sub_f32_e32 v31, v32, v31
	v_mul_f32_e32 v13, v29, v13
	s_delay_alu instid0(VALU_DEP_1) | instskip(NEXT) | instid1(VALU_DEP_1)
	v_add_f32_e32 v13, v31, v13
	v_add_f32_e32 v29, v30, v13
	s_delay_alu instid0(VALU_DEP_1) | instskip(NEXT) | instid1(VALU_DEP_1)
	v_mul_f32_e32 v31, v29, v29
	v_fmaak_f32 v32, s0, v31, 0x3ecc95a3
	v_mul_f32_e32 v33, v29, v31
	v_cmp_eq_f32_e64 s0, 0x7f800000, v10
	s_delay_alu instid0(VALU_DEP_3) | instskip(SKIP_2) | instid1(VALU_DEP_4)
	v_fmaak_f32 v31, v31, v32, 0x3f2aaada
	v_ldexp_f32 v32, v29, 1
	v_sub_f32_e32 v29, v29, v30
	s_or_b32 s0, s0, s23
	s_delay_alu instid0(VALU_DEP_3) | instskip(SKIP_1) | instid1(VALU_DEP_2)
	v_mul_f32_e32 v31, v33, v31
	v_mul_f32_e32 v33, 0x3f317218, v27
	v_dual_sub_f32 v13, v13, v29 :: v_dual_add_f32 v30, v32, v31
	s_delay_alu instid0(VALU_DEP_1) | instskip(NEXT) | instid1(VALU_DEP_2)
	v_ldexp_f32 v13, v13, 1
	v_sub_f32_e32 v29, v30, v32
	s_delay_alu instid0(VALU_DEP_4) | instskip(NEXT) | instid1(VALU_DEP_2)
	v_fma_f32 v32, 0x3f317218, v27, -v33
	v_sub_f32_e32 v29, v31, v29
	s_delay_alu instid0(VALU_DEP_2) | instskip(NEXT) | instid1(VALU_DEP_2)
	v_fmamk_f32 v27, v27, 0xb102e308, v32
	v_add_f32_e32 v13, v13, v29
	s_delay_alu instid0(VALU_DEP_2) | instskip(NEXT) | instid1(VALU_DEP_2)
	v_add_f32_e32 v29, v33, v27
	v_add_f32_e32 v31, v30, v13
	s_delay_alu instid0(VALU_DEP_2) | instskip(NEXT) | instid1(VALU_DEP_2)
	v_sub_f32_e32 v33, v29, v33
	v_add_f32_e32 v32, v29, v31
	v_sub_f32_e32 v30, v31, v30
	s_delay_alu instid0(VALU_DEP_3) | instskip(NEXT) | instid1(VALU_DEP_2)
	v_sub_f32_e32 v27, v27, v33
	v_dual_sub_f32 v34, v32, v29 :: v_dual_sub_f32 v13, v13, v30
	s_delay_alu instid0(VALU_DEP_1) | instskip(SKIP_1) | instid1(VALU_DEP_3)
	v_sub_f32_e32 v35, v32, v34
	v_sub_f32_e32 v30, v31, v34
	v_add_f32_e32 v31, v27, v13
	s_delay_alu instid0(VALU_DEP_3) | instskip(NEXT) | instid1(VALU_DEP_1)
	v_sub_f32_e32 v29, v29, v35
	v_dual_add_f32 v29, v30, v29 :: v_dual_sub_f32 v30, v31, v27
	s_delay_alu instid0(VALU_DEP_1) | instskip(NEXT) | instid1(VALU_DEP_2)
	v_add_f32_e32 v29, v31, v29
	v_sub_f32_e32 v31, v31, v30
	v_sub_f32_e32 v13, v13, v30
	s_delay_alu instid0(VALU_DEP_3) | instskip(NEXT) | instid1(VALU_DEP_1)
	v_add_f32_e32 v33, v32, v29
	v_dual_sub_f32 v27, v27, v31 :: v_dual_sub_f32 v30, v33, v32
	s_delay_alu instid0(VALU_DEP_1) | instskip(NEXT) | instid1(VALU_DEP_2)
	v_add_f32_e32 v13, v13, v27
	v_sub_f32_e32 v27, v29, v30
	s_delay_alu instid0(VALU_DEP_1) | instskip(NEXT) | instid1(VALU_DEP_1)
	v_add_f32_e32 v13, v13, v27
	v_add_f32_e32 v13, v33, v13
	s_delay_alu instid0(VALU_DEP_1) | instskip(NEXT) | instid1(VALU_DEP_1)
	v_cndmask_b32_e64 v10, v13, v10, s0
	v_add_f32_e32 v10, v26, v10
	s_delay_alu instid0(VALU_DEP_1) | instskip(NEXT) | instid1(VALU_DEP_1)
	v_cvt_f16_f32_e32 v30, v10
	v_mov_b32_e32 v10, v30
	v_cvt_f32_f16_e32 v13, v30
.LBB420_134:
	s_or_b32 exec_lo, exec_lo, s1
	s_delay_alu instid0(VALU_DEP_1) | instskip(SKIP_1) | instid1(VALU_DEP_2)
	v_dual_max_f32 v26, v18, v18 :: v_dual_max_f32 v27, v13, v13
	v_cmp_u_f16_e64 s0, v30, v30
	v_min_f32_e32 v29, v27, v26
	v_max_f32_e32 v26, v27, v26
	s_delay_alu instid0(VALU_DEP_2) | instskip(NEXT) | instid1(VALU_DEP_2)
	v_cndmask_b32_e64 v27, v29, v13, s0
	v_cndmask_b32_e64 v26, v26, v13, s0
	s_delay_alu instid0(VALU_DEP_2) | instskip(NEXT) | instid1(VALU_DEP_2)
	v_cndmask_b32_e64 v27, v27, v18, s29
	v_cndmask_b32_e64 v26, v26, v18, s29
	v_mov_b32_e32 v18, v10
	s_delay_alu instid0(VALU_DEP_3) | instskip(NEXT) | instid1(VALU_DEP_3)
	v_cmp_class_f32_e64 s1, v27, 0x1f8
	v_cmp_neq_f32_e64 s0, v27, v26
	s_delay_alu instid0(VALU_DEP_1) | instskip(NEXT) | instid1(SALU_CYCLE_1)
	s_or_b32 s0, s0, s1
	s_and_saveexec_b32 s1, s0
	s_cbranch_execz .LBB420_136
; %bb.135:
	v_sub_f32_e32 v13, v27, v26
	s_delay_alu instid0(VALU_DEP_1) | instskip(NEXT) | instid1(VALU_DEP_1)
	v_mul_f32_e32 v18, 0x3fb8aa3b, v13
	v_fma_f32 v27, 0x3fb8aa3b, v13, -v18
	v_rndne_f32_e32 v29, v18
	s_delay_alu instid0(VALU_DEP_1) | instskip(SKIP_1) | instid1(VALU_DEP_2)
	v_dual_sub_f32 v18, v18, v29 :: v_dual_fmamk_f32 v27, v13, 0x32a5705f, v27
	v_cmp_ngt_f32_e64 s0, 0xc2ce8ed0, v13
	v_add_f32_e32 v18, v18, v27
	v_cvt_i32_f32_e32 v27, v29
	s_delay_alu instid0(VALU_DEP_2) | instskip(SKIP_2) | instid1(VALU_DEP_1)
	v_exp_f32_e32 v18, v18
	s_waitcnt_depctr 0xfff
	v_ldexp_f32 v18, v18, v27
	v_cndmask_b32_e64 v18, 0, v18, s0
	v_cmp_nlt_f32_e64 s0, 0x42b17218, v13
	s_delay_alu instid0(VALU_DEP_1) | instskip(NEXT) | instid1(VALU_DEP_1)
	v_cndmask_b32_e64 v13, 0x7f800000, v18, s0
	v_add_f32_e32 v18, 1.0, v13
	v_cmp_gt_f32_e64 s23, 0x33800000, |v13|
	s_delay_alu instid0(VALU_DEP_2) | instskip(NEXT) | instid1(VALU_DEP_1)
	v_cvt_f64_f32_e32 v[29:30], v18
	v_frexp_exp_i32_f64_e32 v27, v[29:30]
	v_frexp_mant_f32_e32 v29, v18
	s_delay_alu instid0(VALU_DEP_1) | instskip(SKIP_1) | instid1(VALU_DEP_1)
	v_cmp_gt_f32_e64 s0, 0x3f2aaaab, v29
	v_add_f32_e32 v29, -1.0, v18
	v_sub_f32_e32 v31, v29, v18
	v_sub_f32_e32 v29, v13, v29
	s_delay_alu instid0(VALU_DEP_2) | instskip(NEXT) | instid1(VALU_DEP_1)
	v_add_f32_e32 v31, 1.0, v31
	v_add_f32_e32 v29, v29, v31
	v_subrev_co_ci_u32_e64 v27, s0, 0, v27, s0
	s_mov_b32 s0, 0x3e9b6dac
	s_delay_alu instid0(VALU_DEP_1) | instskip(SKIP_1) | instid1(VALU_DEP_2)
	v_sub_nc_u32_e32 v30, 0, v27
	v_cvt_f32_i32_e32 v27, v27
	v_ldexp_f32 v18, v18, v30
	v_ldexp_f32 v29, v29, v30
	s_delay_alu instid0(VALU_DEP_2) | instskip(NEXT) | instid1(VALU_DEP_1)
	v_add_f32_e32 v32, 1.0, v18
	v_dual_add_f32 v30, -1.0, v18 :: v_dual_add_f32 v31, -1.0, v32
	s_delay_alu instid0(VALU_DEP_1) | instskip(NEXT) | instid1(VALU_DEP_2)
	v_add_f32_e32 v33, 1.0, v30
	v_sub_f32_e32 v31, v18, v31
	s_delay_alu instid0(VALU_DEP_2) | instskip(NEXT) | instid1(VALU_DEP_1)
	v_sub_f32_e32 v18, v18, v33
	v_add_f32_e32 v18, v29, v18
	s_delay_alu instid0(VALU_DEP_1) | instskip(NEXT) | instid1(VALU_DEP_1)
	v_dual_add_f32 v31, v29, v31 :: v_dual_add_f32 v34, v30, v18
	v_dual_add_f32 v33, v32, v31 :: v_dual_sub_f32 v30, v30, v34
	s_delay_alu instid0(VALU_DEP_1) | instskip(SKIP_1) | instid1(VALU_DEP_1)
	v_rcp_f32_e32 v29, v33
	v_sub_f32_e32 v32, v32, v33
	v_dual_add_f32 v18, v18, v30 :: v_dual_add_f32 v31, v31, v32
	s_waitcnt_depctr 0xfff
	v_mul_f32_e32 v35, v34, v29
	s_delay_alu instid0(VALU_DEP_1) | instskip(NEXT) | instid1(VALU_DEP_1)
	v_mul_f32_e32 v36, v33, v35
	v_fma_f32 v32, v35, v33, -v36
	s_delay_alu instid0(VALU_DEP_1) | instskip(NEXT) | instid1(VALU_DEP_1)
	v_fmac_f32_e32 v32, v35, v31
	v_add_f32_e32 v37, v36, v32
	s_delay_alu instid0(VALU_DEP_1) | instskip(SKIP_1) | instid1(VALU_DEP_2)
	v_sub_f32_e32 v38, v34, v37
	v_sub_f32_e32 v30, v37, v36
	;; [unrolled: 1-line block ×3, first 2 shown]
	s_delay_alu instid0(VALU_DEP_2) | instskip(NEXT) | instid1(VALU_DEP_2)
	v_sub_f32_e32 v30, v30, v32
	v_sub_f32_e32 v34, v34, v37
	s_delay_alu instid0(VALU_DEP_1) | instskip(NEXT) | instid1(VALU_DEP_1)
	v_add_f32_e32 v18, v18, v34
	v_add_f32_e32 v18, v30, v18
	s_delay_alu instid0(VALU_DEP_1) | instskip(NEXT) | instid1(VALU_DEP_1)
	v_add_f32_e32 v30, v38, v18
	v_mul_f32_e32 v32, v29, v30
	s_delay_alu instid0(VALU_DEP_1) | instskip(NEXT) | instid1(VALU_DEP_1)
	v_dual_sub_f32 v37, v38, v30 :: v_dual_mul_f32 v34, v33, v32
	v_add_f32_e32 v18, v18, v37
	s_delay_alu instid0(VALU_DEP_2) | instskip(NEXT) | instid1(VALU_DEP_1)
	v_fma_f32 v33, v32, v33, -v34
	v_fmac_f32_e32 v33, v32, v31
	s_delay_alu instid0(VALU_DEP_1) | instskip(NEXT) | instid1(VALU_DEP_1)
	v_add_f32_e32 v31, v34, v33
	v_sub_f32_e32 v36, v30, v31
	s_delay_alu instid0(VALU_DEP_1) | instskip(NEXT) | instid1(VALU_DEP_1)
	v_sub_f32_e32 v30, v30, v36
	v_sub_f32_e32 v30, v30, v31
	s_delay_alu instid0(VALU_DEP_1) | instskip(SKIP_2) | instid1(VALU_DEP_1)
	v_add_f32_e32 v18, v18, v30
	v_add_f32_e32 v30, v35, v32
	v_sub_f32_e32 v34, v31, v34
	v_sub_f32_e32 v31, v34, v33
	s_delay_alu instid0(VALU_DEP_1) | instskip(NEXT) | instid1(VALU_DEP_1)
	v_dual_add_f32 v18, v31, v18 :: v_dual_sub_f32 v31, v30, v35
	v_add_f32_e32 v18, v36, v18
	s_delay_alu instid0(VALU_DEP_1) | instskip(NEXT) | instid1(VALU_DEP_1)
	v_dual_sub_f32 v31, v32, v31 :: v_dual_mul_f32 v18, v29, v18
	v_add_f32_e32 v18, v31, v18
	s_delay_alu instid0(VALU_DEP_1) | instskip(NEXT) | instid1(VALU_DEP_1)
	v_add_f32_e32 v29, v30, v18
	v_mul_f32_e32 v31, v29, v29
	s_delay_alu instid0(VALU_DEP_1) | instskip(SKIP_2) | instid1(VALU_DEP_3)
	v_fmaak_f32 v32, s0, v31, 0x3ecc95a3
	v_mul_f32_e32 v33, v29, v31
	v_cmp_eq_f32_e64 s0, 0x7f800000, v13
	v_fmaak_f32 v31, v31, v32, 0x3f2aaada
	v_ldexp_f32 v32, v29, 1
	v_sub_f32_e32 v29, v29, v30
	s_delay_alu instid0(VALU_DEP_4) | instskip(NEXT) | instid1(VALU_DEP_3)
	s_or_b32 s0, s0, s23
	v_mul_f32_e32 v31, v33, v31
	s_delay_alu instid0(VALU_DEP_2) | instskip(NEXT) | instid1(VALU_DEP_2)
	v_dual_mul_f32 v33, 0x3f317218, v27 :: v_dual_sub_f32 v18, v18, v29
	v_add_f32_e32 v30, v32, v31
	s_delay_alu instid0(VALU_DEP_2) | instskip(NEXT) | instid1(VALU_DEP_2)
	v_ldexp_f32 v18, v18, 1
	v_sub_f32_e32 v29, v30, v32
	s_delay_alu instid0(VALU_DEP_4) | instskip(NEXT) | instid1(VALU_DEP_2)
	v_fma_f32 v32, 0x3f317218, v27, -v33
	v_sub_f32_e32 v29, v31, v29
	s_delay_alu instid0(VALU_DEP_1) | instskip(NEXT) | instid1(VALU_DEP_1)
	v_dual_fmamk_f32 v27, v27, 0xb102e308, v32 :: v_dual_add_f32 v18, v18, v29
	v_add_f32_e32 v29, v33, v27
	s_delay_alu instid0(VALU_DEP_2) | instskip(NEXT) | instid1(VALU_DEP_2)
	v_add_f32_e32 v31, v30, v18
	v_sub_f32_e32 v33, v29, v33
	s_delay_alu instid0(VALU_DEP_1) | instskip(NEXT) | instid1(VALU_DEP_1)
	v_dual_add_f32 v32, v29, v31 :: v_dual_sub_f32 v27, v27, v33
	v_sub_f32_e32 v34, v32, v29
	v_sub_f32_e32 v30, v31, v30
	s_delay_alu instid0(VALU_DEP_2) | instskip(NEXT) | instid1(VALU_DEP_2)
	v_sub_f32_e32 v35, v32, v34
	v_sub_f32_e32 v18, v18, v30
	s_delay_alu instid0(VALU_DEP_2) | instskip(NEXT) | instid1(VALU_DEP_2)
	v_dual_sub_f32 v30, v31, v34 :: v_dual_sub_f32 v29, v29, v35
	v_add_f32_e32 v31, v27, v18
	s_delay_alu instid0(VALU_DEP_1) | instskip(NEXT) | instid1(VALU_DEP_1)
	v_dual_add_f32 v29, v30, v29 :: v_dual_sub_f32 v30, v31, v27
	v_add_f32_e32 v29, v31, v29
	s_delay_alu instid0(VALU_DEP_2) | instskip(NEXT) | instid1(VALU_DEP_2)
	v_sub_f32_e32 v31, v31, v30
	v_dual_sub_f32 v18, v18, v30 :: v_dual_add_f32 v33, v32, v29
	s_delay_alu instid0(VALU_DEP_1) | instskip(NEXT) | instid1(VALU_DEP_1)
	v_dual_sub_f32 v27, v27, v31 :: v_dual_sub_f32 v30, v33, v32
	v_dual_add_f32 v18, v18, v27 :: v_dual_sub_f32 v27, v29, v30
	s_delay_alu instid0(VALU_DEP_1) | instskip(NEXT) | instid1(VALU_DEP_1)
	v_add_f32_e32 v18, v18, v27
	v_add_f32_e32 v18, v33, v18
	s_delay_alu instid0(VALU_DEP_1) | instskip(NEXT) | instid1(VALU_DEP_1)
	v_cndmask_b32_e64 v13, v18, v13, s0
	v_add_f32_e32 v13, v26, v13
	s_delay_alu instid0(VALU_DEP_1) | instskip(NEXT) | instid1(VALU_DEP_1)
	v_cvt_f16_f32_e32 v30, v13
	v_cvt_f32_f16_e32 v13, v30
	v_mov_b32_e32 v18, v30
.LBB420_136:
	s_or_b32 exec_lo, exec_lo, s1
	s_delay_alu instid0(VALU_DEP_2) | instskip(SKIP_1) | instid1(VALU_DEP_2)
	v_dual_max_f32 v26, v11, v11 :: v_dual_max_f32 v27, v13, v13
	v_cmp_u_f16_e64 s0, v30, v30
	v_min_f32_e32 v29, v27, v26
	v_max_f32_e32 v26, v27, v26
	s_delay_alu instid0(VALU_DEP_2) | instskip(NEXT) | instid1(VALU_DEP_2)
	v_cndmask_b32_e64 v27, v29, v13, s0
	v_cndmask_b32_e64 v26, v26, v13, s0
	s_delay_alu instid0(VALU_DEP_2) | instskip(NEXT) | instid1(VALU_DEP_2)
	v_cndmask_b32_e64 v27, v27, v11, s30
	v_cndmask_b32_e64 v26, v26, v11, s30
	v_mov_b32_e32 v11, v18
	s_delay_alu instid0(VALU_DEP_3) | instskip(NEXT) | instid1(VALU_DEP_3)
	v_cmp_class_f32_e64 s1, v27, 0x1f8
	v_cmp_neq_f32_e64 s0, v27, v26
	s_delay_alu instid0(VALU_DEP_1) | instskip(NEXT) | instid1(SALU_CYCLE_1)
	s_or_b32 s0, s0, s1
	s_and_saveexec_b32 s1, s0
	s_cbranch_execz .LBB420_138
; %bb.137:
	v_sub_f32_e32 v11, v27, v26
	s_delay_alu instid0(VALU_DEP_1) | instskip(SKIP_1) | instid1(VALU_DEP_2)
	v_mul_f32_e32 v13, 0x3fb8aa3b, v11
	v_cmp_ngt_f32_e64 s0, 0xc2ce8ed0, v11
	v_fma_f32 v27, 0x3fb8aa3b, v11, -v13
	v_rndne_f32_e32 v29, v13
	s_delay_alu instid0(VALU_DEP_2) | instskip(NEXT) | instid1(VALU_DEP_2)
	v_fmamk_f32 v27, v11, 0x32a5705f, v27
	v_sub_f32_e32 v13, v13, v29
	s_delay_alu instid0(VALU_DEP_1) | instskip(SKIP_1) | instid1(VALU_DEP_2)
	v_add_f32_e32 v13, v13, v27
	v_cvt_i32_f32_e32 v27, v29
	v_exp_f32_e32 v13, v13
	s_waitcnt_depctr 0xfff
	v_ldexp_f32 v13, v13, v27
	s_delay_alu instid0(VALU_DEP_1) | instskip(SKIP_1) | instid1(VALU_DEP_1)
	v_cndmask_b32_e64 v13, 0, v13, s0
	v_cmp_nlt_f32_e64 s0, 0x42b17218, v11
	v_cndmask_b32_e64 v11, 0x7f800000, v13, s0
	s_delay_alu instid0(VALU_DEP_1) | instskip(SKIP_1) | instid1(VALU_DEP_2)
	v_add_f32_e32 v13, 1.0, v11
	v_cmp_gt_f32_e64 s23, 0x33800000, |v11|
	v_cvt_f64_f32_e32 v[29:30], v13
	s_delay_alu instid0(VALU_DEP_1) | instskip(SKIP_1) | instid1(VALU_DEP_1)
	v_frexp_exp_i32_f64_e32 v27, v[29:30]
	v_frexp_mant_f32_e32 v29, v13
	v_cmp_gt_f32_e64 s0, 0x3f2aaaab, v29
	v_add_f32_e32 v29, -1.0, v13
	s_delay_alu instid0(VALU_DEP_1) | instskip(SKIP_1) | instid1(VALU_DEP_2)
	v_sub_f32_e32 v31, v29, v13
	v_sub_f32_e32 v29, v11, v29
	v_add_f32_e32 v31, 1.0, v31
	s_delay_alu instid0(VALU_DEP_1) | instskip(SKIP_2) | instid1(VALU_DEP_1)
	v_add_f32_e32 v29, v29, v31
	v_subrev_co_ci_u32_e64 v27, s0, 0, v27, s0
	s_mov_b32 s0, 0x3e9b6dac
	v_sub_nc_u32_e32 v30, 0, v27
	v_cvt_f32_i32_e32 v27, v27
	s_delay_alu instid0(VALU_DEP_2) | instskip(SKIP_1) | instid1(VALU_DEP_2)
	v_ldexp_f32 v13, v13, v30
	v_ldexp_f32 v29, v29, v30
	v_add_f32_e32 v32, 1.0, v13
	s_delay_alu instid0(VALU_DEP_1) | instskip(NEXT) | instid1(VALU_DEP_1)
	v_dual_add_f32 v30, -1.0, v13 :: v_dual_add_f32 v31, -1.0, v32
	v_add_f32_e32 v33, 1.0, v30
	s_delay_alu instid0(VALU_DEP_2) | instskip(NEXT) | instid1(VALU_DEP_2)
	v_sub_f32_e32 v31, v13, v31
	v_sub_f32_e32 v13, v13, v33
	s_delay_alu instid0(VALU_DEP_2) | instskip(NEXT) | instid1(VALU_DEP_2)
	v_add_f32_e32 v31, v29, v31
	v_add_f32_e32 v13, v29, v13
	s_delay_alu instid0(VALU_DEP_1) | instskip(NEXT) | instid1(VALU_DEP_1)
	v_dual_add_f32 v33, v32, v31 :: v_dual_add_f32 v34, v30, v13
	v_rcp_f32_e32 v29, v33
	v_sub_f32_e32 v32, v32, v33
	s_delay_alu instid0(VALU_DEP_1) | instskip(SKIP_3) | instid1(VALU_DEP_2)
	v_dual_sub_f32 v30, v30, v34 :: v_dual_add_f32 v31, v31, v32
	s_waitcnt_depctr 0xfff
	v_mul_f32_e32 v35, v34, v29
	v_add_f32_e32 v13, v13, v30
	v_mul_f32_e32 v36, v33, v35
	s_delay_alu instid0(VALU_DEP_1) | instskip(NEXT) | instid1(VALU_DEP_1)
	v_fma_f32 v32, v35, v33, -v36
	v_fmac_f32_e32 v32, v35, v31
	s_delay_alu instid0(VALU_DEP_1) | instskip(NEXT) | instid1(VALU_DEP_1)
	v_add_f32_e32 v37, v36, v32
	v_sub_f32_e32 v38, v34, v37
	v_sub_f32_e32 v30, v37, v36
	s_delay_alu instid0(VALU_DEP_2) | instskip(NEXT) | instid1(VALU_DEP_2)
	v_sub_f32_e32 v34, v34, v38
	v_sub_f32_e32 v30, v30, v32
	s_delay_alu instid0(VALU_DEP_2) | instskip(NEXT) | instid1(VALU_DEP_1)
	v_sub_f32_e32 v34, v34, v37
	v_add_f32_e32 v13, v13, v34
	s_delay_alu instid0(VALU_DEP_1) | instskip(NEXT) | instid1(VALU_DEP_1)
	v_add_f32_e32 v13, v30, v13
	v_add_f32_e32 v30, v38, v13
	s_delay_alu instid0(VALU_DEP_1) | instskip(NEXT) | instid1(VALU_DEP_1)
	v_mul_f32_e32 v32, v29, v30
	v_dual_sub_f32 v37, v38, v30 :: v_dual_mul_f32 v34, v33, v32
	s_delay_alu instid0(VALU_DEP_1) | instskip(NEXT) | instid1(VALU_DEP_2)
	v_add_f32_e32 v13, v13, v37
	v_fma_f32 v33, v32, v33, -v34
	s_delay_alu instid0(VALU_DEP_1) | instskip(NEXT) | instid1(VALU_DEP_1)
	v_fmac_f32_e32 v33, v32, v31
	v_add_f32_e32 v31, v34, v33
	s_delay_alu instid0(VALU_DEP_1) | instskip(SKIP_1) | instid1(VALU_DEP_2)
	v_sub_f32_e32 v36, v30, v31
	v_sub_f32_e32 v34, v31, v34
	;; [unrolled: 1-line block ×3, first 2 shown]
	s_delay_alu instid0(VALU_DEP_1) | instskip(NEXT) | instid1(VALU_DEP_3)
	v_sub_f32_e32 v30, v30, v31
	v_sub_f32_e32 v31, v34, v33
	s_delay_alu instid0(VALU_DEP_2) | instskip(NEXT) | instid1(VALU_DEP_1)
	v_dual_add_f32 v13, v13, v30 :: v_dual_add_f32 v30, v35, v32
	v_add_f32_e32 v13, v31, v13
	s_delay_alu instid0(VALU_DEP_2) | instskip(NEXT) | instid1(VALU_DEP_2)
	v_sub_f32_e32 v31, v30, v35
	v_add_f32_e32 v13, v36, v13
	s_delay_alu instid0(VALU_DEP_2) | instskip(NEXT) | instid1(VALU_DEP_2)
	v_sub_f32_e32 v31, v32, v31
	v_mul_f32_e32 v13, v29, v13
	s_delay_alu instid0(VALU_DEP_1) | instskip(NEXT) | instid1(VALU_DEP_1)
	v_add_f32_e32 v13, v31, v13
	v_add_f32_e32 v29, v30, v13
	s_delay_alu instid0(VALU_DEP_1) | instskip(NEXT) | instid1(VALU_DEP_1)
	v_mul_f32_e32 v31, v29, v29
	v_fmaak_f32 v32, s0, v31, 0x3ecc95a3
	v_mul_f32_e32 v33, v29, v31
	v_cmp_eq_f32_e64 s0, 0x7f800000, v11
	s_delay_alu instid0(VALU_DEP_3) | instskip(SKIP_2) | instid1(VALU_DEP_4)
	v_fmaak_f32 v31, v31, v32, 0x3f2aaada
	v_ldexp_f32 v32, v29, 1
	v_sub_f32_e32 v29, v29, v30
	s_or_b32 s0, s0, s23
	s_delay_alu instid0(VALU_DEP_3) | instskip(SKIP_1) | instid1(VALU_DEP_2)
	v_mul_f32_e32 v31, v33, v31
	v_mul_f32_e32 v33, 0x3f317218, v27
	v_dual_sub_f32 v13, v13, v29 :: v_dual_add_f32 v30, v32, v31
	s_delay_alu instid0(VALU_DEP_1) | instskip(NEXT) | instid1(VALU_DEP_2)
	v_ldexp_f32 v13, v13, 1
	v_sub_f32_e32 v29, v30, v32
	s_delay_alu instid0(VALU_DEP_4) | instskip(NEXT) | instid1(VALU_DEP_2)
	v_fma_f32 v32, 0x3f317218, v27, -v33
	v_sub_f32_e32 v29, v31, v29
	s_delay_alu instid0(VALU_DEP_2) | instskip(NEXT) | instid1(VALU_DEP_2)
	v_fmamk_f32 v27, v27, 0xb102e308, v32
	v_add_f32_e32 v13, v13, v29
	s_delay_alu instid0(VALU_DEP_2) | instskip(NEXT) | instid1(VALU_DEP_2)
	v_add_f32_e32 v29, v33, v27
	v_add_f32_e32 v31, v30, v13
	s_delay_alu instid0(VALU_DEP_2) | instskip(NEXT) | instid1(VALU_DEP_2)
	v_sub_f32_e32 v33, v29, v33
	v_add_f32_e32 v32, v29, v31
	v_sub_f32_e32 v30, v31, v30
	s_delay_alu instid0(VALU_DEP_3) | instskip(NEXT) | instid1(VALU_DEP_2)
	v_sub_f32_e32 v27, v27, v33
	v_dual_sub_f32 v34, v32, v29 :: v_dual_sub_f32 v13, v13, v30
	s_delay_alu instid0(VALU_DEP_1) | instskip(SKIP_1) | instid1(VALU_DEP_3)
	v_sub_f32_e32 v35, v32, v34
	v_sub_f32_e32 v30, v31, v34
	v_add_f32_e32 v31, v27, v13
	s_delay_alu instid0(VALU_DEP_3) | instskip(NEXT) | instid1(VALU_DEP_1)
	v_sub_f32_e32 v29, v29, v35
	v_dual_add_f32 v29, v30, v29 :: v_dual_sub_f32 v30, v31, v27
	s_delay_alu instid0(VALU_DEP_1) | instskip(NEXT) | instid1(VALU_DEP_2)
	v_add_f32_e32 v29, v31, v29
	v_sub_f32_e32 v31, v31, v30
	v_sub_f32_e32 v13, v13, v30
	s_delay_alu instid0(VALU_DEP_3) | instskip(NEXT) | instid1(VALU_DEP_1)
	v_add_f32_e32 v33, v32, v29
	v_dual_sub_f32 v27, v27, v31 :: v_dual_sub_f32 v30, v33, v32
	s_delay_alu instid0(VALU_DEP_1) | instskip(NEXT) | instid1(VALU_DEP_2)
	v_add_f32_e32 v13, v13, v27
	v_sub_f32_e32 v27, v29, v30
	s_delay_alu instid0(VALU_DEP_1) | instskip(NEXT) | instid1(VALU_DEP_1)
	v_add_f32_e32 v13, v13, v27
	v_add_f32_e32 v13, v33, v13
	s_delay_alu instid0(VALU_DEP_1) | instskip(NEXT) | instid1(VALU_DEP_1)
	v_cndmask_b32_e64 v11, v13, v11, s0
	v_add_f32_e32 v11, v26, v11
	s_delay_alu instid0(VALU_DEP_1) | instskip(NEXT) | instid1(VALU_DEP_1)
	v_cvt_f16_f32_e32 v30, v11
	v_cvt_f32_f16_e32 v13, v30
	v_mov_b32_e32 v11, v30
.LBB420_138:
	s_or_b32 exec_lo, exec_lo, s1
	s_delay_alu instid0(VALU_DEP_2) | instskip(SKIP_1) | instid1(VALU_DEP_2)
	v_dual_max_f32 v26, v19, v19 :: v_dual_max_f32 v27, v13, v13
	v_cmp_u_f16_e64 s0, v30, v30
	v_min_f32_e32 v29, v27, v26
	v_max_f32_e32 v26, v27, v26
	s_delay_alu instid0(VALU_DEP_2) | instskip(NEXT) | instid1(VALU_DEP_2)
	v_cndmask_b32_e64 v27, v29, v13, s0
	v_cndmask_b32_e64 v26, v26, v13, s0
	s_delay_alu instid0(VALU_DEP_2) | instskip(NEXT) | instid1(VALU_DEP_2)
	v_cndmask_b32_e64 v27, v27, v19, s31
	v_cndmask_b32_e64 v26, v26, v19, s31
	v_mov_b32_e32 v19, v11
	s_delay_alu instid0(VALU_DEP_3) | instskip(NEXT) | instid1(VALU_DEP_3)
	v_cmp_class_f32_e64 s1, v27, 0x1f8
	v_cmp_neq_f32_e64 s0, v27, v26
	s_delay_alu instid0(VALU_DEP_1) | instskip(NEXT) | instid1(SALU_CYCLE_1)
	s_or_b32 s0, s0, s1
	s_and_saveexec_b32 s1, s0
	s_cbranch_execz .LBB420_140
; %bb.139:
	v_sub_f32_e32 v13, v27, v26
	s_delay_alu instid0(VALU_DEP_1) | instskip(SKIP_1) | instid1(VALU_DEP_2)
	v_mul_f32_e32 v19, 0x3fb8aa3b, v13
	v_cmp_ngt_f32_e64 s0, 0xc2ce8ed0, v13
	v_fma_f32 v27, 0x3fb8aa3b, v13, -v19
	v_rndne_f32_e32 v29, v19
	s_delay_alu instid0(VALU_DEP_2) | instskip(NEXT) | instid1(VALU_DEP_2)
	v_fmamk_f32 v27, v13, 0x32a5705f, v27
	v_sub_f32_e32 v19, v19, v29
	s_delay_alu instid0(VALU_DEP_1) | instskip(SKIP_1) | instid1(VALU_DEP_2)
	v_add_f32_e32 v19, v19, v27
	v_cvt_i32_f32_e32 v27, v29
	v_exp_f32_e32 v19, v19
	s_waitcnt_depctr 0xfff
	v_ldexp_f32 v19, v19, v27
	s_delay_alu instid0(VALU_DEP_1) | instskip(SKIP_1) | instid1(VALU_DEP_1)
	v_cndmask_b32_e64 v19, 0, v19, s0
	v_cmp_nlt_f32_e64 s0, 0x42b17218, v13
	v_cndmask_b32_e64 v13, 0x7f800000, v19, s0
	s_delay_alu instid0(VALU_DEP_1) | instskip(SKIP_1) | instid1(VALU_DEP_2)
	v_add_f32_e32 v19, 1.0, v13
	v_cmp_gt_f32_e64 s23, 0x33800000, |v13|
	v_cvt_f64_f32_e32 v[29:30], v19
	s_delay_alu instid0(VALU_DEP_1) | instskip(SKIP_1) | instid1(VALU_DEP_1)
	v_frexp_exp_i32_f64_e32 v27, v[29:30]
	v_frexp_mant_f32_e32 v29, v19
	v_cmp_gt_f32_e64 s0, 0x3f2aaaab, v29
	v_add_f32_e32 v29, -1.0, v19
	s_delay_alu instid0(VALU_DEP_1) | instskip(SKIP_1) | instid1(VALU_DEP_2)
	v_sub_f32_e32 v31, v29, v19
	v_sub_f32_e32 v29, v13, v29
	v_add_f32_e32 v31, 1.0, v31
	s_delay_alu instid0(VALU_DEP_1) | instskip(SKIP_2) | instid1(VALU_DEP_1)
	v_add_f32_e32 v29, v29, v31
	v_subrev_co_ci_u32_e64 v27, s0, 0, v27, s0
	s_mov_b32 s0, 0x3e9b6dac
	v_sub_nc_u32_e32 v30, 0, v27
	v_cvt_f32_i32_e32 v27, v27
	s_delay_alu instid0(VALU_DEP_2) | instskip(SKIP_1) | instid1(VALU_DEP_2)
	v_ldexp_f32 v19, v19, v30
	v_ldexp_f32 v29, v29, v30
	v_add_f32_e32 v32, 1.0, v19
	s_delay_alu instid0(VALU_DEP_1) | instskip(NEXT) | instid1(VALU_DEP_1)
	v_dual_add_f32 v30, -1.0, v19 :: v_dual_add_f32 v31, -1.0, v32
	v_add_f32_e32 v33, 1.0, v30
	s_delay_alu instid0(VALU_DEP_2) | instskip(NEXT) | instid1(VALU_DEP_2)
	v_sub_f32_e32 v31, v19, v31
	v_sub_f32_e32 v19, v19, v33
	s_delay_alu instid0(VALU_DEP_2) | instskip(NEXT) | instid1(VALU_DEP_2)
	v_add_f32_e32 v31, v29, v31
	v_add_f32_e32 v19, v29, v19
	s_delay_alu instid0(VALU_DEP_2) | instskip(NEXT) | instid1(VALU_DEP_2)
	v_add_f32_e32 v33, v32, v31
	v_add_f32_e32 v34, v30, v19
	s_delay_alu instid0(VALU_DEP_2) | instskip(SKIP_1) | instid1(VALU_DEP_1)
	v_rcp_f32_e32 v29, v33
	v_sub_f32_e32 v32, v32, v33
	v_dual_sub_f32 v30, v30, v34 :: v_dual_add_f32 v31, v31, v32
	s_delay_alu instid0(VALU_DEP_1) | instskip(SKIP_2) | instid1(VALU_DEP_1)
	v_add_f32_e32 v19, v19, v30
	s_waitcnt_depctr 0xfff
	v_mul_f32_e32 v35, v34, v29
	v_mul_f32_e32 v36, v33, v35
	s_delay_alu instid0(VALU_DEP_1) | instskip(NEXT) | instid1(VALU_DEP_1)
	v_fma_f32 v32, v35, v33, -v36
	v_fmac_f32_e32 v32, v35, v31
	s_delay_alu instid0(VALU_DEP_1) | instskip(NEXT) | instid1(VALU_DEP_1)
	v_add_f32_e32 v37, v36, v32
	v_sub_f32_e32 v38, v34, v37
	v_sub_f32_e32 v30, v37, v36
	s_delay_alu instid0(VALU_DEP_2) | instskip(NEXT) | instid1(VALU_DEP_2)
	v_sub_f32_e32 v34, v34, v38
	v_sub_f32_e32 v30, v30, v32
	s_delay_alu instid0(VALU_DEP_2) | instskip(NEXT) | instid1(VALU_DEP_1)
	v_sub_f32_e32 v34, v34, v37
	v_add_f32_e32 v19, v19, v34
	s_delay_alu instid0(VALU_DEP_1) | instskip(NEXT) | instid1(VALU_DEP_1)
	v_add_f32_e32 v19, v30, v19
	v_add_f32_e32 v30, v38, v19
	s_delay_alu instid0(VALU_DEP_1) | instskip(NEXT) | instid1(VALU_DEP_1)
	v_mul_f32_e32 v32, v29, v30
	v_dual_sub_f32 v37, v38, v30 :: v_dual_mul_f32 v34, v33, v32
	s_delay_alu instid0(VALU_DEP_1) | instskip(NEXT) | instid1(VALU_DEP_2)
	v_add_f32_e32 v19, v19, v37
	v_fma_f32 v33, v32, v33, -v34
	s_delay_alu instid0(VALU_DEP_1) | instskip(NEXT) | instid1(VALU_DEP_1)
	v_fmac_f32_e32 v33, v32, v31
	v_add_f32_e32 v31, v34, v33
	s_delay_alu instid0(VALU_DEP_1) | instskip(SKIP_1) | instid1(VALU_DEP_2)
	v_sub_f32_e32 v36, v30, v31
	v_sub_f32_e32 v34, v31, v34
	;; [unrolled: 1-line block ×3, first 2 shown]
	s_delay_alu instid0(VALU_DEP_1) | instskip(NEXT) | instid1(VALU_DEP_3)
	v_sub_f32_e32 v30, v30, v31
	v_sub_f32_e32 v31, v34, v33
	s_delay_alu instid0(VALU_DEP_2) | instskip(SKIP_1) | instid1(VALU_DEP_2)
	v_add_f32_e32 v19, v19, v30
	v_add_f32_e32 v30, v35, v32
	;; [unrolled: 1-line block ×3, first 2 shown]
	s_delay_alu instid0(VALU_DEP_2) | instskip(NEXT) | instid1(VALU_DEP_2)
	v_sub_f32_e32 v31, v30, v35
	v_add_f32_e32 v19, v36, v19
	s_delay_alu instid0(VALU_DEP_2) | instskip(NEXT) | instid1(VALU_DEP_2)
	v_sub_f32_e32 v31, v32, v31
	v_mul_f32_e32 v19, v29, v19
	s_delay_alu instid0(VALU_DEP_1) | instskip(NEXT) | instid1(VALU_DEP_1)
	v_add_f32_e32 v19, v31, v19
	v_add_f32_e32 v29, v30, v19
	s_delay_alu instid0(VALU_DEP_1) | instskip(NEXT) | instid1(VALU_DEP_1)
	v_mul_f32_e32 v31, v29, v29
	v_fmaak_f32 v32, s0, v31, 0x3ecc95a3
	v_mul_f32_e32 v33, v29, v31
	v_cmp_eq_f32_e64 s0, 0x7f800000, v13
	s_delay_alu instid0(VALU_DEP_3) | instskip(SKIP_2) | instid1(VALU_DEP_4)
	v_fmaak_f32 v31, v31, v32, 0x3f2aaada
	v_ldexp_f32 v32, v29, 1
	v_sub_f32_e32 v29, v29, v30
	s_or_b32 s0, s0, s23
	s_delay_alu instid0(VALU_DEP_3) | instskip(SKIP_1) | instid1(VALU_DEP_2)
	v_mul_f32_e32 v31, v33, v31
	v_mul_f32_e32 v33, 0x3f317218, v27
	v_dual_sub_f32 v19, v19, v29 :: v_dual_add_f32 v30, v32, v31
	s_delay_alu instid0(VALU_DEP_1) | instskip(NEXT) | instid1(VALU_DEP_2)
	v_ldexp_f32 v19, v19, 1
	v_sub_f32_e32 v29, v30, v32
	s_delay_alu instid0(VALU_DEP_4) | instskip(NEXT) | instid1(VALU_DEP_2)
	v_fma_f32 v32, 0x3f317218, v27, -v33
	v_sub_f32_e32 v29, v31, v29
	s_delay_alu instid0(VALU_DEP_2) | instskip(NEXT) | instid1(VALU_DEP_2)
	v_fmamk_f32 v27, v27, 0xb102e308, v32
	v_add_f32_e32 v19, v19, v29
	s_delay_alu instid0(VALU_DEP_2) | instskip(NEXT) | instid1(VALU_DEP_2)
	v_add_f32_e32 v29, v33, v27
	v_add_f32_e32 v31, v30, v19
	s_delay_alu instid0(VALU_DEP_2) | instskip(NEXT) | instid1(VALU_DEP_2)
	v_sub_f32_e32 v33, v29, v33
	v_add_f32_e32 v32, v29, v31
	v_sub_f32_e32 v30, v31, v30
	s_delay_alu instid0(VALU_DEP_3) | instskip(NEXT) | instid1(VALU_DEP_2)
	v_sub_f32_e32 v27, v27, v33
	v_dual_sub_f32 v34, v32, v29 :: v_dual_sub_f32 v19, v19, v30
	s_delay_alu instid0(VALU_DEP_1) | instskip(SKIP_1) | instid1(VALU_DEP_3)
	v_sub_f32_e32 v35, v32, v34
	v_sub_f32_e32 v30, v31, v34
	v_add_f32_e32 v31, v27, v19
	s_delay_alu instid0(VALU_DEP_3) | instskip(NEXT) | instid1(VALU_DEP_1)
	v_sub_f32_e32 v29, v29, v35
	v_dual_add_f32 v29, v30, v29 :: v_dual_sub_f32 v30, v31, v27
	s_delay_alu instid0(VALU_DEP_1) | instskip(NEXT) | instid1(VALU_DEP_2)
	v_add_f32_e32 v29, v31, v29
	v_sub_f32_e32 v31, v31, v30
	v_sub_f32_e32 v19, v19, v30
	s_delay_alu instid0(VALU_DEP_3) | instskip(NEXT) | instid1(VALU_DEP_1)
	v_add_f32_e32 v33, v32, v29
	v_dual_sub_f32 v27, v27, v31 :: v_dual_sub_f32 v30, v33, v32
	s_delay_alu instid0(VALU_DEP_1) | instskip(NEXT) | instid1(VALU_DEP_2)
	v_add_f32_e32 v19, v19, v27
	v_sub_f32_e32 v27, v29, v30
	s_delay_alu instid0(VALU_DEP_1) | instskip(NEXT) | instid1(VALU_DEP_1)
	v_add_f32_e32 v19, v19, v27
	v_add_f32_e32 v19, v33, v19
	s_delay_alu instid0(VALU_DEP_1) | instskip(NEXT) | instid1(VALU_DEP_1)
	v_cndmask_b32_e64 v13, v19, v13, s0
	v_add_f32_e32 v13, v26, v13
	s_delay_alu instid0(VALU_DEP_1) | instskip(NEXT) | instid1(VALU_DEP_1)
	v_cvt_f16_f32_e32 v30, v13
	v_cvt_f32_f16_e32 v13, v30
	v_mov_b32_e32 v19, v30
.LBB420_140:
	s_or_b32 exec_lo, exec_lo, s1
	s_delay_alu instid0(VALU_DEP_2) | instskip(SKIP_1) | instid1(VALU_DEP_2)
	v_dual_max_f32 v26, v8, v8 :: v_dual_max_f32 v27, v13, v13
	v_cmp_u_f16_e64 s0, v30, v30
	v_min_f32_e32 v29, v27, v26
	v_max_f32_e32 v26, v27, v26
	s_delay_alu instid0(VALU_DEP_2) | instskip(NEXT) | instid1(VALU_DEP_2)
	v_cndmask_b32_e64 v27, v29, v13, s0
	v_cndmask_b32_e64 v26, v26, v13, s0
	s_delay_alu instid0(VALU_DEP_2) | instskip(NEXT) | instid1(VALU_DEP_2)
	v_cndmask_b32_e64 v27, v27, v8, s33
	v_cndmask_b32_e64 v26, v26, v8, s33
	v_mov_b32_e32 v8, v19
	s_delay_alu instid0(VALU_DEP_3) | instskip(NEXT) | instid1(VALU_DEP_3)
	v_cmp_class_f32_e64 s1, v27, 0x1f8
	v_cmp_neq_f32_e64 s0, v27, v26
	s_delay_alu instid0(VALU_DEP_1) | instskip(NEXT) | instid1(SALU_CYCLE_1)
	s_or_b32 s0, s0, s1
	s_and_saveexec_b32 s1, s0
	s_cbranch_execz .LBB420_142
; %bb.141:
	v_sub_f32_e32 v8, v27, v26
	s_delay_alu instid0(VALU_DEP_1) | instskip(NEXT) | instid1(VALU_DEP_1)
	v_mul_f32_e32 v13, 0x3fb8aa3b, v8
	v_fma_f32 v27, 0x3fb8aa3b, v8, -v13
	v_rndne_f32_e32 v29, v13
	s_delay_alu instid0(VALU_DEP_1) | instskip(NEXT) | instid1(VALU_DEP_3)
	v_sub_f32_e32 v13, v13, v29
	v_fmamk_f32 v27, v8, 0x32a5705f, v27
	v_cmp_ngt_f32_e64 s0, 0xc2ce8ed0, v8
	s_delay_alu instid0(VALU_DEP_2) | instskip(SKIP_1) | instid1(VALU_DEP_2)
	v_add_f32_e32 v13, v13, v27
	v_cvt_i32_f32_e32 v27, v29
	v_exp_f32_e32 v13, v13
	s_waitcnt_depctr 0xfff
	v_ldexp_f32 v13, v13, v27
	s_delay_alu instid0(VALU_DEP_1) | instskip(SKIP_1) | instid1(VALU_DEP_1)
	v_cndmask_b32_e64 v13, 0, v13, s0
	v_cmp_nlt_f32_e64 s0, 0x42b17218, v8
	v_cndmask_b32_e64 v8, 0x7f800000, v13, s0
	s_delay_alu instid0(VALU_DEP_1) | instskip(SKIP_1) | instid1(VALU_DEP_2)
	v_add_f32_e32 v13, 1.0, v8
	v_cmp_gt_f32_e64 s23, 0x33800000, |v8|
	v_cvt_f64_f32_e32 v[29:30], v13
	s_delay_alu instid0(VALU_DEP_1) | instskip(SKIP_1) | instid1(VALU_DEP_1)
	v_frexp_exp_i32_f64_e32 v27, v[29:30]
	v_frexp_mant_f32_e32 v29, v13
	v_cmp_gt_f32_e64 s0, 0x3f2aaaab, v29
	v_add_f32_e32 v29, -1.0, v13
	s_delay_alu instid0(VALU_DEP_1) | instskip(SKIP_1) | instid1(VALU_DEP_4)
	v_sub_f32_e32 v31, v29, v13
	v_sub_f32_e32 v29, v8, v29
	v_subrev_co_ci_u32_e64 v27, s0, 0, v27, s0
	s_mov_b32 s0, 0x3e9b6dac
	s_delay_alu instid0(VALU_DEP_1) | instskip(SKIP_1) | instid1(VALU_DEP_2)
	v_sub_nc_u32_e32 v30, 0, v27
	v_cvt_f32_i32_e32 v27, v27
	v_ldexp_f32 v13, v13, v30
	s_delay_alu instid0(VALU_DEP_1) | instskip(NEXT) | instid1(VALU_DEP_1)
	v_dual_add_f32 v31, 1.0, v31 :: v_dual_add_f32 v32, 1.0, v13
	v_add_f32_e32 v29, v29, v31
	s_delay_alu instid0(VALU_DEP_2) | instskip(NEXT) | instid1(VALU_DEP_2)
	v_add_f32_e32 v31, -1.0, v32
	v_ldexp_f32 v29, v29, v30
	s_delay_alu instid0(VALU_DEP_2) | instskip(NEXT) | instid1(VALU_DEP_1)
	v_dual_add_f32 v30, -1.0, v13 :: v_dual_sub_f32 v31, v13, v31
	v_add_f32_e32 v33, 1.0, v30
	s_delay_alu instid0(VALU_DEP_2) | instskip(NEXT) | instid1(VALU_DEP_2)
	v_add_f32_e32 v31, v29, v31
	v_sub_f32_e32 v13, v13, v33
	s_delay_alu instid0(VALU_DEP_2) | instskip(NEXT) | instid1(VALU_DEP_2)
	v_add_f32_e32 v33, v32, v31
	v_add_f32_e32 v13, v29, v13
	s_delay_alu instid0(VALU_DEP_2) | instskip(SKIP_1) | instid1(VALU_DEP_1)
	v_rcp_f32_e32 v29, v33
	v_sub_f32_e32 v32, v32, v33
	v_dual_add_f32 v34, v30, v13 :: v_dual_add_f32 v31, v31, v32
	s_delay_alu instid0(VALU_DEP_1) | instskip(SKIP_3) | instid1(VALU_DEP_2)
	v_sub_f32_e32 v30, v30, v34
	s_waitcnt_depctr 0xfff
	v_mul_f32_e32 v35, v34, v29
	v_add_f32_e32 v13, v13, v30
	v_mul_f32_e32 v36, v33, v35
	s_delay_alu instid0(VALU_DEP_1) | instskip(NEXT) | instid1(VALU_DEP_1)
	v_fma_f32 v32, v35, v33, -v36
	v_fmac_f32_e32 v32, v35, v31
	s_delay_alu instid0(VALU_DEP_1) | instskip(NEXT) | instid1(VALU_DEP_1)
	v_add_f32_e32 v37, v36, v32
	v_sub_f32_e32 v38, v34, v37
	v_sub_f32_e32 v30, v37, v36
	s_delay_alu instid0(VALU_DEP_2) | instskip(NEXT) | instid1(VALU_DEP_2)
	v_sub_f32_e32 v34, v34, v38
	v_sub_f32_e32 v30, v30, v32
	s_delay_alu instid0(VALU_DEP_2) | instskip(NEXT) | instid1(VALU_DEP_1)
	v_sub_f32_e32 v34, v34, v37
	v_add_f32_e32 v13, v13, v34
	s_delay_alu instid0(VALU_DEP_1) | instskip(NEXT) | instid1(VALU_DEP_1)
	v_add_f32_e32 v13, v30, v13
	v_add_f32_e32 v30, v38, v13
	s_delay_alu instid0(VALU_DEP_1) | instskip(NEXT) | instid1(VALU_DEP_1)
	v_mul_f32_e32 v32, v29, v30
	v_dual_sub_f32 v37, v38, v30 :: v_dual_mul_f32 v34, v33, v32
	s_delay_alu instid0(VALU_DEP_1) | instskip(NEXT) | instid1(VALU_DEP_2)
	v_add_f32_e32 v13, v13, v37
	v_fma_f32 v33, v32, v33, -v34
	s_delay_alu instid0(VALU_DEP_1) | instskip(NEXT) | instid1(VALU_DEP_1)
	v_fmac_f32_e32 v33, v32, v31
	v_add_f32_e32 v31, v34, v33
	s_delay_alu instid0(VALU_DEP_1) | instskip(SKIP_1) | instid1(VALU_DEP_2)
	v_sub_f32_e32 v36, v30, v31
	v_sub_f32_e32 v34, v31, v34
	;; [unrolled: 1-line block ×3, first 2 shown]
	s_delay_alu instid0(VALU_DEP_1) | instskip(NEXT) | instid1(VALU_DEP_3)
	v_sub_f32_e32 v30, v30, v31
	v_sub_f32_e32 v31, v34, v33
	s_delay_alu instid0(VALU_DEP_2) | instskip(NEXT) | instid1(VALU_DEP_1)
	v_dual_add_f32 v13, v13, v30 :: v_dual_add_f32 v30, v35, v32
	v_add_f32_e32 v13, v31, v13
	s_delay_alu instid0(VALU_DEP_2) | instskip(NEXT) | instid1(VALU_DEP_2)
	v_sub_f32_e32 v31, v30, v35
	v_add_f32_e32 v13, v36, v13
	s_delay_alu instid0(VALU_DEP_2) | instskip(NEXT) | instid1(VALU_DEP_2)
	v_sub_f32_e32 v31, v32, v31
	v_mul_f32_e32 v13, v29, v13
	s_delay_alu instid0(VALU_DEP_1) | instskip(NEXT) | instid1(VALU_DEP_1)
	v_add_f32_e32 v13, v31, v13
	v_add_f32_e32 v29, v30, v13
	s_delay_alu instid0(VALU_DEP_1) | instskip(NEXT) | instid1(VALU_DEP_1)
	v_mul_f32_e32 v31, v29, v29
	v_fmaak_f32 v32, s0, v31, 0x3ecc95a3
	v_mul_f32_e32 v33, v29, v31
	v_cmp_eq_f32_e64 s0, 0x7f800000, v8
	s_delay_alu instid0(VALU_DEP_3) | instskip(SKIP_2) | instid1(VALU_DEP_4)
	v_fmaak_f32 v31, v31, v32, 0x3f2aaada
	v_ldexp_f32 v32, v29, 1
	v_sub_f32_e32 v29, v29, v30
	s_or_b32 s0, s0, s23
	s_delay_alu instid0(VALU_DEP_3) | instskip(SKIP_1) | instid1(VALU_DEP_2)
	v_mul_f32_e32 v31, v33, v31
	v_mul_f32_e32 v33, 0x3f317218, v27
	v_dual_sub_f32 v13, v13, v29 :: v_dual_add_f32 v30, v32, v31
	s_delay_alu instid0(VALU_DEP_1) | instskip(NEXT) | instid1(VALU_DEP_2)
	v_ldexp_f32 v13, v13, 1
	v_sub_f32_e32 v29, v30, v32
	s_delay_alu instid0(VALU_DEP_4) | instskip(NEXT) | instid1(VALU_DEP_2)
	v_fma_f32 v32, 0x3f317218, v27, -v33
	v_sub_f32_e32 v29, v31, v29
	s_delay_alu instid0(VALU_DEP_2) | instskip(NEXT) | instid1(VALU_DEP_2)
	v_fmamk_f32 v27, v27, 0xb102e308, v32
	v_add_f32_e32 v13, v13, v29
	s_delay_alu instid0(VALU_DEP_2) | instskip(NEXT) | instid1(VALU_DEP_2)
	v_add_f32_e32 v29, v33, v27
	v_add_f32_e32 v31, v30, v13
	s_delay_alu instid0(VALU_DEP_2) | instskip(NEXT) | instid1(VALU_DEP_2)
	v_sub_f32_e32 v33, v29, v33
	v_add_f32_e32 v32, v29, v31
	v_sub_f32_e32 v30, v31, v30
	s_delay_alu instid0(VALU_DEP_3) | instskip(NEXT) | instid1(VALU_DEP_2)
	v_sub_f32_e32 v27, v27, v33
	v_dual_sub_f32 v34, v32, v29 :: v_dual_sub_f32 v13, v13, v30
	s_delay_alu instid0(VALU_DEP_1) | instskip(SKIP_1) | instid1(VALU_DEP_3)
	v_sub_f32_e32 v35, v32, v34
	v_sub_f32_e32 v30, v31, v34
	v_add_f32_e32 v31, v27, v13
	s_delay_alu instid0(VALU_DEP_3) | instskip(NEXT) | instid1(VALU_DEP_1)
	v_sub_f32_e32 v29, v29, v35
	v_dual_add_f32 v29, v30, v29 :: v_dual_sub_f32 v30, v31, v27
	s_delay_alu instid0(VALU_DEP_1) | instskip(NEXT) | instid1(VALU_DEP_2)
	v_add_f32_e32 v29, v31, v29
	v_sub_f32_e32 v31, v31, v30
	v_sub_f32_e32 v13, v13, v30
	s_delay_alu instid0(VALU_DEP_3) | instskip(NEXT) | instid1(VALU_DEP_1)
	v_add_f32_e32 v33, v32, v29
	v_dual_sub_f32 v27, v27, v31 :: v_dual_sub_f32 v30, v33, v32
	s_delay_alu instid0(VALU_DEP_1) | instskip(NEXT) | instid1(VALU_DEP_2)
	v_add_f32_e32 v13, v13, v27
	v_sub_f32_e32 v27, v29, v30
	s_delay_alu instid0(VALU_DEP_1) | instskip(NEXT) | instid1(VALU_DEP_1)
	v_add_f32_e32 v13, v13, v27
	v_add_f32_e32 v13, v33, v13
	s_delay_alu instid0(VALU_DEP_1) | instskip(NEXT) | instid1(VALU_DEP_1)
	v_cndmask_b32_e64 v8, v13, v8, s0
	v_add_f32_e32 v8, v26, v8
	s_delay_alu instid0(VALU_DEP_1) | instskip(NEXT) | instid1(VALU_DEP_1)
	v_cvt_f16_f32_e32 v30, v8
	v_mov_b32_e32 v8, v30
	v_cvt_f32_f16_e32 v13, v30
.LBB420_142:
	s_or_b32 exec_lo, exec_lo, s1
	s_delay_alu instid0(VALU_DEP_1) | instskip(SKIP_1) | instid1(VALU_DEP_2)
	v_dual_max_f32 v26, v20, v20 :: v_dual_max_f32 v27, v13, v13
	v_cmp_u_f16_e64 s0, v30, v30
	v_min_f32_e32 v29, v27, v26
	v_max_f32_e32 v26, v27, v26
	s_delay_alu instid0(VALU_DEP_2) | instskip(NEXT) | instid1(VALU_DEP_2)
	v_cndmask_b32_e64 v27, v29, v13, s0
	v_cndmask_b32_e64 v26, v26, v13, s0
	s_delay_alu instid0(VALU_DEP_2) | instskip(NEXT) | instid1(VALU_DEP_2)
	v_cndmask_b32_e64 v27, v27, v20, s34
	v_cndmask_b32_e64 v26, v26, v20, s34
	v_mov_b32_e32 v20, v8
	s_delay_alu instid0(VALU_DEP_3) | instskip(NEXT) | instid1(VALU_DEP_3)
	v_cmp_class_f32_e64 s1, v27, 0x1f8
	v_cmp_neq_f32_e64 s0, v27, v26
	s_delay_alu instid0(VALU_DEP_1) | instskip(NEXT) | instid1(SALU_CYCLE_1)
	s_or_b32 s0, s0, s1
	s_and_saveexec_b32 s1, s0
	s_cbranch_execz .LBB420_144
; %bb.143:
	v_sub_f32_e32 v13, v27, v26
	s_delay_alu instid0(VALU_DEP_1) | instskip(NEXT) | instid1(VALU_DEP_1)
	v_mul_f32_e32 v20, 0x3fb8aa3b, v13
	v_fma_f32 v27, 0x3fb8aa3b, v13, -v20
	v_rndne_f32_e32 v29, v20
	s_delay_alu instid0(VALU_DEP_1) | instskip(SKIP_1) | instid1(VALU_DEP_2)
	v_dual_sub_f32 v20, v20, v29 :: v_dual_fmamk_f32 v27, v13, 0x32a5705f, v27
	v_cmp_ngt_f32_e64 s0, 0xc2ce8ed0, v13
	v_add_f32_e32 v20, v20, v27
	v_cvt_i32_f32_e32 v27, v29
	s_delay_alu instid0(VALU_DEP_2) | instskip(SKIP_2) | instid1(VALU_DEP_1)
	v_exp_f32_e32 v20, v20
	s_waitcnt_depctr 0xfff
	v_ldexp_f32 v20, v20, v27
	v_cndmask_b32_e64 v20, 0, v20, s0
	v_cmp_nlt_f32_e64 s0, 0x42b17218, v13
	s_delay_alu instid0(VALU_DEP_1) | instskip(NEXT) | instid1(VALU_DEP_1)
	v_cndmask_b32_e64 v13, 0x7f800000, v20, s0
	v_add_f32_e32 v20, 1.0, v13
	v_cmp_gt_f32_e64 s23, 0x33800000, |v13|
	s_delay_alu instid0(VALU_DEP_2) | instskip(NEXT) | instid1(VALU_DEP_1)
	v_cvt_f64_f32_e32 v[29:30], v20
	v_frexp_exp_i32_f64_e32 v27, v[29:30]
	v_frexp_mant_f32_e32 v29, v20
	s_delay_alu instid0(VALU_DEP_1) | instskip(SKIP_1) | instid1(VALU_DEP_1)
	v_cmp_gt_f32_e64 s0, 0x3f2aaaab, v29
	v_add_f32_e32 v29, -1.0, v20
	v_sub_f32_e32 v31, v29, v20
	v_sub_f32_e32 v29, v13, v29
	s_delay_alu instid0(VALU_DEP_2) | instskip(NEXT) | instid1(VALU_DEP_1)
	v_add_f32_e32 v31, 1.0, v31
	v_add_f32_e32 v29, v29, v31
	v_subrev_co_ci_u32_e64 v27, s0, 0, v27, s0
	s_mov_b32 s0, 0x3e9b6dac
	s_delay_alu instid0(VALU_DEP_1) | instskip(SKIP_1) | instid1(VALU_DEP_2)
	v_sub_nc_u32_e32 v30, 0, v27
	v_cvt_f32_i32_e32 v27, v27
	v_ldexp_f32 v20, v20, v30
	v_ldexp_f32 v29, v29, v30
	s_delay_alu instid0(VALU_DEP_2) | instskip(NEXT) | instid1(VALU_DEP_1)
	v_add_f32_e32 v32, 1.0, v20
	v_add_f32_e32 v31, -1.0, v32
	s_delay_alu instid0(VALU_DEP_1) | instskip(NEXT) | instid1(VALU_DEP_1)
	v_dual_add_f32 v30, -1.0, v20 :: v_dual_sub_f32 v31, v20, v31
	v_add_f32_e32 v33, 1.0, v30
	s_delay_alu instid0(VALU_DEP_1) | instskip(NEXT) | instid1(VALU_DEP_1)
	v_sub_f32_e32 v20, v20, v33
	v_add_f32_e32 v20, v29, v20
	s_delay_alu instid0(VALU_DEP_1) | instskip(NEXT) | instid1(VALU_DEP_1)
	v_dual_add_f32 v31, v29, v31 :: v_dual_add_f32 v34, v30, v20
	v_dual_add_f32 v33, v32, v31 :: v_dual_sub_f32 v30, v30, v34
	s_delay_alu instid0(VALU_DEP_1) | instskip(SKIP_1) | instid1(VALU_DEP_1)
	v_rcp_f32_e32 v29, v33
	v_sub_f32_e32 v32, v32, v33
	v_dual_add_f32 v20, v20, v30 :: v_dual_add_f32 v31, v31, v32
	s_waitcnt_depctr 0xfff
	v_mul_f32_e32 v35, v34, v29
	s_delay_alu instid0(VALU_DEP_1) | instskip(NEXT) | instid1(VALU_DEP_1)
	v_mul_f32_e32 v36, v33, v35
	v_fma_f32 v32, v35, v33, -v36
	s_delay_alu instid0(VALU_DEP_1) | instskip(NEXT) | instid1(VALU_DEP_1)
	v_fmac_f32_e32 v32, v35, v31
	v_add_f32_e32 v37, v36, v32
	s_delay_alu instid0(VALU_DEP_1) | instskip(NEXT) | instid1(VALU_DEP_1)
	v_sub_f32_e32 v38, v34, v37
	v_sub_f32_e32 v34, v34, v38
	;; [unrolled: 1-line block ×3, first 2 shown]
	s_delay_alu instid0(VALU_DEP_2) | instskip(NEXT) | instid1(VALU_DEP_2)
	v_sub_f32_e32 v34, v34, v37
	v_sub_f32_e32 v30, v30, v32
	s_delay_alu instid0(VALU_DEP_2) | instskip(NEXT) | instid1(VALU_DEP_1)
	v_add_f32_e32 v20, v20, v34
	v_add_f32_e32 v20, v30, v20
	s_delay_alu instid0(VALU_DEP_1) | instskip(NEXT) | instid1(VALU_DEP_1)
	v_add_f32_e32 v30, v38, v20
	v_mul_f32_e32 v32, v29, v30
	s_delay_alu instid0(VALU_DEP_1) | instskip(NEXT) | instid1(VALU_DEP_1)
	v_dual_sub_f32 v37, v38, v30 :: v_dual_mul_f32 v34, v33, v32
	v_add_f32_e32 v20, v20, v37
	s_delay_alu instid0(VALU_DEP_2) | instskip(NEXT) | instid1(VALU_DEP_1)
	v_fma_f32 v33, v32, v33, -v34
	v_fmac_f32_e32 v33, v32, v31
	s_delay_alu instid0(VALU_DEP_1) | instskip(NEXT) | instid1(VALU_DEP_1)
	v_add_f32_e32 v31, v34, v33
	v_sub_f32_e32 v36, v30, v31
	s_delay_alu instid0(VALU_DEP_1) | instskip(NEXT) | instid1(VALU_DEP_1)
	v_sub_f32_e32 v30, v30, v36
	v_sub_f32_e32 v30, v30, v31
	s_delay_alu instid0(VALU_DEP_1) | instskip(SKIP_2) | instid1(VALU_DEP_1)
	v_add_f32_e32 v20, v20, v30
	v_add_f32_e32 v30, v35, v32
	v_sub_f32_e32 v34, v31, v34
	v_sub_f32_e32 v31, v34, v33
	s_delay_alu instid0(VALU_DEP_1) | instskip(NEXT) | instid1(VALU_DEP_1)
	v_dual_add_f32 v20, v31, v20 :: v_dual_sub_f32 v31, v30, v35
	v_add_f32_e32 v20, v36, v20
	s_delay_alu instid0(VALU_DEP_1) | instskip(NEXT) | instid1(VALU_DEP_1)
	v_dual_sub_f32 v31, v32, v31 :: v_dual_mul_f32 v20, v29, v20
	v_add_f32_e32 v20, v31, v20
	s_delay_alu instid0(VALU_DEP_1) | instskip(NEXT) | instid1(VALU_DEP_1)
	v_add_f32_e32 v29, v30, v20
	v_mul_f32_e32 v31, v29, v29
	s_delay_alu instid0(VALU_DEP_1) | instskip(SKIP_2) | instid1(VALU_DEP_3)
	v_fmaak_f32 v32, s0, v31, 0x3ecc95a3
	v_mul_f32_e32 v33, v29, v31
	v_cmp_eq_f32_e64 s0, 0x7f800000, v13
	v_fmaak_f32 v31, v31, v32, 0x3f2aaada
	v_ldexp_f32 v32, v29, 1
	v_sub_f32_e32 v29, v29, v30
	s_delay_alu instid0(VALU_DEP_4) | instskip(NEXT) | instid1(VALU_DEP_3)
	s_or_b32 s0, s0, s23
	v_mul_f32_e32 v31, v33, v31
	s_delay_alu instid0(VALU_DEP_2) | instskip(NEXT) | instid1(VALU_DEP_2)
	v_dual_mul_f32 v33, 0x3f317218, v27 :: v_dual_sub_f32 v20, v20, v29
	v_add_f32_e32 v30, v32, v31
	s_delay_alu instid0(VALU_DEP_2) | instskip(NEXT) | instid1(VALU_DEP_2)
	v_ldexp_f32 v20, v20, 1
	v_sub_f32_e32 v29, v30, v32
	s_delay_alu instid0(VALU_DEP_4) | instskip(NEXT) | instid1(VALU_DEP_2)
	v_fma_f32 v32, 0x3f317218, v27, -v33
	v_sub_f32_e32 v29, v31, v29
	s_delay_alu instid0(VALU_DEP_1) | instskip(NEXT) | instid1(VALU_DEP_1)
	v_dual_fmamk_f32 v27, v27, 0xb102e308, v32 :: v_dual_add_f32 v20, v20, v29
	v_add_f32_e32 v29, v33, v27
	s_delay_alu instid0(VALU_DEP_1) | instskip(NEXT) | instid1(VALU_DEP_1)
	v_sub_f32_e32 v33, v29, v33
	v_sub_f32_e32 v27, v27, v33
	s_delay_alu instid0(VALU_DEP_4) | instskip(NEXT) | instid1(VALU_DEP_1)
	v_add_f32_e32 v31, v30, v20
	v_sub_f32_e32 v30, v31, v30
	s_delay_alu instid0(VALU_DEP_1) | instskip(SKIP_1) | instid1(VALU_DEP_1)
	v_sub_f32_e32 v20, v20, v30
	v_add_f32_e32 v32, v29, v31
	v_sub_f32_e32 v34, v32, v29
	s_delay_alu instid0(VALU_DEP_1) | instskip(NEXT) | instid1(VALU_DEP_4)
	v_sub_f32_e32 v30, v31, v34
	v_add_f32_e32 v31, v27, v20
	v_sub_f32_e32 v35, v32, v34
	s_delay_alu instid0(VALU_DEP_1) | instskip(NEXT) | instid1(VALU_DEP_1)
	v_sub_f32_e32 v29, v29, v35
	v_dual_add_f32 v29, v30, v29 :: v_dual_sub_f32 v30, v31, v27
	s_delay_alu instid0(VALU_DEP_1) | instskip(SKIP_1) | instid1(VALU_DEP_2)
	v_dual_add_f32 v29, v31, v29 :: v_dual_sub_f32 v20, v20, v30
	v_sub_f32_e32 v31, v31, v30
	v_add_f32_e32 v33, v32, v29
	s_delay_alu instid0(VALU_DEP_1) | instskip(NEXT) | instid1(VALU_DEP_1)
	v_dual_sub_f32 v27, v27, v31 :: v_dual_sub_f32 v30, v33, v32
	v_dual_add_f32 v20, v20, v27 :: v_dual_sub_f32 v27, v29, v30
	s_delay_alu instid0(VALU_DEP_1) | instskip(NEXT) | instid1(VALU_DEP_1)
	v_add_f32_e32 v20, v20, v27
	v_add_f32_e32 v20, v33, v20
	s_delay_alu instid0(VALU_DEP_1) | instskip(NEXT) | instid1(VALU_DEP_1)
	v_cndmask_b32_e64 v13, v20, v13, s0
	v_add_f32_e32 v13, v26, v13
	s_delay_alu instid0(VALU_DEP_1) | instskip(NEXT) | instid1(VALU_DEP_1)
	v_cvt_f16_f32_e32 v30, v13
	v_cvt_f32_f16_e32 v13, v30
	v_mov_b32_e32 v20, v30
.LBB420_144:
	s_or_b32 exec_lo, exec_lo, s1
	v_max_f32_e32 v26, v9, v9
	s_delay_alu instid0(VALU_DEP_3) | instskip(SKIP_1) | instid1(VALU_DEP_2)
	v_max_f32_e32 v27, v13, v13
	v_cmp_u_f16_e64 s0, v30, v30
	v_min_f32_e32 v29, v27, v26
	v_max_f32_e32 v26, v27, v26
	s_delay_alu instid0(VALU_DEP_2) | instskip(NEXT) | instid1(VALU_DEP_2)
	v_cndmask_b32_e64 v27, v29, v13, s0
	v_cndmask_b32_e64 v26, v26, v13, s0
	s_delay_alu instid0(VALU_DEP_2) | instskip(NEXT) | instid1(VALU_DEP_2)
	v_cndmask_b32_e64 v27, v27, v9, s35
	v_cndmask_b32_e64 v26, v26, v9, s35
	v_mov_b32_e32 v9, v20
	s_delay_alu instid0(VALU_DEP_3) | instskip(NEXT) | instid1(VALU_DEP_3)
	v_cmp_class_f32_e64 s1, v27, 0x1f8
	v_cmp_neq_f32_e64 s0, v27, v26
	s_delay_alu instid0(VALU_DEP_1) | instskip(NEXT) | instid1(SALU_CYCLE_1)
	s_or_b32 s0, s0, s1
	s_and_saveexec_b32 s1, s0
	s_cbranch_execz .LBB420_146
; %bb.145:
	v_sub_f32_e32 v9, v27, v26
	s_delay_alu instid0(VALU_DEP_1) | instskip(SKIP_1) | instid1(VALU_DEP_2)
	v_mul_f32_e32 v13, 0x3fb8aa3b, v9
	v_cmp_ngt_f32_e64 s0, 0xc2ce8ed0, v9
	v_fma_f32 v27, 0x3fb8aa3b, v9, -v13
	v_rndne_f32_e32 v29, v13
	s_delay_alu instid0(VALU_DEP_2) | instskip(NEXT) | instid1(VALU_DEP_2)
	v_fmamk_f32 v27, v9, 0x32a5705f, v27
	v_sub_f32_e32 v13, v13, v29
	s_delay_alu instid0(VALU_DEP_1) | instskip(SKIP_1) | instid1(VALU_DEP_2)
	v_add_f32_e32 v13, v13, v27
	v_cvt_i32_f32_e32 v27, v29
	v_exp_f32_e32 v13, v13
	s_waitcnt_depctr 0xfff
	v_ldexp_f32 v13, v13, v27
	s_delay_alu instid0(VALU_DEP_1) | instskip(SKIP_1) | instid1(VALU_DEP_1)
	v_cndmask_b32_e64 v13, 0, v13, s0
	v_cmp_nlt_f32_e64 s0, 0x42b17218, v9
	v_cndmask_b32_e64 v9, 0x7f800000, v13, s0
	s_delay_alu instid0(VALU_DEP_1) | instskip(SKIP_1) | instid1(VALU_DEP_2)
	v_add_f32_e32 v13, 1.0, v9
	v_cmp_gt_f32_e64 s23, 0x33800000, |v9|
	v_cvt_f64_f32_e32 v[29:30], v13
	s_delay_alu instid0(VALU_DEP_1) | instskip(SKIP_1) | instid1(VALU_DEP_1)
	v_frexp_exp_i32_f64_e32 v27, v[29:30]
	v_frexp_mant_f32_e32 v29, v13
	v_cmp_gt_f32_e64 s0, 0x3f2aaaab, v29
	v_add_f32_e32 v29, -1.0, v13
	s_delay_alu instid0(VALU_DEP_1) | instskip(SKIP_1) | instid1(VALU_DEP_2)
	v_sub_f32_e32 v31, v29, v13
	v_sub_f32_e32 v29, v9, v29
	v_add_f32_e32 v31, 1.0, v31
	s_delay_alu instid0(VALU_DEP_1) | instskip(SKIP_2) | instid1(VALU_DEP_1)
	v_add_f32_e32 v29, v29, v31
	v_subrev_co_ci_u32_e64 v27, s0, 0, v27, s0
	s_mov_b32 s0, 0x3e9b6dac
	v_sub_nc_u32_e32 v30, 0, v27
	v_cvt_f32_i32_e32 v27, v27
	s_delay_alu instid0(VALU_DEP_2) | instskip(SKIP_1) | instid1(VALU_DEP_2)
	v_ldexp_f32 v13, v13, v30
	v_ldexp_f32 v29, v29, v30
	v_add_f32_e32 v32, 1.0, v13
	s_delay_alu instid0(VALU_DEP_1) | instskip(NEXT) | instid1(VALU_DEP_1)
	v_dual_add_f32 v30, -1.0, v13 :: v_dual_add_f32 v31, -1.0, v32
	v_add_f32_e32 v33, 1.0, v30
	s_delay_alu instid0(VALU_DEP_2) | instskip(NEXT) | instid1(VALU_DEP_2)
	v_sub_f32_e32 v31, v13, v31
	v_sub_f32_e32 v13, v13, v33
	s_delay_alu instid0(VALU_DEP_2) | instskip(NEXT) | instid1(VALU_DEP_2)
	v_add_f32_e32 v31, v29, v31
	v_add_f32_e32 v13, v29, v13
	s_delay_alu instid0(VALU_DEP_1) | instskip(NEXT) | instid1(VALU_DEP_1)
	v_dual_add_f32 v33, v32, v31 :: v_dual_add_f32 v34, v30, v13
	v_rcp_f32_e32 v29, v33
	v_sub_f32_e32 v32, v32, v33
	s_delay_alu instid0(VALU_DEP_1) | instskip(SKIP_3) | instid1(VALU_DEP_2)
	v_dual_sub_f32 v30, v30, v34 :: v_dual_add_f32 v31, v31, v32
	s_waitcnt_depctr 0xfff
	v_mul_f32_e32 v35, v34, v29
	v_add_f32_e32 v13, v13, v30
	v_mul_f32_e32 v36, v33, v35
	s_delay_alu instid0(VALU_DEP_1) | instskip(NEXT) | instid1(VALU_DEP_1)
	v_fma_f32 v32, v35, v33, -v36
	v_fmac_f32_e32 v32, v35, v31
	s_delay_alu instid0(VALU_DEP_1) | instskip(NEXT) | instid1(VALU_DEP_1)
	v_add_f32_e32 v37, v36, v32
	v_sub_f32_e32 v38, v34, v37
	v_sub_f32_e32 v30, v37, v36
	s_delay_alu instid0(VALU_DEP_2) | instskip(NEXT) | instid1(VALU_DEP_2)
	v_sub_f32_e32 v34, v34, v38
	v_sub_f32_e32 v30, v30, v32
	s_delay_alu instid0(VALU_DEP_2) | instskip(NEXT) | instid1(VALU_DEP_1)
	v_sub_f32_e32 v34, v34, v37
	v_add_f32_e32 v13, v13, v34
	s_delay_alu instid0(VALU_DEP_1) | instskip(NEXT) | instid1(VALU_DEP_1)
	v_add_f32_e32 v13, v30, v13
	v_add_f32_e32 v30, v38, v13
	s_delay_alu instid0(VALU_DEP_1) | instskip(NEXT) | instid1(VALU_DEP_1)
	v_mul_f32_e32 v32, v29, v30
	v_dual_sub_f32 v37, v38, v30 :: v_dual_mul_f32 v34, v33, v32
	s_delay_alu instid0(VALU_DEP_1) | instskip(NEXT) | instid1(VALU_DEP_2)
	v_add_f32_e32 v13, v13, v37
	v_fma_f32 v33, v32, v33, -v34
	s_delay_alu instid0(VALU_DEP_1) | instskip(NEXT) | instid1(VALU_DEP_1)
	v_fmac_f32_e32 v33, v32, v31
	v_add_f32_e32 v31, v34, v33
	s_delay_alu instid0(VALU_DEP_1) | instskip(SKIP_1) | instid1(VALU_DEP_2)
	v_sub_f32_e32 v36, v30, v31
	v_sub_f32_e32 v34, v31, v34
	;; [unrolled: 1-line block ×3, first 2 shown]
	s_delay_alu instid0(VALU_DEP_1) | instskip(NEXT) | instid1(VALU_DEP_3)
	v_sub_f32_e32 v30, v30, v31
	v_sub_f32_e32 v31, v34, v33
	s_delay_alu instid0(VALU_DEP_2) | instskip(NEXT) | instid1(VALU_DEP_1)
	v_dual_add_f32 v13, v13, v30 :: v_dual_add_f32 v30, v35, v32
	v_add_f32_e32 v13, v31, v13
	s_delay_alu instid0(VALU_DEP_2) | instskip(NEXT) | instid1(VALU_DEP_2)
	v_sub_f32_e32 v31, v30, v35
	v_add_f32_e32 v13, v36, v13
	s_delay_alu instid0(VALU_DEP_2) | instskip(NEXT) | instid1(VALU_DEP_2)
	v_sub_f32_e32 v31, v32, v31
	v_mul_f32_e32 v13, v29, v13
	s_delay_alu instid0(VALU_DEP_1) | instskip(NEXT) | instid1(VALU_DEP_1)
	v_add_f32_e32 v13, v31, v13
	v_add_f32_e32 v29, v30, v13
	s_delay_alu instid0(VALU_DEP_1) | instskip(NEXT) | instid1(VALU_DEP_1)
	v_mul_f32_e32 v31, v29, v29
	v_fmaak_f32 v32, s0, v31, 0x3ecc95a3
	v_mul_f32_e32 v33, v29, v31
	v_cmp_eq_f32_e64 s0, 0x7f800000, v9
	s_delay_alu instid0(VALU_DEP_3) | instskip(SKIP_2) | instid1(VALU_DEP_4)
	v_fmaak_f32 v31, v31, v32, 0x3f2aaada
	v_ldexp_f32 v32, v29, 1
	v_sub_f32_e32 v29, v29, v30
	s_or_b32 s0, s0, s23
	s_delay_alu instid0(VALU_DEP_3) | instskip(SKIP_1) | instid1(VALU_DEP_2)
	v_mul_f32_e32 v31, v33, v31
	v_mul_f32_e32 v33, 0x3f317218, v27
	v_dual_sub_f32 v13, v13, v29 :: v_dual_add_f32 v30, v32, v31
	s_delay_alu instid0(VALU_DEP_1) | instskip(NEXT) | instid1(VALU_DEP_2)
	v_ldexp_f32 v13, v13, 1
	v_sub_f32_e32 v29, v30, v32
	s_delay_alu instid0(VALU_DEP_4) | instskip(NEXT) | instid1(VALU_DEP_2)
	v_fma_f32 v32, 0x3f317218, v27, -v33
	v_sub_f32_e32 v29, v31, v29
	s_delay_alu instid0(VALU_DEP_2) | instskip(NEXT) | instid1(VALU_DEP_2)
	v_fmamk_f32 v27, v27, 0xb102e308, v32
	v_add_f32_e32 v13, v13, v29
	s_delay_alu instid0(VALU_DEP_2) | instskip(NEXT) | instid1(VALU_DEP_2)
	v_add_f32_e32 v29, v33, v27
	v_add_f32_e32 v31, v30, v13
	s_delay_alu instid0(VALU_DEP_2) | instskip(NEXT) | instid1(VALU_DEP_2)
	v_sub_f32_e32 v33, v29, v33
	v_add_f32_e32 v32, v29, v31
	v_sub_f32_e32 v30, v31, v30
	s_delay_alu instid0(VALU_DEP_3) | instskip(NEXT) | instid1(VALU_DEP_2)
	v_sub_f32_e32 v27, v27, v33
	v_dual_sub_f32 v34, v32, v29 :: v_dual_sub_f32 v13, v13, v30
	s_delay_alu instid0(VALU_DEP_1) | instskip(SKIP_1) | instid1(VALU_DEP_3)
	v_sub_f32_e32 v35, v32, v34
	v_sub_f32_e32 v30, v31, v34
	v_add_f32_e32 v31, v27, v13
	s_delay_alu instid0(VALU_DEP_3) | instskip(NEXT) | instid1(VALU_DEP_1)
	v_sub_f32_e32 v29, v29, v35
	v_dual_add_f32 v29, v30, v29 :: v_dual_sub_f32 v30, v31, v27
	s_delay_alu instid0(VALU_DEP_1) | instskip(NEXT) | instid1(VALU_DEP_2)
	v_add_f32_e32 v29, v31, v29
	v_sub_f32_e32 v31, v31, v30
	v_sub_f32_e32 v13, v13, v30
	s_delay_alu instid0(VALU_DEP_3) | instskip(NEXT) | instid1(VALU_DEP_1)
	v_add_f32_e32 v33, v32, v29
	v_dual_sub_f32 v27, v27, v31 :: v_dual_sub_f32 v30, v33, v32
	s_delay_alu instid0(VALU_DEP_1) | instskip(NEXT) | instid1(VALU_DEP_2)
	v_add_f32_e32 v13, v13, v27
	v_sub_f32_e32 v27, v29, v30
	s_delay_alu instid0(VALU_DEP_1) | instskip(NEXT) | instid1(VALU_DEP_1)
	v_add_f32_e32 v13, v13, v27
	v_add_f32_e32 v13, v33, v13
	s_delay_alu instid0(VALU_DEP_1) | instskip(NEXT) | instid1(VALU_DEP_1)
	v_cndmask_b32_e64 v9, v13, v9, s0
	v_add_f32_e32 v9, v26, v9
	s_delay_alu instid0(VALU_DEP_1) | instskip(NEXT) | instid1(VALU_DEP_1)
	v_cvt_f16_f32_e32 v30, v9
	v_cvt_f32_f16_e32 v13, v30
	v_mov_b32_e32 v9, v30
.LBB420_146:
	s_or_b32 exec_lo, exec_lo, s1
	v_max_f32_e32 v26, v21, v21
	s_delay_alu instid0(VALU_DEP_3) | instskip(SKIP_1) | instid1(VALU_DEP_2)
	v_max_f32_e32 v27, v13, v13
	v_cmp_u_f16_e64 s0, v30, v30
	v_min_f32_e32 v29, v27, v26
	v_max_f32_e32 v26, v27, v26
	s_delay_alu instid0(VALU_DEP_2) | instskip(NEXT) | instid1(VALU_DEP_2)
	v_cndmask_b32_e64 v27, v29, v13, s0
	v_cndmask_b32_e64 v26, v26, v13, s0
	s_delay_alu instid0(VALU_DEP_2) | instskip(NEXT) | instid1(VALU_DEP_2)
	v_cndmask_b32_e64 v27, v27, v21, s36
	v_cndmask_b32_e64 v26, v26, v21, s36
	v_mov_b32_e32 v21, v9
	s_delay_alu instid0(VALU_DEP_3) | instskip(NEXT) | instid1(VALU_DEP_3)
	v_cmp_class_f32_e64 s1, v27, 0x1f8
	v_cmp_neq_f32_e64 s0, v27, v26
	s_delay_alu instid0(VALU_DEP_1) | instskip(NEXT) | instid1(SALU_CYCLE_1)
	s_or_b32 s0, s0, s1
	s_and_saveexec_b32 s1, s0
	s_cbranch_execz .LBB420_148
; %bb.147:
	v_sub_f32_e32 v13, v27, v26
	s_delay_alu instid0(VALU_DEP_1) | instskip(SKIP_1) | instid1(VALU_DEP_2)
	v_mul_f32_e32 v21, 0x3fb8aa3b, v13
	v_cmp_ngt_f32_e64 s0, 0xc2ce8ed0, v13
	v_fma_f32 v27, 0x3fb8aa3b, v13, -v21
	v_rndne_f32_e32 v29, v21
	s_delay_alu instid0(VALU_DEP_2) | instskip(NEXT) | instid1(VALU_DEP_2)
	v_fmamk_f32 v27, v13, 0x32a5705f, v27
	v_sub_f32_e32 v21, v21, v29
	s_delay_alu instid0(VALU_DEP_1) | instskip(SKIP_1) | instid1(VALU_DEP_2)
	v_add_f32_e32 v21, v21, v27
	v_cvt_i32_f32_e32 v27, v29
	v_exp_f32_e32 v21, v21
	s_waitcnt_depctr 0xfff
	v_ldexp_f32 v21, v21, v27
	s_delay_alu instid0(VALU_DEP_1) | instskip(SKIP_1) | instid1(VALU_DEP_1)
	v_cndmask_b32_e64 v21, 0, v21, s0
	v_cmp_nlt_f32_e64 s0, 0x42b17218, v13
	v_cndmask_b32_e64 v13, 0x7f800000, v21, s0
	s_delay_alu instid0(VALU_DEP_1) | instskip(SKIP_1) | instid1(VALU_DEP_2)
	v_add_f32_e32 v21, 1.0, v13
	v_cmp_gt_f32_e64 s23, 0x33800000, |v13|
	v_cvt_f64_f32_e32 v[29:30], v21
	s_delay_alu instid0(VALU_DEP_1) | instskip(SKIP_1) | instid1(VALU_DEP_1)
	v_frexp_exp_i32_f64_e32 v27, v[29:30]
	v_frexp_mant_f32_e32 v29, v21
	v_cmp_gt_f32_e64 s0, 0x3f2aaaab, v29
	v_add_f32_e32 v29, -1.0, v21
	s_delay_alu instid0(VALU_DEP_1) | instskip(SKIP_1) | instid1(VALU_DEP_2)
	v_sub_f32_e32 v31, v29, v21
	v_sub_f32_e32 v29, v13, v29
	v_add_f32_e32 v31, 1.0, v31
	s_delay_alu instid0(VALU_DEP_1) | instskip(SKIP_2) | instid1(VALU_DEP_1)
	v_add_f32_e32 v29, v29, v31
	v_subrev_co_ci_u32_e64 v27, s0, 0, v27, s0
	s_mov_b32 s0, 0x3e9b6dac
	v_sub_nc_u32_e32 v30, 0, v27
	v_cvt_f32_i32_e32 v27, v27
	s_delay_alu instid0(VALU_DEP_2) | instskip(SKIP_1) | instid1(VALU_DEP_2)
	v_ldexp_f32 v21, v21, v30
	v_ldexp_f32 v29, v29, v30
	v_add_f32_e32 v32, 1.0, v21
	s_delay_alu instid0(VALU_DEP_1) | instskip(NEXT) | instid1(VALU_DEP_1)
	v_dual_add_f32 v30, -1.0, v21 :: v_dual_add_f32 v31, -1.0, v32
	v_add_f32_e32 v33, 1.0, v30
	s_delay_alu instid0(VALU_DEP_2) | instskip(NEXT) | instid1(VALU_DEP_2)
	v_sub_f32_e32 v31, v21, v31
	v_sub_f32_e32 v21, v21, v33
	s_delay_alu instid0(VALU_DEP_2) | instskip(NEXT) | instid1(VALU_DEP_2)
	v_add_f32_e32 v31, v29, v31
	v_add_f32_e32 v21, v29, v21
	s_delay_alu instid0(VALU_DEP_1) | instskip(NEXT) | instid1(VALU_DEP_1)
	v_dual_add_f32 v33, v32, v31 :: v_dual_add_f32 v34, v30, v21
	v_rcp_f32_e32 v29, v33
	v_sub_f32_e32 v32, v32, v33
	s_delay_alu instid0(VALU_DEP_1) | instskip(SKIP_3) | instid1(VALU_DEP_2)
	v_dual_sub_f32 v30, v30, v34 :: v_dual_add_f32 v31, v31, v32
	s_waitcnt_depctr 0xfff
	v_mul_f32_e32 v35, v34, v29
	v_add_f32_e32 v21, v21, v30
	v_mul_f32_e32 v36, v33, v35
	s_delay_alu instid0(VALU_DEP_1) | instskip(NEXT) | instid1(VALU_DEP_1)
	v_fma_f32 v32, v35, v33, -v36
	v_fmac_f32_e32 v32, v35, v31
	s_delay_alu instid0(VALU_DEP_1) | instskip(NEXT) | instid1(VALU_DEP_1)
	v_add_f32_e32 v37, v36, v32
	v_sub_f32_e32 v38, v34, v37
	v_sub_f32_e32 v30, v37, v36
	s_delay_alu instid0(VALU_DEP_2) | instskip(NEXT) | instid1(VALU_DEP_2)
	v_sub_f32_e32 v34, v34, v38
	v_sub_f32_e32 v30, v30, v32
	s_delay_alu instid0(VALU_DEP_2) | instskip(NEXT) | instid1(VALU_DEP_1)
	v_sub_f32_e32 v34, v34, v37
	v_add_f32_e32 v21, v21, v34
	s_delay_alu instid0(VALU_DEP_1) | instskip(NEXT) | instid1(VALU_DEP_1)
	v_add_f32_e32 v21, v30, v21
	v_add_f32_e32 v30, v38, v21
	s_delay_alu instid0(VALU_DEP_1) | instskip(NEXT) | instid1(VALU_DEP_1)
	v_mul_f32_e32 v32, v29, v30
	v_dual_sub_f32 v37, v38, v30 :: v_dual_mul_f32 v34, v33, v32
	s_delay_alu instid0(VALU_DEP_1) | instskip(NEXT) | instid1(VALU_DEP_2)
	v_add_f32_e32 v21, v21, v37
	v_fma_f32 v33, v32, v33, -v34
	s_delay_alu instid0(VALU_DEP_1) | instskip(NEXT) | instid1(VALU_DEP_1)
	v_fmac_f32_e32 v33, v32, v31
	v_add_f32_e32 v31, v34, v33
	s_delay_alu instid0(VALU_DEP_1) | instskip(SKIP_1) | instid1(VALU_DEP_2)
	v_sub_f32_e32 v36, v30, v31
	v_sub_f32_e32 v34, v31, v34
	;; [unrolled: 1-line block ×3, first 2 shown]
	s_delay_alu instid0(VALU_DEP_1) | instskip(NEXT) | instid1(VALU_DEP_3)
	v_sub_f32_e32 v30, v30, v31
	v_sub_f32_e32 v31, v34, v33
	s_delay_alu instid0(VALU_DEP_2) | instskip(NEXT) | instid1(VALU_DEP_1)
	v_dual_add_f32 v21, v21, v30 :: v_dual_add_f32 v30, v35, v32
	v_add_f32_e32 v21, v31, v21
	s_delay_alu instid0(VALU_DEP_2) | instskip(NEXT) | instid1(VALU_DEP_2)
	v_sub_f32_e32 v31, v30, v35
	v_add_f32_e32 v21, v36, v21
	s_delay_alu instid0(VALU_DEP_2) | instskip(NEXT) | instid1(VALU_DEP_2)
	v_sub_f32_e32 v31, v32, v31
	v_mul_f32_e32 v21, v29, v21
	s_delay_alu instid0(VALU_DEP_1) | instskip(NEXT) | instid1(VALU_DEP_1)
	v_add_f32_e32 v21, v31, v21
	v_add_f32_e32 v29, v30, v21
	s_delay_alu instid0(VALU_DEP_1) | instskip(NEXT) | instid1(VALU_DEP_1)
	v_mul_f32_e32 v31, v29, v29
	v_fmaak_f32 v32, s0, v31, 0x3ecc95a3
	v_mul_f32_e32 v33, v29, v31
	v_cmp_eq_f32_e64 s0, 0x7f800000, v13
	s_delay_alu instid0(VALU_DEP_3) | instskip(SKIP_2) | instid1(VALU_DEP_4)
	v_fmaak_f32 v31, v31, v32, 0x3f2aaada
	v_ldexp_f32 v32, v29, 1
	v_sub_f32_e32 v29, v29, v30
	s_or_b32 s0, s0, s23
	s_delay_alu instid0(VALU_DEP_3) | instskip(SKIP_1) | instid1(VALU_DEP_2)
	v_mul_f32_e32 v31, v33, v31
	v_mul_f32_e32 v33, 0x3f317218, v27
	v_dual_sub_f32 v21, v21, v29 :: v_dual_add_f32 v30, v32, v31
	s_delay_alu instid0(VALU_DEP_1) | instskip(NEXT) | instid1(VALU_DEP_2)
	v_ldexp_f32 v21, v21, 1
	v_sub_f32_e32 v29, v30, v32
	s_delay_alu instid0(VALU_DEP_4) | instskip(NEXT) | instid1(VALU_DEP_2)
	v_fma_f32 v32, 0x3f317218, v27, -v33
	v_sub_f32_e32 v29, v31, v29
	s_delay_alu instid0(VALU_DEP_2) | instskip(NEXT) | instid1(VALU_DEP_2)
	v_fmamk_f32 v27, v27, 0xb102e308, v32
	v_add_f32_e32 v21, v21, v29
	s_delay_alu instid0(VALU_DEP_2) | instskip(NEXT) | instid1(VALU_DEP_2)
	v_add_f32_e32 v29, v33, v27
	v_add_f32_e32 v31, v30, v21
	s_delay_alu instid0(VALU_DEP_2) | instskip(NEXT) | instid1(VALU_DEP_2)
	v_sub_f32_e32 v33, v29, v33
	v_add_f32_e32 v32, v29, v31
	v_sub_f32_e32 v30, v31, v30
	s_delay_alu instid0(VALU_DEP_3) | instskip(NEXT) | instid1(VALU_DEP_2)
	v_sub_f32_e32 v27, v27, v33
	v_dual_sub_f32 v34, v32, v29 :: v_dual_sub_f32 v21, v21, v30
	s_delay_alu instid0(VALU_DEP_1) | instskip(SKIP_1) | instid1(VALU_DEP_3)
	v_sub_f32_e32 v35, v32, v34
	v_sub_f32_e32 v30, v31, v34
	v_add_f32_e32 v31, v27, v21
	s_delay_alu instid0(VALU_DEP_3) | instskip(NEXT) | instid1(VALU_DEP_1)
	v_sub_f32_e32 v29, v29, v35
	v_dual_add_f32 v29, v30, v29 :: v_dual_sub_f32 v30, v31, v27
	s_delay_alu instid0(VALU_DEP_1) | instskip(NEXT) | instid1(VALU_DEP_2)
	v_add_f32_e32 v29, v31, v29
	v_sub_f32_e32 v31, v31, v30
	v_sub_f32_e32 v21, v21, v30
	s_delay_alu instid0(VALU_DEP_3) | instskip(NEXT) | instid1(VALU_DEP_1)
	v_add_f32_e32 v33, v32, v29
	v_dual_sub_f32 v27, v27, v31 :: v_dual_sub_f32 v30, v33, v32
	s_delay_alu instid0(VALU_DEP_1) | instskip(NEXT) | instid1(VALU_DEP_2)
	v_add_f32_e32 v21, v21, v27
	v_sub_f32_e32 v27, v29, v30
	s_delay_alu instid0(VALU_DEP_1) | instskip(NEXT) | instid1(VALU_DEP_1)
	v_add_f32_e32 v21, v21, v27
	v_add_f32_e32 v21, v33, v21
	s_delay_alu instid0(VALU_DEP_1) | instskip(NEXT) | instid1(VALU_DEP_1)
	v_cndmask_b32_e64 v13, v21, v13, s0
	v_add_f32_e32 v13, v26, v13
	s_delay_alu instid0(VALU_DEP_1) | instskip(NEXT) | instid1(VALU_DEP_1)
	v_cvt_f16_f32_e32 v30, v13
	v_cvt_f32_f16_e32 v13, v30
	v_mov_b32_e32 v21, v30
.LBB420_148:
	s_or_b32 exec_lo, exec_lo, s1
	s_delay_alu instid0(VALU_DEP_2) | instskip(SKIP_1) | instid1(VALU_DEP_2)
	v_dual_max_f32 v26, v6, v6 :: v_dual_max_f32 v27, v13, v13
	v_cmp_u_f16_e64 s0, v30, v30
	v_min_f32_e32 v29, v27, v26
	v_max_f32_e32 v26, v27, v26
	s_delay_alu instid0(VALU_DEP_2) | instskip(NEXT) | instid1(VALU_DEP_2)
	v_cndmask_b32_e64 v27, v29, v13, s0
	v_cndmask_b32_e64 v26, v26, v13, s0
	s_delay_alu instid0(VALU_DEP_2) | instskip(NEXT) | instid1(VALU_DEP_2)
	v_cndmask_b32_e64 v27, v27, v6, s37
	v_cndmask_b32_e64 v26, v26, v6, s37
	v_mov_b32_e32 v6, v21
	s_delay_alu instid0(VALU_DEP_3) | instskip(NEXT) | instid1(VALU_DEP_3)
	v_cmp_class_f32_e64 s1, v27, 0x1f8
	v_cmp_neq_f32_e64 s0, v27, v26
	s_delay_alu instid0(VALU_DEP_1) | instskip(NEXT) | instid1(SALU_CYCLE_1)
	s_or_b32 s0, s0, s1
	s_and_saveexec_b32 s1, s0
	s_cbranch_execz .LBB420_150
; %bb.149:
	v_sub_f32_e32 v6, v27, v26
	s_delay_alu instid0(VALU_DEP_1) | instskip(NEXT) | instid1(VALU_DEP_1)
	v_mul_f32_e32 v13, 0x3fb8aa3b, v6
	v_fma_f32 v27, 0x3fb8aa3b, v6, -v13
	v_rndne_f32_e32 v29, v13
	s_delay_alu instid0(VALU_DEP_1) | instskip(NEXT) | instid1(VALU_DEP_3)
	v_sub_f32_e32 v13, v13, v29
	v_fmamk_f32 v27, v6, 0x32a5705f, v27
	v_cmp_ngt_f32_e64 s0, 0xc2ce8ed0, v6
	s_delay_alu instid0(VALU_DEP_2) | instskip(SKIP_1) | instid1(VALU_DEP_2)
	v_add_f32_e32 v13, v13, v27
	v_cvt_i32_f32_e32 v27, v29
	v_exp_f32_e32 v13, v13
	s_waitcnt_depctr 0xfff
	v_ldexp_f32 v13, v13, v27
	s_delay_alu instid0(VALU_DEP_1) | instskip(SKIP_1) | instid1(VALU_DEP_1)
	v_cndmask_b32_e64 v13, 0, v13, s0
	v_cmp_nlt_f32_e64 s0, 0x42b17218, v6
	v_cndmask_b32_e64 v6, 0x7f800000, v13, s0
	s_delay_alu instid0(VALU_DEP_1) | instskip(SKIP_1) | instid1(VALU_DEP_2)
	v_add_f32_e32 v13, 1.0, v6
	v_cmp_gt_f32_e64 s23, 0x33800000, |v6|
	v_cvt_f64_f32_e32 v[29:30], v13
	s_delay_alu instid0(VALU_DEP_1) | instskip(SKIP_1) | instid1(VALU_DEP_1)
	v_frexp_exp_i32_f64_e32 v27, v[29:30]
	v_frexp_mant_f32_e32 v29, v13
	v_cmp_gt_f32_e64 s0, 0x3f2aaaab, v29
	v_add_f32_e32 v29, -1.0, v13
	s_delay_alu instid0(VALU_DEP_1) | instskip(SKIP_1) | instid1(VALU_DEP_4)
	v_sub_f32_e32 v31, v29, v13
	v_sub_f32_e32 v29, v6, v29
	v_subrev_co_ci_u32_e64 v27, s0, 0, v27, s0
	s_mov_b32 s0, 0x3e9b6dac
	s_delay_alu instid0(VALU_DEP_1) | instskip(SKIP_1) | instid1(VALU_DEP_2)
	v_sub_nc_u32_e32 v30, 0, v27
	v_cvt_f32_i32_e32 v27, v27
	v_ldexp_f32 v13, v13, v30
	s_delay_alu instid0(VALU_DEP_1) | instskip(NEXT) | instid1(VALU_DEP_1)
	v_dual_add_f32 v31, 1.0, v31 :: v_dual_add_f32 v32, 1.0, v13
	v_add_f32_e32 v29, v29, v31
	s_delay_alu instid0(VALU_DEP_2) | instskip(NEXT) | instid1(VALU_DEP_2)
	v_add_f32_e32 v31, -1.0, v32
	v_ldexp_f32 v29, v29, v30
	s_delay_alu instid0(VALU_DEP_2) | instskip(NEXT) | instid1(VALU_DEP_1)
	v_dual_add_f32 v30, -1.0, v13 :: v_dual_sub_f32 v31, v13, v31
	v_add_f32_e32 v33, 1.0, v30
	s_delay_alu instid0(VALU_DEP_2) | instskip(NEXT) | instid1(VALU_DEP_2)
	v_add_f32_e32 v31, v29, v31
	v_sub_f32_e32 v13, v13, v33
	s_delay_alu instid0(VALU_DEP_2) | instskip(NEXT) | instid1(VALU_DEP_2)
	v_add_f32_e32 v33, v32, v31
	v_add_f32_e32 v13, v29, v13
	s_delay_alu instid0(VALU_DEP_2) | instskip(SKIP_1) | instid1(VALU_DEP_1)
	v_rcp_f32_e32 v29, v33
	v_sub_f32_e32 v32, v32, v33
	v_dual_add_f32 v34, v30, v13 :: v_dual_add_f32 v31, v31, v32
	s_delay_alu instid0(VALU_DEP_1) | instskip(SKIP_3) | instid1(VALU_DEP_2)
	v_sub_f32_e32 v30, v30, v34
	s_waitcnt_depctr 0xfff
	v_mul_f32_e32 v35, v34, v29
	v_add_f32_e32 v13, v13, v30
	v_mul_f32_e32 v36, v33, v35
	s_delay_alu instid0(VALU_DEP_1) | instskip(NEXT) | instid1(VALU_DEP_1)
	v_fma_f32 v32, v35, v33, -v36
	v_fmac_f32_e32 v32, v35, v31
	s_delay_alu instid0(VALU_DEP_1) | instskip(NEXT) | instid1(VALU_DEP_1)
	v_add_f32_e32 v37, v36, v32
	v_sub_f32_e32 v38, v34, v37
	v_sub_f32_e32 v30, v37, v36
	s_delay_alu instid0(VALU_DEP_2) | instskip(NEXT) | instid1(VALU_DEP_2)
	v_sub_f32_e32 v34, v34, v38
	v_sub_f32_e32 v30, v30, v32
	s_delay_alu instid0(VALU_DEP_2) | instskip(NEXT) | instid1(VALU_DEP_1)
	v_sub_f32_e32 v34, v34, v37
	v_add_f32_e32 v13, v13, v34
	s_delay_alu instid0(VALU_DEP_1) | instskip(NEXT) | instid1(VALU_DEP_1)
	v_add_f32_e32 v13, v30, v13
	v_add_f32_e32 v30, v38, v13
	s_delay_alu instid0(VALU_DEP_1) | instskip(NEXT) | instid1(VALU_DEP_1)
	v_mul_f32_e32 v32, v29, v30
	v_dual_sub_f32 v37, v38, v30 :: v_dual_mul_f32 v34, v33, v32
	s_delay_alu instid0(VALU_DEP_1) | instskip(NEXT) | instid1(VALU_DEP_2)
	v_add_f32_e32 v13, v13, v37
	v_fma_f32 v33, v32, v33, -v34
	s_delay_alu instid0(VALU_DEP_1) | instskip(NEXT) | instid1(VALU_DEP_1)
	v_fmac_f32_e32 v33, v32, v31
	v_add_f32_e32 v31, v34, v33
	s_delay_alu instid0(VALU_DEP_1) | instskip(SKIP_1) | instid1(VALU_DEP_2)
	v_sub_f32_e32 v36, v30, v31
	v_sub_f32_e32 v34, v31, v34
	;; [unrolled: 1-line block ×3, first 2 shown]
	s_delay_alu instid0(VALU_DEP_1) | instskip(NEXT) | instid1(VALU_DEP_3)
	v_sub_f32_e32 v30, v30, v31
	v_sub_f32_e32 v31, v34, v33
	s_delay_alu instid0(VALU_DEP_2) | instskip(NEXT) | instid1(VALU_DEP_1)
	v_dual_add_f32 v13, v13, v30 :: v_dual_add_f32 v30, v35, v32
	v_add_f32_e32 v13, v31, v13
	s_delay_alu instid0(VALU_DEP_2) | instskip(NEXT) | instid1(VALU_DEP_2)
	v_sub_f32_e32 v31, v30, v35
	v_add_f32_e32 v13, v36, v13
	s_delay_alu instid0(VALU_DEP_2) | instskip(NEXT) | instid1(VALU_DEP_2)
	v_sub_f32_e32 v31, v32, v31
	v_mul_f32_e32 v13, v29, v13
	s_delay_alu instid0(VALU_DEP_1) | instskip(NEXT) | instid1(VALU_DEP_1)
	v_add_f32_e32 v13, v31, v13
	v_add_f32_e32 v29, v30, v13
	s_delay_alu instid0(VALU_DEP_1) | instskip(NEXT) | instid1(VALU_DEP_1)
	v_mul_f32_e32 v31, v29, v29
	v_fmaak_f32 v32, s0, v31, 0x3ecc95a3
	v_mul_f32_e32 v33, v29, v31
	v_cmp_eq_f32_e64 s0, 0x7f800000, v6
	s_delay_alu instid0(VALU_DEP_3) | instskip(SKIP_2) | instid1(VALU_DEP_4)
	v_fmaak_f32 v31, v31, v32, 0x3f2aaada
	v_ldexp_f32 v32, v29, 1
	v_sub_f32_e32 v29, v29, v30
	s_or_b32 s0, s0, s23
	s_delay_alu instid0(VALU_DEP_3) | instskip(SKIP_1) | instid1(VALU_DEP_2)
	v_mul_f32_e32 v31, v33, v31
	v_mul_f32_e32 v33, 0x3f317218, v27
	v_dual_sub_f32 v13, v13, v29 :: v_dual_add_f32 v30, v32, v31
	s_delay_alu instid0(VALU_DEP_1) | instskip(NEXT) | instid1(VALU_DEP_2)
	v_ldexp_f32 v13, v13, 1
	v_sub_f32_e32 v29, v30, v32
	s_delay_alu instid0(VALU_DEP_4) | instskip(NEXT) | instid1(VALU_DEP_2)
	v_fma_f32 v32, 0x3f317218, v27, -v33
	v_sub_f32_e32 v29, v31, v29
	s_delay_alu instid0(VALU_DEP_2) | instskip(NEXT) | instid1(VALU_DEP_2)
	v_fmamk_f32 v27, v27, 0xb102e308, v32
	v_add_f32_e32 v13, v13, v29
	s_delay_alu instid0(VALU_DEP_2) | instskip(NEXT) | instid1(VALU_DEP_2)
	v_add_f32_e32 v29, v33, v27
	v_add_f32_e32 v31, v30, v13
	s_delay_alu instid0(VALU_DEP_2) | instskip(NEXT) | instid1(VALU_DEP_2)
	v_sub_f32_e32 v33, v29, v33
	v_add_f32_e32 v32, v29, v31
	v_sub_f32_e32 v30, v31, v30
	s_delay_alu instid0(VALU_DEP_3) | instskip(NEXT) | instid1(VALU_DEP_2)
	v_sub_f32_e32 v27, v27, v33
	v_dual_sub_f32 v34, v32, v29 :: v_dual_sub_f32 v13, v13, v30
	s_delay_alu instid0(VALU_DEP_1) | instskip(SKIP_1) | instid1(VALU_DEP_3)
	v_sub_f32_e32 v35, v32, v34
	v_sub_f32_e32 v30, v31, v34
	v_add_f32_e32 v31, v27, v13
	s_delay_alu instid0(VALU_DEP_3) | instskip(NEXT) | instid1(VALU_DEP_1)
	v_sub_f32_e32 v29, v29, v35
	v_dual_add_f32 v29, v30, v29 :: v_dual_sub_f32 v30, v31, v27
	s_delay_alu instid0(VALU_DEP_1) | instskip(NEXT) | instid1(VALU_DEP_2)
	v_add_f32_e32 v29, v31, v29
	v_sub_f32_e32 v31, v31, v30
	v_sub_f32_e32 v13, v13, v30
	s_delay_alu instid0(VALU_DEP_3) | instskip(NEXT) | instid1(VALU_DEP_1)
	v_add_f32_e32 v33, v32, v29
	v_dual_sub_f32 v27, v27, v31 :: v_dual_sub_f32 v30, v33, v32
	s_delay_alu instid0(VALU_DEP_1) | instskip(NEXT) | instid1(VALU_DEP_2)
	v_add_f32_e32 v13, v13, v27
	v_sub_f32_e32 v27, v29, v30
	s_delay_alu instid0(VALU_DEP_1) | instskip(NEXT) | instid1(VALU_DEP_1)
	v_add_f32_e32 v13, v13, v27
	v_add_f32_e32 v13, v33, v13
	s_delay_alu instid0(VALU_DEP_1) | instskip(NEXT) | instid1(VALU_DEP_1)
	v_cndmask_b32_e64 v6, v13, v6, s0
	v_add_f32_e32 v6, v26, v6
	s_delay_alu instid0(VALU_DEP_1) | instskip(NEXT) | instid1(VALU_DEP_1)
	v_cvt_f16_f32_e32 v30, v6
	v_mov_b32_e32 v6, v30
	v_cvt_f32_f16_e32 v13, v30
.LBB420_150:
	s_or_b32 exec_lo, exec_lo, s1
	s_delay_alu instid0(VALU_DEP_1) | instskip(SKIP_1) | instid1(VALU_DEP_2)
	v_dual_max_f32 v26, v22, v22 :: v_dual_max_f32 v27, v13, v13
	v_cmp_u_f16_e64 s0, v30, v30
	v_min_f32_e32 v29, v27, v26
	v_max_f32_e32 v26, v27, v26
	s_delay_alu instid0(VALU_DEP_2) | instskip(NEXT) | instid1(VALU_DEP_2)
	v_cndmask_b32_e64 v27, v29, v13, s0
	v_cndmask_b32_e64 v26, v26, v13, s0
	s_delay_alu instid0(VALU_DEP_2) | instskip(NEXT) | instid1(VALU_DEP_2)
	v_cndmask_b32_e64 v27, v27, v22, s38
	v_cndmask_b32_e64 v26, v26, v22, s38
	v_mov_b32_e32 v22, v6
	s_delay_alu instid0(VALU_DEP_3) | instskip(NEXT) | instid1(VALU_DEP_3)
	v_cmp_class_f32_e64 s1, v27, 0x1f8
	v_cmp_neq_f32_e64 s0, v27, v26
	s_delay_alu instid0(VALU_DEP_1) | instskip(NEXT) | instid1(SALU_CYCLE_1)
	s_or_b32 s0, s0, s1
	s_and_saveexec_b32 s1, s0
	s_cbranch_execz .LBB420_152
; %bb.151:
	v_sub_f32_e32 v13, v27, v26
	s_delay_alu instid0(VALU_DEP_1) | instskip(NEXT) | instid1(VALU_DEP_1)
	v_mul_f32_e32 v22, 0x3fb8aa3b, v13
	v_fma_f32 v27, 0x3fb8aa3b, v13, -v22
	v_rndne_f32_e32 v29, v22
	s_delay_alu instid0(VALU_DEP_1) | instskip(SKIP_1) | instid1(VALU_DEP_2)
	v_dual_sub_f32 v22, v22, v29 :: v_dual_fmamk_f32 v27, v13, 0x32a5705f, v27
	v_cmp_ngt_f32_e64 s0, 0xc2ce8ed0, v13
	v_add_f32_e32 v22, v22, v27
	v_cvt_i32_f32_e32 v27, v29
	s_delay_alu instid0(VALU_DEP_2) | instskip(SKIP_2) | instid1(VALU_DEP_1)
	v_exp_f32_e32 v22, v22
	s_waitcnt_depctr 0xfff
	v_ldexp_f32 v22, v22, v27
	v_cndmask_b32_e64 v22, 0, v22, s0
	v_cmp_nlt_f32_e64 s0, 0x42b17218, v13
	s_delay_alu instid0(VALU_DEP_1) | instskip(NEXT) | instid1(VALU_DEP_1)
	v_cndmask_b32_e64 v13, 0x7f800000, v22, s0
	v_add_f32_e32 v22, 1.0, v13
	v_cmp_gt_f32_e64 s23, 0x33800000, |v13|
	s_delay_alu instid0(VALU_DEP_2) | instskip(NEXT) | instid1(VALU_DEP_1)
	v_cvt_f64_f32_e32 v[29:30], v22
	v_frexp_exp_i32_f64_e32 v27, v[29:30]
	v_frexp_mant_f32_e32 v29, v22
	s_delay_alu instid0(VALU_DEP_1) | instskip(SKIP_1) | instid1(VALU_DEP_1)
	v_cmp_gt_f32_e64 s0, 0x3f2aaaab, v29
	v_add_f32_e32 v29, -1.0, v22
	v_sub_f32_e32 v31, v29, v22
	v_sub_f32_e32 v29, v13, v29
	s_delay_alu instid0(VALU_DEP_2) | instskip(NEXT) | instid1(VALU_DEP_1)
	v_add_f32_e32 v31, 1.0, v31
	v_add_f32_e32 v29, v29, v31
	v_subrev_co_ci_u32_e64 v27, s0, 0, v27, s0
	s_mov_b32 s0, 0x3e9b6dac
	s_delay_alu instid0(VALU_DEP_1) | instskip(SKIP_1) | instid1(VALU_DEP_2)
	v_sub_nc_u32_e32 v30, 0, v27
	v_cvt_f32_i32_e32 v27, v27
	v_ldexp_f32 v22, v22, v30
	v_ldexp_f32 v29, v29, v30
	s_delay_alu instid0(VALU_DEP_2) | instskip(NEXT) | instid1(VALU_DEP_1)
	v_add_f32_e32 v32, 1.0, v22
	v_dual_add_f32 v30, -1.0, v22 :: v_dual_add_f32 v31, -1.0, v32
	s_delay_alu instid0(VALU_DEP_1) | instskip(NEXT) | instid1(VALU_DEP_2)
	v_add_f32_e32 v33, 1.0, v30
	v_sub_f32_e32 v31, v22, v31
	s_delay_alu instid0(VALU_DEP_2) | instskip(NEXT) | instid1(VALU_DEP_1)
	v_sub_f32_e32 v22, v22, v33
	v_add_f32_e32 v22, v29, v22
	s_delay_alu instid0(VALU_DEP_1) | instskip(NEXT) | instid1(VALU_DEP_1)
	v_dual_add_f32 v31, v29, v31 :: v_dual_add_f32 v34, v30, v22
	v_dual_add_f32 v33, v32, v31 :: v_dual_sub_f32 v30, v30, v34
	s_delay_alu instid0(VALU_DEP_1) | instskip(SKIP_1) | instid1(VALU_DEP_1)
	v_rcp_f32_e32 v29, v33
	v_sub_f32_e32 v32, v32, v33
	v_dual_add_f32 v22, v22, v30 :: v_dual_add_f32 v31, v31, v32
	s_waitcnt_depctr 0xfff
	v_mul_f32_e32 v35, v34, v29
	s_delay_alu instid0(VALU_DEP_1) | instskip(NEXT) | instid1(VALU_DEP_1)
	v_mul_f32_e32 v36, v33, v35
	v_fma_f32 v32, v35, v33, -v36
	s_delay_alu instid0(VALU_DEP_1) | instskip(NEXT) | instid1(VALU_DEP_1)
	v_fmac_f32_e32 v32, v35, v31
	v_add_f32_e32 v37, v36, v32
	s_delay_alu instid0(VALU_DEP_1) | instskip(SKIP_1) | instid1(VALU_DEP_2)
	v_sub_f32_e32 v38, v34, v37
	v_sub_f32_e32 v30, v37, v36
	;; [unrolled: 1-line block ×3, first 2 shown]
	s_delay_alu instid0(VALU_DEP_2) | instskip(NEXT) | instid1(VALU_DEP_2)
	v_sub_f32_e32 v30, v30, v32
	v_sub_f32_e32 v34, v34, v37
	s_delay_alu instid0(VALU_DEP_1) | instskip(NEXT) | instid1(VALU_DEP_1)
	v_add_f32_e32 v22, v22, v34
	v_add_f32_e32 v22, v30, v22
	s_delay_alu instid0(VALU_DEP_1) | instskip(NEXT) | instid1(VALU_DEP_1)
	v_add_f32_e32 v30, v38, v22
	v_mul_f32_e32 v32, v29, v30
	s_delay_alu instid0(VALU_DEP_1) | instskip(NEXT) | instid1(VALU_DEP_1)
	v_dual_sub_f32 v37, v38, v30 :: v_dual_mul_f32 v34, v33, v32
	v_add_f32_e32 v22, v22, v37
	s_delay_alu instid0(VALU_DEP_2) | instskip(NEXT) | instid1(VALU_DEP_1)
	v_fma_f32 v33, v32, v33, -v34
	v_fmac_f32_e32 v33, v32, v31
	s_delay_alu instid0(VALU_DEP_1) | instskip(NEXT) | instid1(VALU_DEP_1)
	v_add_f32_e32 v31, v34, v33
	v_sub_f32_e32 v36, v30, v31
	s_delay_alu instid0(VALU_DEP_1) | instskip(NEXT) | instid1(VALU_DEP_1)
	v_sub_f32_e32 v30, v30, v36
	v_sub_f32_e32 v30, v30, v31
	s_delay_alu instid0(VALU_DEP_1) | instskip(SKIP_2) | instid1(VALU_DEP_1)
	v_add_f32_e32 v22, v22, v30
	v_add_f32_e32 v30, v35, v32
	v_sub_f32_e32 v34, v31, v34
	v_sub_f32_e32 v31, v34, v33
	s_delay_alu instid0(VALU_DEP_1) | instskip(NEXT) | instid1(VALU_DEP_1)
	v_dual_add_f32 v22, v31, v22 :: v_dual_sub_f32 v31, v30, v35
	v_add_f32_e32 v22, v36, v22
	s_delay_alu instid0(VALU_DEP_1) | instskip(NEXT) | instid1(VALU_DEP_1)
	v_dual_sub_f32 v31, v32, v31 :: v_dual_mul_f32 v22, v29, v22
	v_add_f32_e32 v22, v31, v22
	s_delay_alu instid0(VALU_DEP_1) | instskip(NEXT) | instid1(VALU_DEP_1)
	v_add_f32_e32 v29, v30, v22
	v_mul_f32_e32 v31, v29, v29
	s_delay_alu instid0(VALU_DEP_1) | instskip(SKIP_2) | instid1(VALU_DEP_3)
	v_fmaak_f32 v32, s0, v31, 0x3ecc95a3
	v_mul_f32_e32 v33, v29, v31
	v_cmp_eq_f32_e64 s0, 0x7f800000, v13
	v_fmaak_f32 v31, v31, v32, 0x3f2aaada
	v_ldexp_f32 v32, v29, 1
	v_sub_f32_e32 v29, v29, v30
	s_delay_alu instid0(VALU_DEP_4) | instskip(NEXT) | instid1(VALU_DEP_3)
	s_or_b32 s0, s0, s23
	v_mul_f32_e32 v31, v33, v31
	s_delay_alu instid0(VALU_DEP_2) | instskip(NEXT) | instid1(VALU_DEP_2)
	v_dual_mul_f32 v33, 0x3f317218, v27 :: v_dual_sub_f32 v22, v22, v29
	v_add_f32_e32 v30, v32, v31
	s_delay_alu instid0(VALU_DEP_2) | instskip(NEXT) | instid1(VALU_DEP_2)
	v_ldexp_f32 v22, v22, 1
	v_sub_f32_e32 v29, v30, v32
	s_delay_alu instid0(VALU_DEP_4) | instskip(NEXT) | instid1(VALU_DEP_2)
	v_fma_f32 v32, 0x3f317218, v27, -v33
	v_sub_f32_e32 v29, v31, v29
	s_delay_alu instid0(VALU_DEP_1) | instskip(NEXT) | instid1(VALU_DEP_1)
	v_dual_fmamk_f32 v27, v27, 0xb102e308, v32 :: v_dual_add_f32 v22, v22, v29
	v_add_f32_e32 v29, v33, v27
	s_delay_alu instid0(VALU_DEP_2) | instskip(NEXT) | instid1(VALU_DEP_2)
	v_add_f32_e32 v31, v30, v22
	v_sub_f32_e32 v33, v29, v33
	s_delay_alu instid0(VALU_DEP_1) | instskip(NEXT) | instid1(VALU_DEP_1)
	v_dual_add_f32 v32, v29, v31 :: v_dual_sub_f32 v27, v27, v33
	v_sub_f32_e32 v34, v32, v29
	v_sub_f32_e32 v30, v31, v30
	s_delay_alu instid0(VALU_DEP_2) | instskip(NEXT) | instid1(VALU_DEP_2)
	v_sub_f32_e32 v35, v32, v34
	v_sub_f32_e32 v22, v22, v30
	s_delay_alu instid0(VALU_DEP_2) | instskip(NEXT) | instid1(VALU_DEP_2)
	v_dual_sub_f32 v30, v31, v34 :: v_dual_sub_f32 v29, v29, v35
	v_add_f32_e32 v31, v27, v22
	s_delay_alu instid0(VALU_DEP_1) | instskip(NEXT) | instid1(VALU_DEP_1)
	v_dual_add_f32 v29, v30, v29 :: v_dual_sub_f32 v30, v31, v27
	v_add_f32_e32 v29, v31, v29
	s_delay_alu instid0(VALU_DEP_2) | instskip(NEXT) | instid1(VALU_DEP_2)
	v_sub_f32_e32 v31, v31, v30
	v_dual_sub_f32 v22, v22, v30 :: v_dual_add_f32 v33, v32, v29
	s_delay_alu instid0(VALU_DEP_1) | instskip(NEXT) | instid1(VALU_DEP_1)
	v_dual_sub_f32 v27, v27, v31 :: v_dual_sub_f32 v30, v33, v32
	v_dual_add_f32 v22, v22, v27 :: v_dual_sub_f32 v27, v29, v30
	s_delay_alu instid0(VALU_DEP_1) | instskip(NEXT) | instid1(VALU_DEP_1)
	v_add_f32_e32 v22, v22, v27
	v_add_f32_e32 v22, v33, v22
	s_delay_alu instid0(VALU_DEP_1) | instskip(NEXT) | instid1(VALU_DEP_1)
	v_cndmask_b32_e64 v13, v22, v13, s0
	v_add_f32_e32 v13, v26, v13
	s_delay_alu instid0(VALU_DEP_1) | instskip(NEXT) | instid1(VALU_DEP_1)
	v_cvt_f16_f32_e32 v30, v13
	v_cvt_f32_f16_e32 v13, v30
	v_mov_b32_e32 v22, v30
.LBB420_152:
	s_or_b32 exec_lo, exec_lo, s1
	s_delay_alu instid0(VALU_DEP_2) | instskip(SKIP_1) | instid1(VALU_DEP_2)
	v_dual_max_f32 v26, v7, v7 :: v_dual_max_f32 v27, v13, v13
	v_cmp_u_f16_e64 s0, v30, v30
	v_min_f32_e32 v29, v27, v26
	v_max_f32_e32 v26, v27, v26
	s_delay_alu instid0(VALU_DEP_2) | instskip(NEXT) | instid1(VALU_DEP_2)
	v_cndmask_b32_e64 v27, v29, v13, s0
	v_cndmask_b32_e64 v26, v26, v13, s0
	s_delay_alu instid0(VALU_DEP_2) | instskip(NEXT) | instid1(VALU_DEP_2)
	v_cndmask_b32_e64 v27, v27, v7, s39
	v_cndmask_b32_e64 v26, v26, v7, s39
	v_mov_b32_e32 v7, v22
	s_delay_alu instid0(VALU_DEP_3) | instskip(NEXT) | instid1(VALU_DEP_3)
	v_cmp_class_f32_e64 s1, v27, 0x1f8
	v_cmp_neq_f32_e64 s0, v27, v26
	s_delay_alu instid0(VALU_DEP_1) | instskip(NEXT) | instid1(SALU_CYCLE_1)
	s_or_b32 s0, s0, s1
	s_and_saveexec_b32 s1, s0
	s_cbranch_execz .LBB420_154
; %bb.153:
	v_sub_f32_e32 v7, v27, v26
	s_delay_alu instid0(VALU_DEP_1) | instskip(SKIP_1) | instid1(VALU_DEP_2)
	v_mul_f32_e32 v13, 0x3fb8aa3b, v7
	v_cmp_ngt_f32_e64 s0, 0xc2ce8ed0, v7
	v_fma_f32 v27, 0x3fb8aa3b, v7, -v13
	v_rndne_f32_e32 v29, v13
	s_delay_alu instid0(VALU_DEP_2) | instskip(NEXT) | instid1(VALU_DEP_2)
	v_fmamk_f32 v27, v7, 0x32a5705f, v27
	v_sub_f32_e32 v13, v13, v29
	s_delay_alu instid0(VALU_DEP_1) | instskip(SKIP_1) | instid1(VALU_DEP_2)
	v_add_f32_e32 v13, v13, v27
	v_cvt_i32_f32_e32 v27, v29
	v_exp_f32_e32 v13, v13
	s_waitcnt_depctr 0xfff
	v_ldexp_f32 v13, v13, v27
	s_delay_alu instid0(VALU_DEP_1) | instskip(SKIP_1) | instid1(VALU_DEP_1)
	v_cndmask_b32_e64 v13, 0, v13, s0
	v_cmp_nlt_f32_e64 s0, 0x42b17218, v7
	v_cndmask_b32_e64 v7, 0x7f800000, v13, s0
	s_delay_alu instid0(VALU_DEP_1) | instskip(SKIP_1) | instid1(VALU_DEP_2)
	v_add_f32_e32 v13, 1.0, v7
	v_cmp_gt_f32_e64 s23, 0x33800000, |v7|
	v_cvt_f64_f32_e32 v[29:30], v13
	s_delay_alu instid0(VALU_DEP_1) | instskip(SKIP_1) | instid1(VALU_DEP_1)
	v_frexp_exp_i32_f64_e32 v27, v[29:30]
	v_frexp_mant_f32_e32 v29, v13
	v_cmp_gt_f32_e64 s0, 0x3f2aaaab, v29
	v_add_f32_e32 v29, -1.0, v13
	s_delay_alu instid0(VALU_DEP_1) | instskip(SKIP_1) | instid1(VALU_DEP_2)
	v_sub_f32_e32 v31, v29, v13
	v_sub_f32_e32 v29, v7, v29
	v_add_f32_e32 v31, 1.0, v31
	s_delay_alu instid0(VALU_DEP_1) | instskip(SKIP_2) | instid1(VALU_DEP_1)
	v_add_f32_e32 v29, v29, v31
	v_subrev_co_ci_u32_e64 v27, s0, 0, v27, s0
	s_mov_b32 s0, 0x3e9b6dac
	v_sub_nc_u32_e32 v30, 0, v27
	v_cvt_f32_i32_e32 v27, v27
	s_delay_alu instid0(VALU_DEP_2) | instskip(SKIP_1) | instid1(VALU_DEP_2)
	v_ldexp_f32 v13, v13, v30
	v_ldexp_f32 v29, v29, v30
	v_add_f32_e32 v32, 1.0, v13
	s_delay_alu instid0(VALU_DEP_1) | instskip(NEXT) | instid1(VALU_DEP_1)
	v_dual_add_f32 v30, -1.0, v13 :: v_dual_add_f32 v31, -1.0, v32
	v_add_f32_e32 v33, 1.0, v30
	s_delay_alu instid0(VALU_DEP_2) | instskip(NEXT) | instid1(VALU_DEP_2)
	v_sub_f32_e32 v31, v13, v31
	v_sub_f32_e32 v13, v13, v33
	s_delay_alu instid0(VALU_DEP_2) | instskip(NEXT) | instid1(VALU_DEP_2)
	v_add_f32_e32 v31, v29, v31
	v_add_f32_e32 v13, v29, v13
	s_delay_alu instid0(VALU_DEP_1) | instskip(NEXT) | instid1(VALU_DEP_1)
	v_dual_add_f32 v33, v32, v31 :: v_dual_add_f32 v34, v30, v13
	v_rcp_f32_e32 v29, v33
	v_sub_f32_e32 v32, v32, v33
	s_delay_alu instid0(VALU_DEP_1) | instskip(SKIP_3) | instid1(VALU_DEP_2)
	v_dual_sub_f32 v30, v30, v34 :: v_dual_add_f32 v31, v31, v32
	s_waitcnt_depctr 0xfff
	v_mul_f32_e32 v35, v34, v29
	v_add_f32_e32 v13, v13, v30
	v_mul_f32_e32 v36, v33, v35
	s_delay_alu instid0(VALU_DEP_1) | instskip(NEXT) | instid1(VALU_DEP_1)
	v_fma_f32 v32, v35, v33, -v36
	v_fmac_f32_e32 v32, v35, v31
	s_delay_alu instid0(VALU_DEP_1) | instskip(NEXT) | instid1(VALU_DEP_1)
	v_add_f32_e32 v37, v36, v32
	v_sub_f32_e32 v38, v34, v37
	v_sub_f32_e32 v30, v37, v36
	s_delay_alu instid0(VALU_DEP_2) | instskip(NEXT) | instid1(VALU_DEP_2)
	v_sub_f32_e32 v34, v34, v38
	v_sub_f32_e32 v30, v30, v32
	s_delay_alu instid0(VALU_DEP_2) | instskip(NEXT) | instid1(VALU_DEP_1)
	v_sub_f32_e32 v34, v34, v37
	v_add_f32_e32 v13, v13, v34
	s_delay_alu instid0(VALU_DEP_1) | instskip(NEXT) | instid1(VALU_DEP_1)
	v_add_f32_e32 v13, v30, v13
	v_add_f32_e32 v30, v38, v13
	s_delay_alu instid0(VALU_DEP_1) | instskip(NEXT) | instid1(VALU_DEP_1)
	v_mul_f32_e32 v32, v29, v30
	v_dual_sub_f32 v37, v38, v30 :: v_dual_mul_f32 v34, v33, v32
	s_delay_alu instid0(VALU_DEP_1) | instskip(NEXT) | instid1(VALU_DEP_2)
	v_add_f32_e32 v13, v13, v37
	v_fma_f32 v33, v32, v33, -v34
	s_delay_alu instid0(VALU_DEP_1) | instskip(NEXT) | instid1(VALU_DEP_1)
	v_fmac_f32_e32 v33, v32, v31
	v_add_f32_e32 v31, v34, v33
	s_delay_alu instid0(VALU_DEP_1) | instskip(SKIP_1) | instid1(VALU_DEP_2)
	v_sub_f32_e32 v36, v30, v31
	v_sub_f32_e32 v34, v31, v34
	;; [unrolled: 1-line block ×3, first 2 shown]
	s_delay_alu instid0(VALU_DEP_1) | instskip(NEXT) | instid1(VALU_DEP_3)
	v_sub_f32_e32 v30, v30, v31
	v_sub_f32_e32 v31, v34, v33
	s_delay_alu instid0(VALU_DEP_2) | instskip(NEXT) | instid1(VALU_DEP_1)
	v_dual_add_f32 v13, v13, v30 :: v_dual_add_f32 v30, v35, v32
	v_add_f32_e32 v13, v31, v13
	s_delay_alu instid0(VALU_DEP_2) | instskip(NEXT) | instid1(VALU_DEP_2)
	v_sub_f32_e32 v31, v30, v35
	v_add_f32_e32 v13, v36, v13
	s_delay_alu instid0(VALU_DEP_2) | instskip(NEXT) | instid1(VALU_DEP_2)
	v_sub_f32_e32 v31, v32, v31
	v_mul_f32_e32 v13, v29, v13
	s_delay_alu instid0(VALU_DEP_1) | instskip(NEXT) | instid1(VALU_DEP_1)
	v_add_f32_e32 v13, v31, v13
	v_add_f32_e32 v29, v30, v13
	s_delay_alu instid0(VALU_DEP_1) | instskip(NEXT) | instid1(VALU_DEP_1)
	v_mul_f32_e32 v31, v29, v29
	v_fmaak_f32 v32, s0, v31, 0x3ecc95a3
	v_mul_f32_e32 v33, v29, v31
	v_cmp_eq_f32_e64 s0, 0x7f800000, v7
	s_delay_alu instid0(VALU_DEP_3) | instskip(SKIP_2) | instid1(VALU_DEP_4)
	v_fmaak_f32 v31, v31, v32, 0x3f2aaada
	v_ldexp_f32 v32, v29, 1
	v_sub_f32_e32 v29, v29, v30
	s_or_b32 s0, s0, s23
	s_delay_alu instid0(VALU_DEP_3) | instskip(SKIP_1) | instid1(VALU_DEP_2)
	v_mul_f32_e32 v31, v33, v31
	v_mul_f32_e32 v33, 0x3f317218, v27
	v_dual_sub_f32 v13, v13, v29 :: v_dual_add_f32 v30, v32, v31
	s_delay_alu instid0(VALU_DEP_1) | instskip(NEXT) | instid1(VALU_DEP_2)
	v_ldexp_f32 v13, v13, 1
	v_sub_f32_e32 v29, v30, v32
	s_delay_alu instid0(VALU_DEP_4) | instskip(NEXT) | instid1(VALU_DEP_2)
	v_fma_f32 v32, 0x3f317218, v27, -v33
	v_sub_f32_e32 v29, v31, v29
	s_delay_alu instid0(VALU_DEP_2) | instskip(NEXT) | instid1(VALU_DEP_2)
	v_fmamk_f32 v27, v27, 0xb102e308, v32
	v_add_f32_e32 v13, v13, v29
	s_delay_alu instid0(VALU_DEP_2) | instskip(NEXT) | instid1(VALU_DEP_2)
	v_add_f32_e32 v29, v33, v27
	v_add_f32_e32 v31, v30, v13
	s_delay_alu instid0(VALU_DEP_2) | instskip(NEXT) | instid1(VALU_DEP_2)
	v_sub_f32_e32 v33, v29, v33
	v_add_f32_e32 v32, v29, v31
	v_sub_f32_e32 v30, v31, v30
	s_delay_alu instid0(VALU_DEP_3) | instskip(NEXT) | instid1(VALU_DEP_2)
	v_sub_f32_e32 v27, v27, v33
	v_dual_sub_f32 v34, v32, v29 :: v_dual_sub_f32 v13, v13, v30
	s_delay_alu instid0(VALU_DEP_1) | instskip(SKIP_1) | instid1(VALU_DEP_3)
	v_sub_f32_e32 v35, v32, v34
	v_sub_f32_e32 v30, v31, v34
	v_add_f32_e32 v31, v27, v13
	s_delay_alu instid0(VALU_DEP_3) | instskip(NEXT) | instid1(VALU_DEP_1)
	v_sub_f32_e32 v29, v29, v35
	v_dual_add_f32 v29, v30, v29 :: v_dual_sub_f32 v30, v31, v27
	s_delay_alu instid0(VALU_DEP_1) | instskip(NEXT) | instid1(VALU_DEP_2)
	v_add_f32_e32 v29, v31, v29
	v_sub_f32_e32 v31, v31, v30
	v_sub_f32_e32 v13, v13, v30
	s_delay_alu instid0(VALU_DEP_3) | instskip(NEXT) | instid1(VALU_DEP_1)
	v_add_f32_e32 v33, v32, v29
	v_dual_sub_f32 v27, v27, v31 :: v_dual_sub_f32 v30, v33, v32
	s_delay_alu instid0(VALU_DEP_1) | instskip(NEXT) | instid1(VALU_DEP_2)
	v_add_f32_e32 v13, v13, v27
	v_sub_f32_e32 v27, v29, v30
	s_delay_alu instid0(VALU_DEP_1) | instskip(NEXT) | instid1(VALU_DEP_1)
	v_add_f32_e32 v13, v13, v27
	v_add_f32_e32 v13, v33, v13
	s_delay_alu instid0(VALU_DEP_1) | instskip(NEXT) | instid1(VALU_DEP_1)
	v_cndmask_b32_e64 v7, v13, v7, s0
	v_add_f32_e32 v7, v26, v7
	s_delay_alu instid0(VALU_DEP_1) | instskip(NEXT) | instid1(VALU_DEP_1)
	v_cvt_f16_f32_e32 v30, v7
	v_cvt_f32_f16_e32 v13, v30
	v_mov_b32_e32 v7, v30
.LBB420_154:
	s_or_b32 exec_lo, exec_lo, s1
	s_delay_alu instid0(VALU_DEP_2) | instskip(SKIP_1) | instid1(VALU_DEP_2)
	v_dual_max_f32 v26, v23, v23 :: v_dual_max_f32 v27, v13, v13
	v_cmp_u_f16_e64 s0, v30, v30
	v_min_f32_e32 v29, v27, v26
	v_max_f32_e32 v26, v27, v26
	s_delay_alu instid0(VALU_DEP_2) | instskip(NEXT) | instid1(VALU_DEP_2)
	v_cndmask_b32_e64 v27, v29, v13, s0
	v_cndmask_b32_e64 v26, v26, v13, s0
	s_delay_alu instid0(VALU_DEP_2) | instskip(NEXT) | instid1(VALU_DEP_2)
	v_cndmask_b32_e64 v27, v27, v23, s40
	v_cndmask_b32_e64 v26, v26, v23, s40
	v_mov_b32_e32 v23, v7
	s_delay_alu instid0(VALU_DEP_3) | instskip(NEXT) | instid1(VALU_DEP_3)
	v_cmp_class_f32_e64 s1, v27, 0x1f8
	v_cmp_neq_f32_e64 s0, v27, v26
	s_delay_alu instid0(VALU_DEP_1) | instskip(NEXT) | instid1(SALU_CYCLE_1)
	s_or_b32 s0, s0, s1
	s_and_saveexec_b32 s1, s0
	s_cbranch_execz .LBB420_156
; %bb.155:
	v_sub_f32_e32 v13, v27, v26
	s_delay_alu instid0(VALU_DEP_1) | instskip(SKIP_1) | instid1(VALU_DEP_2)
	v_mul_f32_e32 v23, 0x3fb8aa3b, v13
	v_cmp_ngt_f32_e64 s0, 0xc2ce8ed0, v13
	v_fma_f32 v27, 0x3fb8aa3b, v13, -v23
	v_rndne_f32_e32 v29, v23
	s_delay_alu instid0(VALU_DEP_2) | instskip(NEXT) | instid1(VALU_DEP_2)
	v_fmamk_f32 v27, v13, 0x32a5705f, v27
	v_sub_f32_e32 v23, v23, v29
	s_delay_alu instid0(VALU_DEP_1) | instskip(SKIP_1) | instid1(VALU_DEP_2)
	v_add_f32_e32 v23, v23, v27
	v_cvt_i32_f32_e32 v27, v29
	v_exp_f32_e32 v23, v23
	s_waitcnt_depctr 0xfff
	v_ldexp_f32 v23, v23, v27
	s_delay_alu instid0(VALU_DEP_1) | instskip(SKIP_1) | instid1(VALU_DEP_1)
	v_cndmask_b32_e64 v23, 0, v23, s0
	v_cmp_nlt_f32_e64 s0, 0x42b17218, v13
	v_cndmask_b32_e64 v13, 0x7f800000, v23, s0
	s_delay_alu instid0(VALU_DEP_1) | instskip(SKIP_1) | instid1(VALU_DEP_2)
	v_add_f32_e32 v23, 1.0, v13
	v_cmp_gt_f32_e64 s23, 0x33800000, |v13|
	v_cvt_f64_f32_e32 v[29:30], v23
	s_delay_alu instid0(VALU_DEP_1) | instskip(SKIP_1) | instid1(VALU_DEP_1)
	v_frexp_exp_i32_f64_e32 v27, v[29:30]
	v_frexp_mant_f32_e32 v29, v23
	v_cmp_gt_f32_e64 s0, 0x3f2aaaab, v29
	v_add_f32_e32 v29, -1.0, v23
	s_delay_alu instid0(VALU_DEP_1) | instskip(SKIP_1) | instid1(VALU_DEP_2)
	v_sub_f32_e32 v31, v29, v23
	v_sub_f32_e32 v29, v13, v29
	v_add_f32_e32 v31, 1.0, v31
	s_delay_alu instid0(VALU_DEP_1) | instskip(SKIP_2) | instid1(VALU_DEP_1)
	v_add_f32_e32 v29, v29, v31
	v_subrev_co_ci_u32_e64 v27, s0, 0, v27, s0
	s_mov_b32 s0, 0x3e9b6dac
	v_sub_nc_u32_e32 v30, 0, v27
	v_cvt_f32_i32_e32 v27, v27
	s_delay_alu instid0(VALU_DEP_2) | instskip(SKIP_1) | instid1(VALU_DEP_2)
	v_ldexp_f32 v23, v23, v30
	v_ldexp_f32 v29, v29, v30
	v_add_f32_e32 v32, 1.0, v23
	s_delay_alu instid0(VALU_DEP_1) | instskip(NEXT) | instid1(VALU_DEP_1)
	v_dual_add_f32 v30, -1.0, v23 :: v_dual_add_f32 v31, -1.0, v32
	v_add_f32_e32 v33, 1.0, v30
	s_delay_alu instid0(VALU_DEP_2) | instskip(NEXT) | instid1(VALU_DEP_2)
	v_sub_f32_e32 v31, v23, v31
	v_sub_f32_e32 v23, v23, v33
	s_delay_alu instid0(VALU_DEP_2) | instskip(NEXT) | instid1(VALU_DEP_2)
	v_add_f32_e32 v31, v29, v31
	v_add_f32_e32 v23, v29, v23
	s_delay_alu instid0(VALU_DEP_2) | instskip(NEXT) | instid1(VALU_DEP_2)
	v_add_f32_e32 v33, v32, v31
	v_add_f32_e32 v34, v30, v23
	s_delay_alu instid0(VALU_DEP_2) | instskip(SKIP_1) | instid1(VALU_DEP_1)
	v_rcp_f32_e32 v29, v33
	v_sub_f32_e32 v32, v32, v33
	v_dual_sub_f32 v30, v30, v34 :: v_dual_add_f32 v31, v31, v32
	s_delay_alu instid0(VALU_DEP_1) | instskip(SKIP_2) | instid1(VALU_DEP_1)
	v_add_f32_e32 v23, v23, v30
	s_waitcnt_depctr 0xfff
	v_mul_f32_e32 v35, v34, v29
	v_mul_f32_e32 v36, v33, v35
	s_delay_alu instid0(VALU_DEP_1) | instskip(NEXT) | instid1(VALU_DEP_1)
	v_fma_f32 v32, v35, v33, -v36
	v_fmac_f32_e32 v32, v35, v31
	s_delay_alu instid0(VALU_DEP_1) | instskip(NEXT) | instid1(VALU_DEP_1)
	v_add_f32_e32 v37, v36, v32
	v_sub_f32_e32 v38, v34, v37
	v_sub_f32_e32 v30, v37, v36
	s_delay_alu instid0(VALU_DEP_2) | instskip(NEXT) | instid1(VALU_DEP_2)
	v_sub_f32_e32 v34, v34, v38
	v_sub_f32_e32 v30, v30, v32
	s_delay_alu instid0(VALU_DEP_2) | instskip(NEXT) | instid1(VALU_DEP_1)
	v_sub_f32_e32 v34, v34, v37
	v_add_f32_e32 v23, v23, v34
	s_delay_alu instid0(VALU_DEP_1) | instskip(NEXT) | instid1(VALU_DEP_1)
	v_add_f32_e32 v23, v30, v23
	v_add_f32_e32 v30, v38, v23
	s_delay_alu instid0(VALU_DEP_1) | instskip(NEXT) | instid1(VALU_DEP_1)
	v_mul_f32_e32 v32, v29, v30
	v_dual_sub_f32 v37, v38, v30 :: v_dual_mul_f32 v34, v33, v32
	s_delay_alu instid0(VALU_DEP_1) | instskip(NEXT) | instid1(VALU_DEP_2)
	v_add_f32_e32 v23, v23, v37
	v_fma_f32 v33, v32, v33, -v34
	s_delay_alu instid0(VALU_DEP_1) | instskip(NEXT) | instid1(VALU_DEP_1)
	v_fmac_f32_e32 v33, v32, v31
	v_add_f32_e32 v31, v34, v33
	s_delay_alu instid0(VALU_DEP_1) | instskip(SKIP_1) | instid1(VALU_DEP_2)
	v_sub_f32_e32 v36, v30, v31
	v_sub_f32_e32 v34, v31, v34
	;; [unrolled: 1-line block ×3, first 2 shown]
	s_delay_alu instid0(VALU_DEP_1) | instskip(NEXT) | instid1(VALU_DEP_3)
	v_sub_f32_e32 v30, v30, v31
	v_sub_f32_e32 v31, v34, v33
	s_delay_alu instid0(VALU_DEP_2) | instskip(SKIP_1) | instid1(VALU_DEP_2)
	v_add_f32_e32 v23, v23, v30
	v_add_f32_e32 v30, v35, v32
	;; [unrolled: 1-line block ×3, first 2 shown]
	s_delay_alu instid0(VALU_DEP_2) | instskip(NEXT) | instid1(VALU_DEP_2)
	v_sub_f32_e32 v31, v30, v35
	v_add_f32_e32 v23, v36, v23
	s_delay_alu instid0(VALU_DEP_2) | instskip(NEXT) | instid1(VALU_DEP_2)
	v_sub_f32_e32 v31, v32, v31
	v_mul_f32_e32 v23, v29, v23
	s_delay_alu instid0(VALU_DEP_1) | instskip(NEXT) | instid1(VALU_DEP_1)
	v_add_f32_e32 v23, v31, v23
	v_add_f32_e32 v29, v30, v23
	s_delay_alu instid0(VALU_DEP_1) | instskip(NEXT) | instid1(VALU_DEP_1)
	v_mul_f32_e32 v31, v29, v29
	v_fmaak_f32 v32, s0, v31, 0x3ecc95a3
	v_mul_f32_e32 v33, v29, v31
	v_cmp_eq_f32_e64 s0, 0x7f800000, v13
	s_delay_alu instid0(VALU_DEP_3) | instskip(SKIP_2) | instid1(VALU_DEP_4)
	v_fmaak_f32 v31, v31, v32, 0x3f2aaada
	v_ldexp_f32 v32, v29, 1
	v_sub_f32_e32 v29, v29, v30
	s_or_b32 s0, s0, s23
	s_delay_alu instid0(VALU_DEP_3) | instskip(SKIP_1) | instid1(VALU_DEP_2)
	v_mul_f32_e32 v31, v33, v31
	v_mul_f32_e32 v33, 0x3f317218, v27
	v_dual_sub_f32 v23, v23, v29 :: v_dual_add_f32 v30, v32, v31
	s_delay_alu instid0(VALU_DEP_1) | instskip(NEXT) | instid1(VALU_DEP_2)
	v_ldexp_f32 v23, v23, 1
	v_sub_f32_e32 v29, v30, v32
	s_delay_alu instid0(VALU_DEP_4) | instskip(NEXT) | instid1(VALU_DEP_2)
	v_fma_f32 v32, 0x3f317218, v27, -v33
	v_sub_f32_e32 v29, v31, v29
	s_delay_alu instid0(VALU_DEP_2) | instskip(NEXT) | instid1(VALU_DEP_2)
	v_fmamk_f32 v27, v27, 0xb102e308, v32
	v_add_f32_e32 v23, v23, v29
	s_delay_alu instid0(VALU_DEP_2) | instskip(NEXT) | instid1(VALU_DEP_2)
	v_add_f32_e32 v29, v33, v27
	v_add_f32_e32 v31, v30, v23
	s_delay_alu instid0(VALU_DEP_2) | instskip(NEXT) | instid1(VALU_DEP_2)
	v_sub_f32_e32 v33, v29, v33
	v_add_f32_e32 v32, v29, v31
	v_sub_f32_e32 v30, v31, v30
	s_delay_alu instid0(VALU_DEP_3) | instskip(NEXT) | instid1(VALU_DEP_2)
	v_sub_f32_e32 v27, v27, v33
	v_dual_sub_f32 v34, v32, v29 :: v_dual_sub_f32 v23, v23, v30
	s_delay_alu instid0(VALU_DEP_1) | instskip(SKIP_1) | instid1(VALU_DEP_3)
	v_sub_f32_e32 v35, v32, v34
	v_sub_f32_e32 v30, v31, v34
	v_add_f32_e32 v31, v27, v23
	s_delay_alu instid0(VALU_DEP_3) | instskip(NEXT) | instid1(VALU_DEP_1)
	v_sub_f32_e32 v29, v29, v35
	v_dual_add_f32 v29, v30, v29 :: v_dual_sub_f32 v30, v31, v27
	s_delay_alu instid0(VALU_DEP_1) | instskip(NEXT) | instid1(VALU_DEP_2)
	v_add_f32_e32 v29, v31, v29
	v_sub_f32_e32 v31, v31, v30
	v_sub_f32_e32 v23, v23, v30
	s_delay_alu instid0(VALU_DEP_3) | instskip(NEXT) | instid1(VALU_DEP_1)
	v_add_f32_e32 v33, v32, v29
	v_dual_sub_f32 v27, v27, v31 :: v_dual_sub_f32 v30, v33, v32
	s_delay_alu instid0(VALU_DEP_1) | instskip(NEXT) | instid1(VALU_DEP_2)
	v_add_f32_e32 v23, v23, v27
	v_sub_f32_e32 v27, v29, v30
	s_delay_alu instid0(VALU_DEP_1) | instskip(NEXT) | instid1(VALU_DEP_1)
	v_add_f32_e32 v23, v23, v27
	v_add_f32_e32 v23, v33, v23
	s_delay_alu instid0(VALU_DEP_1) | instskip(NEXT) | instid1(VALU_DEP_1)
	v_cndmask_b32_e64 v13, v23, v13, s0
	v_add_f32_e32 v13, v26, v13
	s_delay_alu instid0(VALU_DEP_1) | instskip(NEXT) | instid1(VALU_DEP_1)
	v_cvt_f16_f32_e32 v30, v13
	v_cvt_f32_f16_e32 v13, v30
	v_mov_b32_e32 v23, v30
.LBB420_156:
	s_or_b32 exec_lo, exec_lo, s1
	s_delay_alu instid0(VALU_DEP_2) | instskip(SKIP_1) | instid1(VALU_DEP_2)
	v_dual_max_f32 v26, v4, v4 :: v_dual_max_f32 v27, v13, v13
	v_cmp_u_f16_e64 s0, v30, v30
	v_min_f32_e32 v29, v27, v26
	v_max_f32_e32 v26, v27, v26
	s_delay_alu instid0(VALU_DEP_2) | instskip(NEXT) | instid1(VALU_DEP_2)
	v_cndmask_b32_e64 v27, v29, v13, s0
	v_cndmask_b32_e64 v26, v26, v13, s0
	s_delay_alu instid0(VALU_DEP_2) | instskip(NEXT) | instid1(VALU_DEP_2)
	v_cndmask_b32_e64 v27, v27, v4, s41
	v_cndmask_b32_e64 v26, v26, v4, s41
	v_mov_b32_e32 v4, v23
	s_delay_alu instid0(VALU_DEP_3) | instskip(NEXT) | instid1(VALU_DEP_3)
	v_cmp_class_f32_e64 s1, v27, 0x1f8
	v_cmp_neq_f32_e64 s0, v27, v26
	s_delay_alu instid0(VALU_DEP_1) | instskip(NEXT) | instid1(SALU_CYCLE_1)
	s_or_b32 s0, s0, s1
	s_and_saveexec_b32 s1, s0
	s_cbranch_execz .LBB420_158
; %bb.157:
	v_sub_f32_e32 v4, v27, v26
	s_delay_alu instid0(VALU_DEP_1) | instskip(NEXT) | instid1(VALU_DEP_1)
	v_mul_f32_e32 v13, 0x3fb8aa3b, v4
	v_fma_f32 v27, 0x3fb8aa3b, v4, -v13
	v_rndne_f32_e32 v29, v13
	s_delay_alu instid0(VALU_DEP_1) | instskip(NEXT) | instid1(VALU_DEP_3)
	v_sub_f32_e32 v13, v13, v29
	v_fmamk_f32 v27, v4, 0x32a5705f, v27
	v_cmp_ngt_f32_e64 s0, 0xc2ce8ed0, v4
	s_delay_alu instid0(VALU_DEP_2) | instskip(SKIP_1) | instid1(VALU_DEP_2)
	v_add_f32_e32 v13, v13, v27
	v_cvt_i32_f32_e32 v27, v29
	v_exp_f32_e32 v13, v13
	s_waitcnt_depctr 0xfff
	v_ldexp_f32 v13, v13, v27
	s_delay_alu instid0(VALU_DEP_1) | instskip(SKIP_1) | instid1(VALU_DEP_1)
	v_cndmask_b32_e64 v13, 0, v13, s0
	v_cmp_nlt_f32_e64 s0, 0x42b17218, v4
	v_cndmask_b32_e64 v4, 0x7f800000, v13, s0
	s_delay_alu instid0(VALU_DEP_1) | instskip(SKIP_1) | instid1(VALU_DEP_2)
	v_add_f32_e32 v13, 1.0, v4
	v_cmp_gt_f32_e64 s23, 0x33800000, |v4|
	v_cvt_f64_f32_e32 v[29:30], v13
	s_delay_alu instid0(VALU_DEP_1) | instskip(SKIP_1) | instid1(VALU_DEP_1)
	v_frexp_exp_i32_f64_e32 v27, v[29:30]
	v_frexp_mant_f32_e32 v29, v13
	v_cmp_gt_f32_e64 s0, 0x3f2aaaab, v29
	v_add_f32_e32 v29, -1.0, v13
	s_delay_alu instid0(VALU_DEP_1) | instskip(SKIP_1) | instid1(VALU_DEP_4)
	v_sub_f32_e32 v31, v29, v13
	v_sub_f32_e32 v29, v4, v29
	v_subrev_co_ci_u32_e64 v27, s0, 0, v27, s0
	s_mov_b32 s0, 0x3e9b6dac
	s_delay_alu instid0(VALU_DEP_1) | instskip(SKIP_1) | instid1(VALU_DEP_2)
	v_sub_nc_u32_e32 v30, 0, v27
	v_cvt_f32_i32_e32 v27, v27
	v_ldexp_f32 v13, v13, v30
	s_delay_alu instid0(VALU_DEP_1) | instskip(NEXT) | instid1(VALU_DEP_1)
	v_dual_add_f32 v31, 1.0, v31 :: v_dual_add_f32 v32, 1.0, v13
	v_add_f32_e32 v29, v29, v31
	s_delay_alu instid0(VALU_DEP_2) | instskip(NEXT) | instid1(VALU_DEP_2)
	v_add_f32_e32 v31, -1.0, v32
	v_ldexp_f32 v29, v29, v30
	s_delay_alu instid0(VALU_DEP_2) | instskip(NEXT) | instid1(VALU_DEP_1)
	v_dual_add_f32 v30, -1.0, v13 :: v_dual_sub_f32 v31, v13, v31
	v_add_f32_e32 v33, 1.0, v30
	s_delay_alu instid0(VALU_DEP_2) | instskip(NEXT) | instid1(VALU_DEP_2)
	v_add_f32_e32 v31, v29, v31
	v_sub_f32_e32 v13, v13, v33
	s_delay_alu instid0(VALU_DEP_2) | instskip(NEXT) | instid1(VALU_DEP_2)
	v_add_f32_e32 v33, v32, v31
	v_add_f32_e32 v13, v29, v13
	s_delay_alu instid0(VALU_DEP_2) | instskip(SKIP_1) | instid1(VALU_DEP_1)
	v_rcp_f32_e32 v29, v33
	v_sub_f32_e32 v32, v32, v33
	v_dual_add_f32 v34, v30, v13 :: v_dual_add_f32 v31, v31, v32
	s_delay_alu instid0(VALU_DEP_1) | instskip(SKIP_3) | instid1(VALU_DEP_2)
	v_sub_f32_e32 v30, v30, v34
	s_waitcnt_depctr 0xfff
	v_mul_f32_e32 v35, v34, v29
	v_add_f32_e32 v13, v13, v30
	v_mul_f32_e32 v36, v33, v35
	s_delay_alu instid0(VALU_DEP_1) | instskip(NEXT) | instid1(VALU_DEP_1)
	v_fma_f32 v32, v35, v33, -v36
	v_fmac_f32_e32 v32, v35, v31
	s_delay_alu instid0(VALU_DEP_1) | instskip(NEXT) | instid1(VALU_DEP_1)
	v_add_f32_e32 v37, v36, v32
	v_sub_f32_e32 v38, v34, v37
	v_sub_f32_e32 v30, v37, v36
	s_delay_alu instid0(VALU_DEP_2) | instskip(NEXT) | instid1(VALU_DEP_2)
	v_sub_f32_e32 v34, v34, v38
	v_sub_f32_e32 v30, v30, v32
	s_delay_alu instid0(VALU_DEP_2) | instskip(NEXT) | instid1(VALU_DEP_1)
	v_sub_f32_e32 v34, v34, v37
	v_add_f32_e32 v13, v13, v34
	s_delay_alu instid0(VALU_DEP_1) | instskip(NEXT) | instid1(VALU_DEP_1)
	v_add_f32_e32 v13, v30, v13
	v_add_f32_e32 v30, v38, v13
	s_delay_alu instid0(VALU_DEP_1) | instskip(NEXT) | instid1(VALU_DEP_1)
	v_mul_f32_e32 v32, v29, v30
	v_dual_sub_f32 v37, v38, v30 :: v_dual_mul_f32 v34, v33, v32
	s_delay_alu instid0(VALU_DEP_1) | instskip(NEXT) | instid1(VALU_DEP_2)
	v_add_f32_e32 v13, v13, v37
	v_fma_f32 v33, v32, v33, -v34
	s_delay_alu instid0(VALU_DEP_1) | instskip(NEXT) | instid1(VALU_DEP_1)
	v_fmac_f32_e32 v33, v32, v31
	v_add_f32_e32 v31, v34, v33
	s_delay_alu instid0(VALU_DEP_1) | instskip(SKIP_1) | instid1(VALU_DEP_2)
	v_sub_f32_e32 v36, v30, v31
	v_sub_f32_e32 v34, v31, v34
	;; [unrolled: 1-line block ×3, first 2 shown]
	s_delay_alu instid0(VALU_DEP_1) | instskip(NEXT) | instid1(VALU_DEP_3)
	v_sub_f32_e32 v30, v30, v31
	v_sub_f32_e32 v31, v34, v33
	s_delay_alu instid0(VALU_DEP_2) | instskip(NEXT) | instid1(VALU_DEP_1)
	v_dual_add_f32 v13, v13, v30 :: v_dual_add_f32 v30, v35, v32
	v_add_f32_e32 v13, v31, v13
	s_delay_alu instid0(VALU_DEP_2) | instskip(NEXT) | instid1(VALU_DEP_2)
	v_sub_f32_e32 v31, v30, v35
	v_add_f32_e32 v13, v36, v13
	s_delay_alu instid0(VALU_DEP_2) | instskip(NEXT) | instid1(VALU_DEP_2)
	v_sub_f32_e32 v31, v32, v31
	v_mul_f32_e32 v13, v29, v13
	s_delay_alu instid0(VALU_DEP_1) | instskip(NEXT) | instid1(VALU_DEP_1)
	v_add_f32_e32 v13, v31, v13
	v_add_f32_e32 v29, v30, v13
	s_delay_alu instid0(VALU_DEP_1) | instskip(NEXT) | instid1(VALU_DEP_1)
	v_mul_f32_e32 v31, v29, v29
	v_fmaak_f32 v32, s0, v31, 0x3ecc95a3
	v_mul_f32_e32 v33, v29, v31
	v_cmp_eq_f32_e64 s0, 0x7f800000, v4
	s_delay_alu instid0(VALU_DEP_3) | instskip(SKIP_2) | instid1(VALU_DEP_4)
	v_fmaak_f32 v31, v31, v32, 0x3f2aaada
	v_ldexp_f32 v32, v29, 1
	v_sub_f32_e32 v29, v29, v30
	s_or_b32 s0, s0, s23
	s_delay_alu instid0(VALU_DEP_3) | instskip(SKIP_1) | instid1(VALU_DEP_2)
	v_mul_f32_e32 v31, v33, v31
	v_mul_f32_e32 v33, 0x3f317218, v27
	v_dual_sub_f32 v13, v13, v29 :: v_dual_add_f32 v30, v32, v31
	s_delay_alu instid0(VALU_DEP_1) | instskip(NEXT) | instid1(VALU_DEP_2)
	v_ldexp_f32 v13, v13, 1
	v_sub_f32_e32 v29, v30, v32
	s_delay_alu instid0(VALU_DEP_4) | instskip(NEXT) | instid1(VALU_DEP_2)
	v_fma_f32 v32, 0x3f317218, v27, -v33
	v_sub_f32_e32 v29, v31, v29
	s_delay_alu instid0(VALU_DEP_2) | instskip(NEXT) | instid1(VALU_DEP_2)
	v_fmamk_f32 v27, v27, 0xb102e308, v32
	v_add_f32_e32 v13, v13, v29
	s_delay_alu instid0(VALU_DEP_2) | instskip(NEXT) | instid1(VALU_DEP_2)
	v_add_f32_e32 v29, v33, v27
	v_add_f32_e32 v31, v30, v13
	s_delay_alu instid0(VALU_DEP_2) | instskip(NEXT) | instid1(VALU_DEP_2)
	v_sub_f32_e32 v33, v29, v33
	v_add_f32_e32 v32, v29, v31
	v_sub_f32_e32 v30, v31, v30
	s_delay_alu instid0(VALU_DEP_3) | instskip(NEXT) | instid1(VALU_DEP_2)
	v_sub_f32_e32 v27, v27, v33
	v_dual_sub_f32 v34, v32, v29 :: v_dual_sub_f32 v13, v13, v30
	s_delay_alu instid0(VALU_DEP_1) | instskip(SKIP_1) | instid1(VALU_DEP_3)
	v_sub_f32_e32 v35, v32, v34
	v_sub_f32_e32 v30, v31, v34
	v_add_f32_e32 v31, v27, v13
	s_delay_alu instid0(VALU_DEP_3) | instskip(NEXT) | instid1(VALU_DEP_1)
	v_sub_f32_e32 v29, v29, v35
	v_dual_add_f32 v29, v30, v29 :: v_dual_sub_f32 v30, v31, v27
	s_delay_alu instid0(VALU_DEP_1) | instskip(NEXT) | instid1(VALU_DEP_2)
	v_add_f32_e32 v29, v31, v29
	v_sub_f32_e32 v31, v31, v30
	v_sub_f32_e32 v13, v13, v30
	s_delay_alu instid0(VALU_DEP_3) | instskip(NEXT) | instid1(VALU_DEP_1)
	v_add_f32_e32 v33, v32, v29
	v_dual_sub_f32 v27, v27, v31 :: v_dual_sub_f32 v30, v33, v32
	s_delay_alu instid0(VALU_DEP_1) | instskip(NEXT) | instid1(VALU_DEP_2)
	v_add_f32_e32 v13, v13, v27
	v_sub_f32_e32 v27, v29, v30
	s_delay_alu instid0(VALU_DEP_1) | instskip(NEXT) | instid1(VALU_DEP_1)
	v_add_f32_e32 v13, v13, v27
	v_add_f32_e32 v13, v33, v13
	s_delay_alu instid0(VALU_DEP_1) | instskip(NEXT) | instid1(VALU_DEP_1)
	v_cndmask_b32_e64 v4, v13, v4, s0
	v_add_f32_e32 v4, v26, v4
	s_delay_alu instid0(VALU_DEP_1) | instskip(NEXT) | instid1(VALU_DEP_1)
	v_cvt_f16_f32_e32 v30, v4
	v_mov_b32_e32 v4, v30
	v_cvt_f32_f16_e32 v13, v30
.LBB420_158:
	s_or_b32 exec_lo, exec_lo, s1
	s_delay_alu instid0(VALU_DEP_1) | instskip(SKIP_1) | instid1(VALU_DEP_2)
	v_dual_max_f32 v26, v24, v24 :: v_dual_max_f32 v27, v13, v13
	v_cmp_u_f16_e64 s0, v30, v30
	v_min_f32_e32 v29, v27, v26
	v_max_f32_e32 v26, v27, v26
	s_delay_alu instid0(VALU_DEP_2) | instskip(NEXT) | instid1(VALU_DEP_2)
	v_cndmask_b32_e64 v27, v29, v13, s0
	v_cndmask_b32_e64 v26, v26, v13, s0
	s_delay_alu instid0(VALU_DEP_2) | instskip(NEXT) | instid1(VALU_DEP_2)
	v_cndmask_b32_e64 v27, v27, v24, s42
	v_cndmask_b32_e64 v26, v26, v24, s42
	v_mov_b32_e32 v24, v4
	s_delay_alu instid0(VALU_DEP_3) | instskip(NEXT) | instid1(VALU_DEP_3)
	v_cmp_class_f32_e64 s1, v27, 0x1f8
	v_cmp_neq_f32_e64 s0, v27, v26
	s_delay_alu instid0(VALU_DEP_1) | instskip(NEXT) | instid1(SALU_CYCLE_1)
	s_or_b32 s0, s0, s1
	s_and_saveexec_b32 s1, s0
	s_cbranch_execz .LBB420_160
; %bb.159:
	v_sub_f32_e32 v13, v27, v26
	s_delay_alu instid0(VALU_DEP_1) | instskip(NEXT) | instid1(VALU_DEP_1)
	v_mul_f32_e32 v24, 0x3fb8aa3b, v13
	v_fma_f32 v27, 0x3fb8aa3b, v13, -v24
	v_rndne_f32_e32 v29, v24
	s_delay_alu instid0(VALU_DEP_1) | instskip(SKIP_1) | instid1(VALU_DEP_2)
	v_dual_sub_f32 v24, v24, v29 :: v_dual_fmamk_f32 v27, v13, 0x32a5705f, v27
	v_cmp_ngt_f32_e64 s0, 0xc2ce8ed0, v13
	v_add_f32_e32 v24, v24, v27
	v_cvt_i32_f32_e32 v27, v29
	s_delay_alu instid0(VALU_DEP_2) | instskip(SKIP_2) | instid1(VALU_DEP_1)
	v_exp_f32_e32 v24, v24
	s_waitcnt_depctr 0xfff
	v_ldexp_f32 v24, v24, v27
	v_cndmask_b32_e64 v24, 0, v24, s0
	v_cmp_nlt_f32_e64 s0, 0x42b17218, v13
	s_delay_alu instid0(VALU_DEP_1) | instskip(NEXT) | instid1(VALU_DEP_1)
	v_cndmask_b32_e64 v13, 0x7f800000, v24, s0
	v_add_f32_e32 v24, 1.0, v13
	v_cmp_gt_f32_e64 s23, 0x33800000, |v13|
	s_delay_alu instid0(VALU_DEP_2) | instskip(NEXT) | instid1(VALU_DEP_1)
	v_cvt_f64_f32_e32 v[29:30], v24
	v_frexp_exp_i32_f64_e32 v27, v[29:30]
	v_frexp_mant_f32_e32 v29, v24
	s_delay_alu instid0(VALU_DEP_1) | instskip(SKIP_1) | instid1(VALU_DEP_1)
	v_cmp_gt_f32_e64 s0, 0x3f2aaaab, v29
	v_add_f32_e32 v29, -1.0, v24
	v_sub_f32_e32 v31, v29, v24
	v_sub_f32_e32 v29, v13, v29
	s_delay_alu instid0(VALU_DEP_2) | instskip(NEXT) | instid1(VALU_DEP_1)
	v_add_f32_e32 v31, 1.0, v31
	v_add_f32_e32 v29, v29, v31
	v_subrev_co_ci_u32_e64 v27, s0, 0, v27, s0
	s_mov_b32 s0, 0x3e9b6dac
	s_delay_alu instid0(VALU_DEP_1) | instskip(SKIP_1) | instid1(VALU_DEP_2)
	v_sub_nc_u32_e32 v30, 0, v27
	v_cvt_f32_i32_e32 v27, v27
	v_ldexp_f32 v24, v24, v30
	v_ldexp_f32 v29, v29, v30
	s_delay_alu instid0(VALU_DEP_2) | instskip(NEXT) | instid1(VALU_DEP_1)
	v_add_f32_e32 v32, 1.0, v24
	v_add_f32_e32 v31, -1.0, v32
	s_delay_alu instid0(VALU_DEP_1) | instskip(NEXT) | instid1(VALU_DEP_1)
	v_dual_add_f32 v30, -1.0, v24 :: v_dual_sub_f32 v31, v24, v31
	v_add_f32_e32 v33, 1.0, v30
	s_delay_alu instid0(VALU_DEP_1) | instskip(NEXT) | instid1(VALU_DEP_1)
	v_sub_f32_e32 v24, v24, v33
	v_add_f32_e32 v24, v29, v24
	s_delay_alu instid0(VALU_DEP_1) | instskip(NEXT) | instid1(VALU_DEP_1)
	v_dual_add_f32 v31, v29, v31 :: v_dual_add_f32 v34, v30, v24
	v_dual_add_f32 v33, v32, v31 :: v_dual_sub_f32 v30, v30, v34
	s_delay_alu instid0(VALU_DEP_1) | instskip(SKIP_1) | instid1(VALU_DEP_1)
	v_rcp_f32_e32 v29, v33
	v_sub_f32_e32 v32, v32, v33
	v_dual_add_f32 v24, v24, v30 :: v_dual_add_f32 v31, v31, v32
	s_waitcnt_depctr 0xfff
	v_mul_f32_e32 v35, v34, v29
	s_delay_alu instid0(VALU_DEP_1) | instskip(NEXT) | instid1(VALU_DEP_1)
	v_mul_f32_e32 v36, v33, v35
	v_fma_f32 v32, v35, v33, -v36
	s_delay_alu instid0(VALU_DEP_1) | instskip(NEXT) | instid1(VALU_DEP_1)
	v_fmac_f32_e32 v32, v35, v31
	v_add_f32_e32 v37, v36, v32
	s_delay_alu instid0(VALU_DEP_1) | instskip(NEXT) | instid1(VALU_DEP_1)
	v_sub_f32_e32 v38, v34, v37
	v_sub_f32_e32 v34, v34, v38
	;; [unrolled: 1-line block ×3, first 2 shown]
	s_delay_alu instid0(VALU_DEP_2) | instskip(NEXT) | instid1(VALU_DEP_2)
	v_sub_f32_e32 v34, v34, v37
	v_sub_f32_e32 v30, v30, v32
	s_delay_alu instid0(VALU_DEP_2) | instskip(NEXT) | instid1(VALU_DEP_1)
	v_add_f32_e32 v24, v24, v34
	v_add_f32_e32 v24, v30, v24
	s_delay_alu instid0(VALU_DEP_1) | instskip(NEXT) | instid1(VALU_DEP_1)
	v_add_f32_e32 v30, v38, v24
	v_mul_f32_e32 v32, v29, v30
	s_delay_alu instid0(VALU_DEP_1) | instskip(NEXT) | instid1(VALU_DEP_1)
	v_dual_sub_f32 v37, v38, v30 :: v_dual_mul_f32 v34, v33, v32
	v_add_f32_e32 v24, v24, v37
	s_delay_alu instid0(VALU_DEP_2) | instskip(NEXT) | instid1(VALU_DEP_1)
	v_fma_f32 v33, v32, v33, -v34
	v_fmac_f32_e32 v33, v32, v31
	s_delay_alu instid0(VALU_DEP_1) | instskip(NEXT) | instid1(VALU_DEP_1)
	v_add_f32_e32 v31, v34, v33
	v_sub_f32_e32 v36, v30, v31
	s_delay_alu instid0(VALU_DEP_1) | instskip(NEXT) | instid1(VALU_DEP_1)
	v_sub_f32_e32 v30, v30, v36
	v_sub_f32_e32 v30, v30, v31
	s_delay_alu instid0(VALU_DEP_1) | instskip(SKIP_2) | instid1(VALU_DEP_1)
	v_add_f32_e32 v24, v24, v30
	v_add_f32_e32 v30, v35, v32
	v_sub_f32_e32 v34, v31, v34
	v_sub_f32_e32 v31, v34, v33
	s_delay_alu instid0(VALU_DEP_1) | instskip(NEXT) | instid1(VALU_DEP_1)
	v_dual_add_f32 v24, v31, v24 :: v_dual_sub_f32 v31, v30, v35
	v_add_f32_e32 v24, v36, v24
	s_delay_alu instid0(VALU_DEP_1) | instskip(NEXT) | instid1(VALU_DEP_1)
	v_dual_sub_f32 v31, v32, v31 :: v_dual_mul_f32 v24, v29, v24
	v_add_f32_e32 v24, v31, v24
	s_delay_alu instid0(VALU_DEP_1) | instskip(NEXT) | instid1(VALU_DEP_1)
	v_add_f32_e32 v29, v30, v24
	v_mul_f32_e32 v31, v29, v29
	s_delay_alu instid0(VALU_DEP_1) | instskip(SKIP_2) | instid1(VALU_DEP_3)
	v_fmaak_f32 v32, s0, v31, 0x3ecc95a3
	v_mul_f32_e32 v33, v29, v31
	v_cmp_eq_f32_e64 s0, 0x7f800000, v13
	v_fmaak_f32 v31, v31, v32, 0x3f2aaada
	v_ldexp_f32 v32, v29, 1
	v_sub_f32_e32 v29, v29, v30
	s_delay_alu instid0(VALU_DEP_4) | instskip(NEXT) | instid1(VALU_DEP_3)
	s_or_b32 s0, s0, s23
	v_mul_f32_e32 v31, v33, v31
	s_delay_alu instid0(VALU_DEP_2) | instskip(NEXT) | instid1(VALU_DEP_2)
	v_dual_mul_f32 v33, 0x3f317218, v27 :: v_dual_sub_f32 v24, v24, v29
	v_add_f32_e32 v30, v32, v31
	s_delay_alu instid0(VALU_DEP_2) | instskip(NEXT) | instid1(VALU_DEP_2)
	v_ldexp_f32 v24, v24, 1
	v_sub_f32_e32 v29, v30, v32
	s_delay_alu instid0(VALU_DEP_4) | instskip(NEXT) | instid1(VALU_DEP_2)
	v_fma_f32 v32, 0x3f317218, v27, -v33
	v_sub_f32_e32 v29, v31, v29
	s_delay_alu instid0(VALU_DEP_1) | instskip(NEXT) | instid1(VALU_DEP_1)
	v_dual_fmamk_f32 v27, v27, 0xb102e308, v32 :: v_dual_add_f32 v24, v24, v29
	v_add_f32_e32 v29, v33, v27
	s_delay_alu instid0(VALU_DEP_1) | instskip(NEXT) | instid1(VALU_DEP_1)
	v_sub_f32_e32 v33, v29, v33
	v_sub_f32_e32 v27, v27, v33
	s_delay_alu instid0(VALU_DEP_4) | instskip(NEXT) | instid1(VALU_DEP_1)
	v_add_f32_e32 v31, v30, v24
	v_sub_f32_e32 v30, v31, v30
	s_delay_alu instid0(VALU_DEP_1) | instskip(SKIP_1) | instid1(VALU_DEP_1)
	v_sub_f32_e32 v24, v24, v30
	v_add_f32_e32 v32, v29, v31
	v_sub_f32_e32 v34, v32, v29
	s_delay_alu instid0(VALU_DEP_1) | instskip(NEXT) | instid1(VALU_DEP_4)
	v_sub_f32_e32 v30, v31, v34
	v_add_f32_e32 v31, v27, v24
	v_sub_f32_e32 v35, v32, v34
	s_delay_alu instid0(VALU_DEP_1) | instskip(NEXT) | instid1(VALU_DEP_1)
	v_sub_f32_e32 v29, v29, v35
	v_dual_add_f32 v29, v30, v29 :: v_dual_sub_f32 v30, v31, v27
	s_delay_alu instid0(VALU_DEP_1) | instskip(SKIP_1) | instid1(VALU_DEP_2)
	v_dual_add_f32 v29, v31, v29 :: v_dual_sub_f32 v24, v24, v30
	v_sub_f32_e32 v31, v31, v30
	v_add_f32_e32 v33, v32, v29
	s_delay_alu instid0(VALU_DEP_1) | instskip(NEXT) | instid1(VALU_DEP_1)
	v_dual_sub_f32 v27, v27, v31 :: v_dual_sub_f32 v30, v33, v32
	v_dual_add_f32 v24, v24, v27 :: v_dual_sub_f32 v27, v29, v30
	s_delay_alu instid0(VALU_DEP_1) | instskip(NEXT) | instid1(VALU_DEP_1)
	v_add_f32_e32 v24, v24, v27
	v_add_f32_e32 v24, v33, v24
	s_delay_alu instid0(VALU_DEP_1) | instskip(NEXT) | instid1(VALU_DEP_1)
	v_cndmask_b32_e64 v13, v24, v13, s0
	v_add_f32_e32 v13, v26, v13
	s_delay_alu instid0(VALU_DEP_1) | instskip(NEXT) | instid1(VALU_DEP_1)
	v_cvt_f16_f32_e32 v30, v13
	v_cvt_f32_f16_e32 v13, v30
	v_mov_b32_e32 v24, v30
.LBB420_160:
	s_or_b32 exec_lo, exec_lo, s1
	v_max_f32_e32 v26, v5, v5
	s_delay_alu instid0(VALU_DEP_3) | instskip(SKIP_1) | instid1(VALU_DEP_2)
	v_max_f32_e32 v27, v13, v13
	v_cmp_u_f16_e64 s0, v30, v30
	v_min_f32_e32 v29, v27, v26
	v_max_f32_e32 v26, v27, v26
	s_delay_alu instid0(VALU_DEP_2) | instskip(NEXT) | instid1(VALU_DEP_2)
	v_cndmask_b32_e64 v27, v29, v13, s0
	v_cndmask_b32_e64 v26, v26, v13, s0
	s_delay_alu instid0(VALU_DEP_2) | instskip(NEXT) | instid1(VALU_DEP_2)
	v_cndmask_b32_e64 v27, v27, v5, s43
	v_cndmask_b32_e64 v26, v26, v5, s43
	v_mov_b32_e32 v5, v24
	s_delay_alu instid0(VALU_DEP_3) | instskip(NEXT) | instid1(VALU_DEP_3)
	v_cmp_class_f32_e64 s1, v27, 0x1f8
	v_cmp_neq_f32_e64 s0, v27, v26
	s_delay_alu instid0(VALU_DEP_1) | instskip(NEXT) | instid1(SALU_CYCLE_1)
	s_or_b32 s0, s0, s1
	s_and_saveexec_b32 s1, s0
	s_cbranch_execz .LBB420_162
; %bb.161:
	v_sub_f32_e32 v5, v27, v26
	s_delay_alu instid0(VALU_DEP_1) | instskip(SKIP_1) | instid1(VALU_DEP_2)
	v_mul_f32_e32 v13, 0x3fb8aa3b, v5
	v_cmp_ngt_f32_e64 s0, 0xc2ce8ed0, v5
	v_fma_f32 v27, 0x3fb8aa3b, v5, -v13
	v_rndne_f32_e32 v29, v13
	s_delay_alu instid0(VALU_DEP_2) | instskip(NEXT) | instid1(VALU_DEP_2)
	v_fmamk_f32 v27, v5, 0x32a5705f, v27
	v_sub_f32_e32 v13, v13, v29
	s_delay_alu instid0(VALU_DEP_1) | instskip(SKIP_1) | instid1(VALU_DEP_2)
	v_add_f32_e32 v13, v13, v27
	v_cvt_i32_f32_e32 v27, v29
	v_exp_f32_e32 v13, v13
	s_waitcnt_depctr 0xfff
	v_ldexp_f32 v13, v13, v27
	s_delay_alu instid0(VALU_DEP_1) | instskip(SKIP_1) | instid1(VALU_DEP_1)
	v_cndmask_b32_e64 v13, 0, v13, s0
	v_cmp_nlt_f32_e64 s0, 0x42b17218, v5
	v_cndmask_b32_e64 v5, 0x7f800000, v13, s0
	s_delay_alu instid0(VALU_DEP_1) | instskip(SKIP_1) | instid1(VALU_DEP_2)
	v_add_f32_e32 v13, 1.0, v5
	v_cmp_gt_f32_e64 s23, 0x33800000, |v5|
	v_cvt_f64_f32_e32 v[29:30], v13
	s_delay_alu instid0(VALU_DEP_1) | instskip(SKIP_1) | instid1(VALU_DEP_1)
	v_frexp_exp_i32_f64_e32 v27, v[29:30]
	v_frexp_mant_f32_e32 v29, v13
	v_cmp_gt_f32_e64 s0, 0x3f2aaaab, v29
	v_add_f32_e32 v29, -1.0, v13
	s_delay_alu instid0(VALU_DEP_1) | instskip(SKIP_1) | instid1(VALU_DEP_2)
	v_sub_f32_e32 v31, v29, v13
	v_sub_f32_e32 v29, v5, v29
	v_add_f32_e32 v31, 1.0, v31
	s_delay_alu instid0(VALU_DEP_1) | instskip(SKIP_2) | instid1(VALU_DEP_1)
	v_add_f32_e32 v29, v29, v31
	v_subrev_co_ci_u32_e64 v27, s0, 0, v27, s0
	s_mov_b32 s0, 0x3e9b6dac
	v_sub_nc_u32_e32 v30, 0, v27
	v_cvt_f32_i32_e32 v27, v27
	s_delay_alu instid0(VALU_DEP_2) | instskip(SKIP_1) | instid1(VALU_DEP_2)
	v_ldexp_f32 v13, v13, v30
	v_ldexp_f32 v29, v29, v30
	v_add_f32_e32 v32, 1.0, v13
	s_delay_alu instid0(VALU_DEP_1) | instskip(NEXT) | instid1(VALU_DEP_1)
	v_dual_add_f32 v30, -1.0, v13 :: v_dual_add_f32 v31, -1.0, v32
	v_add_f32_e32 v33, 1.0, v30
	s_delay_alu instid0(VALU_DEP_2) | instskip(NEXT) | instid1(VALU_DEP_2)
	v_sub_f32_e32 v31, v13, v31
	v_sub_f32_e32 v13, v13, v33
	s_delay_alu instid0(VALU_DEP_2) | instskip(NEXT) | instid1(VALU_DEP_2)
	v_add_f32_e32 v31, v29, v31
	v_add_f32_e32 v13, v29, v13
	s_delay_alu instid0(VALU_DEP_1) | instskip(NEXT) | instid1(VALU_DEP_1)
	v_dual_add_f32 v33, v32, v31 :: v_dual_add_f32 v34, v30, v13
	v_rcp_f32_e32 v29, v33
	v_sub_f32_e32 v32, v32, v33
	s_delay_alu instid0(VALU_DEP_1) | instskip(SKIP_3) | instid1(VALU_DEP_2)
	v_dual_sub_f32 v30, v30, v34 :: v_dual_add_f32 v31, v31, v32
	s_waitcnt_depctr 0xfff
	v_mul_f32_e32 v35, v34, v29
	v_add_f32_e32 v13, v13, v30
	v_mul_f32_e32 v36, v33, v35
	s_delay_alu instid0(VALU_DEP_1) | instskip(NEXT) | instid1(VALU_DEP_1)
	v_fma_f32 v32, v35, v33, -v36
	v_fmac_f32_e32 v32, v35, v31
	s_delay_alu instid0(VALU_DEP_1) | instskip(NEXT) | instid1(VALU_DEP_1)
	v_add_f32_e32 v37, v36, v32
	v_sub_f32_e32 v38, v34, v37
	v_sub_f32_e32 v30, v37, v36
	s_delay_alu instid0(VALU_DEP_2) | instskip(NEXT) | instid1(VALU_DEP_2)
	v_sub_f32_e32 v34, v34, v38
	v_sub_f32_e32 v30, v30, v32
	s_delay_alu instid0(VALU_DEP_2) | instskip(NEXT) | instid1(VALU_DEP_1)
	v_sub_f32_e32 v34, v34, v37
	v_add_f32_e32 v13, v13, v34
	s_delay_alu instid0(VALU_DEP_1) | instskip(NEXT) | instid1(VALU_DEP_1)
	v_add_f32_e32 v13, v30, v13
	v_add_f32_e32 v30, v38, v13
	s_delay_alu instid0(VALU_DEP_1) | instskip(NEXT) | instid1(VALU_DEP_1)
	v_mul_f32_e32 v32, v29, v30
	v_dual_sub_f32 v37, v38, v30 :: v_dual_mul_f32 v34, v33, v32
	s_delay_alu instid0(VALU_DEP_1) | instskip(NEXT) | instid1(VALU_DEP_2)
	v_add_f32_e32 v13, v13, v37
	v_fma_f32 v33, v32, v33, -v34
	s_delay_alu instid0(VALU_DEP_1) | instskip(NEXT) | instid1(VALU_DEP_1)
	v_fmac_f32_e32 v33, v32, v31
	v_add_f32_e32 v31, v34, v33
	s_delay_alu instid0(VALU_DEP_1) | instskip(SKIP_1) | instid1(VALU_DEP_2)
	v_sub_f32_e32 v36, v30, v31
	v_sub_f32_e32 v34, v31, v34
	;; [unrolled: 1-line block ×3, first 2 shown]
	s_delay_alu instid0(VALU_DEP_1) | instskip(NEXT) | instid1(VALU_DEP_3)
	v_sub_f32_e32 v30, v30, v31
	v_sub_f32_e32 v31, v34, v33
	s_delay_alu instid0(VALU_DEP_2) | instskip(NEXT) | instid1(VALU_DEP_1)
	v_dual_add_f32 v13, v13, v30 :: v_dual_add_f32 v30, v35, v32
	v_add_f32_e32 v13, v31, v13
	s_delay_alu instid0(VALU_DEP_2) | instskip(NEXT) | instid1(VALU_DEP_2)
	v_sub_f32_e32 v31, v30, v35
	v_add_f32_e32 v13, v36, v13
	s_delay_alu instid0(VALU_DEP_2) | instskip(NEXT) | instid1(VALU_DEP_2)
	v_sub_f32_e32 v31, v32, v31
	v_mul_f32_e32 v13, v29, v13
	s_delay_alu instid0(VALU_DEP_1) | instskip(NEXT) | instid1(VALU_DEP_1)
	v_add_f32_e32 v13, v31, v13
	v_add_f32_e32 v29, v30, v13
	s_delay_alu instid0(VALU_DEP_1) | instskip(NEXT) | instid1(VALU_DEP_1)
	v_mul_f32_e32 v31, v29, v29
	v_fmaak_f32 v32, s0, v31, 0x3ecc95a3
	v_mul_f32_e32 v33, v29, v31
	v_cmp_eq_f32_e64 s0, 0x7f800000, v5
	s_delay_alu instid0(VALU_DEP_3) | instskip(SKIP_2) | instid1(VALU_DEP_4)
	v_fmaak_f32 v31, v31, v32, 0x3f2aaada
	v_ldexp_f32 v32, v29, 1
	v_sub_f32_e32 v29, v29, v30
	s_or_b32 s0, s0, s23
	s_delay_alu instid0(VALU_DEP_3) | instskip(SKIP_1) | instid1(VALU_DEP_2)
	v_mul_f32_e32 v31, v33, v31
	v_mul_f32_e32 v33, 0x3f317218, v27
	v_dual_sub_f32 v13, v13, v29 :: v_dual_add_f32 v30, v32, v31
	s_delay_alu instid0(VALU_DEP_1) | instskip(NEXT) | instid1(VALU_DEP_2)
	v_ldexp_f32 v13, v13, 1
	v_sub_f32_e32 v29, v30, v32
	s_delay_alu instid0(VALU_DEP_4) | instskip(NEXT) | instid1(VALU_DEP_2)
	v_fma_f32 v32, 0x3f317218, v27, -v33
	v_sub_f32_e32 v29, v31, v29
	s_delay_alu instid0(VALU_DEP_2) | instskip(NEXT) | instid1(VALU_DEP_2)
	v_fmamk_f32 v27, v27, 0xb102e308, v32
	v_add_f32_e32 v13, v13, v29
	s_delay_alu instid0(VALU_DEP_2) | instskip(NEXT) | instid1(VALU_DEP_2)
	v_add_f32_e32 v29, v33, v27
	v_add_f32_e32 v31, v30, v13
	s_delay_alu instid0(VALU_DEP_2) | instskip(NEXT) | instid1(VALU_DEP_2)
	v_sub_f32_e32 v33, v29, v33
	v_add_f32_e32 v32, v29, v31
	v_sub_f32_e32 v30, v31, v30
	s_delay_alu instid0(VALU_DEP_3) | instskip(NEXT) | instid1(VALU_DEP_2)
	v_sub_f32_e32 v27, v27, v33
	v_dual_sub_f32 v34, v32, v29 :: v_dual_sub_f32 v13, v13, v30
	s_delay_alu instid0(VALU_DEP_1) | instskip(SKIP_1) | instid1(VALU_DEP_3)
	v_sub_f32_e32 v35, v32, v34
	v_sub_f32_e32 v30, v31, v34
	v_add_f32_e32 v31, v27, v13
	s_delay_alu instid0(VALU_DEP_3) | instskip(NEXT) | instid1(VALU_DEP_1)
	v_sub_f32_e32 v29, v29, v35
	v_dual_add_f32 v29, v30, v29 :: v_dual_sub_f32 v30, v31, v27
	s_delay_alu instid0(VALU_DEP_1) | instskip(NEXT) | instid1(VALU_DEP_2)
	v_add_f32_e32 v29, v31, v29
	v_sub_f32_e32 v31, v31, v30
	v_sub_f32_e32 v13, v13, v30
	s_delay_alu instid0(VALU_DEP_3) | instskip(NEXT) | instid1(VALU_DEP_1)
	v_add_f32_e32 v33, v32, v29
	v_dual_sub_f32 v27, v27, v31 :: v_dual_sub_f32 v30, v33, v32
	s_delay_alu instid0(VALU_DEP_1) | instskip(NEXT) | instid1(VALU_DEP_2)
	v_add_f32_e32 v13, v13, v27
	v_sub_f32_e32 v27, v29, v30
	s_delay_alu instid0(VALU_DEP_1) | instskip(NEXT) | instid1(VALU_DEP_1)
	v_add_f32_e32 v13, v13, v27
	v_add_f32_e32 v13, v33, v13
	s_delay_alu instid0(VALU_DEP_1) | instskip(NEXT) | instid1(VALU_DEP_1)
	v_cndmask_b32_e64 v5, v13, v5, s0
	v_add_f32_e32 v5, v26, v5
	s_delay_alu instid0(VALU_DEP_1) | instskip(NEXT) | instid1(VALU_DEP_1)
	v_cvt_f16_f32_e32 v30, v5
	v_cvt_f32_f16_e32 v13, v30
	v_mov_b32_e32 v5, v30
.LBB420_162:
	s_or_b32 exec_lo, exec_lo, s1
	v_max_f32_e32 v26, v25, v25
	s_delay_alu instid0(VALU_DEP_3) | instskip(SKIP_1) | instid1(VALU_DEP_2)
	v_max_f32_e32 v27, v13, v13
	v_cmp_u_f16_e64 s0, v30, v30
	v_min_f32_e32 v29, v27, v26
	v_max_f32_e32 v26, v27, v26
	s_delay_alu instid0(VALU_DEP_2) | instskip(NEXT) | instid1(VALU_DEP_2)
	v_cndmask_b32_e64 v27, v29, v13, s0
	v_cndmask_b32_e64 v13, v26, v13, s0
	s_delay_alu instid0(VALU_DEP_2) | instskip(NEXT) | instid1(VALU_DEP_2)
	v_cndmask_b32_e64 v26, v27, v25, s44
	v_cndmask_b32_e64 v13, v13, v25, s44
	v_mov_b32_e32 v25, v5
	s_delay_alu instid0(VALU_DEP_3) | instskip(NEXT) | instid1(VALU_DEP_3)
	v_cmp_class_f32_e64 s1, v26, 0x1f8
	v_cmp_neq_f32_e64 s0, v26, v13
	s_delay_alu instid0(VALU_DEP_1) | instskip(NEXT) | instid1(SALU_CYCLE_1)
	s_or_b32 s0, s0, s1
	s_and_saveexec_b32 s1, s0
	s_cbranch_execz .LBB420_164
; %bb.163:
	v_sub_f32_e32 v25, v26, v13
	s_delay_alu instid0(VALU_DEP_1) | instskip(SKIP_1) | instid1(VALU_DEP_2)
	v_mul_f32_e32 v26, 0x3fb8aa3b, v25
	v_cmp_ngt_f32_e64 s0, 0xc2ce8ed0, v25
	v_fma_f32 v27, 0x3fb8aa3b, v25, -v26
	v_rndne_f32_e32 v29, v26
	s_delay_alu instid0(VALU_DEP_1) | instskip(NEXT) | instid1(VALU_DEP_1)
	v_dual_fmamk_f32 v27, v25, 0x32a5705f, v27 :: v_dual_sub_f32 v26, v26, v29
	v_add_f32_e32 v26, v26, v27
	v_cvt_i32_f32_e32 v27, v29
	s_delay_alu instid0(VALU_DEP_2) | instskip(SKIP_2) | instid1(VALU_DEP_1)
	v_exp_f32_e32 v26, v26
	s_waitcnt_depctr 0xfff
	v_ldexp_f32 v26, v26, v27
	v_cndmask_b32_e64 v26, 0, v26, s0
	v_cmp_nlt_f32_e64 s0, 0x42b17218, v25
	s_delay_alu instid0(VALU_DEP_1) | instskip(NEXT) | instid1(VALU_DEP_1)
	v_cndmask_b32_e64 v27, 0x7f800000, v26, s0
	v_add_f32_e32 v29, 1.0, v27
	v_cmp_gt_f32_e64 s23, 0x33800000, |v27|
	s_delay_alu instid0(VALU_DEP_2) | instskip(NEXT) | instid1(VALU_DEP_1)
	v_cvt_f64_f32_e32 v[25:26], v29
	v_frexp_exp_i32_f64_e32 v25, v[25:26]
	v_frexp_mant_f32_e32 v26, v29
	s_delay_alu instid0(VALU_DEP_1) | instskip(SKIP_1) | instid1(VALU_DEP_1)
	v_cmp_gt_f32_e64 s0, 0x3f2aaaab, v26
	v_add_f32_e32 v26, -1.0, v29
	v_sub_f32_e32 v31, v26, v29
	s_delay_alu instid0(VALU_DEP_1) | instskip(NEXT) | instid1(VALU_DEP_1)
	v_dual_add_f32 v31, 1.0, v31 :: v_dual_sub_f32 v26, v27, v26
	v_add_f32_e32 v26, v26, v31
	v_subrev_co_ci_u32_e64 v25, s0, 0, v25, s0
	s_mov_b32 s0, 0x3e9b6dac
	s_delay_alu instid0(VALU_DEP_1) | instskip(SKIP_1) | instid1(VALU_DEP_2)
	v_sub_nc_u32_e32 v30, 0, v25
	v_cvt_f32_i32_e32 v25, v25
	v_ldexp_f32 v29, v29, v30
	v_ldexp_f32 v26, v26, v30
	s_delay_alu instid0(VALU_DEP_2) | instskip(NEXT) | instid1(VALU_DEP_1)
	v_add_f32_e32 v32, 1.0, v29
	v_add_f32_e32 v31, -1.0, v32
	s_delay_alu instid0(VALU_DEP_1) | instskip(NEXT) | instid1(VALU_DEP_1)
	v_dual_sub_f32 v31, v29, v31 :: v_dual_add_f32 v30, -1.0, v29
	v_add_f32_e32 v31, v26, v31
	s_delay_alu instid0(VALU_DEP_2) | instskip(NEXT) | instid1(VALU_DEP_1)
	v_add_f32_e32 v33, 1.0, v30
	v_sub_f32_e32 v29, v29, v33
	s_delay_alu instid0(VALU_DEP_1) | instskip(NEXT) | instid1(VALU_DEP_1)
	v_dual_add_f32 v33, v32, v31 :: v_dual_add_f32 v26, v26, v29
	v_rcp_f32_e32 v29, v33
	v_sub_f32_e32 v32, v32, v33
	s_delay_alu instid0(VALU_DEP_1) | instskip(NEXT) | instid1(VALU_DEP_1)
	v_dual_add_f32 v34, v30, v26 :: v_dual_add_f32 v31, v31, v32
	v_sub_f32_e32 v30, v30, v34
	s_waitcnt_depctr 0xfff
	v_mul_f32_e32 v35, v34, v29
	v_add_f32_e32 v26, v26, v30
	s_delay_alu instid0(VALU_DEP_2) | instskip(NEXT) | instid1(VALU_DEP_1)
	v_mul_f32_e32 v36, v33, v35
	v_fma_f32 v32, v35, v33, -v36
	s_delay_alu instid0(VALU_DEP_1) | instskip(NEXT) | instid1(VALU_DEP_1)
	v_fmac_f32_e32 v32, v35, v31
	v_add_f32_e32 v37, v36, v32
	s_delay_alu instid0(VALU_DEP_1) | instskip(SKIP_1) | instid1(VALU_DEP_2)
	v_sub_f32_e32 v38, v34, v37
	v_sub_f32_e32 v30, v37, v36
	;; [unrolled: 1-line block ×3, first 2 shown]
	s_delay_alu instid0(VALU_DEP_2) | instskip(NEXT) | instid1(VALU_DEP_2)
	v_sub_f32_e32 v30, v30, v32
	v_sub_f32_e32 v34, v34, v37
	s_delay_alu instid0(VALU_DEP_1) | instskip(NEXT) | instid1(VALU_DEP_1)
	v_add_f32_e32 v26, v26, v34
	v_add_f32_e32 v26, v30, v26
	s_delay_alu instid0(VALU_DEP_1) | instskip(NEXT) | instid1(VALU_DEP_1)
	v_add_f32_e32 v30, v38, v26
	v_mul_f32_e32 v32, v29, v30
	s_delay_alu instid0(VALU_DEP_1) | instskip(NEXT) | instid1(VALU_DEP_1)
	v_dual_sub_f32 v37, v38, v30 :: v_dual_mul_f32 v34, v33, v32
	v_add_f32_e32 v26, v26, v37
	s_delay_alu instid0(VALU_DEP_2) | instskip(NEXT) | instid1(VALU_DEP_1)
	v_fma_f32 v33, v32, v33, -v34
	v_fmac_f32_e32 v33, v32, v31
	s_delay_alu instid0(VALU_DEP_1) | instskip(NEXT) | instid1(VALU_DEP_1)
	v_add_f32_e32 v31, v34, v33
	v_sub_f32_e32 v36, v30, v31
	v_sub_f32_e32 v34, v31, v34
	s_delay_alu instid0(VALU_DEP_2) | instskip(NEXT) | instid1(VALU_DEP_1)
	v_sub_f32_e32 v30, v30, v36
	v_sub_f32_e32 v30, v30, v31
	s_delay_alu instid0(VALU_DEP_3) | instskip(NEXT) | instid1(VALU_DEP_2)
	v_sub_f32_e32 v31, v34, v33
	v_add_f32_e32 v26, v26, v30
	v_add_f32_e32 v30, v35, v32
	s_delay_alu instid0(VALU_DEP_1) | instskip(NEXT) | instid1(VALU_DEP_1)
	v_dual_add_f32 v26, v31, v26 :: v_dual_sub_f32 v31, v30, v35
	v_add_f32_e32 v26, v36, v26
	s_delay_alu instid0(VALU_DEP_1) | instskip(NEXT) | instid1(VALU_DEP_1)
	v_dual_sub_f32 v31, v32, v31 :: v_dual_mul_f32 v26, v29, v26
	v_add_f32_e32 v26, v31, v26
	s_delay_alu instid0(VALU_DEP_1) | instskip(NEXT) | instid1(VALU_DEP_1)
	v_add_f32_e32 v29, v30, v26
	v_mul_f32_e32 v31, v29, v29
	s_delay_alu instid0(VALU_DEP_1) | instskip(SKIP_2) | instid1(VALU_DEP_3)
	v_fmaak_f32 v32, s0, v31, 0x3ecc95a3
	v_mul_f32_e32 v33, v29, v31
	v_cmp_eq_f32_e64 s0, 0x7f800000, v27
	v_fmaak_f32 v31, v31, v32, 0x3f2aaada
	v_ldexp_f32 v32, v29, 1
	v_sub_f32_e32 v29, v29, v30
	s_delay_alu instid0(VALU_DEP_4) | instskip(NEXT) | instid1(VALU_DEP_3)
	s_or_b32 s0, s0, s23
	v_mul_f32_e32 v31, v33, v31
	v_mul_f32_e32 v33, 0x3f317218, v25
	s_delay_alu instid0(VALU_DEP_3) | instskip(NEXT) | instid1(VALU_DEP_3)
	v_sub_f32_e32 v26, v26, v29
	v_add_f32_e32 v30, v32, v31
	s_delay_alu instid0(VALU_DEP_2) | instskip(NEXT) | instid1(VALU_DEP_2)
	v_ldexp_f32 v26, v26, 1
	v_sub_f32_e32 v29, v30, v32
	v_fma_f32 v32, 0x3f317218, v25, -v33
	s_delay_alu instid0(VALU_DEP_2) | instskip(NEXT) | instid1(VALU_DEP_1)
	v_sub_f32_e32 v29, v31, v29
	v_dual_fmamk_f32 v25, v25, 0xb102e308, v32 :: v_dual_add_f32 v26, v26, v29
	s_delay_alu instid0(VALU_DEP_1) | instskip(NEXT) | instid1(VALU_DEP_2)
	v_add_f32_e32 v29, v33, v25
	v_add_f32_e32 v31, v30, v26
	s_delay_alu instid0(VALU_DEP_2) | instskip(NEXT) | instid1(VALU_DEP_2)
	v_sub_f32_e32 v33, v29, v33
	v_add_f32_e32 v32, v29, v31
	s_delay_alu instid0(VALU_DEP_2) | instskip(NEXT) | instid1(VALU_DEP_2)
	v_sub_f32_e32 v25, v25, v33
	v_sub_f32_e32 v34, v32, v29
	;; [unrolled: 1-line block ×3, first 2 shown]
	s_delay_alu instid0(VALU_DEP_2) | instskip(NEXT) | instid1(VALU_DEP_2)
	v_sub_f32_e32 v35, v32, v34
	v_sub_f32_e32 v26, v26, v30
	s_delay_alu instid0(VALU_DEP_2) | instskip(NEXT) | instid1(VALU_DEP_2)
	v_dual_sub_f32 v30, v31, v34 :: v_dual_sub_f32 v29, v29, v35
	v_add_f32_e32 v31, v25, v26
	s_delay_alu instid0(VALU_DEP_2) | instskip(NEXT) | instid1(VALU_DEP_2)
	v_add_f32_e32 v29, v30, v29
	v_sub_f32_e32 v30, v31, v25
	s_delay_alu instid0(VALU_DEP_2) | instskip(NEXT) | instid1(VALU_DEP_2)
	v_add_f32_e32 v29, v31, v29
	v_sub_f32_e32 v31, v31, v30
	s_delay_alu instid0(VALU_DEP_2) | instskip(NEXT) | instid1(VALU_DEP_2)
	v_dual_sub_f32 v26, v26, v30 :: v_dual_add_f32 v33, v32, v29
	v_sub_f32_e32 v25, v25, v31
	s_delay_alu instid0(VALU_DEP_1) | instskip(NEXT) | instid1(VALU_DEP_1)
	v_dual_sub_f32 v30, v33, v32 :: v_dual_add_f32 v25, v26, v25
	v_sub_f32_e32 v26, v29, v30
	s_delay_alu instid0(VALU_DEP_1) | instskip(NEXT) | instid1(VALU_DEP_1)
	v_add_f32_e32 v25, v25, v26
	v_add_f32_e32 v25, v33, v25
	s_delay_alu instid0(VALU_DEP_1) | instskip(NEXT) | instid1(VALU_DEP_1)
	v_cndmask_b32_e64 v25, v25, v27, s0
	v_add_f32_e32 v13, v13, v25
	s_delay_alu instid0(VALU_DEP_1)
	v_cvt_f16_f32_e32 v25, v13
.LBB420_164:
	s_or_b32 exec_lo, exec_lo, s1
	v_add_nc_u32_e32 v13, v12, v28
	v_perm_b32 v15, v16, v15, 0x5040100
	v_perm_b32 v2, v14, v2, 0x5040100
	;; [unrolled: 1-line block ×11, first 2 shown]
	s_barrier
	buffer_gl0_inv
	ds_store_2addr_b32 v13, v2, v15 offset1:1
	ds_store_2addr_b32 v13, v3, v10 offset0:2 offset1:3
	ds_store_2addr_b32 v13, v11, v8 offset0:4 offset1:5
	;; [unrolled: 1-line block ×4, first 2 shown]
	ds_store_b32 v13, v5 offset:40
	s_waitcnt lgkmcnt(0)
	s_barrier
	buffer_gl0_inv
	ds_load_u16 v23, v12 offset:128
	ds_load_u16 v22, v12 offset:256
	;; [unrolled: 1-line block ×21, first 2 shown]
	v_lshlrev_b64 v[0:1], 1, v[0:1]
	s_delay_alu instid0(VALU_DEP_1) | instskip(NEXT) | instid1(VALU_DEP_1)
	v_add_co_u32 v0, s0, s46, v0
	v_add_co_ci_u32_e64 v1, s0, s47, v1, s0
	s_and_saveexec_b32 s0, vcc_lo
	s_cbranch_execnz .LBB420_187
; %bb.165:
	s_or_b32 exec_lo, exec_lo, s0
	s_and_saveexec_b32 s0, s2
	s_cbranch_execnz .LBB420_188
.LBB420_166:
	s_or_b32 exec_lo, exec_lo, s0
	s_and_saveexec_b32 s0, s3
	s_cbranch_execnz .LBB420_189
.LBB420_167:
	s_or_b32 exec_lo, exec_lo, s0
	s_and_saveexec_b32 s0, s4
	s_cbranch_execnz .LBB420_190
.LBB420_168:
	s_or_b32 exec_lo, exec_lo, s0
	s_and_saveexec_b32 s0, s5
	s_cbranch_execnz .LBB420_191
.LBB420_169:
	s_or_b32 exec_lo, exec_lo, s0
	s_and_saveexec_b32 s0, s6
	s_cbranch_execnz .LBB420_192
.LBB420_170:
	s_or_b32 exec_lo, exec_lo, s0
	s_and_saveexec_b32 s0, s7
	s_cbranch_execnz .LBB420_193
.LBB420_171:
	s_or_b32 exec_lo, exec_lo, s0
	s_and_saveexec_b32 s0, s8
	s_cbranch_execnz .LBB420_194
.LBB420_172:
	s_or_b32 exec_lo, exec_lo, s0
	s_and_saveexec_b32 s0, s9
	s_cbranch_execnz .LBB420_195
.LBB420_173:
	s_or_b32 exec_lo, exec_lo, s0
	s_and_saveexec_b32 s0, s10
	s_cbranch_execnz .LBB420_196
.LBB420_174:
	s_or_b32 exec_lo, exec_lo, s0
	s_and_saveexec_b32 s0, s11
	s_cbranch_execnz .LBB420_197
.LBB420_175:
	s_or_b32 exec_lo, exec_lo, s0
	s_and_saveexec_b32 s0, s12
	s_cbranch_execnz .LBB420_198
.LBB420_176:
	s_or_b32 exec_lo, exec_lo, s0
	s_and_saveexec_b32 s0, s13
	s_cbranch_execnz .LBB420_199
.LBB420_177:
	s_or_b32 exec_lo, exec_lo, s0
	s_and_saveexec_b32 s0, s14
	s_cbranch_execnz .LBB420_200
.LBB420_178:
	s_or_b32 exec_lo, exec_lo, s0
	s_and_saveexec_b32 s0, s15
	s_cbranch_execnz .LBB420_201
.LBB420_179:
	s_or_b32 exec_lo, exec_lo, s0
	s_and_saveexec_b32 s0, s16
	s_cbranch_execnz .LBB420_202
.LBB420_180:
	s_or_b32 exec_lo, exec_lo, s0
	s_and_saveexec_b32 s0, s17
	s_cbranch_execnz .LBB420_203
.LBB420_181:
	s_or_b32 exec_lo, exec_lo, s0
	s_and_saveexec_b32 s0, s18
	s_cbranch_execnz .LBB420_204
.LBB420_182:
	s_or_b32 exec_lo, exec_lo, s0
	s_and_saveexec_b32 s0, s19
	s_cbranch_execnz .LBB420_205
.LBB420_183:
	s_or_b32 exec_lo, exec_lo, s0
	s_and_saveexec_b32 s0, s20
	s_cbranch_execnz .LBB420_206
.LBB420_184:
	s_or_b32 exec_lo, exec_lo, s0
	s_and_saveexec_b32 s0, s21
	s_cbranch_execnz .LBB420_207
.LBB420_185:
	s_or_b32 exec_lo, exec_lo, s0
	s_and_saveexec_b32 s0, s22
	s_cbranch_execnz .LBB420_208
.LBB420_186:
	s_nop 0
	s_sendmsg sendmsg(MSG_DEALLOC_VGPRS)
	s_endpgm
.LBB420_187:
	ds_load_u16 v12, v12
	s_waitcnt lgkmcnt(0)
	global_store_b16 v[0:1], v12, off
	s_or_b32 exec_lo, exec_lo, s0
	s_and_saveexec_b32 s0, s2
	s_cbranch_execz .LBB420_166
.LBB420_188:
	s_waitcnt lgkmcnt(20)
	global_store_b16 v[0:1], v23, off offset:128
	s_or_b32 exec_lo, exec_lo, s0
	s_and_saveexec_b32 s0, s3
	s_cbranch_execz .LBB420_167
.LBB420_189:
	s_waitcnt lgkmcnt(19)
	global_store_b16 v[0:1], v22, off offset:256
	s_or_b32 exec_lo, exec_lo, s0
	s_and_saveexec_b32 s0, s4
	s_cbranch_execz .LBB420_168
.LBB420_190:
	s_waitcnt lgkmcnt(18)
	global_store_b16 v[0:1], v21, off offset:384
	s_or_b32 exec_lo, exec_lo, s0
	s_and_saveexec_b32 s0, s5
	s_cbranch_execz .LBB420_169
.LBB420_191:
	s_waitcnt lgkmcnt(17)
	global_store_b16 v[0:1], v20, off offset:512
	s_or_b32 exec_lo, exec_lo, s0
	s_and_saveexec_b32 s0, s6
	s_cbranch_execz .LBB420_170
.LBB420_192:
	s_waitcnt lgkmcnt(16)
	global_store_b16 v[0:1], v19, off offset:640
	s_or_b32 exec_lo, exec_lo, s0
	s_and_saveexec_b32 s0, s7
	s_cbranch_execz .LBB420_171
.LBB420_193:
	s_waitcnt lgkmcnt(15)
	global_store_b16 v[0:1], v18, off offset:768
	s_or_b32 exec_lo, exec_lo, s0
	s_and_saveexec_b32 s0, s8
	s_cbranch_execz .LBB420_172
.LBB420_194:
	s_waitcnt lgkmcnt(14)
	global_store_b16 v[0:1], v17, off offset:896
	s_or_b32 exec_lo, exec_lo, s0
	s_and_saveexec_b32 s0, s9
	s_cbranch_execz .LBB420_173
.LBB420_195:
	s_waitcnt lgkmcnt(13)
	global_store_b16 v[0:1], v16, off offset:1024
	s_or_b32 exec_lo, exec_lo, s0
	s_and_saveexec_b32 s0, s10
	s_cbranch_execz .LBB420_174
.LBB420_196:
	s_waitcnt lgkmcnt(12)
	global_store_b16 v[0:1], v15, off offset:1152
	s_or_b32 exec_lo, exec_lo, s0
	s_and_saveexec_b32 s0, s11
	s_cbranch_execz .LBB420_175
.LBB420_197:
	s_waitcnt lgkmcnt(11)
	global_store_b16 v[0:1], v14, off offset:1280
	s_or_b32 exec_lo, exec_lo, s0
	s_and_saveexec_b32 s0, s12
	s_cbranch_execz .LBB420_176
.LBB420_198:
	s_waitcnt lgkmcnt(10)
	global_store_b16 v[0:1], v13, off offset:1408
	s_or_b32 exec_lo, exec_lo, s0
	s_and_saveexec_b32 s0, s13
	s_cbranch_execz .LBB420_177
.LBB420_199:
	s_waitcnt lgkmcnt(9)
	global_store_b16 v[0:1], v11, off offset:1536
	s_or_b32 exec_lo, exec_lo, s0
	s_and_saveexec_b32 s0, s14
	s_cbranch_execz .LBB420_178
.LBB420_200:
	s_waitcnt lgkmcnt(8)
	global_store_b16 v[0:1], v10, off offset:1664
	s_or_b32 exec_lo, exec_lo, s0
	s_and_saveexec_b32 s0, s15
	s_cbranch_execz .LBB420_179
.LBB420_201:
	s_waitcnt lgkmcnt(7)
	global_store_b16 v[0:1], v9, off offset:1792
	s_or_b32 exec_lo, exec_lo, s0
	s_and_saveexec_b32 s0, s16
	s_cbranch_execz .LBB420_180
.LBB420_202:
	s_waitcnt lgkmcnt(6)
	global_store_b16 v[0:1], v8, off offset:1920
	s_or_b32 exec_lo, exec_lo, s0
	s_and_saveexec_b32 s0, s17
	s_cbranch_execz .LBB420_181
.LBB420_203:
	s_waitcnt lgkmcnt(5)
	global_store_b16 v[0:1], v7, off offset:2048
	s_or_b32 exec_lo, exec_lo, s0
	s_and_saveexec_b32 s0, s18
	s_cbranch_execz .LBB420_182
.LBB420_204:
	s_waitcnt lgkmcnt(4)
	global_store_b16 v[0:1], v6, off offset:2176
	s_or_b32 exec_lo, exec_lo, s0
	s_and_saveexec_b32 s0, s19
	s_cbranch_execz .LBB420_183
.LBB420_205:
	s_waitcnt lgkmcnt(3)
	global_store_b16 v[0:1], v5, off offset:2304
	s_or_b32 exec_lo, exec_lo, s0
	s_and_saveexec_b32 s0, s20
	s_cbranch_execz .LBB420_184
.LBB420_206:
	s_waitcnt lgkmcnt(2)
	global_store_b16 v[0:1], v4, off offset:2432
	s_or_b32 exec_lo, exec_lo, s0
	s_and_saveexec_b32 s0, s21
	s_cbranch_execz .LBB420_185
.LBB420_207:
	s_waitcnt lgkmcnt(1)
	global_store_b16 v[0:1], v3, off offset:2560
	s_or_b32 exec_lo, exec_lo, s0
	s_and_saveexec_b32 s0, s22
	s_cbranch_execz .LBB420_186
.LBB420_208:
	s_waitcnt lgkmcnt(0)
	global_store_b16 v[0:1], v2, off offset:2688
	s_nop 0
	s_sendmsg sendmsg(MSG_DEALLOC_VGPRS)
	s_endpgm
	.section	.rodata,"a",@progbits
	.p2align	6, 0x0
	.amdhsa_kernel _ZN7rocprim17ROCPRIM_400000_NS6detail17trampoline_kernelINS0_14default_configENS1_20scan_config_selectorIN3c104HalfEEEZZNS1_9scan_implILNS1_25lookback_scan_determinismE0ELb0ELb0ES3_PKS6_PS6_S6_ZZZN2at6native31launch_logcumsumexp_cuda_kernelERKNSD_10TensorBaseESH_lENKUlvE_clEvENKUlvE3_clEvEUlS6_S6_E_S6_EEDaPvRmT3_T4_T5_mT6_P12ihipStream_tbENKUlT_T0_E_clISt17integral_constantIbLb1EESX_IbLb0EEEEDaST_SU_EUlST_E0_NS1_11comp_targetILNS1_3genE9ELNS1_11target_archE1100ELNS1_3gpuE3ELNS1_3repE0EEENS1_30default_config_static_selectorELNS0_4arch9wavefront6targetE0EEEvT1_
		.amdhsa_group_segment_fixed_size 2816
		.amdhsa_private_segment_fixed_size 0
		.amdhsa_kernarg_size 32
		.amdhsa_user_sgpr_count 15
		.amdhsa_user_sgpr_dispatch_ptr 0
		.amdhsa_user_sgpr_queue_ptr 0
		.amdhsa_user_sgpr_kernarg_segment_ptr 1
		.amdhsa_user_sgpr_dispatch_id 0
		.amdhsa_user_sgpr_private_segment_size 0
		.amdhsa_wavefront_size32 1
		.amdhsa_uses_dynamic_stack 0
		.amdhsa_enable_private_segment 0
		.amdhsa_system_sgpr_workgroup_id_x 1
		.amdhsa_system_sgpr_workgroup_id_y 0
		.amdhsa_system_sgpr_workgroup_id_z 0
		.amdhsa_system_sgpr_workgroup_info 0
		.amdhsa_system_vgpr_workitem_id 0
		.amdhsa_next_free_vgpr 47
		.amdhsa_next_free_sgpr 52
		.amdhsa_reserve_vcc 1
		.amdhsa_float_round_mode_32 0
		.amdhsa_float_round_mode_16_64 0
		.amdhsa_float_denorm_mode_32 3
		.amdhsa_float_denorm_mode_16_64 3
		.amdhsa_dx10_clamp 1
		.amdhsa_ieee_mode 1
		.amdhsa_fp16_overflow 0
		.amdhsa_workgroup_processor_mode 1
		.amdhsa_memory_ordered 1
		.amdhsa_forward_progress 0
		.amdhsa_shared_vgpr_count 0
		.amdhsa_exception_fp_ieee_invalid_op 0
		.amdhsa_exception_fp_denorm_src 0
		.amdhsa_exception_fp_ieee_div_zero 0
		.amdhsa_exception_fp_ieee_overflow 0
		.amdhsa_exception_fp_ieee_underflow 0
		.amdhsa_exception_fp_ieee_inexact 0
		.amdhsa_exception_int_div_zero 0
	.end_amdhsa_kernel
	.section	.text._ZN7rocprim17ROCPRIM_400000_NS6detail17trampoline_kernelINS0_14default_configENS1_20scan_config_selectorIN3c104HalfEEEZZNS1_9scan_implILNS1_25lookback_scan_determinismE0ELb0ELb0ES3_PKS6_PS6_S6_ZZZN2at6native31launch_logcumsumexp_cuda_kernelERKNSD_10TensorBaseESH_lENKUlvE_clEvENKUlvE3_clEvEUlS6_S6_E_S6_EEDaPvRmT3_T4_T5_mT6_P12ihipStream_tbENKUlT_T0_E_clISt17integral_constantIbLb1EESX_IbLb0EEEEDaST_SU_EUlST_E0_NS1_11comp_targetILNS1_3genE9ELNS1_11target_archE1100ELNS1_3gpuE3ELNS1_3repE0EEENS1_30default_config_static_selectorELNS0_4arch9wavefront6targetE0EEEvT1_,"axG",@progbits,_ZN7rocprim17ROCPRIM_400000_NS6detail17trampoline_kernelINS0_14default_configENS1_20scan_config_selectorIN3c104HalfEEEZZNS1_9scan_implILNS1_25lookback_scan_determinismE0ELb0ELb0ES3_PKS6_PS6_S6_ZZZN2at6native31launch_logcumsumexp_cuda_kernelERKNSD_10TensorBaseESH_lENKUlvE_clEvENKUlvE3_clEvEUlS6_S6_E_S6_EEDaPvRmT3_T4_T5_mT6_P12ihipStream_tbENKUlT_T0_E_clISt17integral_constantIbLb1EESX_IbLb0EEEEDaST_SU_EUlST_E0_NS1_11comp_targetILNS1_3genE9ELNS1_11target_archE1100ELNS1_3gpuE3ELNS1_3repE0EEENS1_30default_config_static_selectorELNS0_4arch9wavefront6targetE0EEEvT1_,comdat
.Lfunc_end420:
	.size	_ZN7rocprim17ROCPRIM_400000_NS6detail17trampoline_kernelINS0_14default_configENS1_20scan_config_selectorIN3c104HalfEEEZZNS1_9scan_implILNS1_25lookback_scan_determinismE0ELb0ELb0ES3_PKS6_PS6_S6_ZZZN2at6native31launch_logcumsumexp_cuda_kernelERKNSD_10TensorBaseESH_lENKUlvE_clEvENKUlvE3_clEvEUlS6_S6_E_S6_EEDaPvRmT3_T4_T5_mT6_P12ihipStream_tbENKUlT_T0_E_clISt17integral_constantIbLb1EESX_IbLb0EEEEDaST_SU_EUlST_E0_NS1_11comp_targetILNS1_3genE9ELNS1_11target_archE1100ELNS1_3gpuE3ELNS1_3repE0EEENS1_30default_config_static_selectorELNS0_4arch9wavefront6targetE0EEEvT1_, .Lfunc_end420-_ZN7rocprim17ROCPRIM_400000_NS6detail17trampoline_kernelINS0_14default_configENS1_20scan_config_selectorIN3c104HalfEEEZZNS1_9scan_implILNS1_25lookback_scan_determinismE0ELb0ELb0ES3_PKS6_PS6_S6_ZZZN2at6native31launch_logcumsumexp_cuda_kernelERKNSD_10TensorBaseESH_lENKUlvE_clEvENKUlvE3_clEvEUlS6_S6_E_S6_EEDaPvRmT3_T4_T5_mT6_P12ihipStream_tbENKUlT_T0_E_clISt17integral_constantIbLb1EESX_IbLb0EEEEDaST_SU_EUlST_E0_NS1_11comp_targetILNS1_3genE9ELNS1_11target_archE1100ELNS1_3gpuE3ELNS1_3repE0EEENS1_30default_config_static_selectorELNS0_4arch9wavefront6targetE0EEEvT1_
                                        ; -- End function
	.section	.AMDGPU.csdata,"",@progbits
; Kernel info:
; codeLenInByte = 51208
; NumSgprs: 54
; NumVgprs: 47
; ScratchSize: 0
; MemoryBound: 0
; FloatMode: 240
; IeeeMode: 1
; LDSByteSize: 2816 bytes/workgroup (compile time only)
; SGPRBlocks: 6
; VGPRBlocks: 5
; NumSGPRsForWavesPerEU: 54
; NumVGPRsForWavesPerEU: 47
; Occupancy: 16
; WaveLimiterHint : 0
; COMPUTE_PGM_RSRC2:SCRATCH_EN: 0
; COMPUTE_PGM_RSRC2:USER_SGPR: 15
; COMPUTE_PGM_RSRC2:TRAP_HANDLER: 0
; COMPUTE_PGM_RSRC2:TGID_X_EN: 1
; COMPUTE_PGM_RSRC2:TGID_Y_EN: 0
; COMPUTE_PGM_RSRC2:TGID_Z_EN: 0
; COMPUTE_PGM_RSRC2:TIDIG_COMP_CNT: 0
	.section	.text._ZN7rocprim17ROCPRIM_400000_NS6detail17trampoline_kernelINS0_14default_configENS1_20scan_config_selectorIN3c104HalfEEEZZNS1_9scan_implILNS1_25lookback_scan_determinismE0ELb0ELb0ES3_PKS6_PS6_S6_ZZZN2at6native31launch_logcumsumexp_cuda_kernelERKNSD_10TensorBaseESH_lENKUlvE_clEvENKUlvE3_clEvEUlS6_S6_E_S6_EEDaPvRmT3_T4_T5_mT6_P12ihipStream_tbENKUlT_T0_E_clISt17integral_constantIbLb1EESX_IbLb0EEEEDaST_SU_EUlST_E0_NS1_11comp_targetILNS1_3genE8ELNS1_11target_archE1030ELNS1_3gpuE2ELNS1_3repE0EEENS1_30default_config_static_selectorELNS0_4arch9wavefront6targetE0EEEvT1_,"axG",@progbits,_ZN7rocprim17ROCPRIM_400000_NS6detail17trampoline_kernelINS0_14default_configENS1_20scan_config_selectorIN3c104HalfEEEZZNS1_9scan_implILNS1_25lookback_scan_determinismE0ELb0ELb0ES3_PKS6_PS6_S6_ZZZN2at6native31launch_logcumsumexp_cuda_kernelERKNSD_10TensorBaseESH_lENKUlvE_clEvENKUlvE3_clEvEUlS6_S6_E_S6_EEDaPvRmT3_T4_T5_mT6_P12ihipStream_tbENKUlT_T0_E_clISt17integral_constantIbLb1EESX_IbLb0EEEEDaST_SU_EUlST_E0_NS1_11comp_targetILNS1_3genE8ELNS1_11target_archE1030ELNS1_3gpuE2ELNS1_3repE0EEENS1_30default_config_static_selectorELNS0_4arch9wavefront6targetE0EEEvT1_,comdat
	.globl	_ZN7rocprim17ROCPRIM_400000_NS6detail17trampoline_kernelINS0_14default_configENS1_20scan_config_selectorIN3c104HalfEEEZZNS1_9scan_implILNS1_25lookback_scan_determinismE0ELb0ELb0ES3_PKS6_PS6_S6_ZZZN2at6native31launch_logcumsumexp_cuda_kernelERKNSD_10TensorBaseESH_lENKUlvE_clEvENKUlvE3_clEvEUlS6_S6_E_S6_EEDaPvRmT3_T4_T5_mT6_P12ihipStream_tbENKUlT_T0_E_clISt17integral_constantIbLb1EESX_IbLb0EEEEDaST_SU_EUlST_E0_NS1_11comp_targetILNS1_3genE8ELNS1_11target_archE1030ELNS1_3gpuE2ELNS1_3repE0EEENS1_30default_config_static_selectorELNS0_4arch9wavefront6targetE0EEEvT1_ ; -- Begin function _ZN7rocprim17ROCPRIM_400000_NS6detail17trampoline_kernelINS0_14default_configENS1_20scan_config_selectorIN3c104HalfEEEZZNS1_9scan_implILNS1_25lookback_scan_determinismE0ELb0ELb0ES3_PKS6_PS6_S6_ZZZN2at6native31launch_logcumsumexp_cuda_kernelERKNSD_10TensorBaseESH_lENKUlvE_clEvENKUlvE3_clEvEUlS6_S6_E_S6_EEDaPvRmT3_T4_T5_mT6_P12ihipStream_tbENKUlT_T0_E_clISt17integral_constantIbLb1EESX_IbLb0EEEEDaST_SU_EUlST_E0_NS1_11comp_targetILNS1_3genE8ELNS1_11target_archE1030ELNS1_3gpuE2ELNS1_3repE0EEENS1_30default_config_static_selectorELNS0_4arch9wavefront6targetE0EEEvT1_
	.p2align	8
	.type	_ZN7rocprim17ROCPRIM_400000_NS6detail17trampoline_kernelINS0_14default_configENS1_20scan_config_selectorIN3c104HalfEEEZZNS1_9scan_implILNS1_25lookback_scan_determinismE0ELb0ELb0ES3_PKS6_PS6_S6_ZZZN2at6native31launch_logcumsumexp_cuda_kernelERKNSD_10TensorBaseESH_lENKUlvE_clEvENKUlvE3_clEvEUlS6_S6_E_S6_EEDaPvRmT3_T4_T5_mT6_P12ihipStream_tbENKUlT_T0_E_clISt17integral_constantIbLb1EESX_IbLb0EEEEDaST_SU_EUlST_E0_NS1_11comp_targetILNS1_3genE8ELNS1_11target_archE1030ELNS1_3gpuE2ELNS1_3repE0EEENS1_30default_config_static_selectorELNS0_4arch9wavefront6targetE0EEEvT1_,@function
_ZN7rocprim17ROCPRIM_400000_NS6detail17trampoline_kernelINS0_14default_configENS1_20scan_config_selectorIN3c104HalfEEEZZNS1_9scan_implILNS1_25lookback_scan_determinismE0ELb0ELb0ES3_PKS6_PS6_S6_ZZZN2at6native31launch_logcumsumexp_cuda_kernelERKNSD_10TensorBaseESH_lENKUlvE_clEvENKUlvE3_clEvEUlS6_S6_E_S6_EEDaPvRmT3_T4_T5_mT6_P12ihipStream_tbENKUlT_T0_E_clISt17integral_constantIbLb1EESX_IbLb0EEEEDaST_SU_EUlST_E0_NS1_11comp_targetILNS1_3genE8ELNS1_11target_archE1030ELNS1_3gpuE2ELNS1_3repE0EEENS1_30default_config_static_selectorELNS0_4arch9wavefront6targetE0EEEvT1_: ; @_ZN7rocprim17ROCPRIM_400000_NS6detail17trampoline_kernelINS0_14default_configENS1_20scan_config_selectorIN3c104HalfEEEZZNS1_9scan_implILNS1_25lookback_scan_determinismE0ELb0ELb0ES3_PKS6_PS6_S6_ZZZN2at6native31launch_logcumsumexp_cuda_kernelERKNSD_10TensorBaseESH_lENKUlvE_clEvENKUlvE3_clEvEUlS6_S6_E_S6_EEDaPvRmT3_T4_T5_mT6_P12ihipStream_tbENKUlT_T0_E_clISt17integral_constantIbLb1EESX_IbLb0EEEEDaST_SU_EUlST_E0_NS1_11comp_targetILNS1_3genE8ELNS1_11target_archE1030ELNS1_3gpuE2ELNS1_3repE0EEENS1_30default_config_static_selectorELNS0_4arch9wavefront6targetE0EEEvT1_
; %bb.0:
	.section	.rodata,"a",@progbits
	.p2align	6, 0x0
	.amdhsa_kernel _ZN7rocprim17ROCPRIM_400000_NS6detail17trampoline_kernelINS0_14default_configENS1_20scan_config_selectorIN3c104HalfEEEZZNS1_9scan_implILNS1_25lookback_scan_determinismE0ELb0ELb0ES3_PKS6_PS6_S6_ZZZN2at6native31launch_logcumsumexp_cuda_kernelERKNSD_10TensorBaseESH_lENKUlvE_clEvENKUlvE3_clEvEUlS6_S6_E_S6_EEDaPvRmT3_T4_T5_mT6_P12ihipStream_tbENKUlT_T0_E_clISt17integral_constantIbLb1EESX_IbLb0EEEEDaST_SU_EUlST_E0_NS1_11comp_targetILNS1_3genE8ELNS1_11target_archE1030ELNS1_3gpuE2ELNS1_3repE0EEENS1_30default_config_static_selectorELNS0_4arch9wavefront6targetE0EEEvT1_
		.amdhsa_group_segment_fixed_size 0
		.amdhsa_private_segment_fixed_size 0
		.amdhsa_kernarg_size 32
		.amdhsa_user_sgpr_count 15
		.amdhsa_user_sgpr_dispatch_ptr 0
		.amdhsa_user_sgpr_queue_ptr 0
		.amdhsa_user_sgpr_kernarg_segment_ptr 1
		.amdhsa_user_sgpr_dispatch_id 0
		.amdhsa_user_sgpr_private_segment_size 0
		.amdhsa_wavefront_size32 1
		.amdhsa_uses_dynamic_stack 0
		.amdhsa_enable_private_segment 0
		.amdhsa_system_sgpr_workgroup_id_x 1
		.amdhsa_system_sgpr_workgroup_id_y 0
		.amdhsa_system_sgpr_workgroup_id_z 0
		.amdhsa_system_sgpr_workgroup_info 0
		.amdhsa_system_vgpr_workitem_id 0
		.amdhsa_next_free_vgpr 1
		.amdhsa_next_free_sgpr 1
		.amdhsa_reserve_vcc 0
		.amdhsa_float_round_mode_32 0
		.amdhsa_float_round_mode_16_64 0
		.amdhsa_float_denorm_mode_32 3
		.amdhsa_float_denorm_mode_16_64 3
		.amdhsa_dx10_clamp 1
		.amdhsa_ieee_mode 1
		.amdhsa_fp16_overflow 0
		.amdhsa_workgroup_processor_mode 1
		.amdhsa_memory_ordered 1
		.amdhsa_forward_progress 0
		.amdhsa_shared_vgpr_count 0
		.amdhsa_exception_fp_ieee_invalid_op 0
		.amdhsa_exception_fp_denorm_src 0
		.amdhsa_exception_fp_ieee_div_zero 0
		.amdhsa_exception_fp_ieee_overflow 0
		.amdhsa_exception_fp_ieee_underflow 0
		.amdhsa_exception_fp_ieee_inexact 0
		.amdhsa_exception_int_div_zero 0
	.end_amdhsa_kernel
	.section	.text._ZN7rocprim17ROCPRIM_400000_NS6detail17trampoline_kernelINS0_14default_configENS1_20scan_config_selectorIN3c104HalfEEEZZNS1_9scan_implILNS1_25lookback_scan_determinismE0ELb0ELb0ES3_PKS6_PS6_S6_ZZZN2at6native31launch_logcumsumexp_cuda_kernelERKNSD_10TensorBaseESH_lENKUlvE_clEvENKUlvE3_clEvEUlS6_S6_E_S6_EEDaPvRmT3_T4_T5_mT6_P12ihipStream_tbENKUlT_T0_E_clISt17integral_constantIbLb1EESX_IbLb0EEEEDaST_SU_EUlST_E0_NS1_11comp_targetILNS1_3genE8ELNS1_11target_archE1030ELNS1_3gpuE2ELNS1_3repE0EEENS1_30default_config_static_selectorELNS0_4arch9wavefront6targetE0EEEvT1_,"axG",@progbits,_ZN7rocprim17ROCPRIM_400000_NS6detail17trampoline_kernelINS0_14default_configENS1_20scan_config_selectorIN3c104HalfEEEZZNS1_9scan_implILNS1_25lookback_scan_determinismE0ELb0ELb0ES3_PKS6_PS6_S6_ZZZN2at6native31launch_logcumsumexp_cuda_kernelERKNSD_10TensorBaseESH_lENKUlvE_clEvENKUlvE3_clEvEUlS6_S6_E_S6_EEDaPvRmT3_T4_T5_mT6_P12ihipStream_tbENKUlT_T0_E_clISt17integral_constantIbLb1EESX_IbLb0EEEEDaST_SU_EUlST_E0_NS1_11comp_targetILNS1_3genE8ELNS1_11target_archE1030ELNS1_3gpuE2ELNS1_3repE0EEENS1_30default_config_static_selectorELNS0_4arch9wavefront6targetE0EEEvT1_,comdat
.Lfunc_end421:
	.size	_ZN7rocprim17ROCPRIM_400000_NS6detail17trampoline_kernelINS0_14default_configENS1_20scan_config_selectorIN3c104HalfEEEZZNS1_9scan_implILNS1_25lookback_scan_determinismE0ELb0ELb0ES3_PKS6_PS6_S6_ZZZN2at6native31launch_logcumsumexp_cuda_kernelERKNSD_10TensorBaseESH_lENKUlvE_clEvENKUlvE3_clEvEUlS6_S6_E_S6_EEDaPvRmT3_T4_T5_mT6_P12ihipStream_tbENKUlT_T0_E_clISt17integral_constantIbLb1EESX_IbLb0EEEEDaST_SU_EUlST_E0_NS1_11comp_targetILNS1_3genE8ELNS1_11target_archE1030ELNS1_3gpuE2ELNS1_3repE0EEENS1_30default_config_static_selectorELNS0_4arch9wavefront6targetE0EEEvT1_, .Lfunc_end421-_ZN7rocprim17ROCPRIM_400000_NS6detail17trampoline_kernelINS0_14default_configENS1_20scan_config_selectorIN3c104HalfEEEZZNS1_9scan_implILNS1_25lookback_scan_determinismE0ELb0ELb0ES3_PKS6_PS6_S6_ZZZN2at6native31launch_logcumsumexp_cuda_kernelERKNSD_10TensorBaseESH_lENKUlvE_clEvENKUlvE3_clEvEUlS6_S6_E_S6_EEDaPvRmT3_T4_T5_mT6_P12ihipStream_tbENKUlT_T0_E_clISt17integral_constantIbLb1EESX_IbLb0EEEEDaST_SU_EUlST_E0_NS1_11comp_targetILNS1_3genE8ELNS1_11target_archE1030ELNS1_3gpuE2ELNS1_3repE0EEENS1_30default_config_static_selectorELNS0_4arch9wavefront6targetE0EEEvT1_
                                        ; -- End function
	.section	.AMDGPU.csdata,"",@progbits
; Kernel info:
; codeLenInByte = 0
; NumSgprs: 0
; NumVgprs: 0
; ScratchSize: 0
; MemoryBound: 0
; FloatMode: 240
; IeeeMode: 1
; LDSByteSize: 0 bytes/workgroup (compile time only)
; SGPRBlocks: 0
; VGPRBlocks: 0
; NumSGPRsForWavesPerEU: 1
; NumVGPRsForWavesPerEU: 1
; Occupancy: 16
; WaveLimiterHint : 0
; COMPUTE_PGM_RSRC2:SCRATCH_EN: 0
; COMPUTE_PGM_RSRC2:USER_SGPR: 15
; COMPUTE_PGM_RSRC2:TRAP_HANDLER: 0
; COMPUTE_PGM_RSRC2:TGID_X_EN: 1
; COMPUTE_PGM_RSRC2:TGID_Y_EN: 0
; COMPUTE_PGM_RSRC2:TGID_Z_EN: 0
; COMPUTE_PGM_RSRC2:TIDIG_COMP_CNT: 0
	.section	.text._ZN7rocprim17ROCPRIM_400000_NS6detail31init_lookback_scan_state_kernelINS1_19lookback_scan_stateIN3c104HalfELb0ELb1EEENS1_16block_id_wrapperIjLb1EEEEEvT_jT0_jPNS9_10value_typeE,"axG",@progbits,_ZN7rocprim17ROCPRIM_400000_NS6detail31init_lookback_scan_state_kernelINS1_19lookback_scan_stateIN3c104HalfELb0ELb1EEENS1_16block_id_wrapperIjLb1EEEEEvT_jT0_jPNS9_10value_typeE,comdat
	.protected	_ZN7rocprim17ROCPRIM_400000_NS6detail31init_lookback_scan_state_kernelINS1_19lookback_scan_stateIN3c104HalfELb0ELb1EEENS1_16block_id_wrapperIjLb1EEEEEvT_jT0_jPNS9_10value_typeE ; -- Begin function _ZN7rocprim17ROCPRIM_400000_NS6detail31init_lookback_scan_state_kernelINS1_19lookback_scan_stateIN3c104HalfELb0ELb1EEENS1_16block_id_wrapperIjLb1EEEEEvT_jT0_jPNS9_10value_typeE
	.globl	_ZN7rocprim17ROCPRIM_400000_NS6detail31init_lookback_scan_state_kernelINS1_19lookback_scan_stateIN3c104HalfELb0ELb1EEENS1_16block_id_wrapperIjLb1EEEEEvT_jT0_jPNS9_10value_typeE
	.p2align	8
	.type	_ZN7rocprim17ROCPRIM_400000_NS6detail31init_lookback_scan_state_kernelINS1_19lookback_scan_stateIN3c104HalfELb0ELb1EEENS1_16block_id_wrapperIjLb1EEEEEvT_jT0_jPNS9_10value_typeE,@function
_ZN7rocprim17ROCPRIM_400000_NS6detail31init_lookback_scan_state_kernelINS1_19lookback_scan_stateIN3c104HalfELb0ELb1EEENS1_16block_id_wrapperIjLb1EEEEEvT_jT0_jPNS9_10value_typeE: ; @_ZN7rocprim17ROCPRIM_400000_NS6detail31init_lookback_scan_state_kernelINS1_19lookback_scan_stateIN3c104HalfELb0ELb1EEENS1_16block_id_wrapperIjLb1EEEEEvT_jT0_jPNS9_10value_typeE
; %bb.0:
	s_clause 0x3
	s_load_b32 s6, s[0:1], 0x34
	s_load_b64 s[4:5], s[0:1], 0x20
	s_load_b64 s[2:3], s[0:1], 0x0
	s_load_b32 s8, s[0:1], 0x8
	s_waitcnt lgkmcnt(0)
	s_and_b32 s6, s6, 0xffff
	s_cmp_eq_u64 s[4:5], 0
	v_mad_u64_u32 v[1:2], null, s15, s6, v[0:1]
	s_cbranch_scc1 .LBB422_6
; %bb.1:
	s_load_b32 s6, s[0:1], 0x18
	s_waitcnt lgkmcnt(0)
	s_cmp_lt_u32 s6, s8
	s_cselect_b32 s7, s6, 0
	s_delay_alu instid0(VALU_DEP_1) | instid1(SALU_CYCLE_1)
	v_cmp_eq_u32_e32 vcc_lo, s7, v1
	s_mov_b32 s7, 0
	s_and_saveexec_b32 s9, vcc_lo
	s_cbranch_execz .LBB422_5
; %bb.2:
	s_add_i32 s6, s6, 32
	v_mov_b32_e32 v2, 0
	s_lshl_b64 s[6:7], s[6:7], 2
	s_delay_alu instid0(SALU_CYCLE_1) | instskip(SKIP_4) | instid1(VALU_DEP_1)
	s_add_u32 s6, s2, s6
	s_addc_u32 s7, s3, s7
	global_load_b32 v0, v2, s[6:7] glc
	s_waitcnt vmcnt(0)
	v_and_b32_e32 v3, 0xff0000, v0
	v_cmp_ne_u32_e32 vcc_lo, 0, v3
	s_cbranch_vccnz .LBB422_4
.LBB422_3:                              ; =>This Inner Loop Header: Depth=1
	global_load_b32 v0, v2, s[6:7] glc
	s_waitcnt vmcnt(0)
	v_and_b32_e32 v3, 0xff0000, v0
	s_delay_alu instid0(VALU_DEP_1)
	v_cmp_eq_u32_e32 vcc_lo, 0, v3
	s_cbranch_vccnz .LBB422_3
.LBB422_4:
	v_mov_b32_e32 v2, 0
	global_store_b16 v2, v0, s[4:5]
.LBB422_5:
	s_or_b32 exec_lo, exec_lo, s9
.LBB422_6:
	s_delay_alu instid0(SALU_CYCLE_1) | instskip(NEXT) | instid1(VALU_DEP_1)
	s_mov_b32 s4, exec_lo
	v_cmpx_eq_u32_e32 0, v1
	s_cbranch_execz .LBB422_8
; %bb.7:
	s_load_b64 s[0:1], s[0:1], 0x10
	v_mov_b32_e32 v0, 0
	s_waitcnt lgkmcnt(0)
	global_store_b32 v0, v0, s[0:1]
.LBB422_8:
	s_or_b32 exec_lo, exec_lo, s4
	s_delay_alu instid0(SALU_CYCLE_1)
	s_mov_b32 s0, exec_lo
	v_cmpx_gt_u32_e64 s8, v1
	s_cbranch_execz .LBB422_10
; %bb.9:
	v_dual_mov_b32 v3, 0 :: v_dual_add_nc_u32 v2, 32, v1
	s_delay_alu instid0(VALU_DEP_1) | instskip(NEXT) | instid1(VALU_DEP_1)
	v_lshlrev_b64 v[4:5], 2, v[2:3]
	v_add_co_u32 v4, vcc_lo, s2, v4
	s_delay_alu instid0(VALU_DEP_2)
	v_add_co_ci_u32_e32 v5, vcc_lo, s3, v5, vcc_lo
	global_store_b32 v[4:5], v3, off
.LBB422_10:
	s_or_b32 exec_lo, exec_lo, s0
	s_delay_alu instid0(SALU_CYCLE_1)
	s_mov_b32 s0, exec_lo
	v_cmpx_gt_u32_e32 32, v1
	s_cbranch_execz .LBB422_12
; %bb.11:
	v_mov_b32_e32 v2, 0
	s_delay_alu instid0(VALU_DEP_1) | instskip(SKIP_1) | instid1(VALU_DEP_2)
	v_lshlrev_b64 v[0:1], 2, v[1:2]
	v_mov_b32_e32 v2, 0xff0000
	v_add_co_u32 v0, vcc_lo, s2, v0
	s_delay_alu instid0(VALU_DEP_3)
	v_add_co_ci_u32_e32 v1, vcc_lo, s3, v1, vcc_lo
	global_store_b32 v[0:1], v2, off
.LBB422_12:
	s_nop 0
	s_sendmsg sendmsg(MSG_DEALLOC_VGPRS)
	s_endpgm
	.section	.rodata,"a",@progbits
	.p2align	6, 0x0
	.amdhsa_kernel _ZN7rocprim17ROCPRIM_400000_NS6detail31init_lookback_scan_state_kernelINS1_19lookback_scan_stateIN3c104HalfELb0ELb1EEENS1_16block_id_wrapperIjLb1EEEEEvT_jT0_jPNS9_10value_typeE
		.amdhsa_group_segment_fixed_size 0
		.amdhsa_private_segment_fixed_size 0
		.amdhsa_kernarg_size 296
		.amdhsa_user_sgpr_count 15
		.amdhsa_user_sgpr_dispatch_ptr 0
		.amdhsa_user_sgpr_queue_ptr 0
		.amdhsa_user_sgpr_kernarg_segment_ptr 1
		.amdhsa_user_sgpr_dispatch_id 0
		.amdhsa_user_sgpr_private_segment_size 0
		.amdhsa_wavefront_size32 1
		.amdhsa_uses_dynamic_stack 0
		.amdhsa_enable_private_segment 0
		.amdhsa_system_sgpr_workgroup_id_x 1
		.amdhsa_system_sgpr_workgroup_id_y 0
		.amdhsa_system_sgpr_workgroup_id_z 0
		.amdhsa_system_sgpr_workgroup_info 0
		.amdhsa_system_vgpr_workitem_id 0
		.amdhsa_next_free_vgpr 6
		.amdhsa_next_free_sgpr 16
		.amdhsa_reserve_vcc 1
		.amdhsa_float_round_mode_32 0
		.amdhsa_float_round_mode_16_64 0
		.amdhsa_float_denorm_mode_32 3
		.amdhsa_float_denorm_mode_16_64 3
		.amdhsa_dx10_clamp 1
		.amdhsa_ieee_mode 1
		.amdhsa_fp16_overflow 0
		.amdhsa_workgroup_processor_mode 1
		.amdhsa_memory_ordered 1
		.amdhsa_forward_progress 0
		.amdhsa_shared_vgpr_count 0
		.amdhsa_exception_fp_ieee_invalid_op 0
		.amdhsa_exception_fp_denorm_src 0
		.amdhsa_exception_fp_ieee_div_zero 0
		.amdhsa_exception_fp_ieee_overflow 0
		.amdhsa_exception_fp_ieee_underflow 0
		.amdhsa_exception_fp_ieee_inexact 0
		.amdhsa_exception_int_div_zero 0
	.end_amdhsa_kernel
	.section	.text._ZN7rocprim17ROCPRIM_400000_NS6detail31init_lookback_scan_state_kernelINS1_19lookback_scan_stateIN3c104HalfELb0ELb1EEENS1_16block_id_wrapperIjLb1EEEEEvT_jT0_jPNS9_10value_typeE,"axG",@progbits,_ZN7rocprim17ROCPRIM_400000_NS6detail31init_lookback_scan_state_kernelINS1_19lookback_scan_stateIN3c104HalfELb0ELb1EEENS1_16block_id_wrapperIjLb1EEEEEvT_jT0_jPNS9_10value_typeE,comdat
.Lfunc_end422:
	.size	_ZN7rocprim17ROCPRIM_400000_NS6detail31init_lookback_scan_state_kernelINS1_19lookback_scan_stateIN3c104HalfELb0ELb1EEENS1_16block_id_wrapperIjLb1EEEEEvT_jT0_jPNS9_10value_typeE, .Lfunc_end422-_ZN7rocprim17ROCPRIM_400000_NS6detail31init_lookback_scan_state_kernelINS1_19lookback_scan_stateIN3c104HalfELb0ELb1EEENS1_16block_id_wrapperIjLb1EEEEEvT_jT0_jPNS9_10value_typeE
                                        ; -- End function
	.section	.AMDGPU.csdata,"",@progbits
; Kernel info:
; codeLenInByte = 392
; NumSgprs: 18
; NumVgprs: 6
; ScratchSize: 0
; MemoryBound: 0
; FloatMode: 240
; IeeeMode: 1
; LDSByteSize: 0 bytes/workgroup (compile time only)
; SGPRBlocks: 2
; VGPRBlocks: 0
; NumSGPRsForWavesPerEU: 18
; NumVGPRsForWavesPerEU: 6
; Occupancy: 16
; WaveLimiterHint : 0
; COMPUTE_PGM_RSRC2:SCRATCH_EN: 0
; COMPUTE_PGM_RSRC2:USER_SGPR: 15
; COMPUTE_PGM_RSRC2:TRAP_HANDLER: 0
; COMPUTE_PGM_RSRC2:TGID_X_EN: 1
; COMPUTE_PGM_RSRC2:TGID_Y_EN: 0
; COMPUTE_PGM_RSRC2:TGID_Z_EN: 0
; COMPUTE_PGM_RSRC2:TIDIG_COMP_CNT: 0
	.section	.text._ZN7rocprim17ROCPRIM_400000_NS6detail17trampoline_kernelINS0_14default_configENS1_20scan_config_selectorIN3c104HalfEEEZZNS1_9scan_implILNS1_25lookback_scan_determinismE0ELb0ELb0ES3_PKS6_PS6_S6_ZZZN2at6native31launch_logcumsumexp_cuda_kernelERKNSD_10TensorBaseESH_lENKUlvE_clEvENKUlvE3_clEvEUlS6_S6_E_S6_EEDaPvRmT3_T4_T5_mT6_P12ihipStream_tbENKUlT_T0_E_clISt17integral_constantIbLb0EESX_IbLb1EEEEDaST_SU_EUlST_E_NS1_11comp_targetILNS1_3genE0ELNS1_11target_archE4294967295ELNS1_3gpuE0ELNS1_3repE0EEENS1_30default_config_static_selectorELNS0_4arch9wavefront6targetE0EEEvT1_,"axG",@progbits,_ZN7rocprim17ROCPRIM_400000_NS6detail17trampoline_kernelINS0_14default_configENS1_20scan_config_selectorIN3c104HalfEEEZZNS1_9scan_implILNS1_25lookback_scan_determinismE0ELb0ELb0ES3_PKS6_PS6_S6_ZZZN2at6native31launch_logcumsumexp_cuda_kernelERKNSD_10TensorBaseESH_lENKUlvE_clEvENKUlvE3_clEvEUlS6_S6_E_S6_EEDaPvRmT3_T4_T5_mT6_P12ihipStream_tbENKUlT_T0_E_clISt17integral_constantIbLb0EESX_IbLb1EEEEDaST_SU_EUlST_E_NS1_11comp_targetILNS1_3genE0ELNS1_11target_archE4294967295ELNS1_3gpuE0ELNS1_3repE0EEENS1_30default_config_static_selectorELNS0_4arch9wavefront6targetE0EEEvT1_,comdat
	.globl	_ZN7rocprim17ROCPRIM_400000_NS6detail17trampoline_kernelINS0_14default_configENS1_20scan_config_selectorIN3c104HalfEEEZZNS1_9scan_implILNS1_25lookback_scan_determinismE0ELb0ELb0ES3_PKS6_PS6_S6_ZZZN2at6native31launch_logcumsumexp_cuda_kernelERKNSD_10TensorBaseESH_lENKUlvE_clEvENKUlvE3_clEvEUlS6_S6_E_S6_EEDaPvRmT3_T4_T5_mT6_P12ihipStream_tbENKUlT_T0_E_clISt17integral_constantIbLb0EESX_IbLb1EEEEDaST_SU_EUlST_E_NS1_11comp_targetILNS1_3genE0ELNS1_11target_archE4294967295ELNS1_3gpuE0ELNS1_3repE0EEENS1_30default_config_static_selectorELNS0_4arch9wavefront6targetE0EEEvT1_ ; -- Begin function _ZN7rocprim17ROCPRIM_400000_NS6detail17trampoline_kernelINS0_14default_configENS1_20scan_config_selectorIN3c104HalfEEEZZNS1_9scan_implILNS1_25lookback_scan_determinismE0ELb0ELb0ES3_PKS6_PS6_S6_ZZZN2at6native31launch_logcumsumexp_cuda_kernelERKNSD_10TensorBaseESH_lENKUlvE_clEvENKUlvE3_clEvEUlS6_S6_E_S6_EEDaPvRmT3_T4_T5_mT6_P12ihipStream_tbENKUlT_T0_E_clISt17integral_constantIbLb0EESX_IbLb1EEEEDaST_SU_EUlST_E_NS1_11comp_targetILNS1_3genE0ELNS1_11target_archE4294967295ELNS1_3gpuE0ELNS1_3repE0EEENS1_30default_config_static_selectorELNS0_4arch9wavefront6targetE0EEEvT1_
	.p2align	8
	.type	_ZN7rocprim17ROCPRIM_400000_NS6detail17trampoline_kernelINS0_14default_configENS1_20scan_config_selectorIN3c104HalfEEEZZNS1_9scan_implILNS1_25lookback_scan_determinismE0ELb0ELb0ES3_PKS6_PS6_S6_ZZZN2at6native31launch_logcumsumexp_cuda_kernelERKNSD_10TensorBaseESH_lENKUlvE_clEvENKUlvE3_clEvEUlS6_S6_E_S6_EEDaPvRmT3_T4_T5_mT6_P12ihipStream_tbENKUlT_T0_E_clISt17integral_constantIbLb0EESX_IbLb1EEEEDaST_SU_EUlST_E_NS1_11comp_targetILNS1_3genE0ELNS1_11target_archE4294967295ELNS1_3gpuE0ELNS1_3repE0EEENS1_30default_config_static_selectorELNS0_4arch9wavefront6targetE0EEEvT1_,@function
_ZN7rocprim17ROCPRIM_400000_NS6detail17trampoline_kernelINS0_14default_configENS1_20scan_config_selectorIN3c104HalfEEEZZNS1_9scan_implILNS1_25lookback_scan_determinismE0ELb0ELb0ES3_PKS6_PS6_S6_ZZZN2at6native31launch_logcumsumexp_cuda_kernelERKNSD_10TensorBaseESH_lENKUlvE_clEvENKUlvE3_clEvEUlS6_S6_E_S6_EEDaPvRmT3_T4_T5_mT6_P12ihipStream_tbENKUlT_T0_E_clISt17integral_constantIbLb0EESX_IbLb1EEEEDaST_SU_EUlST_E_NS1_11comp_targetILNS1_3genE0ELNS1_11target_archE4294967295ELNS1_3gpuE0ELNS1_3repE0EEENS1_30default_config_static_selectorELNS0_4arch9wavefront6targetE0EEEvT1_: ; @_ZN7rocprim17ROCPRIM_400000_NS6detail17trampoline_kernelINS0_14default_configENS1_20scan_config_selectorIN3c104HalfEEEZZNS1_9scan_implILNS1_25lookback_scan_determinismE0ELb0ELb0ES3_PKS6_PS6_S6_ZZZN2at6native31launch_logcumsumexp_cuda_kernelERKNSD_10TensorBaseESH_lENKUlvE_clEvENKUlvE3_clEvEUlS6_S6_E_S6_EEDaPvRmT3_T4_T5_mT6_P12ihipStream_tbENKUlT_T0_E_clISt17integral_constantIbLb0EESX_IbLb1EEEEDaST_SU_EUlST_E_NS1_11comp_targetILNS1_3genE0ELNS1_11target_archE4294967295ELNS1_3gpuE0ELNS1_3repE0EEENS1_30default_config_static_selectorELNS0_4arch9wavefront6targetE0EEEvT1_
; %bb.0:
	.section	.rodata,"a",@progbits
	.p2align	6, 0x0
	.amdhsa_kernel _ZN7rocprim17ROCPRIM_400000_NS6detail17trampoline_kernelINS0_14default_configENS1_20scan_config_selectorIN3c104HalfEEEZZNS1_9scan_implILNS1_25lookback_scan_determinismE0ELb0ELb0ES3_PKS6_PS6_S6_ZZZN2at6native31launch_logcumsumexp_cuda_kernelERKNSD_10TensorBaseESH_lENKUlvE_clEvENKUlvE3_clEvEUlS6_S6_E_S6_EEDaPvRmT3_T4_T5_mT6_P12ihipStream_tbENKUlT_T0_E_clISt17integral_constantIbLb0EESX_IbLb1EEEEDaST_SU_EUlST_E_NS1_11comp_targetILNS1_3genE0ELNS1_11target_archE4294967295ELNS1_3gpuE0ELNS1_3repE0EEENS1_30default_config_static_selectorELNS0_4arch9wavefront6targetE0EEEvT1_
		.amdhsa_group_segment_fixed_size 0
		.amdhsa_private_segment_fixed_size 0
		.amdhsa_kernarg_size 96
		.amdhsa_user_sgpr_count 15
		.amdhsa_user_sgpr_dispatch_ptr 0
		.amdhsa_user_sgpr_queue_ptr 0
		.amdhsa_user_sgpr_kernarg_segment_ptr 1
		.amdhsa_user_sgpr_dispatch_id 0
		.amdhsa_user_sgpr_private_segment_size 0
		.amdhsa_wavefront_size32 1
		.amdhsa_uses_dynamic_stack 0
		.amdhsa_enable_private_segment 0
		.amdhsa_system_sgpr_workgroup_id_x 1
		.amdhsa_system_sgpr_workgroup_id_y 0
		.amdhsa_system_sgpr_workgroup_id_z 0
		.amdhsa_system_sgpr_workgroup_info 0
		.amdhsa_system_vgpr_workitem_id 0
		.amdhsa_next_free_vgpr 1
		.amdhsa_next_free_sgpr 1
		.amdhsa_reserve_vcc 0
		.amdhsa_float_round_mode_32 0
		.amdhsa_float_round_mode_16_64 0
		.amdhsa_float_denorm_mode_32 3
		.amdhsa_float_denorm_mode_16_64 3
		.amdhsa_dx10_clamp 1
		.amdhsa_ieee_mode 1
		.amdhsa_fp16_overflow 0
		.amdhsa_workgroup_processor_mode 1
		.amdhsa_memory_ordered 1
		.amdhsa_forward_progress 0
		.amdhsa_shared_vgpr_count 0
		.amdhsa_exception_fp_ieee_invalid_op 0
		.amdhsa_exception_fp_denorm_src 0
		.amdhsa_exception_fp_ieee_div_zero 0
		.amdhsa_exception_fp_ieee_overflow 0
		.amdhsa_exception_fp_ieee_underflow 0
		.amdhsa_exception_fp_ieee_inexact 0
		.amdhsa_exception_int_div_zero 0
	.end_amdhsa_kernel
	.section	.text._ZN7rocprim17ROCPRIM_400000_NS6detail17trampoline_kernelINS0_14default_configENS1_20scan_config_selectorIN3c104HalfEEEZZNS1_9scan_implILNS1_25lookback_scan_determinismE0ELb0ELb0ES3_PKS6_PS6_S6_ZZZN2at6native31launch_logcumsumexp_cuda_kernelERKNSD_10TensorBaseESH_lENKUlvE_clEvENKUlvE3_clEvEUlS6_S6_E_S6_EEDaPvRmT3_T4_T5_mT6_P12ihipStream_tbENKUlT_T0_E_clISt17integral_constantIbLb0EESX_IbLb1EEEEDaST_SU_EUlST_E_NS1_11comp_targetILNS1_3genE0ELNS1_11target_archE4294967295ELNS1_3gpuE0ELNS1_3repE0EEENS1_30default_config_static_selectorELNS0_4arch9wavefront6targetE0EEEvT1_,"axG",@progbits,_ZN7rocprim17ROCPRIM_400000_NS6detail17trampoline_kernelINS0_14default_configENS1_20scan_config_selectorIN3c104HalfEEEZZNS1_9scan_implILNS1_25lookback_scan_determinismE0ELb0ELb0ES3_PKS6_PS6_S6_ZZZN2at6native31launch_logcumsumexp_cuda_kernelERKNSD_10TensorBaseESH_lENKUlvE_clEvENKUlvE3_clEvEUlS6_S6_E_S6_EEDaPvRmT3_T4_T5_mT6_P12ihipStream_tbENKUlT_T0_E_clISt17integral_constantIbLb0EESX_IbLb1EEEEDaST_SU_EUlST_E_NS1_11comp_targetILNS1_3genE0ELNS1_11target_archE4294967295ELNS1_3gpuE0ELNS1_3repE0EEENS1_30default_config_static_selectorELNS0_4arch9wavefront6targetE0EEEvT1_,comdat
.Lfunc_end423:
	.size	_ZN7rocprim17ROCPRIM_400000_NS6detail17trampoline_kernelINS0_14default_configENS1_20scan_config_selectorIN3c104HalfEEEZZNS1_9scan_implILNS1_25lookback_scan_determinismE0ELb0ELb0ES3_PKS6_PS6_S6_ZZZN2at6native31launch_logcumsumexp_cuda_kernelERKNSD_10TensorBaseESH_lENKUlvE_clEvENKUlvE3_clEvEUlS6_S6_E_S6_EEDaPvRmT3_T4_T5_mT6_P12ihipStream_tbENKUlT_T0_E_clISt17integral_constantIbLb0EESX_IbLb1EEEEDaST_SU_EUlST_E_NS1_11comp_targetILNS1_3genE0ELNS1_11target_archE4294967295ELNS1_3gpuE0ELNS1_3repE0EEENS1_30default_config_static_selectorELNS0_4arch9wavefront6targetE0EEEvT1_, .Lfunc_end423-_ZN7rocprim17ROCPRIM_400000_NS6detail17trampoline_kernelINS0_14default_configENS1_20scan_config_selectorIN3c104HalfEEEZZNS1_9scan_implILNS1_25lookback_scan_determinismE0ELb0ELb0ES3_PKS6_PS6_S6_ZZZN2at6native31launch_logcumsumexp_cuda_kernelERKNSD_10TensorBaseESH_lENKUlvE_clEvENKUlvE3_clEvEUlS6_S6_E_S6_EEDaPvRmT3_T4_T5_mT6_P12ihipStream_tbENKUlT_T0_E_clISt17integral_constantIbLb0EESX_IbLb1EEEEDaST_SU_EUlST_E_NS1_11comp_targetILNS1_3genE0ELNS1_11target_archE4294967295ELNS1_3gpuE0ELNS1_3repE0EEENS1_30default_config_static_selectorELNS0_4arch9wavefront6targetE0EEEvT1_
                                        ; -- End function
	.section	.AMDGPU.csdata,"",@progbits
; Kernel info:
; codeLenInByte = 0
; NumSgprs: 0
; NumVgprs: 0
; ScratchSize: 0
; MemoryBound: 0
; FloatMode: 240
; IeeeMode: 1
; LDSByteSize: 0 bytes/workgroup (compile time only)
; SGPRBlocks: 0
; VGPRBlocks: 0
; NumSGPRsForWavesPerEU: 1
; NumVGPRsForWavesPerEU: 1
; Occupancy: 16
; WaveLimiterHint : 0
; COMPUTE_PGM_RSRC2:SCRATCH_EN: 0
; COMPUTE_PGM_RSRC2:USER_SGPR: 15
; COMPUTE_PGM_RSRC2:TRAP_HANDLER: 0
; COMPUTE_PGM_RSRC2:TGID_X_EN: 1
; COMPUTE_PGM_RSRC2:TGID_Y_EN: 0
; COMPUTE_PGM_RSRC2:TGID_Z_EN: 0
; COMPUTE_PGM_RSRC2:TIDIG_COMP_CNT: 0
	.section	.text._ZN7rocprim17ROCPRIM_400000_NS6detail17trampoline_kernelINS0_14default_configENS1_20scan_config_selectorIN3c104HalfEEEZZNS1_9scan_implILNS1_25lookback_scan_determinismE0ELb0ELb0ES3_PKS6_PS6_S6_ZZZN2at6native31launch_logcumsumexp_cuda_kernelERKNSD_10TensorBaseESH_lENKUlvE_clEvENKUlvE3_clEvEUlS6_S6_E_S6_EEDaPvRmT3_T4_T5_mT6_P12ihipStream_tbENKUlT_T0_E_clISt17integral_constantIbLb0EESX_IbLb1EEEEDaST_SU_EUlST_E_NS1_11comp_targetILNS1_3genE5ELNS1_11target_archE942ELNS1_3gpuE9ELNS1_3repE0EEENS1_30default_config_static_selectorELNS0_4arch9wavefront6targetE0EEEvT1_,"axG",@progbits,_ZN7rocprim17ROCPRIM_400000_NS6detail17trampoline_kernelINS0_14default_configENS1_20scan_config_selectorIN3c104HalfEEEZZNS1_9scan_implILNS1_25lookback_scan_determinismE0ELb0ELb0ES3_PKS6_PS6_S6_ZZZN2at6native31launch_logcumsumexp_cuda_kernelERKNSD_10TensorBaseESH_lENKUlvE_clEvENKUlvE3_clEvEUlS6_S6_E_S6_EEDaPvRmT3_T4_T5_mT6_P12ihipStream_tbENKUlT_T0_E_clISt17integral_constantIbLb0EESX_IbLb1EEEEDaST_SU_EUlST_E_NS1_11comp_targetILNS1_3genE5ELNS1_11target_archE942ELNS1_3gpuE9ELNS1_3repE0EEENS1_30default_config_static_selectorELNS0_4arch9wavefront6targetE0EEEvT1_,comdat
	.globl	_ZN7rocprim17ROCPRIM_400000_NS6detail17trampoline_kernelINS0_14default_configENS1_20scan_config_selectorIN3c104HalfEEEZZNS1_9scan_implILNS1_25lookback_scan_determinismE0ELb0ELb0ES3_PKS6_PS6_S6_ZZZN2at6native31launch_logcumsumexp_cuda_kernelERKNSD_10TensorBaseESH_lENKUlvE_clEvENKUlvE3_clEvEUlS6_S6_E_S6_EEDaPvRmT3_T4_T5_mT6_P12ihipStream_tbENKUlT_T0_E_clISt17integral_constantIbLb0EESX_IbLb1EEEEDaST_SU_EUlST_E_NS1_11comp_targetILNS1_3genE5ELNS1_11target_archE942ELNS1_3gpuE9ELNS1_3repE0EEENS1_30default_config_static_selectorELNS0_4arch9wavefront6targetE0EEEvT1_ ; -- Begin function _ZN7rocprim17ROCPRIM_400000_NS6detail17trampoline_kernelINS0_14default_configENS1_20scan_config_selectorIN3c104HalfEEEZZNS1_9scan_implILNS1_25lookback_scan_determinismE0ELb0ELb0ES3_PKS6_PS6_S6_ZZZN2at6native31launch_logcumsumexp_cuda_kernelERKNSD_10TensorBaseESH_lENKUlvE_clEvENKUlvE3_clEvEUlS6_S6_E_S6_EEDaPvRmT3_T4_T5_mT6_P12ihipStream_tbENKUlT_T0_E_clISt17integral_constantIbLb0EESX_IbLb1EEEEDaST_SU_EUlST_E_NS1_11comp_targetILNS1_3genE5ELNS1_11target_archE942ELNS1_3gpuE9ELNS1_3repE0EEENS1_30default_config_static_selectorELNS0_4arch9wavefront6targetE0EEEvT1_
	.p2align	8
	.type	_ZN7rocprim17ROCPRIM_400000_NS6detail17trampoline_kernelINS0_14default_configENS1_20scan_config_selectorIN3c104HalfEEEZZNS1_9scan_implILNS1_25lookback_scan_determinismE0ELb0ELb0ES3_PKS6_PS6_S6_ZZZN2at6native31launch_logcumsumexp_cuda_kernelERKNSD_10TensorBaseESH_lENKUlvE_clEvENKUlvE3_clEvEUlS6_S6_E_S6_EEDaPvRmT3_T4_T5_mT6_P12ihipStream_tbENKUlT_T0_E_clISt17integral_constantIbLb0EESX_IbLb1EEEEDaST_SU_EUlST_E_NS1_11comp_targetILNS1_3genE5ELNS1_11target_archE942ELNS1_3gpuE9ELNS1_3repE0EEENS1_30default_config_static_selectorELNS0_4arch9wavefront6targetE0EEEvT1_,@function
_ZN7rocprim17ROCPRIM_400000_NS6detail17trampoline_kernelINS0_14default_configENS1_20scan_config_selectorIN3c104HalfEEEZZNS1_9scan_implILNS1_25lookback_scan_determinismE0ELb0ELb0ES3_PKS6_PS6_S6_ZZZN2at6native31launch_logcumsumexp_cuda_kernelERKNSD_10TensorBaseESH_lENKUlvE_clEvENKUlvE3_clEvEUlS6_S6_E_S6_EEDaPvRmT3_T4_T5_mT6_P12ihipStream_tbENKUlT_T0_E_clISt17integral_constantIbLb0EESX_IbLb1EEEEDaST_SU_EUlST_E_NS1_11comp_targetILNS1_3genE5ELNS1_11target_archE942ELNS1_3gpuE9ELNS1_3repE0EEENS1_30default_config_static_selectorELNS0_4arch9wavefront6targetE0EEEvT1_: ; @_ZN7rocprim17ROCPRIM_400000_NS6detail17trampoline_kernelINS0_14default_configENS1_20scan_config_selectorIN3c104HalfEEEZZNS1_9scan_implILNS1_25lookback_scan_determinismE0ELb0ELb0ES3_PKS6_PS6_S6_ZZZN2at6native31launch_logcumsumexp_cuda_kernelERKNSD_10TensorBaseESH_lENKUlvE_clEvENKUlvE3_clEvEUlS6_S6_E_S6_EEDaPvRmT3_T4_T5_mT6_P12ihipStream_tbENKUlT_T0_E_clISt17integral_constantIbLb0EESX_IbLb1EEEEDaST_SU_EUlST_E_NS1_11comp_targetILNS1_3genE5ELNS1_11target_archE942ELNS1_3gpuE9ELNS1_3repE0EEENS1_30default_config_static_selectorELNS0_4arch9wavefront6targetE0EEEvT1_
; %bb.0:
	.section	.rodata,"a",@progbits
	.p2align	6, 0x0
	.amdhsa_kernel _ZN7rocprim17ROCPRIM_400000_NS6detail17trampoline_kernelINS0_14default_configENS1_20scan_config_selectorIN3c104HalfEEEZZNS1_9scan_implILNS1_25lookback_scan_determinismE0ELb0ELb0ES3_PKS6_PS6_S6_ZZZN2at6native31launch_logcumsumexp_cuda_kernelERKNSD_10TensorBaseESH_lENKUlvE_clEvENKUlvE3_clEvEUlS6_S6_E_S6_EEDaPvRmT3_T4_T5_mT6_P12ihipStream_tbENKUlT_T0_E_clISt17integral_constantIbLb0EESX_IbLb1EEEEDaST_SU_EUlST_E_NS1_11comp_targetILNS1_3genE5ELNS1_11target_archE942ELNS1_3gpuE9ELNS1_3repE0EEENS1_30default_config_static_selectorELNS0_4arch9wavefront6targetE0EEEvT1_
		.amdhsa_group_segment_fixed_size 0
		.amdhsa_private_segment_fixed_size 0
		.amdhsa_kernarg_size 96
		.amdhsa_user_sgpr_count 15
		.amdhsa_user_sgpr_dispatch_ptr 0
		.amdhsa_user_sgpr_queue_ptr 0
		.amdhsa_user_sgpr_kernarg_segment_ptr 1
		.amdhsa_user_sgpr_dispatch_id 0
		.amdhsa_user_sgpr_private_segment_size 0
		.amdhsa_wavefront_size32 1
		.amdhsa_uses_dynamic_stack 0
		.amdhsa_enable_private_segment 0
		.amdhsa_system_sgpr_workgroup_id_x 1
		.amdhsa_system_sgpr_workgroup_id_y 0
		.amdhsa_system_sgpr_workgroup_id_z 0
		.amdhsa_system_sgpr_workgroup_info 0
		.amdhsa_system_vgpr_workitem_id 0
		.amdhsa_next_free_vgpr 1
		.amdhsa_next_free_sgpr 1
		.amdhsa_reserve_vcc 0
		.amdhsa_float_round_mode_32 0
		.amdhsa_float_round_mode_16_64 0
		.amdhsa_float_denorm_mode_32 3
		.amdhsa_float_denorm_mode_16_64 3
		.amdhsa_dx10_clamp 1
		.amdhsa_ieee_mode 1
		.amdhsa_fp16_overflow 0
		.amdhsa_workgroup_processor_mode 1
		.amdhsa_memory_ordered 1
		.amdhsa_forward_progress 0
		.amdhsa_shared_vgpr_count 0
		.amdhsa_exception_fp_ieee_invalid_op 0
		.amdhsa_exception_fp_denorm_src 0
		.amdhsa_exception_fp_ieee_div_zero 0
		.amdhsa_exception_fp_ieee_overflow 0
		.amdhsa_exception_fp_ieee_underflow 0
		.amdhsa_exception_fp_ieee_inexact 0
		.amdhsa_exception_int_div_zero 0
	.end_amdhsa_kernel
	.section	.text._ZN7rocprim17ROCPRIM_400000_NS6detail17trampoline_kernelINS0_14default_configENS1_20scan_config_selectorIN3c104HalfEEEZZNS1_9scan_implILNS1_25lookback_scan_determinismE0ELb0ELb0ES3_PKS6_PS6_S6_ZZZN2at6native31launch_logcumsumexp_cuda_kernelERKNSD_10TensorBaseESH_lENKUlvE_clEvENKUlvE3_clEvEUlS6_S6_E_S6_EEDaPvRmT3_T4_T5_mT6_P12ihipStream_tbENKUlT_T0_E_clISt17integral_constantIbLb0EESX_IbLb1EEEEDaST_SU_EUlST_E_NS1_11comp_targetILNS1_3genE5ELNS1_11target_archE942ELNS1_3gpuE9ELNS1_3repE0EEENS1_30default_config_static_selectorELNS0_4arch9wavefront6targetE0EEEvT1_,"axG",@progbits,_ZN7rocprim17ROCPRIM_400000_NS6detail17trampoline_kernelINS0_14default_configENS1_20scan_config_selectorIN3c104HalfEEEZZNS1_9scan_implILNS1_25lookback_scan_determinismE0ELb0ELb0ES3_PKS6_PS6_S6_ZZZN2at6native31launch_logcumsumexp_cuda_kernelERKNSD_10TensorBaseESH_lENKUlvE_clEvENKUlvE3_clEvEUlS6_S6_E_S6_EEDaPvRmT3_T4_T5_mT6_P12ihipStream_tbENKUlT_T0_E_clISt17integral_constantIbLb0EESX_IbLb1EEEEDaST_SU_EUlST_E_NS1_11comp_targetILNS1_3genE5ELNS1_11target_archE942ELNS1_3gpuE9ELNS1_3repE0EEENS1_30default_config_static_selectorELNS0_4arch9wavefront6targetE0EEEvT1_,comdat
.Lfunc_end424:
	.size	_ZN7rocprim17ROCPRIM_400000_NS6detail17trampoline_kernelINS0_14default_configENS1_20scan_config_selectorIN3c104HalfEEEZZNS1_9scan_implILNS1_25lookback_scan_determinismE0ELb0ELb0ES3_PKS6_PS6_S6_ZZZN2at6native31launch_logcumsumexp_cuda_kernelERKNSD_10TensorBaseESH_lENKUlvE_clEvENKUlvE3_clEvEUlS6_S6_E_S6_EEDaPvRmT3_T4_T5_mT6_P12ihipStream_tbENKUlT_T0_E_clISt17integral_constantIbLb0EESX_IbLb1EEEEDaST_SU_EUlST_E_NS1_11comp_targetILNS1_3genE5ELNS1_11target_archE942ELNS1_3gpuE9ELNS1_3repE0EEENS1_30default_config_static_selectorELNS0_4arch9wavefront6targetE0EEEvT1_, .Lfunc_end424-_ZN7rocprim17ROCPRIM_400000_NS6detail17trampoline_kernelINS0_14default_configENS1_20scan_config_selectorIN3c104HalfEEEZZNS1_9scan_implILNS1_25lookback_scan_determinismE0ELb0ELb0ES3_PKS6_PS6_S6_ZZZN2at6native31launch_logcumsumexp_cuda_kernelERKNSD_10TensorBaseESH_lENKUlvE_clEvENKUlvE3_clEvEUlS6_S6_E_S6_EEDaPvRmT3_T4_T5_mT6_P12ihipStream_tbENKUlT_T0_E_clISt17integral_constantIbLb0EESX_IbLb1EEEEDaST_SU_EUlST_E_NS1_11comp_targetILNS1_3genE5ELNS1_11target_archE942ELNS1_3gpuE9ELNS1_3repE0EEENS1_30default_config_static_selectorELNS0_4arch9wavefront6targetE0EEEvT1_
                                        ; -- End function
	.section	.AMDGPU.csdata,"",@progbits
; Kernel info:
; codeLenInByte = 0
; NumSgprs: 0
; NumVgprs: 0
; ScratchSize: 0
; MemoryBound: 0
; FloatMode: 240
; IeeeMode: 1
; LDSByteSize: 0 bytes/workgroup (compile time only)
; SGPRBlocks: 0
; VGPRBlocks: 0
; NumSGPRsForWavesPerEU: 1
; NumVGPRsForWavesPerEU: 1
; Occupancy: 16
; WaveLimiterHint : 0
; COMPUTE_PGM_RSRC2:SCRATCH_EN: 0
; COMPUTE_PGM_RSRC2:USER_SGPR: 15
; COMPUTE_PGM_RSRC2:TRAP_HANDLER: 0
; COMPUTE_PGM_RSRC2:TGID_X_EN: 1
; COMPUTE_PGM_RSRC2:TGID_Y_EN: 0
; COMPUTE_PGM_RSRC2:TGID_Z_EN: 0
; COMPUTE_PGM_RSRC2:TIDIG_COMP_CNT: 0
	.section	.text._ZN7rocprim17ROCPRIM_400000_NS6detail17trampoline_kernelINS0_14default_configENS1_20scan_config_selectorIN3c104HalfEEEZZNS1_9scan_implILNS1_25lookback_scan_determinismE0ELb0ELb0ES3_PKS6_PS6_S6_ZZZN2at6native31launch_logcumsumexp_cuda_kernelERKNSD_10TensorBaseESH_lENKUlvE_clEvENKUlvE3_clEvEUlS6_S6_E_S6_EEDaPvRmT3_T4_T5_mT6_P12ihipStream_tbENKUlT_T0_E_clISt17integral_constantIbLb0EESX_IbLb1EEEEDaST_SU_EUlST_E_NS1_11comp_targetILNS1_3genE4ELNS1_11target_archE910ELNS1_3gpuE8ELNS1_3repE0EEENS1_30default_config_static_selectorELNS0_4arch9wavefront6targetE0EEEvT1_,"axG",@progbits,_ZN7rocprim17ROCPRIM_400000_NS6detail17trampoline_kernelINS0_14default_configENS1_20scan_config_selectorIN3c104HalfEEEZZNS1_9scan_implILNS1_25lookback_scan_determinismE0ELb0ELb0ES3_PKS6_PS6_S6_ZZZN2at6native31launch_logcumsumexp_cuda_kernelERKNSD_10TensorBaseESH_lENKUlvE_clEvENKUlvE3_clEvEUlS6_S6_E_S6_EEDaPvRmT3_T4_T5_mT6_P12ihipStream_tbENKUlT_T0_E_clISt17integral_constantIbLb0EESX_IbLb1EEEEDaST_SU_EUlST_E_NS1_11comp_targetILNS1_3genE4ELNS1_11target_archE910ELNS1_3gpuE8ELNS1_3repE0EEENS1_30default_config_static_selectorELNS0_4arch9wavefront6targetE0EEEvT1_,comdat
	.globl	_ZN7rocprim17ROCPRIM_400000_NS6detail17trampoline_kernelINS0_14default_configENS1_20scan_config_selectorIN3c104HalfEEEZZNS1_9scan_implILNS1_25lookback_scan_determinismE0ELb0ELb0ES3_PKS6_PS6_S6_ZZZN2at6native31launch_logcumsumexp_cuda_kernelERKNSD_10TensorBaseESH_lENKUlvE_clEvENKUlvE3_clEvEUlS6_S6_E_S6_EEDaPvRmT3_T4_T5_mT6_P12ihipStream_tbENKUlT_T0_E_clISt17integral_constantIbLb0EESX_IbLb1EEEEDaST_SU_EUlST_E_NS1_11comp_targetILNS1_3genE4ELNS1_11target_archE910ELNS1_3gpuE8ELNS1_3repE0EEENS1_30default_config_static_selectorELNS0_4arch9wavefront6targetE0EEEvT1_ ; -- Begin function _ZN7rocprim17ROCPRIM_400000_NS6detail17trampoline_kernelINS0_14default_configENS1_20scan_config_selectorIN3c104HalfEEEZZNS1_9scan_implILNS1_25lookback_scan_determinismE0ELb0ELb0ES3_PKS6_PS6_S6_ZZZN2at6native31launch_logcumsumexp_cuda_kernelERKNSD_10TensorBaseESH_lENKUlvE_clEvENKUlvE3_clEvEUlS6_S6_E_S6_EEDaPvRmT3_T4_T5_mT6_P12ihipStream_tbENKUlT_T0_E_clISt17integral_constantIbLb0EESX_IbLb1EEEEDaST_SU_EUlST_E_NS1_11comp_targetILNS1_3genE4ELNS1_11target_archE910ELNS1_3gpuE8ELNS1_3repE0EEENS1_30default_config_static_selectorELNS0_4arch9wavefront6targetE0EEEvT1_
	.p2align	8
	.type	_ZN7rocprim17ROCPRIM_400000_NS6detail17trampoline_kernelINS0_14default_configENS1_20scan_config_selectorIN3c104HalfEEEZZNS1_9scan_implILNS1_25lookback_scan_determinismE0ELb0ELb0ES3_PKS6_PS6_S6_ZZZN2at6native31launch_logcumsumexp_cuda_kernelERKNSD_10TensorBaseESH_lENKUlvE_clEvENKUlvE3_clEvEUlS6_S6_E_S6_EEDaPvRmT3_T4_T5_mT6_P12ihipStream_tbENKUlT_T0_E_clISt17integral_constantIbLb0EESX_IbLb1EEEEDaST_SU_EUlST_E_NS1_11comp_targetILNS1_3genE4ELNS1_11target_archE910ELNS1_3gpuE8ELNS1_3repE0EEENS1_30default_config_static_selectorELNS0_4arch9wavefront6targetE0EEEvT1_,@function
_ZN7rocprim17ROCPRIM_400000_NS6detail17trampoline_kernelINS0_14default_configENS1_20scan_config_selectorIN3c104HalfEEEZZNS1_9scan_implILNS1_25lookback_scan_determinismE0ELb0ELb0ES3_PKS6_PS6_S6_ZZZN2at6native31launch_logcumsumexp_cuda_kernelERKNSD_10TensorBaseESH_lENKUlvE_clEvENKUlvE3_clEvEUlS6_S6_E_S6_EEDaPvRmT3_T4_T5_mT6_P12ihipStream_tbENKUlT_T0_E_clISt17integral_constantIbLb0EESX_IbLb1EEEEDaST_SU_EUlST_E_NS1_11comp_targetILNS1_3genE4ELNS1_11target_archE910ELNS1_3gpuE8ELNS1_3repE0EEENS1_30default_config_static_selectorELNS0_4arch9wavefront6targetE0EEEvT1_: ; @_ZN7rocprim17ROCPRIM_400000_NS6detail17trampoline_kernelINS0_14default_configENS1_20scan_config_selectorIN3c104HalfEEEZZNS1_9scan_implILNS1_25lookback_scan_determinismE0ELb0ELb0ES3_PKS6_PS6_S6_ZZZN2at6native31launch_logcumsumexp_cuda_kernelERKNSD_10TensorBaseESH_lENKUlvE_clEvENKUlvE3_clEvEUlS6_S6_E_S6_EEDaPvRmT3_T4_T5_mT6_P12ihipStream_tbENKUlT_T0_E_clISt17integral_constantIbLb0EESX_IbLb1EEEEDaST_SU_EUlST_E_NS1_11comp_targetILNS1_3genE4ELNS1_11target_archE910ELNS1_3gpuE8ELNS1_3repE0EEENS1_30default_config_static_selectorELNS0_4arch9wavefront6targetE0EEEvT1_
; %bb.0:
	.section	.rodata,"a",@progbits
	.p2align	6, 0x0
	.amdhsa_kernel _ZN7rocprim17ROCPRIM_400000_NS6detail17trampoline_kernelINS0_14default_configENS1_20scan_config_selectorIN3c104HalfEEEZZNS1_9scan_implILNS1_25lookback_scan_determinismE0ELb0ELb0ES3_PKS6_PS6_S6_ZZZN2at6native31launch_logcumsumexp_cuda_kernelERKNSD_10TensorBaseESH_lENKUlvE_clEvENKUlvE3_clEvEUlS6_S6_E_S6_EEDaPvRmT3_T4_T5_mT6_P12ihipStream_tbENKUlT_T0_E_clISt17integral_constantIbLb0EESX_IbLb1EEEEDaST_SU_EUlST_E_NS1_11comp_targetILNS1_3genE4ELNS1_11target_archE910ELNS1_3gpuE8ELNS1_3repE0EEENS1_30default_config_static_selectorELNS0_4arch9wavefront6targetE0EEEvT1_
		.amdhsa_group_segment_fixed_size 0
		.amdhsa_private_segment_fixed_size 0
		.amdhsa_kernarg_size 96
		.amdhsa_user_sgpr_count 15
		.amdhsa_user_sgpr_dispatch_ptr 0
		.amdhsa_user_sgpr_queue_ptr 0
		.amdhsa_user_sgpr_kernarg_segment_ptr 1
		.amdhsa_user_sgpr_dispatch_id 0
		.amdhsa_user_sgpr_private_segment_size 0
		.amdhsa_wavefront_size32 1
		.amdhsa_uses_dynamic_stack 0
		.amdhsa_enable_private_segment 0
		.amdhsa_system_sgpr_workgroup_id_x 1
		.amdhsa_system_sgpr_workgroup_id_y 0
		.amdhsa_system_sgpr_workgroup_id_z 0
		.amdhsa_system_sgpr_workgroup_info 0
		.amdhsa_system_vgpr_workitem_id 0
		.amdhsa_next_free_vgpr 1
		.amdhsa_next_free_sgpr 1
		.amdhsa_reserve_vcc 0
		.amdhsa_float_round_mode_32 0
		.amdhsa_float_round_mode_16_64 0
		.amdhsa_float_denorm_mode_32 3
		.amdhsa_float_denorm_mode_16_64 3
		.amdhsa_dx10_clamp 1
		.amdhsa_ieee_mode 1
		.amdhsa_fp16_overflow 0
		.amdhsa_workgroup_processor_mode 1
		.amdhsa_memory_ordered 1
		.amdhsa_forward_progress 0
		.amdhsa_shared_vgpr_count 0
		.amdhsa_exception_fp_ieee_invalid_op 0
		.amdhsa_exception_fp_denorm_src 0
		.amdhsa_exception_fp_ieee_div_zero 0
		.amdhsa_exception_fp_ieee_overflow 0
		.amdhsa_exception_fp_ieee_underflow 0
		.amdhsa_exception_fp_ieee_inexact 0
		.amdhsa_exception_int_div_zero 0
	.end_amdhsa_kernel
	.section	.text._ZN7rocprim17ROCPRIM_400000_NS6detail17trampoline_kernelINS0_14default_configENS1_20scan_config_selectorIN3c104HalfEEEZZNS1_9scan_implILNS1_25lookback_scan_determinismE0ELb0ELb0ES3_PKS6_PS6_S6_ZZZN2at6native31launch_logcumsumexp_cuda_kernelERKNSD_10TensorBaseESH_lENKUlvE_clEvENKUlvE3_clEvEUlS6_S6_E_S6_EEDaPvRmT3_T4_T5_mT6_P12ihipStream_tbENKUlT_T0_E_clISt17integral_constantIbLb0EESX_IbLb1EEEEDaST_SU_EUlST_E_NS1_11comp_targetILNS1_3genE4ELNS1_11target_archE910ELNS1_3gpuE8ELNS1_3repE0EEENS1_30default_config_static_selectorELNS0_4arch9wavefront6targetE0EEEvT1_,"axG",@progbits,_ZN7rocprim17ROCPRIM_400000_NS6detail17trampoline_kernelINS0_14default_configENS1_20scan_config_selectorIN3c104HalfEEEZZNS1_9scan_implILNS1_25lookback_scan_determinismE0ELb0ELb0ES3_PKS6_PS6_S6_ZZZN2at6native31launch_logcumsumexp_cuda_kernelERKNSD_10TensorBaseESH_lENKUlvE_clEvENKUlvE3_clEvEUlS6_S6_E_S6_EEDaPvRmT3_T4_T5_mT6_P12ihipStream_tbENKUlT_T0_E_clISt17integral_constantIbLb0EESX_IbLb1EEEEDaST_SU_EUlST_E_NS1_11comp_targetILNS1_3genE4ELNS1_11target_archE910ELNS1_3gpuE8ELNS1_3repE0EEENS1_30default_config_static_selectorELNS0_4arch9wavefront6targetE0EEEvT1_,comdat
.Lfunc_end425:
	.size	_ZN7rocprim17ROCPRIM_400000_NS6detail17trampoline_kernelINS0_14default_configENS1_20scan_config_selectorIN3c104HalfEEEZZNS1_9scan_implILNS1_25lookback_scan_determinismE0ELb0ELb0ES3_PKS6_PS6_S6_ZZZN2at6native31launch_logcumsumexp_cuda_kernelERKNSD_10TensorBaseESH_lENKUlvE_clEvENKUlvE3_clEvEUlS6_S6_E_S6_EEDaPvRmT3_T4_T5_mT6_P12ihipStream_tbENKUlT_T0_E_clISt17integral_constantIbLb0EESX_IbLb1EEEEDaST_SU_EUlST_E_NS1_11comp_targetILNS1_3genE4ELNS1_11target_archE910ELNS1_3gpuE8ELNS1_3repE0EEENS1_30default_config_static_selectorELNS0_4arch9wavefront6targetE0EEEvT1_, .Lfunc_end425-_ZN7rocprim17ROCPRIM_400000_NS6detail17trampoline_kernelINS0_14default_configENS1_20scan_config_selectorIN3c104HalfEEEZZNS1_9scan_implILNS1_25lookback_scan_determinismE0ELb0ELb0ES3_PKS6_PS6_S6_ZZZN2at6native31launch_logcumsumexp_cuda_kernelERKNSD_10TensorBaseESH_lENKUlvE_clEvENKUlvE3_clEvEUlS6_S6_E_S6_EEDaPvRmT3_T4_T5_mT6_P12ihipStream_tbENKUlT_T0_E_clISt17integral_constantIbLb0EESX_IbLb1EEEEDaST_SU_EUlST_E_NS1_11comp_targetILNS1_3genE4ELNS1_11target_archE910ELNS1_3gpuE8ELNS1_3repE0EEENS1_30default_config_static_selectorELNS0_4arch9wavefront6targetE0EEEvT1_
                                        ; -- End function
	.section	.AMDGPU.csdata,"",@progbits
; Kernel info:
; codeLenInByte = 0
; NumSgprs: 0
; NumVgprs: 0
; ScratchSize: 0
; MemoryBound: 0
; FloatMode: 240
; IeeeMode: 1
; LDSByteSize: 0 bytes/workgroup (compile time only)
; SGPRBlocks: 0
; VGPRBlocks: 0
; NumSGPRsForWavesPerEU: 1
; NumVGPRsForWavesPerEU: 1
; Occupancy: 16
; WaveLimiterHint : 0
; COMPUTE_PGM_RSRC2:SCRATCH_EN: 0
; COMPUTE_PGM_RSRC2:USER_SGPR: 15
; COMPUTE_PGM_RSRC2:TRAP_HANDLER: 0
; COMPUTE_PGM_RSRC2:TGID_X_EN: 1
; COMPUTE_PGM_RSRC2:TGID_Y_EN: 0
; COMPUTE_PGM_RSRC2:TGID_Z_EN: 0
; COMPUTE_PGM_RSRC2:TIDIG_COMP_CNT: 0
	.section	.text._ZN7rocprim17ROCPRIM_400000_NS6detail17trampoline_kernelINS0_14default_configENS1_20scan_config_selectorIN3c104HalfEEEZZNS1_9scan_implILNS1_25lookback_scan_determinismE0ELb0ELb0ES3_PKS6_PS6_S6_ZZZN2at6native31launch_logcumsumexp_cuda_kernelERKNSD_10TensorBaseESH_lENKUlvE_clEvENKUlvE3_clEvEUlS6_S6_E_S6_EEDaPvRmT3_T4_T5_mT6_P12ihipStream_tbENKUlT_T0_E_clISt17integral_constantIbLb0EESX_IbLb1EEEEDaST_SU_EUlST_E_NS1_11comp_targetILNS1_3genE3ELNS1_11target_archE908ELNS1_3gpuE7ELNS1_3repE0EEENS1_30default_config_static_selectorELNS0_4arch9wavefront6targetE0EEEvT1_,"axG",@progbits,_ZN7rocprim17ROCPRIM_400000_NS6detail17trampoline_kernelINS0_14default_configENS1_20scan_config_selectorIN3c104HalfEEEZZNS1_9scan_implILNS1_25lookback_scan_determinismE0ELb0ELb0ES3_PKS6_PS6_S6_ZZZN2at6native31launch_logcumsumexp_cuda_kernelERKNSD_10TensorBaseESH_lENKUlvE_clEvENKUlvE3_clEvEUlS6_S6_E_S6_EEDaPvRmT3_T4_T5_mT6_P12ihipStream_tbENKUlT_T0_E_clISt17integral_constantIbLb0EESX_IbLb1EEEEDaST_SU_EUlST_E_NS1_11comp_targetILNS1_3genE3ELNS1_11target_archE908ELNS1_3gpuE7ELNS1_3repE0EEENS1_30default_config_static_selectorELNS0_4arch9wavefront6targetE0EEEvT1_,comdat
	.globl	_ZN7rocprim17ROCPRIM_400000_NS6detail17trampoline_kernelINS0_14default_configENS1_20scan_config_selectorIN3c104HalfEEEZZNS1_9scan_implILNS1_25lookback_scan_determinismE0ELb0ELb0ES3_PKS6_PS6_S6_ZZZN2at6native31launch_logcumsumexp_cuda_kernelERKNSD_10TensorBaseESH_lENKUlvE_clEvENKUlvE3_clEvEUlS6_S6_E_S6_EEDaPvRmT3_T4_T5_mT6_P12ihipStream_tbENKUlT_T0_E_clISt17integral_constantIbLb0EESX_IbLb1EEEEDaST_SU_EUlST_E_NS1_11comp_targetILNS1_3genE3ELNS1_11target_archE908ELNS1_3gpuE7ELNS1_3repE0EEENS1_30default_config_static_selectorELNS0_4arch9wavefront6targetE0EEEvT1_ ; -- Begin function _ZN7rocprim17ROCPRIM_400000_NS6detail17trampoline_kernelINS0_14default_configENS1_20scan_config_selectorIN3c104HalfEEEZZNS1_9scan_implILNS1_25lookback_scan_determinismE0ELb0ELb0ES3_PKS6_PS6_S6_ZZZN2at6native31launch_logcumsumexp_cuda_kernelERKNSD_10TensorBaseESH_lENKUlvE_clEvENKUlvE3_clEvEUlS6_S6_E_S6_EEDaPvRmT3_T4_T5_mT6_P12ihipStream_tbENKUlT_T0_E_clISt17integral_constantIbLb0EESX_IbLb1EEEEDaST_SU_EUlST_E_NS1_11comp_targetILNS1_3genE3ELNS1_11target_archE908ELNS1_3gpuE7ELNS1_3repE0EEENS1_30default_config_static_selectorELNS0_4arch9wavefront6targetE0EEEvT1_
	.p2align	8
	.type	_ZN7rocprim17ROCPRIM_400000_NS6detail17trampoline_kernelINS0_14default_configENS1_20scan_config_selectorIN3c104HalfEEEZZNS1_9scan_implILNS1_25lookback_scan_determinismE0ELb0ELb0ES3_PKS6_PS6_S6_ZZZN2at6native31launch_logcumsumexp_cuda_kernelERKNSD_10TensorBaseESH_lENKUlvE_clEvENKUlvE3_clEvEUlS6_S6_E_S6_EEDaPvRmT3_T4_T5_mT6_P12ihipStream_tbENKUlT_T0_E_clISt17integral_constantIbLb0EESX_IbLb1EEEEDaST_SU_EUlST_E_NS1_11comp_targetILNS1_3genE3ELNS1_11target_archE908ELNS1_3gpuE7ELNS1_3repE0EEENS1_30default_config_static_selectorELNS0_4arch9wavefront6targetE0EEEvT1_,@function
_ZN7rocprim17ROCPRIM_400000_NS6detail17trampoline_kernelINS0_14default_configENS1_20scan_config_selectorIN3c104HalfEEEZZNS1_9scan_implILNS1_25lookback_scan_determinismE0ELb0ELb0ES3_PKS6_PS6_S6_ZZZN2at6native31launch_logcumsumexp_cuda_kernelERKNSD_10TensorBaseESH_lENKUlvE_clEvENKUlvE3_clEvEUlS6_S6_E_S6_EEDaPvRmT3_T4_T5_mT6_P12ihipStream_tbENKUlT_T0_E_clISt17integral_constantIbLb0EESX_IbLb1EEEEDaST_SU_EUlST_E_NS1_11comp_targetILNS1_3genE3ELNS1_11target_archE908ELNS1_3gpuE7ELNS1_3repE0EEENS1_30default_config_static_selectorELNS0_4arch9wavefront6targetE0EEEvT1_: ; @_ZN7rocprim17ROCPRIM_400000_NS6detail17trampoline_kernelINS0_14default_configENS1_20scan_config_selectorIN3c104HalfEEEZZNS1_9scan_implILNS1_25lookback_scan_determinismE0ELb0ELb0ES3_PKS6_PS6_S6_ZZZN2at6native31launch_logcumsumexp_cuda_kernelERKNSD_10TensorBaseESH_lENKUlvE_clEvENKUlvE3_clEvEUlS6_S6_E_S6_EEDaPvRmT3_T4_T5_mT6_P12ihipStream_tbENKUlT_T0_E_clISt17integral_constantIbLb0EESX_IbLb1EEEEDaST_SU_EUlST_E_NS1_11comp_targetILNS1_3genE3ELNS1_11target_archE908ELNS1_3gpuE7ELNS1_3repE0EEENS1_30default_config_static_selectorELNS0_4arch9wavefront6targetE0EEEvT1_
; %bb.0:
	.section	.rodata,"a",@progbits
	.p2align	6, 0x0
	.amdhsa_kernel _ZN7rocprim17ROCPRIM_400000_NS6detail17trampoline_kernelINS0_14default_configENS1_20scan_config_selectorIN3c104HalfEEEZZNS1_9scan_implILNS1_25lookback_scan_determinismE0ELb0ELb0ES3_PKS6_PS6_S6_ZZZN2at6native31launch_logcumsumexp_cuda_kernelERKNSD_10TensorBaseESH_lENKUlvE_clEvENKUlvE3_clEvEUlS6_S6_E_S6_EEDaPvRmT3_T4_T5_mT6_P12ihipStream_tbENKUlT_T0_E_clISt17integral_constantIbLb0EESX_IbLb1EEEEDaST_SU_EUlST_E_NS1_11comp_targetILNS1_3genE3ELNS1_11target_archE908ELNS1_3gpuE7ELNS1_3repE0EEENS1_30default_config_static_selectorELNS0_4arch9wavefront6targetE0EEEvT1_
		.amdhsa_group_segment_fixed_size 0
		.amdhsa_private_segment_fixed_size 0
		.amdhsa_kernarg_size 96
		.amdhsa_user_sgpr_count 15
		.amdhsa_user_sgpr_dispatch_ptr 0
		.amdhsa_user_sgpr_queue_ptr 0
		.amdhsa_user_sgpr_kernarg_segment_ptr 1
		.amdhsa_user_sgpr_dispatch_id 0
		.amdhsa_user_sgpr_private_segment_size 0
		.amdhsa_wavefront_size32 1
		.amdhsa_uses_dynamic_stack 0
		.amdhsa_enable_private_segment 0
		.amdhsa_system_sgpr_workgroup_id_x 1
		.amdhsa_system_sgpr_workgroup_id_y 0
		.amdhsa_system_sgpr_workgroup_id_z 0
		.amdhsa_system_sgpr_workgroup_info 0
		.amdhsa_system_vgpr_workitem_id 0
		.amdhsa_next_free_vgpr 1
		.amdhsa_next_free_sgpr 1
		.amdhsa_reserve_vcc 0
		.amdhsa_float_round_mode_32 0
		.amdhsa_float_round_mode_16_64 0
		.amdhsa_float_denorm_mode_32 3
		.amdhsa_float_denorm_mode_16_64 3
		.amdhsa_dx10_clamp 1
		.amdhsa_ieee_mode 1
		.amdhsa_fp16_overflow 0
		.amdhsa_workgroup_processor_mode 1
		.amdhsa_memory_ordered 1
		.amdhsa_forward_progress 0
		.amdhsa_shared_vgpr_count 0
		.amdhsa_exception_fp_ieee_invalid_op 0
		.amdhsa_exception_fp_denorm_src 0
		.amdhsa_exception_fp_ieee_div_zero 0
		.amdhsa_exception_fp_ieee_overflow 0
		.amdhsa_exception_fp_ieee_underflow 0
		.amdhsa_exception_fp_ieee_inexact 0
		.amdhsa_exception_int_div_zero 0
	.end_amdhsa_kernel
	.section	.text._ZN7rocprim17ROCPRIM_400000_NS6detail17trampoline_kernelINS0_14default_configENS1_20scan_config_selectorIN3c104HalfEEEZZNS1_9scan_implILNS1_25lookback_scan_determinismE0ELb0ELb0ES3_PKS6_PS6_S6_ZZZN2at6native31launch_logcumsumexp_cuda_kernelERKNSD_10TensorBaseESH_lENKUlvE_clEvENKUlvE3_clEvEUlS6_S6_E_S6_EEDaPvRmT3_T4_T5_mT6_P12ihipStream_tbENKUlT_T0_E_clISt17integral_constantIbLb0EESX_IbLb1EEEEDaST_SU_EUlST_E_NS1_11comp_targetILNS1_3genE3ELNS1_11target_archE908ELNS1_3gpuE7ELNS1_3repE0EEENS1_30default_config_static_selectorELNS0_4arch9wavefront6targetE0EEEvT1_,"axG",@progbits,_ZN7rocprim17ROCPRIM_400000_NS6detail17trampoline_kernelINS0_14default_configENS1_20scan_config_selectorIN3c104HalfEEEZZNS1_9scan_implILNS1_25lookback_scan_determinismE0ELb0ELb0ES3_PKS6_PS6_S6_ZZZN2at6native31launch_logcumsumexp_cuda_kernelERKNSD_10TensorBaseESH_lENKUlvE_clEvENKUlvE3_clEvEUlS6_S6_E_S6_EEDaPvRmT3_T4_T5_mT6_P12ihipStream_tbENKUlT_T0_E_clISt17integral_constantIbLb0EESX_IbLb1EEEEDaST_SU_EUlST_E_NS1_11comp_targetILNS1_3genE3ELNS1_11target_archE908ELNS1_3gpuE7ELNS1_3repE0EEENS1_30default_config_static_selectorELNS0_4arch9wavefront6targetE0EEEvT1_,comdat
.Lfunc_end426:
	.size	_ZN7rocprim17ROCPRIM_400000_NS6detail17trampoline_kernelINS0_14default_configENS1_20scan_config_selectorIN3c104HalfEEEZZNS1_9scan_implILNS1_25lookback_scan_determinismE0ELb0ELb0ES3_PKS6_PS6_S6_ZZZN2at6native31launch_logcumsumexp_cuda_kernelERKNSD_10TensorBaseESH_lENKUlvE_clEvENKUlvE3_clEvEUlS6_S6_E_S6_EEDaPvRmT3_T4_T5_mT6_P12ihipStream_tbENKUlT_T0_E_clISt17integral_constantIbLb0EESX_IbLb1EEEEDaST_SU_EUlST_E_NS1_11comp_targetILNS1_3genE3ELNS1_11target_archE908ELNS1_3gpuE7ELNS1_3repE0EEENS1_30default_config_static_selectorELNS0_4arch9wavefront6targetE0EEEvT1_, .Lfunc_end426-_ZN7rocprim17ROCPRIM_400000_NS6detail17trampoline_kernelINS0_14default_configENS1_20scan_config_selectorIN3c104HalfEEEZZNS1_9scan_implILNS1_25lookback_scan_determinismE0ELb0ELb0ES3_PKS6_PS6_S6_ZZZN2at6native31launch_logcumsumexp_cuda_kernelERKNSD_10TensorBaseESH_lENKUlvE_clEvENKUlvE3_clEvEUlS6_S6_E_S6_EEDaPvRmT3_T4_T5_mT6_P12ihipStream_tbENKUlT_T0_E_clISt17integral_constantIbLb0EESX_IbLb1EEEEDaST_SU_EUlST_E_NS1_11comp_targetILNS1_3genE3ELNS1_11target_archE908ELNS1_3gpuE7ELNS1_3repE0EEENS1_30default_config_static_selectorELNS0_4arch9wavefront6targetE0EEEvT1_
                                        ; -- End function
	.section	.AMDGPU.csdata,"",@progbits
; Kernel info:
; codeLenInByte = 0
; NumSgprs: 0
; NumVgprs: 0
; ScratchSize: 0
; MemoryBound: 0
; FloatMode: 240
; IeeeMode: 1
; LDSByteSize: 0 bytes/workgroup (compile time only)
; SGPRBlocks: 0
; VGPRBlocks: 0
; NumSGPRsForWavesPerEU: 1
; NumVGPRsForWavesPerEU: 1
; Occupancy: 16
; WaveLimiterHint : 0
; COMPUTE_PGM_RSRC2:SCRATCH_EN: 0
; COMPUTE_PGM_RSRC2:USER_SGPR: 15
; COMPUTE_PGM_RSRC2:TRAP_HANDLER: 0
; COMPUTE_PGM_RSRC2:TGID_X_EN: 1
; COMPUTE_PGM_RSRC2:TGID_Y_EN: 0
; COMPUTE_PGM_RSRC2:TGID_Z_EN: 0
; COMPUTE_PGM_RSRC2:TIDIG_COMP_CNT: 0
	.section	.text._ZN7rocprim17ROCPRIM_400000_NS6detail17trampoline_kernelINS0_14default_configENS1_20scan_config_selectorIN3c104HalfEEEZZNS1_9scan_implILNS1_25lookback_scan_determinismE0ELb0ELb0ES3_PKS6_PS6_S6_ZZZN2at6native31launch_logcumsumexp_cuda_kernelERKNSD_10TensorBaseESH_lENKUlvE_clEvENKUlvE3_clEvEUlS6_S6_E_S6_EEDaPvRmT3_T4_T5_mT6_P12ihipStream_tbENKUlT_T0_E_clISt17integral_constantIbLb0EESX_IbLb1EEEEDaST_SU_EUlST_E_NS1_11comp_targetILNS1_3genE2ELNS1_11target_archE906ELNS1_3gpuE6ELNS1_3repE0EEENS1_30default_config_static_selectorELNS0_4arch9wavefront6targetE0EEEvT1_,"axG",@progbits,_ZN7rocprim17ROCPRIM_400000_NS6detail17trampoline_kernelINS0_14default_configENS1_20scan_config_selectorIN3c104HalfEEEZZNS1_9scan_implILNS1_25lookback_scan_determinismE0ELb0ELb0ES3_PKS6_PS6_S6_ZZZN2at6native31launch_logcumsumexp_cuda_kernelERKNSD_10TensorBaseESH_lENKUlvE_clEvENKUlvE3_clEvEUlS6_S6_E_S6_EEDaPvRmT3_T4_T5_mT6_P12ihipStream_tbENKUlT_T0_E_clISt17integral_constantIbLb0EESX_IbLb1EEEEDaST_SU_EUlST_E_NS1_11comp_targetILNS1_3genE2ELNS1_11target_archE906ELNS1_3gpuE6ELNS1_3repE0EEENS1_30default_config_static_selectorELNS0_4arch9wavefront6targetE0EEEvT1_,comdat
	.globl	_ZN7rocprim17ROCPRIM_400000_NS6detail17trampoline_kernelINS0_14default_configENS1_20scan_config_selectorIN3c104HalfEEEZZNS1_9scan_implILNS1_25lookback_scan_determinismE0ELb0ELb0ES3_PKS6_PS6_S6_ZZZN2at6native31launch_logcumsumexp_cuda_kernelERKNSD_10TensorBaseESH_lENKUlvE_clEvENKUlvE3_clEvEUlS6_S6_E_S6_EEDaPvRmT3_T4_T5_mT6_P12ihipStream_tbENKUlT_T0_E_clISt17integral_constantIbLb0EESX_IbLb1EEEEDaST_SU_EUlST_E_NS1_11comp_targetILNS1_3genE2ELNS1_11target_archE906ELNS1_3gpuE6ELNS1_3repE0EEENS1_30default_config_static_selectorELNS0_4arch9wavefront6targetE0EEEvT1_ ; -- Begin function _ZN7rocprim17ROCPRIM_400000_NS6detail17trampoline_kernelINS0_14default_configENS1_20scan_config_selectorIN3c104HalfEEEZZNS1_9scan_implILNS1_25lookback_scan_determinismE0ELb0ELb0ES3_PKS6_PS6_S6_ZZZN2at6native31launch_logcumsumexp_cuda_kernelERKNSD_10TensorBaseESH_lENKUlvE_clEvENKUlvE3_clEvEUlS6_S6_E_S6_EEDaPvRmT3_T4_T5_mT6_P12ihipStream_tbENKUlT_T0_E_clISt17integral_constantIbLb0EESX_IbLb1EEEEDaST_SU_EUlST_E_NS1_11comp_targetILNS1_3genE2ELNS1_11target_archE906ELNS1_3gpuE6ELNS1_3repE0EEENS1_30default_config_static_selectorELNS0_4arch9wavefront6targetE0EEEvT1_
	.p2align	8
	.type	_ZN7rocprim17ROCPRIM_400000_NS6detail17trampoline_kernelINS0_14default_configENS1_20scan_config_selectorIN3c104HalfEEEZZNS1_9scan_implILNS1_25lookback_scan_determinismE0ELb0ELb0ES3_PKS6_PS6_S6_ZZZN2at6native31launch_logcumsumexp_cuda_kernelERKNSD_10TensorBaseESH_lENKUlvE_clEvENKUlvE3_clEvEUlS6_S6_E_S6_EEDaPvRmT3_T4_T5_mT6_P12ihipStream_tbENKUlT_T0_E_clISt17integral_constantIbLb0EESX_IbLb1EEEEDaST_SU_EUlST_E_NS1_11comp_targetILNS1_3genE2ELNS1_11target_archE906ELNS1_3gpuE6ELNS1_3repE0EEENS1_30default_config_static_selectorELNS0_4arch9wavefront6targetE0EEEvT1_,@function
_ZN7rocprim17ROCPRIM_400000_NS6detail17trampoline_kernelINS0_14default_configENS1_20scan_config_selectorIN3c104HalfEEEZZNS1_9scan_implILNS1_25lookback_scan_determinismE0ELb0ELb0ES3_PKS6_PS6_S6_ZZZN2at6native31launch_logcumsumexp_cuda_kernelERKNSD_10TensorBaseESH_lENKUlvE_clEvENKUlvE3_clEvEUlS6_S6_E_S6_EEDaPvRmT3_T4_T5_mT6_P12ihipStream_tbENKUlT_T0_E_clISt17integral_constantIbLb0EESX_IbLb1EEEEDaST_SU_EUlST_E_NS1_11comp_targetILNS1_3genE2ELNS1_11target_archE906ELNS1_3gpuE6ELNS1_3repE0EEENS1_30default_config_static_selectorELNS0_4arch9wavefront6targetE0EEEvT1_: ; @_ZN7rocprim17ROCPRIM_400000_NS6detail17trampoline_kernelINS0_14default_configENS1_20scan_config_selectorIN3c104HalfEEEZZNS1_9scan_implILNS1_25lookback_scan_determinismE0ELb0ELb0ES3_PKS6_PS6_S6_ZZZN2at6native31launch_logcumsumexp_cuda_kernelERKNSD_10TensorBaseESH_lENKUlvE_clEvENKUlvE3_clEvEUlS6_S6_E_S6_EEDaPvRmT3_T4_T5_mT6_P12ihipStream_tbENKUlT_T0_E_clISt17integral_constantIbLb0EESX_IbLb1EEEEDaST_SU_EUlST_E_NS1_11comp_targetILNS1_3genE2ELNS1_11target_archE906ELNS1_3gpuE6ELNS1_3repE0EEENS1_30default_config_static_selectorELNS0_4arch9wavefront6targetE0EEEvT1_
; %bb.0:
	.section	.rodata,"a",@progbits
	.p2align	6, 0x0
	.amdhsa_kernel _ZN7rocprim17ROCPRIM_400000_NS6detail17trampoline_kernelINS0_14default_configENS1_20scan_config_selectorIN3c104HalfEEEZZNS1_9scan_implILNS1_25lookback_scan_determinismE0ELb0ELb0ES3_PKS6_PS6_S6_ZZZN2at6native31launch_logcumsumexp_cuda_kernelERKNSD_10TensorBaseESH_lENKUlvE_clEvENKUlvE3_clEvEUlS6_S6_E_S6_EEDaPvRmT3_T4_T5_mT6_P12ihipStream_tbENKUlT_T0_E_clISt17integral_constantIbLb0EESX_IbLb1EEEEDaST_SU_EUlST_E_NS1_11comp_targetILNS1_3genE2ELNS1_11target_archE906ELNS1_3gpuE6ELNS1_3repE0EEENS1_30default_config_static_selectorELNS0_4arch9wavefront6targetE0EEEvT1_
		.amdhsa_group_segment_fixed_size 0
		.amdhsa_private_segment_fixed_size 0
		.amdhsa_kernarg_size 96
		.amdhsa_user_sgpr_count 15
		.amdhsa_user_sgpr_dispatch_ptr 0
		.amdhsa_user_sgpr_queue_ptr 0
		.amdhsa_user_sgpr_kernarg_segment_ptr 1
		.amdhsa_user_sgpr_dispatch_id 0
		.amdhsa_user_sgpr_private_segment_size 0
		.amdhsa_wavefront_size32 1
		.amdhsa_uses_dynamic_stack 0
		.amdhsa_enable_private_segment 0
		.amdhsa_system_sgpr_workgroup_id_x 1
		.amdhsa_system_sgpr_workgroup_id_y 0
		.amdhsa_system_sgpr_workgroup_id_z 0
		.amdhsa_system_sgpr_workgroup_info 0
		.amdhsa_system_vgpr_workitem_id 0
		.amdhsa_next_free_vgpr 1
		.amdhsa_next_free_sgpr 1
		.amdhsa_reserve_vcc 0
		.amdhsa_float_round_mode_32 0
		.amdhsa_float_round_mode_16_64 0
		.amdhsa_float_denorm_mode_32 3
		.amdhsa_float_denorm_mode_16_64 3
		.amdhsa_dx10_clamp 1
		.amdhsa_ieee_mode 1
		.amdhsa_fp16_overflow 0
		.amdhsa_workgroup_processor_mode 1
		.amdhsa_memory_ordered 1
		.amdhsa_forward_progress 0
		.amdhsa_shared_vgpr_count 0
		.amdhsa_exception_fp_ieee_invalid_op 0
		.amdhsa_exception_fp_denorm_src 0
		.amdhsa_exception_fp_ieee_div_zero 0
		.amdhsa_exception_fp_ieee_overflow 0
		.amdhsa_exception_fp_ieee_underflow 0
		.amdhsa_exception_fp_ieee_inexact 0
		.amdhsa_exception_int_div_zero 0
	.end_amdhsa_kernel
	.section	.text._ZN7rocprim17ROCPRIM_400000_NS6detail17trampoline_kernelINS0_14default_configENS1_20scan_config_selectorIN3c104HalfEEEZZNS1_9scan_implILNS1_25lookback_scan_determinismE0ELb0ELb0ES3_PKS6_PS6_S6_ZZZN2at6native31launch_logcumsumexp_cuda_kernelERKNSD_10TensorBaseESH_lENKUlvE_clEvENKUlvE3_clEvEUlS6_S6_E_S6_EEDaPvRmT3_T4_T5_mT6_P12ihipStream_tbENKUlT_T0_E_clISt17integral_constantIbLb0EESX_IbLb1EEEEDaST_SU_EUlST_E_NS1_11comp_targetILNS1_3genE2ELNS1_11target_archE906ELNS1_3gpuE6ELNS1_3repE0EEENS1_30default_config_static_selectorELNS0_4arch9wavefront6targetE0EEEvT1_,"axG",@progbits,_ZN7rocprim17ROCPRIM_400000_NS6detail17trampoline_kernelINS0_14default_configENS1_20scan_config_selectorIN3c104HalfEEEZZNS1_9scan_implILNS1_25lookback_scan_determinismE0ELb0ELb0ES3_PKS6_PS6_S6_ZZZN2at6native31launch_logcumsumexp_cuda_kernelERKNSD_10TensorBaseESH_lENKUlvE_clEvENKUlvE3_clEvEUlS6_S6_E_S6_EEDaPvRmT3_T4_T5_mT6_P12ihipStream_tbENKUlT_T0_E_clISt17integral_constantIbLb0EESX_IbLb1EEEEDaST_SU_EUlST_E_NS1_11comp_targetILNS1_3genE2ELNS1_11target_archE906ELNS1_3gpuE6ELNS1_3repE0EEENS1_30default_config_static_selectorELNS0_4arch9wavefront6targetE0EEEvT1_,comdat
.Lfunc_end427:
	.size	_ZN7rocprim17ROCPRIM_400000_NS6detail17trampoline_kernelINS0_14default_configENS1_20scan_config_selectorIN3c104HalfEEEZZNS1_9scan_implILNS1_25lookback_scan_determinismE0ELb0ELb0ES3_PKS6_PS6_S6_ZZZN2at6native31launch_logcumsumexp_cuda_kernelERKNSD_10TensorBaseESH_lENKUlvE_clEvENKUlvE3_clEvEUlS6_S6_E_S6_EEDaPvRmT3_T4_T5_mT6_P12ihipStream_tbENKUlT_T0_E_clISt17integral_constantIbLb0EESX_IbLb1EEEEDaST_SU_EUlST_E_NS1_11comp_targetILNS1_3genE2ELNS1_11target_archE906ELNS1_3gpuE6ELNS1_3repE0EEENS1_30default_config_static_selectorELNS0_4arch9wavefront6targetE0EEEvT1_, .Lfunc_end427-_ZN7rocprim17ROCPRIM_400000_NS6detail17trampoline_kernelINS0_14default_configENS1_20scan_config_selectorIN3c104HalfEEEZZNS1_9scan_implILNS1_25lookback_scan_determinismE0ELb0ELb0ES3_PKS6_PS6_S6_ZZZN2at6native31launch_logcumsumexp_cuda_kernelERKNSD_10TensorBaseESH_lENKUlvE_clEvENKUlvE3_clEvEUlS6_S6_E_S6_EEDaPvRmT3_T4_T5_mT6_P12ihipStream_tbENKUlT_T0_E_clISt17integral_constantIbLb0EESX_IbLb1EEEEDaST_SU_EUlST_E_NS1_11comp_targetILNS1_3genE2ELNS1_11target_archE906ELNS1_3gpuE6ELNS1_3repE0EEENS1_30default_config_static_selectorELNS0_4arch9wavefront6targetE0EEEvT1_
                                        ; -- End function
	.section	.AMDGPU.csdata,"",@progbits
; Kernel info:
; codeLenInByte = 0
; NumSgprs: 0
; NumVgprs: 0
; ScratchSize: 0
; MemoryBound: 0
; FloatMode: 240
; IeeeMode: 1
; LDSByteSize: 0 bytes/workgroup (compile time only)
; SGPRBlocks: 0
; VGPRBlocks: 0
; NumSGPRsForWavesPerEU: 1
; NumVGPRsForWavesPerEU: 1
; Occupancy: 16
; WaveLimiterHint : 0
; COMPUTE_PGM_RSRC2:SCRATCH_EN: 0
; COMPUTE_PGM_RSRC2:USER_SGPR: 15
; COMPUTE_PGM_RSRC2:TRAP_HANDLER: 0
; COMPUTE_PGM_RSRC2:TGID_X_EN: 1
; COMPUTE_PGM_RSRC2:TGID_Y_EN: 0
; COMPUTE_PGM_RSRC2:TGID_Z_EN: 0
; COMPUTE_PGM_RSRC2:TIDIG_COMP_CNT: 0
	.section	.text._ZN7rocprim17ROCPRIM_400000_NS6detail17trampoline_kernelINS0_14default_configENS1_20scan_config_selectorIN3c104HalfEEEZZNS1_9scan_implILNS1_25lookback_scan_determinismE0ELb0ELb0ES3_PKS6_PS6_S6_ZZZN2at6native31launch_logcumsumexp_cuda_kernelERKNSD_10TensorBaseESH_lENKUlvE_clEvENKUlvE3_clEvEUlS6_S6_E_S6_EEDaPvRmT3_T4_T5_mT6_P12ihipStream_tbENKUlT_T0_E_clISt17integral_constantIbLb0EESX_IbLb1EEEEDaST_SU_EUlST_E_NS1_11comp_targetILNS1_3genE10ELNS1_11target_archE1201ELNS1_3gpuE5ELNS1_3repE0EEENS1_30default_config_static_selectorELNS0_4arch9wavefront6targetE0EEEvT1_,"axG",@progbits,_ZN7rocprim17ROCPRIM_400000_NS6detail17trampoline_kernelINS0_14default_configENS1_20scan_config_selectorIN3c104HalfEEEZZNS1_9scan_implILNS1_25lookback_scan_determinismE0ELb0ELb0ES3_PKS6_PS6_S6_ZZZN2at6native31launch_logcumsumexp_cuda_kernelERKNSD_10TensorBaseESH_lENKUlvE_clEvENKUlvE3_clEvEUlS6_S6_E_S6_EEDaPvRmT3_T4_T5_mT6_P12ihipStream_tbENKUlT_T0_E_clISt17integral_constantIbLb0EESX_IbLb1EEEEDaST_SU_EUlST_E_NS1_11comp_targetILNS1_3genE10ELNS1_11target_archE1201ELNS1_3gpuE5ELNS1_3repE0EEENS1_30default_config_static_selectorELNS0_4arch9wavefront6targetE0EEEvT1_,comdat
	.globl	_ZN7rocprim17ROCPRIM_400000_NS6detail17trampoline_kernelINS0_14default_configENS1_20scan_config_selectorIN3c104HalfEEEZZNS1_9scan_implILNS1_25lookback_scan_determinismE0ELb0ELb0ES3_PKS6_PS6_S6_ZZZN2at6native31launch_logcumsumexp_cuda_kernelERKNSD_10TensorBaseESH_lENKUlvE_clEvENKUlvE3_clEvEUlS6_S6_E_S6_EEDaPvRmT3_T4_T5_mT6_P12ihipStream_tbENKUlT_T0_E_clISt17integral_constantIbLb0EESX_IbLb1EEEEDaST_SU_EUlST_E_NS1_11comp_targetILNS1_3genE10ELNS1_11target_archE1201ELNS1_3gpuE5ELNS1_3repE0EEENS1_30default_config_static_selectorELNS0_4arch9wavefront6targetE0EEEvT1_ ; -- Begin function _ZN7rocprim17ROCPRIM_400000_NS6detail17trampoline_kernelINS0_14default_configENS1_20scan_config_selectorIN3c104HalfEEEZZNS1_9scan_implILNS1_25lookback_scan_determinismE0ELb0ELb0ES3_PKS6_PS6_S6_ZZZN2at6native31launch_logcumsumexp_cuda_kernelERKNSD_10TensorBaseESH_lENKUlvE_clEvENKUlvE3_clEvEUlS6_S6_E_S6_EEDaPvRmT3_T4_T5_mT6_P12ihipStream_tbENKUlT_T0_E_clISt17integral_constantIbLb0EESX_IbLb1EEEEDaST_SU_EUlST_E_NS1_11comp_targetILNS1_3genE10ELNS1_11target_archE1201ELNS1_3gpuE5ELNS1_3repE0EEENS1_30default_config_static_selectorELNS0_4arch9wavefront6targetE0EEEvT1_
	.p2align	8
	.type	_ZN7rocprim17ROCPRIM_400000_NS6detail17trampoline_kernelINS0_14default_configENS1_20scan_config_selectorIN3c104HalfEEEZZNS1_9scan_implILNS1_25lookback_scan_determinismE0ELb0ELb0ES3_PKS6_PS6_S6_ZZZN2at6native31launch_logcumsumexp_cuda_kernelERKNSD_10TensorBaseESH_lENKUlvE_clEvENKUlvE3_clEvEUlS6_S6_E_S6_EEDaPvRmT3_T4_T5_mT6_P12ihipStream_tbENKUlT_T0_E_clISt17integral_constantIbLb0EESX_IbLb1EEEEDaST_SU_EUlST_E_NS1_11comp_targetILNS1_3genE10ELNS1_11target_archE1201ELNS1_3gpuE5ELNS1_3repE0EEENS1_30default_config_static_selectorELNS0_4arch9wavefront6targetE0EEEvT1_,@function
_ZN7rocprim17ROCPRIM_400000_NS6detail17trampoline_kernelINS0_14default_configENS1_20scan_config_selectorIN3c104HalfEEEZZNS1_9scan_implILNS1_25lookback_scan_determinismE0ELb0ELb0ES3_PKS6_PS6_S6_ZZZN2at6native31launch_logcumsumexp_cuda_kernelERKNSD_10TensorBaseESH_lENKUlvE_clEvENKUlvE3_clEvEUlS6_S6_E_S6_EEDaPvRmT3_T4_T5_mT6_P12ihipStream_tbENKUlT_T0_E_clISt17integral_constantIbLb0EESX_IbLb1EEEEDaST_SU_EUlST_E_NS1_11comp_targetILNS1_3genE10ELNS1_11target_archE1201ELNS1_3gpuE5ELNS1_3repE0EEENS1_30default_config_static_selectorELNS0_4arch9wavefront6targetE0EEEvT1_: ; @_ZN7rocprim17ROCPRIM_400000_NS6detail17trampoline_kernelINS0_14default_configENS1_20scan_config_selectorIN3c104HalfEEEZZNS1_9scan_implILNS1_25lookback_scan_determinismE0ELb0ELb0ES3_PKS6_PS6_S6_ZZZN2at6native31launch_logcumsumexp_cuda_kernelERKNSD_10TensorBaseESH_lENKUlvE_clEvENKUlvE3_clEvEUlS6_S6_E_S6_EEDaPvRmT3_T4_T5_mT6_P12ihipStream_tbENKUlT_T0_E_clISt17integral_constantIbLb0EESX_IbLb1EEEEDaST_SU_EUlST_E_NS1_11comp_targetILNS1_3genE10ELNS1_11target_archE1201ELNS1_3gpuE5ELNS1_3repE0EEENS1_30default_config_static_selectorELNS0_4arch9wavefront6targetE0EEEvT1_
; %bb.0:
	.section	.rodata,"a",@progbits
	.p2align	6, 0x0
	.amdhsa_kernel _ZN7rocprim17ROCPRIM_400000_NS6detail17trampoline_kernelINS0_14default_configENS1_20scan_config_selectorIN3c104HalfEEEZZNS1_9scan_implILNS1_25lookback_scan_determinismE0ELb0ELb0ES3_PKS6_PS6_S6_ZZZN2at6native31launch_logcumsumexp_cuda_kernelERKNSD_10TensorBaseESH_lENKUlvE_clEvENKUlvE3_clEvEUlS6_S6_E_S6_EEDaPvRmT3_T4_T5_mT6_P12ihipStream_tbENKUlT_T0_E_clISt17integral_constantIbLb0EESX_IbLb1EEEEDaST_SU_EUlST_E_NS1_11comp_targetILNS1_3genE10ELNS1_11target_archE1201ELNS1_3gpuE5ELNS1_3repE0EEENS1_30default_config_static_selectorELNS0_4arch9wavefront6targetE0EEEvT1_
		.amdhsa_group_segment_fixed_size 0
		.amdhsa_private_segment_fixed_size 0
		.amdhsa_kernarg_size 96
		.amdhsa_user_sgpr_count 15
		.amdhsa_user_sgpr_dispatch_ptr 0
		.amdhsa_user_sgpr_queue_ptr 0
		.amdhsa_user_sgpr_kernarg_segment_ptr 1
		.amdhsa_user_sgpr_dispatch_id 0
		.amdhsa_user_sgpr_private_segment_size 0
		.amdhsa_wavefront_size32 1
		.amdhsa_uses_dynamic_stack 0
		.amdhsa_enable_private_segment 0
		.amdhsa_system_sgpr_workgroup_id_x 1
		.amdhsa_system_sgpr_workgroup_id_y 0
		.amdhsa_system_sgpr_workgroup_id_z 0
		.amdhsa_system_sgpr_workgroup_info 0
		.amdhsa_system_vgpr_workitem_id 0
		.amdhsa_next_free_vgpr 1
		.amdhsa_next_free_sgpr 1
		.amdhsa_reserve_vcc 0
		.amdhsa_float_round_mode_32 0
		.amdhsa_float_round_mode_16_64 0
		.amdhsa_float_denorm_mode_32 3
		.amdhsa_float_denorm_mode_16_64 3
		.amdhsa_dx10_clamp 1
		.amdhsa_ieee_mode 1
		.amdhsa_fp16_overflow 0
		.amdhsa_workgroup_processor_mode 1
		.amdhsa_memory_ordered 1
		.amdhsa_forward_progress 0
		.amdhsa_shared_vgpr_count 0
		.amdhsa_exception_fp_ieee_invalid_op 0
		.amdhsa_exception_fp_denorm_src 0
		.amdhsa_exception_fp_ieee_div_zero 0
		.amdhsa_exception_fp_ieee_overflow 0
		.amdhsa_exception_fp_ieee_underflow 0
		.amdhsa_exception_fp_ieee_inexact 0
		.amdhsa_exception_int_div_zero 0
	.end_amdhsa_kernel
	.section	.text._ZN7rocprim17ROCPRIM_400000_NS6detail17trampoline_kernelINS0_14default_configENS1_20scan_config_selectorIN3c104HalfEEEZZNS1_9scan_implILNS1_25lookback_scan_determinismE0ELb0ELb0ES3_PKS6_PS6_S6_ZZZN2at6native31launch_logcumsumexp_cuda_kernelERKNSD_10TensorBaseESH_lENKUlvE_clEvENKUlvE3_clEvEUlS6_S6_E_S6_EEDaPvRmT3_T4_T5_mT6_P12ihipStream_tbENKUlT_T0_E_clISt17integral_constantIbLb0EESX_IbLb1EEEEDaST_SU_EUlST_E_NS1_11comp_targetILNS1_3genE10ELNS1_11target_archE1201ELNS1_3gpuE5ELNS1_3repE0EEENS1_30default_config_static_selectorELNS0_4arch9wavefront6targetE0EEEvT1_,"axG",@progbits,_ZN7rocprim17ROCPRIM_400000_NS6detail17trampoline_kernelINS0_14default_configENS1_20scan_config_selectorIN3c104HalfEEEZZNS1_9scan_implILNS1_25lookback_scan_determinismE0ELb0ELb0ES3_PKS6_PS6_S6_ZZZN2at6native31launch_logcumsumexp_cuda_kernelERKNSD_10TensorBaseESH_lENKUlvE_clEvENKUlvE3_clEvEUlS6_S6_E_S6_EEDaPvRmT3_T4_T5_mT6_P12ihipStream_tbENKUlT_T0_E_clISt17integral_constantIbLb0EESX_IbLb1EEEEDaST_SU_EUlST_E_NS1_11comp_targetILNS1_3genE10ELNS1_11target_archE1201ELNS1_3gpuE5ELNS1_3repE0EEENS1_30default_config_static_selectorELNS0_4arch9wavefront6targetE0EEEvT1_,comdat
.Lfunc_end428:
	.size	_ZN7rocprim17ROCPRIM_400000_NS6detail17trampoline_kernelINS0_14default_configENS1_20scan_config_selectorIN3c104HalfEEEZZNS1_9scan_implILNS1_25lookback_scan_determinismE0ELb0ELb0ES3_PKS6_PS6_S6_ZZZN2at6native31launch_logcumsumexp_cuda_kernelERKNSD_10TensorBaseESH_lENKUlvE_clEvENKUlvE3_clEvEUlS6_S6_E_S6_EEDaPvRmT3_T4_T5_mT6_P12ihipStream_tbENKUlT_T0_E_clISt17integral_constantIbLb0EESX_IbLb1EEEEDaST_SU_EUlST_E_NS1_11comp_targetILNS1_3genE10ELNS1_11target_archE1201ELNS1_3gpuE5ELNS1_3repE0EEENS1_30default_config_static_selectorELNS0_4arch9wavefront6targetE0EEEvT1_, .Lfunc_end428-_ZN7rocprim17ROCPRIM_400000_NS6detail17trampoline_kernelINS0_14default_configENS1_20scan_config_selectorIN3c104HalfEEEZZNS1_9scan_implILNS1_25lookback_scan_determinismE0ELb0ELb0ES3_PKS6_PS6_S6_ZZZN2at6native31launch_logcumsumexp_cuda_kernelERKNSD_10TensorBaseESH_lENKUlvE_clEvENKUlvE3_clEvEUlS6_S6_E_S6_EEDaPvRmT3_T4_T5_mT6_P12ihipStream_tbENKUlT_T0_E_clISt17integral_constantIbLb0EESX_IbLb1EEEEDaST_SU_EUlST_E_NS1_11comp_targetILNS1_3genE10ELNS1_11target_archE1201ELNS1_3gpuE5ELNS1_3repE0EEENS1_30default_config_static_selectorELNS0_4arch9wavefront6targetE0EEEvT1_
                                        ; -- End function
	.section	.AMDGPU.csdata,"",@progbits
; Kernel info:
; codeLenInByte = 0
; NumSgprs: 0
; NumVgprs: 0
; ScratchSize: 0
; MemoryBound: 0
; FloatMode: 240
; IeeeMode: 1
; LDSByteSize: 0 bytes/workgroup (compile time only)
; SGPRBlocks: 0
; VGPRBlocks: 0
; NumSGPRsForWavesPerEU: 1
; NumVGPRsForWavesPerEU: 1
; Occupancy: 16
; WaveLimiterHint : 0
; COMPUTE_PGM_RSRC2:SCRATCH_EN: 0
; COMPUTE_PGM_RSRC2:USER_SGPR: 15
; COMPUTE_PGM_RSRC2:TRAP_HANDLER: 0
; COMPUTE_PGM_RSRC2:TGID_X_EN: 1
; COMPUTE_PGM_RSRC2:TGID_Y_EN: 0
; COMPUTE_PGM_RSRC2:TGID_Z_EN: 0
; COMPUTE_PGM_RSRC2:TIDIG_COMP_CNT: 0
	.section	.text._ZN7rocprim17ROCPRIM_400000_NS6detail17trampoline_kernelINS0_14default_configENS1_20scan_config_selectorIN3c104HalfEEEZZNS1_9scan_implILNS1_25lookback_scan_determinismE0ELb0ELb0ES3_PKS6_PS6_S6_ZZZN2at6native31launch_logcumsumexp_cuda_kernelERKNSD_10TensorBaseESH_lENKUlvE_clEvENKUlvE3_clEvEUlS6_S6_E_S6_EEDaPvRmT3_T4_T5_mT6_P12ihipStream_tbENKUlT_T0_E_clISt17integral_constantIbLb0EESX_IbLb1EEEEDaST_SU_EUlST_E_NS1_11comp_targetILNS1_3genE10ELNS1_11target_archE1200ELNS1_3gpuE4ELNS1_3repE0EEENS1_30default_config_static_selectorELNS0_4arch9wavefront6targetE0EEEvT1_,"axG",@progbits,_ZN7rocprim17ROCPRIM_400000_NS6detail17trampoline_kernelINS0_14default_configENS1_20scan_config_selectorIN3c104HalfEEEZZNS1_9scan_implILNS1_25lookback_scan_determinismE0ELb0ELb0ES3_PKS6_PS6_S6_ZZZN2at6native31launch_logcumsumexp_cuda_kernelERKNSD_10TensorBaseESH_lENKUlvE_clEvENKUlvE3_clEvEUlS6_S6_E_S6_EEDaPvRmT3_T4_T5_mT6_P12ihipStream_tbENKUlT_T0_E_clISt17integral_constantIbLb0EESX_IbLb1EEEEDaST_SU_EUlST_E_NS1_11comp_targetILNS1_3genE10ELNS1_11target_archE1200ELNS1_3gpuE4ELNS1_3repE0EEENS1_30default_config_static_selectorELNS0_4arch9wavefront6targetE0EEEvT1_,comdat
	.globl	_ZN7rocprim17ROCPRIM_400000_NS6detail17trampoline_kernelINS0_14default_configENS1_20scan_config_selectorIN3c104HalfEEEZZNS1_9scan_implILNS1_25lookback_scan_determinismE0ELb0ELb0ES3_PKS6_PS6_S6_ZZZN2at6native31launch_logcumsumexp_cuda_kernelERKNSD_10TensorBaseESH_lENKUlvE_clEvENKUlvE3_clEvEUlS6_S6_E_S6_EEDaPvRmT3_T4_T5_mT6_P12ihipStream_tbENKUlT_T0_E_clISt17integral_constantIbLb0EESX_IbLb1EEEEDaST_SU_EUlST_E_NS1_11comp_targetILNS1_3genE10ELNS1_11target_archE1200ELNS1_3gpuE4ELNS1_3repE0EEENS1_30default_config_static_selectorELNS0_4arch9wavefront6targetE0EEEvT1_ ; -- Begin function _ZN7rocprim17ROCPRIM_400000_NS6detail17trampoline_kernelINS0_14default_configENS1_20scan_config_selectorIN3c104HalfEEEZZNS1_9scan_implILNS1_25lookback_scan_determinismE0ELb0ELb0ES3_PKS6_PS6_S6_ZZZN2at6native31launch_logcumsumexp_cuda_kernelERKNSD_10TensorBaseESH_lENKUlvE_clEvENKUlvE3_clEvEUlS6_S6_E_S6_EEDaPvRmT3_T4_T5_mT6_P12ihipStream_tbENKUlT_T0_E_clISt17integral_constantIbLb0EESX_IbLb1EEEEDaST_SU_EUlST_E_NS1_11comp_targetILNS1_3genE10ELNS1_11target_archE1200ELNS1_3gpuE4ELNS1_3repE0EEENS1_30default_config_static_selectorELNS0_4arch9wavefront6targetE0EEEvT1_
	.p2align	8
	.type	_ZN7rocprim17ROCPRIM_400000_NS6detail17trampoline_kernelINS0_14default_configENS1_20scan_config_selectorIN3c104HalfEEEZZNS1_9scan_implILNS1_25lookback_scan_determinismE0ELb0ELb0ES3_PKS6_PS6_S6_ZZZN2at6native31launch_logcumsumexp_cuda_kernelERKNSD_10TensorBaseESH_lENKUlvE_clEvENKUlvE3_clEvEUlS6_S6_E_S6_EEDaPvRmT3_T4_T5_mT6_P12ihipStream_tbENKUlT_T0_E_clISt17integral_constantIbLb0EESX_IbLb1EEEEDaST_SU_EUlST_E_NS1_11comp_targetILNS1_3genE10ELNS1_11target_archE1200ELNS1_3gpuE4ELNS1_3repE0EEENS1_30default_config_static_selectorELNS0_4arch9wavefront6targetE0EEEvT1_,@function
_ZN7rocprim17ROCPRIM_400000_NS6detail17trampoline_kernelINS0_14default_configENS1_20scan_config_selectorIN3c104HalfEEEZZNS1_9scan_implILNS1_25lookback_scan_determinismE0ELb0ELb0ES3_PKS6_PS6_S6_ZZZN2at6native31launch_logcumsumexp_cuda_kernelERKNSD_10TensorBaseESH_lENKUlvE_clEvENKUlvE3_clEvEUlS6_S6_E_S6_EEDaPvRmT3_T4_T5_mT6_P12ihipStream_tbENKUlT_T0_E_clISt17integral_constantIbLb0EESX_IbLb1EEEEDaST_SU_EUlST_E_NS1_11comp_targetILNS1_3genE10ELNS1_11target_archE1200ELNS1_3gpuE4ELNS1_3repE0EEENS1_30default_config_static_selectorELNS0_4arch9wavefront6targetE0EEEvT1_: ; @_ZN7rocprim17ROCPRIM_400000_NS6detail17trampoline_kernelINS0_14default_configENS1_20scan_config_selectorIN3c104HalfEEEZZNS1_9scan_implILNS1_25lookback_scan_determinismE0ELb0ELb0ES3_PKS6_PS6_S6_ZZZN2at6native31launch_logcumsumexp_cuda_kernelERKNSD_10TensorBaseESH_lENKUlvE_clEvENKUlvE3_clEvEUlS6_S6_E_S6_EEDaPvRmT3_T4_T5_mT6_P12ihipStream_tbENKUlT_T0_E_clISt17integral_constantIbLb0EESX_IbLb1EEEEDaST_SU_EUlST_E_NS1_11comp_targetILNS1_3genE10ELNS1_11target_archE1200ELNS1_3gpuE4ELNS1_3repE0EEENS1_30default_config_static_selectorELNS0_4arch9wavefront6targetE0EEEvT1_
; %bb.0:
	.section	.rodata,"a",@progbits
	.p2align	6, 0x0
	.amdhsa_kernel _ZN7rocprim17ROCPRIM_400000_NS6detail17trampoline_kernelINS0_14default_configENS1_20scan_config_selectorIN3c104HalfEEEZZNS1_9scan_implILNS1_25lookback_scan_determinismE0ELb0ELb0ES3_PKS6_PS6_S6_ZZZN2at6native31launch_logcumsumexp_cuda_kernelERKNSD_10TensorBaseESH_lENKUlvE_clEvENKUlvE3_clEvEUlS6_S6_E_S6_EEDaPvRmT3_T4_T5_mT6_P12ihipStream_tbENKUlT_T0_E_clISt17integral_constantIbLb0EESX_IbLb1EEEEDaST_SU_EUlST_E_NS1_11comp_targetILNS1_3genE10ELNS1_11target_archE1200ELNS1_3gpuE4ELNS1_3repE0EEENS1_30default_config_static_selectorELNS0_4arch9wavefront6targetE0EEEvT1_
		.amdhsa_group_segment_fixed_size 0
		.amdhsa_private_segment_fixed_size 0
		.amdhsa_kernarg_size 96
		.amdhsa_user_sgpr_count 15
		.amdhsa_user_sgpr_dispatch_ptr 0
		.amdhsa_user_sgpr_queue_ptr 0
		.amdhsa_user_sgpr_kernarg_segment_ptr 1
		.amdhsa_user_sgpr_dispatch_id 0
		.amdhsa_user_sgpr_private_segment_size 0
		.amdhsa_wavefront_size32 1
		.amdhsa_uses_dynamic_stack 0
		.amdhsa_enable_private_segment 0
		.amdhsa_system_sgpr_workgroup_id_x 1
		.amdhsa_system_sgpr_workgroup_id_y 0
		.amdhsa_system_sgpr_workgroup_id_z 0
		.amdhsa_system_sgpr_workgroup_info 0
		.amdhsa_system_vgpr_workitem_id 0
		.amdhsa_next_free_vgpr 1
		.amdhsa_next_free_sgpr 1
		.amdhsa_reserve_vcc 0
		.amdhsa_float_round_mode_32 0
		.amdhsa_float_round_mode_16_64 0
		.amdhsa_float_denorm_mode_32 3
		.amdhsa_float_denorm_mode_16_64 3
		.amdhsa_dx10_clamp 1
		.amdhsa_ieee_mode 1
		.amdhsa_fp16_overflow 0
		.amdhsa_workgroup_processor_mode 1
		.amdhsa_memory_ordered 1
		.amdhsa_forward_progress 0
		.amdhsa_shared_vgpr_count 0
		.amdhsa_exception_fp_ieee_invalid_op 0
		.amdhsa_exception_fp_denorm_src 0
		.amdhsa_exception_fp_ieee_div_zero 0
		.amdhsa_exception_fp_ieee_overflow 0
		.amdhsa_exception_fp_ieee_underflow 0
		.amdhsa_exception_fp_ieee_inexact 0
		.amdhsa_exception_int_div_zero 0
	.end_amdhsa_kernel
	.section	.text._ZN7rocprim17ROCPRIM_400000_NS6detail17trampoline_kernelINS0_14default_configENS1_20scan_config_selectorIN3c104HalfEEEZZNS1_9scan_implILNS1_25lookback_scan_determinismE0ELb0ELb0ES3_PKS6_PS6_S6_ZZZN2at6native31launch_logcumsumexp_cuda_kernelERKNSD_10TensorBaseESH_lENKUlvE_clEvENKUlvE3_clEvEUlS6_S6_E_S6_EEDaPvRmT3_T4_T5_mT6_P12ihipStream_tbENKUlT_T0_E_clISt17integral_constantIbLb0EESX_IbLb1EEEEDaST_SU_EUlST_E_NS1_11comp_targetILNS1_3genE10ELNS1_11target_archE1200ELNS1_3gpuE4ELNS1_3repE0EEENS1_30default_config_static_selectorELNS0_4arch9wavefront6targetE0EEEvT1_,"axG",@progbits,_ZN7rocprim17ROCPRIM_400000_NS6detail17trampoline_kernelINS0_14default_configENS1_20scan_config_selectorIN3c104HalfEEEZZNS1_9scan_implILNS1_25lookback_scan_determinismE0ELb0ELb0ES3_PKS6_PS6_S6_ZZZN2at6native31launch_logcumsumexp_cuda_kernelERKNSD_10TensorBaseESH_lENKUlvE_clEvENKUlvE3_clEvEUlS6_S6_E_S6_EEDaPvRmT3_T4_T5_mT6_P12ihipStream_tbENKUlT_T0_E_clISt17integral_constantIbLb0EESX_IbLb1EEEEDaST_SU_EUlST_E_NS1_11comp_targetILNS1_3genE10ELNS1_11target_archE1200ELNS1_3gpuE4ELNS1_3repE0EEENS1_30default_config_static_selectorELNS0_4arch9wavefront6targetE0EEEvT1_,comdat
.Lfunc_end429:
	.size	_ZN7rocprim17ROCPRIM_400000_NS6detail17trampoline_kernelINS0_14default_configENS1_20scan_config_selectorIN3c104HalfEEEZZNS1_9scan_implILNS1_25lookback_scan_determinismE0ELb0ELb0ES3_PKS6_PS6_S6_ZZZN2at6native31launch_logcumsumexp_cuda_kernelERKNSD_10TensorBaseESH_lENKUlvE_clEvENKUlvE3_clEvEUlS6_S6_E_S6_EEDaPvRmT3_T4_T5_mT6_P12ihipStream_tbENKUlT_T0_E_clISt17integral_constantIbLb0EESX_IbLb1EEEEDaST_SU_EUlST_E_NS1_11comp_targetILNS1_3genE10ELNS1_11target_archE1200ELNS1_3gpuE4ELNS1_3repE0EEENS1_30default_config_static_selectorELNS0_4arch9wavefront6targetE0EEEvT1_, .Lfunc_end429-_ZN7rocprim17ROCPRIM_400000_NS6detail17trampoline_kernelINS0_14default_configENS1_20scan_config_selectorIN3c104HalfEEEZZNS1_9scan_implILNS1_25lookback_scan_determinismE0ELb0ELb0ES3_PKS6_PS6_S6_ZZZN2at6native31launch_logcumsumexp_cuda_kernelERKNSD_10TensorBaseESH_lENKUlvE_clEvENKUlvE3_clEvEUlS6_S6_E_S6_EEDaPvRmT3_T4_T5_mT6_P12ihipStream_tbENKUlT_T0_E_clISt17integral_constantIbLb0EESX_IbLb1EEEEDaST_SU_EUlST_E_NS1_11comp_targetILNS1_3genE10ELNS1_11target_archE1200ELNS1_3gpuE4ELNS1_3repE0EEENS1_30default_config_static_selectorELNS0_4arch9wavefront6targetE0EEEvT1_
                                        ; -- End function
	.section	.AMDGPU.csdata,"",@progbits
; Kernel info:
; codeLenInByte = 0
; NumSgprs: 0
; NumVgprs: 0
; ScratchSize: 0
; MemoryBound: 0
; FloatMode: 240
; IeeeMode: 1
; LDSByteSize: 0 bytes/workgroup (compile time only)
; SGPRBlocks: 0
; VGPRBlocks: 0
; NumSGPRsForWavesPerEU: 1
; NumVGPRsForWavesPerEU: 1
; Occupancy: 16
; WaveLimiterHint : 0
; COMPUTE_PGM_RSRC2:SCRATCH_EN: 0
; COMPUTE_PGM_RSRC2:USER_SGPR: 15
; COMPUTE_PGM_RSRC2:TRAP_HANDLER: 0
; COMPUTE_PGM_RSRC2:TGID_X_EN: 1
; COMPUTE_PGM_RSRC2:TGID_Y_EN: 0
; COMPUTE_PGM_RSRC2:TGID_Z_EN: 0
; COMPUTE_PGM_RSRC2:TIDIG_COMP_CNT: 0
	.text
	.p2align	2                               ; -- Begin function _ZZZN7rocprim17ROCPRIM_400000_NS6detail9scan_implILNS1_25lookback_scan_determinismE0ELb0ELb0ENS0_14default_configEPKN3c104HalfEPS6_S6_ZZZN2at6native31launch_logcumsumexp_cuda_kernelERKNSA_10TensorBaseESE_lENKUlvE_clEvENKUlvE3_clEvEUlS6_S6_E_S6_EEDaPvRmT3_T4_T5_mT6_P12ihipStream_tbENKUlT_T0_E_clISt17integral_constantIbLb0EESU_IbLb1EEEEDaSQ_SR_ENKUlSQ_E_clINS1_13target_configIS4_NS1_20scan_config_selectorIS6_EENS1_11comp_targetILNS1_3genE9ELNS1_11target_archE1100ELNS1_3gpuE3ELNS1_3repE0EEELNS0_4arch9wavefront6targetE0EEEEEDaSQ_
	.type	_ZZZN7rocprim17ROCPRIM_400000_NS6detail9scan_implILNS1_25lookback_scan_determinismE0ELb0ELb0ENS0_14default_configEPKN3c104HalfEPS6_S6_ZZZN2at6native31launch_logcumsumexp_cuda_kernelERKNSA_10TensorBaseESE_lENKUlvE_clEvENKUlvE3_clEvEUlS6_S6_E_S6_EEDaPvRmT3_T4_T5_mT6_P12ihipStream_tbENKUlT_T0_E_clISt17integral_constantIbLb0EESU_IbLb1EEEEDaSQ_SR_ENKUlSQ_E_clINS1_13target_configIS4_NS1_20scan_config_selectorIS6_EENS1_11comp_targetILNS1_3genE9ELNS1_11target_archE1100ELNS1_3gpuE3ELNS1_3repE0EEELNS0_4arch9wavefront6targetE0EEEEEDaSQ_,@function
_ZZZN7rocprim17ROCPRIM_400000_NS6detail9scan_implILNS1_25lookback_scan_determinismE0ELb0ELb0ENS0_14default_configEPKN3c104HalfEPS6_S6_ZZZN2at6native31launch_logcumsumexp_cuda_kernelERKNSA_10TensorBaseESE_lENKUlvE_clEvENKUlvE3_clEvEUlS6_S6_E_S6_EEDaPvRmT3_T4_T5_mT6_P12ihipStream_tbENKUlT_T0_E_clISt17integral_constantIbLb0EESU_IbLb1EEEEDaSQ_SR_ENKUlSQ_E_clINS1_13target_configIS4_NS1_20scan_config_selectorIS6_EENS1_11comp_targetILNS1_3genE9ELNS1_11target_archE1100ELNS1_3gpuE3ELNS1_3repE0EEELNS0_4arch9wavefront6targetE0EEEEEDaSQ_: ; @_ZZZN7rocprim17ROCPRIM_400000_NS6detail9scan_implILNS1_25lookback_scan_determinismE0ELb0ELb0ENS0_14default_configEPKN3c104HalfEPS6_S6_ZZZN2at6native31launch_logcumsumexp_cuda_kernelERKNSA_10TensorBaseESE_lENKUlvE_clEvENKUlvE3_clEvEUlS6_S6_E_S6_EEDaPvRmT3_T4_T5_mT6_P12ihipStream_tbENKUlT_T0_E_clISt17integral_constantIbLb0EESU_IbLb1EEEEDaSQ_SR_ENKUlSQ_E_clINS1_13target_configIS4_NS1_20scan_config_selectorIS6_EENS1_11comp_targetILNS1_3genE9ELNS1_11target_archE1100ELNS1_3gpuE3ELNS1_3repE0EEELNS0_4arch9wavefront6targetE0EEEEEDaSQ_
; %bb.0:
	s_waitcnt vmcnt(0) expcnt(0) lgkmcnt(0)
	s_or_saveexec_b32 s0, -1
	scratch_store_b32 off, v40, s32         ; 4-byte Folded Spill
	s_mov_b32 exec_lo, s0
	v_writelane_b32 v40, s30, 0
	v_writelane_b32 v40, s31, 1
	s_clause 0x4
	flat_load_b128 v[14:17], v[0:1]
	flat_load_b128 v[10:13], v[0:1] offset:16
	flat_load_b96 v[18:20], v[0:1] offset:40
	flat_load_b128 v[2:5], v[0:1] offset:56
	flat_load_b128 v[6:9], v[0:1] offset:72
	v_and_b32_e32 v21, 0x3ff, v31
	s_delay_alu instid0(VALU_DEP_1) | instskip(SKIP_1) | instid1(VALU_DEP_1)
	v_cmp_ne_u32_e64 s1, 0, v21
	v_cmp_eq_u32_e64 s2, 0, v21
	s_and_saveexec_b32 s0, s2
	s_cbranch_execz .LBB430_2
; %bb.1:
	flat_load_b64 v[0:1], v[0:1] offset:88
	v_mov_b32_e32 v22, 1
	s_waitcnt vmcnt(0) lgkmcnt(0)
	flat_atomic_add_u32 v0, v[0:1], v22 glc
	v_mov_b32_e32 v1, 0
	s_waitcnt vmcnt(0) lgkmcnt(0)
	ds_store_b32 v1, v0
.LBB430_2:
	s_or_b32 exec_lo, exec_lo, s0
	v_mov_b32_e32 v23, 0
	s_waitcnt vmcnt(0) lgkmcnt(0)
	s_waitcnt_vscnt null, 0x0
	s_barrier
	buffer_gl0_inv
	v_add_nc_u32_e32 v25, -1, v20
	ds_load_b32 v24, v23
	v_lshlrev_b64 v[0:1], 1, v[16:17]
	v_lshlrev_b32_e32 v33, 1, v21
	s_waitcnt lgkmcnt(0)
	v_mul_lo_u32 v16, 0x580, v25
	s_barrier
	buffer_gl0_inv
	v_add_co_u32 v17, vcc_lo, v14, v0
	v_add_co_ci_u32_e32 v26, vcc_lo, v15, v1, vcc_lo
	v_sub_co_u32 v20, vcc_lo, v12, v16
	v_subrev_co_ci_u32_e32 v32, vcc_lo, 0, v13, vcc_lo
	v_mul_lo_u32 v22, 0x580, v24
	v_readfirstlane_b32 s28, v24
	v_cmp_ne_u32_e64 s0, v24, v25
	s_delay_alu instid0(VALU_DEP_3) | instskip(NEXT) | instid1(VALU_DEP_1)
	v_lshlrev_b64 v[14:15], 1, v[22:23]
	v_add_co_u32 v12, vcc_lo, v17, v14
	s_delay_alu instid0(VALU_DEP_2) | instskip(NEXT) | instid1(VALU_DEP_4)
	v_add_co_ci_u32_e32 v13, vcc_lo, v26, v15, vcc_lo
	s_and_saveexec_b32 s3, s0
	s_delay_alu instid0(SALU_CYCLE_1)
	s_xor_b32 s3, exec_lo, s3
	s_cbranch_execz .LBB430_4
; %bb.3:
	v_add_co_u32 v12, vcc_lo, v12, v33
	v_add_co_ci_u32_e32 v13, vcc_lo, 0, v13, vcc_lo
	s_clause 0x15
	flat_load_u16 v16, v[12:13]
	flat_load_u16 v17, v[12:13] offset:128
	flat_load_u16 v22, v[12:13] offset:256
	;; [unrolled: 1-line block ×21, first 2 shown]
	s_waitcnt vmcnt(21) lgkmcnt(21)
	ds_store_b16 v33, v16
	s_waitcnt vmcnt(20) lgkmcnt(21)
	ds_store_b16 v33, v17 offset:128
	s_waitcnt vmcnt(19) lgkmcnt(21)
	ds_store_b16 v33, v22 offset:256
	;; [unrolled: 2-line block ×21, first 2 shown]
	s_waitcnt lgkmcnt(0)
	s_barrier
                                        ; implicit-def: $vgpr12
.LBB430_4:
	s_and_not1_saveexec_b32 s3, s3
	s_cbranch_execz .LBB430_50
; %bb.5:
	flat_load_u16 v16, v[12:13]
	s_mov_b32 s4, exec_lo
	s_waitcnt vmcnt(0) lgkmcnt(0)
	v_mov_b32_e32 v17, v16
	v_cmpx_lt_u32_e64 v21, v20
	s_cbranch_execz .LBB430_7
; %bb.6:
	v_add_co_u32 v22, vcc_lo, v12, v33
	v_add_co_ci_u32_e32 v23, vcc_lo, 0, v13, vcc_lo
	flat_load_u16 v17, v[22:23]
.LBB430_7:
	s_or_b32 exec_lo, exec_lo, s4
	v_add_nc_u32_e32 v22, 64, v21
	s_delay_alu instid0(VALU_DEP_1)
	v_cmp_lt_u32_e32 vcc_lo, v22, v20
	v_mov_b32_e32 v22, v16
	s_and_saveexec_b32 s4, vcc_lo
	s_cbranch_execz .LBB430_9
; %bb.8:
	v_add_co_u32 v22, vcc_lo, v12, v33
	v_add_co_ci_u32_e32 v23, vcc_lo, 0, v13, vcc_lo
	flat_load_u16 v22, v[22:23] offset:128
.LBB430_9:
	s_or_b32 exec_lo, exec_lo, s4
	v_add_nc_u32_e32 v23, 0x80, v21
	s_delay_alu instid0(VALU_DEP_1)
	v_cmp_lt_u32_e32 vcc_lo, v23, v20
	v_mov_b32_e32 v23, v16
	s_and_saveexec_b32 s4, vcc_lo
	s_cbranch_execz .LBB430_11
; %bb.10:
	v_add_co_u32 v23, vcc_lo, v12, v33
	v_add_co_ci_u32_e32 v24, vcc_lo, 0, v13, vcc_lo
	flat_load_u16 v23, v[23:24] offset:256
.LBB430_11:
	;; [unrolled: 12-line block ×15, first 2 shown]
	s_or_b32 exec_lo, exec_lo, s4
	v_or_b32_e32 v39, 0x400, v21
	s_delay_alu instid0(VALU_DEP_1)
	v_cmp_lt_u32_e32 vcc_lo, v39, v20
	v_mov_b32_e32 v39, v16
	s_and_saveexec_b32 s4, vcc_lo
	s_cbranch_execz .LBB430_39
; %bb.38:
	v_add_co_u32 v48, vcc_lo, v12, v33
	v_add_co_ci_u32_e32 v49, vcc_lo, 0, v13, vcc_lo
	flat_load_u16 v39, v[48:49] offset:2048
.LBB430_39:
	s_or_b32 exec_lo, exec_lo, s4
	v_add_nc_u32_e32 v48, 0x440, v21
	s_delay_alu instid0(VALU_DEP_1)
	v_cmp_lt_u32_e32 vcc_lo, v48, v20
	v_mov_b32_e32 v48, v16
	s_and_saveexec_b32 s4, vcc_lo
	s_cbranch_execz .LBB430_41
; %bb.40:
	v_add_co_u32 v48, vcc_lo, v12, v33
	v_add_co_ci_u32_e32 v49, vcc_lo, 0, v13, vcc_lo
	flat_load_u16 v48, v[48:49] offset:2176
.LBB430_41:
	s_or_b32 exec_lo, exec_lo, s4
	v_add_nc_u32_e32 v49, 0x480, v21
	;; [unrolled: 12-line block ×5, first 2 shown]
	s_mov_b32 s4, exec_lo
	s_delay_alu instid0(VALU_DEP_1)
	v_cmpx_lt_u32_e64 v52, v20
	s_cbranch_execz .LBB430_49
; %bb.48:
	v_add_co_u32 v12, vcc_lo, v12, v33
	v_add_co_ci_u32_e32 v13, vcc_lo, 0, v13, vcc_lo
	flat_load_u16 v16, v[12:13] offset:2688
.LBB430_49:
	s_or_b32 exec_lo, exec_lo, s4
	s_waitcnt vmcnt(0) lgkmcnt(0)
	ds_store_b16 v33, v17
	ds_store_b16 v33, v22 offset:128
	ds_store_b16 v33, v23 offset:256
	;; [unrolled: 1-line block ×21, first 2 shown]
	s_waitcnt lgkmcnt(0)
	s_barrier
.LBB430_50:
	s_or_b32 exec_lo, exec_lo, s3
	v_mul_u32_u24_e32 v34, 22, v21
	buffer_gl0_inv
	s_cmp_lg_u32 s28, 0
	v_lshlrev_b32_e32 v35, 1, v34
	ds_load_2addr_b32 v[12:13], v35 offset1:1
	ds_load_2addr_b32 v[26:27], v35 offset0:2 offset1:3
	ds_load_2addr_b32 v[24:25], v35 offset0:4 offset1:5
	;; [unrolled: 1-line block ×4, first 2 shown]
	ds_load_b32 v38, v35 offset:40
	s_waitcnt lgkmcnt(0)
	s_barrier
	buffer_gl0_inv
	v_lshrrev_b32_e32 v64, 16, v12
	v_lshrrev_b32_e32 v55, 16, v13
	;; [unrolled: 1-line block ×11, first 2 shown]
	v_cvt_f32_f16_e32 v36, v64
	v_cmp_u_f16_e64 s3, v64, v64
	s_cbranch_scc0 .LBB430_235
; %bb.51:
	v_cvt_f32_f16_e32 v101, v12
	v_cmp_u_f16_e64 s24, v12, v12
	v_mov_b32_e32 v102, v12
	s_delay_alu instid0(VALU_DEP_3) | instskip(SKIP_1) | instid1(VALU_DEP_2)
	v_min_f32_e32 v28, v101, v36
	v_max_f32_e32 v29, v101, v36
	v_cndmask_b32_e64 v28, v28, v101, s24
	s_delay_alu instid0(VALU_DEP_1) | instskip(SKIP_1) | instid1(VALU_DEP_4)
	v_cndmask_b32_e64 v31, v28, v36, s3
	v_mov_b32_e32 v28, v12
	v_cndmask_b32_e64 v29, v29, v101, s24
	s_delay_alu instid0(VALU_DEP_3) | instskip(NEXT) | instid1(VALU_DEP_2)
	v_cmp_class_f32_e64 s4, v31, 0x1f8
	v_cndmask_b32_e64 v30, v29, v36, s3
	v_mov_b32_e32 v29, v101
	s_delay_alu instid0(VALU_DEP_2) | instskip(NEXT) | instid1(VALU_DEP_4)
	v_cmp_neq_f32_e32 vcc_lo, v31, v30
	s_or_b32 s5, vcc_lo, s4
	s_delay_alu instid0(SALU_CYCLE_1)
	s_and_saveexec_b32 s4, s5
	s_cbranch_execz .LBB430_53
; %bb.52:
	v_sub_f32_e32 v28, v31, v30
	s_mov_b32 s5, 0x3e9b6dac
	s_delay_alu instid0(VALU_DEP_1) | instskip(NEXT) | instid1(VALU_DEP_1)
	v_mul_f32_e32 v29, 0x3fb8aa3b, v28
	v_fma_f32 v31, 0x3fb8aa3b, v28, -v29
	v_rndne_f32_e32 v65, v29
	s_delay_alu instid0(VALU_DEP_1) | instskip(NEXT) | instid1(VALU_DEP_3)
	v_sub_f32_e32 v29, v29, v65
	v_fmamk_f32 v31, v28, 0x32a5705f, v31
	v_cmp_ngt_f32_e32 vcc_lo, 0xc2ce8ed0, v28
	s_delay_alu instid0(VALU_DEP_2) | instskip(SKIP_1) | instid1(VALU_DEP_2)
	v_add_f32_e32 v29, v29, v31
	v_cvt_i32_f32_e32 v31, v65
	v_exp_f32_e32 v29, v29
	s_waitcnt_depctr 0xfff
	v_ldexp_f32 v29, v29, v31
	s_delay_alu instid0(VALU_DEP_1) | instskip(SKIP_1) | instid1(VALU_DEP_2)
	v_cndmask_b32_e32 v29, 0, v29, vcc_lo
	v_cmp_nlt_f32_e32 vcc_lo, 0x42b17218, v28
	v_cndmask_b32_e32 v31, 0x7f800000, v29, vcc_lo
	s_delay_alu instid0(VALU_DEP_1) | instskip(NEXT) | instid1(VALU_DEP_1)
	v_add_f32_e32 v65, 1.0, v31
	v_cvt_f64_f32_e32 v[28:29], v65
	s_delay_alu instid0(VALU_DEP_1) | instskip(SKIP_1) | instid1(VALU_DEP_1)
	v_frexp_exp_i32_f64_e32 v28, v[28:29]
	v_frexp_mant_f32_e32 v29, v65
	v_cmp_gt_f32_e32 vcc_lo, 0x3f2aaaab, v29
	v_add_f32_e32 v29, -1.0, v65
	s_delay_alu instid0(VALU_DEP_1) | instskip(SKIP_1) | instid1(VALU_DEP_2)
	v_sub_f32_e32 v67, v29, v65
	v_sub_f32_e32 v29, v31, v29
	v_add_f32_e32 v67, 1.0, v67
	s_delay_alu instid0(VALU_DEP_1) | instskip(SKIP_1) | instid1(VALU_DEP_1)
	v_add_f32_e32 v29, v29, v67
	v_subrev_co_ci_u32_e32 v28, vcc_lo, 0, v28, vcc_lo
	v_sub_nc_u32_e32 v66, 0, v28
	v_cvt_f32_i32_e32 v28, v28
	s_delay_alu instid0(VALU_DEP_2) | instskip(SKIP_1) | instid1(VALU_DEP_2)
	v_ldexp_f32 v65, v65, v66
	v_ldexp_f32 v29, v29, v66
	v_add_f32_e32 v68, 1.0, v65
	s_delay_alu instid0(VALU_DEP_1) | instskip(NEXT) | instid1(VALU_DEP_1)
	v_dual_add_f32 v66, -1.0, v65 :: v_dual_add_f32 v67, -1.0, v68
	v_add_f32_e32 v69, 1.0, v66
	s_delay_alu instid0(VALU_DEP_2) | instskip(NEXT) | instid1(VALU_DEP_2)
	v_sub_f32_e32 v67, v65, v67
	v_sub_f32_e32 v65, v65, v69
	s_delay_alu instid0(VALU_DEP_2) | instskip(NEXT) | instid1(VALU_DEP_2)
	v_add_f32_e32 v67, v29, v67
	v_add_f32_e32 v29, v29, v65
	s_delay_alu instid0(VALU_DEP_1) | instskip(NEXT) | instid1(VALU_DEP_1)
	v_dual_add_f32 v69, v68, v67 :: v_dual_add_f32 v70, v66, v29
	v_rcp_f32_e32 v65, v69
	v_sub_f32_e32 v68, v68, v69
	s_delay_alu instid0(VALU_DEP_1) | instskip(SKIP_3) | instid1(VALU_DEP_2)
	v_dual_sub_f32 v66, v66, v70 :: v_dual_add_f32 v67, v67, v68
	s_waitcnt_depctr 0xfff
	v_mul_f32_e32 v71, v70, v65
	v_add_f32_e32 v29, v29, v66
	v_mul_f32_e32 v80, v69, v71
	s_delay_alu instid0(VALU_DEP_1) | instskip(NEXT) | instid1(VALU_DEP_1)
	v_fma_f32 v68, v71, v69, -v80
	v_fmac_f32_e32 v68, v71, v67
	v_cmp_eq_f32_e32 vcc_lo, 0x7f800000, v31
	s_delay_alu instid0(VALU_DEP_2) | instskip(NEXT) | instid1(VALU_DEP_1)
	v_add_f32_e32 v81, v80, v68
	v_sub_f32_e32 v82, v70, v81
	v_sub_f32_e32 v66, v81, v80
	s_delay_alu instid0(VALU_DEP_2) | instskip(NEXT) | instid1(VALU_DEP_2)
	v_sub_f32_e32 v70, v70, v82
	v_sub_f32_e32 v66, v66, v68
	s_delay_alu instid0(VALU_DEP_2) | instskip(NEXT) | instid1(VALU_DEP_1)
	v_sub_f32_e32 v70, v70, v81
	v_add_f32_e32 v29, v29, v70
	s_delay_alu instid0(VALU_DEP_1) | instskip(NEXT) | instid1(VALU_DEP_1)
	v_add_f32_e32 v29, v66, v29
	v_add_f32_e32 v66, v82, v29
	s_delay_alu instid0(VALU_DEP_1) | instskip(NEXT) | instid1(VALU_DEP_1)
	v_mul_f32_e32 v68, v65, v66
	v_dual_sub_f32 v81, v82, v66 :: v_dual_mul_f32 v70, v69, v68
	s_delay_alu instid0(VALU_DEP_1) | instskip(NEXT) | instid1(VALU_DEP_2)
	v_add_f32_e32 v29, v29, v81
	v_fma_f32 v69, v68, v69, -v70
	s_delay_alu instid0(VALU_DEP_1) | instskip(NEXT) | instid1(VALU_DEP_1)
	v_fmac_f32_e32 v69, v68, v67
	v_add_f32_e32 v67, v70, v69
	s_delay_alu instid0(VALU_DEP_1) | instskip(SKIP_1) | instid1(VALU_DEP_2)
	v_sub_f32_e32 v80, v66, v67
	v_sub_f32_e32 v70, v67, v70
	;; [unrolled: 1-line block ×3, first 2 shown]
	s_delay_alu instid0(VALU_DEP_1) | instskip(NEXT) | instid1(VALU_DEP_3)
	v_sub_f32_e32 v66, v66, v67
	v_sub_f32_e32 v67, v70, v69
	s_delay_alu instid0(VALU_DEP_2) | instskip(NEXT) | instid1(VALU_DEP_1)
	v_dual_add_f32 v29, v29, v66 :: v_dual_add_f32 v66, v71, v68
	v_add_f32_e32 v29, v67, v29
	s_delay_alu instid0(VALU_DEP_2) | instskip(NEXT) | instid1(VALU_DEP_2)
	v_sub_f32_e32 v67, v66, v71
	v_add_f32_e32 v29, v80, v29
	s_delay_alu instid0(VALU_DEP_2) | instskip(NEXT) | instid1(VALU_DEP_2)
	v_sub_f32_e32 v67, v68, v67
	v_mul_f32_e32 v29, v65, v29
	s_delay_alu instid0(VALU_DEP_1) | instskip(NEXT) | instid1(VALU_DEP_1)
	v_add_f32_e32 v29, v67, v29
	v_add_f32_e32 v65, v66, v29
	s_delay_alu instid0(VALU_DEP_1) | instskip(NEXT) | instid1(VALU_DEP_1)
	v_mul_f32_e32 v67, v65, v65
	v_fmaak_f32 v68, s5, v67, 0x3ecc95a3
	v_mul_f32_e32 v69, v65, v67
	v_cmp_gt_f32_e64 s5, 0x33800000, |v31|
	s_delay_alu instid0(VALU_DEP_3) | instskip(SKIP_2) | instid1(VALU_DEP_4)
	v_fmaak_f32 v67, v67, v68, 0x3f2aaada
	v_ldexp_f32 v68, v65, 1
	v_sub_f32_e32 v65, v65, v66
	s_or_b32 vcc_lo, vcc_lo, s5
	s_delay_alu instid0(VALU_DEP_3) | instskip(SKIP_1) | instid1(VALU_DEP_2)
	v_mul_f32_e32 v67, v69, v67
	v_mul_f32_e32 v69, 0x3f317218, v28
	v_dual_sub_f32 v29, v29, v65 :: v_dual_add_f32 v66, v68, v67
	s_delay_alu instid0(VALU_DEP_1) | instskip(NEXT) | instid1(VALU_DEP_2)
	v_ldexp_f32 v29, v29, 1
	v_sub_f32_e32 v65, v66, v68
	s_delay_alu instid0(VALU_DEP_4) | instskip(NEXT) | instid1(VALU_DEP_1)
	v_fma_f32 v68, 0x3f317218, v28, -v69
	v_dual_sub_f32 v65, v67, v65 :: v_dual_fmamk_f32 v28, v28, 0xb102e308, v68
	s_delay_alu instid0(VALU_DEP_1) | instskip(NEXT) | instid1(VALU_DEP_2)
	v_add_f32_e32 v29, v29, v65
	v_add_f32_e32 v65, v69, v28
	s_delay_alu instid0(VALU_DEP_2) | instskip(NEXT) | instid1(VALU_DEP_2)
	v_add_f32_e32 v67, v66, v29
	v_sub_f32_e32 v69, v65, v69
	s_delay_alu instid0(VALU_DEP_2) | instskip(SKIP_1) | instid1(VALU_DEP_3)
	v_add_f32_e32 v68, v65, v67
	v_sub_f32_e32 v66, v67, v66
	v_sub_f32_e32 v28, v28, v69
	s_delay_alu instid0(VALU_DEP_2) | instskip(NEXT) | instid1(VALU_DEP_1)
	v_dual_sub_f32 v70, v68, v65 :: v_dual_sub_f32 v29, v29, v66
	v_sub_f32_e32 v71, v68, v70
	s_delay_alu instid0(VALU_DEP_2) | instskip(NEXT) | instid1(VALU_DEP_2)
	v_dual_sub_f32 v66, v67, v70 :: v_dual_add_f32 v67, v28, v29
	v_sub_f32_e32 v65, v65, v71
	s_delay_alu instid0(VALU_DEP_1) | instskip(NEXT) | instid1(VALU_DEP_1)
	v_dual_add_f32 v65, v66, v65 :: v_dual_sub_f32 v66, v67, v28
	v_add_f32_e32 v65, v67, v65
	s_delay_alu instid0(VALU_DEP_2) | instskip(SKIP_1) | instid1(VALU_DEP_3)
	v_sub_f32_e32 v67, v67, v66
	v_sub_f32_e32 v29, v29, v66
	v_add_f32_e32 v69, v68, v65
	s_delay_alu instid0(VALU_DEP_3) | instskip(NEXT) | instid1(VALU_DEP_2)
	v_sub_f32_e32 v28, v28, v67
	v_sub_f32_e32 v66, v69, v68
	s_delay_alu instid0(VALU_DEP_2) | instskip(NEXT) | instid1(VALU_DEP_2)
	v_add_f32_e32 v28, v29, v28
	v_sub_f32_e32 v29, v65, v66
	s_delay_alu instid0(VALU_DEP_1) | instskip(NEXT) | instid1(VALU_DEP_1)
	v_add_f32_e32 v28, v28, v29
	v_add_f32_e32 v28, v69, v28
	s_delay_alu instid0(VALU_DEP_1) | instskip(NEXT) | instid1(VALU_DEP_1)
	v_cndmask_b32_e32 v28, v28, v31, vcc_lo
	v_add_f32_e32 v28, v30, v28
	s_delay_alu instid0(VALU_DEP_1) | instskip(NEXT) | instid1(VALU_DEP_1)
	v_cvt_f16_f32_e32 v28, v28
	v_mov_b32_e32 v102, v28
	v_cvt_f32_f16_e32 v29, v28
.LBB430_53:
	s_or_b32 exec_lo, exec_lo, s4
	v_cvt_f32_f16_e32 v65, v13
	s_delay_alu instid0(VALU_DEP_2) | instskip(SKIP_2) | instid1(VALU_DEP_3)
	v_max_f32_e32 v30, v29, v29
	v_cmp_u_f16_e32 vcc_lo, v28, v28
	v_cmp_u_f16_e64 s4, v13, v13
	v_min_f32_e32 v31, v30, v65
	v_max_f32_e32 v30, v30, v65
	s_delay_alu instid0(VALU_DEP_2) | instskip(NEXT) | instid1(VALU_DEP_2)
	v_cndmask_b32_e32 v31, v31, v29, vcc_lo
	v_cndmask_b32_e32 v30, v30, v29, vcc_lo
	s_delay_alu instid0(VALU_DEP_2) | instskip(NEXT) | instid1(VALU_DEP_2)
	v_cndmask_b32_e64 v31, v31, v65, s4
	v_cndmask_b32_e64 v30, v30, v65, s4
	s_delay_alu instid0(VALU_DEP_2) | instskip(NEXT) | instid1(VALU_DEP_2)
	v_cmp_class_f32_e64 s5, v31, 0x1f8
	v_cmp_neq_f32_e32 vcc_lo, v31, v30
	s_delay_alu instid0(VALU_DEP_2) | instskip(NEXT) | instid1(SALU_CYCLE_1)
	s_or_b32 s6, vcc_lo, s5
	s_and_saveexec_b32 s5, s6
	s_cbranch_execz .LBB430_55
; %bb.54:
	v_sub_f32_e32 v28, v31, v30
	s_mov_b32 s6, 0x3e9b6dac
	s_delay_alu instid0(VALU_DEP_1) | instskip(NEXT) | instid1(VALU_DEP_1)
	v_mul_f32_e32 v29, 0x3fb8aa3b, v28
	v_fma_f32 v31, 0x3fb8aa3b, v28, -v29
	v_rndne_f32_e32 v66, v29
	s_delay_alu instid0(VALU_DEP_2) | instskip(NEXT) | instid1(VALU_DEP_2)
	v_fmamk_f32 v31, v28, 0x32a5705f, v31
	v_sub_f32_e32 v29, v29, v66
	s_delay_alu instid0(VALU_DEP_1) | instskip(SKIP_2) | instid1(VALU_DEP_3)
	v_add_f32_e32 v29, v29, v31
	v_cvt_i32_f32_e32 v31, v66
	v_cmp_ngt_f32_e32 vcc_lo, 0xc2ce8ed0, v28
	v_exp_f32_e32 v29, v29
	s_waitcnt_depctr 0xfff
	v_ldexp_f32 v29, v29, v31
	s_delay_alu instid0(VALU_DEP_1) | instskip(SKIP_1) | instid1(VALU_DEP_2)
	v_cndmask_b32_e32 v29, 0, v29, vcc_lo
	v_cmp_nlt_f32_e32 vcc_lo, 0x42b17218, v28
	v_cndmask_b32_e32 v31, 0x7f800000, v29, vcc_lo
	s_delay_alu instid0(VALU_DEP_1) | instskip(NEXT) | instid1(VALU_DEP_1)
	v_add_f32_e32 v66, 1.0, v31
	v_cvt_f64_f32_e32 v[28:29], v66
	s_delay_alu instid0(VALU_DEP_1) | instskip(SKIP_1) | instid1(VALU_DEP_1)
	v_frexp_exp_i32_f64_e32 v28, v[28:29]
	v_frexp_mant_f32_e32 v29, v66
	v_cmp_gt_f32_e32 vcc_lo, 0x3f2aaaab, v29
	v_add_f32_e32 v29, -1.0, v66
	s_delay_alu instid0(VALU_DEP_1) | instskip(NEXT) | instid1(VALU_DEP_1)
	v_sub_f32_e32 v68, v29, v66
	v_add_f32_e32 v68, 1.0, v68
	v_subrev_co_ci_u32_e32 v28, vcc_lo, 0, v28, vcc_lo
	s_delay_alu instid0(VALU_DEP_1) | instskip(SKIP_1) | instid1(VALU_DEP_2)
	v_sub_nc_u32_e32 v67, 0, v28
	v_cvt_f32_i32_e32 v28, v28
	v_ldexp_f32 v66, v66, v67
	v_sub_f32_e32 v29, v31, v29
	s_delay_alu instid0(VALU_DEP_1) | instskip(NEXT) | instid1(VALU_DEP_1)
	v_add_f32_e32 v29, v29, v68
	v_ldexp_f32 v29, v29, v67
	s_delay_alu instid0(VALU_DEP_4) | instskip(NEXT) | instid1(VALU_DEP_1)
	v_add_f32_e32 v69, 1.0, v66
	v_add_f32_e32 v68, -1.0, v69
	s_delay_alu instid0(VALU_DEP_1) | instskip(NEXT) | instid1(VALU_DEP_1)
	v_sub_f32_e32 v68, v66, v68
	v_dual_add_f32 v68, v29, v68 :: v_dual_add_f32 v67, -1.0, v66
	s_delay_alu instid0(VALU_DEP_1) | instskip(SKIP_1) | instid1(VALU_DEP_2)
	v_add_f32_e32 v70, 1.0, v67
	v_cmp_eq_f32_e32 vcc_lo, 0x7f800000, v31
	v_sub_f32_e32 v66, v66, v70
	s_delay_alu instid0(VALU_DEP_4) | instskip(NEXT) | instid1(VALU_DEP_1)
	v_add_f32_e32 v70, v69, v68
	v_sub_f32_e32 v69, v69, v70
	s_delay_alu instid0(VALU_DEP_3) | instskip(SKIP_1) | instid1(VALU_DEP_2)
	v_add_f32_e32 v29, v29, v66
	v_rcp_f32_e32 v66, v70
	v_add_f32_e32 v68, v68, v69
	s_delay_alu instid0(VALU_DEP_2) | instskip(NEXT) | instid1(VALU_DEP_1)
	v_add_f32_e32 v71, v67, v29
	v_sub_f32_e32 v67, v67, v71
	s_waitcnt_depctr 0xfff
	v_dual_mul_f32 v80, v71, v66 :: v_dual_add_f32 v29, v29, v67
	s_delay_alu instid0(VALU_DEP_1) | instskip(NEXT) | instid1(VALU_DEP_1)
	v_mul_f32_e32 v81, v70, v80
	v_fma_f32 v69, v80, v70, -v81
	s_delay_alu instid0(VALU_DEP_1) | instskip(NEXT) | instid1(VALU_DEP_1)
	v_fmac_f32_e32 v69, v80, v68
	v_add_f32_e32 v82, v81, v69
	s_delay_alu instid0(VALU_DEP_1) | instskip(SKIP_1) | instid1(VALU_DEP_2)
	v_sub_f32_e32 v83, v71, v82
	v_sub_f32_e32 v67, v82, v81
	;; [unrolled: 1-line block ×3, first 2 shown]
	s_delay_alu instid0(VALU_DEP_2) | instskip(NEXT) | instid1(VALU_DEP_2)
	v_sub_f32_e32 v67, v67, v69
	v_sub_f32_e32 v71, v71, v82
	s_delay_alu instid0(VALU_DEP_1) | instskip(NEXT) | instid1(VALU_DEP_1)
	v_add_f32_e32 v29, v29, v71
	v_add_f32_e32 v29, v67, v29
	s_delay_alu instid0(VALU_DEP_1) | instskip(NEXT) | instid1(VALU_DEP_1)
	v_add_f32_e32 v67, v83, v29
	v_mul_f32_e32 v69, v66, v67
	s_delay_alu instid0(VALU_DEP_1) | instskip(NEXT) | instid1(VALU_DEP_1)
	v_dual_sub_f32 v82, v83, v67 :: v_dual_mul_f32 v71, v70, v69
	v_add_f32_e32 v29, v29, v82
	s_delay_alu instid0(VALU_DEP_2) | instskip(NEXT) | instid1(VALU_DEP_1)
	v_fma_f32 v70, v69, v70, -v71
	v_fmac_f32_e32 v70, v69, v68
	s_delay_alu instid0(VALU_DEP_1) | instskip(NEXT) | instid1(VALU_DEP_1)
	v_add_f32_e32 v68, v71, v70
	v_sub_f32_e32 v81, v67, v68
	v_sub_f32_e32 v71, v68, v71
	s_delay_alu instid0(VALU_DEP_2) | instskip(NEXT) | instid1(VALU_DEP_1)
	v_sub_f32_e32 v67, v67, v81
	v_sub_f32_e32 v67, v67, v68
	s_delay_alu instid0(VALU_DEP_1) | instskip(SKIP_1) | instid1(VALU_DEP_1)
	v_dual_sub_f32 v68, v71, v70 :: v_dual_add_f32 v29, v29, v67
	v_add_f32_e32 v67, v80, v69
	v_dual_add_f32 v29, v68, v29 :: v_dual_sub_f32 v68, v67, v80
	s_delay_alu instid0(VALU_DEP_1) | instskip(NEXT) | instid1(VALU_DEP_1)
	v_add_f32_e32 v29, v81, v29
	v_dual_sub_f32 v68, v69, v68 :: v_dual_mul_f32 v29, v66, v29
	s_delay_alu instid0(VALU_DEP_1) | instskip(NEXT) | instid1(VALU_DEP_1)
	v_add_f32_e32 v29, v68, v29
	v_add_f32_e32 v66, v67, v29
	s_delay_alu instid0(VALU_DEP_1) | instskip(NEXT) | instid1(VALU_DEP_1)
	v_mul_f32_e32 v68, v66, v66
	v_fmaak_f32 v69, s6, v68, 0x3ecc95a3
	v_mul_f32_e32 v70, v66, v68
	v_cmp_gt_f32_e64 s6, 0x33800000, |v31|
	s_delay_alu instid0(VALU_DEP_3) | instskip(SKIP_2) | instid1(VALU_DEP_4)
	v_fmaak_f32 v68, v68, v69, 0x3f2aaada
	v_ldexp_f32 v69, v66, 1
	v_sub_f32_e32 v66, v66, v67
	s_or_b32 vcc_lo, vcc_lo, s6
	s_delay_alu instid0(VALU_DEP_3) | instskip(NEXT) | instid1(VALU_DEP_2)
	v_mul_f32_e32 v68, v70, v68
	v_dual_mul_f32 v70, 0x3f317218, v28 :: v_dual_sub_f32 v29, v29, v66
	s_delay_alu instid0(VALU_DEP_2) | instskip(NEXT) | instid1(VALU_DEP_2)
	v_add_f32_e32 v67, v69, v68
	v_ldexp_f32 v29, v29, 1
	s_delay_alu instid0(VALU_DEP_2) | instskip(NEXT) | instid1(VALU_DEP_4)
	v_sub_f32_e32 v66, v67, v69
	v_fma_f32 v69, 0x3f317218, v28, -v70
	s_delay_alu instid0(VALU_DEP_2) | instskip(NEXT) | instid1(VALU_DEP_1)
	v_sub_f32_e32 v66, v68, v66
	v_dual_fmamk_f32 v28, v28, 0xb102e308, v69 :: v_dual_add_f32 v29, v29, v66
	s_delay_alu instid0(VALU_DEP_1) | instskip(NEXT) | instid1(VALU_DEP_2)
	v_add_f32_e32 v66, v70, v28
	v_add_f32_e32 v68, v67, v29
	s_delay_alu instid0(VALU_DEP_2) | instskip(NEXT) | instid1(VALU_DEP_2)
	v_sub_f32_e32 v70, v66, v70
	v_add_f32_e32 v69, v66, v68
	v_sub_f32_e32 v67, v68, v67
	s_delay_alu instid0(VALU_DEP_3) | instskip(NEXT) | instid1(VALU_DEP_3)
	v_sub_f32_e32 v28, v28, v70
	v_sub_f32_e32 v71, v69, v66
	s_delay_alu instid0(VALU_DEP_3) | instskip(NEXT) | instid1(VALU_DEP_2)
	v_sub_f32_e32 v29, v29, v67
	v_sub_f32_e32 v80, v69, v71
	;; [unrolled: 1-line block ×3, first 2 shown]
	s_delay_alu instid0(VALU_DEP_3) | instskip(NEXT) | instid1(VALU_DEP_3)
	v_add_f32_e32 v68, v28, v29
	v_sub_f32_e32 v66, v66, v80
	s_delay_alu instid0(VALU_DEP_1) | instskip(NEXT) | instid1(VALU_DEP_1)
	v_dual_add_f32 v66, v67, v66 :: v_dual_sub_f32 v67, v68, v28
	v_add_f32_e32 v66, v68, v66
	s_delay_alu instid0(VALU_DEP_2) | instskip(SKIP_1) | instid1(VALU_DEP_3)
	v_sub_f32_e32 v68, v68, v67
	v_sub_f32_e32 v29, v29, v67
	v_add_f32_e32 v70, v69, v66
	s_delay_alu instid0(VALU_DEP_1) | instskip(NEXT) | instid1(VALU_DEP_1)
	v_dual_sub_f32 v28, v28, v68 :: v_dual_sub_f32 v67, v70, v69
	v_dual_add_f32 v28, v29, v28 :: v_dual_sub_f32 v29, v66, v67
	s_delay_alu instid0(VALU_DEP_1) | instskip(NEXT) | instid1(VALU_DEP_1)
	v_add_f32_e32 v28, v28, v29
	v_add_f32_e32 v28, v70, v28
	s_delay_alu instid0(VALU_DEP_1) | instskip(NEXT) | instid1(VALU_DEP_1)
	v_cndmask_b32_e32 v28, v28, v31, vcc_lo
	v_add_f32_e32 v28, v30, v28
	s_delay_alu instid0(VALU_DEP_1) | instskip(NEXT) | instid1(VALU_DEP_1)
	v_cvt_f16_f32_e32 v28, v28
	v_mov_b32_e32 v102, v28
	v_cvt_f32_f16_e32 v29, v28
.LBB430_55:
	s_or_b32 exec_lo, exec_lo, s5
	v_cvt_f32_f16_e32 v66, v55
	s_delay_alu instid0(VALU_DEP_2) | instskip(SKIP_2) | instid1(VALU_DEP_3)
	v_max_f32_e32 v30, v29, v29
	v_cmp_u_f16_e32 vcc_lo, v28, v28
	v_cmp_u_f16_e64 s5, v55, v55
	v_min_f32_e32 v31, v30, v66
	s_delay_alu instid0(VALU_DEP_1) | instskip(NEXT) | instid1(VALU_DEP_1)
	v_dual_max_f32 v30, v30, v66 :: v_dual_cndmask_b32 v31, v31, v29
	v_cndmask_b32_e32 v30, v30, v29, vcc_lo
	s_delay_alu instid0(VALU_DEP_2) | instskip(NEXT) | instid1(VALU_DEP_2)
	v_cndmask_b32_e64 v31, v31, v66, s5
	v_cndmask_b32_e64 v30, v30, v66, s5
	s_delay_alu instid0(VALU_DEP_2) | instskip(NEXT) | instid1(VALU_DEP_2)
	v_cmp_class_f32_e64 s6, v31, 0x1f8
	v_cmp_neq_f32_e32 vcc_lo, v31, v30
	s_delay_alu instid0(VALU_DEP_2) | instskip(NEXT) | instid1(SALU_CYCLE_1)
	s_or_b32 s7, vcc_lo, s6
	s_and_saveexec_b32 s6, s7
	s_cbranch_execz .LBB430_57
; %bb.56:
	v_sub_f32_e32 v28, v31, v30
	s_mov_b32 s7, 0x3e9b6dac
	s_delay_alu instid0(VALU_DEP_1) | instskip(NEXT) | instid1(VALU_DEP_1)
	v_mul_f32_e32 v29, 0x3fb8aa3b, v28
	v_fma_f32 v31, 0x3fb8aa3b, v28, -v29
	v_rndne_f32_e32 v67, v29
	s_delay_alu instid0(VALU_DEP_1) | instskip(NEXT) | instid1(VALU_DEP_3)
	v_sub_f32_e32 v29, v29, v67
	v_fmamk_f32 v31, v28, 0x32a5705f, v31
	v_cmp_ngt_f32_e32 vcc_lo, 0xc2ce8ed0, v28
	s_delay_alu instid0(VALU_DEP_2) | instskip(SKIP_1) | instid1(VALU_DEP_2)
	v_add_f32_e32 v29, v29, v31
	v_cvt_i32_f32_e32 v31, v67
	v_exp_f32_e32 v29, v29
	s_waitcnt_depctr 0xfff
	v_ldexp_f32 v29, v29, v31
	s_delay_alu instid0(VALU_DEP_1) | instskip(SKIP_1) | instid1(VALU_DEP_2)
	v_cndmask_b32_e32 v29, 0, v29, vcc_lo
	v_cmp_nlt_f32_e32 vcc_lo, 0x42b17218, v28
	v_cndmask_b32_e32 v31, 0x7f800000, v29, vcc_lo
	s_delay_alu instid0(VALU_DEP_1) | instskip(NEXT) | instid1(VALU_DEP_1)
	v_add_f32_e32 v67, 1.0, v31
	v_cvt_f64_f32_e32 v[28:29], v67
	s_delay_alu instid0(VALU_DEP_1) | instskip(SKIP_1) | instid1(VALU_DEP_1)
	v_frexp_exp_i32_f64_e32 v28, v[28:29]
	v_frexp_mant_f32_e32 v29, v67
	v_cmp_gt_f32_e32 vcc_lo, 0x3f2aaaab, v29
	v_add_f32_e32 v29, -1.0, v67
	s_delay_alu instid0(VALU_DEP_1) | instskip(SKIP_1) | instid1(VALU_DEP_2)
	v_sub_f32_e32 v69, v29, v67
	v_sub_f32_e32 v29, v31, v29
	v_add_f32_e32 v69, 1.0, v69
	s_delay_alu instid0(VALU_DEP_1) | instskip(SKIP_1) | instid1(VALU_DEP_1)
	v_add_f32_e32 v29, v29, v69
	v_subrev_co_ci_u32_e32 v28, vcc_lo, 0, v28, vcc_lo
	v_sub_nc_u32_e32 v68, 0, v28
	v_cvt_f32_i32_e32 v28, v28
	s_delay_alu instid0(VALU_DEP_2) | instskip(SKIP_1) | instid1(VALU_DEP_2)
	v_ldexp_f32 v67, v67, v68
	v_ldexp_f32 v29, v29, v68
	v_add_f32_e32 v70, 1.0, v67
	s_delay_alu instid0(VALU_DEP_1) | instskip(NEXT) | instid1(VALU_DEP_1)
	v_dual_add_f32 v68, -1.0, v67 :: v_dual_add_f32 v69, -1.0, v70
	v_add_f32_e32 v71, 1.0, v68
	s_delay_alu instid0(VALU_DEP_2) | instskip(NEXT) | instid1(VALU_DEP_2)
	v_sub_f32_e32 v69, v67, v69
	v_sub_f32_e32 v67, v67, v71
	s_delay_alu instid0(VALU_DEP_2) | instskip(NEXT) | instid1(VALU_DEP_1)
	v_add_f32_e32 v69, v29, v69
	v_add_f32_e32 v71, v70, v69
	s_delay_alu instid0(VALU_DEP_3) | instskip(NEXT) | instid1(VALU_DEP_2)
	v_add_f32_e32 v29, v29, v67
	v_rcp_f32_e32 v67, v71
	s_delay_alu instid0(VALU_DEP_1) | instskip(SKIP_1) | instid1(VALU_DEP_1)
	v_add_f32_e32 v80, v68, v29
	v_sub_f32_e32 v70, v70, v71
	v_dual_sub_f32 v68, v68, v80 :: v_dual_add_f32 v69, v69, v70
	s_waitcnt_depctr 0xfff
	v_mul_f32_e32 v81, v80, v67
	s_delay_alu instid0(VALU_DEP_1) | instskip(NEXT) | instid1(VALU_DEP_1)
	v_dual_add_f32 v29, v29, v68 :: v_dual_mul_f32 v82, v71, v81
	v_fma_f32 v70, v81, v71, -v82
	s_delay_alu instid0(VALU_DEP_1) | instskip(NEXT) | instid1(VALU_DEP_1)
	v_fmac_f32_e32 v70, v81, v69
	v_add_f32_e32 v83, v82, v70
	s_delay_alu instid0(VALU_DEP_1) | instskip(SKIP_2) | instid1(VALU_DEP_3)
	v_sub_f32_e32 v84, v80, v83
	v_sub_f32_e32 v68, v83, v82
	v_cmp_eq_f32_e32 vcc_lo, 0x7f800000, v31
	v_sub_f32_e32 v80, v80, v84
	s_delay_alu instid0(VALU_DEP_3) | instskip(NEXT) | instid1(VALU_DEP_2)
	v_sub_f32_e32 v68, v68, v70
	v_sub_f32_e32 v80, v80, v83
	s_delay_alu instid0(VALU_DEP_1) | instskip(NEXT) | instid1(VALU_DEP_1)
	v_add_f32_e32 v29, v29, v80
	v_add_f32_e32 v29, v68, v29
	s_delay_alu instid0(VALU_DEP_1) | instskip(NEXT) | instid1(VALU_DEP_1)
	v_add_f32_e32 v68, v84, v29
	v_mul_f32_e32 v70, v67, v68
	s_delay_alu instid0(VALU_DEP_1) | instskip(NEXT) | instid1(VALU_DEP_1)
	v_dual_sub_f32 v83, v84, v68 :: v_dual_mul_f32 v80, v71, v70
	v_add_f32_e32 v29, v29, v83
	s_delay_alu instid0(VALU_DEP_2) | instskip(NEXT) | instid1(VALU_DEP_1)
	v_fma_f32 v71, v70, v71, -v80
	v_fmac_f32_e32 v71, v70, v69
	s_delay_alu instid0(VALU_DEP_1) | instskip(NEXT) | instid1(VALU_DEP_1)
	v_add_f32_e32 v69, v80, v71
	v_sub_f32_e32 v82, v68, v69
	v_sub_f32_e32 v80, v69, v80
	s_delay_alu instid0(VALU_DEP_2) | instskip(NEXT) | instid1(VALU_DEP_1)
	v_sub_f32_e32 v68, v68, v82
	v_sub_f32_e32 v68, v68, v69
	s_delay_alu instid0(VALU_DEP_3) | instskip(NEXT) | instid1(VALU_DEP_2)
	v_sub_f32_e32 v69, v80, v71
	v_add_f32_e32 v29, v29, v68
	v_add_f32_e32 v68, v81, v70
	s_delay_alu instid0(VALU_DEP_2) | instskip(NEXT) | instid1(VALU_DEP_2)
	v_add_f32_e32 v29, v69, v29
	v_sub_f32_e32 v69, v68, v81
	s_delay_alu instid0(VALU_DEP_2) | instskip(NEXT) | instid1(VALU_DEP_2)
	v_add_f32_e32 v29, v82, v29
	v_sub_f32_e32 v69, v70, v69
	s_delay_alu instid0(VALU_DEP_2) | instskip(NEXT) | instid1(VALU_DEP_1)
	v_mul_f32_e32 v29, v67, v29
	v_add_f32_e32 v29, v69, v29
	s_delay_alu instid0(VALU_DEP_1) | instskip(NEXT) | instid1(VALU_DEP_1)
	v_add_f32_e32 v67, v68, v29
	v_mul_f32_e32 v69, v67, v67
	s_delay_alu instid0(VALU_DEP_1) | instskip(SKIP_2) | instid1(VALU_DEP_3)
	v_fmaak_f32 v70, s7, v69, 0x3ecc95a3
	v_mul_f32_e32 v71, v67, v69
	v_cmp_gt_f32_e64 s7, 0x33800000, |v31|
	v_fmaak_f32 v69, v69, v70, 0x3f2aaada
	v_ldexp_f32 v70, v67, 1
	v_sub_f32_e32 v67, v67, v68
	s_delay_alu instid0(VALU_DEP_4) | instskip(NEXT) | instid1(VALU_DEP_3)
	s_or_b32 vcc_lo, vcc_lo, s7
	v_mul_f32_e32 v69, v71, v69
	v_mul_f32_e32 v71, 0x3f317218, v28
	s_delay_alu instid0(VALU_DEP_2) | instskip(NEXT) | instid1(VALU_DEP_1)
	v_dual_sub_f32 v29, v29, v67 :: v_dual_add_f32 v68, v70, v69
	v_ldexp_f32 v29, v29, 1
	s_delay_alu instid0(VALU_DEP_2) | instskip(NEXT) | instid1(VALU_DEP_4)
	v_sub_f32_e32 v67, v68, v70
	v_fma_f32 v70, 0x3f317218, v28, -v71
	s_delay_alu instid0(VALU_DEP_1) | instskip(NEXT) | instid1(VALU_DEP_1)
	v_dual_sub_f32 v67, v69, v67 :: v_dual_fmamk_f32 v28, v28, 0xb102e308, v70
	v_add_f32_e32 v29, v29, v67
	s_delay_alu instid0(VALU_DEP_2) | instskip(NEXT) | instid1(VALU_DEP_2)
	v_add_f32_e32 v67, v71, v28
	v_add_f32_e32 v69, v68, v29
	s_delay_alu instid0(VALU_DEP_2) | instskip(NEXT) | instid1(VALU_DEP_2)
	v_sub_f32_e32 v71, v67, v71
	v_add_f32_e32 v70, v67, v69
	v_sub_f32_e32 v68, v69, v68
	s_delay_alu instid0(VALU_DEP_3) | instskip(NEXT) | instid1(VALU_DEP_2)
	v_sub_f32_e32 v28, v28, v71
	v_dual_sub_f32 v80, v70, v67 :: v_dual_sub_f32 v29, v29, v68
	s_delay_alu instid0(VALU_DEP_1) | instskip(NEXT) | instid1(VALU_DEP_2)
	v_sub_f32_e32 v81, v70, v80
	v_dual_sub_f32 v68, v69, v80 :: v_dual_add_f32 v69, v28, v29
	s_delay_alu instid0(VALU_DEP_2) | instskip(NEXT) | instid1(VALU_DEP_1)
	v_sub_f32_e32 v67, v67, v81
	v_dual_add_f32 v67, v68, v67 :: v_dual_sub_f32 v68, v69, v28
	s_delay_alu instid0(VALU_DEP_1) | instskip(NEXT) | instid1(VALU_DEP_2)
	v_add_f32_e32 v67, v69, v67
	v_sub_f32_e32 v69, v69, v68
	v_sub_f32_e32 v29, v29, v68
	s_delay_alu instid0(VALU_DEP_2) | instskip(NEXT) | instid1(VALU_DEP_1)
	v_dual_add_f32 v71, v70, v67 :: v_dual_sub_f32 v28, v28, v69
	v_sub_f32_e32 v68, v71, v70
	s_delay_alu instid0(VALU_DEP_2) | instskip(NEXT) | instid1(VALU_DEP_2)
	v_add_f32_e32 v28, v29, v28
	v_sub_f32_e32 v29, v67, v68
	s_delay_alu instid0(VALU_DEP_1) | instskip(NEXT) | instid1(VALU_DEP_1)
	v_add_f32_e32 v28, v28, v29
	v_add_f32_e32 v28, v71, v28
	s_delay_alu instid0(VALU_DEP_1) | instskip(NEXT) | instid1(VALU_DEP_1)
	v_cndmask_b32_e32 v28, v28, v31, vcc_lo
	v_add_f32_e32 v28, v30, v28
	s_delay_alu instid0(VALU_DEP_1) | instskip(NEXT) | instid1(VALU_DEP_1)
	v_cvt_f16_f32_e32 v28, v28
	v_cvt_f32_f16_e32 v29, v28
	v_mov_b32_e32 v102, v28
.LBB430_57:
	s_or_b32 exec_lo, exec_lo, s6
	v_cvt_f32_f16_e32 v67, v26
	s_delay_alu instid0(VALU_DEP_3) | instskip(SKIP_2) | instid1(VALU_DEP_3)
	v_max_f32_e32 v30, v29, v29
	v_cmp_u_f16_e32 vcc_lo, v28, v28
	v_cmp_u_f16_e64 s6, v26, v26
	v_min_f32_e32 v31, v30, v67
	s_delay_alu instid0(VALU_DEP_1) | instskip(NEXT) | instid1(VALU_DEP_1)
	v_dual_max_f32 v30, v30, v67 :: v_dual_cndmask_b32 v31, v31, v29
	v_cndmask_b32_e32 v30, v30, v29, vcc_lo
	s_delay_alu instid0(VALU_DEP_2) | instskip(NEXT) | instid1(VALU_DEP_2)
	v_cndmask_b32_e64 v31, v31, v67, s6
	v_cndmask_b32_e64 v30, v30, v67, s6
	s_delay_alu instid0(VALU_DEP_2) | instskip(NEXT) | instid1(VALU_DEP_2)
	v_cmp_class_f32_e64 s7, v31, 0x1f8
	v_cmp_neq_f32_e32 vcc_lo, v31, v30
	s_delay_alu instid0(VALU_DEP_2) | instskip(NEXT) | instid1(SALU_CYCLE_1)
	s_or_b32 s8, vcc_lo, s7
	s_and_saveexec_b32 s7, s8
	s_cbranch_execz .LBB430_59
; %bb.58:
	v_sub_f32_e32 v28, v31, v30
	s_mov_b32 s8, 0x3e9b6dac
	s_delay_alu instid0(VALU_DEP_1) | instskip(NEXT) | instid1(VALU_DEP_1)
	v_mul_f32_e32 v29, 0x3fb8aa3b, v28
	v_fma_f32 v31, 0x3fb8aa3b, v28, -v29
	v_rndne_f32_e32 v68, v29
	s_delay_alu instid0(VALU_DEP_1) | instskip(NEXT) | instid1(VALU_DEP_3)
	v_sub_f32_e32 v29, v29, v68
	v_fmamk_f32 v31, v28, 0x32a5705f, v31
	v_cmp_ngt_f32_e32 vcc_lo, 0xc2ce8ed0, v28
	s_delay_alu instid0(VALU_DEP_2) | instskip(SKIP_1) | instid1(VALU_DEP_2)
	v_add_f32_e32 v29, v29, v31
	v_cvt_i32_f32_e32 v31, v68
	v_exp_f32_e32 v29, v29
	s_waitcnt_depctr 0xfff
	v_ldexp_f32 v29, v29, v31
	s_delay_alu instid0(VALU_DEP_1) | instskip(SKIP_1) | instid1(VALU_DEP_2)
	v_cndmask_b32_e32 v29, 0, v29, vcc_lo
	v_cmp_nlt_f32_e32 vcc_lo, 0x42b17218, v28
	v_cndmask_b32_e32 v31, 0x7f800000, v29, vcc_lo
	s_delay_alu instid0(VALU_DEP_1) | instskip(NEXT) | instid1(VALU_DEP_1)
	v_add_f32_e32 v68, 1.0, v31
	v_cvt_f64_f32_e32 v[28:29], v68
	s_delay_alu instid0(VALU_DEP_1) | instskip(SKIP_1) | instid1(VALU_DEP_1)
	v_frexp_exp_i32_f64_e32 v28, v[28:29]
	v_frexp_mant_f32_e32 v29, v68
	v_cmp_gt_f32_e32 vcc_lo, 0x3f2aaaab, v29
	v_add_f32_e32 v29, -1.0, v68
	s_delay_alu instid0(VALU_DEP_1) | instskip(NEXT) | instid1(VALU_DEP_1)
	v_sub_f32_e32 v70, v29, v68
	v_add_f32_e32 v70, 1.0, v70
	v_subrev_co_ci_u32_e32 v28, vcc_lo, 0, v28, vcc_lo
	s_delay_alu instid0(VALU_DEP_1) | instskip(SKIP_1) | instid1(VALU_DEP_2)
	v_sub_nc_u32_e32 v69, 0, v28
	v_cvt_f32_i32_e32 v28, v28
	v_ldexp_f32 v68, v68, v69
	v_sub_f32_e32 v29, v31, v29
	s_delay_alu instid0(VALU_DEP_1) | instskip(NEXT) | instid1(VALU_DEP_1)
	v_add_f32_e32 v29, v29, v70
	v_ldexp_f32 v29, v29, v69
	s_delay_alu instid0(VALU_DEP_4) | instskip(NEXT) | instid1(VALU_DEP_1)
	v_add_f32_e32 v71, 1.0, v68
	v_add_f32_e32 v70, -1.0, v71
	s_delay_alu instid0(VALU_DEP_1) | instskip(SKIP_1) | instid1(VALU_DEP_2)
	v_sub_f32_e32 v70, v68, v70
	v_cmp_eq_f32_e32 vcc_lo, 0x7f800000, v31
	v_dual_add_f32 v70, v29, v70 :: v_dual_add_f32 v69, -1.0, v68
	s_delay_alu instid0(VALU_DEP_1) | instskip(NEXT) | instid1(VALU_DEP_1)
	v_add_f32_e32 v80, 1.0, v69
	v_sub_f32_e32 v68, v68, v80
	s_delay_alu instid0(VALU_DEP_1) | instskip(NEXT) | instid1(VALU_DEP_1)
	v_dual_add_f32 v80, v71, v70 :: v_dual_add_f32 v29, v29, v68
	v_rcp_f32_e32 v68, v80
	v_sub_f32_e32 v71, v71, v80
	s_delay_alu instid0(VALU_DEP_1) | instskip(SKIP_3) | instid1(VALU_DEP_2)
	v_dual_add_f32 v70, v70, v71 :: v_dual_add_f32 v81, v69, v29
	s_waitcnt_depctr 0xfff
	v_mul_f32_e32 v82, v81, v68
	v_sub_f32_e32 v69, v69, v81
	v_mul_f32_e32 v83, v80, v82
	s_delay_alu instid0(VALU_DEP_1) | instskip(NEXT) | instid1(VALU_DEP_1)
	v_fma_f32 v71, v82, v80, -v83
	v_fmac_f32_e32 v71, v82, v70
	s_delay_alu instid0(VALU_DEP_1) | instskip(NEXT) | instid1(VALU_DEP_1)
	v_dual_add_f32 v84, v83, v71 :: v_dual_add_f32 v29, v29, v69
	v_sub_f32_e32 v85, v81, v84
	v_sub_f32_e32 v69, v84, v83
	s_delay_alu instid0(VALU_DEP_2) | instskip(NEXT) | instid1(VALU_DEP_2)
	v_sub_f32_e32 v81, v81, v85
	v_sub_f32_e32 v69, v69, v71
	s_delay_alu instid0(VALU_DEP_2) | instskip(NEXT) | instid1(VALU_DEP_1)
	v_sub_f32_e32 v81, v81, v84
	v_add_f32_e32 v29, v29, v81
	s_delay_alu instid0(VALU_DEP_1) | instskip(NEXT) | instid1(VALU_DEP_1)
	v_add_f32_e32 v29, v69, v29
	v_add_f32_e32 v69, v85, v29
	s_delay_alu instid0(VALU_DEP_1) | instskip(NEXT) | instid1(VALU_DEP_1)
	v_mul_f32_e32 v71, v68, v69
	v_dual_sub_f32 v84, v85, v69 :: v_dual_mul_f32 v81, v80, v71
	s_delay_alu instid0(VALU_DEP_1) | instskip(NEXT) | instid1(VALU_DEP_2)
	v_add_f32_e32 v29, v29, v84
	v_fma_f32 v80, v71, v80, -v81
	s_delay_alu instid0(VALU_DEP_1) | instskip(NEXT) | instid1(VALU_DEP_1)
	v_fmac_f32_e32 v80, v71, v70
	v_add_f32_e32 v70, v81, v80
	s_delay_alu instid0(VALU_DEP_1) | instskip(SKIP_1) | instid1(VALU_DEP_2)
	v_sub_f32_e32 v83, v69, v70
	v_sub_f32_e32 v81, v70, v81
	v_sub_f32_e32 v69, v69, v83
	s_delay_alu instid0(VALU_DEP_1) | instskip(NEXT) | instid1(VALU_DEP_3)
	v_sub_f32_e32 v69, v69, v70
	v_sub_f32_e32 v70, v81, v80
	s_delay_alu instid0(VALU_DEP_2) | instskip(SKIP_1) | instid1(VALU_DEP_1)
	v_add_f32_e32 v29, v29, v69
	v_add_f32_e32 v69, v82, v71
	v_dual_add_f32 v29, v70, v29 :: v_dual_sub_f32 v70, v69, v82
	s_delay_alu instid0(VALU_DEP_1) | instskip(NEXT) | instid1(VALU_DEP_1)
	v_add_f32_e32 v29, v83, v29
	v_dual_sub_f32 v70, v71, v70 :: v_dual_mul_f32 v29, v68, v29
	s_delay_alu instid0(VALU_DEP_1) | instskip(NEXT) | instid1(VALU_DEP_1)
	v_add_f32_e32 v29, v70, v29
	v_add_f32_e32 v68, v69, v29
	s_delay_alu instid0(VALU_DEP_1) | instskip(NEXT) | instid1(VALU_DEP_1)
	v_mul_f32_e32 v70, v68, v68
	v_fmaak_f32 v71, s8, v70, 0x3ecc95a3
	v_mul_f32_e32 v80, v68, v70
	v_cmp_gt_f32_e64 s8, 0x33800000, |v31|
	s_delay_alu instid0(VALU_DEP_3) | instskip(SKIP_2) | instid1(VALU_DEP_4)
	v_fmaak_f32 v70, v70, v71, 0x3f2aaada
	v_ldexp_f32 v71, v68, 1
	v_sub_f32_e32 v68, v68, v69
	s_or_b32 vcc_lo, vcc_lo, s8
	s_delay_alu instid0(VALU_DEP_3) | instskip(SKIP_1) | instid1(VALU_DEP_3)
	v_mul_f32_e32 v70, v80, v70
	v_mul_f32_e32 v80, 0x3f317218, v28
	v_sub_f32_e32 v29, v29, v68
	s_delay_alu instid0(VALU_DEP_3) | instskip(NEXT) | instid1(VALU_DEP_2)
	v_add_f32_e32 v69, v71, v70
	v_ldexp_f32 v29, v29, 1
	s_delay_alu instid0(VALU_DEP_2) | instskip(SKIP_1) | instid1(VALU_DEP_2)
	v_sub_f32_e32 v68, v69, v71
	v_fma_f32 v71, 0x3f317218, v28, -v80
	v_sub_f32_e32 v68, v70, v68
	s_delay_alu instid0(VALU_DEP_1) | instskip(NEXT) | instid1(VALU_DEP_1)
	v_dual_fmamk_f32 v28, v28, 0xb102e308, v71 :: v_dual_add_f32 v29, v29, v68
	v_add_f32_e32 v68, v80, v28
	s_delay_alu instid0(VALU_DEP_2) | instskip(NEXT) | instid1(VALU_DEP_2)
	v_add_f32_e32 v70, v69, v29
	v_sub_f32_e32 v80, v68, v80
	s_delay_alu instid0(VALU_DEP_2) | instskip(NEXT) | instid1(VALU_DEP_2)
	v_add_f32_e32 v71, v68, v70
	v_dual_sub_f32 v69, v70, v69 :: v_dual_sub_f32 v28, v28, v80
	s_delay_alu instid0(VALU_DEP_2) | instskip(NEXT) | instid1(VALU_DEP_2)
	v_sub_f32_e32 v81, v71, v68
	v_sub_f32_e32 v29, v29, v69
	s_delay_alu instid0(VALU_DEP_2) | instskip(SKIP_1) | instid1(VALU_DEP_3)
	v_sub_f32_e32 v82, v71, v81
	v_sub_f32_e32 v69, v70, v81
	v_add_f32_e32 v70, v28, v29
	s_delay_alu instid0(VALU_DEP_3) | instskip(NEXT) | instid1(VALU_DEP_1)
	v_sub_f32_e32 v68, v68, v82
	v_add_f32_e32 v68, v69, v68
	s_delay_alu instid0(VALU_DEP_3) | instskip(NEXT) | instid1(VALU_DEP_2)
	v_sub_f32_e32 v69, v70, v28
	v_add_f32_e32 v68, v70, v68
	s_delay_alu instid0(VALU_DEP_2) | instskip(NEXT) | instid1(VALU_DEP_2)
	v_sub_f32_e32 v70, v70, v69
	v_dual_sub_f32 v29, v29, v69 :: v_dual_add_f32 v80, v71, v68
	s_delay_alu instid0(VALU_DEP_2) | instskip(NEXT) | instid1(VALU_DEP_1)
	v_sub_f32_e32 v28, v28, v70
	v_dual_sub_f32 v69, v80, v71 :: v_dual_add_f32 v28, v29, v28
	s_delay_alu instid0(VALU_DEP_1) | instskip(NEXT) | instid1(VALU_DEP_1)
	v_sub_f32_e32 v29, v68, v69
	v_add_f32_e32 v28, v28, v29
	s_delay_alu instid0(VALU_DEP_1) | instskip(NEXT) | instid1(VALU_DEP_1)
	v_add_f32_e32 v28, v80, v28
	v_cndmask_b32_e32 v28, v28, v31, vcc_lo
	s_delay_alu instid0(VALU_DEP_1) | instskip(NEXT) | instid1(VALU_DEP_1)
	v_add_f32_e32 v28, v30, v28
	v_cvt_f16_f32_e32 v28, v28
	s_delay_alu instid0(VALU_DEP_1)
	v_mov_b32_e32 v102, v28
	v_cvt_f32_f16_e32 v29, v28
.LBB430_59:
	s_or_b32 exec_lo, exec_lo, s7
	v_cvt_f32_f16_e32 v68, v54
	s_delay_alu instid0(VALU_DEP_2) | instskip(SKIP_2) | instid1(VALU_DEP_3)
	v_max_f32_e32 v30, v29, v29
	v_cmp_u_f16_e32 vcc_lo, v28, v28
	v_cmp_u_f16_e64 s7, v54, v54
	v_min_f32_e32 v31, v30, v68
	s_delay_alu instid0(VALU_DEP_1) | instskip(NEXT) | instid1(VALU_DEP_1)
	v_dual_max_f32 v30, v30, v68 :: v_dual_cndmask_b32 v31, v31, v29
	v_cndmask_b32_e32 v30, v30, v29, vcc_lo
	s_delay_alu instid0(VALU_DEP_2) | instskip(NEXT) | instid1(VALU_DEP_2)
	v_cndmask_b32_e64 v31, v31, v68, s7
	v_cndmask_b32_e64 v30, v30, v68, s7
	s_delay_alu instid0(VALU_DEP_2) | instskip(NEXT) | instid1(VALU_DEP_2)
	v_cmp_class_f32_e64 s8, v31, 0x1f8
	v_cmp_neq_f32_e32 vcc_lo, v31, v30
	s_delay_alu instid0(VALU_DEP_2) | instskip(NEXT) | instid1(SALU_CYCLE_1)
	s_or_b32 s9, vcc_lo, s8
	s_and_saveexec_b32 s8, s9
	s_cbranch_execz .LBB430_61
; %bb.60:
	v_sub_f32_e32 v28, v31, v30
	s_mov_b32 s9, 0x3e9b6dac
	s_delay_alu instid0(VALU_DEP_1) | instskip(NEXT) | instid1(VALU_DEP_1)
	v_mul_f32_e32 v29, 0x3fb8aa3b, v28
	v_fma_f32 v31, 0x3fb8aa3b, v28, -v29
	v_rndne_f32_e32 v69, v29
	s_delay_alu instid0(VALU_DEP_1) | instskip(NEXT) | instid1(VALU_DEP_3)
	v_sub_f32_e32 v29, v29, v69
	v_fmamk_f32 v31, v28, 0x32a5705f, v31
	v_cmp_ngt_f32_e32 vcc_lo, 0xc2ce8ed0, v28
	s_delay_alu instid0(VALU_DEP_2) | instskip(SKIP_1) | instid1(VALU_DEP_2)
	v_add_f32_e32 v29, v29, v31
	v_cvt_i32_f32_e32 v31, v69
	v_exp_f32_e32 v29, v29
	s_waitcnt_depctr 0xfff
	v_ldexp_f32 v29, v29, v31
	s_delay_alu instid0(VALU_DEP_1) | instskip(SKIP_1) | instid1(VALU_DEP_2)
	v_cndmask_b32_e32 v29, 0, v29, vcc_lo
	v_cmp_nlt_f32_e32 vcc_lo, 0x42b17218, v28
	v_cndmask_b32_e32 v31, 0x7f800000, v29, vcc_lo
	s_delay_alu instid0(VALU_DEP_1) | instskip(NEXT) | instid1(VALU_DEP_1)
	v_add_f32_e32 v69, 1.0, v31
	v_cvt_f64_f32_e32 v[28:29], v69
	s_delay_alu instid0(VALU_DEP_1) | instskip(SKIP_1) | instid1(VALU_DEP_1)
	v_frexp_exp_i32_f64_e32 v28, v[28:29]
	v_frexp_mant_f32_e32 v29, v69
	v_cmp_gt_f32_e32 vcc_lo, 0x3f2aaaab, v29
	v_add_f32_e32 v29, -1.0, v69
	s_delay_alu instid0(VALU_DEP_1) | instskip(SKIP_1) | instid1(VALU_DEP_2)
	v_sub_f32_e32 v71, v29, v69
	v_sub_f32_e32 v29, v31, v29
	v_add_f32_e32 v71, 1.0, v71
	s_delay_alu instid0(VALU_DEP_1) | instskip(SKIP_1) | instid1(VALU_DEP_1)
	v_add_f32_e32 v29, v29, v71
	v_subrev_co_ci_u32_e32 v28, vcc_lo, 0, v28, vcc_lo
	v_sub_nc_u32_e32 v70, 0, v28
	v_cvt_f32_i32_e32 v28, v28
	s_delay_alu instid0(VALU_DEP_2) | instskip(SKIP_1) | instid1(VALU_DEP_2)
	v_ldexp_f32 v69, v69, v70
	v_ldexp_f32 v29, v29, v70
	v_add_f32_e32 v80, 1.0, v69
	s_delay_alu instid0(VALU_DEP_1) | instskip(NEXT) | instid1(VALU_DEP_1)
	v_dual_add_f32 v70, -1.0, v69 :: v_dual_add_f32 v71, -1.0, v80
	v_add_f32_e32 v81, 1.0, v70
	s_delay_alu instid0(VALU_DEP_2) | instskip(NEXT) | instid1(VALU_DEP_2)
	v_sub_f32_e32 v71, v69, v71
	v_sub_f32_e32 v69, v69, v81
	s_delay_alu instid0(VALU_DEP_2) | instskip(NEXT) | instid1(VALU_DEP_2)
	v_add_f32_e32 v71, v29, v71
	v_add_f32_e32 v29, v29, v69
	s_delay_alu instid0(VALU_DEP_1) | instskip(NEXT) | instid1(VALU_DEP_1)
	v_dual_add_f32 v81, v80, v71 :: v_dual_add_f32 v82, v70, v29
	v_rcp_f32_e32 v69, v81
	v_sub_f32_e32 v80, v80, v81
	s_delay_alu instid0(VALU_DEP_1) | instskip(SKIP_3) | instid1(VALU_DEP_2)
	v_dual_sub_f32 v70, v70, v82 :: v_dual_add_f32 v71, v71, v80
	s_waitcnt_depctr 0xfff
	v_mul_f32_e32 v83, v82, v69
	v_add_f32_e32 v29, v29, v70
	v_mul_f32_e32 v84, v81, v83
	s_delay_alu instid0(VALU_DEP_1) | instskip(NEXT) | instid1(VALU_DEP_1)
	v_fma_f32 v80, v83, v81, -v84
	v_fmac_f32_e32 v80, v83, v71
	v_cmp_eq_f32_e32 vcc_lo, 0x7f800000, v31
	s_delay_alu instid0(VALU_DEP_2) | instskip(NEXT) | instid1(VALU_DEP_1)
	v_add_f32_e32 v85, v84, v80
	v_sub_f32_e32 v86, v82, v85
	v_sub_f32_e32 v70, v85, v84
	s_delay_alu instid0(VALU_DEP_2) | instskip(NEXT) | instid1(VALU_DEP_2)
	v_sub_f32_e32 v82, v82, v86
	v_sub_f32_e32 v70, v70, v80
	s_delay_alu instid0(VALU_DEP_2) | instskip(NEXT) | instid1(VALU_DEP_1)
	v_sub_f32_e32 v82, v82, v85
	v_add_f32_e32 v29, v29, v82
	s_delay_alu instid0(VALU_DEP_1) | instskip(NEXT) | instid1(VALU_DEP_1)
	v_add_f32_e32 v29, v70, v29
	v_add_f32_e32 v70, v86, v29
	s_delay_alu instid0(VALU_DEP_1) | instskip(NEXT) | instid1(VALU_DEP_1)
	v_mul_f32_e32 v80, v69, v70
	v_dual_sub_f32 v85, v86, v70 :: v_dual_mul_f32 v82, v81, v80
	s_delay_alu instid0(VALU_DEP_1) | instskip(NEXT) | instid1(VALU_DEP_2)
	v_add_f32_e32 v29, v29, v85
	v_fma_f32 v81, v80, v81, -v82
	s_delay_alu instid0(VALU_DEP_1) | instskip(NEXT) | instid1(VALU_DEP_1)
	v_fmac_f32_e32 v81, v80, v71
	v_add_f32_e32 v71, v82, v81
	s_delay_alu instid0(VALU_DEP_1) | instskip(SKIP_1) | instid1(VALU_DEP_2)
	v_sub_f32_e32 v84, v70, v71
	v_sub_f32_e32 v82, v71, v82
	;; [unrolled: 1-line block ×3, first 2 shown]
	s_delay_alu instid0(VALU_DEP_1) | instskip(NEXT) | instid1(VALU_DEP_3)
	v_sub_f32_e32 v70, v70, v71
	v_sub_f32_e32 v71, v82, v81
	s_delay_alu instid0(VALU_DEP_2) | instskip(NEXT) | instid1(VALU_DEP_1)
	v_dual_add_f32 v29, v29, v70 :: v_dual_add_f32 v70, v83, v80
	v_add_f32_e32 v29, v71, v29
	s_delay_alu instid0(VALU_DEP_2) | instskip(NEXT) | instid1(VALU_DEP_2)
	v_sub_f32_e32 v71, v70, v83
	v_add_f32_e32 v29, v84, v29
	s_delay_alu instid0(VALU_DEP_2) | instskip(NEXT) | instid1(VALU_DEP_2)
	v_sub_f32_e32 v71, v80, v71
	v_mul_f32_e32 v29, v69, v29
	s_delay_alu instid0(VALU_DEP_1) | instskip(NEXT) | instid1(VALU_DEP_1)
	v_add_f32_e32 v29, v71, v29
	v_add_f32_e32 v69, v70, v29
	s_delay_alu instid0(VALU_DEP_1) | instskip(NEXT) | instid1(VALU_DEP_1)
	v_mul_f32_e32 v71, v69, v69
	v_fmaak_f32 v80, s9, v71, 0x3ecc95a3
	v_mul_f32_e32 v81, v69, v71
	v_cmp_gt_f32_e64 s9, 0x33800000, |v31|
	s_delay_alu instid0(VALU_DEP_3) | instskip(SKIP_2) | instid1(VALU_DEP_4)
	v_fmaak_f32 v71, v71, v80, 0x3f2aaada
	v_ldexp_f32 v80, v69, 1
	v_sub_f32_e32 v69, v69, v70
	s_or_b32 vcc_lo, vcc_lo, s9
	s_delay_alu instid0(VALU_DEP_3) | instskip(SKIP_1) | instid1(VALU_DEP_2)
	v_mul_f32_e32 v71, v81, v71
	v_mul_f32_e32 v81, 0x3f317218, v28
	v_dual_sub_f32 v29, v29, v69 :: v_dual_add_f32 v70, v80, v71
	s_delay_alu instid0(VALU_DEP_1) | instskip(NEXT) | instid1(VALU_DEP_2)
	v_ldexp_f32 v29, v29, 1
	v_sub_f32_e32 v69, v70, v80
	s_delay_alu instid0(VALU_DEP_4) | instskip(NEXT) | instid1(VALU_DEP_1)
	v_fma_f32 v80, 0x3f317218, v28, -v81
	v_dual_sub_f32 v69, v71, v69 :: v_dual_fmamk_f32 v28, v28, 0xb102e308, v80
	s_delay_alu instid0(VALU_DEP_1) | instskip(NEXT) | instid1(VALU_DEP_2)
	v_add_f32_e32 v29, v29, v69
	v_add_f32_e32 v69, v81, v28
	s_delay_alu instid0(VALU_DEP_2) | instskip(NEXT) | instid1(VALU_DEP_2)
	v_add_f32_e32 v71, v70, v29
	v_sub_f32_e32 v81, v69, v81
	s_delay_alu instid0(VALU_DEP_2) | instskip(SKIP_1) | instid1(VALU_DEP_3)
	v_add_f32_e32 v80, v69, v71
	v_sub_f32_e32 v70, v71, v70
	v_sub_f32_e32 v28, v28, v81
	s_delay_alu instid0(VALU_DEP_2) | instskip(NEXT) | instid1(VALU_DEP_1)
	v_dual_sub_f32 v82, v80, v69 :: v_dual_sub_f32 v29, v29, v70
	v_sub_f32_e32 v83, v80, v82
	s_delay_alu instid0(VALU_DEP_2) | instskip(NEXT) | instid1(VALU_DEP_2)
	v_dual_sub_f32 v70, v71, v82 :: v_dual_add_f32 v71, v28, v29
	v_sub_f32_e32 v69, v69, v83
	s_delay_alu instid0(VALU_DEP_1) | instskip(NEXT) | instid1(VALU_DEP_1)
	v_dual_add_f32 v69, v70, v69 :: v_dual_sub_f32 v70, v71, v28
	v_add_f32_e32 v69, v71, v69
	s_delay_alu instid0(VALU_DEP_2) | instskip(SKIP_1) | instid1(VALU_DEP_3)
	v_sub_f32_e32 v71, v71, v70
	v_sub_f32_e32 v29, v29, v70
	v_add_f32_e32 v81, v80, v69
	s_delay_alu instid0(VALU_DEP_3) | instskip(NEXT) | instid1(VALU_DEP_2)
	v_sub_f32_e32 v28, v28, v71
	v_sub_f32_e32 v70, v81, v80
	s_delay_alu instid0(VALU_DEP_2) | instskip(NEXT) | instid1(VALU_DEP_2)
	v_add_f32_e32 v28, v29, v28
	v_sub_f32_e32 v29, v69, v70
	s_delay_alu instid0(VALU_DEP_1) | instskip(NEXT) | instid1(VALU_DEP_1)
	v_add_f32_e32 v28, v28, v29
	v_add_f32_e32 v28, v81, v28
	s_delay_alu instid0(VALU_DEP_1) | instskip(NEXT) | instid1(VALU_DEP_1)
	v_cndmask_b32_e32 v28, v28, v31, vcc_lo
	v_add_f32_e32 v28, v30, v28
	s_delay_alu instid0(VALU_DEP_1) | instskip(NEXT) | instid1(VALU_DEP_1)
	v_cvt_f16_f32_e32 v28, v28
	v_mov_b32_e32 v102, v28
	v_cvt_f32_f16_e32 v29, v28
.LBB430_61:
	s_or_b32 exec_lo, exec_lo, s8
	v_cvt_f32_f16_e32 v69, v27
	s_delay_alu instid0(VALU_DEP_2) | instskip(SKIP_2) | instid1(VALU_DEP_3)
	v_max_f32_e32 v30, v29, v29
	v_cmp_u_f16_e32 vcc_lo, v28, v28
	v_cmp_u_f16_e64 s8, v27, v27
	v_min_f32_e32 v31, v30, v69
	v_max_f32_e32 v30, v30, v69
	s_delay_alu instid0(VALU_DEP_2) | instskip(NEXT) | instid1(VALU_DEP_2)
	v_cndmask_b32_e32 v31, v31, v29, vcc_lo
	v_cndmask_b32_e32 v30, v30, v29, vcc_lo
	s_delay_alu instid0(VALU_DEP_2) | instskip(NEXT) | instid1(VALU_DEP_2)
	v_cndmask_b32_e64 v31, v31, v69, s8
	v_cndmask_b32_e64 v30, v30, v69, s8
	s_delay_alu instid0(VALU_DEP_2) | instskip(NEXT) | instid1(VALU_DEP_2)
	v_cmp_class_f32_e64 s9, v31, 0x1f8
	v_cmp_neq_f32_e32 vcc_lo, v31, v30
	s_delay_alu instid0(VALU_DEP_2) | instskip(NEXT) | instid1(SALU_CYCLE_1)
	s_or_b32 s10, vcc_lo, s9
	s_and_saveexec_b32 s9, s10
	s_cbranch_execz .LBB430_63
; %bb.62:
	v_sub_f32_e32 v28, v31, v30
	s_mov_b32 s10, 0x3e9b6dac
	s_delay_alu instid0(VALU_DEP_1) | instskip(NEXT) | instid1(VALU_DEP_1)
	v_mul_f32_e32 v29, 0x3fb8aa3b, v28
	v_fma_f32 v31, 0x3fb8aa3b, v28, -v29
	v_rndne_f32_e32 v70, v29
	s_delay_alu instid0(VALU_DEP_2) | instskip(NEXT) | instid1(VALU_DEP_2)
	v_fmamk_f32 v31, v28, 0x32a5705f, v31
	v_sub_f32_e32 v29, v29, v70
	s_delay_alu instid0(VALU_DEP_1) | instskip(SKIP_2) | instid1(VALU_DEP_3)
	v_add_f32_e32 v29, v29, v31
	v_cvt_i32_f32_e32 v31, v70
	v_cmp_ngt_f32_e32 vcc_lo, 0xc2ce8ed0, v28
	v_exp_f32_e32 v29, v29
	s_waitcnt_depctr 0xfff
	v_ldexp_f32 v29, v29, v31
	s_delay_alu instid0(VALU_DEP_1) | instskip(SKIP_1) | instid1(VALU_DEP_2)
	v_cndmask_b32_e32 v29, 0, v29, vcc_lo
	v_cmp_nlt_f32_e32 vcc_lo, 0x42b17218, v28
	v_cndmask_b32_e32 v31, 0x7f800000, v29, vcc_lo
	s_delay_alu instid0(VALU_DEP_1) | instskip(NEXT) | instid1(VALU_DEP_1)
	v_add_f32_e32 v70, 1.0, v31
	v_cvt_f64_f32_e32 v[28:29], v70
	s_delay_alu instid0(VALU_DEP_1) | instskip(SKIP_1) | instid1(VALU_DEP_1)
	v_frexp_exp_i32_f64_e32 v28, v[28:29]
	v_frexp_mant_f32_e32 v29, v70
	v_cmp_gt_f32_e32 vcc_lo, 0x3f2aaaab, v29
	v_add_f32_e32 v29, -1.0, v70
	s_delay_alu instid0(VALU_DEP_1) | instskip(NEXT) | instid1(VALU_DEP_1)
	v_sub_f32_e32 v80, v29, v70
	v_add_f32_e32 v80, 1.0, v80
	v_subrev_co_ci_u32_e32 v28, vcc_lo, 0, v28, vcc_lo
	s_delay_alu instid0(VALU_DEP_1) | instskip(SKIP_1) | instid1(VALU_DEP_2)
	v_sub_nc_u32_e32 v71, 0, v28
	v_cvt_f32_i32_e32 v28, v28
	v_ldexp_f32 v70, v70, v71
	v_sub_f32_e32 v29, v31, v29
	s_delay_alu instid0(VALU_DEP_1) | instskip(NEXT) | instid1(VALU_DEP_1)
	v_add_f32_e32 v29, v29, v80
	v_ldexp_f32 v29, v29, v71
	s_delay_alu instid0(VALU_DEP_4) | instskip(NEXT) | instid1(VALU_DEP_1)
	v_add_f32_e32 v81, 1.0, v70
	v_add_f32_e32 v80, -1.0, v81
	s_delay_alu instid0(VALU_DEP_1) | instskip(NEXT) | instid1(VALU_DEP_1)
	v_sub_f32_e32 v80, v70, v80
	v_dual_add_f32 v80, v29, v80 :: v_dual_add_f32 v71, -1.0, v70
	s_delay_alu instid0(VALU_DEP_1) | instskip(SKIP_1) | instid1(VALU_DEP_2)
	v_add_f32_e32 v82, 1.0, v71
	v_cmp_eq_f32_e32 vcc_lo, 0x7f800000, v31
	v_sub_f32_e32 v70, v70, v82
	s_delay_alu instid0(VALU_DEP_4) | instskip(NEXT) | instid1(VALU_DEP_1)
	v_add_f32_e32 v82, v81, v80
	v_sub_f32_e32 v81, v81, v82
	s_delay_alu instid0(VALU_DEP_3) | instskip(SKIP_1) | instid1(VALU_DEP_2)
	v_add_f32_e32 v29, v29, v70
	v_rcp_f32_e32 v70, v82
	v_add_f32_e32 v80, v80, v81
	s_delay_alu instid0(VALU_DEP_2) | instskip(NEXT) | instid1(VALU_DEP_1)
	v_add_f32_e32 v83, v71, v29
	v_sub_f32_e32 v71, v71, v83
	s_waitcnt_depctr 0xfff
	v_dual_mul_f32 v84, v83, v70 :: v_dual_add_f32 v29, v29, v71
	s_delay_alu instid0(VALU_DEP_1) | instskip(NEXT) | instid1(VALU_DEP_1)
	v_mul_f32_e32 v85, v82, v84
	v_fma_f32 v81, v84, v82, -v85
	s_delay_alu instid0(VALU_DEP_1) | instskip(NEXT) | instid1(VALU_DEP_1)
	v_fmac_f32_e32 v81, v84, v80
	v_add_f32_e32 v86, v85, v81
	s_delay_alu instid0(VALU_DEP_1) | instskip(SKIP_1) | instid1(VALU_DEP_2)
	v_sub_f32_e32 v87, v83, v86
	v_sub_f32_e32 v71, v86, v85
	;; [unrolled: 1-line block ×3, first 2 shown]
	s_delay_alu instid0(VALU_DEP_2) | instskip(NEXT) | instid1(VALU_DEP_2)
	v_sub_f32_e32 v71, v71, v81
	v_sub_f32_e32 v83, v83, v86
	s_delay_alu instid0(VALU_DEP_1) | instskip(NEXT) | instid1(VALU_DEP_1)
	v_add_f32_e32 v29, v29, v83
	v_add_f32_e32 v29, v71, v29
	s_delay_alu instid0(VALU_DEP_1) | instskip(NEXT) | instid1(VALU_DEP_1)
	v_add_f32_e32 v71, v87, v29
	v_mul_f32_e32 v81, v70, v71
	s_delay_alu instid0(VALU_DEP_1) | instskip(NEXT) | instid1(VALU_DEP_1)
	v_dual_sub_f32 v86, v87, v71 :: v_dual_mul_f32 v83, v82, v81
	v_add_f32_e32 v29, v29, v86
	s_delay_alu instid0(VALU_DEP_2) | instskip(NEXT) | instid1(VALU_DEP_1)
	v_fma_f32 v82, v81, v82, -v83
	v_fmac_f32_e32 v82, v81, v80
	s_delay_alu instid0(VALU_DEP_1) | instskip(NEXT) | instid1(VALU_DEP_1)
	v_add_f32_e32 v80, v83, v82
	v_sub_f32_e32 v85, v71, v80
	v_sub_f32_e32 v83, v80, v83
	s_delay_alu instid0(VALU_DEP_2) | instskip(NEXT) | instid1(VALU_DEP_1)
	v_sub_f32_e32 v71, v71, v85
	v_sub_f32_e32 v71, v71, v80
	s_delay_alu instid0(VALU_DEP_1) | instskip(SKIP_1) | instid1(VALU_DEP_1)
	v_dual_sub_f32 v80, v83, v82 :: v_dual_add_f32 v29, v29, v71
	v_add_f32_e32 v71, v84, v81
	v_dual_add_f32 v29, v80, v29 :: v_dual_sub_f32 v80, v71, v84
	s_delay_alu instid0(VALU_DEP_1) | instskip(NEXT) | instid1(VALU_DEP_1)
	v_add_f32_e32 v29, v85, v29
	v_dual_sub_f32 v80, v81, v80 :: v_dual_mul_f32 v29, v70, v29
	s_delay_alu instid0(VALU_DEP_1) | instskip(NEXT) | instid1(VALU_DEP_1)
	v_add_f32_e32 v29, v80, v29
	v_add_f32_e32 v70, v71, v29
	s_delay_alu instid0(VALU_DEP_1) | instskip(NEXT) | instid1(VALU_DEP_1)
	v_mul_f32_e32 v80, v70, v70
	v_fmaak_f32 v81, s10, v80, 0x3ecc95a3
	v_mul_f32_e32 v82, v70, v80
	v_cmp_gt_f32_e64 s10, 0x33800000, |v31|
	s_delay_alu instid0(VALU_DEP_3) | instskip(SKIP_2) | instid1(VALU_DEP_4)
	v_fmaak_f32 v80, v80, v81, 0x3f2aaada
	v_ldexp_f32 v81, v70, 1
	v_sub_f32_e32 v70, v70, v71
	s_or_b32 vcc_lo, vcc_lo, s10
	s_delay_alu instid0(VALU_DEP_3) | instskip(NEXT) | instid1(VALU_DEP_2)
	v_mul_f32_e32 v80, v82, v80
	v_dual_mul_f32 v82, 0x3f317218, v28 :: v_dual_sub_f32 v29, v29, v70
	s_delay_alu instid0(VALU_DEP_2) | instskip(NEXT) | instid1(VALU_DEP_2)
	v_add_f32_e32 v71, v81, v80
	v_ldexp_f32 v29, v29, 1
	s_delay_alu instid0(VALU_DEP_2) | instskip(NEXT) | instid1(VALU_DEP_4)
	v_sub_f32_e32 v70, v71, v81
	v_fma_f32 v81, 0x3f317218, v28, -v82
	s_delay_alu instid0(VALU_DEP_2) | instskip(NEXT) | instid1(VALU_DEP_1)
	v_sub_f32_e32 v70, v80, v70
	v_dual_fmamk_f32 v28, v28, 0xb102e308, v81 :: v_dual_add_f32 v29, v29, v70
	s_delay_alu instid0(VALU_DEP_1) | instskip(NEXT) | instid1(VALU_DEP_2)
	v_add_f32_e32 v70, v82, v28
	v_add_f32_e32 v80, v71, v29
	s_delay_alu instid0(VALU_DEP_2) | instskip(NEXT) | instid1(VALU_DEP_2)
	v_sub_f32_e32 v82, v70, v82
	v_add_f32_e32 v81, v70, v80
	v_sub_f32_e32 v71, v80, v71
	s_delay_alu instid0(VALU_DEP_3) | instskip(NEXT) | instid1(VALU_DEP_3)
	v_sub_f32_e32 v28, v28, v82
	v_sub_f32_e32 v83, v81, v70
	s_delay_alu instid0(VALU_DEP_3) | instskip(NEXT) | instid1(VALU_DEP_2)
	v_sub_f32_e32 v29, v29, v71
	v_sub_f32_e32 v84, v81, v83
	;; [unrolled: 1-line block ×3, first 2 shown]
	s_delay_alu instid0(VALU_DEP_3) | instskip(NEXT) | instid1(VALU_DEP_3)
	v_add_f32_e32 v80, v28, v29
	v_sub_f32_e32 v70, v70, v84
	s_delay_alu instid0(VALU_DEP_1) | instskip(NEXT) | instid1(VALU_DEP_1)
	v_dual_add_f32 v70, v71, v70 :: v_dual_sub_f32 v71, v80, v28
	v_add_f32_e32 v70, v80, v70
	s_delay_alu instid0(VALU_DEP_2) | instskip(SKIP_1) | instid1(VALU_DEP_3)
	v_sub_f32_e32 v80, v80, v71
	v_sub_f32_e32 v29, v29, v71
	v_add_f32_e32 v82, v81, v70
	s_delay_alu instid0(VALU_DEP_1) | instskip(NEXT) | instid1(VALU_DEP_1)
	v_dual_sub_f32 v28, v28, v80 :: v_dual_sub_f32 v71, v82, v81
	v_dual_add_f32 v28, v29, v28 :: v_dual_sub_f32 v29, v70, v71
	s_delay_alu instid0(VALU_DEP_1) | instskip(NEXT) | instid1(VALU_DEP_1)
	v_add_f32_e32 v28, v28, v29
	v_add_f32_e32 v28, v82, v28
	s_delay_alu instid0(VALU_DEP_1) | instskip(NEXT) | instid1(VALU_DEP_1)
	v_cndmask_b32_e32 v28, v28, v31, vcc_lo
	v_add_f32_e32 v28, v30, v28
	s_delay_alu instid0(VALU_DEP_1) | instskip(NEXT) | instid1(VALU_DEP_1)
	v_cvt_f16_f32_e32 v28, v28
	v_mov_b32_e32 v102, v28
	v_cvt_f32_f16_e32 v29, v28
.LBB430_63:
	s_or_b32 exec_lo, exec_lo, s9
	v_cvt_f32_f16_e32 v70, v53
	s_delay_alu instid0(VALU_DEP_2) | instskip(SKIP_2) | instid1(VALU_DEP_3)
	v_max_f32_e32 v30, v29, v29
	v_cmp_u_f16_e32 vcc_lo, v28, v28
	v_cmp_u_f16_e64 s9, v53, v53
	v_min_f32_e32 v31, v30, v70
	s_delay_alu instid0(VALU_DEP_1) | instskip(NEXT) | instid1(VALU_DEP_1)
	v_dual_max_f32 v30, v30, v70 :: v_dual_cndmask_b32 v31, v31, v29
	v_cndmask_b32_e32 v30, v30, v29, vcc_lo
	s_delay_alu instid0(VALU_DEP_2) | instskip(NEXT) | instid1(VALU_DEP_2)
	v_cndmask_b32_e64 v31, v31, v70, s9
	v_cndmask_b32_e64 v30, v30, v70, s9
	s_delay_alu instid0(VALU_DEP_2) | instskip(NEXT) | instid1(VALU_DEP_2)
	v_cmp_class_f32_e64 s10, v31, 0x1f8
	v_cmp_neq_f32_e32 vcc_lo, v31, v30
	s_delay_alu instid0(VALU_DEP_2) | instskip(NEXT) | instid1(SALU_CYCLE_1)
	s_or_b32 s11, vcc_lo, s10
	s_and_saveexec_b32 s10, s11
	s_cbranch_execz .LBB430_65
; %bb.64:
	v_sub_f32_e32 v28, v31, v30
	s_mov_b32 s11, 0x3e9b6dac
	s_delay_alu instid0(VALU_DEP_1) | instskip(NEXT) | instid1(VALU_DEP_1)
	v_mul_f32_e32 v29, 0x3fb8aa3b, v28
	v_fma_f32 v31, 0x3fb8aa3b, v28, -v29
	v_rndne_f32_e32 v71, v29
	s_delay_alu instid0(VALU_DEP_1) | instskip(NEXT) | instid1(VALU_DEP_3)
	v_sub_f32_e32 v29, v29, v71
	v_fmamk_f32 v31, v28, 0x32a5705f, v31
	v_cmp_ngt_f32_e32 vcc_lo, 0xc2ce8ed0, v28
	s_delay_alu instid0(VALU_DEP_2) | instskip(SKIP_1) | instid1(VALU_DEP_2)
	v_add_f32_e32 v29, v29, v31
	v_cvt_i32_f32_e32 v31, v71
	v_exp_f32_e32 v29, v29
	s_waitcnt_depctr 0xfff
	v_ldexp_f32 v29, v29, v31
	s_delay_alu instid0(VALU_DEP_1) | instskip(SKIP_1) | instid1(VALU_DEP_2)
	v_cndmask_b32_e32 v29, 0, v29, vcc_lo
	v_cmp_nlt_f32_e32 vcc_lo, 0x42b17218, v28
	v_cndmask_b32_e32 v31, 0x7f800000, v29, vcc_lo
	s_delay_alu instid0(VALU_DEP_1) | instskip(NEXT) | instid1(VALU_DEP_1)
	v_add_f32_e32 v71, 1.0, v31
	v_cvt_f64_f32_e32 v[28:29], v71
	s_delay_alu instid0(VALU_DEP_1) | instskip(SKIP_1) | instid1(VALU_DEP_1)
	v_frexp_exp_i32_f64_e32 v28, v[28:29]
	v_frexp_mant_f32_e32 v29, v71
	v_cmp_gt_f32_e32 vcc_lo, 0x3f2aaaab, v29
	v_add_f32_e32 v29, -1.0, v71
	s_delay_alu instid0(VALU_DEP_1) | instskip(SKIP_1) | instid1(VALU_DEP_2)
	v_sub_f32_e32 v81, v29, v71
	v_sub_f32_e32 v29, v31, v29
	v_add_f32_e32 v81, 1.0, v81
	s_delay_alu instid0(VALU_DEP_1) | instskip(SKIP_1) | instid1(VALU_DEP_1)
	v_add_f32_e32 v29, v29, v81
	v_subrev_co_ci_u32_e32 v28, vcc_lo, 0, v28, vcc_lo
	v_sub_nc_u32_e32 v80, 0, v28
	v_cvt_f32_i32_e32 v28, v28
	s_delay_alu instid0(VALU_DEP_2) | instskip(SKIP_1) | instid1(VALU_DEP_2)
	v_ldexp_f32 v71, v71, v80
	v_ldexp_f32 v29, v29, v80
	v_add_f32_e32 v82, 1.0, v71
	s_delay_alu instid0(VALU_DEP_1) | instskip(NEXT) | instid1(VALU_DEP_1)
	v_dual_add_f32 v80, -1.0, v71 :: v_dual_add_f32 v81, -1.0, v82
	v_add_f32_e32 v83, 1.0, v80
	s_delay_alu instid0(VALU_DEP_2) | instskip(NEXT) | instid1(VALU_DEP_2)
	v_sub_f32_e32 v81, v71, v81
	v_sub_f32_e32 v71, v71, v83
	s_delay_alu instid0(VALU_DEP_2) | instskip(NEXT) | instid1(VALU_DEP_1)
	v_add_f32_e32 v81, v29, v81
	v_add_f32_e32 v83, v82, v81
	s_delay_alu instid0(VALU_DEP_3) | instskip(NEXT) | instid1(VALU_DEP_2)
	v_add_f32_e32 v29, v29, v71
	v_rcp_f32_e32 v71, v83
	s_delay_alu instid0(VALU_DEP_1) | instskip(SKIP_1) | instid1(VALU_DEP_1)
	v_add_f32_e32 v84, v80, v29
	v_sub_f32_e32 v82, v82, v83
	v_dual_sub_f32 v80, v80, v84 :: v_dual_add_f32 v81, v81, v82
	s_waitcnt_depctr 0xfff
	v_mul_f32_e32 v85, v84, v71
	s_delay_alu instid0(VALU_DEP_1) | instskip(NEXT) | instid1(VALU_DEP_1)
	v_dual_add_f32 v29, v29, v80 :: v_dual_mul_f32 v86, v83, v85
	v_fma_f32 v82, v85, v83, -v86
	s_delay_alu instid0(VALU_DEP_1) | instskip(NEXT) | instid1(VALU_DEP_1)
	v_fmac_f32_e32 v82, v85, v81
	v_add_f32_e32 v87, v86, v82
	s_delay_alu instid0(VALU_DEP_1) | instskip(SKIP_2) | instid1(VALU_DEP_3)
	v_sub_f32_e32 v96, v84, v87
	v_sub_f32_e32 v80, v87, v86
	v_cmp_eq_f32_e32 vcc_lo, 0x7f800000, v31
	v_sub_f32_e32 v84, v84, v96
	s_delay_alu instid0(VALU_DEP_3) | instskip(NEXT) | instid1(VALU_DEP_2)
	v_sub_f32_e32 v80, v80, v82
	v_sub_f32_e32 v84, v84, v87
	s_delay_alu instid0(VALU_DEP_1) | instskip(NEXT) | instid1(VALU_DEP_1)
	v_add_f32_e32 v29, v29, v84
	v_add_f32_e32 v29, v80, v29
	s_delay_alu instid0(VALU_DEP_1) | instskip(NEXT) | instid1(VALU_DEP_1)
	v_add_f32_e32 v80, v96, v29
	v_mul_f32_e32 v82, v71, v80
	s_delay_alu instid0(VALU_DEP_1) | instskip(NEXT) | instid1(VALU_DEP_1)
	v_dual_sub_f32 v87, v96, v80 :: v_dual_mul_f32 v84, v83, v82
	v_add_f32_e32 v29, v29, v87
	s_delay_alu instid0(VALU_DEP_2) | instskip(NEXT) | instid1(VALU_DEP_1)
	v_fma_f32 v83, v82, v83, -v84
	v_fmac_f32_e32 v83, v82, v81
	s_delay_alu instid0(VALU_DEP_1) | instskip(NEXT) | instid1(VALU_DEP_1)
	v_add_f32_e32 v81, v84, v83
	v_sub_f32_e32 v86, v80, v81
	v_sub_f32_e32 v84, v81, v84
	s_delay_alu instid0(VALU_DEP_2) | instskip(NEXT) | instid1(VALU_DEP_1)
	v_sub_f32_e32 v80, v80, v86
	v_sub_f32_e32 v80, v80, v81
	s_delay_alu instid0(VALU_DEP_3) | instskip(NEXT) | instid1(VALU_DEP_2)
	v_sub_f32_e32 v81, v84, v83
	v_add_f32_e32 v29, v29, v80
	v_add_f32_e32 v80, v85, v82
	s_delay_alu instid0(VALU_DEP_2) | instskip(NEXT) | instid1(VALU_DEP_2)
	v_add_f32_e32 v29, v81, v29
	v_sub_f32_e32 v81, v80, v85
	s_delay_alu instid0(VALU_DEP_2) | instskip(NEXT) | instid1(VALU_DEP_2)
	v_add_f32_e32 v29, v86, v29
	v_sub_f32_e32 v81, v82, v81
	s_delay_alu instid0(VALU_DEP_2) | instskip(NEXT) | instid1(VALU_DEP_1)
	v_mul_f32_e32 v29, v71, v29
	v_add_f32_e32 v29, v81, v29
	s_delay_alu instid0(VALU_DEP_1) | instskip(NEXT) | instid1(VALU_DEP_1)
	v_add_f32_e32 v71, v80, v29
	v_mul_f32_e32 v81, v71, v71
	s_delay_alu instid0(VALU_DEP_1) | instskip(SKIP_2) | instid1(VALU_DEP_3)
	v_fmaak_f32 v82, s11, v81, 0x3ecc95a3
	v_mul_f32_e32 v83, v71, v81
	v_cmp_gt_f32_e64 s11, 0x33800000, |v31|
	v_fmaak_f32 v81, v81, v82, 0x3f2aaada
	v_ldexp_f32 v82, v71, 1
	v_sub_f32_e32 v71, v71, v80
	s_delay_alu instid0(VALU_DEP_4) | instskip(NEXT) | instid1(VALU_DEP_3)
	s_or_b32 vcc_lo, vcc_lo, s11
	v_mul_f32_e32 v81, v83, v81
	v_mul_f32_e32 v83, 0x3f317218, v28
	s_delay_alu instid0(VALU_DEP_2) | instskip(NEXT) | instid1(VALU_DEP_1)
	v_dual_sub_f32 v29, v29, v71 :: v_dual_add_f32 v80, v82, v81
	v_ldexp_f32 v29, v29, 1
	s_delay_alu instid0(VALU_DEP_2) | instskip(NEXT) | instid1(VALU_DEP_4)
	v_sub_f32_e32 v71, v80, v82
	v_fma_f32 v82, 0x3f317218, v28, -v83
	s_delay_alu instid0(VALU_DEP_1) | instskip(NEXT) | instid1(VALU_DEP_1)
	v_dual_sub_f32 v71, v81, v71 :: v_dual_fmamk_f32 v28, v28, 0xb102e308, v82
	v_add_f32_e32 v29, v29, v71
	s_delay_alu instid0(VALU_DEP_2) | instskip(NEXT) | instid1(VALU_DEP_2)
	v_add_f32_e32 v71, v83, v28
	v_add_f32_e32 v81, v80, v29
	s_delay_alu instid0(VALU_DEP_2) | instskip(NEXT) | instid1(VALU_DEP_2)
	v_sub_f32_e32 v83, v71, v83
	v_add_f32_e32 v82, v71, v81
	v_sub_f32_e32 v80, v81, v80
	s_delay_alu instid0(VALU_DEP_3) | instskip(NEXT) | instid1(VALU_DEP_2)
	v_sub_f32_e32 v28, v28, v83
	v_dual_sub_f32 v84, v82, v71 :: v_dual_sub_f32 v29, v29, v80
	s_delay_alu instid0(VALU_DEP_1) | instskip(NEXT) | instid1(VALU_DEP_2)
	v_sub_f32_e32 v85, v82, v84
	v_dual_sub_f32 v80, v81, v84 :: v_dual_add_f32 v81, v28, v29
	s_delay_alu instid0(VALU_DEP_2) | instskip(NEXT) | instid1(VALU_DEP_1)
	v_sub_f32_e32 v71, v71, v85
	v_dual_add_f32 v71, v80, v71 :: v_dual_sub_f32 v80, v81, v28
	s_delay_alu instid0(VALU_DEP_1) | instskip(NEXT) | instid1(VALU_DEP_2)
	v_add_f32_e32 v71, v81, v71
	v_sub_f32_e32 v81, v81, v80
	v_sub_f32_e32 v29, v29, v80
	s_delay_alu instid0(VALU_DEP_2) | instskip(NEXT) | instid1(VALU_DEP_1)
	v_dual_add_f32 v83, v82, v71 :: v_dual_sub_f32 v28, v28, v81
	v_sub_f32_e32 v80, v83, v82
	s_delay_alu instid0(VALU_DEP_2) | instskip(NEXT) | instid1(VALU_DEP_2)
	v_add_f32_e32 v28, v29, v28
	v_sub_f32_e32 v29, v71, v80
	s_delay_alu instid0(VALU_DEP_1) | instskip(NEXT) | instid1(VALU_DEP_1)
	v_add_f32_e32 v28, v28, v29
	v_add_f32_e32 v28, v83, v28
	s_delay_alu instid0(VALU_DEP_1) | instskip(NEXT) | instid1(VALU_DEP_1)
	v_cndmask_b32_e32 v28, v28, v31, vcc_lo
	v_add_f32_e32 v28, v30, v28
	s_delay_alu instid0(VALU_DEP_1) | instskip(NEXT) | instid1(VALU_DEP_1)
	v_cvt_f16_f32_e32 v28, v28
	v_cvt_f32_f16_e32 v29, v28
	v_mov_b32_e32 v102, v28
.LBB430_65:
	s_or_b32 exec_lo, exec_lo, s10
	v_cvt_f32_f16_e32 v71, v24
	s_delay_alu instid0(VALU_DEP_3) | instskip(SKIP_2) | instid1(VALU_DEP_3)
	v_max_f32_e32 v30, v29, v29
	v_cmp_u_f16_e32 vcc_lo, v28, v28
	v_cmp_u_f16_e64 s10, v24, v24
	v_min_f32_e32 v31, v30, v71
	s_delay_alu instid0(VALU_DEP_1) | instskip(NEXT) | instid1(VALU_DEP_1)
	v_dual_max_f32 v30, v30, v71 :: v_dual_cndmask_b32 v31, v31, v29
	v_cndmask_b32_e32 v30, v30, v29, vcc_lo
	s_delay_alu instid0(VALU_DEP_2) | instskip(NEXT) | instid1(VALU_DEP_2)
	v_cndmask_b32_e64 v31, v31, v71, s10
	v_cndmask_b32_e64 v30, v30, v71, s10
	s_delay_alu instid0(VALU_DEP_2) | instskip(NEXT) | instid1(VALU_DEP_2)
	v_cmp_class_f32_e64 s11, v31, 0x1f8
	v_cmp_neq_f32_e32 vcc_lo, v31, v30
	s_delay_alu instid0(VALU_DEP_2) | instskip(NEXT) | instid1(SALU_CYCLE_1)
	s_or_b32 s12, vcc_lo, s11
	s_and_saveexec_b32 s11, s12
	s_cbranch_execz .LBB430_67
; %bb.66:
	v_sub_f32_e32 v28, v31, v30
	s_mov_b32 s12, 0x3e9b6dac
	s_delay_alu instid0(VALU_DEP_1) | instskip(NEXT) | instid1(VALU_DEP_1)
	v_mul_f32_e32 v29, 0x3fb8aa3b, v28
	v_fma_f32 v31, 0x3fb8aa3b, v28, -v29
	v_rndne_f32_e32 v80, v29
	s_delay_alu instid0(VALU_DEP_1) | instskip(NEXT) | instid1(VALU_DEP_3)
	v_sub_f32_e32 v29, v29, v80
	v_fmamk_f32 v31, v28, 0x32a5705f, v31
	v_cmp_ngt_f32_e32 vcc_lo, 0xc2ce8ed0, v28
	s_delay_alu instid0(VALU_DEP_2) | instskip(SKIP_1) | instid1(VALU_DEP_2)
	v_add_f32_e32 v29, v29, v31
	v_cvt_i32_f32_e32 v31, v80
	v_exp_f32_e32 v29, v29
	s_waitcnt_depctr 0xfff
	v_ldexp_f32 v29, v29, v31
	s_delay_alu instid0(VALU_DEP_1) | instskip(SKIP_1) | instid1(VALU_DEP_2)
	v_cndmask_b32_e32 v29, 0, v29, vcc_lo
	v_cmp_nlt_f32_e32 vcc_lo, 0x42b17218, v28
	v_cndmask_b32_e32 v31, 0x7f800000, v29, vcc_lo
	s_delay_alu instid0(VALU_DEP_1) | instskip(NEXT) | instid1(VALU_DEP_1)
	v_add_f32_e32 v80, 1.0, v31
	v_cvt_f64_f32_e32 v[28:29], v80
	s_delay_alu instid0(VALU_DEP_1) | instskip(SKIP_1) | instid1(VALU_DEP_1)
	v_frexp_exp_i32_f64_e32 v28, v[28:29]
	v_frexp_mant_f32_e32 v29, v80
	v_cmp_gt_f32_e32 vcc_lo, 0x3f2aaaab, v29
	v_add_f32_e32 v29, -1.0, v80
	s_delay_alu instid0(VALU_DEP_1) | instskip(NEXT) | instid1(VALU_DEP_1)
	v_sub_f32_e32 v82, v29, v80
	v_add_f32_e32 v82, 1.0, v82
	v_subrev_co_ci_u32_e32 v28, vcc_lo, 0, v28, vcc_lo
	s_delay_alu instid0(VALU_DEP_1) | instskip(SKIP_1) | instid1(VALU_DEP_2)
	v_sub_nc_u32_e32 v81, 0, v28
	v_cvt_f32_i32_e32 v28, v28
	v_ldexp_f32 v80, v80, v81
	v_sub_f32_e32 v29, v31, v29
	s_delay_alu instid0(VALU_DEP_1) | instskip(NEXT) | instid1(VALU_DEP_1)
	v_add_f32_e32 v29, v29, v82
	v_ldexp_f32 v29, v29, v81
	s_delay_alu instid0(VALU_DEP_4) | instskip(NEXT) | instid1(VALU_DEP_1)
	v_add_f32_e32 v83, 1.0, v80
	v_add_f32_e32 v82, -1.0, v83
	s_delay_alu instid0(VALU_DEP_1) | instskip(SKIP_1) | instid1(VALU_DEP_2)
	v_sub_f32_e32 v82, v80, v82
	v_cmp_eq_f32_e32 vcc_lo, 0x7f800000, v31
	v_dual_add_f32 v82, v29, v82 :: v_dual_add_f32 v81, -1.0, v80
	s_delay_alu instid0(VALU_DEP_1) | instskip(NEXT) | instid1(VALU_DEP_1)
	v_add_f32_e32 v84, 1.0, v81
	v_sub_f32_e32 v80, v80, v84
	s_delay_alu instid0(VALU_DEP_1) | instskip(NEXT) | instid1(VALU_DEP_1)
	v_dual_add_f32 v84, v83, v82 :: v_dual_add_f32 v29, v29, v80
	v_rcp_f32_e32 v80, v84
	v_sub_f32_e32 v83, v83, v84
	s_delay_alu instid0(VALU_DEP_1) | instskip(SKIP_3) | instid1(VALU_DEP_2)
	v_dual_add_f32 v82, v82, v83 :: v_dual_add_f32 v85, v81, v29
	s_waitcnt_depctr 0xfff
	v_mul_f32_e32 v86, v85, v80
	v_sub_f32_e32 v81, v81, v85
	v_mul_f32_e32 v87, v84, v86
	s_delay_alu instid0(VALU_DEP_1) | instskip(NEXT) | instid1(VALU_DEP_1)
	v_fma_f32 v83, v86, v84, -v87
	v_fmac_f32_e32 v83, v86, v82
	s_delay_alu instid0(VALU_DEP_1) | instskip(NEXT) | instid1(VALU_DEP_1)
	v_dual_add_f32 v96, v87, v83 :: v_dual_add_f32 v29, v29, v81
	v_sub_f32_e32 v97, v85, v96
	v_sub_f32_e32 v81, v96, v87
	s_delay_alu instid0(VALU_DEP_2) | instskip(NEXT) | instid1(VALU_DEP_2)
	v_sub_f32_e32 v85, v85, v97
	v_sub_f32_e32 v81, v81, v83
	s_delay_alu instid0(VALU_DEP_2) | instskip(NEXT) | instid1(VALU_DEP_1)
	v_sub_f32_e32 v85, v85, v96
	v_add_f32_e32 v29, v29, v85
	s_delay_alu instid0(VALU_DEP_1) | instskip(NEXT) | instid1(VALU_DEP_1)
	v_add_f32_e32 v29, v81, v29
	v_add_f32_e32 v81, v97, v29
	s_delay_alu instid0(VALU_DEP_1) | instskip(NEXT) | instid1(VALU_DEP_1)
	v_mul_f32_e32 v83, v80, v81
	v_dual_sub_f32 v96, v97, v81 :: v_dual_mul_f32 v85, v84, v83
	s_delay_alu instid0(VALU_DEP_1) | instskip(NEXT) | instid1(VALU_DEP_2)
	v_add_f32_e32 v29, v29, v96
	v_fma_f32 v84, v83, v84, -v85
	s_delay_alu instid0(VALU_DEP_1) | instskip(NEXT) | instid1(VALU_DEP_1)
	v_fmac_f32_e32 v84, v83, v82
	v_add_f32_e32 v82, v85, v84
	s_delay_alu instid0(VALU_DEP_1) | instskip(SKIP_1) | instid1(VALU_DEP_2)
	v_sub_f32_e32 v87, v81, v82
	v_sub_f32_e32 v85, v82, v85
	;; [unrolled: 1-line block ×3, first 2 shown]
	s_delay_alu instid0(VALU_DEP_1) | instskip(NEXT) | instid1(VALU_DEP_3)
	v_sub_f32_e32 v81, v81, v82
	v_sub_f32_e32 v82, v85, v84
	s_delay_alu instid0(VALU_DEP_2) | instskip(SKIP_1) | instid1(VALU_DEP_1)
	v_add_f32_e32 v29, v29, v81
	v_add_f32_e32 v81, v86, v83
	v_dual_add_f32 v29, v82, v29 :: v_dual_sub_f32 v82, v81, v86
	s_delay_alu instid0(VALU_DEP_1) | instskip(NEXT) | instid1(VALU_DEP_1)
	v_add_f32_e32 v29, v87, v29
	v_dual_sub_f32 v82, v83, v82 :: v_dual_mul_f32 v29, v80, v29
	s_delay_alu instid0(VALU_DEP_1) | instskip(NEXT) | instid1(VALU_DEP_1)
	v_add_f32_e32 v29, v82, v29
	v_add_f32_e32 v80, v81, v29
	s_delay_alu instid0(VALU_DEP_1) | instskip(NEXT) | instid1(VALU_DEP_1)
	v_mul_f32_e32 v82, v80, v80
	v_fmaak_f32 v83, s12, v82, 0x3ecc95a3
	v_mul_f32_e32 v84, v80, v82
	v_cmp_gt_f32_e64 s12, 0x33800000, |v31|
	s_delay_alu instid0(VALU_DEP_3) | instskip(SKIP_2) | instid1(VALU_DEP_4)
	v_fmaak_f32 v82, v82, v83, 0x3f2aaada
	v_ldexp_f32 v83, v80, 1
	v_sub_f32_e32 v80, v80, v81
	s_or_b32 vcc_lo, vcc_lo, s12
	s_delay_alu instid0(VALU_DEP_3) | instskip(SKIP_1) | instid1(VALU_DEP_3)
	v_mul_f32_e32 v82, v84, v82
	v_mul_f32_e32 v84, 0x3f317218, v28
	v_sub_f32_e32 v29, v29, v80
	s_delay_alu instid0(VALU_DEP_3) | instskip(NEXT) | instid1(VALU_DEP_2)
	v_add_f32_e32 v81, v83, v82
	v_ldexp_f32 v29, v29, 1
	s_delay_alu instid0(VALU_DEP_2) | instskip(SKIP_1) | instid1(VALU_DEP_2)
	v_sub_f32_e32 v80, v81, v83
	v_fma_f32 v83, 0x3f317218, v28, -v84
	v_sub_f32_e32 v80, v82, v80
	s_delay_alu instid0(VALU_DEP_1) | instskip(NEXT) | instid1(VALU_DEP_1)
	v_dual_fmamk_f32 v28, v28, 0xb102e308, v83 :: v_dual_add_f32 v29, v29, v80
	v_add_f32_e32 v80, v84, v28
	s_delay_alu instid0(VALU_DEP_2) | instskip(NEXT) | instid1(VALU_DEP_2)
	v_add_f32_e32 v82, v81, v29
	v_sub_f32_e32 v84, v80, v84
	s_delay_alu instid0(VALU_DEP_2) | instskip(NEXT) | instid1(VALU_DEP_2)
	v_add_f32_e32 v83, v80, v82
	v_dual_sub_f32 v81, v82, v81 :: v_dual_sub_f32 v28, v28, v84
	s_delay_alu instid0(VALU_DEP_2) | instskip(NEXT) | instid1(VALU_DEP_2)
	v_sub_f32_e32 v85, v83, v80
	v_sub_f32_e32 v29, v29, v81
	s_delay_alu instid0(VALU_DEP_2) | instskip(SKIP_1) | instid1(VALU_DEP_3)
	v_sub_f32_e32 v86, v83, v85
	v_sub_f32_e32 v81, v82, v85
	v_add_f32_e32 v82, v28, v29
	s_delay_alu instid0(VALU_DEP_3) | instskip(NEXT) | instid1(VALU_DEP_1)
	v_sub_f32_e32 v80, v80, v86
	v_add_f32_e32 v80, v81, v80
	s_delay_alu instid0(VALU_DEP_3) | instskip(NEXT) | instid1(VALU_DEP_2)
	v_sub_f32_e32 v81, v82, v28
	v_add_f32_e32 v80, v82, v80
	s_delay_alu instid0(VALU_DEP_2) | instskip(NEXT) | instid1(VALU_DEP_2)
	v_sub_f32_e32 v82, v82, v81
	v_dual_sub_f32 v29, v29, v81 :: v_dual_add_f32 v84, v83, v80
	s_delay_alu instid0(VALU_DEP_2) | instskip(NEXT) | instid1(VALU_DEP_1)
	v_sub_f32_e32 v28, v28, v82
	v_dual_sub_f32 v81, v84, v83 :: v_dual_add_f32 v28, v29, v28
	s_delay_alu instid0(VALU_DEP_1) | instskip(NEXT) | instid1(VALU_DEP_1)
	v_sub_f32_e32 v29, v80, v81
	v_add_f32_e32 v28, v28, v29
	s_delay_alu instid0(VALU_DEP_1) | instskip(NEXT) | instid1(VALU_DEP_1)
	v_add_f32_e32 v28, v84, v28
	v_cndmask_b32_e32 v28, v28, v31, vcc_lo
	s_delay_alu instid0(VALU_DEP_1) | instskip(NEXT) | instid1(VALU_DEP_1)
	v_add_f32_e32 v28, v30, v28
	v_cvt_f16_f32_e32 v28, v28
	s_delay_alu instid0(VALU_DEP_1)
	v_mov_b32_e32 v102, v28
	v_cvt_f32_f16_e32 v29, v28
.LBB430_67:
	s_or_b32 exec_lo, exec_lo, s11
	v_cvt_f32_f16_e32 v80, v52
	s_delay_alu instid0(VALU_DEP_2) | instskip(SKIP_2) | instid1(VALU_DEP_3)
	v_max_f32_e32 v30, v29, v29
	v_cmp_u_f16_e32 vcc_lo, v28, v28
	v_cmp_u_f16_e64 s11, v52, v52
	v_min_f32_e32 v31, v30, v80
	s_delay_alu instid0(VALU_DEP_1) | instskip(NEXT) | instid1(VALU_DEP_1)
	v_dual_max_f32 v30, v30, v80 :: v_dual_cndmask_b32 v31, v31, v29
	v_cndmask_b32_e32 v30, v30, v29, vcc_lo
	s_delay_alu instid0(VALU_DEP_2) | instskip(NEXT) | instid1(VALU_DEP_2)
	v_cndmask_b32_e64 v31, v31, v80, s11
	v_cndmask_b32_e64 v30, v30, v80, s11
	s_delay_alu instid0(VALU_DEP_2) | instskip(NEXT) | instid1(VALU_DEP_2)
	v_cmp_class_f32_e64 s12, v31, 0x1f8
	v_cmp_neq_f32_e32 vcc_lo, v31, v30
	s_delay_alu instid0(VALU_DEP_2) | instskip(NEXT) | instid1(SALU_CYCLE_1)
	s_or_b32 s13, vcc_lo, s12
	s_and_saveexec_b32 s12, s13
	s_cbranch_execz .LBB430_69
; %bb.68:
	v_sub_f32_e32 v28, v31, v30
	s_mov_b32 s13, 0x3e9b6dac
	s_delay_alu instid0(VALU_DEP_1) | instskip(NEXT) | instid1(VALU_DEP_1)
	v_mul_f32_e32 v29, 0x3fb8aa3b, v28
	v_fma_f32 v31, 0x3fb8aa3b, v28, -v29
	v_rndne_f32_e32 v81, v29
	s_delay_alu instid0(VALU_DEP_1) | instskip(NEXT) | instid1(VALU_DEP_3)
	v_sub_f32_e32 v29, v29, v81
	v_fmamk_f32 v31, v28, 0x32a5705f, v31
	v_cmp_ngt_f32_e32 vcc_lo, 0xc2ce8ed0, v28
	s_delay_alu instid0(VALU_DEP_2) | instskip(SKIP_1) | instid1(VALU_DEP_2)
	v_add_f32_e32 v29, v29, v31
	v_cvt_i32_f32_e32 v31, v81
	v_exp_f32_e32 v29, v29
	s_waitcnt_depctr 0xfff
	v_ldexp_f32 v29, v29, v31
	s_delay_alu instid0(VALU_DEP_1) | instskip(SKIP_1) | instid1(VALU_DEP_2)
	v_cndmask_b32_e32 v29, 0, v29, vcc_lo
	v_cmp_nlt_f32_e32 vcc_lo, 0x42b17218, v28
	v_cndmask_b32_e32 v31, 0x7f800000, v29, vcc_lo
	s_delay_alu instid0(VALU_DEP_1) | instskip(NEXT) | instid1(VALU_DEP_1)
	v_add_f32_e32 v81, 1.0, v31
	v_cvt_f64_f32_e32 v[28:29], v81
	s_delay_alu instid0(VALU_DEP_1) | instskip(SKIP_1) | instid1(VALU_DEP_1)
	v_frexp_exp_i32_f64_e32 v28, v[28:29]
	v_frexp_mant_f32_e32 v29, v81
	v_cmp_gt_f32_e32 vcc_lo, 0x3f2aaaab, v29
	v_add_f32_e32 v29, -1.0, v81
	s_delay_alu instid0(VALU_DEP_1) | instskip(SKIP_1) | instid1(VALU_DEP_2)
	v_sub_f32_e32 v83, v29, v81
	v_sub_f32_e32 v29, v31, v29
	v_add_f32_e32 v83, 1.0, v83
	s_delay_alu instid0(VALU_DEP_1) | instskip(SKIP_1) | instid1(VALU_DEP_1)
	v_add_f32_e32 v29, v29, v83
	v_subrev_co_ci_u32_e32 v28, vcc_lo, 0, v28, vcc_lo
	v_sub_nc_u32_e32 v82, 0, v28
	v_cvt_f32_i32_e32 v28, v28
	s_delay_alu instid0(VALU_DEP_2) | instskip(SKIP_1) | instid1(VALU_DEP_2)
	v_ldexp_f32 v81, v81, v82
	v_ldexp_f32 v29, v29, v82
	v_add_f32_e32 v84, 1.0, v81
	s_delay_alu instid0(VALU_DEP_1) | instskip(NEXT) | instid1(VALU_DEP_1)
	v_dual_add_f32 v82, -1.0, v81 :: v_dual_add_f32 v83, -1.0, v84
	v_add_f32_e32 v85, 1.0, v82
	s_delay_alu instid0(VALU_DEP_2) | instskip(NEXT) | instid1(VALU_DEP_2)
	v_sub_f32_e32 v83, v81, v83
	v_sub_f32_e32 v81, v81, v85
	s_delay_alu instid0(VALU_DEP_2) | instskip(NEXT) | instid1(VALU_DEP_2)
	v_add_f32_e32 v83, v29, v83
	v_add_f32_e32 v29, v29, v81
	s_delay_alu instid0(VALU_DEP_1) | instskip(NEXT) | instid1(VALU_DEP_1)
	v_dual_add_f32 v85, v84, v83 :: v_dual_add_f32 v86, v82, v29
	v_rcp_f32_e32 v81, v85
	v_sub_f32_e32 v84, v84, v85
	s_delay_alu instid0(VALU_DEP_1) | instskip(SKIP_3) | instid1(VALU_DEP_2)
	v_dual_sub_f32 v82, v82, v86 :: v_dual_add_f32 v83, v83, v84
	s_waitcnt_depctr 0xfff
	v_mul_f32_e32 v87, v86, v81
	v_add_f32_e32 v29, v29, v82
	v_mul_f32_e32 v96, v85, v87
	s_delay_alu instid0(VALU_DEP_1) | instskip(NEXT) | instid1(VALU_DEP_1)
	v_fma_f32 v84, v87, v85, -v96
	v_fmac_f32_e32 v84, v87, v83
	v_cmp_eq_f32_e32 vcc_lo, 0x7f800000, v31
	s_delay_alu instid0(VALU_DEP_2) | instskip(NEXT) | instid1(VALU_DEP_1)
	v_add_f32_e32 v97, v96, v84
	v_sub_f32_e32 v98, v86, v97
	v_sub_f32_e32 v82, v97, v96
	s_delay_alu instid0(VALU_DEP_2) | instskip(NEXT) | instid1(VALU_DEP_2)
	v_sub_f32_e32 v86, v86, v98
	v_sub_f32_e32 v82, v82, v84
	s_delay_alu instid0(VALU_DEP_2) | instskip(NEXT) | instid1(VALU_DEP_1)
	v_sub_f32_e32 v86, v86, v97
	v_add_f32_e32 v29, v29, v86
	s_delay_alu instid0(VALU_DEP_1) | instskip(NEXT) | instid1(VALU_DEP_1)
	v_add_f32_e32 v29, v82, v29
	v_add_f32_e32 v82, v98, v29
	s_delay_alu instid0(VALU_DEP_1) | instskip(NEXT) | instid1(VALU_DEP_1)
	v_mul_f32_e32 v84, v81, v82
	v_dual_sub_f32 v97, v98, v82 :: v_dual_mul_f32 v86, v85, v84
	s_delay_alu instid0(VALU_DEP_1) | instskip(NEXT) | instid1(VALU_DEP_2)
	v_add_f32_e32 v29, v29, v97
	v_fma_f32 v85, v84, v85, -v86
	s_delay_alu instid0(VALU_DEP_1) | instskip(NEXT) | instid1(VALU_DEP_1)
	v_fmac_f32_e32 v85, v84, v83
	v_add_f32_e32 v83, v86, v85
	s_delay_alu instid0(VALU_DEP_1) | instskip(SKIP_1) | instid1(VALU_DEP_2)
	v_sub_f32_e32 v96, v82, v83
	v_sub_f32_e32 v86, v83, v86
	;; [unrolled: 1-line block ×3, first 2 shown]
	s_delay_alu instid0(VALU_DEP_1) | instskip(NEXT) | instid1(VALU_DEP_3)
	v_sub_f32_e32 v82, v82, v83
	v_sub_f32_e32 v83, v86, v85
	s_delay_alu instid0(VALU_DEP_2) | instskip(NEXT) | instid1(VALU_DEP_1)
	v_dual_add_f32 v29, v29, v82 :: v_dual_add_f32 v82, v87, v84
	v_add_f32_e32 v29, v83, v29
	s_delay_alu instid0(VALU_DEP_2) | instskip(NEXT) | instid1(VALU_DEP_2)
	v_sub_f32_e32 v83, v82, v87
	v_add_f32_e32 v29, v96, v29
	s_delay_alu instid0(VALU_DEP_2) | instskip(NEXT) | instid1(VALU_DEP_2)
	v_sub_f32_e32 v83, v84, v83
	v_mul_f32_e32 v29, v81, v29
	s_delay_alu instid0(VALU_DEP_1) | instskip(NEXT) | instid1(VALU_DEP_1)
	v_add_f32_e32 v29, v83, v29
	v_add_f32_e32 v81, v82, v29
	s_delay_alu instid0(VALU_DEP_1) | instskip(NEXT) | instid1(VALU_DEP_1)
	v_mul_f32_e32 v83, v81, v81
	v_fmaak_f32 v84, s13, v83, 0x3ecc95a3
	v_mul_f32_e32 v85, v81, v83
	v_cmp_gt_f32_e64 s13, 0x33800000, |v31|
	s_delay_alu instid0(VALU_DEP_3) | instskip(SKIP_2) | instid1(VALU_DEP_4)
	v_fmaak_f32 v83, v83, v84, 0x3f2aaada
	v_ldexp_f32 v84, v81, 1
	v_sub_f32_e32 v81, v81, v82
	s_or_b32 vcc_lo, vcc_lo, s13
	s_delay_alu instid0(VALU_DEP_3) | instskip(SKIP_1) | instid1(VALU_DEP_2)
	v_mul_f32_e32 v83, v85, v83
	v_mul_f32_e32 v85, 0x3f317218, v28
	v_dual_sub_f32 v29, v29, v81 :: v_dual_add_f32 v82, v84, v83
	s_delay_alu instid0(VALU_DEP_1) | instskip(NEXT) | instid1(VALU_DEP_2)
	v_ldexp_f32 v29, v29, 1
	v_sub_f32_e32 v81, v82, v84
	s_delay_alu instid0(VALU_DEP_4) | instskip(NEXT) | instid1(VALU_DEP_1)
	v_fma_f32 v84, 0x3f317218, v28, -v85
	v_dual_sub_f32 v81, v83, v81 :: v_dual_fmamk_f32 v28, v28, 0xb102e308, v84
	s_delay_alu instid0(VALU_DEP_1) | instskip(NEXT) | instid1(VALU_DEP_2)
	v_add_f32_e32 v29, v29, v81
	v_add_f32_e32 v81, v85, v28
	s_delay_alu instid0(VALU_DEP_2) | instskip(NEXT) | instid1(VALU_DEP_2)
	v_add_f32_e32 v83, v82, v29
	v_sub_f32_e32 v85, v81, v85
	s_delay_alu instid0(VALU_DEP_2) | instskip(SKIP_1) | instid1(VALU_DEP_3)
	v_add_f32_e32 v84, v81, v83
	v_sub_f32_e32 v82, v83, v82
	v_sub_f32_e32 v28, v28, v85
	s_delay_alu instid0(VALU_DEP_2) | instskip(NEXT) | instid1(VALU_DEP_1)
	v_dual_sub_f32 v86, v84, v81 :: v_dual_sub_f32 v29, v29, v82
	v_sub_f32_e32 v87, v84, v86
	s_delay_alu instid0(VALU_DEP_2) | instskip(NEXT) | instid1(VALU_DEP_2)
	v_dual_sub_f32 v82, v83, v86 :: v_dual_add_f32 v83, v28, v29
	v_sub_f32_e32 v81, v81, v87
	s_delay_alu instid0(VALU_DEP_1) | instskip(NEXT) | instid1(VALU_DEP_1)
	v_dual_add_f32 v81, v82, v81 :: v_dual_sub_f32 v82, v83, v28
	v_add_f32_e32 v81, v83, v81
	s_delay_alu instid0(VALU_DEP_2) | instskip(SKIP_1) | instid1(VALU_DEP_3)
	v_sub_f32_e32 v83, v83, v82
	v_sub_f32_e32 v29, v29, v82
	v_add_f32_e32 v85, v84, v81
	s_delay_alu instid0(VALU_DEP_3) | instskip(NEXT) | instid1(VALU_DEP_2)
	v_sub_f32_e32 v28, v28, v83
	v_sub_f32_e32 v82, v85, v84
	s_delay_alu instid0(VALU_DEP_2) | instskip(NEXT) | instid1(VALU_DEP_2)
	v_add_f32_e32 v28, v29, v28
	v_sub_f32_e32 v29, v81, v82
	s_delay_alu instid0(VALU_DEP_1) | instskip(NEXT) | instid1(VALU_DEP_1)
	v_add_f32_e32 v28, v28, v29
	v_add_f32_e32 v28, v85, v28
	s_delay_alu instid0(VALU_DEP_1) | instskip(NEXT) | instid1(VALU_DEP_1)
	v_cndmask_b32_e32 v28, v28, v31, vcc_lo
	v_add_f32_e32 v28, v30, v28
	s_delay_alu instid0(VALU_DEP_1) | instskip(NEXT) | instid1(VALU_DEP_1)
	v_cvt_f16_f32_e32 v28, v28
	v_mov_b32_e32 v102, v28
	v_cvt_f32_f16_e32 v29, v28
.LBB430_69:
	s_or_b32 exec_lo, exec_lo, s12
	v_cvt_f32_f16_e32 v81, v25
	s_delay_alu instid0(VALU_DEP_2) | instskip(SKIP_2) | instid1(VALU_DEP_3)
	v_max_f32_e32 v30, v29, v29
	v_cmp_u_f16_e32 vcc_lo, v28, v28
	v_cmp_u_f16_e64 s12, v25, v25
	v_min_f32_e32 v31, v30, v81
	v_max_f32_e32 v30, v30, v81
	s_delay_alu instid0(VALU_DEP_2) | instskip(NEXT) | instid1(VALU_DEP_2)
	v_cndmask_b32_e32 v31, v31, v29, vcc_lo
	v_cndmask_b32_e32 v30, v30, v29, vcc_lo
	s_delay_alu instid0(VALU_DEP_2) | instskip(NEXT) | instid1(VALU_DEP_2)
	v_cndmask_b32_e64 v31, v31, v81, s12
	v_cndmask_b32_e64 v30, v30, v81, s12
	s_delay_alu instid0(VALU_DEP_2) | instskip(NEXT) | instid1(VALU_DEP_2)
	v_cmp_class_f32_e64 s13, v31, 0x1f8
	v_cmp_neq_f32_e32 vcc_lo, v31, v30
	s_delay_alu instid0(VALU_DEP_2) | instskip(NEXT) | instid1(SALU_CYCLE_1)
	s_or_b32 s14, vcc_lo, s13
	s_and_saveexec_b32 s13, s14
	s_cbranch_execz .LBB430_71
; %bb.70:
	v_sub_f32_e32 v28, v31, v30
	s_mov_b32 s14, 0x3e9b6dac
	s_delay_alu instid0(VALU_DEP_1) | instskip(NEXT) | instid1(VALU_DEP_1)
	v_mul_f32_e32 v29, 0x3fb8aa3b, v28
	v_fma_f32 v31, 0x3fb8aa3b, v28, -v29
	v_rndne_f32_e32 v82, v29
	s_delay_alu instid0(VALU_DEP_2) | instskip(NEXT) | instid1(VALU_DEP_2)
	v_fmamk_f32 v31, v28, 0x32a5705f, v31
	v_sub_f32_e32 v29, v29, v82
	s_delay_alu instid0(VALU_DEP_1) | instskip(SKIP_2) | instid1(VALU_DEP_3)
	v_add_f32_e32 v29, v29, v31
	v_cvt_i32_f32_e32 v31, v82
	v_cmp_ngt_f32_e32 vcc_lo, 0xc2ce8ed0, v28
	v_exp_f32_e32 v29, v29
	s_waitcnt_depctr 0xfff
	v_ldexp_f32 v29, v29, v31
	s_delay_alu instid0(VALU_DEP_1) | instskip(SKIP_1) | instid1(VALU_DEP_2)
	v_cndmask_b32_e32 v29, 0, v29, vcc_lo
	v_cmp_nlt_f32_e32 vcc_lo, 0x42b17218, v28
	v_cndmask_b32_e32 v31, 0x7f800000, v29, vcc_lo
	s_delay_alu instid0(VALU_DEP_1) | instskip(NEXT) | instid1(VALU_DEP_1)
	v_add_f32_e32 v82, 1.0, v31
	v_cvt_f64_f32_e32 v[28:29], v82
	s_delay_alu instid0(VALU_DEP_1) | instskip(SKIP_1) | instid1(VALU_DEP_1)
	v_frexp_exp_i32_f64_e32 v28, v[28:29]
	v_frexp_mant_f32_e32 v29, v82
	v_cmp_gt_f32_e32 vcc_lo, 0x3f2aaaab, v29
	v_add_f32_e32 v29, -1.0, v82
	s_delay_alu instid0(VALU_DEP_1) | instskip(NEXT) | instid1(VALU_DEP_1)
	v_sub_f32_e32 v84, v29, v82
	v_add_f32_e32 v84, 1.0, v84
	v_subrev_co_ci_u32_e32 v28, vcc_lo, 0, v28, vcc_lo
	s_delay_alu instid0(VALU_DEP_1) | instskip(SKIP_1) | instid1(VALU_DEP_2)
	v_sub_nc_u32_e32 v83, 0, v28
	v_cvt_f32_i32_e32 v28, v28
	v_ldexp_f32 v82, v82, v83
	v_sub_f32_e32 v29, v31, v29
	s_delay_alu instid0(VALU_DEP_1) | instskip(NEXT) | instid1(VALU_DEP_1)
	v_add_f32_e32 v29, v29, v84
	v_ldexp_f32 v29, v29, v83
	s_delay_alu instid0(VALU_DEP_4) | instskip(NEXT) | instid1(VALU_DEP_1)
	v_add_f32_e32 v85, 1.0, v82
	v_add_f32_e32 v84, -1.0, v85
	s_delay_alu instid0(VALU_DEP_1) | instskip(NEXT) | instid1(VALU_DEP_1)
	v_sub_f32_e32 v84, v82, v84
	v_dual_add_f32 v84, v29, v84 :: v_dual_add_f32 v83, -1.0, v82
	s_delay_alu instid0(VALU_DEP_1) | instskip(SKIP_1) | instid1(VALU_DEP_2)
	v_add_f32_e32 v86, 1.0, v83
	v_cmp_eq_f32_e32 vcc_lo, 0x7f800000, v31
	v_sub_f32_e32 v82, v82, v86
	s_delay_alu instid0(VALU_DEP_4) | instskip(NEXT) | instid1(VALU_DEP_1)
	v_add_f32_e32 v86, v85, v84
	v_sub_f32_e32 v85, v85, v86
	s_delay_alu instid0(VALU_DEP_3) | instskip(SKIP_1) | instid1(VALU_DEP_2)
	v_add_f32_e32 v29, v29, v82
	v_rcp_f32_e32 v82, v86
	v_add_f32_e32 v84, v84, v85
	s_delay_alu instid0(VALU_DEP_2) | instskip(NEXT) | instid1(VALU_DEP_1)
	v_add_f32_e32 v87, v83, v29
	v_sub_f32_e32 v83, v83, v87
	s_waitcnt_depctr 0xfff
	v_dual_mul_f32 v96, v87, v82 :: v_dual_add_f32 v29, v29, v83
	s_delay_alu instid0(VALU_DEP_1) | instskip(NEXT) | instid1(VALU_DEP_1)
	v_mul_f32_e32 v97, v86, v96
	v_fma_f32 v85, v96, v86, -v97
	s_delay_alu instid0(VALU_DEP_1) | instskip(NEXT) | instid1(VALU_DEP_1)
	v_fmac_f32_e32 v85, v96, v84
	v_add_f32_e32 v98, v97, v85
	s_delay_alu instid0(VALU_DEP_1) | instskip(SKIP_1) | instid1(VALU_DEP_2)
	v_sub_f32_e32 v99, v87, v98
	v_sub_f32_e32 v83, v98, v97
	;; [unrolled: 1-line block ×3, first 2 shown]
	s_delay_alu instid0(VALU_DEP_2) | instskip(NEXT) | instid1(VALU_DEP_2)
	v_sub_f32_e32 v83, v83, v85
	v_sub_f32_e32 v87, v87, v98
	s_delay_alu instid0(VALU_DEP_1) | instskip(NEXT) | instid1(VALU_DEP_1)
	v_add_f32_e32 v29, v29, v87
	v_add_f32_e32 v29, v83, v29
	s_delay_alu instid0(VALU_DEP_1) | instskip(NEXT) | instid1(VALU_DEP_1)
	v_add_f32_e32 v83, v99, v29
	v_mul_f32_e32 v85, v82, v83
	s_delay_alu instid0(VALU_DEP_1) | instskip(NEXT) | instid1(VALU_DEP_1)
	v_dual_sub_f32 v98, v99, v83 :: v_dual_mul_f32 v87, v86, v85
	v_add_f32_e32 v29, v29, v98
	s_delay_alu instid0(VALU_DEP_2) | instskip(NEXT) | instid1(VALU_DEP_1)
	v_fma_f32 v86, v85, v86, -v87
	v_fmac_f32_e32 v86, v85, v84
	s_delay_alu instid0(VALU_DEP_1) | instskip(NEXT) | instid1(VALU_DEP_1)
	v_add_f32_e32 v84, v87, v86
	v_sub_f32_e32 v97, v83, v84
	v_sub_f32_e32 v87, v84, v87
	s_delay_alu instid0(VALU_DEP_2) | instskip(NEXT) | instid1(VALU_DEP_1)
	v_sub_f32_e32 v83, v83, v97
	v_sub_f32_e32 v83, v83, v84
	s_delay_alu instid0(VALU_DEP_1) | instskip(SKIP_1) | instid1(VALU_DEP_1)
	v_dual_sub_f32 v84, v87, v86 :: v_dual_add_f32 v29, v29, v83
	v_add_f32_e32 v83, v96, v85
	v_dual_add_f32 v29, v84, v29 :: v_dual_sub_f32 v84, v83, v96
	s_delay_alu instid0(VALU_DEP_1) | instskip(NEXT) | instid1(VALU_DEP_1)
	v_add_f32_e32 v29, v97, v29
	v_dual_sub_f32 v84, v85, v84 :: v_dual_mul_f32 v29, v82, v29
	s_delay_alu instid0(VALU_DEP_1) | instskip(NEXT) | instid1(VALU_DEP_1)
	v_add_f32_e32 v29, v84, v29
	v_add_f32_e32 v82, v83, v29
	s_delay_alu instid0(VALU_DEP_1) | instskip(NEXT) | instid1(VALU_DEP_1)
	v_mul_f32_e32 v84, v82, v82
	v_fmaak_f32 v85, s14, v84, 0x3ecc95a3
	v_mul_f32_e32 v86, v82, v84
	v_cmp_gt_f32_e64 s14, 0x33800000, |v31|
	s_delay_alu instid0(VALU_DEP_3) | instskip(SKIP_2) | instid1(VALU_DEP_4)
	v_fmaak_f32 v84, v84, v85, 0x3f2aaada
	v_ldexp_f32 v85, v82, 1
	v_sub_f32_e32 v82, v82, v83
	s_or_b32 vcc_lo, vcc_lo, s14
	s_delay_alu instid0(VALU_DEP_3) | instskip(NEXT) | instid1(VALU_DEP_2)
	v_mul_f32_e32 v84, v86, v84
	v_dual_mul_f32 v86, 0x3f317218, v28 :: v_dual_sub_f32 v29, v29, v82
	s_delay_alu instid0(VALU_DEP_2) | instskip(NEXT) | instid1(VALU_DEP_2)
	v_add_f32_e32 v83, v85, v84
	v_ldexp_f32 v29, v29, 1
	s_delay_alu instid0(VALU_DEP_2) | instskip(NEXT) | instid1(VALU_DEP_4)
	v_sub_f32_e32 v82, v83, v85
	v_fma_f32 v85, 0x3f317218, v28, -v86
	s_delay_alu instid0(VALU_DEP_2) | instskip(NEXT) | instid1(VALU_DEP_1)
	v_sub_f32_e32 v82, v84, v82
	v_dual_fmamk_f32 v28, v28, 0xb102e308, v85 :: v_dual_add_f32 v29, v29, v82
	s_delay_alu instid0(VALU_DEP_1) | instskip(NEXT) | instid1(VALU_DEP_2)
	v_add_f32_e32 v82, v86, v28
	v_add_f32_e32 v84, v83, v29
	s_delay_alu instid0(VALU_DEP_2) | instskip(NEXT) | instid1(VALU_DEP_2)
	v_sub_f32_e32 v86, v82, v86
	v_add_f32_e32 v85, v82, v84
	v_sub_f32_e32 v83, v84, v83
	s_delay_alu instid0(VALU_DEP_3) | instskip(NEXT) | instid1(VALU_DEP_3)
	v_sub_f32_e32 v28, v28, v86
	v_sub_f32_e32 v87, v85, v82
	s_delay_alu instid0(VALU_DEP_3) | instskip(NEXT) | instid1(VALU_DEP_2)
	v_sub_f32_e32 v29, v29, v83
	v_sub_f32_e32 v96, v85, v87
	;; [unrolled: 1-line block ×3, first 2 shown]
	s_delay_alu instid0(VALU_DEP_3) | instskip(NEXT) | instid1(VALU_DEP_3)
	v_add_f32_e32 v84, v28, v29
	v_sub_f32_e32 v82, v82, v96
	s_delay_alu instid0(VALU_DEP_1) | instskip(NEXT) | instid1(VALU_DEP_1)
	v_dual_add_f32 v82, v83, v82 :: v_dual_sub_f32 v83, v84, v28
	v_add_f32_e32 v82, v84, v82
	s_delay_alu instid0(VALU_DEP_2) | instskip(SKIP_1) | instid1(VALU_DEP_3)
	v_sub_f32_e32 v84, v84, v83
	v_sub_f32_e32 v29, v29, v83
	v_add_f32_e32 v86, v85, v82
	s_delay_alu instid0(VALU_DEP_1) | instskip(NEXT) | instid1(VALU_DEP_1)
	v_dual_sub_f32 v28, v28, v84 :: v_dual_sub_f32 v83, v86, v85
	v_dual_add_f32 v28, v29, v28 :: v_dual_sub_f32 v29, v82, v83
	s_delay_alu instid0(VALU_DEP_1) | instskip(NEXT) | instid1(VALU_DEP_1)
	v_add_f32_e32 v28, v28, v29
	v_add_f32_e32 v28, v86, v28
	s_delay_alu instid0(VALU_DEP_1) | instskip(NEXT) | instid1(VALU_DEP_1)
	v_cndmask_b32_e32 v28, v28, v31, vcc_lo
	v_add_f32_e32 v28, v30, v28
	s_delay_alu instid0(VALU_DEP_1) | instskip(NEXT) | instid1(VALU_DEP_1)
	v_cvt_f16_f32_e32 v28, v28
	v_mov_b32_e32 v102, v28
	v_cvt_f32_f16_e32 v29, v28
.LBB430_71:
	s_or_b32 exec_lo, exec_lo, s13
	v_cvt_f32_f16_e32 v82, v51
	s_delay_alu instid0(VALU_DEP_2) | instskip(SKIP_2) | instid1(VALU_DEP_3)
	v_max_f32_e32 v30, v29, v29
	v_cmp_u_f16_e32 vcc_lo, v28, v28
	v_cmp_u_f16_e64 s13, v51, v51
	v_min_f32_e32 v31, v30, v82
	s_delay_alu instid0(VALU_DEP_1) | instskip(NEXT) | instid1(VALU_DEP_1)
	v_dual_max_f32 v30, v30, v82 :: v_dual_cndmask_b32 v31, v31, v29
	v_cndmask_b32_e32 v30, v30, v29, vcc_lo
	s_delay_alu instid0(VALU_DEP_2) | instskip(NEXT) | instid1(VALU_DEP_2)
	v_cndmask_b32_e64 v31, v31, v82, s13
	v_cndmask_b32_e64 v30, v30, v82, s13
	s_delay_alu instid0(VALU_DEP_2) | instskip(NEXT) | instid1(VALU_DEP_2)
	v_cmp_class_f32_e64 s14, v31, 0x1f8
	v_cmp_neq_f32_e32 vcc_lo, v31, v30
	s_delay_alu instid0(VALU_DEP_2) | instskip(NEXT) | instid1(SALU_CYCLE_1)
	s_or_b32 s15, vcc_lo, s14
	s_and_saveexec_b32 s14, s15
	s_cbranch_execz .LBB430_73
; %bb.72:
	v_sub_f32_e32 v28, v31, v30
	s_mov_b32 s15, 0x3e9b6dac
	s_delay_alu instid0(VALU_DEP_1) | instskip(NEXT) | instid1(VALU_DEP_1)
	v_mul_f32_e32 v29, 0x3fb8aa3b, v28
	v_fma_f32 v31, 0x3fb8aa3b, v28, -v29
	v_rndne_f32_e32 v83, v29
	s_delay_alu instid0(VALU_DEP_1) | instskip(NEXT) | instid1(VALU_DEP_3)
	v_sub_f32_e32 v29, v29, v83
	v_fmamk_f32 v31, v28, 0x32a5705f, v31
	v_cmp_ngt_f32_e32 vcc_lo, 0xc2ce8ed0, v28
	s_delay_alu instid0(VALU_DEP_2) | instskip(SKIP_1) | instid1(VALU_DEP_2)
	v_add_f32_e32 v29, v29, v31
	v_cvt_i32_f32_e32 v31, v83
	v_exp_f32_e32 v29, v29
	s_waitcnt_depctr 0xfff
	v_ldexp_f32 v29, v29, v31
	s_delay_alu instid0(VALU_DEP_1) | instskip(SKIP_1) | instid1(VALU_DEP_2)
	v_cndmask_b32_e32 v29, 0, v29, vcc_lo
	v_cmp_nlt_f32_e32 vcc_lo, 0x42b17218, v28
	v_cndmask_b32_e32 v31, 0x7f800000, v29, vcc_lo
	s_delay_alu instid0(VALU_DEP_1) | instskip(NEXT) | instid1(VALU_DEP_1)
	v_add_f32_e32 v83, 1.0, v31
	v_cvt_f64_f32_e32 v[28:29], v83
	s_delay_alu instid0(VALU_DEP_1) | instskip(SKIP_1) | instid1(VALU_DEP_1)
	v_frexp_exp_i32_f64_e32 v28, v[28:29]
	v_frexp_mant_f32_e32 v29, v83
	v_cmp_gt_f32_e32 vcc_lo, 0x3f2aaaab, v29
	v_add_f32_e32 v29, -1.0, v83
	s_delay_alu instid0(VALU_DEP_1) | instskip(SKIP_1) | instid1(VALU_DEP_2)
	v_sub_f32_e32 v85, v29, v83
	v_sub_f32_e32 v29, v31, v29
	v_add_f32_e32 v85, 1.0, v85
	s_delay_alu instid0(VALU_DEP_1) | instskip(SKIP_1) | instid1(VALU_DEP_1)
	v_add_f32_e32 v29, v29, v85
	v_subrev_co_ci_u32_e32 v28, vcc_lo, 0, v28, vcc_lo
	v_sub_nc_u32_e32 v84, 0, v28
	v_cvt_f32_i32_e32 v28, v28
	s_delay_alu instid0(VALU_DEP_2) | instskip(SKIP_1) | instid1(VALU_DEP_2)
	v_ldexp_f32 v83, v83, v84
	v_ldexp_f32 v29, v29, v84
	v_add_f32_e32 v86, 1.0, v83
	s_delay_alu instid0(VALU_DEP_1) | instskip(NEXT) | instid1(VALU_DEP_1)
	v_dual_add_f32 v84, -1.0, v83 :: v_dual_add_f32 v85, -1.0, v86
	v_add_f32_e32 v87, 1.0, v84
	s_delay_alu instid0(VALU_DEP_2) | instskip(NEXT) | instid1(VALU_DEP_2)
	v_sub_f32_e32 v85, v83, v85
	v_sub_f32_e32 v83, v83, v87
	s_delay_alu instid0(VALU_DEP_2) | instskip(NEXT) | instid1(VALU_DEP_1)
	v_add_f32_e32 v85, v29, v85
	v_add_f32_e32 v87, v86, v85
	s_delay_alu instid0(VALU_DEP_3) | instskip(NEXT) | instid1(VALU_DEP_2)
	v_add_f32_e32 v29, v29, v83
	v_rcp_f32_e32 v83, v87
	s_delay_alu instid0(VALU_DEP_1) | instskip(SKIP_1) | instid1(VALU_DEP_1)
	v_add_f32_e32 v96, v84, v29
	v_sub_f32_e32 v86, v86, v87
	v_dual_sub_f32 v84, v84, v96 :: v_dual_add_f32 v85, v85, v86
	s_waitcnt_depctr 0xfff
	v_mul_f32_e32 v97, v96, v83
	s_delay_alu instid0(VALU_DEP_1) | instskip(NEXT) | instid1(VALU_DEP_1)
	v_dual_add_f32 v29, v29, v84 :: v_dual_mul_f32 v98, v87, v97
	v_fma_f32 v86, v97, v87, -v98
	s_delay_alu instid0(VALU_DEP_1) | instskip(NEXT) | instid1(VALU_DEP_1)
	v_fmac_f32_e32 v86, v97, v85
	v_add_f32_e32 v99, v98, v86
	s_delay_alu instid0(VALU_DEP_1) | instskip(SKIP_2) | instid1(VALU_DEP_3)
	v_sub_f32_e32 v100, v96, v99
	v_sub_f32_e32 v84, v99, v98
	v_cmp_eq_f32_e32 vcc_lo, 0x7f800000, v31
	v_sub_f32_e32 v96, v96, v100
	s_delay_alu instid0(VALU_DEP_3) | instskip(NEXT) | instid1(VALU_DEP_2)
	v_sub_f32_e32 v84, v84, v86
	v_sub_f32_e32 v96, v96, v99
	s_delay_alu instid0(VALU_DEP_1) | instskip(NEXT) | instid1(VALU_DEP_1)
	v_add_f32_e32 v29, v29, v96
	v_add_f32_e32 v29, v84, v29
	s_delay_alu instid0(VALU_DEP_1) | instskip(NEXT) | instid1(VALU_DEP_1)
	v_add_f32_e32 v84, v100, v29
	v_mul_f32_e32 v86, v83, v84
	s_delay_alu instid0(VALU_DEP_1) | instskip(NEXT) | instid1(VALU_DEP_1)
	v_dual_sub_f32 v99, v100, v84 :: v_dual_mul_f32 v96, v87, v86
	v_add_f32_e32 v29, v29, v99
	s_delay_alu instid0(VALU_DEP_2) | instskip(NEXT) | instid1(VALU_DEP_1)
	v_fma_f32 v87, v86, v87, -v96
	v_fmac_f32_e32 v87, v86, v85
	s_delay_alu instid0(VALU_DEP_1) | instskip(NEXT) | instid1(VALU_DEP_1)
	v_add_f32_e32 v85, v96, v87
	v_sub_f32_e32 v98, v84, v85
	v_sub_f32_e32 v96, v85, v96
	s_delay_alu instid0(VALU_DEP_2) | instskip(NEXT) | instid1(VALU_DEP_1)
	v_sub_f32_e32 v84, v84, v98
	v_sub_f32_e32 v84, v84, v85
	s_delay_alu instid0(VALU_DEP_3) | instskip(NEXT) | instid1(VALU_DEP_2)
	v_sub_f32_e32 v85, v96, v87
	v_add_f32_e32 v29, v29, v84
	v_add_f32_e32 v84, v97, v86
	s_delay_alu instid0(VALU_DEP_2) | instskip(NEXT) | instid1(VALU_DEP_2)
	v_add_f32_e32 v29, v85, v29
	v_sub_f32_e32 v85, v84, v97
	s_delay_alu instid0(VALU_DEP_2) | instskip(NEXT) | instid1(VALU_DEP_2)
	v_add_f32_e32 v29, v98, v29
	v_sub_f32_e32 v85, v86, v85
	s_delay_alu instid0(VALU_DEP_2) | instskip(NEXT) | instid1(VALU_DEP_1)
	v_mul_f32_e32 v29, v83, v29
	v_add_f32_e32 v29, v85, v29
	s_delay_alu instid0(VALU_DEP_1) | instskip(NEXT) | instid1(VALU_DEP_1)
	v_add_f32_e32 v83, v84, v29
	v_mul_f32_e32 v85, v83, v83
	s_delay_alu instid0(VALU_DEP_1) | instskip(SKIP_2) | instid1(VALU_DEP_3)
	v_fmaak_f32 v86, s15, v85, 0x3ecc95a3
	v_mul_f32_e32 v87, v83, v85
	v_cmp_gt_f32_e64 s15, 0x33800000, |v31|
	v_fmaak_f32 v85, v85, v86, 0x3f2aaada
	v_ldexp_f32 v86, v83, 1
	v_sub_f32_e32 v83, v83, v84
	s_delay_alu instid0(VALU_DEP_4) | instskip(NEXT) | instid1(VALU_DEP_3)
	s_or_b32 vcc_lo, vcc_lo, s15
	v_mul_f32_e32 v85, v87, v85
	v_mul_f32_e32 v87, 0x3f317218, v28
	s_delay_alu instid0(VALU_DEP_2) | instskip(NEXT) | instid1(VALU_DEP_1)
	v_dual_sub_f32 v29, v29, v83 :: v_dual_add_f32 v84, v86, v85
	v_ldexp_f32 v29, v29, 1
	s_delay_alu instid0(VALU_DEP_2) | instskip(NEXT) | instid1(VALU_DEP_4)
	v_sub_f32_e32 v83, v84, v86
	v_fma_f32 v86, 0x3f317218, v28, -v87
	s_delay_alu instid0(VALU_DEP_1) | instskip(NEXT) | instid1(VALU_DEP_1)
	v_dual_sub_f32 v83, v85, v83 :: v_dual_fmamk_f32 v28, v28, 0xb102e308, v86
	v_add_f32_e32 v29, v29, v83
	s_delay_alu instid0(VALU_DEP_2) | instskip(NEXT) | instid1(VALU_DEP_2)
	v_add_f32_e32 v83, v87, v28
	v_add_f32_e32 v85, v84, v29
	s_delay_alu instid0(VALU_DEP_2) | instskip(NEXT) | instid1(VALU_DEP_2)
	v_sub_f32_e32 v87, v83, v87
	v_add_f32_e32 v86, v83, v85
	v_sub_f32_e32 v84, v85, v84
	s_delay_alu instid0(VALU_DEP_3) | instskip(NEXT) | instid1(VALU_DEP_2)
	v_sub_f32_e32 v28, v28, v87
	v_dual_sub_f32 v96, v86, v83 :: v_dual_sub_f32 v29, v29, v84
	s_delay_alu instid0(VALU_DEP_1) | instskip(NEXT) | instid1(VALU_DEP_2)
	v_sub_f32_e32 v97, v86, v96
	v_dual_sub_f32 v84, v85, v96 :: v_dual_add_f32 v85, v28, v29
	s_delay_alu instid0(VALU_DEP_2) | instskip(NEXT) | instid1(VALU_DEP_1)
	v_sub_f32_e32 v83, v83, v97
	v_dual_add_f32 v83, v84, v83 :: v_dual_sub_f32 v84, v85, v28
	s_delay_alu instid0(VALU_DEP_1) | instskip(NEXT) | instid1(VALU_DEP_2)
	v_add_f32_e32 v83, v85, v83
	v_sub_f32_e32 v85, v85, v84
	v_sub_f32_e32 v29, v29, v84
	s_delay_alu instid0(VALU_DEP_2) | instskip(NEXT) | instid1(VALU_DEP_1)
	v_dual_add_f32 v87, v86, v83 :: v_dual_sub_f32 v28, v28, v85
	v_sub_f32_e32 v84, v87, v86
	s_delay_alu instid0(VALU_DEP_2) | instskip(NEXT) | instid1(VALU_DEP_2)
	v_add_f32_e32 v28, v29, v28
	v_sub_f32_e32 v29, v83, v84
	s_delay_alu instid0(VALU_DEP_1) | instskip(NEXT) | instid1(VALU_DEP_1)
	v_add_f32_e32 v28, v28, v29
	v_add_f32_e32 v28, v87, v28
	s_delay_alu instid0(VALU_DEP_1) | instskip(NEXT) | instid1(VALU_DEP_1)
	v_cndmask_b32_e32 v28, v28, v31, vcc_lo
	v_add_f32_e32 v28, v30, v28
	s_delay_alu instid0(VALU_DEP_1) | instskip(NEXT) | instid1(VALU_DEP_1)
	v_cvt_f16_f32_e32 v28, v28
	v_cvt_f32_f16_e32 v29, v28
	v_mov_b32_e32 v102, v28
.LBB430_73:
	s_or_b32 exec_lo, exec_lo, s14
	v_cvt_f32_f16_e32 v83, v22
	s_delay_alu instid0(VALU_DEP_3) | instskip(SKIP_2) | instid1(VALU_DEP_3)
	v_max_f32_e32 v30, v29, v29
	v_cmp_u_f16_e32 vcc_lo, v28, v28
	v_cmp_u_f16_e64 s14, v22, v22
	v_min_f32_e32 v31, v30, v83
	s_delay_alu instid0(VALU_DEP_1) | instskip(NEXT) | instid1(VALU_DEP_1)
	v_dual_max_f32 v30, v30, v83 :: v_dual_cndmask_b32 v31, v31, v29
	v_cndmask_b32_e32 v30, v30, v29, vcc_lo
	s_delay_alu instid0(VALU_DEP_2) | instskip(NEXT) | instid1(VALU_DEP_2)
	v_cndmask_b32_e64 v31, v31, v83, s14
	v_cndmask_b32_e64 v30, v30, v83, s14
	s_delay_alu instid0(VALU_DEP_2) | instskip(NEXT) | instid1(VALU_DEP_2)
	v_cmp_class_f32_e64 s15, v31, 0x1f8
	v_cmp_neq_f32_e32 vcc_lo, v31, v30
	s_delay_alu instid0(VALU_DEP_2) | instskip(NEXT) | instid1(SALU_CYCLE_1)
	s_or_b32 s16, vcc_lo, s15
	s_and_saveexec_b32 s15, s16
	s_cbranch_execz .LBB430_75
; %bb.74:
	v_sub_f32_e32 v28, v31, v30
	s_mov_b32 s16, 0x3e9b6dac
	s_delay_alu instid0(VALU_DEP_1) | instskip(NEXT) | instid1(VALU_DEP_1)
	v_mul_f32_e32 v29, 0x3fb8aa3b, v28
	v_fma_f32 v31, 0x3fb8aa3b, v28, -v29
	v_rndne_f32_e32 v84, v29
	s_delay_alu instid0(VALU_DEP_1) | instskip(NEXT) | instid1(VALU_DEP_3)
	v_sub_f32_e32 v29, v29, v84
	v_fmamk_f32 v31, v28, 0x32a5705f, v31
	v_cmp_ngt_f32_e32 vcc_lo, 0xc2ce8ed0, v28
	s_delay_alu instid0(VALU_DEP_2) | instskip(SKIP_1) | instid1(VALU_DEP_2)
	v_add_f32_e32 v29, v29, v31
	v_cvt_i32_f32_e32 v31, v84
	v_exp_f32_e32 v29, v29
	s_waitcnt_depctr 0xfff
	v_ldexp_f32 v29, v29, v31
	s_delay_alu instid0(VALU_DEP_1) | instskip(SKIP_1) | instid1(VALU_DEP_2)
	v_cndmask_b32_e32 v29, 0, v29, vcc_lo
	v_cmp_nlt_f32_e32 vcc_lo, 0x42b17218, v28
	v_cndmask_b32_e32 v31, 0x7f800000, v29, vcc_lo
	s_delay_alu instid0(VALU_DEP_1) | instskip(NEXT) | instid1(VALU_DEP_1)
	v_add_f32_e32 v84, 1.0, v31
	v_cvt_f64_f32_e32 v[28:29], v84
	s_delay_alu instid0(VALU_DEP_1) | instskip(SKIP_1) | instid1(VALU_DEP_1)
	v_frexp_exp_i32_f64_e32 v28, v[28:29]
	v_frexp_mant_f32_e32 v29, v84
	v_cmp_gt_f32_e32 vcc_lo, 0x3f2aaaab, v29
	v_add_f32_e32 v29, -1.0, v84
	s_delay_alu instid0(VALU_DEP_1) | instskip(NEXT) | instid1(VALU_DEP_1)
	v_sub_f32_e32 v86, v29, v84
	v_add_f32_e32 v86, 1.0, v86
	v_subrev_co_ci_u32_e32 v28, vcc_lo, 0, v28, vcc_lo
	s_delay_alu instid0(VALU_DEP_1) | instskip(SKIP_1) | instid1(VALU_DEP_2)
	v_sub_nc_u32_e32 v85, 0, v28
	v_cvt_f32_i32_e32 v28, v28
	v_ldexp_f32 v84, v84, v85
	v_sub_f32_e32 v29, v31, v29
	s_delay_alu instid0(VALU_DEP_1) | instskip(NEXT) | instid1(VALU_DEP_1)
	v_add_f32_e32 v29, v29, v86
	v_ldexp_f32 v29, v29, v85
	s_delay_alu instid0(VALU_DEP_4) | instskip(NEXT) | instid1(VALU_DEP_1)
	v_add_f32_e32 v87, 1.0, v84
	v_add_f32_e32 v86, -1.0, v87
	s_delay_alu instid0(VALU_DEP_1) | instskip(SKIP_1) | instid1(VALU_DEP_2)
	v_sub_f32_e32 v86, v84, v86
	v_cmp_eq_f32_e32 vcc_lo, 0x7f800000, v31
	v_dual_add_f32 v86, v29, v86 :: v_dual_add_f32 v85, -1.0, v84
	s_delay_alu instid0(VALU_DEP_1) | instskip(NEXT) | instid1(VALU_DEP_1)
	v_add_f32_e32 v96, 1.0, v85
	v_sub_f32_e32 v84, v84, v96
	s_delay_alu instid0(VALU_DEP_1) | instskip(NEXT) | instid1(VALU_DEP_1)
	v_dual_add_f32 v96, v87, v86 :: v_dual_add_f32 v29, v29, v84
	v_rcp_f32_e32 v84, v96
	v_sub_f32_e32 v87, v87, v96
	s_delay_alu instid0(VALU_DEP_1) | instskip(SKIP_3) | instid1(VALU_DEP_2)
	v_dual_add_f32 v86, v86, v87 :: v_dual_add_f32 v97, v85, v29
	s_waitcnt_depctr 0xfff
	v_mul_f32_e32 v98, v97, v84
	v_sub_f32_e32 v85, v85, v97
	v_mul_f32_e32 v99, v96, v98
	s_delay_alu instid0(VALU_DEP_1) | instskip(NEXT) | instid1(VALU_DEP_1)
	v_fma_f32 v87, v98, v96, -v99
	v_fmac_f32_e32 v87, v98, v86
	s_delay_alu instid0(VALU_DEP_1) | instskip(NEXT) | instid1(VALU_DEP_1)
	v_dual_add_f32 v100, v99, v87 :: v_dual_add_f32 v29, v29, v85
	v_dual_sub_f32 v102, v97, v100 :: v_dual_sub_f32 v85, v100, v99
	s_delay_alu instid0(VALU_DEP_1) | instskip(NEXT) | instid1(VALU_DEP_2)
	v_sub_f32_e32 v97, v97, v102
	v_sub_f32_e32 v85, v85, v87
	s_delay_alu instid0(VALU_DEP_2) | instskip(NEXT) | instid1(VALU_DEP_1)
	v_sub_f32_e32 v97, v97, v100
	v_add_f32_e32 v29, v29, v97
	s_delay_alu instid0(VALU_DEP_1) | instskip(NEXT) | instid1(VALU_DEP_1)
	v_add_f32_e32 v29, v85, v29
	v_add_f32_e32 v85, v102, v29
	s_delay_alu instid0(VALU_DEP_1) | instskip(NEXT) | instid1(VALU_DEP_1)
	v_mul_f32_e32 v87, v84, v85
	v_dual_sub_f32 v100, v102, v85 :: v_dual_mul_f32 v97, v96, v87
	s_delay_alu instid0(VALU_DEP_1) | instskip(NEXT) | instid1(VALU_DEP_2)
	v_add_f32_e32 v29, v29, v100
	v_fma_f32 v96, v87, v96, -v97
	s_delay_alu instid0(VALU_DEP_1) | instskip(NEXT) | instid1(VALU_DEP_1)
	v_fmac_f32_e32 v96, v87, v86
	v_add_f32_e32 v86, v97, v96
	s_delay_alu instid0(VALU_DEP_1) | instskip(SKIP_1) | instid1(VALU_DEP_2)
	v_sub_f32_e32 v99, v85, v86
	v_sub_f32_e32 v97, v86, v97
	;; [unrolled: 1-line block ×3, first 2 shown]
	s_delay_alu instid0(VALU_DEP_1) | instskip(NEXT) | instid1(VALU_DEP_3)
	v_sub_f32_e32 v85, v85, v86
	v_sub_f32_e32 v86, v97, v96
	s_delay_alu instid0(VALU_DEP_2) | instskip(SKIP_1) | instid1(VALU_DEP_1)
	v_add_f32_e32 v29, v29, v85
	v_add_f32_e32 v85, v98, v87
	v_dual_add_f32 v29, v86, v29 :: v_dual_sub_f32 v86, v85, v98
	s_delay_alu instid0(VALU_DEP_1) | instskip(NEXT) | instid1(VALU_DEP_1)
	v_add_f32_e32 v29, v99, v29
	v_dual_sub_f32 v86, v87, v86 :: v_dual_mul_f32 v29, v84, v29
	s_delay_alu instid0(VALU_DEP_1) | instskip(NEXT) | instid1(VALU_DEP_1)
	v_add_f32_e32 v29, v86, v29
	v_add_f32_e32 v84, v85, v29
	s_delay_alu instid0(VALU_DEP_1) | instskip(NEXT) | instid1(VALU_DEP_1)
	v_mul_f32_e32 v86, v84, v84
	v_fmaak_f32 v87, s16, v86, 0x3ecc95a3
	v_mul_f32_e32 v96, v84, v86
	v_cmp_gt_f32_e64 s16, 0x33800000, |v31|
	s_delay_alu instid0(VALU_DEP_3) | instskip(SKIP_2) | instid1(VALU_DEP_4)
	v_fmaak_f32 v86, v86, v87, 0x3f2aaada
	v_ldexp_f32 v87, v84, 1
	v_sub_f32_e32 v84, v84, v85
	s_or_b32 vcc_lo, vcc_lo, s16
	s_delay_alu instid0(VALU_DEP_3) | instskip(SKIP_1) | instid1(VALU_DEP_3)
	v_mul_f32_e32 v86, v96, v86
	v_mul_f32_e32 v96, 0x3f317218, v28
	v_sub_f32_e32 v29, v29, v84
	s_delay_alu instid0(VALU_DEP_3) | instskip(NEXT) | instid1(VALU_DEP_2)
	v_add_f32_e32 v85, v87, v86
	v_ldexp_f32 v29, v29, 1
	s_delay_alu instid0(VALU_DEP_2) | instskip(SKIP_1) | instid1(VALU_DEP_2)
	v_sub_f32_e32 v84, v85, v87
	v_fma_f32 v87, 0x3f317218, v28, -v96
	v_sub_f32_e32 v84, v86, v84
	s_delay_alu instid0(VALU_DEP_1) | instskip(NEXT) | instid1(VALU_DEP_1)
	v_dual_fmamk_f32 v28, v28, 0xb102e308, v87 :: v_dual_add_f32 v29, v29, v84
	v_add_f32_e32 v84, v96, v28
	s_delay_alu instid0(VALU_DEP_2) | instskip(NEXT) | instid1(VALU_DEP_2)
	v_add_f32_e32 v86, v85, v29
	v_sub_f32_e32 v96, v84, v96
	s_delay_alu instid0(VALU_DEP_2) | instskip(NEXT) | instid1(VALU_DEP_2)
	v_add_f32_e32 v87, v84, v86
	v_dual_sub_f32 v85, v86, v85 :: v_dual_sub_f32 v28, v28, v96
	s_delay_alu instid0(VALU_DEP_2) | instskip(NEXT) | instid1(VALU_DEP_2)
	v_sub_f32_e32 v97, v87, v84
	v_sub_f32_e32 v29, v29, v85
	s_delay_alu instid0(VALU_DEP_2) | instskip(SKIP_1) | instid1(VALU_DEP_3)
	v_sub_f32_e32 v98, v87, v97
	v_sub_f32_e32 v85, v86, v97
	v_add_f32_e32 v86, v28, v29
	s_delay_alu instid0(VALU_DEP_3) | instskip(NEXT) | instid1(VALU_DEP_1)
	v_sub_f32_e32 v84, v84, v98
	v_add_f32_e32 v84, v85, v84
	s_delay_alu instid0(VALU_DEP_3) | instskip(NEXT) | instid1(VALU_DEP_2)
	v_sub_f32_e32 v85, v86, v28
	v_add_f32_e32 v84, v86, v84
	s_delay_alu instid0(VALU_DEP_2) | instskip(NEXT) | instid1(VALU_DEP_1)
	v_sub_f32_e32 v86, v86, v85
	v_dual_sub_f32 v29, v29, v85 :: v_dual_sub_f32 v28, v28, v86
	s_delay_alu instid0(VALU_DEP_1) | instskip(NEXT) | instid1(VALU_DEP_4)
	v_add_f32_e32 v28, v29, v28
	v_add_f32_e32 v96, v87, v84
	s_delay_alu instid0(VALU_DEP_1) | instskip(NEXT) | instid1(VALU_DEP_1)
	v_sub_f32_e32 v85, v96, v87
	v_sub_f32_e32 v29, v84, v85
	s_delay_alu instid0(VALU_DEP_1) | instskip(NEXT) | instid1(VALU_DEP_1)
	v_add_f32_e32 v28, v28, v29
	v_add_f32_e32 v28, v96, v28
	s_delay_alu instid0(VALU_DEP_1) | instskip(NEXT) | instid1(VALU_DEP_1)
	v_cndmask_b32_e32 v28, v28, v31, vcc_lo
	v_add_f32_e32 v28, v30, v28
	s_delay_alu instid0(VALU_DEP_1) | instskip(NEXT) | instid1(VALU_DEP_1)
	v_cvt_f16_f32_e32 v28, v28
	v_cvt_f32_f16_e32 v29, v28
	v_mov_b32_e32 v102, v28
.LBB430_75:
	s_or_b32 exec_lo, exec_lo, s15
	v_cvt_f32_f16_e32 v84, v50
	s_delay_alu instid0(VALU_DEP_3) | instskip(SKIP_2) | instid1(VALU_DEP_3)
	v_max_f32_e32 v30, v29, v29
	v_cmp_u_f16_e32 vcc_lo, v28, v28
	v_cmp_u_f16_e64 s15, v50, v50
	v_min_f32_e32 v31, v30, v84
	s_delay_alu instid0(VALU_DEP_1) | instskip(NEXT) | instid1(VALU_DEP_1)
	v_dual_max_f32 v30, v30, v84 :: v_dual_cndmask_b32 v31, v31, v29
	v_cndmask_b32_e32 v30, v30, v29, vcc_lo
	s_delay_alu instid0(VALU_DEP_2) | instskip(NEXT) | instid1(VALU_DEP_2)
	v_cndmask_b32_e64 v31, v31, v84, s15
	v_cndmask_b32_e64 v30, v30, v84, s15
	s_delay_alu instid0(VALU_DEP_2) | instskip(NEXT) | instid1(VALU_DEP_2)
	v_cmp_class_f32_e64 s16, v31, 0x1f8
	v_cmp_neq_f32_e32 vcc_lo, v31, v30
	s_delay_alu instid0(VALU_DEP_2) | instskip(NEXT) | instid1(SALU_CYCLE_1)
	s_or_b32 s17, vcc_lo, s16
	s_and_saveexec_b32 s16, s17
	s_cbranch_execz .LBB430_77
; %bb.76:
	v_sub_f32_e32 v28, v31, v30
	s_mov_b32 s17, 0x3e9b6dac
	s_delay_alu instid0(VALU_DEP_1) | instskip(NEXT) | instid1(VALU_DEP_1)
	v_mul_f32_e32 v29, 0x3fb8aa3b, v28
	v_fma_f32 v31, 0x3fb8aa3b, v28, -v29
	v_rndne_f32_e32 v85, v29
	s_delay_alu instid0(VALU_DEP_1) | instskip(NEXT) | instid1(VALU_DEP_3)
	v_sub_f32_e32 v29, v29, v85
	v_fmamk_f32 v31, v28, 0x32a5705f, v31
	v_cmp_ngt_f32_e32 vcc_lo, 0xc2ce8ed0, v28
	s_delay_alu instid0(VALU_DEP_2) | instskip(SKIP_1) | instid1(VALU_DEP_2)
	v_add_f32_e32 v29, v29, v31
	v_cvt_i32_f32_e32 v31, v85
	v_exp_f32_e32 v29, v29
	s_waitcnt_depctr 0xfff
	v_ldexp_f32 v29, v29, v31
	s_delay_alu instid0(VALU_DEP_1) | instskip(SKIP_1) | instid1(VALU_DEP_2)
	v_cndmask_b32_e32 v29, 0, v29, vcc_lo
	v_cmp_nlt_f32_e32 vcc_lo, 0x42b17218, v28
	v_cndmask_b32_e32 v31, 0x7f800000, v29, vcc_lo
	s_delay_alu instid0(VALU_DEP_1) | instskip(NEXT) | instid1(VALU_DEP_1)
	v_add_f32_e32 v85, 1.0, v31
	v_cvt_f64_f32_e32 v[28:29], v85
	s_delay_alu instid0(VALU_DEP_1) | instskip(SKIP_1) | instid1(VALU_DEP_1)
	v_frexp_exp_i32_f64_e32 v28, v[28:29]
	v_frexp_mant_f32_e32 v29, v85
	v_cmp_gt_f32_e32 vcc_lo, 0x3f2aaaab, v29
	v_add_f32_e32 v29, -1.0, v85
	s_delay_alu instid0(VALU_DEP_1) | instskip(SKIP_1) | instid1(VALU_DEP_2)
	v_sub_f32_e32 v87, v29, v85
	v_sub_f32_e32 v29, v31, v29
	v_add_f32_e32 v87, 1.0, v87
	s_delay_alu instid0(VALU_DEP_1) | instskip(SKIP_1) | instid1(VALU_DEP_1)
	v_add_f32_e32 v29, v29, v87
	v_subrev_co_ci_u32_e32 v28, vcc_lo, 0, v28, vcc_lo
	v_sub_nc_u32_e32 v86, 0, v28
	v_cvt_f32_i32_e32 v28, v28
	s_delay_alu instid0(VALU_DEP_2) | instskip(SKIP_1) | instid1(VALU_DEP_2)
	v_ldexp_f32 v85, v85, v86
	v_ldexp_f32 v29, v29, v86
	v_add_f32_e32 v96, 1.0, v85
	s_delay_alu instid0(VALU_DEP_1) | instskip(NEXT) | instid1(VALU_DEP_1)
	v_dual_add_f32 v86, -1.0, v85 :: v_dual_add_f32 v87, -1.0, v96
	v_add_f32_e32 v97, 1.0, v86
	s_delay_alu instid0(VALU_DEP_2) | instskip(NEXT) | instid1(VALU_DEP_2)
	v_sub_f32_e32 v87, v85, v87
	v_sub_f32_e32 v85, v85, v97
	s_delay_alu instid0(VALU_DEP_2) | instskip(NEXT) | instid1(VALU_DEP_2)
	v_add_f32_e32 v87, v29, v87
	v_add_f32_e32 v29, v29, v85
	s_delay_alu instid0(VALU_DEP_1) | instskip(NEXT) | instid1(VALU_DEP_1)
	v_dual_add_f32 v97, v96, v87 :: v_dual_add_f32 v98, v86, v29
	v_rcp_f32_e32 v85, v97
	v_sub_f32_e32 v96, v96, v97
	s_delay_alu instid0(VALU_DEP_1) | instskip(NEXT) | instid1(VALU_DEP_1)
	v_dual_sub_f32 v86, v86, v98 :: v_dual_add_f32 v87, v87, v96
	v_add_f32_e32 v29, v29, v86
	s_waitcnt_depctr 0xfff
	v_mul_f32_e32 v99, v98, v85
	s_delay_alu instid0(VALU_DEP_1) | instskip(NEXT) | instid1(VALU_DEP_1)
	v_mul_f32_e32 v100, v97, v99
	v_fma_f32 v96, v99, v97, -v100
	s_delay_alu instid0(VALU_DEP_1) | instskip(SKIP_1) | instid1(VALU_DEP_2)
	v_fmac_f32_e32 v96, v99, v87
	v_cmp_eq_f32_e32 vcc_lo, 0x7f800000, v31
	v_add_f32_e32 v102, v100, v96
	s_delay_alu instid0(VALU_DEP_1) | instskip(SKIP_1) | instid1(VALU_DEP_2)
	v_sub_f32_e32 v103, v98, v102
	v_sub_f32_e32 v86, v102, v100
	;; [unrolled: 1-line block ×3, first 2 shown]
	s_delay_alu instid0(VALU_DEP_2) | instskip(NEXT) | instid1(VALU_DEP_2)
	v_sub_f32_e32 v86, v86, v96
	v_sub_f32_e32 v98, v98, v102
	s_delay_alu instid0(VALU_DEP_1) | instskip(NEXT) | instid1(VALU_DEP_1)
	v_add_f32_e32 v29, v29, v98
	v_add_f32_e32 v29, v86, v29
	s_delay_alu instid0(VALU_DEP_1) | instskip(NEXT) | instid1(VALU_DEP_1)
	v_add_f32_e32 v86, v103, v29
	v_mul_f32_e32 v96, v85, v86
	v_sub_f32_e32 v102, v103, v86
	s_delay_alu instid0(VALU_DEP_2) | instskip(NEXT) | instid1(VALU_DEP_2)
	v_mul_f32_e32 v98, v97, v96
	v_add_f32_e32 v29, v29, v102
	s_delay_alu instid0(VALU_DEP_2) | instskip(NEXT) | instid1(VALU_DEP_1)
	v_fma_f32 v97, v96, v97, -v98
	v_fmac_f32_e32 v97, v96, v87
	s_delay_alu instid0(VALU_DEP_1) | instskip(NEXT) | instid1(VALU_DEP_1)
	v_add_f32_e32 v87, v98, v97
	v_sub_f32_e32 v100, v86, v87
	v_sub_f32_e32 v98, v87, v98
	s_delay_alu instid0(VALU_DEP_2) | instskip(NEXT) | instid1(VALU_DEP_1)
	v_sub_f32_e32 v86, v86, v100
	v_sub_f32_e32 v86, v86, v87
	s_delay_alu instid0(VALU_DEP_3) | instskip(NEXT) | instid1(VALU_DEP_2)
	v_sub_f32_e32 v87, v98, v97
	v_dual_add_f32 v29, v29, v86 :: v_dual_add_f32 v86, v99, v96
	s_delay_alu instid0(VALU_DEP_1) | instskip(NEXT) | instid1(VALU_DEP_2)
	v_add_f32_e32 v29, v87, v29
	v_sub_f32_e32 v87, v86, v99
	s_delay_alu instid0(VALU_DEP_2) | instskip(NEXT) | instid1(VALU_DEP_2)
	v_add_f32_e32 v29, v100, v29
	v_sub_f32_e32 v87, v96, v87
	s_delay_alu instid0(VALU_DEP_2) | instskip(NEXT) | instid1(VALU_DEP_1)
	v_mul_f32_e32 v29, v85, v29
	v_add_f32_e32 v29, v87, v29
	s_delay_alu instid0(VALU_DEP_1) | instskip(NEXT) | instid1(VALU_DEP_1)
	v_add_f32_e32 v85, v86, v29
	v_mul_f32_e32 v87, v85, v85
	s_delay_alu instid0(VALU_DEP_1) | instskip(SKIP_2) | instid1(VALU_DEP_3)
	v_fmaak_f32 v96, s17, v87, 0x3ecc95a3
	v_mul_f32_e32 v97, v85, v87
	v_cmp_gt_f32_e64 s17, 0x33800000, |v31|
	v_fmaak_f32 v87, v87, v96, 0x3f2aaada
	v_ldexp_f32 v96, v85, 1
	v_sub_f32_e32 v85, v85, v86
	s_delay_alu instid0(VALU_DEP_4) | instskip(NEXT) | instid1(VALU_DEP_3)
	s_or_b32 vcc_lo, vcc_lo, s17
	v_mul_f32_e32 v87, v97, v87
	v_mul_f32_e32 v97, 0x3f317218, v28
	s_delay_alu instid0(VALU_DEP_2) | instskip(NEXT) | instid1(VALU_DEP_1)
	v_dual_sub_f32 v29, v29, v85 :: v_dual_add_f32 v86, v96, v87
	v_ldexp_f32 v29, v29, 1
	s_delay_alu instid0(VALU_DEP_2) | instskip(NEXT) | instid1(VALU_DEP_4)
	v_sub_f32_e32 v85, v86, v96
	v_fma_f32 v96, 0x3f317218, v28, -v97
	s_delay_alu instid0(VALU_DEP_1) | instskip(NEXT) | instid1(VALU_DEP_1)
	v_dual_sub_f32 v85, v87, v85 :: v_dual_fmamk_f32 v28, v28, 0xb102e308, v96
	v_add_f32_e32 v29, v29, v85
	s_delay_alu instid0(VALU_DEP_2) | instskip(NEXT) | instid1(VALU_DEP_2)
	v_add_f32_e32 v85, v97, v28
	v_add_f32_e32 v87, v86, v29
	s_delay_alu instid0(VALU_DEP_2) | instskip(NEXT) | instid1(VALU_DEP_2)
	v_sub_f32_e32 v97, v85, v97
	v_add_f32_e32 v96, v85, v87
	v_sub_f32_e32 v86, v87, v86
	s_delay_alu instid0(VALU_DEP_3) | instskip(NEXT) | instid1(VALU_DEP_2)
	v_sub_f32_e32 v28, v28, v97
	v_dual_sub_f32 v98, v96, v85 :: v_dual_sub_f32 v29, v29, v86
	s_delay_alu instid0(VALU_DEP_1) | instskip(NEXT) | instid1(VALU_DEP_2)
	v_sub_f32_e32 v99, v96, v98
	v_dual_sub_f32 v86, v87, v98 :: v_dual_add_f32 v87, v28, v29
	s_delay_alu instid0(VALU_DEP_2) | instskip(NEXT) | instid1(VALU_DEP_1)
	v_sub_f32_e32 v85, v85, v99
	v_dual_add_f32 v85, v86, v85 :: v_dual_sub_f32 v86, v87, v28
	s_delay_alu instid0(VALU_DEP_1) | instskip(NEXT) | instid1(VALU_DEP_2)
	v_add_f32_e32 v85, v87, v85
	v_sub_f32_e32 v87, v87, v86
	v_sub_f32_e32 v29, v29, v86
	s_delay_alu instid0(VALU_DEP_3) | instskip(NEXT) | instid1(VALU_DEP_3)
	v_add_f32_e32 v97, v96, v85
	v_sub_f32_e32 v28, v28, v87
	s_delay_alu instid0(VALU_DEP_2) | instskip(NEXT) | instid1(VALU_DEP_2)
	v_sub_f32_e32 v86, v97, v96
	v_add_f32_e32 v28, v29, v28
	s_delay_alu instid0(VALU_DEP_2) | instskip(NEXT) | instid1(VALU_DEP_1)
	v_sub_f32_e32 v29, v85, v86
	v_add_f32_e32 v28, v28, v29
	s_delay_alu instid0(VALU_DEP_1) | instskip(NEXT) | instid1(VALU_DEP_1)
	v_add_f32_e32 v28, v97, v28
	v_cndmask_b32_e32 v28, v28, v31, vcc_lo
	s_delay_alu instid0(VALU_DEP_1) | instskip(NEXT) | instid1(VALU_DEP_1)
	v_add_f32_e32 v28, v30, v28
	v_cvt_f16_f32_e32 v28, v28
	s_delay_alu instid0(VALU_DEP_1)
	v_mov_b32_e32 v102, v28
	v_cvt_f32_f16_e32 v29, v28
.LBB430_77:
	s_or_b32 exec_lo, exec_lo, s16
	v_cvt_f32_f16_e32 v85, v23
	s_delay_alu instid0(VALU_DEP_2) | instskip(SKIP_2) | instid1(VALU_DEP_3)
	v_max_f32_e32 v30, v29, v29
	v_cmp_u_f16_e32 vcc_lo, v28, v28
	v_cmp_u_f16_e64 s16, v23, v23
	v_min_f32_e32 v31, v30, v85
	v_max_f32_e32 v30, v30, v85
	s_delay_alu instid0(VALU_DEP_2) | instskip(NEXT) | instid1(VALU_DEP_2)
	v_cndmask_b32_e32 v31, v31, v29, vcc_lo
	v_cndmask_b32_e32 v30, v30, v29, vcc_lo
	s_delay_alu instid0(VALU_DEP_2) | instskip(NEXT) | instid1(VALU_DEP_2)
	v_cndmask_b32_e64 v31, v31, v85, s16
	v_cndmask_b32_e64 v30, v30, v85, s16
	s_delay_alu instid0(VALU_DEP_2) | instskip(NEXT) | instid1(VALU_DEP_2)
	v_cmp_class_f32_e64 s17, v31, 0x1f8
	v_cmp_neq_f32_e32 vcc_lo, v31, v30
	s_delay_alu instid0(VALU_DEP_2) | instskip(NEXT) | instid1(SALU_CYCLE_1)
	s_or_b32 s18, vcc_lo, s17
	s_and_saveexec_b32 s17, s18
	s_cbranch_execz .LBB430_79
; %bb.78:
	v_sub_f32_e32 v28, v31, v30
	s_mov_b32 s18, 0x3e9b6dac
	s_delay_alu instid0(VALU_DEP_1) | instskip(NEXT) | instid1(VALU_DEP_1)
	v_mul_f32_e32 v29, 0x3fb8aa3b, v28
	v_fma_f32 v31, 0x3fb8aa3b, v28, -v29
	v_rndne_f32_e32 v86, v29
	s_delay_alu instid0(VALU_DEP_2) | instskip(NEXT) | instid1(VALU_DEP_2)
	v_fmamk_f32 v31, v28, 0x32a5705f, v31
	v_sub_f32_e32 v29, v29, v86
	s_delay_alu instid0(VALU_DEP_1) | instskip(SKIP_2) | instid1(VALU_DEP_3)
	v_add_f32_e32 v29, v29, v31
	v_cvt_i32_f32_e32 v31, v86
	v_cmp_ngt_f32_e32 vcc_lo, 0xc2ce8ed0, v28
	v_exp_f32_e32 v29, v29
	s_waitcnt_depctr 0xfff
	v_ldexp_f32 v29, v29, v31
	s_delay_alu instid0(VALU_DEP_1) | instskip(SKIP_1) | instid1(VALU_DEP_2)
	v_cndmask_b32_e32 v29, 0, v29, vcc_lo
	v_cmp_nlt_f32_e32 vcc_lo, 0x42b17218, v28
	v_cndmask_b32_e32 v31, 0x7f800000, v29, vcc_lo
	s_delay_alu instid0(VALU_DEP_1) | instskip(NEXT) | instid1(VALU_DEP_1)
	v_add_f32_e32 v86, 1.0, v31
	v_cvt_f64_f32_e32 v[28:29], v86
	s_delay_alu instid0(VALU_DEP_1) | instskip(SKIP_1) | instid1(VALU_DEP_1)
	v_frexp_exp_i32_f64_e32 v28, v[28:29]
	v_frexp_mant_f32_e32 v29, v86
	v_cmp_gt_f32_e32 vcc_lo, 0x3f2aaaab, v29
	v_add_f32_e32 v29, -1.0, v86
	s_delay_alu instid0(VALU_DEP_1) | instskip(NEXT) | instid1(VALU_DEP_1)
	v_sub_f32_e32 v96, v29, v86
	v_add_f32_e32 v96, 1.0, v96
	v_subrev_co_ci_u32_e32 v28, vcc_lo, 0, v28, vcc_lo
	s_delay_alu instid0(VALU_DEP_1) | instskip(SKIP_1) | instid1(VALU_DEP_2)
	v_sub_nc_u32_e32 v87, 0, v28
	v_cvt_f32_i32_e32 v28, v28
	v_ldexp_f32 v86, v86, v87
	v_sub_f32_e32 v29, v31, v29
	s_delay_alu instid0(VALU_DEP_1) | instskip(NEXT) | instid1(VALU_DEP_1)
	v_add_f32_e32 v29, v29, v96
	v_ldexp_f32 v29, v29, v87
	s_delay_alu instid0(VALU_DEP_4) | instskip(NEXT) | instid1(VALU_DEP_1)
	v_add_f32_e32 v97, 1.0, v86
	v_add_f32_e32 v96, -1.0, v97
	s_delay_alu instid0(VALU_DEP_1) | instskip(NEXT) | instid1(VALU_DEP_1)
	v_sub_f32_e32 v96, v86, v96
	v_dual_add_f32 v96, v29, v96 :: v_dual_add_f32 v87, -1.0, v86
	s_delay_alu instid0(VALU_DEP_1) | instskip(SKIP_1) | instid1(VALU_DEP_2)
	v_add_f32_e32 v98, 1.0, v87
	v_cmp_eq_f32_e32 vcc_lo, 0x7f800000, v31
	v_sub_f32_e32 v86, v86, v98
	s_delay_alu instid0(VALU_DEP_4) | instskip(NEXT) | instid1(VALU_DEP_2)
	v_add_f32_e32 v98, v97, v96
	v_add_f32_e32 v29, v29, v86
	s_delay_alu instid0(VALU_DEP_2) | instskip(SKIP_1) | instid1(VALU_DEP_1)
	v_rcp_f32_e32 v86, v98
	v_sub_f32_e32 v97, v97, v98
	v_add_f32_e32 v96, v96, v97
	s_delay_alu instid0(VALU_DEP_3) | instskip(SKIP_2) | instid1(VALU_DEP_1)
	v_add_f32_e32 v99, v87, v29
	s_waitcnt_depctr 0xfff
	v_mul_f32_e32 v100, v99, v86
	v_dual_sub_f32 v87, v87, v99 :: v_dual_mul_f32 v102, v98, v100
	s_delay_alu instid0(VALU_DEP_1) | instskip(NEXT) | instid1(VALU_DEP_2)
	v_add_f32_e32 v29, v29, v87
	v_fma_f32 v97, v100, v98, -v102
	s_delay_alu instid0(VALU_DEP_1) | instskip(NEXT) | instid1(VALU_DEP_1)
	v_fmac_f32_e32 v97, v100, v96
	v_add_f32_e32 v103, v102, v97
	s_delay_alu instid0(VALU_DEP_1) | instskip(SKIP_1) | instid1(VALU_DEP_2)
	v_sub_f32_e32 v112, v99, v103
	v_sub_f32_e32 v87, v103, v102
	;; [unrolled: 1-line block ×3, first 2 shown]
	s_delay_alu instid0(VALU_DEP_2) | instskip(NEXT) | instid1(VALU_DEP_2)
	v_sub_f32_e32 v87, v87, v97
	v_sub_f32_e32 v99, v99, v103
	s_delay_alu instid0(VALU_DEP_1) | instskip(NEXT) | instid1(VALU_DEP_1)
	v_add_f32_e32 v29, v29, v99
	v_add_f32_e32 v29, v87, v29
	s_delay_alu instid0(VALU_DEP_1) | instskip(NEXT) | instid1(VALU_DEP_1)
	v_add_f32_e32 v87, v112, v29
	v_mul_f32_e32 v97, v86, v87
	v_sub_f32_e32 v103, v112, v87
	s_delay_alu instid0(VALU_DEP_2) | instskip(NEXT) | instid1(VALU_DEP_2)
	v_mul_f32_e32 v99, v98, v97
	v_add_f32_e32 v29, v29, v103
	s_delay_alu instid0(VALU_DEP_2) | instskip(NEXT) | instid1(VALU_DEP_1)
	v_fma_f32 v98, v97, v98, -v99
	v_fmac_f32_e32 v98, v97, v96
	s_delay_alu instid0(VALU_DEP_1) | instskip(NEXT) | instid1(VALU_DEP_1)
	v_add_f32_e32 v96, v99, v98
	v_dual_sub_f32 v102, v87, v96 :: v_dual_sub_f32 v99, v96, v99
	s_delay_alu instid0(VALU_DEP_1) | instskip(NEXT) | instid1(VALU_DEP_1)
	v_sub_f32_e32 v87, v87, v102
	v_sub_f32_e32 v87, v87, v96
	s_delay_alu instid0(VALU_DEP_1) | instskip(SKIP_1) | instid1(VALU_DEP_1)
	v_dual_sub_f32 v96, v99, v98 :: v_dual_add_f32 v29, v29, v87
	v_add_f32_e32 v87, v100, v97
	v_dual_add_f32 v29, v96, v29 :: v_dual_sub_f32 v96, v87, v100
	s_delay_alu instid0(VALU_DEP_1) | instskip(NEXT) | instid1(VALU_DEP_1)
	v_dual_add_f32 v29, v102, v29 :: v_dual_sub_f32 v96, v97, v96
	v_mul_f32_e32 v29, v86, v29
	s_delay_alu instid0(VALU_DEP_1) | instskip(NEXT) | instid1(VALU_DEP_1)
	v_add_f32_e32 v29, v96, v29
	v_add_f32_e32 v86, v87, v29
	s_delay_alu instid0(VALU_DEP_1) | instskip(NEXT) | instid1(VALU_DEP_1)
	v_mul_f32_e32 v96, v86, v86
	v_fmaak_f32 v97, s18, v96, 0x3ecc95a3
	v_mul_f32_e32 v98, v86, v96
	v_cmp_gt_f32_e64 s18, 0x33800000, |v31|
	s_delay_alu instid0(VALU_DEP_3) | instskip(SKIP_2) | instid1(VALU_DEP_4)
	v_fmaak_f32 v96, v96, v97, 0x3f2aaada
	v_ldexp_f32 v97, v86, 1
	v_sub_f32_e32 v86, v86, v87
	s_or_b32 vcc_lo, vcc_lo, s18
	s_delay_alu instid0(VALU_DEP_3) | instskip(NEXT) | instid1(VALU_DEP_2)
	v_mul_f32_e32 v96, v98, v96
	v_dual_mul_f32 v98, 0x3f317218, v28 :: v_dual_sub_f32 v29, v29, v86
	s_delay_alu instid0(VALU_DEP_2) | instskip(NEXT) | instid1(VALU_DEP_2)
	v_add_f32_e32 v87, v97, v96
	v_ldexp_f32 v29, v29, 1
	s_delay_alu instid0(VALU_DEP_2) | instskip(NEXT) | instid1(VALU_DEP_4)
	v_sub_f32_e32 v86, v87, v97
	v_fma_f32 v97, 0x3f317218, v28, -v98
	s_delay_alu instid0(VALU_DEP_2) | instskip(NEXT) | instid1(VALU_DEP_1)
	v_sub_f32_e32 v86, v96, v86
	v_dual_fmamk_f32 v28, v28, 0xb102e308, v97 :: v_dual_add_f32 v29, v29, v86
	s_delay_alu instid0(VALU_DEP_1) | instskip(NEXT) | instid1(VALU_DEP_2)
	v_add_f32_e32 v86, v98, v28
	v_add_f32_e32 v96, v87, v29
	s_delay_alu instid0(VALU_DEP_2) | instskip(NEXT) | instid1(VALU_DEP_2)
	v_sub_f32_e32 v98, v86, v98
	v_add_f32_e32 v97, v86, v96
	v_sub_f32_e32 v87, v96, v87
	s_delay_alu instid0(VALU_DEP_3) | instskip(NEXT) | instid1(VALU_DEP_3)
	v_sub_f32_e32 v28, v28, v98
	v_sub_f32_e32 v99, v97, v86
	s_delay_alu instid0(VALU_DEP_3) | instskip(NEXT) | instid1(VALU_DEP_2)
	v_sub_f32_e32 v29, v29, v87
	v_sub_f32_e32 v100, v97, v99
	;; [unrolled: 1-line block ×3, first 2 shown]
	s_delay_alu instid0(VALU_DEP_3) | instskip(NEXT) | instid1(VALU_DEP_3)
	v_add_f32_e32 v96, v28, v29
	v_sub_f32_e32 v86, v86, v100
	s_delay_alu instid0(VALU_DEP_1) | instskip(NEXT) | instid1(VALU_DEP_1)
	v_dual_add_f32 v86, v87, v86 :: v_dual_sub_f32 v87, v96, v28
	v_add_f32_e32 v86, v96, v86
	s_delay_alu instid0(VALU_DEP_2) | instskip(SKIP_1) | instid1(VALU_DEP_3)
	v_sub_f32_e32 v96, v96, v87
	v_sub_f32_e32 v29, v29, v87
	v_add_f32_e32 v98, v97, v86
	s_delay_alu instid0(VALU_DEP_1) | instskip(NEXT) | instid1(VALU_DEP_1)
	v_dual_sub_f32 v28, v28, v96 :: v_dual_sub_f32 v87, v98, v97
	v_dual_add_f32 v28, v29, v28 :: v_dual_sub_f32 v29, v86, v87
	s_delay_alu instid0(VALU_DEP_1) | instskip(NEXT) | instid1(VALU_DEP_1)
	v_add_f32_e32 v28, v28, v29
	v_add_f32_e32 v28, v98, v28
	s_delay_alu instid0(VALU_DEP_1) | instskip(NEXT) | instid1(VALU_DEP_1)
	v_cndmask_b32_e32 v28, v28, v31, vcc_lo
	v_add_f32_e32 v28, v30, v28
	s_delay_alu instid0(VALU_DEP_1) | instskip(NEXT) | instid1(VALU_DEP_1)
	v_cvt_f16_f32_e32 v28, v28
	v_cvt_f32_f16_e32 v29, v28
	v_mov_b32_e32 v102, v28
.LBB430_79:
	s_or_b32 exec_lo, exec_lo, s17
	v_cvt_f32_f16_e32 v86, v49
	s_delay_alu instid0(VALU_DEP_3) | instskip(SKIP_2) | instid1(VALU_DEP_3)
	v_max_f32_e32 v30, v29, v29
	v_cmp_u_f16_e32 vcc_lo, v28, v28
	v_cmp_u_f16_e64 s17, v49, v49
	v_min_f32_e32 v31, v30, v86
	s_delay_alu instid0(VALU_DEP_1) | instskip(NEXT) | instid1(VALU_DEP_1)
	v_dual_max_f32 v30, v30, v86 :: v_dual_cndmask_b32 v31, v31, v29
	v_cndmask_b32_e32 v30, v30, v29, vcc_lo
	s_delay_alu instid0(VALU_DEP_2) | instskip(NEXT) | instid1(VALU_DEP_2)
	v_cndmask_b32_e64 v31, v31, v86, s17
	v_cndmask_b32_e64 v30, v30, v86, s17
	s_delay_alu instid0(VALU_DEP_2) | instskip(NEXT) | instid1(VALU_DEP_2)
	v_cmp_class_f32_e64 s18, v31, 0x1f8
	v_cmp_neq_f32_e32 vcc_lo, v31, v30
	s_delay_alu instid0(VALU_DEP_2) | instskip(NEXT) | instid1(SALU_CYCLE_1)
	s_or_b32 s19, vcc_lo, s18
	s_and_saveexec_b32 s18, s19
	s_cbranch_execz .LBB430_81
; %bb.80:
	v_sub_f32_e32 v28, v31, v30
	s_mov_b32 s19, 0x3e9b6dac
	s_delay_alu instid0(VALU_DEP_1) | instskip(NEXT) | instid1(VALU_DEP_1)
	v_mul_f32_e32 v29, 0x3fb8aa3b, v28
	v_fma_f32 v31, 0x3fb8aa3b, v28, -v29
	v_rndne_f32_e32 v87, v29
	s_delay_alu instid0(VALU_DEP_1) | instskip(NEXT) | instid1(VALU_DEP_3)
	v_sub_f32_e32 v29, v29, v87
	v_fmamk_f32 v31, v28, 0x32a5705f, v31
	v_cmp_ngt_f32_e32 vcc_lo, 0xc2ce8ed0, v28
	s_delay_alu instid0(VALU_DEP_2) | instskip(SKIP_1) | instid1(VALU_DEP_2)
	v_add_f32_e32 v29, v29, v31
	v_cvt_i32_f32_e32 v31, v87
	v_exp_f32_e32 v29, v29
	s_waitcnt_depctr 0xfff
	v_ldexp_f32 v29, v29, v31
	s_delay_alu instid0(VALU_DEP_1) | instskip(SKIP_1) | instid1(VALU_DEP_2)
	v_cndmask_b32_e32 v29, 0, v29, vcc_lo
	v_cmp_nlt_f32_e32 vcc_lo, 0x42b17218, v28
	v_cndmask_b32_e32 v31, 0x7f800000, v29, vcc_lo
	s_delay_alu instid0(VALU_DEP_1) | instskip(NEXT) | instid1(VALU_DEP_1)
	v_add_f32_e32 v87, 1.0, v31
	v_cvt_f64_f32_e32 v[28:29], v87
	s_delay_alu instid0(VALU_DEP_1) | instskip(SKIP_1) | instid1(VALU_DEP_1)
	v_frexp_exp_i32_f64_e32 v28, v[28:29]
	v_frexp_mant_f32_e32 v29, v87
	v_cmp_gt_f32_e32 vcc_lo, 0x3f2aaaab, v29
	v_add_f32_e32 v29, -1.0, v87
	s_delay_alu instid0(VALU_DEP_1) | instskip(SKIP_1) | instid1(VALU_DEP_2)
	v_sub_f32_e32 v97, v29, v87
	v_sub_f32_e32 v29, v31, v29
	v_add_f32_e32 v97, 1.0, v97
	s_delay_alu instid0(VALU_DEP_1) | instskip(SKIP_1) | instid1(VALU_DEP_1)
	v_add_f32_e32 v29, v29, v97
	v_subrev_co_ci_u32_e32 v28, vcc_lo, 0, v28, vcc_lo
	v_sub_nc_u32_e32 v96, 0, v28
	v_cvt_f32_i32_e32 v28, v28
	s_delay_alu instid0(VALU_DEP_2) | instskip(SKIP_1) | instid1(VALU_DEP_2)
	v_ldexp_f32 v87, v87, v96
	v_ldexp_f32 v29, v29, v96
	v_add_f32_e32 v98, 1.0, v87
	s_delay_alu instid0(VALU_DEP_1) | instskip(NEXT) | instid1(VALU_DEP_1)
	v_dual_add_f32 v96, -1.0, v87 :: v_dual_add_f32 v97, -1.0, v98
	v_add_f32_e32 v99, 1.0, v96
	s_delay_alu instid0(VALU_DEP_2) | instskip(NEXT) | instid1(VALU_DEP_2)
	v_sub_f32_e32 v97, v87, v97
	v_sub_f32_e32 v87, v87, v99
	s_delay_alu instid0(VALU_DEP_2) | instskip(NEXT) | instid1(VALU_DEP_1)
	v_add_f32_e32 v97, v29, v97
	v_add_f32_e32 v99, v98, v97
	s_delay_alu instid0(VALU_DEP_3) | instskip(NEXT) | instid1(VALU_DEP_2)
	v_add_f32_e32 v29, v29, v87
	v_rcp_f32_e32 v87, v99
	s_delay_alu instid0(VALU_DEP_1) | instskip(SKIP_2) | instid1(VALU_DEP_2)
	v_add_f32_e32 v100, v96, v29
	v_sub_f32_e32 v98, v98, v99
	v_cmp_eq_f32_e32 vcc_lo, 0x7f800000, v31
	v_dual_sub_f32 v96, v96, v100 :: v_dual_add_f32 v97, v97, v98
	s_waitcnt_depctr 0xfff
	v_dual_mul_f32 v102, v100, v87 :: v_dual_add_f32 v29, v29, v96
	s_delay_alu instid0(VALU_DEP_1) | instskip(NEXT) | instid1(VALU_DEP_1)
	v_mul_f32_e32 v103, v99, v102
	v_fma_f32 v98, v102, v99, -v103
	s_delay_alu instid0(VALU_DEP_1) | instskip(NEXT) | instid1(VALU_DEP_1)
	v_fmac_f32_e32 v98, v102, v97
	v_add_f32_e32 v112, v103, v98
	s_delay_alu instid0(VALU_DEP_1) | instskip(SKIP_1) | instid1(VALU_DEP_2)
	v_sub_f32_e32 v113, v100, v112
	v_sub_f32_e32 v96, v112, v103
	;; [unrolled: 1-line block ×3, first 2 shown]
	s_delay_alu instid0(VALU_DEP_2) | instskip(NEXT) | instid1(VALU_DEP_2)
	v_sub_f32_e32 v96, v96, v98
	v_sub_f32_e32 v100, v100, v112
	s_delay_alu instid0(VALU_DEP_1) | instskip(NEXT) | instid1(VALU_DEP_1)
	v_add_f32_e32 v29, v29, v100
	v_add_f32_e32 v29, v96, v29
	s_delay_alu instid0(VALU_DEP_1) | instskip(NEXT) | instid1(VALU_DEP_1)
	v_add_f32_e32 v96, v113, v29
	v_mul_f32_e32 v98, v87, v96
	v_sub_f32_e32 v112, v113, v96
	s_delay_alu instid0(VALU_DEP_1) | instskip(NEXT) | instid1(VALU_DEP_1)
	v_dual_mul_f32 v100, v99, v98 :: v_dual_add_f32 v29, v29, v112
	v_fma_f32 v99, v98, v99, -v100
	s_delay_alu instid0(VALU_DEP_1) | instskip(NEXT) | instid1(VALU_DEP_1)
	v_fmac_f32_e32 v99, v98, v97
	v_add_f32_e32 v97, v100, v99
	s_delay_alu instid0(VALU_DEP_1) | instskip(NEXT) | instid1(VALU_DEP_1)
	v_dual_sub_f32 v103, v96, v97 :: v_dual_sub_f32 v100, v97, v100
	v_sub_f32_e32 v96, v96, v103
	s_delay_alu instid0(VALU_DEP_1) | instskip(NEXT) | instid1(VALU_DEP_3)
	v_sub_f32_e32 v96, v96, v97
	v_sub_f32_e32 v97, v100, v99
	s_delay_alu instid0(VALU_DEP_2) | instskip(NEXT) | instid1(VALU_DEP_1)
	v_dual_add_f32 v29, v29, v96 :: v_dual_add_f32 v96, v102, v98
	v_add_f32_e32 v29, v97, v29
	s_delay_alu instid0(VALU_DEP_2) | instskip(NEXT) | instid1(VALU_DEP_2)
	v_sub_f32_e32 v97, v96, v102
	v_add_f32_e32 v29, v103, v29
	s_delay_alu instid0(VALU_DEP_2) | instskip(NEXT) | instid1(VALU_DEP_2)
	v_sub_f32_e32 v97, v98, v97
	v_mul_f32_e32 v29, v87, v29
	s_delay_alu instid0(VALU_DEP_1) | instskip(NEXT) | instid1(VALU_DEP_1)
	v_add_f32_e32 v29, v97, v29
	v_add_f32_e32 v87, v96, v29
	s_delay_alu instid0(VALU_DEP_1) | instskip(NEXT) | instid1(VALU_DEP_1)
	v_mul_f32_e32 v97, v87, v87
	v_fmaak_f32 v98, s19, v97, 0x3ecc95a3
	v_mul_f32_e32 v99, v87, v97
	v_cmp_gt_f32_e64 s19, 0x33800000, |v31|
	s_delay_alu instid0(VALU_DEP_3) | instskip(SKIP_2) | instid1(VALU_DEP_4)
	v_fmaak_f32 v97, v97, v98, 0x3f2aaada
	v_ldexp_f32 v98, v87, 1
	v_sub_f32_e32 v87, v87, v96
	s_or_b32 vcc_lo, vcc_lo, s19
	s_delay_alu instid0(VALU_DEP_3) | instskip(SKIP_1) | instid1(VALU_DEP_2)
	v_mul_f32_e32 v97, v99, v97
	v_mul_f32_e32 v99, 0x3f317218, v28
	v_dual_sub_f32 v29, v29, v87 :: v_dual_add_f32 v96, v98, v97
	s_delay_alu instid0(VALU_DEP_1) | instskip(NEXT) | instid1(VALU_DEP_2)
	v_ldexp_f32 v29, v29, 1
	v_sub_f32_e32 v87, v96, v98
	s_delay_alu instid0(VALU_DEP_4) | instskip(NEXT) | instid1(VALU_DEP_1)
	v_fma_f32 v98, 0x3f317218, v28, -v99
	v_dual_sub_f32 v87, v97, v87 :: v_dual_fmamk_f32 v28, v28, 0xb102e308, v98
	s_delay_alu instid0(VALU_DEP_1) | instskip(NEXT) | instid1(VALU_DEP_2)
	v_add_f32_e32 v29, v29, v87
	v_add_f32_e32 v87, v99, v28
	s_delay_alu instid0(VALU_DEP_2) | instskip(NEXT) | instid1(VALU_DEP_2)
	v_add_f32_e32 v97, v96, v29
	v_sub_f32_e32 v99, v87, v99
	s_delay_alu instid0(VALU_DEP_2) | instskip(SKIP_1) | instid1(VALU_DEP_3)
	v_add_f32_e32 v98, v87, v97
	v_sub_f32_e32 v96, v97, v96
	v_sub_f32_e32 v28, v28, v99
	s_delay_alu instid0(VALU_DEP_2) | instskip(NEXT) | instid1(VALU_DEP_1)
	v_dual_sub_f32 v100, v98, v87 :: v_dual_sub_f32 v29, v29, v96
	v_sub_f32_e32 v102, v98, v100
	s_delay_alu instid0(VALU_DEP_2) | instskip(NEXT) | instid1(VALU_DEP_2)
	v_dual_sub_f32 v96, v97, v100 :: v_dual_add_f32 v97, v28, v29
	v_sub_f32_e32 v87, v87, v102
	s_delay_alu instid0(VALU_DEP_1) | instskip(NEXT) | instid1(VALU_DEP_1)
	v_dual_add_f32 v87, v96, v87 :: v_dual_sub_f32 v96, v97, v28
	v_add_f32_e32 v87, v97, v87
	s_delay_alu instid0(VALU_DEP_2) | instskip(SKIP_1) | instid1(VALU_DEP_2)
	v_sub_f32_e32 v97, v97, v96
	v_sub_f32_e32 v29, v29, v96
	v_dual_add_f32 v99, v98, v87 :: v_dual_sub_f32 v28, v28, v97
	s_delay_alu instid0(VALU_DEP_1) | instskip(NEXT) | instid1(VALU_DEP_2)
	v_sub_f32_e32 v96, v99, v98
	v_add_f32_e32 v28, v29, v28
	s_delay_alu instid0(VALU_DEP_2) | instskip(NEXT) | instid1(VALU_DEP_1)
	v_sub_f32_e32 v29, v87, v96
	v_add_f32_e32 v28, v28, v29
	s_delay_alu instid0(VALU_DEP_1) | instskip(NEXT) | instid1(VALU_DEP_1)
	v_add_f32_e32 v28, v99, v28
	v_cndmask_b32_e32 v28, v28, v31, vcc_lo
	s_delay_alu instid0(VALU_DEP_1) | instskip(NEXT) | instid1(VALU_DEP_1)
	v_add_f32_e32 v28, v30, v28
	v_cvt_f16_f32_e32 v28, v28
	s_delay_alu instid0(VALU_DEP_1)
	v_cvt_f32_f16_e32 v29, v28
	v_mov_b32_e32 v102, v28
.LBB430_81:
	s_or_b32 exec_lo, exec_lo, s18
	v_cvt_f32_f16_e32 v87, v16
	s_delay_alu instid0(VALU_DEP_3) | instskip(SKIP_2) | instid1(VALU_DEP_3)
	v_max_f32_e32 v30, v29, v29
	v_cmp_u_f16_e32 vcc_lo, v28, v28
	v_cmp_u_f16_e64 s18, v16, v16
	v_min_f32_e32 v31, v30, v87
	s_delay_alu instid0(VALU_DEP_1) | instskip(NEXT) | instid1(VALU_DEP_1)
	v_dual_max_f32 v30, v30, v87 :: v_dual_cndmask_b32 v31, v31, v29
	v_cndmask_b32_e32 v30, v30, v29, vcc_lo
	s_delay_alu instid0(VALU_DEP_2) | instskip(NEXT) | instid1(VALU_DEP_2)
	v_cndmask_b32_e64 v31, v31, v87, s18
	v_cndmask_b32_e64 v30, v30, v87, s18
	s_delay_alu instid0(VALU_DEP_2) | instskip(NEXT) | instid1(VALU_DEP_2)
	v_cmp_class_f32_e64 s19, v31, 0x1f8
	v_cmp_neq_f32_e32 vcc_lo, v31, v30
	s_delay_alu instid0(VALU_DEP_2) | instskip(NEXT) | instid1(SALU_CYCLE_1)
	s_or_b32 s20, vcc_lo, s19
	s_and_saveexec_b32 s19, s20
	s_cbranch_execz .LBB430_83
; %bb.82:
	v_sub_f32_e32 v28, v31, v30
	s_mov_b32 s20, 0x3e9b6dac
	s_delay_alu instid0(VALU_DEP_1) | instskip(NEXT) | instid1(VALU_DEP_1)
	v_mul_f32_e32 v29, 0x3fb8aa3b, v28
	v_fma_f32 v31, 0x3fb8aa3b, v28, -v29
	v_rndne_f32_e32 v96, v29
	s_delay_alu instid0(VALU_DEP_1) | instskip(NEXT) | instid1(VALU_DEP_3)
	v_sub_f32_e32 v29, v29, v96
	v_fmamk_f32 v31, v28, 0x32a5705f, v31
	v_cmp_ngt_f32_e32 vcc_lo, 0xc2ce8ed0, v28
	s_delay_alu instid0(VALU_DEP_2) | instskip(SKIP_1) | instid1(VALU_DEP_2)
	v_add_f32_e32 v29, v29, v31
	v_cvt_i32_f32_e32 v31, v96
	v_exp_f32_e32 v29, v29
	s_waitcnt_depctr 0xfff
	v_ldexp_f32 v29, v29, v31
	s_delay_alu instid0(VALU_DEP_1) | instskip(SKIP_1) | instid1(VALU_DEP_2)
	v_cndmask_b32_e32 v29, 0, v29, vcc_lo
	v_cmp_nlt_f32_e32 vcc_lo, 0x42b17218, v28
	v_cndmask_b32_e32 v31, 0x7f800000, v29, vcc_lo
	s_delay_alu instid0(VALU_DEP_1) | instskip(NEXT) | instid1(VALU_DEP_1)
	v_add_f32_e32 v96, 1.0, v31
	v_cvt_f64_f32_e32 v[28:29], v96
	s_delay_alu instid0(VALU_DEP_1) | instskip(SKIP_1) | instid1(VALU_DEP_1)
	v_frexp_exp_i32_f64_e32 v28, v[28:29]
	v_frexp_mant_f32_e32 v29, v96
	v_cmp_gt_f32_e32 vcc_lo, 0x3f2aaaab, v29
	v_add_f32_e32 v29, -1.0, v96
	s_delay_alu instid0(VALU_DEP_1) | instskip(NEXT) | instid1(VALU_DEP_1)
	v_sub_f32_e32 v98, v29, v96
	v_add_f32_e32 v98, 1.0, v98
	v_subrev_co_ci_u32_e32 v28, vcc_lo, 0, v28, vcc_lo
	s_delay_alu instid0(VALU_DEP_1) | instskip(SKIP_1) | instid1(VALU_DEP_2)
	v_sub_nc_u32_e32 v97, 0, v28
	v_cvt_f32_i32_e32 v28, v28
	v_ldexp_f32 v96, v96, v97
	v_sub_f32_e32 v29, v31, v29
	s_delay_alu instid0(VALU_DEP_1) | instskip(NEXT) | instid1(VALU_DEP_1)
	v_add_f32_e32 v29, v29, v98
	v_ldexp_f32 v29, v29, v97
	s_delay_alu instid0(VALU_DEP_4) | instskip(NEXT) | instid1(VALU_DEP_1)
	v_add_f32_e32 v99, 1.0, v96
	v_add_f32_e32 v98, -1.0, v99
	s_delay_alu instid0(VALU_DEP_1) | instskip(SKIP_1) | instid1(VALU_DEP_2)
	v_sub_f32_e32 v98, v96, v98
	v_cmp_eq_f32_e32 vcc_lo, 0x7f800000, v31
	v_dual_add_f32 v98, v29, v98 :: v_dual_add_f32 v97, -1.0, v96
	s_delay_alu instid0(VALU_DEP_1) | instskip(NEXT) | instid1(VALU_DEP_1)
	v_add_f32_e32 v100, 1.0, v97
	v_sub_f32_e32 v96, v96, v100
	s_delay_alu instid0(VALU_DEP_3) | instskip(NEXT) | instid1(VALU_DEP_1)
	v_add_f32_e32 v100, v99, v98
	v_sub_f32_e32 v99, v99, v100
	s_delay_alu instid0(VALU_DEP_3) | instskip(SKIP_1) | instid1(VALU_DEP_2)
	v_add_f32_e32 v29, v29, v96
	v_rcp_f32_e32 v96, v100
	v_add_f32_e32 v98, v98, v99
	s_delay_alu instid0(VALU_DEP_2) | instskip(SKIP_2) | instid1(VALU_DEP_1)
	v_add_f32_e32 v102, v97, v29
	s_waitcnt_depctr 0xfff
	v_mul_f32_e32 v103, v102, v96
	v_mul_f32_e32 v112, v100, v103
	s_delay_alu instid0(VALU_DEP_1) | instskip(NEXT) | instid1(VALU_DEP_1)
	v_fma_f32 v99, v103, v100, -v112
	v_fmac_f32_e32 v99, v103, v98
	s_delay_alu instid0(VALU_DEP_1) | instskip(NEXT) | instid1(VALU_DEP_1)
	v_add_f32_e32 v113, v112, v99
	v_dual_sub_f32 v97, v97, v102 :: v_dual_sub_f32 v114, v102, v113
	s_delay_alu instid0(VALU_DEP_1) | instskip(NEXT) | instid1(VALU_DEP_1)
	v_sub_f32_e32 v102, v102, v114
	v_sub_f32_e32 v102, v102, v113
	s_delay_alu instid0(VALU_DEP_3) | instskip(SKIP_1) | instid1(VALU_DEP_2)
	v_add_f32_e32 v29, v29, v97
	v_sub_f32_e32 v97, v113, v112
	v_add_f32_e32 v29, v29, v102
	s_delay_alu instid0(VALU_DEP_2) | instskip(NEXT) | instid1(VALU_DEP_1)
	v_sub_f32_e32 v97, v97, v99
	v_add_f32_e32 v29, v97, v29
	s_delay_alu instid0(VALU_DEP_1) | instskip(NEXT) | instid1(VALU_DEP_1)
	v_add_f32_e32 v97, v114, v29
	v_mul_f32_e32 v99, v96, v97
	s_delay_alu instid0(VALU_DEP_1) | instskip(NEXT) | instid1(VALU_DEP_1)
	v_dual_mul_f32 v102, v100, v99 :: v_dual_sub_f32 v113, v114, v97
	v_fma_f32 v100, v99, v100, -v102
	s_delay_alu instid0(VALU_DEP_1) | instskip(NEXT) | instid1(VALU_DEP_1)
	v_dual_add_f32 v29, v29, v113 :: v_dual_fmac_f32 v100, v99, v98
	v_add_f32_e32 v98, v102, v100
	s_delay_alu instid0(VALU_DEP_1) | instskip(NEXT) | instid1(VALU_DEP_1)
	v_sub_f32_e32 v112, v97, v98
	v_dual_sub_f32 v102, v98, v102 :: v_dual_sub_f32 v97, v97, v112
	s_delay_alu instid0(VALU_DEP_1) | instskip(NEXT) | instid1(VALU_DEP_1)
	v_dual_sub_f32 v97, v97, v98 :: v_dual_sub_f32 v98, v102, v100
	v_add_f32_e32 v29, v29, v97
	v_add_f32_e32 v97, v103, v99
	s_delay_alu instid0(VALU_DEP_1) | instskip(NEXT) | instid1(VALU_DEP_1)
	v_dual_add_f32 v29, v98, v29 :: v_dual_sub_f32 v98, v97, v103
	v_dual_add_f32 v29, v112, v29 :: v_dual_sub_f32 v98, v99, v98
	s_delay_alu instid0(VALU_DEP_1) | instskip(NEXT) | instid1(VALU_DEP_1)
	v_mul_f32_e32 v29, v96, v29
	v_add_f32_e32 v29, v98, v29
	s_delay_alu instid0(VALU_DEP_1) | instskip(NEXT) | instid1(VALU_DEP_1)
	v_add_f32_e32 v96, v97, v29
	v_mul_f32_e32 v98, v96, v96
	s_delay_alu instid0(VALU_DEP_1) | instskip(SKIP_2) | instid1(VALU_DEP_3)
	v_fmaak_f32 v99, s20, v98, 0x3ecc95a3
	v_mul_f32_e32 v100, v96, v98
	v_cmp_gt_f32_e64 s20, 0x33800000, |v31|
	v_fmaak_f32 v98, v98, v99, 0x3f2aaada
	v_ldexp_f32 v99, v96, 1
	s_delay_alu instid0(VALU_DEP_3) | instskip(NEXT) | instid1(VALU_DEP_2)
	s_or_b32 vcc_lo, vcc_lo, s20
	v_mul_f32_e32 v98, v100, v98
	v_sub_f32_e32 v96, v96, v97
	s_delay_alu instid0(VALU_DEP_2) | instskip(NEXT) | instid1(VALU_DEP_2)
	v_dual_mul_f32 v100, 0x3f317218, v28 :: v_dual_add_f32 v97, v99, v98
	v_sub_f32_e32 v29, v29, v96
	s_delay_alu instid0(VALU_DEP_2) | instskip(NEXT) | instid1(VALU_DEP_3)
	v_sub_f32_e32 v96, v97, v99
	v_fma_f32 v99, 0x3f317218, v28, -v100
	s_delay_alu instid0(VALU_DEP_3) | instskip(NEXT) | instid1(VALU_DEP_3)
	v_ldexp_f32 v29, v29, 1
	v_sub_f32_e32 v96, v98, v96
	s_delay_alu instid0(VALU_DEP_1) | instskip(NEXT) | instid1(VALU_DEP_1)
	v_dual_fmamk_f32 v28, v28, 0xb102e308, v99 :: v_dual_add_f32 v29, v29, v96
	v_add_f32_e32 v98, v97, v29
	s_delay_alu instid0(VALU_DEP_1) | instskip(NEXT) | instid1(VALU_DEP_1)
	v_dual_add_f32 v96, v100, v28 :: v_dual_sub_f32 v97, v98, v97
	v_add_f32_e32 v99, v96, v98
	s_delay_alu instid0(VALU_DEP_2) | instskip(NEXT) | instid1(VALU_DEP_2)
	v_dual_sub_f32 v100, v96, v100 :: v_dual_sub_f32 v29, v29, v97
	v_sub_f32_e32 v102, v99, v96
	s_delay_alu instid0(VALU_DEP_1) | instskip(NEXT) | instid1(VALU_DEP_1)
	v_dual_sub_f32 v103, v99, v102 :: v_dual_sub_f32 v28, v28, v100
	v_dual_sub_f32 v97, v98, v102 :: v_dual_sub_f32 v96, v96, v103
	s_delay_alu instid0(VALU_DEP_2) | instskip(NEXT) | instid1(VALU_DEP_2)
	v_add_f32_e32 v98, v28, v29
	v_add_f32_e32 v96, v97, v96
	s_delay_alu instid0(VALU_DEP_2) | instskip(NEXT) | instid1(VALU_DEP_2)
	v_sub_f32_e32 v97, v98, v28
	v_add_f32_e32 v96, v98, v96
	s_delay_alu instid0(VALU_DEP_2) | instskip(NEXT) | instid1(VALU_DEP_1)
	v_sub_f32_e32 v98, v98, v97
	v_sub_f32_e32 v28, v28, v98
	s_delay_alu instid0(VALU_DEP_3) | instskip(NEXT) | instid1(VALU_DEP_1)
	v_dual_add_f32 v100, v99, v96 :: v_dual_sub_f32 v29, v29, v97
	v_dual_sub_f32 v97, v100, v99 :: v_dual_add_f32 v28, v29, v28
	s_delay_alu instid0(VALU_DEP_1) | instskip(NEXT) | instid1(VALU_DEP_1)
	v_sub_f32_e32 v29, v96, v97
	v_add_f32_e32 v28, v28, v29
	s_delay_alu instid0(VALU_DEP_1) | instskip(NEXT) | instid1(VALU_DEP_1)
	v_add_f32_e32 v28, v100, v28
	v_cndmask_b32_e32 v28, v28, v31, vcc_lo
	s_delay_alu instid0(VALU_DEP_1) | instskip(NEXT) | instid1(VALU_DEP_1)
	v_add_f32_e32 v28, v30, v28
	v_cvt_f16_f32_e32 v28, v28
	s_delay_alu instid0(VALU_DEP_1)
	v_cvt_f32_f16_e32 v29, v28
	v_mov_b32_e32 v102, v28
.LBB430_83:
	s_or_b32 exec_lo, exec_lo, s19
	v_cvt_f32_f16_e32 v96, v48
	s_delay_alu instid0(VALU_DEP_3) | instskip(SKIP_2) | instid1(VALU_DEP_3)
	v_max_f32_e32 v30, v29, v29
	v_cmp_u_f16_e32 vcc_lo, v28, v28
	v_cmp_u_f16_e64 s19, v48, v48
	v_min_f32_e32 v31, v30, v96
	s_delay_alu instid0(VALU_DEP_1) | instskip(NEXT) | instid1(VALU_DEP_1)
	v_dual_max_f32 v30, v30, v96 :: v_dual_cndmask_b32 v31, v31, v29
	v_cndmask_b32_e32 v30, v30, v29, vcc_lo
	s_delay_alu instid0(VALU_DEP_2) | instskip(NEXT) | instid1(VALU_DEP_2)
	v_cndmask_b32_e64 v31, v31, v96, s19
	v_cndmask_b32_e64 v30, v30, v96, s19
	s_delay_alu instid0(VALU_DEP_2) | instskip(NEXT) | instid1(VALU_DEP_2)
	v_cmp_class_f32_e64 s20, v31, 0x1f8
	v_cmp_neq_f32_e32 vcc_lo, v31, v30
	s_delay_alu instid0(VALU_DEP_2) | instskip(NEXT) | instid1(SALU_CYCLE_1)
	s_or_b32 s21, vcc_lo, s20
	s_and_saveexec_b32 s20, s21
	s_cbranch_execz .LBB430_85
; %bb.84:
	v_sub_f32_e32 v28, v31, v30
	s_mov_b32 s21, 0x3e9b6dac
	s_delay_alu instid0(VALU_DEP_1) | instskip(NEXT) | instid1(VALU_DEP_1)
	v_mul_f32_e32 v29, 0x3fb8aa3b, v28
	v_fma_f32 v31, 0x3fb8aa3b, v28, -v29
	v_rndne_f32_e32 v97, v29
	s_delay_alu instid0(VALU_DEP_1) | instskip(NEXT) | instid1(VALU_DEP_3)
	v_sub_f32_e32 v29, v29, v97
	v_fmamk_f32 v31, v28, 0x32a5705f, v31
	v_cmp_ngt_f32_e32 vcc_lo, 0xc2ce8ed0, v28
	s_delay_alu instid0(VALU_DEP_2) | instskip(SKIP_1) | instid1(VALU_DEP_2)
	v_add_f32_e32 v29, v29, v31
	v_cvt_i32_f32_e32 v31, v97
	v_exp_f32_e32 v29, v29
	s_waitcnt_depctr 0xfff
	v_ldexp_f32 v29, v29, v31
	s_delay_alu instid0(VALU_DEP_1) | instskip(SKIP_1) | instid1(VALU_DEP_2)
	v_cndmask_b32_e32 v29, 0, v29, vcc_lo
	v_cmp_nlt_f32_e32 vcc_lo, 0x42b17218, v28
	v_cndmask_b32_e32 v31, 0x7f800000, v29, vcc_lo
	s_delay_alu instid0(VALU_DEP_1) | instskip(NEXT) | instid1(VALU_DEP_1)
	v_add_f32_e32 v97, 1.0, v31
	v_cvt_f64_f32_e32 v[28:29], v97
	s_delay_alu instid0(VALU_DEP_1) | instskip(SKIP_1) | instid1(VALU_DEP_1)
	v_frexp_exp_i32_f64_e32 v28, v[28:29]
	v_frexp_mant_f32_e32 v29, v97
	v_cmp_gt_f32_e32 vcc_lo, 0x3f2aaaab, v29
	v_add_f32_e32 v29, -1.0, v97
	s_delay_alu instid0(VALU_DEP_1) | instskip(SKIP_1) | instid1(VALU_DEP_2)
	v_sub_f32_e32 v99, v29, v97
	v_sub_f32_e32 v29, v31, v29
	v_add_f32_e32 v99, 1.0, v99
	s_delay_alu instid0(VALU_DEP_1) | instskip(SKIP_1) | instid1(VALU_DEP_1)
	v_add_f32_e32 v29, v29, v99
	v_subrev_co_ci_u32_e32 v28, vcc_lo, 0, v28, vcc_lo
	v_sub_nc_u32_e32 v98, 0, v28
	v_cvt_f32_i32_e32 v28, v28
	s_delay_alu instid0(VALU_DEP_2) | instskip(SKIP_1) | instid1(VALU_DEP_2)
	v_ldexp_f32 v97, v97, v98
	v_ldexp_f32 v29, v29, v98
	v_add_f32_e32 v100, 1.0, v97
	s_delay_alu instid0(VALU_DEP_1) | instskip(NEXT) | instid1(VALU_DEP_1)
	v_dual_add_f32 v98, -1.0, v97 :: v_dual_add_f32 v99, -1.0, v100
	v_dual_add_f32 v102, 1.0, v98 :: v_dual_sub_f32 v99, v97, v99
	s_delay_alu instid0(VALU_DEP_1) | instskip(NEXT) | instid1(VALU_DEP_2)
	v_sub_f32_e32 v97, v97, v102
	v_add_f32_e32 v99, v29, v99
	s_delay_alu instid0(VALU_DEP_1) | instskip(NEXT) | instid1(VALU_DEP_1)
	v_dual_add_f32 v29, v29, v97 :: v_dual_add_f32 v102, v100, v99
	v_rcp_f32_e32 v97, v102
	s_delay_alu instid0(VALU_DEP_1) | instskip(SKIP_1) | instid1(VALU_DEP_2)
	v_dual_add_f32 v103, v98, v29 :: v_dual_sub_f32 v100, v100, v102
	v_cmp_eq_f32_e32 vcc_lo, 0x7f800000, v31
	v_dual_sub_f32 v98, v98, v103 :: v_dual_add_f32 v99, v99, v100
	s_waitcnt_depctr 0xfff
	v_dual_mul_f32 v112, v103, v97 :: v_dual_add_f32 v29, v29, v98
	s_delay_alu instid0(VALU_DEP_1) | instskip(NEXT) | instid1(VALU_DEP_1)
	v_mul_f32_e32 v113, v102, v112
	v_fma_f32 v100, v112, v102, -v113
	s_delay_alu instid0(VALU_DEP_1) | instskip(NEXT) | instid1(VALU_DEP_1)
	v_fmac_f32_e32 v100, v112, v99
	v_add_f32_e32 v114, v113, v100
	s_delay_alu instid0(VALU_DEP_1) | instskip(NEXT) | instid1(VALU_DEP_1)
	v_dual_sub_f32 v115, v103, v114 :: v_dual_sub_f32 v98, v114, v113
	v_dual_sub_f32 v103, v103, v115 :: v_dual_sub_f32 v98, v98, v100
	s_delay_alu instid0(VALU_DEP_1) | instskip(NEXT) | instid1(VALU_DEP_1)
	v_sub_f32_e32 v103, v103, v114
	v_add_f32_e32 v29, v29, v103
	s_delay_alu instid0(VALU_DEP_1) | instskip(NEXT) | instid1(VALU_DEP_1)
	v_add_f32_e32 v29, v98, v29
	v_add_f32_e32 v98, v115, v29
	s_delay_alu instid0(VALU_DEP_1) | instskip(NEXT) | instid1(VALU_DEP_1)
	v_mul_f32_e32 v100, v97, v98
	v_dual_sub_f32 v114, v115, v98 :: v_dual_mul_f32 v103, v102, v100
	s_delay_alu instid0(VALU_DEP_1) | instskip(NEXT) | instid1(VALU_DEP_2)
	v_add_f32_e32 v29, v29, v114
	v_fma_f32 v102, v100, v102, -v103
	s_delay_alu instid0(VALU_DEP_1) | instskip(NEXT) | instid1(VALU_DEP_1)
	v_fmac_f32_e32 v102, v100, v99
	v_add_f32_e32 v99, v103, v102
	s_delay_alu instid0(VALU_DEP_1) | instskip(NEXT) | instid1(VALU_DEP_1)
	v_sub_f32_e32 v113, v98, v99
	v_dual_sub_f32 v103, v99, v103 :: v_dual_sub_f32 v98, v98, v113
	s_delay_alu instid0(VALU_DEP_1) | instskip(NEXT) | instid1(VALU_DEP_1)
	v_dual_sub_f32 v98, v98, v99 :: v_dual_sub_f32 v99, v103, v102
	v_dual_add_f32 v29, v29, v98 :: v_dual_add_f32 v98, v112, v100
	s_delay_alu instid0(VALU_DEP_1) | instskip(NEXT) | instid1(VALU_DEP_2)
	v_add_f32_e32 v29, v99, v29
	v_sub_f32_e32 v99, v98, v112
	s_delay_alu instid0(VALU_DEP_2) | instskip(NEXT) | instid1(VALU_DEP_2)
	v_add_f32_e32 v29, v113, v29
	v_sub_f32_e32 v99, v100, v99
	s_delay_alu instid0(VALU_DEP_2) | instskip(NEXT) | instid1(VALU_DEP_1)
	v_mul_f32_e32 v29, v97, v29
	v_add_f32_e32 v29, v99, v29
	s_delay_alu instid0(VALU_DEP_1) | instskip(NEXT) | instid1(VALU_DEP_1)
	v_add_f32_e32 v97, v98, v29
	v_mul_f32_e32 v99, v97, v97
	s_delay_alu instid0(VALU_DEP_1) | instskip(SKIP_2) | instid1(VALU_DEP_3)
	v_fmaak_f32 v100, s21, v99, 0x3ecc95a3
	v_mul_f32_e32 v102, v97, v99
	v_cmp_gt_f32_e64 s21, 0x33800000, |v31|
	v_fmaak_f32 v99, v99, v100, 0x3f2aaada
	v_ldexp_f32 v100, v97, 1
	v_sub_f32_e32 v97, v97, v98
	s_delay_alu instid0(VALU_DEP_4) | instskip(NEXT) | instid1(VALU_DEP_3)
	s_or_b32 vcc_lo, vcc_lo, s21
	v_dual_mul_f32 v99, v102, v99 :: v_dual_mul_f32 v102, 0x3f317218, v28
	s_delay_alu instid0(VALU_DEP_1) | instskip(NEXT) | instid1(VALU_DEP_1)
	v_dual_sub_f32 v29, v29, v97 :: v_dual_add_f32 v98, v100, v99
	v_ldexp_f32 v29, v29, 1
	s_delay_alu instid0(VALU_DEP_2) | instskip(NEXT) | instid1(VALU_DEP_4)
	v_sub_f32_e32 v97, v98, v100
	v_fma_f32 v100, 0x3f317218, v28, -v102
	s_delay_alu instid0(VALU_DEP_1) | instskip(NEXT) | instid1(VALU_DEP_1)
	v_dual_sub_f32 v97, v99, v97 :: v_dual_fmamk_f32 v28, v28, 0xb102e308, v100
	v_add_f32_e32 v29, v29, v97
	s_delay_alu instid0(VALU_DEP_2) | instskip(NEXT) | instid1(VALU_DEP_1)
	v_add_f32_e32 v97, v102, v28
	v_dual_add_f32 v99, v98, v29 :: v_dual_sub_f32 v102, v97, v102
	s_delay_alu instid0(VALU_DEP_1) | instskip(SKIP_1) | instid1(VALU_DEP_3)
	v_add_f32_e32 v100, v97, v99
	v_sub_f32_e32 v98, v99, v98
	v_sub_f32_e32 v28, v28, v102
	s_delay_alu instid0(VALU_DEP_3) | instskip(NEXT) | instid1(VALU_DEP_1)
	v_sub_f32_e32 v103, v100, v97
	v_dual_sub_f32 v29, v29, v98 :: v_dual_sub_f32 v112, v100, v103
	s_delay_alu instid0(VALU_DEP_1) | instskip(NEXT) | instid1(VALU_DEP_2)
	v_dual_sub_f32 v98, v99, v103 :: v_dual_add_f32 v99, v28, v29
	v_sub_f32_e32 v97, v97, v112
	s_delay_alu instid0(VALU_DEP_1) | instskip(NEXT) | instid1(VALU_DEP_1)
	v_dual_add_f32 v97, v98, v97 :: v_dual_sub_f32 v98, v99, v28
	v_add_f32_e32 v97, v99, v97
	s_delay_alu instid0(VALU_DEP_2) | instskip(NEXT) | instid1(VALU_DEP_2)
	v_sub_f32_e32 v99, v99, v98
	v_dual_sub_f32 v29, v29, v98 :: v_dual_add_f32 v102, v100, v97
	s_delay_alu instid0(VALU_DEP_2) | instskip(NEXT) | instid1(VALU_DEP_2)
	v_sub_f32_e32 v28, v28, v99
	v_sub_f32_e32 v98, v102, v100
	s_delay_alu instid0(VALU_DEP_2) | instskip(NEXT) | instid1(VALU_DEP_2)
	v_add_f32_e32 v28, v29, v28
	v_sub_f32_e32 v29, v97, v98
	s_delay_alu instid0(VALU_DEP_1) | instskip(NEXT) | instid1(VALU_DEP_1)
	v_add_f32_e32 v28, v28, v29
	v_add_f32_e32 v28, v102, v28
	s_delay_alu instid0(VALU_DEP_1) | instskip(NEXT) | instid1(VALU_DEP_1)
	v_cndmask_b32_e32 v28, v28, v31, vcc_lo
	v_add_f32_e32 v28, v30, v28
	s_delay_alu instid0(VALU_DEP_1) | instskip(NEXT) | instid1(VALU_DEP_1)
	v_cvt_f16_f32_e32 v28, v28
	v_mov_b32_e32 v102, v28
	v_cvt_f32_f16_e32 v29, v28
.LBB430_85:
	s_or_b32 exec_lo, exec_lo, s20
	v_cvt_f32_f16_e32 v97, v17
	s_delay_alu instid0(VALU_DEP_2) | instskip(SKIP_2) | instid1(VALU_DEP_3)
	v_max_f32_e32 v30, v29, v29
	v_cmp_u_f16_e32 vcc_lo, v28, v28
	v_cmp_u_f16_e64 s20, v17, v17
	v_min_f32_e32 v31, v30, v97
	v_max_f32_e32 v30, v30, v97
	s_delay_alu instid0(VALU_DEP_2) | instskip(NEXT) | instid1(VALU_DEP_2)
	v_cndmask_b32_e32 v31, v31, v29, vcc_lo
	v_cndmask_b32_e32 v30, v30, v29, vcc_lo
	s_delay_alu instid0(VALU_DEP_2) | instskip(NEXT) | instid1(VALU_DEP_2)
	v_cndmask_b32_e64 v31, v31, v97, s20
	v_cndmask_b32_e64 v30, v30, v97, s20
	s_delay_alu instid0(VALU_DEP_2) | instskip(NEXT) | instid1(VALU_DEP_2)
	v_cmp_class_f32_e64 s21, v31, 0x1f8
	v_cmp_neq_f32_e32 vcc_lo, v31, v30
	s_delay_alu instid0(VALU_DEP_2) | instskip(NEXT) | instid1(SALU_CYCLE_1)
	s_or_b32 s22, vcc_lo, s21
	s_and_saveexec_b32 s21, s22
	s_cbranch_execz .LBB430_87
; %bb.86:
	v_sub_f32_e32 v28, v31, v30
	s_mov_b32 s22, 0x3e9b6dac
	s_delay_alu instid0(VALU_DEP_1) | instskip(NEXT) | instid1(VALU_DEP_1)
	v_mul_f32_e32 v29, 0x3fb8aa3b, v28
	v_fma_f32 v31, 0x3fb8aa3b, v28, -v29
	v_rndne_f32_e32 v98, v29
	s_delay_alu instid0(VALU_DEP_2) | instskip(NEXT) | instid1(VALU_DEP_2)
	v_fmamk_f32 v31, v28, 0x32a5705f, v31
	v_sub_f32_e32 v29, v29, v98
	s_delay_alu instid0(VALU_DEP_1) | instskip(SKIP_2) | instid1(VALU_DEP_3)
	v_add_f32_e32 v29, v29, v31
	v_cvt_i32_f32_e32 v31, v98
	v_cmp_ngt_f32_e32 vcc_lo, 0xc2ce8ed0, v28
	v_exp_f32_e32 v29, v29
	s_waitcnt_depctr 0xfff
	v_ldexp_f32 v29, v29, v31
	s_delay_alu instid0(VALU_DEP_1) | instskip(SKIP_1) | instid1(VALU_DEP_2)
	v_cndmask_b32_e32 v29, 0, v29, vcc_lo
	v_cmp_nlt_f32_e32 vcc_lo, 0x42b17218, v28
	v_cndmask_b32_e32 v31, 0x7f800000, v29, vcc_lo
	s_delay_alu instid0(VALU_DEP_1) | instskip(NEXT) | instid1(VALU_DEP_1)
	v_add_f32_e32 v98, 1.0, v31
	v_cvt_f64_f32_e32 v[28:29], v98
	s_delay_alu instid0(VALU_DEP_1) | instskip(SKIP_1) | instid1(VALU_DEP_1)
	v_frexp_exp_i32_f64_e32 v28, v[28:29]
	v_frexp_mant_f32_e32 v29, v98
	v_cmp_gt_f32_e32 vcc_lo, 0x3f2aaaab, v29
	v_add_f32_e32 v29, -1.0, v98
	s_delay_alu instid0(VALU_DEP_1) | instskip(NEXT) | instid1(VALU_DEP_1)
	v_sub_f32_e32 v100, v29, v98
	v_add_f32_e32 v100, 1.0, v100
	v_subrev_co_ci_u32_e32 v28, vcc_lo, 0, v28, vcc_lo
	s_delay_alu instid0(VALU_DEP_1) | instskip(SKIP_1) | instid1(VALU_DEP_2)
	v_sub_nc_u32_e32 v99, 0, v28
	v_cvt_f32_i32_e32 v28, v28
	v_ldexp_f32 v98, v98, v99
	s_delay_alu instid0(VALU_DEP_1) | instskip(NEXT) | instid1(VALU_DEP_1)
	v_dual_sub_f32 v29, v31, v29 :: v_dual_add_f32 v102, 1.0, v98
	v_dual_add_f32 v29, v29, v100 :: v_dual_add_f32 v100, -1.0, v102
	s_delay_alu instid0(VALU_DEP_1) | instskip(SKIP_1) | instid1(VALU_DEP_3)
	v_ldexp_f32 v29, v29, v99
	v_cmp_eq_f32_e32 vcc_lo, 0x7f800000, v31
	v_dual_sub_f32 v100, v98, v100 :: v_dual_add_f32 v99, -1.0, v98
	s_delay_alu instid0(VALU_DEP_1) | instskip(NEXT) | instid1(VALU_DEP_1)
	v_dual_add_f32 v100, v29, v100 :: v_dual_add_f32 v103, 1.0, v99
	v_sub_f32_e32 v98, v98, v103
	s_delay_alu instid0(VALU_DEP_2) | instskip(NEXT) | instid1(VALU_DEP_1)
	v_add_f32_e32 v103, v102, v100
	v_sub_f32_e32 v102, v102, v103
	s_delay_alu instid0(VALU_DEP_1) | instskip(NEXT) | instid1(VALU_DEP_4)
	v_add_f32_e32 v100, v100, v102
	v_add_f32_e32 v29, v29, v98
	v_rcp_f32_e32 v98, v103
	s_delay_alu instid0(VALU_DEP_1) | instskip(NEXT) | instid1(VALU_DEP_1)
	v_add_f32_e32 v112, v99, v29
	v_sub_f32_e32 v99, v99, v112
	s_waitcnt_depctr 0xfff
	v_mul_f32_e32 v113, v112, v98
	s_delay_alu instid0(VALU_DEP_1) | instskip(NEXT) | instid1(VALU_DEP_1)
	v_dual_mul_f32 v114, v103, v113 :: v_dual_add_f32 v29, v29, v99
	v_fma_f32 v102, v113, v103, -v114
	s_delay_alu instid0(VALU_DEP_1) | instskip(NEXT) | instid1(VALU_DEP_1)
	v_fmac_f32_e32 v102, v113, v100
	v_add_f32_e32 v115, v114, v102
	s_delay_alu instid0(VALU_DEP_1) | instskip(NEXT) | instid1(VALU_DEP_1)
	v_sub_f32_e32 v116, v112, v115
	v_dual_sub_f32 v112, v112, v116 :: v_dual_sub_f32 v99, v115, v114
	s_delay_alu instid0(VALU_DEP_1) | instskip(NEXT) | instid1(VALU_DEP_1)
	v_dual_sub_f32 v112, v112, v115 :: v_dual_sub_f32 v99, v99, v102
	v_add_f32_e32 v29, v29, v112
	s_delay_alu instid0(VALU_DEP_1) | instskip(NEXT) | instid1(VALU_DEP_1)
	v_add_f32_e32 v29, v99, v29
	v_add_f32_e32 v99, v116, v29
	s_delay_alu instid0(VALU_DEP_1) | instskip(NEXT) | instid1(VALU_DEP_1)
	v_mul_f32_e32 v102, v98, v99
	v_dual_sub_f32 v115, v116, v99 :: v_dual_mul_f32 v112, v103, v102
	s_delay_alu instid0(VALU_DEP_1) | instskip(NEXT) | instid1(VALU_DEP_1)
	v_fma_f32 v103, v102, v103, -v112
	v_fmac_f32_e32 v103, v102, v100
	s_delay_alu instid0(VALU_DEP_1) | instskip(NEXT) | instid1(VALU_DEP_1)
	v_add_f32_e32 v100, v112, v103
	v_sub_f32_e32 v114, v99, v100
	v_dual_sub_f32 v112, v100, v112 :: v_dual_add_f32 v29, v29, v115
	s_delay_alu instid0(VALU_DEP_2) | instskip(NEXT) | instid1(VALU_DEP_1)
	v_sub_f32_e32 v99, v99, v114
	v_dual_sub_f32 v99, v99, v100 :: v_dual_sub_f32 v100, v112, v103
	s_delay_alu instid0(VALU_DEP_1) | instskip(SKIP_1) | instid1(VALU_DEP_2)
	v_add_f32_e32 v29, v29, v99
	v_add_f32_e32 v99, v113, v102
	;; [unrolled: 1-line block ×3, first 2 shown]
	s_delay_alu instid0(VALU_DEP_2) | instskip(NEXT) | instid1(VALU_DEP_2)
	v_sub_f32_e32 v100, v99, v113
	v_add_f32_e32 v29, v114, v29
	s_delay_alu instid0(VALU_DEP_2) | instskip(NEXT) | instid1(VALU_DEP_2)
	v_sub_f32_e32 v100, v102, v100
	v_mul_f32_e32 v29, v98, v29
	s_delay_alu instid0(VALU_DEP_1) | instskip(NEXT) | instid1(VALU_DEP_1)
	v_add_f32_e32 v29, v100, v29
	v_add_f32_e32 v98, v99, v29
	s_delay_alu instid0(VALU_DEP_1) | instskip(NEXT) | instid1(VALU_DEP_1)
	v_mul_f32_e32 v100, v98, v98
	v_fmaak_f32 v102, s22, v100, 0x3ecc95a3
	v_mul_f32_e32 v103, v98, v100
	v_cmp_gt_f32_e64 s22, 0x33800000, |v31|
	s_delay_alu instid0(VALU_DEP_3) | instskip(SKIP_1) | instid1(VALU_DEP_3)
	v_fmaak_f32 v100, v100, v102, 0x3f2aaada
	v_ldexp_f32 v102, v98, 1
	s_or_b32 vcc_lo, vcc_lo, s22
	s_delay_alu instid0(VALU_DEP_2) | instskip(SKIP_1) | instid1(VALU_DEP_2)
	v_mul_f32_e32 v100, v103, v100
	v_sub_f32_e32 v98, v98, v99
	v_add_f32_e32 v99, v102, v100
	s_delay_alu instid0(VALU_DEP_2) | instskip(NEXT) | instid1(VALU_DEP_2)
	v_sub_f32_e32 v29, v29, v98
	v_sub_f32_e32 v98, v99, v102
	s_delay_alu instid0(VALU_DEP_2) | instskip(NEXT) | instid1(VALU_DEP_2)
	v_ldexp_f32 v29, v29, 1
	v_sub_f32_e32 v98, v100, v98
	s_delay_alu instid0(VALU_DEP_1) | instskip(NEXT) | instid1(VALU_DEP_1)
	v_add_f32_e32 v29, v29, v98
	v_dual_mul_f32 v103, 0x3f317218, v28 :: v_dual_add_f32 v100, v99, v29
	s_delay_alu instid0(VALU_DEP_1) | instskip(NEXT) | instid1(VALU_DEP_2)
	v_fma_f32 v102, 0x3f317218, v28, -v103
	v_sub_f32_e32 v99, v100, v99
	s_delay_alu instid0(VALU_DEP_2) | instskip(NEXT) | instid1(VALU_DEP_1)
	v_fmamk_f32 v28, v28, 0xb102e308, v102
	v_add_f32_e32 v98, v103, v28
	s_delay_alu instid0(VALU_DEP_1) | instskip(SKIP_1) | instid1(VALU_DEP_2)
	v_add_f32_e32 v102, v98, v100
	v_sub_f32_e32 v103, v98, v103
	v_sub_f32_e32 v112, v102, v98
	s_delay_alu instid0(VALU_DEP_2) | instskip(SKIP_1) | instid1(VALU_DEP_3)
	v_sub_f32_e32 v28, v28, v103
	v_sub_f32_e32 v29, v29, v99
	v_sub_f32_e32 v99, v100, v112
	v_sub_f32_e32 v113, v102, v112
	s_delay_alu instid0(VALU_DEP_1) | instskip(NEXT) | instid1(VALU_DEP_4)
	v_sub_f32_e32 v98, v98, v113
	v_add_f32_e32 v100, v28, v29
	s_delay_alu instid0(VALU_DEP_1) | instskip(NEXT) | instid1(VALU_DEP_1)
	v_dual_add_f32 v98, v99, v98 :: v_dual_sub_f32 v99, v100, v28
	v_dual_add_f32 v98, v100, v98 :: v_dual_sub_f32 v29, v29, v99
	s_delay_alu instid0(VALU_DEP_1) | instskip(NEXT) | instid1(VALU_DEP_1)
	v_dual_sub_f32 v100, v100, v99 :: v_dual_add_f32 v103, v102, v98
	v_dual_sub_f32 v28, v28, v100 :: v_dual_sub_f32 v99, v103, v102
	s_delay_alu instid0(VALU_DEP_1) | instskip(NEXT) | instid1(VALU_DEP_1)
	v_dual_add_f32 v28, v29, v28 :: v_dual_sub_f32 v29, v98, v99
	v_add_f32_e32 v28, v28, v29
	s_delay_alu instid0(VALU_DEP_1) | instskip(NEXT) | instid1(VALU_DEP_1)
	v_add_f32_e32 v28, v103, v28
	v_cndmask_b32_e32 v28, v28, v31, vcc_lo
	s_delay_alu instid0(VALU_DEP_1) | instskip(NEXT) | instid1(VALU_DEP_1)
	v_add_f32_e32 v28, v30, v28
	v_cvt_f16_f32_e32 v28, v28
	s_delay_alu instid0(VALU_DEP_1)
	v_cvt_f32_f16_e32 v29, v28
	v_mov_b32_e32 v102, v28
.LBB430_87:
	s_or_b32 exec_lo, exec_lo, s21
	v_cvt_f32_f16_e32 v98, v39
	s_delay_alu instid0(VALU_DEP_3) | instskip(SKIP_2) | instid1(VALU_DEP_3)
	v_max_f32_e32 v30, v29, v29
	v_cmp_u_f16_e32 vcc_lo, v28, v28
	v_cmp_u_f16_e64 s21, v39, v39
	v_min_f32_e32 v31, v30, v98
	s_delay_alu instid0(VALU_DEP_1) | instskip(NEXT) | instid1(VALU_DEP_1)
	v_dual_max_f32 v30, v30, v98 :: v_dual_cndmask_b32 v31, v31, v29
	v_cndmask_b32_e32 v30, v30, v29, vcc_lo
	s_delay_alu instid0(VALU_DEP_2) | instskip(NEXT) | instid1(VALU_DEP_2)
	v_cndmask_b32_e64 v31, v31, v98, s21
	v_cndmask_b32_e64 v30, v30, v98, s21
	s_delay_alu instid0(VALU_DEP_2) | instskip(NEXT) | instid1(VALU_DEP_2)
	v_cmp_class_f32_e64 s22, v31, 0x1f8
	v_cmp_neq_f32_e32 vcc_lo, v31, v30
	s_delay_alu instid0(VALU_DEP_2) | instskip(NEXT) | instid1(SALU_CYCLE_1)
	s_or_b32 s23, vcc_lo, s22
	s_and_saveexec_b32 s22, s23
	s_cbranch_execz .LBB430_89
; %bb.88:
	v_sub_f32_e32 v28, v31, v30
	s_mov_b32 s23, 0x3e9b6dac
	s_delay_alu instid0(VALU_DEP_1) | instskip(NEXT) | instid1(VALU_DEP_1)
	v_mul_f32_e32 v29, 0x3fb8aa3b, v28
	v_fma_f32 v31, 0x3fb8aa3b, v28, -v29
	v_rndne_f32_e32 v99, v29
	s_delay_alu instid0(VALU_DEP_1) | instskip(NEXT) | instid1(VALU_DEP_3)
	v_sub_f32_e32 v29, v29, v99
	v_fmamk_f32 v31, v28, 0x32a5705f, v31
	v_cmp_ngt_f32_e32 vcc_lo, 0xc2ce8ed0, v28
	s_delay_alu instid0(VALU_DEP_2) | instskip(SKIP_1) | instid1(VALU_DEP_2)
	v_add_f32_e32 v29, v29, v31
	v_cvt_i32_f32_e32 v31, v99
	v_exp_f32_e32 v29, v29
	s_waitcnt_depctr 0xfff
	v_ldexp_f32 v29, v29, v31
	s_delay_alu instid0(VALU_DEP_1) | instskip(SKIP_1) | instid1(VALU_DEP_2)
	v_cndmask_b32_e32 v29, 0, v29, vcc_lo
	v_cmp_nlt_f32_e32 vcc_lo, 0x42b17218, v28
	v_cndmask_b32_e32 v31, 0x7f800000, v29, vcc_lo
	s_delay_alu instid0(VALU_DEP_1) | instskip(NEXT) | instid1(VALU_DEP_1)
	v_add_f32_e32 v99, 1.0, v31
	v_cvt_f64_f32_e32 v[28:29], v99
	s_delay_alu instid0(VALU_DEP_1) | instskip(SKIP_1) | instid1(VALU_DEP_1)
	v_frexp_exp_i32_f64_e32 v28, v[28:29]
	v_frexp_mant_f32_e32 v29, v99
	v_cmp_gt_f32_e32 vcc_lo, 0x3f2aaaab, v29
	v_add_f32_e32 v29, -1.0, v99
	s_delay_alu instid0(VALU_DEP_1) | instskip(NEXT) | instid1(VALU_DEP_1)
	v_dual_sub_f32 v102, v29, v99 :: v_dual_sub_f32 v29, v31, v29
	v_add_f32_e32 v102, 1.0, v102
	s_delay_alu instid0(VALU_DEP_1) | instskip(SKIP_1) | instid1(VALU_DEP_1)
	v_add_f32_e32 v29, v29, v102
	v_subrev_co_ci_u32_e32 v28, vcc_lo, 0, v28, vcc_lo
	v_sub_nc_u32_e32 v100, 0, v28
	v_cvt_f32_i32_e32 v28, v28
	s_delay_alu instid0(VALU_DEP_2) | instskip(SKIP_1) | instid1(VALU_DEP_2)
	v_ldexp_f32 v99, v99, v100
	v_ldexp_f32 v29, v29, v100
	v_add_f32_e32 v103, 1.0, v99
	v_add_f32_e32 v100, -1.0, v99
	v_cmp_eq_f32_e32 vcc_lo, 0x7f800000, v31
	s_delay_alu instid0(VALU_DEP_3) | instskip(NEXT) | instid1(VALU_DEP_3)
	v_add_f32_e32 v102, -1.0, v103
	v_add_f32_e32 v112, 1.0, v100
	s_delay_alu instid0(VALU_DEP_2) | instskip(NEXT) | instid1(VALU_DEP_1)
	v_sub_f32_e32 v102, v99, v102
	v_dual_sub_f32 v99, v99, v112 :: v_dual_add_f32 v102, v29, v102
	s_delay_alu instid0(VALU_DEP_1) | instskip(NEXT) | instid1(VALU_DEP_1)
	v_add_f32_e32 v112, v103, v102
	v_sub_f32_e32 v103, v103, v112
	s_delay_alu instid0(VALU_DEP_1) | instskip(NEXT) | instid1(VALU_DEP_4)
	v_add_f32_e32 v102, v102, v103
	v_add_f32_e32 v29, v29, v99
	v_rcp_f32_e32 v99, v112
	s_delay_alu instid0(VALU_DEP_1) | instskip(SKIP_2) | instid1(VALU_DEP_1)
	v_add_f32_e32 v113, v100, v29
	s_waitcnt_depctr 0xfff
	v_mul_f32_e32 v114, v113, v99
	v_mul_f32_e32 v115, v112, v114
	s_delay_alu instid0(VALU_DEP_1) | instskip(NEXT) | instid1(VALU_DEP_1)
	v_fma_f32 v103, v114, v112, -v115
	v_fmac_f32_e32 v103, v114, v102
	s_delay_alu instid0(VALU_DEP_1) | instskip(SKIP_1) | instid1(VALU_DEP_1)
	v_add_f32_e32 v116, v115, v103
	v_sub_f32_e32 v100, v100, v113
	v_dual_add_f32 v29, v29, v100 :: v_dual_sub_f32 v100, v116, v115
	s_delay_alu instid0(VALU_DEP_1) | instskip(NEXT) | instid1(VALU_DEP_1)
	v_dual_sub_f32 v117, v113, v116 :: v_dual_sub_f32 v100, v100, v103
	v_sub_f32_e32 v113, v113, v117
	s_delay_alu instid0(VALU_DEP_1) | instskip(NEXT) | instid1(VALU_DEP_1)
	v_sub_f32_e32 v113, v113, v116
	v_add_f32_e32 v29, v29, v113
	s_delay_alu instid0(VALU_DEP_1) | instskip(NEXT) | instid1(VALU_DEP_1)
	v_add_f32_e32 v29, v100, v29
	v_add_f32_e32 v100, v117, v29
	s_delay_alu instid0(VALU_DEP_1) | instskip(SKIP_1) | instid1(VALU_DEP_2)
	v_sub_f32_e32 v116, v117, v100
	v_mul_f32_e32 v103, v99, v100
	v_add_f32_e32 v29, v29, v116
	s_delay_alu instid0(VALU_DEP_2) | instskip(NEXT) | instid1(VALU_DEP_1)
	v_mul_f32_e32 v113, v112, v103
	v_fma_f32 v112, v103, v112, -v113
	s_delay_alu instid0(VALU_DEP_1) | instskip(NEXT) | instid1(VALU_DEP_1)
	v_fmac_f32_e32 v112, v103, v102
	v_add_f32_e32 v102, v113, v112
	s_delay_alu instid0(VALU_DEP_1) | instskip(SKIP_1) | instid1(VALU_DEP_1)
	v_sub_f32_e32 v113, v102, v113
	v_sub_f32_e32 v115, v100, v102
	;; [unrolled: 1-line block ×3, first 2 shown]
	s_delay_alu instid0(VALU_DEP_1) | instskip(NEXT) | instid1(VALU_DEP_4)
	v_sub_f32_e32 v100, v100, v102
	v_sub_f32_e32 v102, v113, v112
	s_delay_alu instid0(VALU_DEP_2) | instskip(NEXT) | instid1(VALU_DEP_1)
	v_dual_add_f32 v29, v29, v100 :: v_dual_add_f32 v100, v114, v103
	v_dual_add_f32 v29, v102, v29 :: v_dual_sub_f32 v102, v100, v114
	s_delay_alu instid0(VALU_DEP_1) | instskip(NEXT) | instid1(VALU_DEP_2)
	v_add_f32_e32 v29, v115, v29
	v_sub_f32_e32 v102, v103, v102
	s_delay_alu instid0(VALU_DEP_2) | instskip(NEXT) | instid1(VALU_DEP_1)
	v_mul_f32_e32 v29, v99, v29
	v_add_f32_e32 v29, v102, v29
	s_delay_alu instid0(VALU_DEP_1) | instskip(NEXT) | instid1(VALU_DEP_1)
	v_add_f32_e32 v99, v100, v29
	v_mul_f32_e32 v102, v99, v99
	s_delay_alu instid0(VALU_DEP_1) | instskip(SKIP_2) | instid1(VALU_DEP_3)
	v_fmaak_f32 v103, s23, v102, 0x3ecc95a3
	v_mul_f32_e32 v112, v99, v102
	v_cmp_gt_f32_e64 s23, 0x33800000, |v31|
	v_fmaak_f32 v102, v102, v103, 0x3f2aaada
	v_ldexp_f32 v103, v99, 1
	v_sub_f32_e32 v99, v99, v100
	s_delay_alu instid0(VALU_DEP_4) | instskip(NEXT) | instid1(VALU_DEP_3)
	s_or_b32 vcc_lo, vcc_lo, s23
	v_mul_f32_e32 v102, v112, v102
	s_delay_alu instid0(VALU_DEP_2) | instskip(NEXT) | instid1(VALU_DEP_2)
	v_dual_mul_f32 v112, 0x3f317218, v28 :: v_dual_sub_f32 v29, v29, v99
	v_add_f32_e32 v100, v103, v102
	s_delay_alu instid0(VALU_DEP_2) | instskip(NEXT) | instid1(VALU_DEP_2)
	v_ldexp_f32 v29, v29, 1
	v_sub_f32_e32 v99, v100, v103
	s_delay_alu instid0(VALU_DEP_4) | instskip(NEXT) | instid1(VALU_DEP_1)
	v_fma_f32 v103, 0x3f317218, v28, -v112
	v_dual_fmamk_f32 v28, v28, 0xb102e308, v103 :: v_dual_sub_f32 v99, v102, v99
	s_delay_alu instid0(VALU_DEP_1) | instskip(NEXT) | instid1(VALU_DEP_2)
	v_add_f32_e32 v29, v29, v99
	v_add_f32_e32 v99, v112, v28
	s_delay_alu instid0(VALU_DEP_2) | instskip(NEXT) | instid1(VALU_DEP_2)
	v_add_f32_e32 v102, v100, v29
	v_sub_f32_e32 v112, v99, v112
	s_delay_alu instid0(VALU_DEP_2) | instskip(NEXT) | instid1(VALU_DEP_2)
	v_sub_f32_e32 v100, v102, v100
	v_sub_f32_e32 v28, v28, v112
	s_delay_alu instid0(VALU_DEP_2) | instskip(SKIP_1) | instid1(VALU_DEP_1)
	v_sub_f32_e32 v29, v29, v100
	v_add_f32_e32 v103, v99, v102
	v_sub_f32_e32 v113, v103, v99
	s_delay_alu instid0(VALU_DEP_1) | instskip(NEXT) | instid1(VALU_DEP_4)
	v_sub_f32_e32 v100, v102, v113
	v_add_f32_e32 v102, v28, v29
	v_sub_f32_e32 v114, v103, v113
	s_delay_alu instid0(VALU_DEP_1) | instskip(NEXT) | instid1(VALU_DEP_1)
	v_sub_f32_e32 v99, v99, v114
	v_dual_add_f32 v99, v100, v99 :: v_dual_sub_f32 v100, v102, v28
	s_delay_alu instid0(VALU_DEP_1) | instskip(NEXT) | instid1(VALU_DEP_2)
	v_add_f32_e32 v99, v102, v99
	v_sub_f32_e32 v102, v102, v100
	s_delay_alu instid0(VALU_DEP_2) | instskip(NEXT) | instid1(VALU_DEP_2)
	v_dual_add_f32 v112, v103, v99 :: v_dual_sub_f32 v29, v29, v100
	v_sub_f32_e32 v28, v28, v102
	s_delay_alu instid0(VALU_DEP_2) | instskip(NEXT) | instid1(VALU_DEP_2)
	v_sub_f32_e32 v100, v112, v103
	v_add_f32_e32 v28, v29, v28
	s_delay_alu instid0(VALU_DEP_2) | instskip(NEXT) | instid1(VALU_DEP_1)
	v_sub_f32_e32 v29, v99, v100
	v_add_f32_e32 v28, v28, v29
	s_delay_alu instid0(VALU_DEP_1) | instskip(NEXT) | instid1(VALU_DEP_1)
	v_add_f32_e32 v28, v112, v28
	v_cndmask_b32_e32 v28, v28, v31, vcc_lo
	s_delay_alu instid0(VALU_DEP_1) | instskip(NEXT) | instid1(VALU_DEP_1)
	v_add_f32_e32 v28, v30, v28
	v_cvt_f16_f32_e32 v28, v28
	s_delay_alu instid0(VALU_DEP_1)
	v_mov_b32_e32 v102, v28
	v_cvt_f32_f16_e32 v29, v28
.LBB430_89:
	s_or_b32 exec_lo, exec_lo, s22
	v_cvt_f32_f16_e32 v99, v38
	s_delay_alu instid0(VALU_DEP_2) | instskip(SKIP_2) | instid1(VALU_DEP_3)
	v_max_f32_e32 v30, v29, v29
	v_cmp_u_f16_e32 vcc_lo, v28, v28
	v_cmp_u_f16_e64 s22, v38, v38
	v_min_f32_e32 v31, v30, v99
	s_delay_alu instid0(VALU_DEP_1) | instskip(NEXT) | instid1(VALU_DEP_1)
	v_dual_max_f32 v30, v30, v99 :: v_dual_cndmask_b32 v31, v31, v29
	v_cndmask_b32_e32 v30, v30, v29, vcc_lo
	s_delay_alu instid0(VALU_DEP_2) | instskip(NEXT) | instid1(VALU_DEP_2)
	v_cndmask_b32_e64 v31, v31, v99, s22
	v_cndmask_b32_e64 v30, v30, v99, s22
	s_delay_alu instid0(VALU_DEP_2) | instskip(NEXT) | instid1(VALU_DEP_2)
	v_cmp_class_f32_e64 s23, v31, 0x1f8
	v_cmp_neq_f32_e32 vcc_lo, v31, v30
	s_delay_alu instid0(VALU_DEP_2) | instskip(NEXT) | instid1(SALU_CYCLE_1)
	s_or_b32 s25, vcc_lo, s23
	s_and_saveexec_b32 s23, s25
	s_cbranch_execz .LBB430_91
; %bb.90:
	v_sub_f32_e32 v28, v31, v30
	s_mov_b32 s25, 0x3e9b6dac
	s_delay_alu instid0(VALU_DEP_1) | instskip(NEXT) | instid1(VALU_DEP_1)
	v_mul_f32_e32 v29, 0x3fb8aa3b, v28
	v_fma_f32 v31, 0x3fb8aa3b, v28, -v29
	v_rndne_f32_e32 v100, v29
	s_delay_alu instid0(VALU_DEP_1) | instskip(NEXT) | instid1(VALU_DEP_3)
	v_sub_f32_e32 v29, v29, v100
	v_fmamk_f32 v31, v28, 0x32a5705f, v31
	v_cmp_ngt_f32_e32 vcc_lo, 0xc2ce8ed0, v28
	s_delay_alu instid0(VALU_DEP_2) | instskip(SKIP_1) | instid1(VALU_DEP_2)
	v_add_f32_e32 v29, v29, v31
	v_cvt_i32_f32_e32 v31, v100
	v_exp_f32_e32 v29, v29
	s_waitcnt_depctr 0xfff
	v_ldexp_f32 v29, v29, v31
	s_delay_alu instid0(VALU_DEP_1) | instskip(SKIP_1) | instid1(VALU_DEP_2)
	v_cndmask_b32_e32 v29, 0, v29, vcc_lo
	v_cmp_nlt_f32_e32 vcc_lo, 0x42b17218, v28
	v_cndmask_b32_e32 v31, 0x7f800000, v29, vcc_lo
	s_delay_alu instid0(VALU_DEP_1) | instskip(NEXT) | instid1(VALU_DEP_1)
	v_add_f32_e32 v100, 1.0, v31
	v_cvt_f64_f32_e32 v[28:29], v100
	s_delay_alu instid0(VALU_DEP_1) | instskip(SKIP_1) | instid1(VALU_DEP_1)
	v_frexp_exp_i32_f64_e32 v28, v[28:29]
	v_frexp_mant_f32_e32 v29, v100
	v_cmp_gt_f32_e32 vcc_lo, 0x3f2aaaab, v29
	v_add_f32_e32 v29, -1.0, v100
	s_delay_alu instid0(VALU_DEP_1) | instskip(SKIP_2) | instid1(VALU_DEP_1)
	v_sub_f32_e32 v103, v29, v100
	v_sub_f32_e32 v29, v31, v29
	v_subrev_co_ci_u32_e32 v28, vcc_lo, 0, v28, vcc_lo
	v_sub_nc_u32_e32 v102, 0, v28
	v_cvt_f32_i32_e32 v28, v28
	s_delay_alu instid0(VALU_DEP_2) | instskip(NEXT) | instid1(VALU_DEP_1)
	v_ldexp_f32 v100, v100, v102
	v_dual_add_f32 v112, 1.0, v100 :: v_dual_add_f32 v103, 1.0, v103
	s_delay_alu instid0(VALU_DEP_1) | instskip(NEXT) | instid1(VALU_DEP_2)
	v_add_f32_e32 v29, v29, v103
	v_add_f32_e32 v103, -1.0, v112
	s_delay_alu instid0(VALU_DEP_2) | instskip(NEXT) | instid1(VALU_DEP_2)
	v_ldexp_f32 v29, v29, v102
	v_dual_add_f32 v102, -1.0, v100 :: v_dual_sub_f32 v103, v100, v103
	s_delay_alu instid0(VALU_DEP_1) | instskip(NEXT) | instid1(VALU_DEP_1)
	v_add_f32_e32 v113, 1.0, v102
	v_dual_add_f32 v103, v29, v103 :: v_dual_sub_f32 v100, v100, v113
	s_delay_alu instid0(VALU_DEP_1) | instskip(NEXT) | instid1(VALU_DEP_2)
	v_add_f32_e32 v113, v112, v103
	v_add_f32_e32 v29, v29, v100
	s_delay_alu instid0(VALU_DEP_2) | instskip(SKIP_1) | instid1(VALU_DEP_1)
	v_rcp_f32_e32 v100, v113
	v_sub_f32_e32 v112, v112, v113
	v_dual_add_f32 v114, v102, v29 :: v_dual_add_f32 v103, v103, v112
	s_delay_alu instid0(VALU_DEP_1) | instskip(SKIP_3) | instid1(VALU_DEP_2)
	v_sub_f32_e32 v102, v102, v114
	s_waitcnt_depctr 0xfff
	v_mul_f32_e32 v115, v114, v100
	v_add_f32_e32 v29, v29, v102
	v_mul_f32_e32 v116, v113, v115
	s_delay_alu instid0(VALU_DEP_1) | instskip(NEXT) | instid1(VALU_DEP_1)
	v_fma_f32 v112, v115, v113, -v116
	v_fmac_f32_e32 v112, v115, v103
	v_cmp_eq_f32_e32 vcc_lo, 0x7f800000, v31
	s_delay_alu instid0(VALU_DEP_2) | instskip(NEXT) | instid1(VALU_DEP_1)
	v_add_f32_e32 v117, v116, v112
	v_sub_f32_e32 v118, v114, v117
	v_sub_f32_e32 v102, v117, v116
	s_delay_alu instid0(VALU_DEP_2) | instskip(NEXT) | instid1(VALU_DEP_2)
	v_sub_f32_e32 v114, v114, v118
	v_sub_f32_e32 v102, v102, v112
	s_delay_alu instid0(VALU_DEP_2) | instskip(NEXT) | instid1(VALU_DEP_1)
	v_sub_f32_e32 v114, v114, v117
	v_add_f32_e32 v29, v29, v114
	s_delay_alu instid0(VALU_DEP_1) | instskip(NEXT) | instid1(VALU_DEP_1)
	v_add_f32_e32 v29, v102, v29
	v_add_f32_e32 v102, v118, v29
	s_delay_alu instid0(VALU_DEP_1) | instskip(NEXT) | instid1(VALU_DEP_1)
	v_mul_f32_e32 v112, v100, v102
	v_dual_sub_f32 v117, v118, v102 :: v_dual_mul_f32 v114, v113, v112
	s_delay_alu instid0(VALU_DEP_1) | instskip(NEXT) | instid1(VALU_DEP_2)
	v_add_f32_e32 v29, v29, v117
	v_fma_f32 v113, v112, v113, -v114
	s_delay_alu instid0(VALU_DEP_1) | instskip(NEXT) | instid1(VALU_DEP_1)
	v_fmac_f32_e32 v113, v112, v103
	v_add_f32_e32 v103, v114, v113
	s_delay_alu instid0(VALU_DEP_1) | instskip(SKIP_1) | instid1(VALU_DEP_2)
	v_sub_f32_e32 v116, v102, v103
	v_sub_f32_e32 v114, v103, v114
	;; [unrolled: 1-line block ×3, first 2 shown]
	s_delay_alu instid0(VALU_DEP_1) | instskip(NEXT) | instid1(VALU_DEP_1)
	v_sub_f32_e32 v102, v102, v103
	v_dual_add_f32 v29, v29, v102 :: v_dual_add_f32 v102, v115, v112
	s_delay_alu instid0(VALU_DEP_4) | instskip(NEXT) | instid1(VALU_DEP_1)
	v_sub_f32_e32 v103, v114, v113
	v_add_f32_e32 v29, v103, v29
	s_delay_alu instid0(VALU_DEP_3) | instskip(NEXT) | instid1(VALU_DEP_2)
	v_sub_f32_e32 v103, v102, v115
	v_add_f32_e32 v29, v116, v29
	s_delay_alu instid0(VALU_DEP_2) | instskip(NEXT) | instid1(VALU_DEP_2)
	v_sub_f32_e32 v103, v112, v103
	v_mul_f32_e32 v29, v100, v29
	s_delay_alu instid0(VALU_DEP_1) | instskip(NEXT) | instid1(VALU_DEP_1)
	v_add_f32_e32 v29, v103, v29
	v_add_f32_e32 v100, v102, v29
	s_delay_alu instid0(VALU_DEP_1) | instskip(NEXT) | instid1(VALU_DEP_1)
	v_mul_f32_e32 v103, v100, v100
	v_fmaak_f32 v112, s25, v103, 0x3ecc95a3
	v_mul_f32_e32 v113, v100, v103
	v_cmp_gt_f32_e64 s25, 0x33800000, |v31|
	s_delay_alu instid0(VALU_DEP_3) | instskip(SKIP_2) | instid1(VALU_DEP_4)
	v_fmaak_f32 v103, v103, v112, 0x3f2aaada
	v_ldexp_f32 v112, v100, 1
	v_sub_f32_e32 v100, v100, v102
	s_or_b32 vcc_lo, vcc_lo, s25
	s_delay_alu instid0(VALU_DEP_3) | instskip(SKIP_1) | instid1(VALU_DEP_2)
	v_mul_f32_e32 v103, v113, v103
	v_mul_f32_e32 v113, 0x3f317218, v28
	v_dual_sub_f32 v29, v29, v100 :: v_dual_add_f32 v102, v112, v103
	s_delay_alu instid0(VALU_DEP_1) | instskip(NEXT) | instid1(VALU_DEP_2)
	v_ldexp_f32 v29, v29, 1
	v_sub_f32_e32 v100, v102, v112
	s_delay_alu instid0(VALU_DEP_4) | instskip(NEXT) | instid1(VALU_DEP_2)
	v_fma_f32 v112, 0x3f317218, v28, -v113
	v_sub_f32_e32 v100, v103, v100
	s_delay_alu instid0(VALU_DEP_1) | instskip(NEXT) | instid1(VALU_DEP_1)
	v_dual_fmamk_f32 v28, v28, 0xb102e308, v112 :: v_dual_add_f32 v29, v29, v100
	v_dual_add_f32 v100, v113, v28 :: v_dual_add_f32 v103, v102, v29
	s_delay_alu instid0(VALU_DEP_1) | instskip(NEXT) | instid1(VALU_DEP_2)
	v_sub_f32_e32 v113, v100, v113
	v_add_f32_e32 v112, v100, v103
	v_sub_f32_e32 v102, v103, v102
	s_delay_alu instid0(VALU_DEP_3) | instskip(NEXT) | instid1(VALU_DEP_2)
	v_sub_f32_e32 v28, v28, v113
	v_dual_sub_f32 v114, v112, v100 :: v_dual_sub_f32 v29, v29, v102
	s_delay_alu instid0(VALU_DEP_1) | instskip(SKIP_1) | instid1(VALU_DEP_1)
	v_dual_sub_f32 v102, v103, v114 :: v_dual_add_f32 v103, v28, v29
	v_sub_f32_e32 v115, v112, v114
	v_sub_f32_e32 v100, v100, v115
	s_delay_alu instid0(VALU_DEP_1) | instskip(NEXT) | instid1(VALU_DEP_4)
	v_add_f32_e32 v100, v102, v100
	v_sub_f32_e32 v102, v103, v28
	s_delay_alu instid0(VALU_DEP_1) | instskip(NEXT) | instid1(VALU_DEP_1)
	v_dual_add_f32 v100, v103, v100 :: v_dual_sub_f32 v29, v29, v102
	v_add_f32_e32 v113, v112, v100
	s_delay_alu instid0(VALU_DEP_1) | instskip(NEXT) | instid1(VALU_DEP_1)
	v_dual_sub_f32 v103, v103, v102 :: v_dual_sub_f32 v102, v113, v112
	v_sub_f32_e32 v28, v28, v103
	s_delay_alu instid0(VALU_DEP_1) | instskip(NEXT) | instid1(VALU_DEP_1)
	v_dual_add_f32 v28, v29, v28 :: v_dual_sub_f32 v29, v100, v102
	v_add_f32_e32 v28, v28, v29
	s_delay_alu instid0(VALU_DEP_1) | instskip(NEXT) | instid1(VALU_DEP_1)
	v_add_f32_e32 v28, v113, v28
	v_cndmask_b32_e32 v28, v28, v31, vcc_lo
	s_delay_alu instid0(VALU_DEP_1) | instskip(NEXT) | instid1(VALU_DEP_1)
	v_add_f32_e32 v28, v30, v28
	v_cvt_f16_f32_e32 v28, v28
	s_delay_alu instid0(VALU_DEP_1)
	v_cvt_f32_f16_e32 v29, v28
	v_mov_b32_e32 v102, v28
.LBB430_91:
	s_or_b32 exec_lo, exec_lo, s23
	v_cvt_f32_f16_e32 v100, v37
	s_delay_alu instid0(VALU_DEP_3) | instskip(SKIP_2) | instid1(VALU_DEP_3)
	v_max_f32_e32 v30, v29, v29
	v_cmp_u_f16_e32 vcc_lo, v28, v28
	v_cmp_u_f16_e64 s23, v37, v37
	v_min_f32_e32 v31, v30, v100
	v_max_f32_e32 v30, v30, v100
	s_delay_alu instid0(VALU_DEP_2) | instskip(NEXT) | instid1(VALU_DEP_2)
	v_cndmask_b32_e32 v28, v31, v29, vcc_lo
	v_cndmask_b32_e32 v30, v30, v29, vcc_lo
	s_delay_alu instid0(VALU_DEP_2) | instskip(NEXT) | instid1(VALU_DEP_2)
	v_cndmask_b32_e64 v29, v28, v100, s23
	v_cndmask_b32_e64 v28, v30, v100, s23
	s_delay_alu instid0(VALU_DEP_2) | instskip(NEXT) | instid1(VALU_DEP_2)
	v_cmp_class_f32_e64 s25, v29, 0x1f8
	v_cmp_neq_f32_e32 vcc_lo, v29, v28
	s_delay_alu instid0(VALU_DEP_2) | instskip(NEXT) | instid1(SALU_CYCLE_1)
	s_or_b32 s26, vcc_lo, s25
	s_and_saveexec_b32 s25, s26
	s_cbranch_execz .LBB430_93
; %bb.92:
	v_sub_f32_e32 v29, v29, v28
	s_mov_b32 s26, 0x3e9b6dac
	s_delay_alu instid0(VALU_DEP_1) | instskip(NEXT) | instid1(VALU_DEP_1)
	v_mul_f32_e32 v30, 0x3fb8aa3b, v29
	v_fma_f32 v31, 0x3fb8aa3b, v29, -v30
	v_rndne_f32_e32 v102, v30
	s_delay_alu instid0(VALU_DEP_1) | instskip(SKIP_1) | instid1(VALU_DEP_4)
	v_sub_f32_e32 v30, v30, v102
	v_cmp_ngt_f32_e32 vcc_lo, 0xc2ce8ed0, v29
	v_fmamk_f32 v31, v29, 0x32a5705f, v31
	s_delay_alu instid0(VALU_DEP_1) | instskip(SKIP_1) | instid1(VALU_DEP_2)
	v_add_f32_e32 v30, v30, v31
	v_cvt_i32_f32_e32 v31, v102
	v_exp_f32_e32 v30, v30
	s_waitcnt_depctr 0xfff
	v_ldexp_f32 v30, v30, v31
	s_delay_alu instid0(VALU_DEP_1) | instskip(SKIP_1) | instid1(VALU_DEP_2)
	v_cndmask_b32_e32 v30, 0, v30, vcc_lo
	v_cmp_nlt_f32_e32 vcc_lo, 0x42b17218, v29
	v_cndmask_b32_e32 v31, 0x7f800000, v30, vcc_lo
	s_delay_alu instid0(VALU_DEP_1) | instskip(NEXT) | instid1(VALU_DEP_1)
	v_add_f32_e32 v102, 1.0, v31
	v_cvt_f64_f32_e32 v[29:30], v102
	s_delay_alu instid0(VALU_DEP_1) | instskip(SKIP_1) | instid1(VALU_DEP_1)
	v_frexp_exp_i32_f64_e32 v29, v[29:30]
	v_frexp_mant_f32_e32 v30, v102
	v_cmp_gt_f32_e32 vcc_lo, 0x3f2aaaab, v30
	v_add_f32_e32 v30, -1.0, v102
	s_delay_alu instid0(VALU_DEP_1) | instskip(NEXT) | instid1(VALU_DEP_1)
	v_sub_f32_e32 v112, v30, v102
	v_add_f32_e32 v112, 1.0, v112
	v_sub_f32_e32 v30, v31, v30
	v_subrev_co_ci_u32_e32 v29, vcc_lo, 0, v29, vcc_lo
	v_cmp_eq_f32_e32 vcc_lo, 0x7f800000, v31
	s_delay_alu instid0(VALU_DEP_2) | instskip(SKIP_1) | instid1(VALU_DEP_2)
	v_sub_nc_u32_e32 v103, 0, v29
	v_cvt_f32_i32_e32 v29, v29
	v_ldexp_f32 v102, v102, v103
	s_delay_alu instid0(VALU_DEP_1) | instskip(NEXT) | instid1(VALU_DEP_1)
	v_dual_add_f32 v113, 1.0, v102 :: v_dual_add_f32 v30, v30, v112
	v_add_f32_e32 v112, -1.0, v113
	s_delay_alu instid0(VALU_DEP_2) | instskip(NEXT) | instid1(VALU_DEP_2)
	v_ldexp_f32 v30, v30, v103
	v_dual_add_f32 v103, -1.0, v102 :: v_dual_sub_f32 v112, v102, v112
	s_delay_alu instid0(VALU_DEP_1) | instskip(NEXT) | instid1(VALU_DEP_2)
	v_add_f32_e32 v114, 1.0, v103
	v_add_f32_e32 v112, v30, v112
	s_delay_alu instid0(VALU_DEP_2) | instskip(NEXT) | instid1(VALU_DEP_2)
	v_sub_f32_e32 v102, v102, v114
	v_add_f32_e32 v114, v113, v112
	s_delay_alu instid0(VALU_DEP_2) | instskip(NEXT) | instid1(VALU_DEP_2)
	v_add_f32_e32 v30, v30, v102
	v_rcp_f32_e32 v102, v114
	v_sub_f32_e32 v113, v113, v114
	s_delay_alu instid0(VALU_DEP_1) | instskip(NEXT) | instid1(VALU_DEP_1)
	v_dual_add_f32 v115, v103, v30 :: v_dual_add_f32 v112, v112, v113
	v_sub_f32_e32 v103, v103, v115
	s_waitcnt_depctr 0xfff
	v_mul_f32_e32 v116, v115, v102
	v_add_f32_e32 v30, v30, v103
	s_delay_alu instid0(VALU_DEP_2) | instskip(NEXT) | instid1(VALU_DEP_1)
	v_mul_f32_e32 v117, v114, v116
	v_fma_f32 v113, v116, v114, -v117
	s_delay_alu instid0(VALU_DEP_1) | instskip(NEXT) | instid1(VALU_DEP_1)
	v_fmac_f32_e32 v113, v116, v112
	v_add_f32_e32 v118, v117, v113
	s_delay_alu instid0(VALU_DEP_1) | instskip(SKIP_1) | instid1(VALU_DEP_2)
	v_sub_f32_e32 v119, v115, v118
	v_sub_f32_e32 v103, v118, v117
	;; [unrolled: 1-line block ×3, first 2 shown]
	s_delay_alu instid0(VALU_DEP_2) | instskip(NEXT) | instid1(VALU_DEP_2)
	v_sub_f32_e32 v103, v103, v113
	v_sub_f32_e32 v115, v115, v118
	s_delay_alu instid0(VALU_DEP_1) | instskip(NEXT) | instid1(VALU_DEP_1)
	v_add_f32_e32 v30, v30, v115
	v_add_f32_e32 v30, v103, v30
	s_delay_alu instid0(VALU_DEP_1) | instskip(NEXT) | instid1(VALU_DEP_1)
	v_add_f32_e32 v103, v119, v30
	v_mul_f32_e32 v113, v102, v103
	s_delay_alu instid0(VALU_DEP_1) | instskip(NEXT) | instid1(VALU_DEP_1)
	v_dual_sub_f32 v118, v119, v103 :: v_dual_mul_f32 v115, v114, v113
	v_add_f32_e32 v30, v30, v118
	s_delay_alu instid0(VALU_DEP_2) | instskip(NEXT) | instid1(VALU_DEP_1)
	v_fma_f32 v114, v113, v114, -v115
	v_fmac_f32_e32 v114, v113, v112
	s_delay_alu instid0(VALU_DEP_1) | instskip(NEXT) | instid1(VALU_DEP_1)
	v_add_f32_e32 v112, v115, v114
	v_sub_f32_e32 v117, v103, v112
	v_sub_f32_e32 v115, v112, v115
	s_delay_alu instid0(VALU_DEP_2) | instskip(NEXT) | instid1(VALU_DEP_1)
	v_sub_f32_e32 v103, v103, v117
	v_sub_f32_e32 v103, v103, v112
	s_delay_alu instid0(VALU_DEP_1) | instskip(NEXT) | instid1(VALU_DEP_4)
	v_dual_add_f32 v30, v30, v103 :: v_dual_add_f32 v103, v116, v113
	v_sub_f32_e32 v112, v115, v114
	s_delay_alu instid0(VALU_DEP_1) | instskip(NEXT) | instid1(VALU_DEP_3)
	v_add_f32_e32 v30, v112, v30
	v_sub_f32_e32 v112, v103, v116
	s_delay_alu instid0(VALU_DEP_2) | instskip(NEXT) | instid1(VALU_DEP_2)
	v_add_f32_e32 v30, v117, v30
	v_sub_f32_e32 v112, v113, v112
	s_delay_alu instid0(VALU_DEP_2) | instskip(NEXT) | instid1(VALU_DEP_1)
	v_mul_f32_e32 v30, v102, v30
	v_add_f32_e32 v30, v112, v30
	s_delay_alu instid0(VALU_DEP_1) | instskip(NEXT) | instid1(VALU_DEP_1)
	v_add_f32_e32 v102, v103, v30
	v_mul_f32_e32 v112, v102, v102
	s_delay_alu instid0(VALU_DEP_1) | instskip(SKIP_2) | instid1(VALU_DEP_3)
	v_fmaak_f32 v113, s26, v112, 0x3ecc95a3
	v_mul_f32_e32 v114, v102, v112
	v_cmp_gt_f32_e64 s26, 0x33800000, |v31|
	v_fmaak_f32 v112, v112, v113, 0x3f2aaada
	v_ldexp_f32 v113, v102, 1
	v_sub_f32_e32 v102, v102, v103
	s_delay_alu instid0(VALU_DEP_4) | instskip(NEXT) | instid1(VALU_DEP_3)
	s_or_b32 vcc_lo, vcc_lo, s26
	v_mul_f32_e32 v112, v114, v112
	v_mul_f32_e32 v114, 0x3f317218, v29
	s_delay_alu instid0(VALU_DEP_2) | instskip(NEXT) | instid1(VALU_DEP_1)
	v_dual_sub_f32 v30, v30, v102 :: v_dual_add_f32 v103, v113, v112
	v_ldexp_f32 v30, v30, 1
	s_delay_alu instid0(VALU_DEP_2) | instskip(NEXT) | instid1(VALU_DEP_4)
	v_sub_f32_e32 v102, v103, v113
	v_fma_f32 v113, 0x3f317218, v29, -v114
	s_delay_alu instid0(VALU_DEP_1) | instskip(NEXT) | instid1(VALU_DEP_1)
	v_dual_sub_f32 v102, v112, v102 :: v_dual_fmamk_f32 v29, v29, 0xb102e308, v113
	v_add_f32_e32 v30, v30, v102
	s_delay_alu instid0(VALU_DEP_2) | instskip(NEXT) | instid1(VALU_DEP_2)
	v_add_f32_e32 v102, v114, v29
	v_add_f32_e32 v112, v103, v30
	s_delay_alu instid0(VALU_DEP_2) | instskip(NEXT) | instid1(VALU_DEP_2)
	v_sub_f32_e32 v114, v102, v114
	v_add_f32_e32 v113, v102, v112
	v_sub_f32_e32 v103, v112, v103
	s_delay_alu instid0(VALU_DEP_3) | instskip(NEXT) | instid1(VALU_DEP_2)
	v_sub_f32_e32 v29, v29, v114
	v_dual_sub_f32 v115, v113, v102 :: v_dual_sub_f32 v30, v30, v103
	s_delay_alu instid0(VALU_DEP_1) | instskip(NEXT) | instid1(VALU_DEP_2)
	v_sub_f32_e32 v116, v113, v115
	v_dual_sub_f32 v103, v112, v115 :: v_dual_add_f32 v112, v29, v30
	s_delay_alu instid0(VALU_DEP_2) | instskip(NEXT) | instid1(VALU_DEP_1)
	v_sub_f32_e32 v102, v102, v116
	v_dual_add_f32 v102, v103, v102 :: v_dual_sub_f32 v103, v112, v29
	s_delay_alu instid0(VALU_DEP_1) | instskip(NEXT) | instid1(VALU_DEP_2)
	v_add_f32_e32 v102, v112, v102
	v_sub_f32_e32 v112, v112, v103
	v_sub_f32_e32 v30, v30, v103
	s_delay_alu instid0(VALU_DEP_3) | instskip(NEXT) | instid1(VALU_DEP_3)
	v_add_f32_e32 v114, v113, v102
	v_sub_f32_e32 v29, v29, v112
	s_delay_alu instid0(VALU_DEP_2) | instskip(NEXT) | instid1(VALU_DEP_2)
	v_sub_f32_e32 v103, v114, v113
	v_add_f32_e32 v29, v30, v29
	s_delay_alu instid0(VALU_DEP_2) | instskip(NEXT) | instid1(VALU_DEP_1)
	v_sub_f32_e32 v30, v102, v103
	v_add_f32_e32 v29, v29, v30
	s_delay_alu instid0(VALU_DEP_1) | instskip(NEXT) | instid1(VALU_DEP_1)
	v_add_f32_e32 v29, v114, v29
	v_cndmask_b32_e32 v29, v29, v31, vcc_lo
	s_delay_alu instid0(VALU_DEP_1) | instskip(NEXT) | instid1(VALU_DEP_1)
	v_add_f32_e32 v28, v28, v29
	v_cvt_f16_f32_e32 v102, v28
.LBB430_93:
	s_or_b32 exec_lo, exec_lo, s25
	v_lshrrev_b32_e32 v28, 5, v21
	v_cmp_gt_u32_e32 vcc_lo, 32, v21
	s_delay_alu instid0(VALU_DEP_2)
	v_add_lshl_u32 v28, v28, v21, 1
	ds_store_b16 v28, v102
	s_waitcnt lgkmcnt(0)
	s_barrier
	buffer_gl0_inv
	s_and_saveexec_b32 s27, vcc_lo
	s_cbranch_execz .LBB430_121
; %bb.94:
	v_lshrrev_b32_e32 v28, 3, v21
	s_delay_alu instid0(VALU_DEP_1) | instskip(NEXT) | instid1(VALU_DEP_1)
	v_and_b32_e32 v28, 0x7e, v28
	v_lshl_or_b32 v28, v21, 2, v28
	ds_load_u16 v103, v28
	ds_load_u16 v30, v28 offset:2
	s_waitcnt lgkmcnt(1)
	v_cvt_f32_f16_e32 v29, v103
	s_waitcnt lgkmcnt(0)
	v_cvt_f32_f16_e32 v112, v30
	v_cmp_u_f16_e64 s25, v103, v103
	v_cmp_u_f16_e64 s26, v30, v30
	s_delay_alu instid0(VALU_DEP_3) | instskip(SKIP_1) | instid1(VALU_DEP_2)
	v_min_f32_e32 v31, v29, v112
	v_max_f32_e32 v113, v29, v112
	v_cndmask_b32_e64 v31, v31, v29, s25
	s_delay_alu instid0(VALU_DEP_2) | instskip(NEXT) | instid1(VALU_DEP_2)
	v_cndmask_b32_e64 v113, v113, v29, s25
	v_cndmask_b32_e64 v31, v31, v112, s26
	s_delay_alu instid0(VALU_DEP_2) | instskip(NEXT) | instid1(VALU_DEP_2)
	v_cndmask_b32_e64 v30, v113, v112, s26
	v_cmp_class_f32_e64 s29, v31, 0x1f8
	s_delay_alu instid0(VALU_DEP_2) | instskip(NEXT) | instid1(VALU_DEP_1)
	v_cmp_neq_f32_e64 s26, v31, v30
	s_or_b32 s26, s26, s29
	s_delay_alu instid0(SALU_CYCLE_1)
	s_and_saveexec_b32 s29, s26
	s_cbranch_execz .LBB430_96
; %bb.95:
	v_sub_f32_e32 v31, v31, v30
	s_delay_alu instid0(VALU_DEP_1) | instskip(SKIP_1) | instid1(VALU_DEP_2)
	v_mul_f32_e32 v103, 0x3fb8aa3b, v31
	v_cmp_ngt_f32_e64 s26, 0xc2ce8ed0, v31
	v_fma_f32 v112, 0x3fb8aa3b, v31, -v103
	v_rndne_f32_e32 v113, v103
	s_delay_alu instid0(VALU_DEP_2) | instskip(NEXT) | instid1(VALU_DEP_2)
	v_fmamk_f32 v112, v31, 0x32a5705f, v112
	v_sub_f32_e32 v103, v103, v113
	s_delay_alu instid0(VALU_DEP_1) | instskip(SKIP_1) | instid1(VALU_DEP_2)
	v_add_f32_e32 v103, v103, v112
	v_cvt_i32_f32_e32 v112, v113
	v_exp_f32_e32 v103, v103
	s_waitcnt_depctr 0xfff
	v_ldexp_f32 v103, v103, v112
	s_delay_alu instid0(VALU_DEP_1) | instskip(SKIP_1) | instid1(VALU_DEP_1)
	v_cndmask_b32_e64 v103, 0, v103, s26
	v_cmp_nlt_f32_e64 s26, 0x42b17218, v31
	v_cndmask_b32_e64 v31, 0x7f800000, v103, s26
	s_delay_alu instid0(VALU_DEP_1) | instskip(SKIP_1) | instid1(VALU_DEP_2)
	v_add_f32_e32 v103, 1.0, v31
	v_cmp_gt_f32_e64 vcc_hi, 0x33800000, |v31|
	v_cvt_f64_f32_e32 v[112:113], v103
	s_delay_alu instid0(VALU_DEP_1) | instskip(SKIP_1) | instid1(VALU_DEP_1)
	v_frexp_exp_i32_f64_e32 v112, v[112:113]
	v_frexp_mant_f32_e32 v113, v103
	v_cmp_gt_f32_e64 s26, 0x3f2aaaab, v113
	v_add_f32_e32 v113, -1.0, v103
	s_delay_alu instid0(VALU_DEP_1) | instskip(NEXT) | instid1(VALU_DEP_1)
	v_sub_f32_e32 v115, v113, v103
	v_add_f32_e32 v115, 1.0, v115
	s_delay_alu instid0(VALU_DEP_4) | instskip(SKIP_1) | instid1(VALU_DEP_1)
	v_subrev_co_ci_u32_e64 v112, s26, 0, v112, s26
	s_mov_b32 s26, 0x3e9b6dac
	v_sub_nc_u32_e32 v114, 0, v112
	v_cvt_f32_i32_e32 v112, v112
	s_delay_alu instid0(VALU_DEP_2) | instskip(NEXT) | instid1(VALU_DEP_1)
	v_ldexp_f32 v103, v103, v114
	v_dual_sub_f32 v113, v31, v113 :: v_dual_add_f32 v116, 1.0, v103
	s_delay_alu instid0(VALU_DEP_1) | instskip(NEXT) | instid1(VALU_DEP_1)
	v_add_f32_e32 v113, v113, v115
	v_ldexp_f32 v113, v113, v114
	s_delay_alu instid0(VALU_DEP_3) | instskip(NEXT) | instid1(VALU_DEP_1)
	v_dual_add_f32 v114, -1.0, v103 :: v_dual_add_f32 v115, -1.0, v116
	v_add_f32_e32 v117, 1.0, v114
	s_delay_alu instid0(VALU_DEP_2) | instskip(NEXT) | instid1(VALU_DEP_2)
	v_sub_f32_e32 v115, v103, v115
	v_sub_f32_e32 v103, v103, v117
	s_delay_alu instid0(VALU_DEP_2) | instskip(NEXT) | instid1(VALU_DEP_2)
	v_add_f32_e32 v115, v113, v115
	v_add_f32_e32 v103, v113, v103
	s_delay_alu instid0(VALU_DEP_2) | instskip(NEXT) | instid1(VALU_DEP_2)
	v_add_f32_e32 v117, v116, v115
	v_add_f32_e32 v118, v114, v103
	s_delay_alu instid0(VALU_DEP_2) | instskip(SKIP_1) | instid1(VALU_DEP_1)
	v_rcp_f32_e32 v113, v117
	v_sub_f32_e32 v116, v116, v117
	v_dual_sub_f32 v114, v114, v118 :: v_dual_add_f32 v115, v115, v116
	s_delay_alu instid0(VALU_DEP_1) | instskip(SKIP_2) | instid1(VALU_DEP_1)
	v_add_f32_e32 v103, v103, v114
	s_waitcnt_depctr 0xfff
	v_mul_f32_e32 v119, v118, v113
	v_mul_f32_e32 v128, v117, v119
	s_delay_alu instid0(VALU_DEP_1) | instskip(NEXT) | instid1(VALU_DEP_1)
	v_fma_f32 v116, v119, v117, -v128
	v_fmac_f32_e32 v116, v119, v115
	s_delay_alu instid0(VALU_DEP_1) | instskip(NEXT) | instid1(VALU_DEP_1)
	v_add_f32_e32 v129, v128, v116
	v_sub_f32_e32 v130, v118, v129
	v_sub_f32_e32 v114, v129, v128
	s_delay_alu instid0(VALU_DEP_2) | instskip(NEXT) | instid1(VALU_DEP_2)
	v_sub_f32_e32 v118, v118, v130
	v_sub_f32_e32 v114, v114, v116
	s_delay_alu instid0(VALU_DEP_2) | instskip(NEXT) | instid1(VALU_DEP_1)
	v_sub_f32_e32 v118, v118, v129
	v_add_f32_e32 v103, v103, v118
	s_delay_alu instid0(VALU_DEP_1) | instskip(NEXT) | instid1(VALU_DEP_1)
	v_add_f32_e32 v103, v114, v103
	v_add_f32_e32 v114, v130, v103
	s_delay_alu instid0(VALU_DEP_1) | instskip(NEXT) | instid1(VALU_DEP_1)
	v_mul_f32_e32 v116, v113, v114
	v_dual_sub_f32 v129, v130, v114 :: v_dual_mul_f32 v118, v117, v116
	s_delay_alu instid0(VALU_DEP_1) | instskip(NEXT) | instid1(VALU_DEP_2)
	v_add_f32_e32 v103, v103, v129
	v_fma_f32 v117, v116, v117, -v118
	s_delay_alu instid0(VALU_DEP_1) | instskip(NEXT) | instid1(VALU_DEP_1)
	v_fmac_f32_e32 v117, v116, v115
	v_add_f32_e32 v115, v118, v117
	s_delay_alu instid0(VALU_DEP_1) | instskip(SKIP_1) | instid1(VALU_DEP_2)
	v_sub_f32_e32 v128, v114, v115
	v_sub_f32_e32 v118, v115, v118
	;; [unrolled: 1-line block ×3, first 2 shown]
	s_delay_alu instid0(VALU_DEP_1) | instskip(NEXT) | instid1(VALU_DEP_3)
	v_sub_f32_e32 v114, v114, v115
	v_sub_f32_e32 v115, v118, v117
	s_delay_alu instid0(VALU_DEP_2) | instskip(SKIP_1) | instid1(VALU_DEP_2)
	v_add_f32_e32 v103, v103, v114
	v_add_f32_e32 v114, v119, v116
	;; [unrolled: 1-line block ×3, first 2 shown]
	s_delay_alu instid0(VALU_DEP_2) | instskip(NEXT) | instid1(VALU_DEP_2)
	v_sub_f32_e32 v115, v114, v119
	v_add_f32_e32 v103, v128, v103
	s_delay_alu instid0(VALU_DEP_2) | instskip(NEXT) | instid1(VALU_DEP_2)
	v_sub_f32_e32 v115, v116, v115
	v_mul_f32_e32 v103, v113, v103
	s_delay_alu instid0(VALU_DEP_1) | instskip(NEXT) | instid1(VALU_DEP_1)
	v_add_f32_e32 v103, v115, v103
	v_add_f32_e32 v113, v114, v103
	s_delay_alu instid0(VALU_DEP_1) | instskip(NEXT) | instid1(VALU_DEP_1)
	v_mul_f32_e32 v115, v113, v113
	v_fmaak_f32 v116, s26, v115, 0x3ecc95a3
	v_mul_f32_e32 v117, v113, v115
	v_cmp_eq_f32_e64 s26, 0x7f800000, v31
	s_delay_alu instid0(VALU_DEP_3) | instskip(SKIP_2) | instid1(VALU_DEP_4)
	v_fmaak_f32 v115, v115, v116, 0x3f2aaada
	v_ldexp_f32 v116, v113, 1
	v_sub_f32_e32 v113, v113, v114
	s_or_b32 s26, s26, vcc_hi
	s_delay_alu instid0(VALU_DEP_3) | instskip(SKIP_1) | instid1(VALU_DEP_2)
	v_mul_f32_e32 v115, v117, v115
	v_mul_f32_e32 v117, 0x3f317218, v112
	v_dual_sub_f32 v103, v103, v113 :: v_dual_add_f32 v114, v116, v115
	s_delay_alu instid0(VALU_DEP_1) | instskip(NEXT) | instid1(VALU_DEP_2)
	v_ldexp_f32 v103, v103, 1
	v_sub_f32_e32 v113, v114, v116
	s_delay_alu instid0(VALU_DEP_4) | instskip(NEXT) | instid1(VALU_DEP_1)
	v_fma_f32 v116, 0x3f317218, v112, -v117
	v_dual_sub_f32 v113, v115, v113 :: v_dual_fmamk_f32 v112, v112, 0xb102e308, v116
	s_delay_alu instid0(VALU_DEP_1) | instskip(NEXT) | instid1(VALU_DEP_2)
	v_add_f32_e32 v103, v103, v113
	v_add_f32_e32 v113, v117, v112
	s_delay_alu instid0(VALU_DEP_2) | instskip(NEXT) | instid1(VALU_DEP_2)
	v_add_f32_e32 v115, v114, v103
	v_sub_f32_e32 v117, v113, v117
	s_delay_alu instid0(VALU_DEP_2) | instskip(SKIP_1) | instid1(VALU_DEP_3)
	v_add_f32_e32 v116, v113, v115
	v_sub_f32_e32 v114, v115, v114
	v_sub_f32_e32 v112, v112, v117
	s_delay_alu instid0(VALU_DEP_2) | instskip(NEXT) | instid1(VALU_DEP_1)
	v_dual_sub_f32 v118, v116, v113 :: v_dual_sub_f32 v103, v103, v114
	v_sub_f32_e32 v119, v116, v118
	s_delay_alu instid0(VALU_DEP_2) | instskip(NEXT) | instid1(VALU_DEP_2)
	v_dual_sub_f32 v114, v115, v118 :: v_dual_add_f32 v115, v112, v103
	v_sub_f32_e32 v113, v113, v119
	s_delay_alu instid0(VALU_DEP_1) | instskip(NEXT) | instid1(VALU_DEP_1)
	v_dual_add_f32 v113, v114, v113 :: v_dual_sub_f32 v114, v115, v112
	v_add_f32_e32 v113, v115, v113
	s_delay_alu instid0(VALU_DEP_2) | instskip(SKIP_1) | instid1(VALU_DEP_3)
	v_sub_f32_e32 v115, v115, v114
	v_sub_f32_e32 v103, v103, v114
	v_add_f32_e32 v117, v116, v113
	s_delay_alu instid0(VALU_DEP_3) | instskip(NEXT) | instid1(VALU_DEP_2)
	v_sub_f32_e32 v112, v112, v115
	v_sub_f32_e32 v114, v117, v116
	s_delay_alu instid0(VALU_DEP_1) | instskip(NEXT) | instid1(VALU_DEP_1)
	v_dual_add_f32 v103, v103, v112 :: v_dual_sub_f32 v112, v113, v114
	v_add_f32_e32 v103, v103, v112
	s_delay_alu instid0(VALU_DEP_1) | instskip(NEXT) | instid1(VALU_DEP_1)
	v_add_f32_e32 v103, v117, v103
	v_cndmask_b32_e64 v31, v103, v31, s26
	s_delay_alu instid0(VALU_DEP_1) | instskip(NEXT) | instid1(VALU_DEP_1)
	v_add_f32_e32 v30, v30, v31
	v_cvt_f16_f32_e32 v103, v30
.LBB430_96:
	s_or_b32 exec_lo, exec_lo, s29
	v_mbcnt_lo_u32_b32 v30, -1, 0
	s_delay_alu instid0(VALU_DEP_2) | instskip(SKIP_1) | instid1(VALU_DEP_2)
	v_and_b32_e32 v112, 0xffff, v103
	s_mov_b32 s29, exec_lo
	v_and_b32_e32 v31, 15, v30
	s_delay_alu instid0(VALU_DEP_2) | instskip(NEXT) | instid1(VALU_DEP_2)
	v_mov_b32_dpp v113, v112 row_shr:1 row_mask:0xf bank_mask:0xf
	v_cmpx_ne_u32_e32 0, v31
	s_cbranch_execz .LBB430_100
; %bb.97:
	s_delay_alu instid0(VALU_DEP_2) | instskip(SKIP_2) | instid1(VALU_DEP_2)
	v_cvt_f32_f16_e32 v112, v113
	v_cvt_f32_f16_e32 v114, v103
	v_cmp_u_f16_e64 s26, v113, v113
	v_min_f32_e32 v115, v112, v114
	v_max_f32_e32 v116, v112, v114
	s_delay_alu instid0(VALU_DEP_2) | instskip(NEXT) | instid1(VALU_DEP_2)
	v_cndmask_b32_e64 v115, v115, v112, s26
	v_cndmask_b32_e64 v116, v116, v112, s26
	v_cmp_u_f16_e64 s26, v103, v103
	s_delay_alu instid0(VALU_DEP_1) | instskip(NEXT) | instid1(VALU_DEP_3)
	v_cndmask_b32_e64 v112, v115, v114, s26
	v_cndmask_b32_e64 v103, v116, v114, s26
	s_delay_alu instid0(VALU_DEP_2) | instskip(NEXT) | instid1(VALU_DEP_2)
	v_cmp_class_f32_e64 vcc_hi, v112, 0x1f8
	v_cmp_neq_f32_e64 s26, v112, v103
	s_delay_alu instid0(VALU_DEP_1) | instskip(NEXT) | instid1(SALU_CYCLE_1)
	s_or_b32 s26, s26, vcc_hi
	s_and_saveexec_b32 vcc_hi, s26
	s_cbranch_execz .LBB430_99
; %bb.98:
	v_sub_f32_e32 v112, v112, v103
	s_delay_alu instid0(VALU_DEP_1) | instskip(NEXT) | instid1(VALU_DEP_1)
	v_mul_f32_e32 v113, 0x3fb8aa3b, v112
	v_fma_f32 v114, 0x3fb8aa3b, v112, -v113
	v_rndne_f32_e32 v115, v113
	s_delay_alu instid0(VALU_DEP_1) | instskip(NEXT) | instid1(VALU_DEP_1)
	v_dual_fmamk_f32 v114, v112, 0x32a5705f, v114 :: v_dual_sub_f32 v113, v113, v115
	v_add_f32_e32 v113, v113, v114
	v_cvt_i32_f32_e32 v114, v115
	v_cmp_ngt_f32_e64 s26, 0xc2ce8ed0, v112
	s_delay_alu instid0(VALU_DEP_3) | instskip(SKIP_2) | instid1(VALU_DEP_1)
	v_exp_f32_e32 v113, v113
	s_waitcnt_depctr 0xfff
	v_ldexp_f32 v113, v113, v114
	v_cndmask_b32_e64 v113, 0, v113, s26
	v_cmp_nlt_f32_e64 s26, 0x42b17218, v112
	s_delay_alu instid0(VALU_DEP_1) | instskip(NEXT) | instid1(VALU_DEP_1)
	v_cndmask_b32_e64 v114, 0x7f800000, v113, s26
	v_add_f32_e32 v115, 1.0, v114
	v_cmp_gt_f32_e64 s30, 0x33800000, |v114|
	s_delay_alu instid0(VALU_DEP_2) | instskip(NEXT) | instid1(VALU_DEP_1)
	v_cvt_f64_f32_e32 v[112:113], v115
	v_frexp_exp_i32_f64_e32 v112, v[112:113]
	v_frexp_mant_f32_e32 v113, v115
	s_delay_alu instid0(VALU_DEP_1) | instskip(SKIP_1) | instid1(VALU_DEP_1)
	v_cmp_gt_f32_e64 s26, 0x3f2aaaab, v113
	v_add_f32_e32 v113, -1.0, v115
	v_sub_f32_e32 v117, v113, v115
	s_delay_alu instid0(VALU_DEP_3) | instskip(SKIP_1) | instid1(VALU_DEP_1)
	v_subrev_co_ci_u32_e64 v112, s26, 0, v112, s26
	s_mov_b32 s26, 0x3e9b6dac
	v_sub_nc_u32_e32 v116, 0, v112
	v_cvt_f32_i32_e32 v112, v112
	s_delay_alu instid0(VALU_DEP_2) | instskip(NEXT) | instid1(VALU_DEP_1)
	v_ldexp_f32 v115, v115, v116
	v_dual_sub_f32 v113, v114, v113 :: v_dual_add_f32 v118, 1.0, v115
	v_add_f32_e32 v117, 1.0, v117
	s_delay_alu instid0(VALU_DEP_1) | instskip(NEXT) | instid1(VALU_DEP_3)
	v_add_f32_e32 v113, v113, v117
	v_add_f32_e32 v117, -1.0, v118
	s_delay_alu instid0(VALU_DEP_2) | instskip(NEXT) | instid1(VALU_DEP_2)
	v_ldexp_f32 v113, v113, v116
	v_dual_add_f32 v116, -1.0, v115 :: v_dual_sub_f32 v117, v115, v117
	s_delay_alu instid0(VALU_DEP_1) | instskip(NEXT) | instid1(VALU_DEP_2)
	v_add_f32_e32 v119, 1.0, v116
	v_add_f32_e32 v117, v113, v117
	s_delay_alu instid0(VALU_DEP_2) | instskip(NEXT) | instid1(VALU_DEP_2)
	v_sub_f32_e32 v115, v115, v119
	v_add_f32_e32 v119, v118, v117
	s_delay_alu instid0(VALU_DEP_2) | instskip(NEXT) | instid1(VALU_DEP_2)
	v_add_f32_e32 v113, v113, v115
	v_rcp_f32_e32 v115, v119
	v_sub_f32_e32 v118, v118, v119
	s_delay_alu instid0(VALU_DEP_1) | instskip(NEXT) | instid1(VALU_DEP_1)
	v_dual_add_f32 v128, v116, v113 :: v_dual_add_f32 v117, v117, v118
	v_sub_f32_e32 v116, v116, v128
	s_waitcnt_depctr 0xfff
	v_mul_f32_e32 v129, v128, v115
	s_delay_alu instid0(VALU_DEP_1) | instskip(NEXT) | instid1(VALU_DEP_1)
	v_dual_add_f32 v113, v113, v116 :: v_dual_mul_f32 v130, v119, v129
	v_fma_f32 v118, v129, v119, -v130
	s_delay_alu instid0(VALU_DEP_1) | instskip(NEXT) | instid1(VALU_DEP_1)
	v_fmac_f32_e32 v118, v129, v117
	v_add_f32_e32 v131, v130, v118
	s_delay_alu instid0(VALU_DEP_1) | instskip(SKIP_1) | instid1(VALU_DEP_2)
	v_sub_f32_e32 v132, v128, v131
	v_sub_f32_e32 v116, v131, v130
	v_sub_f32_e32 v128, v128, v132
	s_delay_alu instid0(VALU_DEP_2) | instskip(NEXT) | instid1(VALU_DEP_2)
	v_sub_f32_e32 v116, v116, v118
	v_sub_f32_e32 v128, v128, v131
	s_delay_alu instid0(VALU_DEP_1) | instskip(NEXT) | instid1(VALU_DEP_1)
	v_add_f32_e32 v113, v113, v128
	v_add_f32_e32 v113, v116, v113
	s_delay_alu instid0(VALU_DEP_1) | instskip(NEXT) | instid1(VALU_DEP_1)
	v_add_f32_e32 v116, v132, v113
	v_mul_f32_e32 v118, v115, v116
	s_delay_alu instid0(VALU_DEP_1) | instskip(NEXT) | instid1(VALU_DEP_1)
	v_dual_sub_f32 v131, v132, v116 :: v_dual_mul_f32 v128, v119, v118
	v_add_f32_e32 v113, v113, v131
	s_delay_alu instid0(VALU_DEP_2) | instskip(NEXT) | instid1(VALU_DEP_1)
	v_fma_f32 v119, v118, v119, -v128
	v_fmac_f32_e32 v119, v118, v117
	s_delay_alu instid0(VALU_DEP_1) | instskip(NEXT) | instid1(VALU_DEP_1)
	v_add_f32_e32 v117, v128, v119
	v_sub_f32_e32 v130, v116, v117
	v_sub_f32_e32 v128, v117, v128
	s_delay_alu instid0(VALU_DEP_2) | instskip(NEXT) | instid1(VALU_DEP_1)
	v_sub_f32_e32 v116, v116, v130
	v_sub_f32_e32 v116, v116, v117
	s_delay_alu instid0(VALU_DEP_3) | instskip(NEXT) | instid1(VALU_DEP_2)
	v_sub_f32_e32 v117, v128, v119
	v_add_f32_e32 v113, v113, v116
	v_add_f32_e32 v116, v129, v118
	s_delay_alu instid0(VALU_DEP_2) | instskip(NEXT) | instid1(VALU_DEP_2)
	v_add_f32_e32 v113, v117, v113
	v_sub_f32_e32 v117, v116, v129
	s_delay_alu instid0(VALU_DEP_2) | instskip(NEXT) | instid1(VALU_DEP_2)
	v_add_f32_e32 v113, v130, v113
	v_sub_f32_e32 v117, v118, v117
	s_delay_alu instid0(VALU_DEP_2) | instskip(NEXT) | instid1(VALU_DEP_1)
	v_mul_f32_e32 v113, v115, v113
	v_add_f32_e32 v113, v117, v113
	s_delay_alu instid0(VALU_DEP_1) | instskip(NEXT) | instid1(VALU_DEP_1)
	v_add_f32_e32 v115, v116, v113
	v_mul_f32_e32 v117, v115, v115
	s_delay_alu instid0(VALU_DEP_1) | instskip(SKIP_2) | instid1(VALU_DEP_3)
	v_fmaak_f32 v118, s26, v117, 0x3ecc95a3
	v_mul_f32_e32 v119, v115, v117
	v_cmp_eq_f32_e64 s26, 0x7f800000, v114
	v_fmaak_f32 v117, v117, v118, 0x3f2aaada
	v_ldexp_f32 v118, v115, 1
	v_sub_f32_e32 v115, v115, v116
	s_delay_alu instid0(VALU_DEP_4) | instskip(NEXT) | instid1(VALU_DEP_3)
	s_or_b32 s26, s26, s30
	v_mul_f32_e32 v117, v119, v117
	v_mul_f32_e32 v119, 0x3f317218, v112
	s_delay_alu instid0(VALU_DEP_2) | instskip(NEXT) | instid1(VALU_DEP_1)
	v_dual_sub_f32 v113, v113, v115 :: v_dual_add_f32 v116, v118, v117
	v_ldexp_f32 v113, v113, 1
	s_delay_alu instid0(VALU_DEP_2) | instskip(NEXT) | instid1(VALU_DEP_4)
	v_sub_f32_e32 v115, v116, v118
	v_fma_f32 v118, 0x3f317218, v112, -v119
	s_delay_alu instid0(VALU_DEP_1) | instskip(NEXT) | instid1(VALU_DEP_1)
	v_dual_sub_f32 v115, v117, v115 :: v_dual_fmamk_f32 v112, v112, 0xb102e308, v118
	v_add_f32_e32 v113, v113, v115
	s_delay_alu instid0(VALU_DEP_2) | instskip(NEXT) | instid1(VALU_DEP_2)
	v_add_f32_e32 v115, v119, v112
	v_add_f32_e32 v117, v116, v113
	s_delay_alu instid0(VALU_DEP_2) | instskip(NEXT) | instid1(VALU_DEP_2)
	v_sub_f32_e32 v119, v115, v119
	v_add_f32_e32 v118, v115, v117
	v_sub_f32_e32 v116, v117, v116
	s_delay_alu instid0(VALU_DEP_3) | instskip(NEXT) | instid1(VALU_DEP_2)
	v_sub_f32_e32 v112, v112, v119
	v_dual_sub_f32 v128, v118, v115 :: v_dual_sub_f32 v113, v113, v116
	s_delay_alu instid0(VALU_DEP_1) | instskip(NEXT) | instid1(VALU_DEP_2)
	v_sub_f32_e32 v129, v118, v128
	v_dual_sub_f32 v116, v117, v128 :: v_dual_add_f32 v117, v112, v113
	s_delay_alu instid0(VALU_DEP_2) | instskip(NEXT) | instid1(VALU_DEP_1)
	v_sub_f32_e32 v115, v115, v129
	v_dual_add_f32 v115, v116, v115 :: v_dual_sub_f32 v116, v117, v112
	s_delay_alu instid0(VALU_DEP_1) | instskip(NEXT) | instid1(VALU_DEP_2)
	v_add_f32_e32 v115, v117, v115
	v_sub_f32_e32 v117, v117, v116
	v_sub_f32_e32 v113, v113, v116
	s_delay_alu instid0(VALU_DEP_2) | instskip(NEXT) | instid1(VALU_DEP_1)
	v_dual_add_f32 v119, v118, v115 :: v_dual_sub_f32 v112, v112, v117
	v_sub_f32_e32 v116, v119, v118
	s_delay_alu instid0(VALU_DEP_2) | instskip(NEXT) | instid1(VALU_DEP_2)
	v_add_f32_e32 v112, v113, v112
	v_sub_f32_e32 v113, v115, v116
	s_delay_alu instid0(VALU_DEP_1) | instskip(NEXT) | instid1(VALU_DEP_1)
	v_add_f32_e32 v112, v112, v113
	v_add_f32_e32 v112, v119, v112
	s_delay_alu instid0(VALU_DEP_1) | instskip(NEXT) | instid1(VALU_DEP_1)
	v_cndmask_b32_e64 v112, v112, v114, s26
	v_add_f32_e32 v103, v103, v112
	s_delay_alu instid0(VALU_DEP_1)
	v_cvt_f16_f32_e32 v113, v103
.LBB430_99:
	s_or_b32 exec_lo, exec_lo, vcc_hi
	s_delay_alu instid0(VALU_DEP_1)
	v_dual_mov_b32 v103, v113 :: v_dual_and_b32 v112, 0xffff, v113
.LBB430_100:
	s_or_b32 exec_lo, exec_lo, s29
	s_delay_alu instid0(VALU_DEP_1)
	v_mov_b32_dpp v113, v112 row_shr:2 row_mask:0xf bank_mask:0xf
	s_mov_b32 s29, exec_lo
	v_cmpx_lt_u32_e32 1, v31
	s_cbranch_execz .LBB430_104
; %bb.101:
	s_delay_alu instid0(VALU_DEP_2) | instskip(SKIP_2) | instid1(VALU_DEP_2)
	v_cvt_f32_f16_e32 v112, v113
	v_cvt_f32_f16_e32 v114, v103
	v_cmp_u_f16_e64 s26, v113, v113
	v_min_f32_e32 v115, v112, v114
	v_max_f32_e32 v116, v112, v114
	s_delay_alu instid0(VALU_DEP_2) | instskip(NEXT) | instid1(VALU_DEP_2)
	v_cndmask_b32_e64 v115, v115, v112, s26
	v_cndmask_b32_e64 v116, v116, v112, s26
	v_cmp_u_f16_e64 s26, v103, v103
	s_delay_alu instid0(VALU_DEP_1) | instskip(NEXT) | instid1(VALU_DEP_3)
	v_cndmask_b32_e64 v112, v115, v114, s26
	v_cndmask_b32_e64 v103, v116, v114, s26
	s_delay_alu instid0(VALU_DEP_2) | instskip(NEXT) | instid1(VALU_DEP_2)
	v_cmp_class_f32_e64 vcc_hi, v112, 0x1f8
	v_cmp_neq_f32_e64 s26, v112, v103
	s_delay_alu instid0(VALU_DEP_1) | instskip(NEXT) | instid1(SALU_CYCLE_1)
	s_or_b32 s26, s26, vcc_hi
	s_and_saveexec_b32 vcc_hi, s26
	s_cbranch_execz .LBB430_103
; %bb.102:
	v_sub_f32_e32 v112, v112, v103
	s_delay_alu instid0(VALU_DEP_1) | instskip(NEXT) | instid1(VALU_DEP_1)
	v_mul_f32_e32 v113, 0x3fb8aa3b, v112
	v_fma_f32 v114, 0x3fb8aa3b, v112, -v113
	v_rndne_f32_e32 v115, v113
	s_delay_alu instid0(VALU_DEP_1) | instskip(NEXT) | instid1(VALU_DEP_1)
	v_dual_fmamk_f32 v114, v112, 0x32a5705f, v114 :: v_dual_sub_f32 v113, v113, v115
	v_add_f32_e32 v113, v113, v114
	v_cvt_i32_f32_e32 v114, v115
	v_cmp_ngt_f32_e64 s26, 0xc2ce8ed0, v112
	s_delay_alu instid0(VALU_DEP_3) | instskip(SKIP_2) | instid1(VALU_DEP_1)
	v_exp_f32_e32 v113, v113
	s_waitcnt_depctr 0xfff
	v_ldexp_f32 v113, v113, v114
	v_cndmask_b32_e64 v113, 0, v113, s26
	v_cmp_nlt_f32_e64 s26, 0x42b17218, v112
	s_delay_alu instid0(VALU_DEP_1) | instskip(NEXT) | instid1(VALU_DEP_1)
	v_cndmask_b32_e64 v114, 0x7f800000, v113, s26
	v_add_f32_e32 v115, 1.0, v114
	v_cmp_gt_f32_e64 s30, 0x33800000, |v114|
	s_delay_alu instid0(VALU_DEP_2) | instskip(NEXT) | instid1(VALU_DEP_1)
	v_cvt_f64_f32_e32 v[112:113], v115
	v_frexp_exp_i32_f64_e32 v112, v[112:113]
	v_frexp_mant_f32_e32 v113, v115
	s_delay_alu instid0(VALU_DEP_1) | instskip(SKIP_1) | instid1(VALU_DEP_1)
	v_cmp_gt_f32_e64 s26, 0x3f2aaaab, v113
	v_add_f32_e32 v113, -1.0, v115
	v_sub_f32_e32 v117, v113, v115
	s_delay_alu instid0(VALU_DEP_3) | instskip(SKIP_1) | instid1(VALU_DEP_1)
	v_subrev_co_ci_u32_e64 v112, s26, 0, v112, s26
	s_mov_b32 s26, 0x3e9b6dac
	v_sub_nc_u32_e32 v116, 0, v112
	v_cvt_f32_i32_e32 v112, v112
	s_delay_alu instid0(VALU_DEP_2) | instskip(NEXT) | instid1(VALU_DEP_1)
	v_ldexp_f32 v115, v115, v116
	v_dual_sub_f32 v113, v114, v113 :: v_dual_add_f32 v118, 1.0, v115
	v_add_f32_e32 v117, 1.0, v117
	s_delay_alu instid0(VALU_DEP_1) | instskip(NEXT) | instid1(VALU_DEP_3)
	v_add_f32_e32 v113, v113, v117
	v_add_f32_e32 v117, -1.0, v118
	s_delay_alu instid0(VALU_DEP_2) | instskip(NEXT) | instid1(VALU_DEP_2)
	v_ldexp_f32 v113, v113, v116
	v_dual_add_f32 v116, -1.0, v115 :: v_dual_sub_f32 v117, v115, v117
	s_delay_alu instid0(VALU_DEP_1) | instskip(NEXT) | instid1(VALU_DEP_2)
	v_add_f32_e32 v119, 1.0, v116
	v_add_f32_e32 v117, v113, v117
	s_delay_alu instid0(VALU_DEP_2) | instskip(NEXT) | instid1(VALU_DEP_2)
	v_sub_f32_e32 v115, v115, v119
	v_add_f32_e32 v119, v118, v117
	s_delay_alu instid0(VALU_DEP_2) | instskip(NEXT) | instid1(VALU_DEP_2)
	v_add_f32_e32 v113, v113, v115
	v_rcp_f32_e32 v115, v119
	v_sub_f32_e32 v118, v118, v119
	s_delay_alu instid0(VALU_DEP_1) | instskip(NEXT) | instid1(VALU_DEP_1)
	v_dual_add_f32 v128, v116, v113 :: v_dual_add_f32 v117, v117, v118
	v_sub_f32_e32 v116, v116, v128
	s_waitcnt_depctr 0xfff
	v_mul_f32_e32 v129, v128, v115
	s_delay_alu instid0(VALU_DEP_1) | instskip(NEXT) | instid1(VALU_DEP_1)
	v_dual_add_f32 v113, v113, v116 :: v_dual_mul_f32 v130, v119, v129
	v_fma_f32 v118, v129, v119, -v130
	s_delay_alu instid0(VALU_DEP_1) | instskip(NEXT) | instid1(VALU_DEP_1)
	v_fmac_f32_e32 v118, v129, v117
	v_add_f32_e32 v131, v130, v118
	s_delay_alu instid0(VALU_DEP_1) | instskip(SKIP_1) | instid1(VALU_DEP_2)
	v_sub_f32_e32 v132, v128, v131
	v_sub_f32_e32 v116, v131, v130
	;; [unrolled: 1-line block ×3, first 2 shown]
	s_delay_alu instid0(VALU_DEP_2) | instskip(NEXT) | instid1(VALU_DEP_2)
	v_sub_f32_e32 v116, v116, v118
	v_sub_f32_e32 v128, v128, v131
	s_delay_alu instid0(VALU_DEP_1) | instskip(NEXT) | instid1(VALU_DEP_1)
	v_add_f32_e32 v113, v113, v128
	v_add_f32_e32 v113, v116, v113
	s_delay_alu instid0(VALU_DEP_1) | instskip(NEXT) | instid1(VALU_DEP_1)
	v_add_f32_e32 v116, v132, v113
	v_mul_f32_e32 v118, v115, v116
	s_delay_alu instid0(VALU_DEP_1) | instskip(NEXT) | instid1(VALU_DEP_1)
	v_dual_sub_f32 v131, v132, v116 :: v_dual_mul_f32 v128, v119, v118
	v_add_f32_e32 v113, v113, v131
	s_delay_alu instid0(VALU_DEP_2) | instskip(NEXT) | instid1(VALU_DEP_1)
	v_fma_f32 v119, v118, v119, -v128
	v_fmac_f32_e32 v119, v118, v117
	s_delay_alu instid0(VALU_DEP_1) | instskip(NEXT) | instid1(VALU_DEP_1)
	v_add_f32_e32 v117, v128, v119
	v_sub_f32_e32 v130, v116, v117
	v_sub_f32_e32 v128, v117, v128
	s_delay_alu instid0(VALU_DEP_2) | instskip(NEXT) | instid1(VALU_DEP_1)
	v_sub_f32_e32 v116, v116, v130
	v_sub_f32_e32 v116, v116, v117
	s_delay_alu instid0(VALU_DEP_3) | instskip(NEXT) | instid1(VALU_DEP_2)
	v_sub_f32_e32 v117, v128, v119
	v_add_f32_e32 v113, v113, v116
	v_add_f32_e32 v116, v129, v118
	s_delay_alu instid0(VALU_DEP_2) | instskip(NEXT) | instid1(VALU_DEP_2)
	v_add_f32_e32 v113, v117, v113
	v_sub_f32_e32 v117, v116, v129
	s_delay_alu instid0(VALU_DEP_2) | instskip(NEXT) | instid1(VALU_DEP_2)
	v_add_f32_e32 v113, v130, v113
	v_sub_f32_e32 v117, v118, v117
	s_delay_alu instid0(VALU_DEP_2) | instskip(NEXT) | instid1(VALU_DEP_1)
	v_mul_f32_e32 v113, v115, v113
	v_add_f32_e32 v113, v117, v113
	s_delay_alu instid0(VALU_DEP_1) | instskip(NEXT) | instid1(VALU_DEP_1)
	v_add_f32_e32 v115, v116, v113
	v_mul_f32_e32 v117, v115, v115
	s_delay_alu instid0(VALU_DEP_1) | instskip(SKIP_2) | instid1(VALU_DEP_3)
	v_fmaak_f32 v118, s26, v117, 0x3ecc95a3
	v_mul_f32_e32 v119, v115, v117
	v_cmp_eq_f32_e64 s26, 0x7f800000, v114
	v_fmaak_f32 v117, v117, v118, 0x3f2aaada
	v_ldexp_f32 v118, v115, 1
	v_sub_f32_e32 v115, v115, v116
	s_delay_alu instid0(VALU_DEP_4) | instskip(NEXT) | instid1(VALU_DEP_3)
	s_or_b32 s26, s26, s30
	v_mul_f32_e32 v117, v119, v117
	v_mul_f32_e32 v119, 0x3f317218, v112
	s_delay_alu instid0(VALU_DEP_2) | instskip(NEXT) | instid1(VALU_DEP_1)
	v_dual_sub_f32 v113, v113, v115 :: v_dual_add_f32 v116, v118, v117
	v_ldexp_f32 v113, v113, 1
	s_delay_alu instid0(VALU_DEP_2) | instskip(NEXT) | instid1(VALU_DEP_4)
	v_sub_f32_e32 v115, v116, v118
	v_fma_f32 v118, 0x3f317218, v112, -v119
	s_delay_alu instid0(VALU_DEP_1) | instskip(NEXT) | instid1(VALU_DEP_1)
	v_dual_sub_f32 v115, v117, v115 :: v_dual_fmamk_f32 v112, v112, 0xb102e308, v118
	v_add_f32_e32 v113, v113, v115
	s_delay_alu instid0(VALU_DEP_2) | instskip(NEXT) | instid1(VALU_DEP_2)
	v_add_f32_e32 v115, v119, v112
	v_add_f32_e32 v117, v116, v113
	s_delay_alu instid0(VALU_DEP_2) | instskip(NEXT) | instid1(VALU_DEP_2)
	v_sub_f32_e32 v119, v115, v119
	v_add_f32_e32 v118, v115, v117
	v_sub_f32_e32 v116, v117, v116
	s_delay_alu instid0(VALU_DEP_3) | instskip(NEXT) | instid1(VALU_DEP_2)
	v_sub_f32_e32 v112, v112, v119
	v_dual_sub_f32 v128, v118, v115 :: v_dual_sub_f32 v113, v113, v116
	s_delay_alu instid0(VALU_DEP_1) | instskip(NEXT) | instid1(VALU_DEP_2)
	v_sub_f32_e32 v129, v118, v128
	v_dual_sub_f32 v116, v117, v128 :: v_dual_add_f32 v117, v112, v113
	s_delay_alu instid0(VALU_DEP_2) | instskip(NEXT) | instid1(VALU_DEP_1)
	v_sub_f32_e32 v115, v115, v129
	v_dual_add_f32 v115, v116, v115 :: v_dual_sub_f32 v116, v117, v112
	s_delay_alu instid0(VALU_DEP_1) | instskip(NEXT) | instid1(VALU_DEP_2)
	v_add_f32_e32 v115, v117, v115
	v_sub_f32_e32 v117, v117, v116
	v_sub_f32_e32 v113, v113, v116
	s_delay_alu instid0(VALU_DEP_2) | instskip(NEXT) | instid1(VALU_DEP_1)
	v_dual_add_f32 v119, v118, v115 :: v_dual_sub_f32 v112, v112, v117
	v_sub_f32_e32 v116, v119, v118
	s_delay_alu instid0(VALU_DEP_2) | instskip(NEXT) | instid1(VALU_DEP_2)
	v_add_f32_e32 v112, v113, v112
	v_sub_f32_e32 v113, v115, v116
	s_delay_alu instid0(VALU_DEP_1) | instskip(NEXT) | instid1(VALU_DEP_1)
	v_add_f32_e32 v112, v112, v113
	v_add_f32_e32 v112, v119, v112
	s_delay_alu instid0(VALU_DEP_1) | instskip(NEXT) | instid1(VALU_DEP_1)
	v_cndmask_b32_e64 v112, v112, v114, s26
	v_add_f32_e32 v103, v103, v112
	s_delay_alu instid0(VALU_DEP_1)
	v_cvt_f16_f32_e32 v113, v103
.LBB430_103:
	s_or_b32 exec_lo, exec_lo, vcc_hi
	s_delay_alu instid0(VALU_DEP_1)
	v_dual_mov_b32 v103, v113 :: v_dual_and_b32 v112, 0xffff, v113
.LBB430_104:
	s_or_b32 exec_lo, exec_lo, s29
	s_delay_alu instid0(VALU_DEP_1)
	v_mov_b32_dpp v113, v112 row_shr:4 row_mask:0xf bank_mask:0xf
	s_mov_b32 s29, exec_lo
	v_cmpx_lt_u32_e32 3, v31
	s_cbranch_execz .LBB430_108
; %bb.105:
	s_delay_alu instid0(VALU_DEP_2) | instskip(SKIP_2) | instid1(VALU_DEP_2)
	v_cvt_f32_f16_e32 v112, v113
	v_cvt_f32_f16_e32 v114, v103
	v_cmp_u_f16_e64 s26, v113, v113
	v_min_f32_e32 v115, v112, v114
	v_max_f32_e32 v116, v112, v114
	s_delay_alu instid0(VALU_DEP_2) | instskip(NEXT) | instid1(VALU_DEP_2)
	v_cndmask_b32_e64 v115, v115, v112, s26
	v_cndmask_b32_e64 v116, v116, v112, s26
	v_cmp_u_f16_e64 s26, v103, v103
	s_delay_alu instid0(VALU_DEP_1) | instskip(NEXT) | instid1(VALU_DEP_3)
	v_cndmask_b32_e64 v112, v115, v114, s26
	v_cndmask_b32_e64 v103, v116, v114, s26
	s_delay_alu instid0(VALU_DEP_2) | instskip(NEXT) | instid1(VALU_DEP_2)
	v_cmp_class_f32_e64 vcc_hi, v112, 0x1f8
	v_cmp_neq_f32_e64 s26, v112, v103
	s_delay_alu instid0(VALU_DEP_1) | instskip(NEXT) | instid1(SALU_CYCLE_1)
	s_or_b32 s26, s26, vcc_hi
	s_and_saveexec_b32 vcc_hi, s26
	s_cbranch_execz .LBB430_107
; %bb.106:
	v_sub_f32_e32 v112, v112, v103
	s_delay_alu instid0(VALU_DEP_1) | instskip(NEXT) | instid1(VALU_DEP_1)
	v_mul_f32_e32 v113, 0x3fb8aa3b, v112
	v_fma_f32 v114, 0x3fb8aa3b, v112, -v113
	v_rndne_f32_e32 v115, v113
	s_delay_alu instid0(VALU_DEP_1) | instskip(NEXT) | instid1(VALU_DEP_1)
	v_dual_fmamk_f32 v114, v112, 0x32a5705f, v114 :: v_dual_sub_f32 v113, v113, v115
	v_add_f32_e32 v113, v113, v114
	v_cvt_i32_f32_e32 v114, v115
	v_cmp_ngt_f32_e64 s26, 0xc2ce8ed0, v112
	s_delay_alu instid0(VALU_DEP_3) | instskip(SKIP_2) | instid1(VALU_DEP_1)
	v_exp_f32_e32 v113, v113
	s_waitcnt_depctr 0xfff
	v_ldexp_f32 v113, v113, v114
	v_cndmask_b32_e64 v113, 0, v113, s26
	v_cmp_nlt_f32_e64 s26, 0x42b17218, v112
	s_delay_alu instid0(VALU_DEP_1) | instskip(NEXT) | instid1(VALU_DEP_1)
	v_cndmask_b32_e64 v114, 0x7f800000, v113, s26
	v_add_f32_e32 v115, 1.0, v114
	v_cmp_gt_f32_e64 s30, 0x33800000, |v114|
	s_delay_alu instid0(VALU_DEP_2) | instskip(NEXT) | instid1(VALU_DEP_1)
	v_cvt_f64_f32_e32 v[112:113], v115
	v_frexp_exp_i32_f64_e32 v112, v[112:113]
	v_frexp_mant_f32_e32 v113, v115
	s_delay_alu instid0(VALU_DEP_1) | instskip(SKIP_1) | instid1(VALU_DEP_1)
	v_cmp_gt_f32_e64 s26, 0x3f2aaaab, v113
	v_add_f32_e32 v113, -1.0, v115
	v_sub_f32_e32 v117, v113, v115
	s_delay_alu instid0(VALU_DEP_3) | instskip(SKIP_1) | instid1(VALU_DEP_1)
	v_subrev_co_ci_u32_e64 v112, s26, 0, v112, s26
	s_mov_b32 s26, 0x3e9b6dac
	v_sub_nc_u32_e32 v116, 0, v112
	v_cvt_f32_i32_e32 v112, v112
	s_delay_alu instid0(VALU_DEP_2) | instskip(NEXT) | instid1(VALU_DEP_1)
	v_ldexp_f32 v115, v115, v116
	v_dual_sub_f32 v113, v114, v113 :: v_dual_add_f32 v118, 1.0, v115
	v_add_f32_e32 v117, 1.0, v117
	s_delay_alu instid0(VALU_DEP_1) | instskip(NEXT) | instid1(VALU_DEP_3)
	v_add_f32_e32 v113, v113, v117
	v_add_f32_e32 v117, -1.0, v118
	s_delay_alu instid0(VALU_DEP_2) | instskip(NEXT) | instid1(VALU_DEP_2)
	v_ldexp_f32 v113, v113, v116
	v_dual_add_f32 v116, -1.0, v115 :: v_dual_sub_f32 v117, v115, v117
	s_delay_alu instid0(VALU_DEP_1) | instskip(NEXT) | instid1(VALU_DEP_2)
	v_add_f32_e32 v119, 1.0, v116
	v_add_f32_e32 v117, v113, v117
	s_delay_alu instid0(VALU_DEP_2) | instskip(NEXT) | instid1(VALU_DEP_2)
	v_sub_f32_e32 v115, v115, v119
	v_add_f32_e32 v119, v118, v117
	s_delay_alu instid0(VALU_DEP_2) | instskip(NEXT) | instid1(VALU_DEP_2)
	v_add_f32_e32 v113, v113, v115
	v_rcp_f32_e32 v115, v119
	v_sub_f32_e32 v118, v118, v119
	s_delay_alu instid0(VALU_DEP_1) | instskip(NEXT) | instid1(VALU_DEP_1)
	v_dual_add_f32 v128, v116, v113 :: v_dual_add_f32 v117, v117, v118
	v_sub_f32_e32 v116, v116, v128
	s_waitcnt_depctr 0xfff
	v_mul_f32_e32 v129, v128, v115
	s_delay_alu instid0(VALU_DEP_1) | instskip(NEXT) | instid1(VALU_DEP_1)
	v_dual_add_f32 v113, v113, v116 :: v_dual_mul_f32 v130, v119, v129
	v_fma_f32 v118, v129, v119, -v130
	s_delay_alu instid0(VALU_DEP_1) | instskip(NEXT) | instid1(VALU_DEP_1)
	v_fmac_f32_e32 v118, v129, v117
	v_add_f32_e32 v131, v130, v118
	s_delay_alu instid0(VALU_DEP_1) | instskip(SKIP_1) | instid1(VALU_DEP_2)
	v_sub_f32_e32 v132, v128, v131
	v_sub_f32_e32 v116, v131, v130
	;; [unrolled: 1-line block ×3, first 2 shown]
	s_delay_alu instid0(VALU_DEP_2) | instskip(NEXT) | instid1(VALU_DEP_2)
	v_sub_f32_e32 v116, v116, v118
	v_sub_f32_e32 v128, v128, v131
	s_delay_alu instid0(VALU_DEP_1) | instskip(NEXT) | instid1(VALU_DEP_1)
	v_add_f32_e32 v113, v113, v128
	v_add_f32_e32 v113, v116, v113
	s_delay_alu instid0(VALU_DEP_1) | instskip(NEXT) | instid1(VALU_DEP_1)
	v_add_f32_e32 v116, v132, v113
	v_mul_f32_e32 v118, v115, v116
	s_delay_alu instid0(VALU_DEP_1) | instskip(NEXT) | instid1(VALU_DEP_1)
	v_dual_sub_f32 v131, v132, v116 :: v_dual_mul_f32 v128, v119, v118
	v_add_f32_e32 v113, v113, v131
	s_delay_alu instid0(VALU_DEP_2) | instskip(NEXT) | instid1(VALU_DEP_1)
	v_fma_f32 v119, v118, v119, -v128
	v_fmac_f32_e32 v119, v118, v117
	s_delay_alu instid0(VALU_DEP_1) | instskip(NEXT) | instid1(VALU_DEP_1)
	v_add_f32_e32 v117, v128, v119
	v_sub_f32_e32 v130, v116, v117
	v_sub_f32_e32 v128, v117, v128
	s_delay_alu instid0(VALU_DEP_2) | instskip(NEXT) | instid1(VALU_DEP_1)
	v_sub_f32_e32 v116, v116, v130
	v_sub_f32_e32 v116, v116, v117
	s_delay_alu instid0(VALU_DEP_3) | instskip(NEXT) | instid1(VALU_DEP_2)
	v_sub_f32_e32 v117, v128, v119
	v_add_f32_e32 v113, v113, v116
	v_add_f32_e32 v116, v129, v118
	s_delay_alu instid0(VALU_DEP_2) | instskip(NEXT) | instid1(VALU_DEP_2)
	v_add_f32_e32 v113, v117, v113
	v_sub_f32_e32 v117, v116, v129
	s_delay_alu instid0(VALU_DEP_2) | instskip(NEXT) | instid1(VALU_DEP_2)
	v_add_f32_e32 v113, v130, v113
	v_sub_f32_e32 v117, v118, v117
	s_delay_alu instid0(VALU_DEP_2) | instskip(NEXT) | instid1(VALU_DEP_1)
	v_mul_f32_e32 v113, v115, v113
	v_add_f32_e32 v113, v117, v113
	s_delay_alu instid0(VALU_DEP_1) | instskip(NEXT) | instid1(VALU_DEP_1)
	v_add_f32_e32 v115, v116, v113
	v_mul_f32_e32 v117, v115, v115
	s_delay_alu instid0(VALU_DEP_1) | instskip(SKIP_2) | instid1(VALU_DEP_3)
	v_fmaak_f32 v118, s26, v117, 0x3ecc95a3
	v_mul_f32_e32 v119, v115, v117
	v_cmp_eq_f32_e64 s26, 0x7f800000, v114
	v_fmaak_f32 v117, v117, v118, 0x3f2aaada
	v_ldexp_f32 v118, v115, 1
	v_sub_f32_e32 v115, v115, v116
	s_delay_alu instid0(VALU_DEP_4) | instskip(NEXT) | instid1(VALU_DEP_3)
	s_or_b32 s26, s26, s30
	v_mul_f32_e32 v117, v119, v117
	v_mul_f32_e32 v119, 0x3f317218, v112
	s_delay_alu instid0(VALU_DEP_2) | instskip(NEXT) | instid1(VALU_DEP_1)
	v_dual_sub_f32 v113, v113, v115 :: v_dual_add_f32 v116, v118, v117
	v_ldexp_f32 v113, v113, 1
	s_delay_alu instid0(VALU_DEP_2) | instskip(NEXT) | instid1(VALU_DEP_4)
	v_sub_f32_e32 v115, v116, v118
	v_fma_f32 v118, 0x3f317218, v112, -v119
	s_delay_alu instid0(VALU_DEP_1) | instskip(NEXT) | instid1(VALU_DEP_1)
	v_dual_sub_f32 v115, v117, v115 :: v_dual_fmamk_f32 v112, v112, 0xb102e308, v118
	v_add_f32_e32 v113, v113, v115
	s_delay_alu instid0(VALU_DEP_2) | instskip(NEXT) | instid1(VALU_DEP_2)
	v_add_f32_e32 v115, v119, v112
	v_add_f32_e32 v117, v116, v113
	s_delay_alu instid0(VALU_DEP_2) | instskip(NEXT) | instid1(VALU_DEP_2)
	v_sub_f32_e32 v119, v115, v119
	v_add_f32_e32 v118, v115, v117
	v_sub_f32_e32 v116, v117, v116
	s_delay_alu instid0(VALU_DEP_3) | instskip(NEXT) | instid1(VALU_DEP_2)
	v_sub_f32_e32 v112, v112, v119
	v_dual_sub_f32 v128, v118, v115 :: v_dual_sub_f32 v113, v113, v116
	s_delay_alu instid0(VALU_DEP_1) | instskip(NEXT) | instid1(VALU_DEP_2)
	v_sub_f32_e32 v129, v118, v128
	v_dual_sub_f32 v116, v117, v128 :: v_dual_add_f32 v117, v112, v113
	s_delay_alu instid0(VALU_DEP_2) | instskip(NEXT) | instid1(VALU_DEP_1)
	v_sub_f32_e32 v115, v115, v129
	v_dual_add_f32 v115, v116, v115 :: v_dual_sub_f32 v116, v117, v112
	s_delay_alu instid0(VALU_DEP_1) | instskip(NEXT) | instid1(VALU_DEP_2)
	v_add_f32_e32 v115, v117, v115
	v_sub_f32_e32 v117, v117, v116
	v_sub_f32_e32 v113, v113, v116
	s_delay_alu instid0(VALU_DEP_2) | instskip(NEXT) | instid1(VALU_DEP_1)
	v_dual_add_f32 v119, v118, v115 :: v_dual_sub_f32 v112, v112, v117
	v_sub_f32_e32 v116, v119, v118
	s_delay_alu instid0(VALU_DEP_2) | instskip(NEXT) | instid1(VALU_DEP_2)
	v_add_f32_e32 v112, v113, v112
	v_sub_f32_e32 v113, v115, v116
	s_delay_alu instid0(VALU_DEP_1) | instskip(NEXT) | instid1(VALU_DEP_1)
	v_add_f32_e32 v112, v112, v113
	v_add_f32_e32 v112, v119, v112
	s_delay_alu instid0(VALU_DEP_1) | instskip(NEXT) | instid1(VALU_DEP_1)
	v_cndmask_b32_e64 v112, v112, v114, s26
	v_add_f32_e32 v103, v103, v112
	s_delay_alu instid0(VALU_DEP_1)
	v_cvt_f16_f32_e32 v113, v103
.LBB430_107:
	s_or_b32 exec_lo, exec_lo, vcc_hi
	s_delay_alu instid0(VALU_DEP_1)
	v_dual_mov_b32 v103, v113 :: v_dual_and_b32 v112, 0xffff, v113
.LBB430_108:
	s_or_b32 exec_lo, exec_lo, s29
	s_delay_alu instid0(VALU_DEP_1)
	v_mov_b32_dpp v113, v112 row_shr:8 row_mask:0xf bank_mask:0xf
	s_mov_b32 s29, exec_lo
	v_cmpx_lt_u32_e32 7, v31
	s_cbranch_execz .LBB430_112
; %bb.109:
	s_delay_alu instid0(VALU_DEP_2) | instskip(SKIP_2) | instid1(VALU_DEP_2)
	v_cvt_f32_f16_e32 v31, v113
	v_cvt_f32_f16_e32 v112, v103
	v_cmp_u_f16_e64 s26, v113, v113
	v_min_f32_e32 v114, v31, v112
	v_max_f32_e32 v115, v31, v112
	s_delay_alu instid0(VALU_DEP_2) | instskip(NEXT) | instid1(VALU_DEP_2)
	v_cndmask_b32_e64 v114, v114, v31, s26
	v_cndmask_b32_e64 v31, v115, v31, s26
	v_cmp_u_f16_e64 s26, v103, v103
	s_delay_alu instid0(VALU_DEP_1) | instskip(NEXT) | instid1(VALU_DEP_3)
	v_cndmask_b32_e64 v103, v114, v112, s26
	v_cndmask_b32_e64 v31, v31, v112, s26
	s_delay_alu instid0(VALU_DEP_2) | instskip(NEXT) | instid1(VALU_DEP_2)
	v_cmp_class_f32_e64 vcc_hi, v103, 0x1f8
	v_cmp_neq_f32_e64 s26, v103, v31
	s_delay_alu instid0(VALU_DEP_1) | instskip(NEXT) | instid1(SALU_CYCLE_1)
	s_or_b32 s26, s26, vcc_hi
	s_and_saveexec_b32 vcc_hi, s26
	s_cbranch_execz .LBB430_111
; %bb.110:
	v_sub_f32_e32 v103, v103, v31
	s_delay_alu instid0(VALU_DEP_1) | instskip(NEXT) | instid1(VALU_DEP_1)
	v_mul_f32_e32 v112, 0x3fb8aa3b, v103
	v_fma_f32 v113, 0x3fb8aa3b, v103, -v112
	v_rndne_f32_e32 v114, v112
	s_delay_alu instid0(VALU_DEP_1) | instskip(SKIP_1) | instid1(VALU_DEP_2)
	v_dual_sub_f32 v112, v112, v114 :: v_dual_fmamk_f32 v113, v103, 0x32a5705f, v113
	v_cmp_ngt_f32_e64 s26, 0xc2ce8ed0, v103
	v_add_f32_e32 v112, v112, v113
	v_cvt_i32_f32_e32 v113, v114
	s_delay_alu instid0(VALU_DEP_2) | instskip(SKIP_2) | instid1(VALU_DEP_1)
	v_exp_f32_e32 v112, v112
	s_waitcnt_depctr 0xfff
	v_ldexp_f32 v112, v112, v113
	v_cndmask_b32_e64 v112, 0, v112, s26
	v_cmp_nlt_f32_e64 s26, 0x42b17218, v103
	s_delay_alu instid0(VALU_DEP_1) | instskip(NEXT) | instid1(VALU_DEP_1)
	v_cndmask_b32_e64 v103, 0x7f800000, v112, s26
	v_add_f32_e32 v114, 1.0, v103
	v_cmp_gt_f32_e64 s30, 0x33800000, |v103|
	s_delay_alu instid0(VALU_DEP_2) | instskip(NEXT) | instid1(VALU_DEP_1)
	v_cvt_f64_f32_e32 v[112:113], v114
	v_frexp_exp_i32_f64_e32 v112, v[112:113]
	v_frexp_mant_f32_e32 v113, v114
	s_delay_alu instid0(VALU_DEP_1) | instskip(SKIP_1) | instid1(VALU_DEP_1)
	v_cmp_gt_f32_e64 s26, 0x3f2aaaab, v113
	v_add_f32_e32 v113, -1.0, v114
	v_dual_sub_f32 v116, v113, v114 :: v_dual_sub_f32 v113, v103, v113
	s_delay_alu instid0(VALU_DEP_3) | instskip(SKIP_1) | instid1(VALU_DEP_1)
	v_subrev_co_ci_u32_e64 v112, s26, 0, v112, s26
	s_mov_b32 s26, 0x3e9b6dac
	v_sub_nc_u32_e32 v115, 0, v112
	v_cvt_f32_i32_e32 v112, v112
	s_delay_alu instid0(VALU_DEP_2) | instskip(NEXT) | instid1(VALU_DEP_1)
	v_ldexp_f32 v114, v114, v115
	v_dual_add_f32 v116, 1.0, v116 :: v_dual_add_f32 v117, 1.0, v114
	s_delay_alu instid0(VALU_DEP_1) | instskip(NEXT) | instid1(VALU_DEP_1)
	v_dual_add_f32 v113, v113, v116 :: v_dual_add_f32 v116, -1.0, v117
	v_ldexp_f32 v113, v113, v115
	s_delay_alu instid0(VALU_DEP_2) | instskip(NEXT) | instid1(VALU_DEP_1)
	v_dual_add_f32 v115, -1.0, v114 :: v_dual_sub_f32 v116, v114, v116
	v_add_f32_e32 v118, 1.0, v115
	s_delay_alu instid0(VALU_DEP_2) | instskip(NEXT) | instid1(VALU_DEP_2)
	v_add_f32_e32 v116, v113, v116
	v_sub_f32_e32 v114, v114, v118
	s_delay_alu instid0(VALU_DEP_1) | instskip(NEXT) | instid1(VALU_DEP_1)
	v_add_f32_e32 v113, v113, v114
	v_dual_add_f32 v119, v115, v113 :: v_dual_add_f32 v118, v117, v116
	s_delay_alu instid0(VALU_DEP_1) | instskip(NEXT) | instid1(VALU_DEP_2)
	v_sub_f32_e32 v115, v115, v119
	v_rcp_f32_e32 v114, v118
	v_sub_f32_e32 v117, v117, v118
	s_delay_alu instid0(VALU_DEP_1) | instskip(SKIP_2) | instid1(VALU_DEP_1)
	v_dual_add_f32 v113, v113, v115 :: v_dual_add_f32 v116, v116, v117
	s_waitcnt_depctr 0xfff
	v_mul_f32_e32 v128, v119, v114
	v_mul_f32_e32 v129, v118, v128
	s_delay_alu instid0(VALU_DEP_1) | instskip(NEXT) | instid1(VALU_DEP_1)
	v_fma_f32 v117, v128, v118, -v129
	v_fmac_f32_e32 v117, v128, v116
	s_delay_alu instid0(VALU_DEP_1) | instskip(NEXT) | instid1(VALU_DEP_1)
	v_add_f32_e32 v130, v129, v117
	v_sub_f32_e32 v131, v119, v130
	s_delay_alu instid0(VALU_DEP_1) | instskip(SKIP_1) | instid1(VALU_DEP_2)
	v_sub_f32_e32 v119, v119, v131
	v_sub_f32_e32 v115, v130, v129
	;; [unrolled: 1-line block ×3, first 2 shown]
	s_delay_alu instid0(VALU_DEP_2) | instskip(NEXT) | instid1(VALU_DEP_2)
	v_sub_f32_e32 v115, v115, v117
	v_add_f32_e32 v113, v113, v119
	s_delay_alu instid0(VALU_DEP_1) | instskip(NEXT) | instid1(VALU_DEP_1)
	v_add_f32_e32 v113, v115, v113
	v_add_f32_e32 v115, v131, v113
	s_delay_alu instid0(VALU_DEP_1) | instskip(NEXT) | instid1(VALU_DEP_1)
	v_mul_f32_e32 v117, v114, v115
	v_dual_sub_f32 v130, v131, v115 :: v_dual_mul_f32 v119, v118, v117
	s_delay_alu instid0(VALU_DEP_1) | instskip(NEXT) | instid1(VALU_DEP_2)
	v_add_f32_e32 v113, v113, v130
	v_fma_f32 v118, v117, v118, -v119
	s_delay_alu instid0(VALU_DEP_1) | instskip(NEXT) | instid1(VALU_DEP_1)
	v_fmac_f32_e32 v118, v117, v116
	v_add_f32_e32 v116, v119, v118
	s_delay_alu instid0(VALU_DEP_1) | instskip(SKIP_1) | instid1(VALU_DEP_2)
	v_sub_f32_e32 v129, v115, v116
	v_sub_f32_e32 v119, v116, v119
	;; [unrolled: 1-line block ×3, first 2 shown]
	s_delay_alu instid0(VALU_DEP_1) | instskip(NEXT) | instid1(VALU_DEP_1)
	v_sub_f32_e32 v115, v115, v116
	v_dual_sub_f32 v116, v119, v118 :: v_dual_add_f32 v113, v113, v115
	v_add_f32_e32 v115, v128, v117
	s_delay_alu instid0(VALU_DEP_1) | instskip(NEXT) | instid1(VALU_DEP_1)
	v_dual_add_f32 v113, v116, v113 :: v_dual_sub_f32 v116, v115, v128
	v_add_f32_e32 v113, v129, v113
	s_delay_alu instid0(VALU_DEP_1) | instskip(NEXT) | instid1(VALU_DEP_1)
	v_dual_sub_f32 v116, v117, v116 :: v_dual_mul_f32 v113, v114, v113
	v_add_f32_e32 v113, v116, v113
	s_delay_alu instid0(VALU_DEP_1) | instskip(NEXT) | instid1(VALU_DEP_1)
	v_add_f32_e32 v114, v115, v113
	v_mul_f32_e32 v116, v114, v114
	s_delay_alu instid0(VALU_DEP_1) | instskip(SKIP_2) | instid1(VALU_DEP_3)
	v_fmaak_f32 v117, s26, v116, 0x3ecc95a3
	v_mul_f32_e32 v118, v114, v116
	v_cmp_eq_f32_e64 s26, 0x7f800000, v103
	v_fmaak_f32 v116, v116, v117, 0x3f2aaada
	v_ldexp_f32 v117, v114, 1
	v_sub_f32_e32 v114, v114, v115
	s_delay_alu instid0(VALU_DEP_4) | instskip(NEXT) | instid1(VALU_DEP_3)
	s_or_b32 s26, s26, s30
	v_mul_f32_e32 v116, v118, v116
	s_delay_alu instid0(VALU_DEP_2) | instskip(NEXT) | instid1(VALU_DEP_2)
	v_dual_mul_f32 v118, 0x3f317218, v112 :: v_dual_sub_f32 v113, v113, v114
	v_add_f32_e32 v115, v117, v116
	s_delay_alu instid0(VALU_DEP_2) | instskip(NEXT) | instid1(VALU_DEP_2)
	v_ldexp_f32 v113, v113, 1
	v_sub_f32_e32 v114, v115, v117
	s_delay_alu instid0(VALU_DEP_4) | instskip(NEXT) | instid1(VALU_DEP_2)
	v_fma_f32 v117, 0x3f317218, v112, -v118
	v_sub_f32_e32 v114, v116, v114
	s_delay_alu instid0(VALU_DEP_1) | instskip(NEXT) | instid1(VALU_DEP_1)
	v_dual_fmamk_f32 v112, v112, 0xb102e308, v117 :: v_dual_add_f32 v113, v113, v114
	v_add_f32_e32 v114, v118, v112
	s_delay_alu instid0(VALU_DEP_1) | instskip(NEXT) | instid1(VALU_DEP_1)
	v_sub_f32_e32 v118, v114, v118
	v_sub_f32_e32 v112, v112, v118
	s_delay_alu instid0(VALU_DEP_4) | instskip(NEXT) | instid1(VALU_DEP_1)
	v_add_f32_e32 v116, v115, v113
	v_sub_f32_e32 v115, v116, v115
	s_delay_alu instid0(VALU_DEP_1) | instskip(SKIP_1) | instid1(VALU_DEP_1)
	v_sub_f32_e32 v113, v113, v115
	v_add_f32_e32 v117, v114, v116
	v_sub_f32_e32 v119, v117, v114
	s_delay_alu instid0(VALU_DEP_1) | instskip(NEXT) | instid1(VALU_DEP_4)
	v_sub_f32_e32 v115, v116, v119
	v_add_f32_e32 v116, v112, v113
	v_sub_f32_e32 v128, v117, v119
	s_delay_alu instid0(VALU_DEP_1) | instskip(NEXT) | instid1(VALU_DEP_1)
	v_sub_f32_e32 v114, v114, v128
	v_dual_add_f32 v114, v115, v114 :: v_dual_sub_f32 v115, v116, v112
	s_delay_alu instid0(VALU_DEP_1) | instskip(SKIP_1) | instid1(VALU_DEP_2)
	v_dual_add_f32 v114, v116, v114 :: v_dual_sub_f32 v113, v113, v115
	v_sub_f32_e32 v116, v116, v115
	v_add_f32_e32 v118, v117, v114
	s_delay_alu instid0(VALU_DEP_1) | instskip(NEXT) | instid1(VALU_DEP_1)
	v_dual_sub_f32 v112, v112, v116 :: v_dual_sub_f32 v115, v118, v117
	v_dual_add_f32 v112, v113, v112 :: v_dual_sub_f32 v113, v114, v115
	s_delay_alu instid0(VALU_DEP_1) | instskip(NEXT) | instid1(VALU_DEP_1)
	v_add_f32_e32 v112, v112, v113
	v_add_f32_e32 v112, v118, v112
	s_delay_alu instid0(VALU_DEP_1) | instskip(NEXT) | instid1(VALU_DEP_1)
	v_cndmask_b32_e64 v103, v112, v103, s26
	v_add_f32_e32 v31, v31, v103
	s_delay_alu instid0(VALU_DEP_1)
	v_cvt_f16_f32_e32 v113, v31
.LBB430_111:
	s_or_b32 exec_lo, exec_lo, vcc_hi
	s_delay_alu instid0(VALU_DEP_1)
	v_dual_mov_b32 v103, v113 :: v_dual_and_b32 v112, 0xffff, v113
.LBB430_112:
	s_or_b32 exec_lo, exec_lo, s29
	ds_swizzle_b32 v112, v112 offset:swizzle(BROADCAST,32,15)
	v_and_b32_e32 v31, 16, v30
	s_mov_b32 s29, exec_lo
	s_delay_alu instid0(VALU_DEP_1)
	v_cmpx_ne_u32_e32 0, v31
	s_cbranch_execz .LBB430_116
; %bb.113:
	s_waitcnt lgkmcnt(0)
	v_cvt_f32_f16_e32 v31, v112
	v_cvt_f32_f16_e32 v113, v103
	v_cmp_u_f16_e64 s26, v112, v112
	s_delay_alu instid0(VALU_DEP_2) | instskip(SKIP_1) | instid1(VALU_DEP_2)
	v_min_f32_e32 v114, v31, v113
	v_max_f32_e32 v115, v31, v113
	v_cndmask_b32_e64 v114, v114, v31, s26
	s_delay_alu instid0(VALU_DEP_2) | instskip(SKIP_1) | instid1(VALU_DEP_1)
	v_cndmask_b32_e64 v31, v115, v31, s26
	v_cmp_u_f16_e64 s26, v103, v103
	v_cndmask_b32_e64 v103, v114, v113, s26
	s_delay_alu instid0(VALU_DEP_3) | instskip(NEXT) | instid1(VALU_DEP_2)
	v_cndmask_b32_e64 v31, v31, v113, s26
	v_cmp_class_f32_e64 vcc_hi, v103, 0x1f8
	s_delay_alu instid0(VALU_DEP_2) | instskip(NEXT) | instid1(VALU_DEP_1)
	v_cmp_neq_f32_e64 s26, v103, v31
	s_or_b32 s26, s26, vcc_hi
	s_delay_alu instid0(SALU_CYCLE_1)
	s_and_saveexec_b32 vcc_hi, s26
	s_cbranch_execz .LBB430_115
; %bb.114:
	v_sub_f32_e32 v103, v103, v31
	s_delay_alu instid0(VALU_DEP_1) | instskip(NEXT) | instid1(VALU_DEP_1)
	v_mul_f32_e32 v112, 0x3fb8aa3b, v103
	v_fma_f32 v113, 0x3fb8aa3b, v103, -v112
	v_rndne_f32_e32 v114, v112
	s_delay_alu instid0(VALU_DEP_1) | instskip(SKIP_1) | instid1(VALU_DEP_2)
	v_dual_sub_f32 v112, v112, v114 :: v_dual_fmamk_f32 v113, v103, 0x32a5705f, v113
	v_cmp_ngt_f32_e64 s26, 0xc2ce8ed0, v103
	v_add_f32_e32 v112, v112, v113
	v_cvt_i32_f32_e32 v113, v114
	s_delay_alu instid0(VALU_DEP_2) | instskip(SKIP_2) | instid1(VALU_DEP_1)
	v_exp_f32_e32 v112, v112
	s_waitcnt_depctr 0xfff
	v_ldexp_f32 v112, v112, v113
	v_cndmask_b32_e64 v112, 0, v112, s26
	v_cmp_nlt_f32_e64 s26, 0x42b17218, v103
	s_delay_alu instid0(VALU_DEP_1) | instskip(NEXT) | instid1(VALU_DEP_1)
	v_cndmask_b32_e64 v103, 0x7f800000, v112, s26
	v_add_f32_e32 v114, 1.0, v103
	v_cmp_gt_f32_e64 s30, 0x33800000, |v103|
	s_delay_alu instid0(VALU_DEP_2) | instskip(NEXT) | instid1(VALU_DEP_1)
	v_cvt_f64_f32_e32 v[112:113], v114
	v_frexp_exp_i32_f64_e32 v112, v[112:113]
	v_frexp_mant_f32_e32 v113, v114
	s_delay_alu instid0(VALU_DEP_1) | instskip(SKIP_1) | instid1(VALU_DEP_1)
	v_cmp_gt_f32_e64 s26, 0x3f2aaaab, v113
	v_add_f32_e32 v113, -1.0, v114
	v_dual_sub_f32 v116, v113, v114 :: v_dual_sub_f32 v113, v103, v113
	s_delay_alu instid0(VALU_DEP_3) | instskip(SKIP_1) | instid1(VALU_DEP_1)
	v_subrev_co_ci_u32_e64 v112, s26, 0, v112, s26
	s_mov_b32 s26, 0x3e9b6dac
	v_sub_nc_u32_e32 v115, 0, v112
	v_cvt_f32_i32_e32 v112, v112
	s_delay_alu instid0(VALU_DEP_2) | instskip(NEXT) | instid1(VALU_DEP_1)
	v_ldexp_f32 v114, v114, v115
	v_dual_add_f32 v116, 1.0, v116 :: v_dual_add_f32 v117, 1.0, v114
	s_delay_alu instid0(VALU_DEP_1) | instskip(NEXT) | instid1(VALU_DEP_1)
	v_dual_add_f32 v113, v113, v116 :: v_dual_add_f32 v116, -1.0, v117
	v_ldexp_f32 v113, v113, v115
	s_delay_alu instid0(VALU_DEP_2) | instskip(NEXT) | instid1(VALU_DEP_1)
	v_dual_add_f32 v115, -1.0, v114 :: v_dual_sub_f32 v116, v114, v116
	v_add_f32_e32 v118, 1.0, v115
	s_delay_alu instid0(VALU_DEP_2) | instskip(NEXT) | instid1(VALU_DEP_2)
	v_add_f32_e32 v116, v113, v116
	v_sub_f32_e32 v114, v114, v118
	s_delay_alu instid0(VALU_DEP_1) | instskip(NEXT) | instid1(VALU_DEP_1)
	v_add_f32_e32 v113, v113, v114
	v_dual_add_f32 v119, v115, v113 :: v_dual_add_f32 v118, v117, v116
	s_delay_alu instid0(VALU_DEP_1) | instskip(NEXT) | instid1(VALU_DEP_2)
	v_sub_f32_e32 v115, v115, v119
	v_rcp_f32_e32 v114, v118
	v_sub_f32_e32 v117, v117, v118
	s_delay_alu instid0(VALU_DEP_1) | instskip(SKIP_2) | instid1(VALU_DEP_1)
	v_dual_add_f32 v113, v113, v115 :: v_dual_add_f32 v116, v116, v117
	s_waitcnt_depctr 0xfff
	v_mul_f32_e32 v128, v119, v114
	v_mul_f32_e32 v129, v118, v128
	s_delay_alu instid0(VALU_DEP_1) | instskip(NEXT) | instid1(VALU_DEP_1)
	v_fma_f32 v117, v128, v118, -v129
	v_fmac_f32_e32 v117, v128, v116
	s_delay_alu instid0(VALU_DEP_1) | instskip(NEXT) | instid1(VALU_DEP_1)
	v_add_f32_e32 v130, v129, v117
	v_sub_f32_e32 v131, v119, v130
	s_delay_alu instid0(VALU_DEP_1) | instskip(SKIP_1) | instid1(VALU_DEP_2)
	v_sub_f32_e32 v119, v119, v131
	v_sub_f32_e32 v115, v130, v129
	;; [unrolled: 1-line block ×3, first 2 shown]
	s_delay_alu instid0(VALU_DEP_2) | instskip(NEXT) | instid1(VALU_DEP_2)
	v_sub_f32_e32 v115, v115, v117
	v_add_f32_e32 v113, v113, v119
	s_delay_alu instid0(VALU_DEP_1) | instskip(NEXT) | instid1(VALU_DEP_1)
	v_add_f32_e32 v113, v115, v113
	v_add_f32_e32 v115, v131, v113
	s_delay_alu instid0(VALU_DEP_1) | instskip(NEXT) | instid1(VALU_DEP_1)
	v_mul_f32_e32 v117, v114, v115
	v_dual_sub_f32 v130, v131, v115 :: v_dual_mul_f32 v119, v118, v117
	s_delay_alu instid0(VALU_DEP_1) | instskip(NEXT) | instid1(VALU_DEP_2)
	v_add_f32_e32 v113, v113, v130
	v_fma_f32 v118, v117, v118, -v119
	s_delay_alu instid0(VALU_DEP_1) | instskip(NEXT) | instid1(VALU_DEP_1)
	v_fmac_f32_e32 v118, v117, v116
	v_add_f32_e32 v116, v119, v118
	s_delay_alu instid0(VALU_DEP_1) | instskip(SKIP_1) | instid1(VALU_DEP_2)
	v_sub_f32_e32 v129, v115, v116
	v_sub_f32_e32 v119, v116, v119
	;; [unrolled: 1-line block ×3, first 2 shown]
	s_delay_alu instid0(VALU_DEP_1) | instskip(NEXT) | instid1(VALU_DEP_1)
	v_sub_f32_e32 v115, v115, v116
	v_dual_sub_f32 v116, v119, v118 :: v_dual_add_f32 v113, v113, v115
	v_add_f32_e32 v115, v128, v117
	s_delay_alu instid0(VALU_DEP_1) | instskip(NEXT) | instid1(VALU_DEP_1)
	v_dual_add_f32 v113, v116, v113 :: v_dual_sub_f32 v116, v115, v128
	v_add_f32_e32 v113, v129, v113
	s_delay_alu instid0(VALU_DEP_1) | instskip(NEXT) | instid1(VALU_DEP_1)
	v_dual_sub_f32 v116, v117, v116 :: v_dual_mul_f32 v113, v114, v113
	v_add_f32_e32 v113, v116, v113
	s_delay_alu instid0(VALU_DEP_1) | instskip(NEXT) | instid1(VALU_DEP_1)
	v_add_f32_e32 v114, v115, v113
	v_mul_f32_e32 v116, v114, v114
	s_delay_alu instid0(VALU_DEP_1) | instskip(SKIP_2) | instid1(VALU_DEP_3)
	v_fmaak_f32 v117, s26, v116, 0x3ecc95a3
	v_mul_f32_e32 v118, v114, v116
	v_cmp_eq_f32_e64 s26, 0x7f800000, v103
	v_fmaak_f32 v116, v116, v117, 0x3f2aaada
	v_ldexp_f32 v117, v114, 1
	v_sub_f32_e32 v114, v114, v115
	s_delay_alu instid0(VALU_DEP_4) | instskip(NEXT) | instid1(VALU_DEP_3)
	s_or_b32 s26, s26, s30
	v_mul_f32_e32 v116, v118, v116
	s_delay_alu instid0(VALU_DEP_2) | instskip(NEXT) | instid1(VALU_DEP_2)
	v_dual_mul_f32 v118, 0x3f317218, v112 :: v_dual_sub_f32 v113, v113, v114
	v_add_f32_e32 v115, v117, v116
	s_delay_alu instid0(VALU_DEP_2) | instskip(NEXT) | instid1(VALU_DEP_2)
	v_ldexp_f32 v113, v113, 1
	v_sub_f32_e32 v114, v115, v117
	s_delay_alu instid0(VALU_DEP_4) | instskip(NEXT) | instid1(VALU_DEP_2)
	v_fma_f32 v117, 0x3f317218, v112, -v118
	v_sub_f32_e32 v114, v116, v114
	s_delay_alu instid0(VALU_DEP_1) | instskip(NEXT) | instid1(VALU_DEP_1)
	v_dual_fmamk_f32 v112, v112, 0xb102e308, v117 :: v_dual_add_f32 v113, v113, v114
	v_add_f32_e32 v114, v118, v112
	s_delay_alu instid0(VALU_DEP_1) | instskip(NEXT) | instid1(VALU_DEP_1)
	v_sub_f32_e32 v118, v114, v118
	v_sub_f32_e32 v112, v112, v118
	s_delay_alu instid0(VALU_DEP_4) | instskip(NEXT) | instid1(VALU_DEP_1)
	v_add_f32_e32 v116, v115, v113
	v_sub_f32_e32 v115, v116, v115
	s_delay_alu instid0(VALU_DEP_1) | instskip(SKIP_1) | instid1(VALU_DEP_1)
	v_sub_f32_e32 v113, v113, v115
	v_add_f32_e32 v117, v114, v116
	v_sub_f32_e32 v119, v117, v114
	s_delay_alu instid0(VALU_DEP_1) | instskip(NEXT) | instid1(VALU_DEP_4)
	v_sub_f32_e32 v115, v116, v119
	v_add_f32_e32 v116, v112, v113
	v_sub_f32_e32 v128, v117, v119
	s_delay_alu instid0(VALU_DEP_1) | instskip(NEXT) | instid1(VALU_DEP_1)
	v_sub_f32_e32 v114, v114, v128
	v_dual_add_f32 v114, v115, v114 :: v_dual_sub_f32 v115, v116, v112
	s_delay_alu instid0(VALU_DEP_1) | instskip(SKIP_1) | instid1(VALU_DEP_2)
	v_dual_add_f32 v114, v116, v114 :: v_dual_sub_f32 v113, v113, v115
	v_sub_f32_e32 v116, v116, v115
	v_add_f32_e32 v118, v117, v114
	s_delay_alu instid0(VALU_DEP_1) | instskip(NEXT) | instid1(VALU_DEP_1)
	v_dual_sub_f32 v112, v112, v116 :: v_dual_sub_f32 v115, v118, v117
	v_dual_add_f32 v112, v113, v112 :: v_dual_sub_f32 v113, v114, v115
	s_delay_alu instid0(VALU_DEP_1) | instskip(NEXT) | instid1(VALU_DEP_1)
	v_add_f32_e32 v112, v112, v113
	v_add_f32_e32 v112, v118, v112
	s_delay_alu instid0(VALU_DEP_1) | instskip(NEXT) | instid1(VALU_DEP_1)
	v_cndmask_b32_e64 v103, v112, v103, s26
	v_add_f32_e32 v31, v31, v103
	s_delay_alu instid0(VALU_DEP_1)
	v_cvt_f16_f32_e32 v112, v31
.LBB430_115:
	s_or_b32 exec_lo, exec_lo, vcc_hi
	s_delay_alu instid0(VALU_DEP_1)
	v_mov_b32_e32 v103, v112
.LBB430_116:
	s_or_b32 exec_lo, exec_lo, s29
	v_add_nc_u32_e32 v31, -1, v30
	s_delay_alu instid0(VALU_DEP_1) | instskip(NEXT) | instid1(VALU_DEP_1)
	v_cmp_gt_i32_e64 s26, 0, v31
	v_cndmask_b32_e64 v30, v31, v30, s26
	v_and_b32_e32 v31, 0xffff, v103
	s_delay_alu instid0(VALU_DEP_2)
	v_lshlrev_b32_e32 v30, 2, v30
	ds_bpermute_b32 v30, v30, v31
	v_max_f32_e32 v31, v29, v29
	s_waitcnt lgkmcnt(0)
	v_cvt_f32_f16_e32 v103, v30
	v_cmp_u_f16_e64 s26, v30, v30
	s_delay_alu instid0(VALU_DEP_2) | instskip(SKIP_1) | instid1(VALU_DEP_2)
	v_min_f32_e32 v112, v103, v31
	v_max_f32_e32 v31, v103, v31
	v_cndmask_b32_e64 v112, v112, v103, s26
	s_delay_alu instid0(VALU_DEP_2) | instskip(NEXT) | instid1(VALU_DEP_2)
	v_cndmask_b32_e64 v103, v31, v103, s26
	v_cndmask_b32_e64 v31, v112, v29, s25
	s_delay_alu instid0(VALU_DEP_2) | instskip(NEXT) | instid1(VALU_DEP_2)
	v_cndmask_b32_e64 v29, v103, v29, s25
	v_cmp_class_f32_e64 s26, v31, 0x1f8
	s_delay_alu instid0(VALU_DEP_2) | instskip(NEXT) | instid1(VALU_DEP_1)
	v_cmp_neq_f32_e64 s25, v31, v29
	s_or_b32 s25, s25, s26
	s_delay_alu instid0(SALU_CYCLE_1)
	s_and_saveexec_b32 s26, s25
	s_cbranch_execz .LBB430_118
; %bb.117:
	v_sub_f32_e32 v30, v31, v29
	s_delay_alu instid0(VALU_DEP_1) | instskip(SKIP_1) | instid1(VALU_DEP_2)
	v_mul_f32_e32 v31, 0x3fb8aa3b, v30
	v_cmp_ngt_f32_e64 s25, 0xc2ce8ed0, v30
	v_fma_f32 v103, 0x3fb8aa3b, v30, -v31
	v_rndne_f32_e32 v112, v31
	s_delay_alu instid0(VALU_DEP_2) | instskip(NEXT) | instid1(VALU_DEP_2)
	v_fmamk_f32 v103, v30, 0x32a5705f, v103
	v_sub_f32_e32 v31, v31, v112
	s_delay_alu instid0(VALU_DEP_1) | instskip(SKIP_1) | instid1(VALU_DEP_2)
	v_add_f32_e32 v31, v31, v103
	v_cvt_i32_f32_e32 v103, v112
	v_exp_f32_e32 v31, v31
	s_waitcnt_depctr 0xfff
	v_ldexp_f32 v31, v31, v103
	s_delay_alu instid0(VALU_DEP_1) | instskip(SKIP_1) | instid1(VALU_DEP_1)
	v_cndmask_b32_e64 v31, 0, v31, s25
	v_cmp_nlt_f32_e64 s25, 0x42b17218, v30
	v_cndmask_b32_e64 v103, 0x7f800000, v31, s25
	s_delay_alu instid0(VALU_DEP_1) | instskip(SKIP_1) | instid1(VALU_DEP_2)
	v_add_f32_e32 v112, 1.0, v103
	v_cmp_gt_f32_e64 s29, 0x33800000, |v103|
	v_cvt_f64_f32_e32 v[30:31], v112
	s_delay_alu instid0(VALU_DEP_1) | instskip(SKIP_1) | instid1(VALU_DEP_1)
	v_frexp_exp_i32_f64_e32 v30, v[30:31]
	v_frexp_mant_f32_e32 v31, v112
	v_cmp_gt_f32_e64 s25, 0x3f2aaaab, v31
	v_add_f32_e32 v31, -1.0, v112
	s_delay_alu instid0(VALU_DEP_1) | instskip(NEXT) | instid1(VALU_DEP_1)
	v_sub_f32_e32 v114, v31, v112
	v_dual_sub_f32 v31, v103, v31 :: v_dual_add_f32 v114, 1.0, v114
	s_delay_alu instid0(VALU_DEP_1) | instskip(SKIP_2) | instid1(VALU_DEP_1)
	v_add_f32_e32 v31, v31, v114
	v_subrev_co_ci_u32_e64 v30, s25, 0, v30, s25
	s_mov_b32 s25, 0x3e9b6dac
	v_sub_nc_u32_e32 v113, 0, v30
	v_cvt_f32_i32_e32 v30, v30
	s_delay_alu instid0(VALU_DEP_2) | instskip(SKIP_1) | instid1(VALU_DEP_2)
	v_ldexp_f32 v112, v112, v113
	v_ldexp_f32 v31, v31, v113
	v_add_f32_e32 v115, 1.0, v112
	s_delay_alu instid0(VALU_DEP_1) | instskip(NEXT) | instid1(VALU_DEP_1)
	v_add_f32_e32 v114, -1.0, v115
	v_sub_f32_e32 v114, v112, v114
	s_delay_alu instid0(VALU_DEP_1) | instskip(NEXT) | instid1(VALU_DEP_1)
	v_dual_add_f32 v114, v31, v114 :: v_dual_add_f32 v113, -1.0, v112
	v_add_f32_e32 v116, 1.0, v113
	s_delay_alu instid0(VALU_DEP_1) | instskip(NEXT) | instid1(VALU_DEP_3)
	v_sub_f32_e32 v112, v112, v116
	v_add_f32_e32 v116, v115, v114
	s_delay_alu instid0(VALU_DEP_1) | instskip(NEXT) | instid1(VALU_DEP_3)
	v_sub_f32_e32 v115, v115, v116
	v_add_f32_e32 v31, v31, v112
	v_rcp_f32_e32 v112, v116
	s_delay_alu instid0(VALU_DEP_2) | instskip(NEXT) | instid1(VALU_DEP_2)
	v_add_f32_e32 v114, v114, v115
	v_add_f32_e32 v117, v113, v31
	s_delay_alu instid0(VALU_DEP_1) | instskip(SKIP_2) | instid1(VALU_DEP_1)
	v_sub_f32_e32 v113, v113, v117
	s_waitcnt_depctr 0xfff
	v_dual_mul_f32 v118, v117, v112 :: v_dual_add_f32 v31, v31, v113
	v_mul_f32_e32 v119, v116, v118
	s_delay_alu instid0(VALU_DEP_1) | instskip(NEXT) | instid1(VALU_DEP_1)
	v_fma_f32 v115, v118, v116, -v119
	v_fmac_f32_e32 v115, v118, v114
	s_delay_alu instid0(VALU_DEP_1) | instskip(NEXT) | instid1(VALU_DEP_1)
	v_add_f32_e32 v128, v119, v115
	v_sub_f32_e32 v129, v117, v128
	s_delay_alu instid0(VALU_DEP_1) | instskip(SKIP_1) | instid1(VALU_DEP_2)
	v_sub_f32_e32 v117, v117, v129
	v_sub_f32_e32 v113, v128, v119
	;; [unrolled: 1-line block ×3, first 2 shown]
	s_delay_alu instid0(VALU_DEP_2) | instskip(NEXT) | instid1(VALU_DEP_2)
	v_sub_f32_e32 v113, v113, v115
	v_add_f32_e32 v31, v31, v117
	s_delay_alu instid0(VALU_DEP_1) | instskip(NEXT) | instid1(VALU_DEP_1)
	v_add_f32_e32 v31, v113, v31
	v_add_f32_e32 v113, v129, v31
	s_delay_alu instid0(VALU_DEP_1) | instskip(NEXT) | instid1(VALU_DEP_1)
	v_mul_f32_e32 v115, v112, v113
	v_mul_f32_e32 v117, v116, v115
	s_delay_alu instid0(VALU_DEP_1) | instskip(NEXT) | instid1(VALU_DEP_1)
	v_fma_f32 v116, v115, v116, -v117
	v_fmac_f32_e32 v116, v115, v114
	v_sub_f32_e32 v128, v129, v113
	s_delay_alu instid0(VALU_DEP_2) | instskip(NEXT) | instid1(VALU_DEP_2)
	v_add_f32_e32 v114, v117, v116
	v_add_f32_e32 v31, v31, v128
	s_delay_alu instid0(VALU_DEP_2) | instskip(SKIP_1) | instid1(VALU_DEP_2)
	v_sub_f32_e32 v119, v113, v114
	v_sub_f32_e32 v117, v114, v117
	;; [unrolled: 1-line block ×3, first 2 shown]
	s_delay_alu instid0(VALU_DEP_1) | instskip(NEXT) | instid1(VALU_DEP_1)
	v_sub_f32_e32 v113, v113, v114
	v_dual_sub_f32 v114, v117, v116 :: v_dual_add_f32 v31, v31, v113
	v_add_f32_e32 v113, v118, v115
	s_delay_alu instid0(VALU_DEP_1) | instskip(NEXT) | instid1(VALU_DEP_1)
	v_dual_add_f32 v31, v114, v31 :: v_dual_sub_f32 v114, v113, v118
	v_add_f32_e32 v31, v119, v31
	s_delay_alu instid0(VALU_DEP_1) | instskip(NEXT) | instid1(VALU_DEP_1)
	v_dual_sub_f32 v114, v115, v114 :: v_dual_mul_f32 v31, v112, v31
	v_add_f32_e32 v31, v114, v31
	s_delay_alu instid0(VALU_DEP_1) | instskip(NEXT) | instid1(VALU_DEP_1)
	v_add_f32_e32 v112, v113, v31
	v_mul_f32_e32 v114, v112, v112
	s_delay_alu instid0(VALU_DEP_1) | instskip(SKIP_2) | instid1(VALU_DEP_3)
	v_fmaak_f32 v115, s25, v114, 0x3ecc95a3
	v_mul_f32_e32 v116, v112, v114
	v_cmp_eq_f32_e64 s25, 0x7f800000, v103
	v_fmaak_f32 v114, v114, v115, 0x3f2aaada
	v_ldexp_f32 v115, v112, 1
	v_sub_f32_e32 v112, v112, v113
	s_delay_alu instid0(VALU_DEP_4) | instskip(NEXT) | instid1(VALU_DEP_3)
	s_or_b32 s25, s25, s29
	v_mul_f32_e32 v114, v116, v114
	s_delay_alu instid0(VALU_DEP_2) | instskip(NEXT) | instid1(VALU_DEP_2)
	v_dual_mul_f32 v116, 0x3f317218, v30 :: v_dual_sub_f32 v31, v31, v112
	v_add_f32_e32 v113, v115, v114
	s_delay_alu instid0(VALU_DEP_2) | instskip(NEXT) | instid1(VALU_DEP_2)
	v_ldexp_f32 v31, v31, 1
	v_sub_f32_e32 v112, v113, v115
	s_delay_alu instid0(VALU_DEP_4) | instskip(NEXT) | instid1(VALU_DEP_2)
	v_fma_f32 v115, 0x3f317218, v30, -v116
	v_sub_f32_e32 v112, v114, v112
	s_delay_alu instid0(VALU_DEP_1) | instskip(NEXT) | instid1(VALU_DEP_1)
	v_dual_fmamk_f32 v30, v30, 0xb102e308, v115 :: v_dual_add_f32 v31, v31, v112
	v_add_f32_e32 v112, v116, v30
	s_delay_alu instid0(VALU_DEP_2) | instskip(NEXT) | instid1(VALU_DEP_2)
	v_add_f32_e32 v114, v113, v31
	v_sub_f32_e32 v116, v112, v116
	s_delay_alu instid0(VALU_DEP_2) | instskip(SKIP_1) | instid1(VALU_DEP_3)
	v_add_f32_e32 v115, v112, v114
	v_sub_f32_e32 v113, v114, v113
	v_sub_f32_e32 v30, v30, v116
	s_delay_alu instid0(VALU_DEP_3) | instskip(NEXT) | instid1(VALU_DEP_3)
	v_sub_f32_e32 v117, v115, v112
	v_sub_f32_e32 v31, v31, v113
	s_delay_alu instid0(VALU_DEP_2) | instskip(SKIP_1) | instid1(VALU_DEP_3)
	v_sub_f32_e32 v118, v115, v117
	v_sub_f32_e32 v113, v114, v117
	v_add_f32_e32 v114, v30, v31
	s_delay_alu instid0(VALU_DEP_3) | instskip(NEXT) | instid1(VALU_DEP_1)
	v_sub_f32_e32 v112, v112, v118
	v_dual_add_f32 v112, v113, v112 :: v_dual_sub_f32 v113, v114, v30
	s_delay_alu instid0(VALU_DEP_1) | instskip(NEXT) | instid1(VALU_DEP_2)
	v_add_f32_e32 v112, v114, v112
	v_sub_f32_e32 v114, v114, v113
	v_sub_f32_e32 v31, v31, v113
	s_delay_alu instid0(VALU_DEP_3) | instskip(NEXT) | instid1(VALU_DEP_1)
	v_add_f32_e32 v116, v115, v112
	v_dual_sub_f32 v30, v30, v114 :: v_dual_sub_f32 v113, v116, v115
	s_delay_alu instid0(VALU_DEP_1) | instskip(NEXT) | instid1(VALU_DEP_1)
	v_dual_add_f32 v30, v31, v30 :: v_dual_sub_f32 v31, v112, v113
	v_add_f32_e32 v30, v30, v31
	s_delay_alu instid0(VALU_DEP_1) | instskip(NEXT) | instid1(VALU_DEP_1)
	v_add_f32_e32 v30, v116, v30
	v_cndmask_b32_e64 v30, v30, v103, s25
	s_delay_alu instid0(VALU_DEP_1) | instskip(NEXT) | instid1(VALU_DEP_1)
	v_add_f32_e32 v29, v29, v30
	v_cvt_f16_f32_e32 v30, v29
.LBB430_118:
	s_or_b32 exec_lo, exec_lo, s26
	s_delay_alu instid0(VALU_DEP_1)
	v_cndmask_b32_e64 v30, v30, v102, s2
	; wave barrier
	ds_store_b16 v28, v30
	; wave barrier
	ds_load_u16 v29, v28 offset:2
	v_cvt_f32_f16_e32 v31, v30
	v_cmp_u_f16_e64 s25, v30, v30
	s_waitcnt lgkmcnt(0)
	v_cvt_f32_f16_e32 v103, v29
	s_delay_alu instid0(VALU_DEP_1) | instskip(SKIP_1) | instid1(VALU_DEP_2)
	v_min_f32_e32 v112, v31, v103
	v_max_f32_e32 v113, v31, v103
	v_cndmask_b32_e64 v112, v112, v31, s25
	s_delay_alu instid0(VALU_DEP_2) | instskip(SKIP_1) | instid1(VALU_DEP_1)
	v_cndmask_b32_e64 v113, v113, v31, s25
	v_cmp_u_f16_e64 s25, v29, v29
	v_cndmask_b32_e64 v31, v112, v103, s25
	s_delay_alu instid0(VALU_DEP_3) | instskip(NEXT) | instid1(VALU_DEP_2)
	v_cndmask_b32_e64 v29, v113, v103, s25
	v_cmp_class_f32_e64 s26, v31, 0x1f8
	s_delay_alu instid0(VALU_DEP_2) | instskip(NEXT) | instid1(VALU_DEP_1)
	v_cmp_neq_f32_e64 s25, v31, v29
	s_or_b32 s25, s25, s26
	s_delay_alu instid0(SALU_CYCLE_1)
	s_and_saveexec_b32 s26, s25
	s_cbranch_execz .LBB430_120
; %bb.119:
	v_sub_f32_e32 v30, v31, v29
	s_delay_alu instid0(VALU_DEP_1) | instskip(SKIP_1) | instid1(VALU_DEP_2)
	v_mul_f32_e32 v31, 0x3fb8aa3b, v30
	v_cmp_ngt_f32_e64 s25, 0xc2ce8ed0, v30
	v_fma_f32 v103, 0x3fb8aa3b, v30, -v31
	v_rndne_f32_e32 v112, v31
	s_delay_alu instid0(VALU_DEP_2) | instskip(NEXT) | instid1(VALU_DEP_2)
	v_fmamk_f32 v103, v30, 0x32a5705f, v103
	v_sub_f32_e32 v31, v31, v112
	s_delay_alu instid0(VALU_DEP_1) | instskip(SKIP_1) | instid1(VALU_DEP_2)
	v_add_f32_e32 v31, v31, v103
	v_cvt_i32_f32_e32 v103, v112
	v_exp_f32_e32 v31, v31
	s_waitcnt_depctr 0xfff
	v_ldexp_f32 v31, v31, v103
	s_delay_alu instid0(VALU_DEP_1) | instskip(SKIP_1) | instid1(VALU_DEP_1)
	v_cndmask_b32_e64 v31, 0, v31, s25
	v_cmp_nlt_f32_e64 s25, 0x42b17218, v30
	v_cndmask_b32_e64 v103, 0x7f800000, v31, s25
	s_delay_alu instid0(VALU_DEP_1) | instskip(SKIP_1) | instid1(VALU_DEP_2)
	v_add_f32_e32 v112, 1.0, v103
	v_cmp_gt_f32_e64 s29, 0x33800000, |v103|
	v_cvt_f64_f32_e32 v[30:31], v112
	s_delay_alu instid0(VALU_DEP_1) | instskip(SKIP_1) | instid1(VALU_DEP_1)
	v_frexp_exp_i32_f64_e32 v30, v[30:31]
	v_frexp_mant_f32_e32 v31, v112
	v_cmp_gt_f32_e64 s25, 0x3f2aaaab, v31
	v_add_f32_e32 v31, -1.0, v112
	s_delay_alu instid0(VALU_DEP_1) | instskip(NEXT) | instid1(VALU_DEP_1)
	v_sub_f32_e32 v114, v31, v112
	v_dual_sub_f32 v31, v103, v31 :: v_dual_add_f32 v114, 1.0, v114
	s_delay_alu instid0(VALU_DEP_1) | instskip(SKIP_2) | instid1(VALU_DEP_1)
	v_add_f32_e32 v31, v31, v114
	v_subrev_co_ci_u32_e64 v30, s25, 0, v30, s25
	s_mov_b32 s25, 0x3e9b6dac
	v_sub_nc_u32_e32 v113, 0, v30
	v_cvt_f32_i32_e32 v30, v30
	s_delay_alu instid0(VALU_DEP_2) | instskip(SKIP_1) | instid1(VALU_DEP_2)
	v_ldexp_f32 v112, v112, v113
	v_ldexp_f32 v31, v31, v113
	v_add_f32_e32 v115, 1.0, v112
	s_delay_alu instid0(VALU_DEP_1) | instskip(NEXT) | instid1(VALU_DEP_1)
	v_add_f32_e32 v114, -1.0, v115
	v_sub_f32_e32 v114, v112, v114
	s_delay_alu instid0(VALU_DEP_1) | instskip(NEXT) | instid1(VALU_DEP_1)
	v_dual_add_f32 v114, v31, v114 :: v_dual_add_f32 v113, -1.0, v112
	v_add_f32_e32 v116, 1.0, v113
	s_delay_alu instid0(VALU_DEP_1) | instskip(NEXT) | instid1(VALU_DEP_3)
	v_sub_f32_e32 v112, v112, v116
	v_add_f32_e32 v116, v115, v114
	s_delay_alu instid0(VALU_DEP_1) | instskip(NEXT) | instid1(VALU_DEP_3)
	v_sub_f32_e32 v115, v115, v116
	v_add_f32_e32 v31, v31, v112
	v_rcp_f32_e32 v112, v116
	s_delay_alu instid0(VALU_DEP_2) | instskip(NEXT) | instid1(VALU_DEP_2)
	v_add_f32_e32 v114, v114, v115
	v_add_f32_e32 v117, v113, v31
	s_delay_alu instid0(VALU_DEP_1) | instskip(SKIP_2) | instid1(VALU_DEP_1)
	v_sub_f32_e32 v113, v113, v117
	s_waitcnt_depctr 0xfff
	v_dual_mul_f32 v118, v117, v112 :: v_dual_add_f32 v31, v31, v113
	v_mul_f32_e32 v119, v116, v118
	s_delay_alu instid0(VALU_DEP_1) | instskip(NEXT) | instid1(VALU_DEP_1)
	v_fma_f32 v115, v118, v116, -v119
	v_fmac_f32_e32 v115, v118, v114
	s_delay_alu instid0(VALU_DEP_1) | instskip(NEXT) | instid1(VALU_DEP_1)
	v_add_f32_e32 v128, v119, v115
	v_sub_f32_e32 v129, v117, v128
	s_delay_alu instid0(VALU_DEP_1) | instskip(SKIP_1) | instid1(VALU_DEP_2)
	v_sub_f32_e32 v117, v117, v129
	v_sub_f32_e32 v113, v128, v119
	;; [unrolled: 1-line block ×3, first 2 shown]
	s_delay_alu instid0(VALU_DEP_2) | instskip(NEXT) | instid1(VALU_DEP_2)
	v_sub_f32_e32 v113, v113, v115
	v_add_f32_e32 v31, v31, v117
	s_delay_alu instid0(VALU_DEP_1) | instskip(NEXT) | instid1(VALU_DEP_1)
	v_add_f32_e32 v31, v113, v31
	v_add_f32_e32 v113, v129, v31
	s_delay_alu instid0(VALU_DEP_1) | instskip(NEXT) | instid1(VALU_DEP_1)
	v_mul_f32_e32 v115, v112, v113
	v_mul_f32_e32 v117, v116, v115
	s_delay_alu instid0(VALU_DEP_1) | instskip(NEXT) | instid1(VALU_DEP_1)
	v_fma_f32 v116, v115, v116, -v117
	v_fmac_f32_e32 v116, v115, v114
	v_sub_f32_e32 v128, v129, v113
	s_delay_alu instid0(VALU_DEP_2) | instskip(NEXT) | instid1(VALU_DEP_2)
	v_add_f32_e32 v114, v117, v116
	v_add_f32_e32 v31, v31, v128
	s_delay_alu instid0(VALU_DEP_2) | instskip(SKIP_1) | instid1(VALU_DEP_2)
	v_sub_f32_e32 v119, v113, v114
	v_sub_f32_e32 v117, v114, v117
	;; [unrolled: 1-line block ×3, first 2 shown]
	s_delay_alu instid0(VALU_DEP_1) | instskip(NEXT) | instid1(VALU_DEP_1)
	v_sub_f32_e32 v113, v113, v114
	v_dual_sub_f32 v114, v117, v116 :: v_dual_add_f32 v31, v31, v113
	v_add_f32_e32 v113, v118, v115
	s_delay_alu instid0(VALU_DEP_1) | instskip(NEXT) | instid1(VALU_DEP_1)
	v_dual_add_f32 v31, v114, v31 :: v_dual_sub_f32 v114, v113, v118
	v_add_f32_e32 v31, v119, v31
	s_delay_alu instid0(VALU_DEP_1) | instskip(NEXT) | instid1(VALU_DEP_1)
	v_dual_sub_f32 v114, v115, v114 :: v_dual_mul_f32 v31, v112, v31
	v_add_f32_e32 v31, v114, v31
	s_delay_alu instid0(VALU_DEP_1) | instskip(NEXT) | instid1(VALU_DEP_1)
	v_add_f32_e32 v112, v113, v31
	v_mul_f32_e32 v114, v112, v112
	s_delay_alu instid0(VALU_DEP_1) | instskip(SKIP_2) | instid1(VALU_DEP_3)
	v_fmaak_f32 v115, s25, v114, 0x3ecc95a3
	v_mul_f32_e32 v116, v112, v114
	v_cmp_eq_f32_e64 s25, 0x7f800000, v103
	v_fmaak_f32 v114, v114, v115, 0x3f2aaada
	v_ldexp_f32 v115, v112, 1
	v_sub_f32_e32 v112, v112, v113
	s_delay_alu instid0(VALU_DEP_4) | instskip(NEXT) | instid1(VALU_DEP_3)
	s_or_b32 s25, s25, s29
	v_mul_f32_e32 v114, v116, v114
	s_delay_alu instid0(VALU_DEP_2) | instskip(NEXT) | instid1(VALU_DEP_2)
	v_dual_mul_f32 v116, 0x3f317218, v30 :: v_dual_sub_f32 v31, v31, v112
	v_add_f32_e32 v113, v115, v114
	s_delay_alu instid0(VALU_DEP_2) | instskip(NEXT) | instid1(VALU_DEP_2)
	v_ldexp_f32 v31, v31, 1
	v_sub_f32_e32 v112, v113, v115
	s_delay_alu instid0(VALU_DEP_4) | instskip(NEXT) | instid1(VALU_DEP_2)
	v_fma_f32 v115, 0x3f317218, v30, -v116
	v_sub_f32_e32 v112, v114, v112
	s_delay_alu instid0(VALU_DEP_1) | instskip(NEXT) | instid1(VALU_DEP_1)
	v_dual_fmamk_f32 v30, v30, 0xb102e308, v115 :: v_dual_add_f32 v31, v31, v112
	v_add_f32_e32 v112, v116, v30
	s_delay_alu instid0(VALU_DEP_2) | instskip(NEXT) | instid1(VALU_DEP_2)
	v_add_f32_e32 v114, v113, v31
	v_sub_f32_e32 v116, v112, v116
	s_delay_alu instid0(VALU_DEP_2) | instskip(SKIP_1) | instid1(VALU_DEP_3)
	v_add_f32_e32 v115, v112, v114
	v_sub_f32_e32 v113, v114, v113
	v_sub_f32_e32 v30, v30, v116
	s_delay_alu instid0(VALU_DEP_3) | instskip(NEXT) | instid1(VALU_DEP_3)
	v_sub_f32_e32 v117, v115, v112
	v_sub_f32_e32 v31, v31, v113
	s_delay_alu instid0(VALU_DEP_2) | instskip(SKIP_1) | instid1(VALU_DEP_3)
	v_sub_f32_e32 v118, v115, v117
	v_sub_f32_e32 v113, v114, v117
	v_add_f32_e32 v114, v30, v31
	s_delay_alu instid0(VALU_DEP_3) | instskip(NEXT) | instid1(VALU_DEP_1)
	v_sub_f32_e32 v112, v112, v118
	v_dual_add_f32 v112, v113, v112 :: v_dual_sub_f32 v113, v114, v30
	s_delay_alu instid0(VALU_DEP_1) | instskip(NEXT) | instid1(VALU_DEP_2)
	v_add_f32_e32 v112, v114, v112
	v_sub_f32_e32 v114, v114, v113
	v_sub_f32_e32 v31, v31, v113
	s_delay_alu instid0(VALU_DEP_3) | instskip(NEXT) | instid1(VALU_DEP_1)
	v_add_f32_e32 v116, v115, v112
	v_dual_sub_f32 v30, v30, v114 :: v_dual_sub_f32 v113, v116, v115
	s_delay_alu instid0(VALU_DEP_1) | instskip(NEXT) | instid1(VALU_DEP_1)
	v_dual_add_f32 v30, v31, v30 :: v_dual_sub_f32 v31, v112, v113
	v_add_f32_e32 v30, v30, v31
	s_delay_alu instid0(VALU_DEP_1) | instskip(NEXT) | instid1(VALU_DEP_1)
	v_add_f32_e32 v30, v116, v30
	v_cndmask_b32_e64 v30, v30, v103, s25
	s_delay_alu instid0(VALU_DEP_1) | instskip(NEXT) | instid1(VALU_DEP_1)
	v_add_f32_e32 v29, v29, v30
	v_cvt_f16_f32_e32 v30, v29
.LBB430_120:
	s_or_b32 exec_lo, exec_lo, s26
	ds_store_b16 v28, v30 offset:2
.LBB430_121:
	s_or_b32 exec_lo, exec_lo, s27
	s_waitcnt lgkmcnt(0)
	s_barrier
	buffer_gl0_inv
	s_and_saveexec_b32 s25, s1
	s_cbranch_execz .LBB430_123
; %bb.122:
	v_add_nc_u32_e32 v28, -1, v21
	s_delay_alu instid0(VALU_DEP_1) | instskip(NEXT) | instid1(VALU_DEP_1)
	v_lshrrev_b32_e32 v29, 5, v28
	v_add_lshl_u32 v28, v29, v28, 1
	ds_load_u16 v102, v28
.LBB430_123:
	s_or_b32 exec_lo, exec_lo, s25
	s_and_saveexec_b32 s29, vcc_lo
	s_cbranch_execz .LBB430_186
; %bb.124:
	v_mov_b32_e32 v30, 0
	v_mbcnt_lo_u32_b32 v112, -1, 0
	s_mov_b32 s27, 0
	ds_load_u16 v103, v30 offset:128
	v_cmp_eq_u32_e64 s25, 0, v112
	s_delay_alu instid0(VALU_DEP_1)
	s_and_saveexec_b32 vcc_hi, s25
	s_cbranch_execz .LBB430_126
; %bb.125:
	s_add_i32 s26, s28, 32
	s_waitcnt lgkmcnt(0)
	v_or_b32_e32 v31, 0x10000, v103
	s_lshl_b64 s[26:27], s[26:27], 2
	s_delay_alu instid0(SALU_CYCLE_1)
	v_add_co_u32 v28, vcc_lo, v18, s26
	v_add_co_ci_u32_e32 v29, vcc_lo, s27, v19, vcc_lo
	flat_store_b32 v[28:29], v31
.LBB430_126:
	s_or_b32 exec_lo, exec_lo, vcc_hi
	v_xad_u32 v28, v112, -1, s28
	s_mov_b32 s26, exec_lo
	s_delay_alu instid0(VALU_DEP_1) | instskip(NEXT) | instid1(VALU_DEP_1)
	v_add_nc_u32_e32 v29, 32, v28
	v_lshlrev_b64 v[29:30], 2, v[29:30]
	s_delay_alu instid0(VALU_DEP_1) | instskip(NEXT) | instid1(VALU_DEP_2)
	v_add_co_u32 v29, vcc_lo, v18, v29
	v_add_co_ci_u32_e32 v30, vcc_lo, v19, v30, vcc_lo
	flat_load_b32 v133, v[29:30] glc
	s_waitcnt vmcnt(0) lgkmcnt(0)
	v_lshrrev_b32_e32 v113, 16, v133
	s_delay_alu instid0(VALU_DEP_1) | instskip(NEXT) | instid1(VALU_DEP_1)
	v_and_b32_e32 v31, 0xff, v113
	v_cmpx_eq_u16_e32 0, v31
	s_cbranch_execz .LBB430_130
; %bb.127:
	s_mov_b32 s27, 0
.LBB430_128:                            ; =>This Inner Loop Header: Depth=1
	flat_load_b32 v133, v[29:30] glc
	s_waitcnt vmcnt(0) lgkmcnt(0)
	v_lshrrev_b32_e32 v113, 16, v133
	s_delay_alu instid0(VALU_DEP_1) | instskip(NEXT) | instid1(VALU_DEP_1)
	v_and_b32_e32 v31, 0xff, v113
	v_cmp_ne_u16_e32 vcc_lo, 0, v31
	s_or_b32 s27, vcc_lo, s27
	s_delay_alu instid0(SALU_CYCLE_1)
	s_and_not1_b32 exec_lo, exec_lo, s27
	s_cbranch_execnz .LBB430_128
; %bb.129:
	s_or_b32 exec_lo, exec_lo, s27
.LBB430_130:
	s_delay_alu instid0(SALU_CYCLE_1)
	s_or_b32 exec_lo, exec_lo, s26
	v_cmp_ne_u32_e32 vcc_lo, 31, v112
	v_and_b32_e32 v31, 0xff, v113
	v_and_b32_e32 v30, 0xffff, v133
	v_lshlrev_b32_e64 v115, v112, -1
	s_mov_b32 s26, exec_lo
	v_add_co_ci_u32_e32 v29, vcc_lo, 0, v112, vcc_lo
	v_cmp_eq_u16_e32 vcc_lo, 2, v31
	s_delay_alu instid0(VALU_DEP_2) | instskip(SKIP_3) | instid1(VALU_DEP_1)
	v_lshlrev_b32_e32 v114, 2, v29
	v_and_or_b32 v29, vcc_lo, v115, 0x80000000
	ds_bpermute_b32 v31, v114, v30
	v_ctz_i32_b32_e32 v29, v29
	v_cmpx_lt_u32_e64 v112, v29
	s_cbranch_execz .LBB430_134
; %bb.131:
	s_waitcnt lgkmcnt(0)
	v_cvt_f32_f16_e32 v30, v31
	v_cvt_f32_f16_e64 v117, v133
	v_cmp_u_f16_e32 vcc_lo, v31, v31
	s_delay_alu instid0(VALU_DEP_2) | instskip(SKIP_1) | instid1(VALU_DEP_2)
	v_min_f32_e32 v116, v30, v117
	v_max_f32_e32 v118, v30, v117
	v_cndmask_b32_e32 v116, v116, v30, vcc_lo
	s_delay_alu instid0(VALU_DEP_2) | instskip(SKIP_1) | instid1(VALU_DEP_3)
	v_cndmask_b32_e32 v30, v118, v30, vcc_lo
	v_cmp_u_f16_e64 vcc_lo, v133, v133
	v_cndmask_b32_e32 v116, v116, v117, vcc_lo
	s_delay_alu instid0(VALU_DEP_3) | instskip(NEXT) | instid1(VALU_DEP_2)
	v_cndmask_b32_e32 v30, v30, v117, vcc_lo
	v_cmp_class_f32_e64 s27, v116, 0x1f8
	s_delay_alu instid0(VALU_DEP_2) | instskip(NEXT) | instid1(VALU_DEP_2)
	v_cmp_neq_f32_e32 vcc_lo, v116, v30
	s_or_b32 vcc_lo, vcc_lo, s27
	s_delay_alu instid0(SALU_CYCLE_1)
	s_and_saveexec_b32 s27, vcc_lo
	s_cbranch_execz .LBB430_133
; %bb.132:
	v_sub_f32_e32 v31, v116, v30
	s_mov_b32 s30, 0x3e9b6dac
	s_delay_alu instid0(VALU_DEP_1) | instskip(SKIP_1) | instid1(VALU_DEP_2)
	v_mul_f32_e32 v116, 0x3fb8aa3b, v31
	v_cmp_ngt_f32_e32 vcc_lo, 0xc2ce8ed0, v31
	v_fma_f32 v117, 0x3fb8aa3b, v31, -v116
	v_rndne_f32_e32 v118, v116
	s_delay_alu instid0(VALU_DEP_1) | instskip(NEXT) | instid1(VALU_DEP_1)
	v_dual_fmamk_f32 v117, v31, 0x32a5705f, v117 :: v_dual_sub_f32 v116, v116, v118
	v_add_f32_e32 v116, v116, v117
	v_cvt_i32_f32_e32 v117, v118
	s_delay_alu instid0(VALU_DEP_2) | instskip(SKIP_2) | instid1(VALU_DEP_1)
	v_exp_f32_e32 v116, v116
	s_waitcnt_depctr 0xfff
	v_ldexp_f32 v116, v116, v117
	v_cndmask_b32_e32 v116, 0, v116, vcc_lo
	v_cmp_nlt_f32_e32 vcc_lo, 0x42b17218, v31
	s_delay_alu instid0(VALU_DEP_2) | instskip(NEXT) | instid1(VALU_DEP_1)
	v_cndmask_b32_e32 v31, 0x7f800000, v116, vcc_lo
	v_add_f32_e32 v118, 1.0, v31
	s_delay_alu instid0(VALU_DEP_1) | instskip(NEXT) | instid1(VALU_DEP_1)
	v_cvt_f64_f32_e32 v[116:117], v118
	v_frexp_exp_i32_f64_e32 v116, v[116:117]
	v_frexp_mant_f32_e32 v117, v118
	s_delay_alu instid0(VALU_DEP_1) | instskip(SKIP_1) | instid1(VALU_DEP_1)
	v_cmp_gt_f32_e32 vcc_lo, 0x3f2aaaab, v117
	v_add_f32_e32 v117, -1.0, v118
	v_dual_sub_f32 v128, v117, v118 :: v_dual_sub_f32 v117, v31, v117
	v_subrev_co_ci_u32_e32 v116, vcc_lo, 0, v116, vcc_lo
	v_cmp_eq_f32_e32 vcc_lo, 0x7f800000, v31
	v_cmp_gt_f32_e64 vcc_hi, 0x33800000, |v31|
	s_delay_alu instid0(VALU_DEP_3) | instskip(SKIP_1) | instid1(VALU_DEP_3)
	v_sub_nc_u32_e32 v119, 0, v116
	v_cvt_f32_i32_e32 v116, v116
	s_or_b32 vcc_lo, vcc_lo, vcc_hi
	s_delay_alu instid0(VALU_DEP_2) | instskip(NEXT) | instid1(VALU_DEP_1)
	v_ldexp_f32 v118, v118, v119
	v_dual_add_f32 v128, 1.0, v128 :: v_dual_add_f32 v129, 1.0, v118
	s_delay_alu instid0(VALU_DEP_1) | instskip(NEXT) | instid1(VALU_DEP_1)
	v_dual_add_f32 v117, v117, v128 :: v_dual_add_f32 v128, -1.0, v129
	v_ldexp_f32 v117, v117, v119
	s_delay_alu instid0(VALU_DEP_2) | instskip(NEXT) | instid1(VALU_DEP_1)
	v_dual_add_f32 v119, -1.0, v118 :: v_dual_sub_f32 v128, v118, v128
	v_add_f32_e32 v130, 1.0, v119
	s_delay_alu instid0(VALU_DEP_2) | instskip(NEXT) | instid1(VALU_DEP_2)
	v_add_f32_e32 v128, v117, v128
	v_sub_f32_e32 v118, v118, v130
	s_delay_alu instid0(VALU_DEP_1) | instskip(NEXT) | instid1(VALU_DEP_1)
	v_add_f32_e32 v117, v117, v118
	v_dual_add_f32 v131, v119, v117 :: v_dual_add_f32 v130, v129, v128
	s_delay_alu instid0(VALU_DEP_1) | instskip(NEXT) | instid1(VALU_DEP_2)
	v_sub_f32_e32 v119, v119, v131
	v_rcp_f32_e32 v118, v130
	v_sub_f32_e32 v129, v129, v130
	s_delay_alu instid0(VALU_DEP_1) | instskip(SKIP_2) | instid1(VALU_DEP_1)
	v_dual_add_f32 v117, v117, v119 :: v_dual_add_f32 v128, v128, v129
	s_waitcnt_depctr 0xfff
	v_mul_f32_e32 v132, v131, v118
	v_mul_f32_e32 v133, v130, v132
	s_delay_alu instid0(VALU_DEP_1) | instskip(NEXT) | instid1(VALU_DEP_1)
	v_fma_f32 v129, v132, v130, -v133
	v_fmac_f32_e32 v129, v132, v128
	s_delay_alu instid0(VALU_DEP_1) | instskip(NEXT) | instid1(VALU_DEP_1)
	v_add_f32_e32 v134, v133, v129
	v_sub_f32_e32 v135, v131, v134
	s_delay_alu instid0(VALU_DEP_1) | instskip(SKIP_1) | instid1(VALU_DEP_2)
	v_sub_f32_e32 v131, v131, v135
	v_sub_f32_e32 v119, v134, v133
	;; [unrolled: 1-line block ×3, first 2 shown]
	s_delay_alu instid0(VALU_DEP_2) | instskip(NEXT) | instid1(VALU_DEP_2)
	v_sub_f32_e32 v119, v119, v129
	v_add_f32_e32 v117, v117, v131
	s_delay_alu instid0(VALU_DEP_1) | instskip(NEXT) | instid1(VALU_DEP_1)
	v_add_f32_e32 v117, v119, v117
	v_add_f32_e32 v119, v135, v117
	s_delay_alu instid0(VALU_DEP_1) | instskip(NEXT) | instid1(VALU_DEP_1)
	v_mul_f32_e32 v129, v118, v119
	v_dual_sub_f32 v134, v135, v119 :: v_dual_mul_f32 v131, v130, v129
	s_delay_alu instid0(VALU_DEP_1) | instskip(NEXT) | instid1(VALU_DEP_2)
	v_add_f32_e32 v117, v117, v134
	v_fma_f32 v130, v129, v130, -v131
	s_delay_alu instid0(VALU_DEP_1) | instskip(NEXT) | instid1(VALU_DEP_1)
	v_fmac_f32_e32 v130, v129, v128
	v_add_f32_e32 v128, v131, v130
	s_delay_alu instid0(VALU_DEP_1) | instskip(SKIP_1) | instid1(VALU_DEP_2)
	v_sub_f32_e32 v133, v119, v128
	v_sub_f32_e32 v131, v128, v131
	;; [unrolled: 1-line block ×3, first 2 shown]
	s_delay_alu instid0(VALU_DEP_1) | instskip(NEXT) | instid1(VALU_DEP_1)
	v_sub_f32_e32 v119, v119, v128
	v_dual_sub_f32 v128, v131, v130 :: v_dual_add_f32 v117, v117, v119
	v_add_f32_e32 v119, v132, v129
	s_delay_alu instid0(VALU_DEP_1) | instskip(NEXT) | instid1(VALU_DEP_1)
	v_dual_add_f32 v117, v128, v117 :: v_dual_sub_f32 v128, v119, v132
	v_add_f32_e32 v117, v133, v117
	s_delay_alu instid0(VALU_DEP_1) | instskip(NEXT) | instid1(VALU_DEP_1)
	v_dual_sub_f32 v128, v129, v128 :: v_dual_mul_f32 v117, v118, v117
	v_add_f32_e32 v117, v128, v117
	s_delay_alu instid0(VALU_DEP_1) | instskip(NEXT) | instid1(VALU_DEP_1)
	v_add_f32_e32 v118, v119, v117
	v_mul_f32_e32 v128, v118, v118
	s_delay_alu instid0(VALU_DEP_1) | instskip(SKIP_1) | instid1(VALU_DEP_2)
	v_fmaak_f32 v129, s30, v128, 0x3ecc95a3
	v_mul_f32_e32 v130, v118, v128
	v_fmaak_f32 v128, v128, v129, 0x3f2aaada
	v_ldexp_f32 v129, v118, 1
	v_sub_f32_e32 v118, v118, v119
	s_delay_alu instid0(VALU_DEP_3) | instskip(NEXT) | instid1(VALU_DEP_2)
	v_mul_f32_e32 v128, v130, v128
	v_dual_mul_f32 v130, 0x3f317218, v116 :: v_dual_sub_f32 v117, v117, v118
	s_delay_alu instid0(VALU_DEP_2) | instskip(NEXT) | instid1(VALU_DEP_2)
	v_add_f32_e32 v119, v129, v128
	v_ldexp_f32 v117, v117, 1
	s_delay_alu instid0(VALU_DEP_2) | instskip(NEXT) | instid1(VALU_DEP_4)
	v_sub_f32_e32 v118, v119, v129
	v_fma_f32 v129, 0x3f317218, v116, -v130
	s_delay_alu instid0(VALU_DEP_2) | instskip(NEXT) | instid1(VALU_DEP_1)
	v_sub_f32_e32 v118, v128, v118
	v_dual_fmamk_f32 v116, v116, 0xb102e308, v129 :: v_dual_add_f32 v117, v117, v118
	s_delay_alu instid0(VALU_DEP_1) | instskip(NEXT) | instid1(VALU_DEP_1)
	v_add_f32_e32 v118, v130, v116
	v_sub_f32_e32 v130, v118, v130
	s_delay_alu instid0(VALU_DEP_1) | instskip(NEXT) | instid1(VALU_DEP_4)
	v_sub_f32_e32 v116, v116, v130
	v_add_f32_e32 v128, v119, v117
	s_delay_alu instid0(VALU_DEP_1) | instskip(NEXT) | instid1(VALU_DEP_1)
	v_sub_f32_e32 v119, v128, v119
	v_sub_f32_e32 v117, v117, v119
	v_add_f32_e32 v129, v118, v128
	s_delay_alu instid0(VALU_DEP_1) | instskip(NEXT) | instid1(VALU_DEP_1)
	v_sub_f32_e32 v131, v129, v118
	v_sub_f32_e32 v119, v128, v131
	s_delay_alu instid0(VALU_DEP_4) | instskip(SKIP_1) | instid1(VALU_DEP_1)
	v_add_f32_e32 v128, v116, v117
	v_sub_f32_e32 v132, v129, v131
	v_sub_f32_e32 v118, v118, v132
	s_delay_alu instid0(VALU_DEP_1) | instskip(NEXT) | instid1(VALU_DEP_1)
	v_dual_add_f32 v118, v119, v118 :: v_dual_sub_f32 v119, v128, v116
	v_dual_add_f32 v118, v128, v118 :: v_dual_sub_f32 v117, v117, v119
	v_sub_f32_e32 v128, v128, v119
	s_delay_alu instid0(VALU_DEP_2) | instskip(NEXT) | instid1(VALU_DEP_1)
	v_add_f32_e32 v130, v129, v118
	v_dual_sub_f32 v116, v116, v128 :: v_dual_sub_f32 v119, v130, v129
	s_delay_alu instid0(VALU_DEP_1) | instskip(NEXT) | instid1(VALU_DEP_1)
	v_dual_add_f32 v116, v117, v116 :: v_dual_sub_f32 v117, v118, v119
	v_add_f32_e32 v116, v116, v117
	s_delay_alu instid0(VALU_DEP_1) | instskip(NEXT) | instid1(VALU_DEP_1)
	v_add_f32_e32 v116, v130, v116
	v_cndmask_b32_e32 v31, v116, v31, vcc_lo
	s_delay_alu instid0(VALU_DEP_1) | instskip(NEXT) | instid1(VALU_DEP_1)
	v_add_f32_e32 v30, v30, v31
	v_cvt_f16_f32_e32 v31, v30
.LBB430_133:
	s_or_b32 exec_lo, exec_lo, s27
	s_delay_alu instid0(VALU_DEP_1)
	v_dual_mov_b32 v133, v31 :: v_dual_and_b32 v30, 0xffff, v31
.LBB430_134:
	s_or_b32 exec_lo, exec_lo, s26
	v_cmp_gt_u32_e32 vcc_lo, 30, v112
	v_add_nc_u32_e32 v117, 2, v112
	s_mov_b32 s26, exec_lo
	s_waitcnt lgkmcnt(0)
	v_cndmask_b32_e64 v31, 0, 1, vcc_lo
	s_delay_alu instid0(VALU_DEP_1) | instskip(NEXT) | instid1(VALU_DEP_1)
	v_lshlrev_b32_e32 v31, 1, v31
	v_add_lshl_u32 v116, v31, v112, 2
	ds_bpermute_b32 v31, v116, v30
	v_cmpx_le_u32_e64 v117, v29
	s_cbranch_execz .LBB430_138
; %bb.135:
	s_waitcnt lgkmcnt(0)
	v_cvt_f32_f16_e32 v30, v31
	v_cvt_f32_f16_e64 v119, v133
	v_cmp_u_f16_e32 vcc_lo, v31, v31
	s_delay_alu instid0(VALU_DEP_2) | instskip(SKIP_1) | instid1(VALU_DEP_2)
	v_min_f32_e32 v118, v30, v119
	v_max_f32_e32 v128, v30, v119
	v_cndmask_b32_e32 v118, v118, v30, vcc_lo
	s_delay_alu instid0(VALU_DEP_2) | instskip(SKIP_1) | instid1(VALU_DEP_3)
	v_cndmask_b32_e32 v30, v128, v30, vcc_lo
	v_cmp_u_f16_e64 vcc_lo, v133, v133
	v_cndmask_b32_e32 v118, v118, v119, vcc_lo
	s_delay_alu instid0(VALU_DEP_3) | instskip(NEXT) | instid1(VALU_DEP_2)
	v_cndmask_b32_e32 v30, v30, v119, vcc_lo
	v_cmp_class_f32_e64 s27, v118, 0x1f8
	s_delay_alu instid0(VALU_DEP_2) | instskip(NEXT) | instid1(VALU_DEP_2)
	v_cmp_neq_f32_e32 vcc_lo, v118, v30
	s_or_b32 vcc_lo, vcc_lo, s27
	s_delay_alu instid0(SALU_CYCLE_1)
	s_and_saveexec_b32 s27, vcc_lo
	s_cbranch_execz .LBB430_137
; %bb.136:
	v_sub_f32_e32 v31, v118, v30
	s_mov_b32 s30, 0x3e9b6dac
	s_delay_alu instid0(VALU_DEP_1) | instskip(SKIP_1) | instid1(VALU_DEP_2)
	v_mul_f32_e32 v118, 0x3fb8aa3b, v31
	v_cmp_ngt_f32_e32 vcc_lo, 0xc2ce8ed0, v31
	v_fma_f32 v119, 0x3fb8aa3b, v31, -v118
	v_rndne_f32_e32 v128, v118
	s_delay_alu instid0(VALU_DEP_1) | instskip(NEXT) | instid1(VALU_DEP_1)
	v_dual_fmamk_f32 v119, v31, 0x32a5705f, v119 :: v_dual_sub_f32 v118, v118, v128
	v_add_f32_e32 v118, v118, v119
	v_cvt_i32_f32_e32 v119, v128
	s_delay_alu instid0(VALU_DEP_2) | instskip(SKIP_2) | instid1(VALU_DEP_1)
	v_exp_f32_e32 v118, v118
	s_waitcnt_depctr 0xfff
	v_ldexp_f32 v118, v118, v119
	v_cndmask_b32_e32 v118, 0, v118, vcc_lo
	v_cmp_nlt_f32_e32 vcc_lo, 0x42b17218, v31
	s_delay_alu instid0(VALU_DEP_2) | instskip(NEXT) | instid1(VALU_DEP_1)
	v_cndmask_b32_e32 v31, 0x7f800000, v118, vcc_lo
	v_add_f32_e32 v128, 1.0, v31
	s_delay_alu instid0(VALU_DEP_1) | instskip(NEXT) | instid1(VALU_DEP_1)
	v_cvt_f64_f32_e32 v[118:119], v128
	v_frexp_exp_i32_f64_e32 v118, v[118:119]
	v_frexp_mant_f32_e32 v119, v128
	s_delay_alu instid0(VALU_DEP_1) | instskip(SKIP_1) | instid1(VALU_DEP_1)
	v_cmp_gt_f32_e32 vcc_lo, 0x3f2aaaab, v119
	v_add_f32_e32 v119, -1.0, v128
	v_sub_f32_e32 v130, v119, v128
	s_delay_alu instid0(VALU_DEP_1) | instskip(NEXT) | instid1(VALU_DEP_1)
	v_dual_sub_f32 v119, v31, v119 :: v_dual_add_f32 v130, 1.0, v130
	v_add_f32_e32 v119, v119, v130
	v_subrev_co_ci_u32_e32 v118, vcc_lo, 0, v118, vcc_lo
	s_delay_alu instid0(VALU_DEP_1) | instskip(SKIP_1) | instid1(VALU_DEP_2)
	v_sub_nc_u32_e32 v129, 0, v118
	v_cvt_f32_i32_e32 v118, v118
	v_ldexp_f32 v128, v128, v129
	v_ldexp_f32 v119, v119, v129
	s_delay_alu instid0(VALU_DEP_2) | instskip(NEXT) | instid1(VALU_DEP_1)
	v_add_f32_e32 v129, -1.0, v128
	v_dual_add_f32 v131, 1.0, v128 :: v_dual_add_f32 v132, 1.0, v129
	s_delay_alu instid0(VALU_DEP_1) | instskip(SKIP_2) | instid1(VALU_DEP_3)
	v_add_f32_e32 v130, -1.0, v131
	v_cmp_eq_f32_e32 vcc_lo, 0x7f800000, v31
	v_cmp_gt_f32_e64 vcc_hi, 0x33800000, |v31|
	v_sub_f32_e32 v130, v128, v130
	v_sub_f32_e32 v128, v128, v132
	s_delay_alu instid0(VALU_DEP_3) | instskip(NEXT) | instid1(VALU_DEP_2)
	s_or_b32 vcc_lo, vcc_lo, vcc_hi
	v_add_f32_e32 v130, v119, v130
	s_delay_alu instid0(VALU_DEP_2) | instskip(NEXT) | instid1(VALU_DEP_1)
	v_add_f32_e32 v119, v119, v128
	v_dual_add_f32 v133, v129, v119 :: v_dual_add_f32 v132, v131, v130
	s_delay_alu instid0(VALU_DEP_1) | instskip(NEXT) | instid1(VALU_DEP_2)
	v_sub_f32_e32 v129, v129, v133
	v_rcp_f32_e32 v128, v132
	v_sub_f32_e32 v131, v131, v132
	s_delay_alu instid0(VALU_DEP_1) | instskip(SKIP_2) | instid1(VALU_DEP_1)
	v_dual_add_f32 v119, v119, v129 :: v_dual_add_f32 v130, v130, v131
	s_waitcnt_depctr 0xfff
	v_mul_f32_e32 v134, v133, v128
	v_mul_f32_e32 v135, v132, v134
	s_delay_alu instid0(VALU_DEP_1) | instskip(NEXT) | instid1(VALU_DEP_1)
	v_fma_f32 v131, v134, v132, -v135
	v_fmac_f32_e32 v131, v134, v130
	s_delay_alu instid0(VALU_DEP_1) | instskip(NEXT) | instid1(VALU_DEP_1)
	v_add_f32_e32 v144, v135, v131
	v_sub_f32_e32 v145, v133, v144
	s_delay_alu instid0(VALU_DEP_1) | instskip(SKIP_1) | instid1(VALU_DEP_2)
	v_sub_f32_e32 v133, v133, v145
	v_sub_f32_e32 v129, v144, v135
	;; [unrolled: 1-line block ×3, first 2 shown]
	s_delay_alu instid0(VALU_DEP_2) | instskip(NEXT) | instid1(VALU_DEP_2)
	v_sub_f32_e32 v129, v129, v131
	v_add_f32_e32 v119, v119, v133
	s_delay_alu instid0(VALU_DEP_1) | instskip(NEXT) | instid1(VALU_DEP_1)
	v_add_f32_e32 v119, v129, v119
	v_add_f32_e32 v129, v145, v119
	s_delay_alu instid0(VALU_DEP_1) | instskip(NEXT) | instid1(VALU_DEP_1)
	v_mul_f32_e32 v131, v128, v129
	v_dual_sub_f32 v144, v145, v129 :: v_dual_mul_f32 v133, v132, v131
	s_delay_alu instid0(VALU_DEP_1) | instskip(NEXT) | instid1(VALU_DEP_2)
	v_add_f32_e32 v119, v119, v144
	v_fma_f32 v132, v131, v132, -v133
	s_delay_alu instid0(VALU_DEP_1) | instskip(NEXT) | instid1(VALU_DEP_1)
	v_fmac_f32_e32 v132, v131, v130
	v_add_f32_e32 v130, v133, v132
	s_delay_alu instid0(VALU_DEP_1) | instskip(SKIP_1) | instid1(VALU_DEP_2)
	v_sub_f32_e32 v135, v129, v130
	v_sub_f32_e32 v133, v130, v133
	v_sub_f32_e32 v129, v129, v135
	s_delay_alu instid0(VALU_DEP_1) | instskip(NEXT) | instid1(VALU_DEP_1)
	v_sub_f32_e32 v129, v129, v130
	v_dual_sub_f32 v130, v133, v132 :: v_dual_add_f32 v119, v119, v129
	v_add_f32_e32 v129, v134, v131
	s_delay_alu instid0(VALU_DEP_1) | instskip(NEXT) | instid1(VALU_DEP_1)
	v_dual_add_f32 v119, v130, v119 :: v_dual_sub_f32 v130, v129, v134
	v_add_f32_e32 v119, v135, v119
	s_delay_alu instid0(VALU_DEP_1) | instskip(NEXT) | instid1(VALU_DEP_1)
	v_dual_sub_f32 v130, v131, v130 :: v_dual_mul_f32 v119, v128, v119
	v_add_f32_e32 v119, v130, v119
	s_delay_alu instid0(VALU_DEP_1) | instskip(NEXT) | instid1(VALU_DEP_1)
	v_add_f32_e32 v128, v129, v119
	v_mul_f32_e32 v130, v128, v128
	s_delay_alu instid0(VALU_DEP_1) | instskip(SKIP_1) | instid1(VALU_DEP_2)
	v_fmaak_f32 v131, s30, v130, 0x3ecc95a3
	v_mul_f32_e32 v132, v128, v130
	v_fmaak_f32 v130, v130, v131, 0x3f2aaada
	v_ldexp_f32 v131, v128, 1
	v_sub_f32_e32 v128, v128, v129
	s_delay_alu instid0(VALU_DEP_3) | instskip(NEXT) | instid1(VALU_DEP_2)
	v_mul_f32_e32 v130, v132, v130
	v_dual_mul_f32 v132, 0x3f317218, v118 :: v_dual_sub_f32 v119, v119, v128
	s_delay_alu instid0(VALU_DEP_2) | instskip(NEXT) | instid1(VALU_DEP_2)
	v_add_f32_e32 v129, v131, v130
	v_ldexp_f32 v119, v119, 1
	s_delay_alu instid0(VALU_DEP_2) | instskip(NEXT) | instid1(VALU_DEP_4)
	v_sub_f32_e32 v128, v129, v131
	v_fma_f32 v131, 0x3f317218, v118, -v132
	s_delay_alu instid0(VALU_DEP_2) | instskip(NEXT) | instid1(VALU_DEP_1)
	v_sub_f32_e32 v128, v130, v128
	v_dual_fmamk_f32 v118, v118, 0xb102e308, v131 :: v_dual_add_f32 v119, v119, v128
	s_delay_alu instid0(VALU_DEP_1) | instskip(NEXT) | instid1(VALU_DEP_1)
	v_add_f32_e32 v128, v132, v118
	v_sub_f32_e32 v132, v128, v132
	s_delay_alu instid0(VALU_DEP_1) | instskip(NEXT) | instid1(VALU_DEP_4)
	v_sub_f32_e32 v118, v118, v132
	v_add_f32_e32 v130, v129, v119
	s_delay_alu instid0(VALU_DEP_1) | instskip(NEXT) | instid1(VALU_DEP_1)
	v_sub_f32_e32 v129, v130, v129
	v_sub_f32_e32 v119, v119, v129
	v_add_f32_e32 v131, v128, v130
	s_delay_alu instid0(VALU_DEP_1) | instskip(NEXT) | instid1(VALU_DEP_1)
	v_sub_f32_e32 v133, v131, v128
	v_sub_f32_e32 v129, v130, v133
	s_delay_alu instid0(VALU_DEP_4) | instskip(SKIP_1) | instid1(VALU_DEP_1)
	v_add_f32_e32 v130, v118, v119
	v_sub_f32_e32 v134, v131, v133
	v_sub_f32_e32 v128, v128, v134
	s_delay_alu instid0(VALU_DEP_1) | instskip(NEXT) | instid1(VALU_DEP_1)
	v_dual_add_f32 v128, v129, v128 :: v_dual_sub_f32 v129, v130, v118
	v_dual_add_f32 v128, v130, v128 :: v_dual_sub_f32 v119, v119, v129
	v_sub_f32_e32 v130, v130, v129
	s_delay_alu instid0(VALU_DEP_2) | instskip(NEXT) | instid1(VALU_DEP_1)
	v_add_f32_e32 v132, v131, v128
	v_dual_sub_f32 v118, v118, v130 :: v_dual_sub_f32 v129, v132, v131
	s_delay_alu instid0(VALU_DEP_1) | instskip(NEXT) | instid1(VALU_DEP_1)
	v_dual_add_f32 v118, v119, v118 :: v_dual_sub_f32 v119, v128, v129
	v_add_f32_e32 v118, v118, v119
	s_delay_alu instid0(VALU_DEP_1) | instskip(NEXT) | instid1(VALU_DEP_1)
	v_add_f32_e32 v118, v132, v118
	v_cndmask_b32_e32 v31, v118, v31, vcc_lo
	s_delay_alu instid0(VALU_DEP_1) | instskip(NEXT) | instid1(VALU_DEP_1)
	v_add_f32_e32 v30, v30, v31
	v_cvt_f16_f32_e32 v31, v30
.LBB430_137:
	s_or_b32 exec_lo, exec_lo, s27
	s_delay_alu instid0(VALU_DEP_1)
	v_dual_mov_b32 v133, v31 :: v_dual_and_b32 v30, 0xffff, v31
.LBB430_138:
	s_or_b32 exec_lo, exec_lo, s26
	v_cmp_gt_u32_e32 vcc_lo, 28, v112
	v_add_nc_u32_e32 v119, 4, v112
	s_mov_b32 s26, exec_lo
	s_waitcnt lgkmcnt(0)
	v_cndmask_b32_e64 v31, 0, 1, vcc_lo
	s_delay_alu instid0(VALU_DEP_1) | instskip(NEXT) | instid1(VALU_DEP_1)
	v_lshlrev_b32_e32 v31, 2, v31
	v_add_lshl_u32 v118, v31, v112, 2
	ds_bpermute_b32 v31, v118, v30
	v_cmpx_le_u32_e64 v119, v29
	s_cbranch_execz .LBB430_142
; %bb.139:
	s_waitcnt lgkmcnt(0)
	v_cvt_f32_f16_e32 v30, v31
	v_cvt_f32_f16_e64 v129, v133
	v_cmp_u_f16_e32 vcc_lo, v31, v31
	s_delay_alu instid0(VALU_DEP_2) | instskip(SKIP_1) | instid1(VALU_DEP_2)
	v_min_f32_e32 v128, v30, v129
	v_max_f32_e32 v130, v30, v129
	v_cndmask_b32_e32 v128, v128, v30, vcc_lo
	s_delay_alu instid0(VALU_DEP_2) | instskip(SKIP_1) | instid1(VALU_DEP_3)
	v_cndmask_b32_e32 v30, v130, v30, vcc_lo
	v_cmp_u_f16_e64 vcc_lo, v133, v133
	v_cndmask_b32_e32 v128, v128, v129, vcc_lo
	s_delay_alu instid0(VALU_DEP_3) | instskip(NEXT) | instid1(VALU_DEP_2)
	v_cndmask_b32_e32 v30, v30, v129, vcc_lo
	v_cmp_class_f32_e64 s27, v128, 0x1f8
	s_delay_alu instid0(VALU_DEP_2) | instskip(NEXT) | instid1(VALU_DEP_2)
	v_cmp_neq_f32_e32 vcc_lo, v128, v30
	s_or_b32 vcc_lo, vcc_lo, s27
	s_delay_alu instid0(SALU_CYCLE_1)
	s_and_saveexec_b32 s27, vcc_lo
	s_cbranch_execz .LBB430_141
; %bb.140:
	v_sub_f32_e32 v31, v128, v30
	s_mov_b32 s30, 0x3e9b6dac
	s_delay_alu instid0(VALU_DEP_1) | instskip(SKIP_1) | instid1(VALU_DEP_2)
	v_mul_f32_e32 v128, 0x3fb8aa3b, v31
	v_cmp_ngt_f32_e32 vcc_lo, 0xc2ce8ed0, v31
	v_fma_f32 v129, 0x3fb8aa3b, v31, -v128
	v_rndne_f32_e32 v130, v128
	s_delay_alu instid0(VALU_DEP_1) | instskip(NEXT) | instid1(VALU_DEP_1)
	v_dual_fmamk_f32 v129, v31, 0x32a5705f, v129 :: v_dual_sub_f32 v128, v128, v130
	v_add_f32_e32 v128, v128, v129
	v_cvt_i32_f32_e32 v129, v130
	s_delay_alu instid0(VALU_DEP_2) | instskip(SKIP_2) | instid1(VALU_DEP_1)
	v_exp_f32_e32 v128, v128
	s_waitcnt_depctr 0xfff
	v_ldexp_f32 v128, v128, v129
	v_cndmask_b32_e32 v128, 0, v128, vcc_lo
	v_cmp_nlt_f32_e32 vcc_lo, 0x42b17218, v31
	s_delay_alu instid0(VALU_DEP_2) | instskip(NEXT) | instid1(VALU_DEP_1)
	v_cndmask_b32_e32 v31, 0x7f800000, v128, vcc_lo
	v_add_f32_e32 v130, 1.0, v31
	s_delay_alu instid0(VALU_DEP_1) | instskip(NEXT) | instid1(VALU_DEP_1)
	v_cvt_f64_f32_e32 v[128:129], v130
	v_frexp_exp_i32_f64_e32 v128, v[128:129]
	v_frexp_mant_f32_e32 v129, v130
	s_delay_alu instid0(VALU_DEP_1) | instskip(SKIP_1) | instid1(VALU_DEP_1)
	v_cmp_gt_f32_e32 vcc_lo, 0x3f2aaaab, v129
	v_add_f32_e32 v129, -1.0, v130
	v_dual_sub_f32 v132, v129, v130 :: v_dual_sub_f32 v129, v31, v129
	v_subrev_co_ci_u32_e32 v128, vcc_lo, 0, v128, vcc_lo
	v_cmp_eq_f32_e32 vcc_lo, 0x7f800000, v31
	v_cmp_gt_f32_e64 vcc_hi, 0x33800000, |v31|
	s_delay_alu instid0(VALU_DEP_3) | instskip(SKIP_1) | instid1(VALU_DEP_3)
	v_sub_nc_u32_e32 v131, 0, v128
	v_cvt_f32_i32_e32 v128, v128
	s_or_b32 vcc_lo, vcc_lo, vcc_hi
	s_delay_alu instid0(VALU_DEP_2) | instskip(NEXT) | instid1(VALU_DEP_1)
	v_ldexp_f32 v130, v130, v131
	v_dual_add_f32 v132, 1.0, v132 :: v_dual_add_f32 v133, 1.0, v130
	s_delay_alu instid0(VALU_DEP_1) | instskip(NEXT) | instid1(VALU_DEP_1)
	v_dual_add_f32 v129, v129, v132 :: v_dual_add_f32 v132, -1.0, v133
	v_ldexp_f32 v129, v129, v131
	s_delay_alu instid0(VALU_DEP_2) | instskip(NEXT) | instid1(VALU_DEP_1)
	v_dual_add_f32 v131, -1.0, v130 :: v_dual_sub_f32 v132, v130, v132
	v_add_f32_e32 v134, 1.0, v131
	s_delay_alu instid0(VALU_DEP_2) | instskip(NEXT) | instid1(VALU_DEP_2)
	v_add_f32_e32 v132, v129, v132
	v_sub_f32_e32 v130, v130, v134
	s_delay_alu instid0(VALU_DEP_1) | instskip(NEXT) | instid1(VALU_DEP_1)
	v_add_f32_e32 v129, v129, v130
	v_dual_add_f32 v135, v131, v129 :: v_dual_add_f32 v134, v133, v132
	s_delay_alu instid0(VALU_DEP_1) | instskip(NEXT) | instid1(VALU_DEP_2)
	v_sub_f32_e32 v131, v131, v135
	v_rcp_f32_e32 v130, v134
	v_sub_f32_e32 v133, v133, v134
	s_delay_alu instid0(VALU_DEP_1) | instskip(SKIP_2) | instid1(VALU_DEP_1)
	v_dual_add_f32 v129, v129, v131 :: v_dual_add_f32 v132, v132, v133
	s_waitcnt_depctr 0xfff
	v_mul_f32_e32 v144, v135, v130
	v_mul_f32_e32 v145, v134, v144
	s_delay_alu instid0(VALU_DEP_1) | instskip(NEXT) | instid1(VALU_DEP_1)
	v_fma_f32 v133, v144, v134, -v145
	v_fmac_f32_e32 v133, v144, v132
	s_delay_alu instid0(VALU_DEP_1) | instskip(NEXT) | instid1(VALU_DEP_1)
	v_add_f32_e32 v146, v145, v133
	v_sub_f32_e32 v147, v135, v146
	s_delay_alu instid0(VALU_DEP_1) | instskip(SKIP_1) | instid1(VALU_DEP_2)
	v_sub_f32_e32 v135, v135, v147
	v_sub_f32_e32 v131, v146, v145
	;; [unrolled: 1-line block ×3, first 2 shown]
	s_delay_alu instid0(VALU_DEP_2) | instskip(NEXT) | instid1(VALU_DEP_2)
	v_sub_f32_e32 v131, v131, v133
	v_add_f32_e32 v129, v129, v135
	s_delay_alu instid0(VALU_DEP_1) | instskip(NEXT) | instid1(VALU_DEP_1)
	v_add_f32_e32 v129, v131, v129
	v_add_f32_e32 v131, v147, v129
	s_delay_alu instid0(VALU_DEP_1) | instskip(NEXT) | instid1(VALU_DEP_1)
	v_mul_f32_e32 v133, v130, v131
	v_dual_sub_f32 v146, v147, v131 :: v_dual_mul_f32 v135, v134, v133
	s_delay_alu instid0(VALU_DEP_1) | instskip(NEXT) | instid1(VALU_DEP_2)
	v_add_f32_e32 v129, v129, v146
	v_fma_f32 v134, v133, v134, -v135
	s_delay_alu instid0(VALU_DEP_1) | instskip(NEXT) | instid1(VALU_DEP_1)
	v_fmac_f32_e32 v134, v133, v132
	v_add_f32_e32 v132, v135, v134
	s_delay_alu instid0(VALU_DEP_1) | instskip(SKIP_1) | instid1(VALU_DEP_2)
	v_sub_f32_e32 v145, v131, v132
	v_sub_f32_e32 v135, v132, v135
	;; [unrolled: 1-line block ×3, first 2 shown]
	s_delay_alu instid0(VALU_DEP_1) | instskip(NEXT) | instid1(VALU_DEP_1)
	v_sub_f32_e32 v131, v131, v132
	v_dual_sub_f32 v132, v135, v134 :: v_dual_add_f32 v129, v129, v131
	v_add_f32_e32 v131, v144, v133
	s_delay_alu instid0(VALU_DEP_1) | instskip(NEXT) | instid1(VALU_DEP_1)
	v_dual_add_f32 v129, v132, v129 :: v_dual_sub_f32 v132, v131, v144
	v_add_f32_e32 v129, v145, v129
	s_delay_alu instid0(VALU_DEP_1) | instskip(NEXT) | instid1(VALU_DEP_1)
	v_dual_sub_f32 v132, v133, v132 :: v_dual_mul_f32 v129, v130, v129
	v_add_f32_e32 v129, v132, v129
	s_delay_alu instid0(VALU_DEP_1) | instskip(NEXT) | instid1(VALU_DEP_1)
	v_add_f32_e32 v130, v131, v129
	v_mul_f32_e32 v132, v130, v130
	s_delay_alu instid0(VALU_DEP_1) | instskip(SKIP_1) | instid1(VALU_DEP_2)
	v_fmaak_f32 v133, s30, v132, 0x3ecc95a3
	v_mul_f32_e32 v134, v130, v132
	v_fmaak_f32 v132, v132, v133, 0x3f2aaada
	v_ldexp_f32 v133, v130, 1
	v_sub_f32_e32 v130, v130, v131
	s_delay_alu instid0(VALU_DEP_3) | instskip(NEXT) | instid1(VALU_DEP_2)
	v_mul_f32_e32 v132, v134, v132
	v_dual_mul_f32 v134, 0x3f317218, v128 :: v_dual_sub_f32 v129, v129, v130
	s_delay_alu instid0(VALU_DEP_2) | instskip(NEXT) | instid1(VALU_DEP_2)
	v_add_f32_e32 v131, v133, v132
	v_ldexp_f32 v129, v129, 1
	s_delay_alu instid0(VALU_DEP_2) | instskip(NEXT) | instid1(VALU_DEP_4)
	v_sub_f32_e32 v130, v131, v133
	v_fma_f32 v133, 0x3f317218, v128, -v134
	s_delay_alu instid0(VALU_DEP_2) | instskip(NEXT) | instid1(VALU_DEP_1)
	v_sub_f32_e32 v130, v132, v130
	v_dual_fmamk_f32 v128, v128, 0xb102e308, v133 :: v_dual_add_f32 v129, v129, v130
	s_delay_alu instid0(VALU_DEP_1) | instskip(NEXT) | instid1(VALU_DEP_1)
	v_add_f32_e32 v130, v134, v128
	v_sub_f32_e32 v134, v130, v134
	s_delay_alu instid0(VALU_DEP_1) | instskip(NEXT) | instid1(VALU_DEP_4)
	v_sub_f32_e32 v128, v128, v134
	v_add_f32_e32 v132, v131, v129
	s_delay_alu instid0(VALU_DEP_1) | instskip(NEXT) | instid1(VALU_DEP_1)
	v_sub_f32_e32 v131, v132, v131
	v_sub_f32_e32 v129, v129, v131
	v_add_f32_e32 v133, v130, v132
	s_delay_alu instid0(VALU_DEP_1) | instskip(NEXT) | instid1(VALU_DEP_1)
	v_sub_f32_e32 v135, v133, v130
	v_sub_f32_e32 v131, v132, v135
	s_delay_alu instid0(VALU_DEP_4) | instskip(SKIP_1) | instid1(VALU_DEP_1)
	v_add_f32_e32 v132, v128, v129
	v_sub_f32_e32 v144, v133, v135
	v_sub_f32_e32 v130, v130, v144
	s_delay_alu instid0(VALU_DEP_1) | instskip(NEXT) | instid1(VALU_DEP_1)
	v_dual_add_f32 v130, v131, v130 :: v_dual_sub_f32 v131, v132, v128
	v_dual_add_f32 v130, v132, v130 :: v_dual_sub_f32 v129, v129, v131
	v_sub_f32_e32 v132, v132, v131
	s_delay_alu instid0(VALU_DEP_2) | instskip(NEXT) | instid1(VALU_DEP_1)
	v_add_f32_e32 v134, v133, v130
	v_dual_sub_f32 v128, v128, v132 :: v_dual_sub_f32 v131, v134, v133
	s_delay_alu instid0(VALU_DEP_1) | instskip(NEXT) | instid1(VALU_DEP_1)
	v_dual_add_f32 v128, v129, v128 :: v_dual_sub_f32 v129, v130, v131
	v_add_f32_e32 v128, v128, v129
	s_delay_alu instid0(VALU_DEP_1) | instskip(NEXT) | instid1(VALU_DEP_1)
	v_add_f32_e32 v128, v134, v128
	v_cndmask_b32_e32 v31, v128, v31, vcc_lo
	s_delay_alu instid0(VALU_DEP_1) | instskip(NEXT) | instid1(VALU_DEP_1)
	v_add_f32_e32 v30, v30, v31
	v_cvt_f16_f32_e32 v31, v30
.LBB430_141:
	s_or_b32 exec_lo, exec_lo, s27
	s_delay_alu instid0(VALU_DEP_1)
	v_dual_mov_b32 v133, v31 :: v_dual_and_b32 v30, 0xffff, v31
.LBB430_142:
	s_or_b32 exec_lo, exec_lo, s26
	v_cmp_gt_u32_e32 vcc_lo, 24, v112
	v_add_nc_u32_e32 v129, 8, v112
	s_mov_b32 s26, exec_lo
	s_waitcnt lgkmcnt(0)
	v_cndmask_b32_e64 v31, 0, 1, vcc_lo
	s_delay_alu instid0(VALU_DEP_1) | instskip(NEXT) | instid1(VALU_DEP_1)
	v_lshlrev_b32_e32 v31, 3, v31
	v_add_lshl_u32 v128, v31, v112, 2
	ds_bpermute_b32 v31, v128, v30
	v_cmpx_le_u32_e64 v129, v29
	s_cbranch_execz .LBB430_146
; %bb.143:
	s_waitcnt lgkmcnt(0)
	v_cvt_f32_f16_e32 v30, v31
	v_cvt_f32_f16_e64 v131, v133
	v_cmp_u_f16_e32 vcc_lo, v31, v31
	s_delay_alu instid0(VALU_DEP_2) | instskip(SKIP_1) | instid1(VALU_DEP_2)
	v_min_f32_e32 v130, v30, v131
	v_max_f32_e32 v132, v30, v131
	v_cndmask_b32_e32 v130, v130, v30, vcc_lo
	s_delay_alu instid0(VALU_DEP_2) | instskip(SKIP_1) | instid1(VALU_DEP_3)
	v_cndmask_b32_e32 v30, v132, v30, vcc_lo
	v_cmp_u_f16_e64 vcc_lo, v133, v133
	v_cndmask_b32_e32 v130, v130, v131, vcc_lo
	s_delay_alu instid0(VALU_DEP_3) | instskip(NEXT) | instid1(VALU_DEP_2)
	v_cndmask_b32_e32 v30, v30, v131, vcc_lo
	v_cmp_class_f32_e64 s27, v130, 0x1f8
	s_delay_alu instid0(VALU_DEP_2) | instskip(NEXT) | instid1(VALU_DEP_2)
	v_cmp_neq_f32_e32 vcc_lo, v130, v30
	s_or_b32 vcc_lo, vcc_lo, s27
	s_delay_alu instid0(SALU_CYCLE_1)
	s_and_saveexec_b32 s27, vcc_lo
	s_cbranch_execz .LBB430_145
; %bb.144:
	v_sub_f32_e32 v31, v130, v30
	s_mov_b32 s30, 0x3e9b6dac
	s_delay_alu instid0(VALU_DEP_1) | instskip(SKIP_1) | instid1(VALU_DEP_2)
	v_mul_f32_e32 v130, 0x3fb8aa3b, v31
	v_cmp_ngt_f32_e32 vcc_lo, 0xc2ce8ed0, v31
	v_fma_f32 v131, 0x3fb8aa3b, v31, -v130
	v_rndne_f32_e32 v132, v130
	s_delay_alu instid0(VALU_DEP_1) | instskip(NEXT) | instid1(VALU_DEP_1)
	v_dual_fmamk_f32 v131, v31, 0x32a5705f, v131 :: v_dual_sub_f32 v130, v130, v132
	v_add_f32_e32 v130, v130, v131
	v_cvt_i32_f32_e32 v131, v132
	s_delay_alu instid0(VALU_DEP_2) | instskip(SKIP_2) | instid1(VALU_DEP_1)
	v_exp_f32_e32 v130, v130
	s_waitcnt_depctr 0xfff
	v_ldexp_f32 v130, v130, v131
	v_cndmask_b32_e32 v130, 0, v130, vcc_lo
	v_cmp_nlt_f32_e32 vcc_lo, 0x42b17218, v31
	s_delay_alu instid0(VALU_DEP_2) | instskip(NEXT) | instid1(VALU_DEP_1)
	v_cndmask_b32_e32 v31, 0x7f800000, v130, vcc_lo
	v_add_f32_e32 v132, 1.0, v31
	s_delay_alu instid0(VALU_DEP_1) | instskip(NEXT) | instid1(VALU_DEP_1)
	v_cvt_f64_f32_e32 v[130:131], v132
	v_frexp_exp_i32_f64_e32 v130, v[130:131]
	v_frexp_mant_f32_e32 v131, v132
	s_delay_alu instid0(VALU_DEP_1) | instskip(SKIP_1) | instid1(VALU_DEP_1)
	v_cmp_gt_f32_e32 vcc_lo, 0x3f2aaaab, v131
	v_add_f32_e32 v131, -1.0, v132
	v_sub_f32_e32 v134, v131, v132
	s_delay_alu instid0(VALU_DEP_1) | instskip(NEXT) | instid1(VALU_DEP_1)
	v_dual_sub_f32 v131, v31, v131 :: v_dual_add_f32 v134, 1.0, v134
	v_add_f32_e32 v131, v131, v134
	v_subrev_co_ci_u32_e32 v130, vcc_lo, 0, v130, vcc_lo
	s_delay_alu instid0(VALU_DEP_1) | instskip(SKIP_1) | instid1(VALU_DEP_2)
	v_sub_nc_u32_e32 v133, 0, v130
	v_cvt_f32_i32_e32 v130, v130
	v_ldexp_f32 v132, v132, v133
	v_ldexp_f32 v131, v131, v133
	s_delay_alu instid0(VALU_DEP_2) | instskip(NEXT) | instid1(VALU_DEP_1)
	v_add_f32_e32 v133, -1.0, v132
	v_dual_add_f32 v135, 1.0, v132 :: v_dual_add_f32 v144, 1.0, v133
	s_delay_alu instid0(VALU_DEP_1) | instskip(SKIP_2) | instid1(VALU_DEP_3)
	v_add_f32_e32 v134, -1.0, v135
	v_cmp_eq_f32_e32 vcc_lo, 0x7f800000, v31
	v_cmp_gt_f32_e64 vcc_hi, 0x33800000, |v31|
	v_sub_f32_e32 v134, v132, v134
	v_sub_f32_e32 v132, v132, v144
	s_delay_alu instid0(VALU_DEP_3) | instskip(NEXT) | instid1(VALU_DEP_2)
	s_or_b32 vcc_lo, vcc_lo, vcc_hi
	v_add_f32_e32 v134, v131, v134
	s_delay_alu instid0(VALU_DEP_2) | instskip(NEXT) | instid1(VALU_DEP_1)
	v_add_f32_e32 v131, v131, v132
	v_dual_add_f32 v145, v133, v131 :: v_dual_add_f32 v144, v135, v134
	s_delay_alu instid0(VALU_DEP_1) | instskip(NEXT) | instid1(VALU_DEP_2)
	v_sub_f32_e32 v133, v133, v145
	v_rcp_f32_e32 v132, v144
	v_sub_f32_e32 v135, v135, v144
	s_delay_alu instid0(VALU_DEP_1) | instskip(SKIP_2) | instid1(VALU_DEP_1)
	v_dual_add_f32 v131, v131, v133 :: v_dual_add_f32 v134, v134, v135
	s_waitcnt_depctr 0xfff
	v_mul_f32_e32 v146, v145, v132
	v_mul_f32_e32 v147, v144, v146
	s_delay_alu instid0(VALU_DEP_1) | instskip(NEXT) | instid1(VALU_DEP_1)
	v_fma_f32 v135, v146, v144, -v147
	v_fmac_f32_e32 v135, v146, v134
	s_delay_alu instid0(VALU_DEP_1) | instskip(NEXT) | instid1(VALU_DEP_1)
	v_add_f32_e32 v148, v147, v135
	v_sub_f32_e32 v149, v145, v148
	s_delay_alu instid0(VALU_DEP_1) | instskip(SKIP_1) | instid1(VALU_DEP_2)
	v_sub_f32_e32 v145, v145, v149
	v_sub_f32_e32 v133, v148, v147
	;; [unrolled: 1-line block ×3, first 2 shown]
	s_delay_alu instid0(VALU_DEP_2) | instskip(NEXT) | instid1(VALU_DEP_2)
	v_sub_f32_e32 v133, v133, v135
	v_add_f32_e32 v131, v131, v145
	s_delay_alu instid0(VALU_DEP_1) | instskip(NEXT) | instid1(VALU_DEP_1)
	v_add_f32_e32 v131, v133, v131
	v_add_f32_e32 v133, v149, v131
	s_delay_alu instid0(VALU_DEP_1) | instskip(NEXT) | instid1(VALU_DEP_1)
	v_mul_f32_e32 v135, v132, v133
	v_dual_sub_f32 v148, v149, v133 :: v_dual_mul_f32 v145, v144, v135
	s_delay_alu instid0(VALU_DEP_1) | instskip(NEXT) | instid1(VALU_DEP_2)
	v_add_f32_e32 v131, v131, v148
	v_fma_f32 v144, v135, v144, -v145
	s_delay_alu instid0(VALU_DEP_1) | instskip(NEXT) | instid1(VALU_DEP_1)
	v_fmac_f32_e32 v144, v135, v134
	v_add_f32_e32 v134, v145, v144
	s_delay_alu instid0(VALU_DEP_1) | instskip(SKIP_1) | instid1(VALU_DEP_2)
	v_sub_f32_e32 v147, v133, v134
	v_sub_f32_e32 v145, v134, v145
	;; [unrolled: 1-line block ×3, first 2 shown]
	s_delay_alu instid0(VALU_DEP_1) | instskip(NEXT) | instid1(VALU_DEP_1)
	v_sub_f32_e32 v133, v133, v134
	v_dual_sub_f32 v134, v145, v144 :: v_dual_add_f32 v131, v131, v133
	v_add_f32_e32 v133, v146, v135
	s_delay_alu instid0(VALU_DEP_1) | instskip(NEXT) | instid1(VALU_DEP_1)
	v_dual_add_f32 v131, v134, v131 :: v_dual_sub_f32 v134, v133, v146
	v_add_f32_e32 v131, v147, v131
	s_delay_alu instid0(VALU_DEP_1) | instskip(NEXT) | instid1(VALU_DEP_1)
	v_dual_sub_f32 v134, v135, v134 :: v_dual_mul_f32 v131, v132, v131
	v_add_f32_e32 v131, v134, v131
	s_delay_alu instid0(VALU_DEP_1) | instskip(NEXT) | instid1(VALU_DEP_1)
	v_add_f32_e32 v132, v133, v131
	v_mul_f32_e32 v134, v132, v132
	s_delay_alu instid0(VALU_DEP_1) | instskip(SKIP_1) | instid1(VALU_DEP_2)
	v_fmaak_f32 v135, s30, v134, 0x3ecc95a3
	v_mul_f32_e32 v144, v132, v134
	v_fmaak_f32 v134, v134, v135, 0x3f2aaada
	v_ldexp_f32 v135, v132, 1
	v_sub_f32_e32 v132, v132, v133
	s_delay_alu instid0(VALU_DEP_3) | instskip(NEXT) | instid1(VALU_DEP_2)
	v_mul_f32_e32 v134, v144, v134
	v_dual_mul_f32 v144, 0x3f317218, v130 :: v_dual_sub_f32 v131, v131, v132
	s_delay_alu instid0(VALU_DEP_2) | instskip(NEXT) | instid1(VALU_DEP_2)
	v_add_f32_e32 v133, v135, v134
	v_ldexp_f32 v131, v131, 1
	s_delay_alu instid0(VALU_DEP_2) | instskip(NEXT) | instid1(VALU_DEP_4)
	v_sub_f32_e32 v132, v133, v135
	v_fma_f32 v135, 0x3f317218, v130, -v144
	s_delay_alu instid0(VALU_DEP_2) | instskip(NEXT) | instid1(VALU_DEP_1)
	v_sub_f32_e32 v132, v134, v132
	v_dual_fmamk_f32 v130, v130, 0xb102e308, v135 :: v_dual_add_f32 v131, v131, v132
	s_delay_alu instid0(VALU_DEP_1) | instskip(NEXT) | instid1(VALU_DEP_1)
	v_add_f32_e32 v132, v144, v130
	v_sub_f32_e32 v144, v132, v144
	s_delay_alu instid0(VALU_DEP_1) | instskip(NEXT) | instid1(VALU_DEP_4)
	v_sub_f32_e32 v130, v130, v144
	v_add_f32_e32 v134, v133, v131
	s_delay_alu instid0(VALU_DEP_1) | instskip(NEXT) | instid1(VALU_DEP_1)
	v_sub_f32_e32 v133, v134, v133
	v_sub_f32_e32 v131, v131, v133
	v_add_f32_e32 v135, v132, v134
	s_delay_alu instid0(VALU_DEP_1) | instskip(NEXT) | instid1(VALU_DEP_1)
	v_sub_f32_e32 v145, v135, v132
	v_sub_f32_e32 v133, v134, v145
	s_delay_alu instid0(VALU_DEP_4) | instskip(SKIP_1) | instid1(VALU_DEP_1)
	v_add_f32_e32 v134, v130, v131
	v_sub_f32_e32 v146, v135, v145
	v_sub_f32_e32 v132, v132, v146
	s_delay_alu instid0(VALU_DEP_1) | instskip(NEXT) | instid1(VALU_DEP_1)
	v_dual_add_f32 v132, v133, v132 :: v_dual_sub_f32 v133, v134, v130
	v_dual_add_f32 v132, v134, v132 :: v_dual_sub_f32 v131, v131, v133
	v_sub_f32_e32 v134, v134, v133
	s_delay_alu instid0(VALU_DEP_2) | instskip(NEXT) | instid1(VALU_DEP_1)
	v_add_f32_e32 v144, v135, v132
	v_dual_sub_f32 v130, v130, v134 :: v_dual_sub_f32 v133, v144, v135
	s_delay_alu instid0(VALU_DEP_1) | instskip(NEXT) | instid1(VALU_DEP_1)
	v_dual_add_f32 v130, v131, v130 :: v_dual_sub_f32 v131, v132, v133
	v_add_f32_e32 v130, v130, v131
	s_delay_alu instid0(VALU_DEP_1) | instskip(NEXT) | instid1(VALU_DEP_1)
	v_add_f32_e32 v130, v144, v130
	v_cndmask_b32_e32 v31, v130, v31, vcc_lo
	s_delay_alu instid0(VALU_DEP_1) | instskip(NEXT) | instid1(VALU_DEP_1)
	v_add_f32_e32 v30, v30, v31
	v_cvt_f16_f32_e32 v31, v30
.LBB430_145:
	s_or_b32 exec_lo, exec_lo, s27
	s_delay_alu instid0(VALU_DEP_1)
	v_dual_mov_b32 v133, v31 :: v_dual_and_b32 v30, 0xffff, v31
.LBB430_146:
	s_or_b32 exec_lo, exec_lo, s26
	v_cmp_gt_u32_e32 vcc_lo, 16, v112
	v_add_nc_u32_e32 v132, 16, v112
	s_mov_b32 s26, exec_lo
	s_waitcnt lgkmcnt(0)
	v_cndmask_b32_e64 v31, 0, 1, vcc_lo
	s_delay_alu instid0(VALU_DEP_1) | instskip(NEXT) | instid1(VALU_DEP_1)
	v_lshlrev_b32_e32 v31, 4, v31
	v_add_lshl_u32 v131, v31, v112, 2
	ds_bpermute_b32 v30, v131, v30
	v_cmpx_le_u32_e64 v132, v29
	s_cbranch_execz .LBB430_150
; %bb.147:
	s_waitcnt lgkmcnt(0)
	v_cvt_f32_f16_e32 v29, v30
	v_cvt_f32_f16_e64 v130, v133
	v_cmp_u_f16_e32 vcc_lo, v30, v30
	s_delay_alu instid0(VALU_DEP_2) | instskip(NEXT) | instid1(VALU_DEP_1)
	v_min_f32_e32 v31, v29, v130
	v_dual_max_f32 v134, v29, v130 :: v_dual_cndmask_b32 v31, v31, v29
	s_delay_alu instid0(VALU_DEP_1) | instskip(SKIP_1) | instid1(VALU_DEP_3)
	v_cndmask_b32_e32 v29, v134, v29, vcc_lo
	v_cmp_u_f16_e64 vcc_lo, v133, v133
	v_cndmask_b32_e32 v31, v31, v130, vcc_lo
	s_delay_alu instid0(VALU_DEP_3) | instskip(NEXT) | instid1(VALU_DEP_2)
	v_cndmask_b32_e32 v29, v29, v130, vcc_lo
	v_cmp_class_f32_e64 s27, v31, 0x1f8
	s_delay_alu instid0(VALU_DEP_2) | instskip(NEXT) | instid1(VALU_DEP_2)
	v_cmp_neq_f32_e32 vcc_lo, v31, v29
	s_or_b32 vcc_lo, vcc_lo, s27
	s_delay_alu instid0(SALU_CYCLE_1)
	s_and_saveexec_b32 s27, vcc_lo
	s_cbranch_execz .LBB430_149
; %bb.148:
	v_sub_f32_e32 v30, v31, v29
	s_mov_b32 s30, 0x3e9b6dac
	s_delay_alu instid0(VALU_DEP_1) | instskip(SKIP_1) | instid1(VALU_DEP_2)
	v_mul_f32_e32 v31, 0x3fb8aa3b, v30
	v_cmp_ngt_f32_e32 vcc_lo, 0xc2ce8ed0, v30
	v_fma_f32 v130, 0x3fb8aa3b, v30, -v31
	v_rndne_f32_e32 v133, v31
	s_delay_alu instid0(VALU_DEP_1) | instskip(NEXT) | instid1(VALU_DEP_1)
	v_dual_fmamk_f32 v130, v30, 0x32a5705f, v130 :: v_dual_sub_f32 v31, v31, v133
	v_add_f32_e32 v31, v31, v130
	v_cvt_i32_f32_e32 v130, v133
	s_delay_alu instid0(VALU_DEP_2) | instskip(SKIP_2) | instid1(VALU_DEP_1)
	v_exp_f32_e32 v31, v31
	s_waitcnt_depctr 0xfff
	v_ldexp_f32 v31, v31, v130
	v_cndmask_b32_e32 v31, 0, v31, vcc_lo
	v_cmp_nlt_f32_e32 vcc_lo, 0x42b17218, v30
	s_delay_alu instid0(VALU_DEP_2) | instskip(NEXT) | instid1(VALU_DEP_1)
	v_cndmask_b32_e32 v130, 0x7f800000, v31, vcc_lo
	v_add_f32_e32 v133, 1.0, v130
	s_delay_alu instid0(VALU_DEP_1) | instskip(NEXT) | instid1(VALU_DEP_1)
	v_cvt_f64_f32_e32 v[30:31], v133
	v_frexp_exp_i32_f64_e32 v30, v[30:31]
	v_frexp_mant_f32_e32 v31, v133
	s_delay_alu instid0(VALU_DEP_1) | instskip(SKIP_1) | instid1(VALU_DEP_1)
	v_cmp_gt_f32_e32 vcc_lo, 0x3f2aaaab, v31
	v_add_f32_e32 v31, -1.0, v133
	v_sub_f32_e32 v135, v31, v133
	s_delay_alu instid0(VALU_DEP_1) | instskip(SKIP_3) | instid1(VALU_DEP_3)
	v_add_f32_e32 v135, 1.0, v135
	v_subrev_co_ci_u32_e32 v30, vcc_lo, 0, v30, vcc_lo
	v_cmp_eq_f32_e32 vcc_lo, 0x7f800000, v130
	v_cmp_gt_f32_e64 vcc_hi, 0x33800000, |v130|
	v_sub_nc_u32_e32 v134, 0, v30
	v_cvt_f32_i32_e32 v30, v30
	s_delay_alu instid0(VALU_DEP_3) | instskip(NEXT) | instid1(VALU_DEP_2)
	s_or_b32 vcc_lo, vcc_lo, vcc_hi
	v_ldexp_f32 v133, v133, v134
	s_delay_alu instid0(VALU_DEP_1) | instskip(NEXT) | instid1(VALU_DEP_1)
	v_dual_add_f32 v144, 1.0, v133 :: v_dual_sub_f32 v31, v130, v31
	v_add_f32_e32 v31, v31, v135
	s_delay_alu instid0(VALU_DEP_2) | instskip(NEXT) | instid1(VALU_DEP_2)
	v_add_f32_e32 v135, -1.0, v144
	v_ldexp_f32 v31, v31, v134
	s_delay_alu instid0(VALU_DEP_2) | instskip(NEXT) | instid1(VALU_DEP_1)
	v_dual_add_f32 v134, -1.0, v133 :: v_dual_sub_f32 v135, v133, v135
	v_add_f32_e32 v145, 1.0, v134
	s_delay_alu instid0(VALU_DEP_2) | instskip(NEXT) | instid1(VALU_DEP_2)
	v_add_f32_e32 v135, v31, v135
	v_sub_f32_e32 v133, v133, v145
	s_delay_alu instid0(VALU_DEP_2) | instskip(NEXT) | instid1(VALU_DEP_2)
	v_add_f32_e32 v145, v144, v135
	v_add_f32_e32 v31, v31, v133
	s_delay_alu instid0(VALU_DEP_2) | instskip(SKIP_1) | instid1(VALU_DEP_1)
	v_rcp_f32_e32 v133, v145
	v_sub_f32_e32 v144, v144, v145
	v_dual_add_f32 v146, v134, v31 :: v_dual_add_f32 v135, v135, v144
	s_delay_alu instid0(VALU_DEP_1) | instskip(SKIP_2) | instid1(VALU_DEP_1)
	v_sub_f32_e32 v134, v134, v146
	s_waitcnt_depctr 0xfff
	v_mul_f32_e32 v147, v146, v133
	v_dual_add_f32 v31, v31, v134 :: v_dual_mul_f32 v148, v145, v147
	s_delay_alu instid0(VALU_DEP_1) | instskip(NEXT) | instid1(VALU_DEP_1)
	v_fma_f32 v144, v147, v145, -v148
	v_fmac_f32_e32 v144, v147, v135
	s_delay_alu instid0(VALU_DEP_1) | instskip(NEXT) | instid1(VALU_DEP_1)
	v_add_f32_e32 v149, v148, v144
	v_sub_f32_e32 v150, v146, v149
	v_sub_f32_e32 v134, v149, v148
	s_delay_alu instid0(VALU_DEP_2) | instskip(NEXT) | instid1(VALU_DEP_2)
	v_sub_f32_e32 v146, v146, v150
	v_sub_f32_e32 v134, v134, v144
	s_delay_alu instid0(VALU_DEP_2) | instskip(NEXT) | instid1(VALU_DEP_1)
	v_sub_f32_e32 v146, v146, v149
	v_add_f32_e32 v31, v31, v146
	s_delay_alu instid0(VALU_DEP_1) | instskip(NEXT) | instid1(VALU_DEP_1)
	v_add_f32_e32 v31, v134, v31
	v_add_f32_e32 v134, v150, v31
	s_delay_alu instid0(VALU_DEP_1) | instskip(NEXT) | instid1(VALU_DEP_1)
	v_mul_f32_e32 v144, v133, v134
	v_dual_sub_f32 v149, v150, v134 :: v_dual_mul_f32 v146, v145, v144
	s_delay_alu instid0(VALU_DEP_1) | instskip(NEXT) | instid1(VALU_DEP_2)
	v_add_f32_e32 v31, v31, v149
	v_fma_f32 v145, v144, v145, -v146
	s_delay_alu instid0(VALU_DEP_1) | instskip(NEXT) | instid1(VALU_DEP_1)
	v_fmac_f32_e32 v145, v144, v135
	v_add_f32_e32 v135, v146, v145
	s_delay_alu instid0(VALU_DEP_1) | instskip(SKIP_1) | instid1(VALU_DEP_2)
	v_sub_f32_e32 v148, v134, v135
	v_sub_f32_e32 v146, v135, v146
	;; [unrolled: 1-line block ×3, first 2 shown]
	s_delay_alu instid0(VALU_DEP_1) | instskip(NEXT) | instid1(VALU_DEP_3)
	v_sub_f32_e32 v134, v134, v135
	v_sub_f32_e32 v135, v146, v145
	s_delay_alu instid0(VALU_DEP_2) | instskip(SKIP_1) | instid1(VALU_DEP_2)
	v_add_f32_e32 v31, v31, v134
	v_add_f32_e32 v134, v147, v144
	v_add_f32_e32 v31, v135, v31
	s_delay_alu instid0(VALU_DEP_2) | instskip(NEXT) | instid1(VALU_DEP_2)
	v_sub_f32_e32 v135, v134, v147
	v_add_f32_e32 v31, v148, v31
	s_delay_alu instid0(VALU_DEP_2) | instskip(NEXT) | instid1(VALU_DEP_2)
	v_sub_f32_e32 v135, v144, v135
	v_mul_f32_e32 v31, v133, v31
	s_delay_alu instid0(VALU_DEP_1) | instskip(NEXT) | instid1(VALU_DEP_1)
	v_add_f32_e32 v31, v135, v31
	v_add_f32_e32 v133, v134, v31
	s_delay_alu instid0(VALU_DEP_1) | instskip(NEXT) | instid1(VALU_DEP_1)
	v_mul_f32_e32 v135, v133, v133
	v_fmaak_f32 v144, s30, v135, 0x3ecc95a3
	v_mul_f32_e32 v145, v133, v135
	s_delay_alu instid0(VALU_DEP_2) | instskip(SKIP_2) | instid1(VALU_DEP_3)
	v_fmaak_f32 v135, v135, v144, 0x3f2aaada
	v_ldexp_f32 v144, v133, 1
	v_sub_f32_e32 v133, v133, v134
	v_mul_f32_e32 v135, v145, v135
	v_mul_f32_e32 v145, 0x3f317218, v30
	s_delay_alu instid0(VALU_DEP_2) | instskip(NEXT) | instid1(VALU_DEP_1)
	v_dual_sub_f32 v31, v31, v133 :: v_dual_add_f32 v134, v144, v135
	v_ldexp_f32 v31, v31, 1
	s_delay_alu instid0(VALU_DEP_2) | instskip(NEXT) | instid1(VALU_DEP_4)
	v_sub_f32_e32 v133, v134, v144
	v_fma_f32 v144, 0x3f317218, v30, -v145
	s_delay_alu instid0(VALU_DEP_1) | instskip(NEXT) | instid1(VALU_DEP_1)
	v_dual_sub_f32 v133, v135, v133 :: v_dual_fmamk_f32 v30, v30, 0xb102e308, v144
	v_add_f32_e32 v31, v31, v133
	s_delay_alu instid0(VALU_DEP_2) | instskip(NEXT) | instid1(VALU_DEP_2)
	v_add_f32_e32 v133, v145, v30
	v_add_f32_e32 v135, v134, v31
	s_delay_alu instid0(VALU_DEP_2) | instskip(NEXT) | instid1(VALU_DEP_2)
	v_sub_f32_e32 v145, v133, v145
	v_add_f32_e32 v144, v133, v135
	v_sub_f32_e32 v134, v135, v134
	s_delay_alu instid0(VALU_DEP_3) | instskip(NEXT) | instid1(VALU_DEP_2)
	v_sub_f32_e32 v30, v30, v145
	v_dual_sub_f32 v146, v144, v133 :: v_dual_sub_f32 v31, v31, v134
	s_delay_alu instid0(VALU_DEP_1) | instskip(NEXT) | instid1(VALU_DEP_2)
	v_sub_f32_e32 v147, v144, v146
	v_dual_sub_f32 v134, v135, v146 :: v_dual_add_f32 v135, v30, v31
	s_delay_alu instid0(VALU_DEP_2) | instskip(NEXT) | instid1(VALU_DEP_1)
	v_sub_f32_e32 v133, v133, v147
	v_dual_add_f32 v133, v134, v133 :: v_dual_sub_f32 v134, v135, v30
	s_delay_alu instid0(VALU_DEP_1) | instskip(NEXT) | instid1(VALU_DEP_2)
	v_add_f32_e32 v133, v135, v133
	v_sub_f32_e32 v135, v135, v134
	v_sub_f32_e32 v31, v31, v134
	s_delay_alu instid0(VALU_DEP_2) | instskip(NEXT) | instid1(VALU_DEP_1)
	v_dual_add_f32 v145, v144, v133 :: v_dual_sub_f32 v30, v30, v135
	v_sub_f32_e32 v134, v145, v144
	s_delay_alu instid0(VALU_DEP_2) | instskip(NEXT) | instid1(VALU_DEP_2)
	v_add_f32_e32 v30, v31, v30
	v_sub_f32_e32 v31, v133, v134
	s_delay_alu instid0(VALU_DEP_1) | instskip(NEXT) | instid1(VALU_DEP_1)
	v_add_f32_e32 v30, v30, v31
	v_add_f32_e32 v30, v145, v30
	s_delay_alu instid0(VALU_DEP_1) | instskip(NEXT) | instid1(VALU_DEP_1)
	v_cndmask_b32_e32 v30, v30, v130, vcc_lo
	v_add_f32_e32 v29, v29, v30
	s_delay_alu instid0(VALU_DEP_1)
	v_cvt_f16_f32_e32 v30, v29
.LBB430_149:
	s_or_b32 exec_lo, exec_lo, s27
	s_delay_alu instid0(VALU_DEP_1)
	v_mov_b32_e32 v133, v30
.LBB430_150:
	s_or_b32 exec_lo, exec_lo, s26
	v_mov_b32_e32 v29, 0
	s_mov_b32 s26, 0x3e9b6dac
	s_branch .LBB430_152
.LBB430_151:                            ;   in Loop: Header=BB430_152 Depth=1
	s_or_b32 exec_lo, exec_lo, s27
	v_subrev_nc_u32_e32 v28, 32, v28
.LBB430_152:                            ; =>This Loop Header: Depth=1
                                        ;     Child Loop BB430_155 Depth 2
	s_waitcnt lgkmcnt(0)
	v_and_b32_e32 v30, 0xff, v113
	v_mov_b32_e32 v130, v133
	s_delay_alu instid0(VALU_DEP_2) | instskip(SKIP_2) | instid1(VALU_DEP_1)
	v_cmp_ne_u16_e32 vcc_lo, 2, v30
	v_cndmask_b32_e64 v30, 0, 1, vcc_lo
	;;#ASMSTART
	;;#ASMEND
	v_cmp_ne_u32_e32 vcc_lo, 0, v30
	s_cmp_lg_u32 vcc_lo, exec_lo
	s_cbranch_scc1 .LBB430_179
; %bb.153:                              ;   in Loop: Header=BB430_152 Depth=1
	v_lshlrev_b64 v[30:31], 2, v[28:29]
	s_mov_b32 s27, exec_lo
	s_delay_alu instid0(VALU_DEP_1) | instskip(NEXT) | instid1(VALU_DEP_2)
	v_add_co_u32 v30, vcc_lo, v18, v30
	v_add_co_ci_u32_e32 v31, vcc_lo, v19, v31, vcc_lo
	flat_load_b32 v133, v[30:31] glc
	s_waitcnt vmcnt(0) lgkmcnt(0)
	v_lshrrev_b32_e32 v113, 16, v133
	s_delay_alu instid0(VALU_DEP_1) | instskip(NEXT) | instid1(VALU_DEP_1)
	v_and_b32_e32 v134, 0xff, v113
	v_cmpx_eq_u16_e64 0, v134
	s_cbranch_execz .LBB430_157
; %bb.154:                              ;   in Loop: Header=BB430_152 Depth=1
	s_mov_b32 vcc_hi, 0
.LBB430_155:                            ;   Parent Loop BB430_152 Depth=1
                                        ; =>  This Inner Loop Header: Depth=2
	flat_load_b32 v133, v[30:31] glc
	s_waitcnt vmcnt(0) lgkmcnt(0)
	v_lshrrev_b32_e32 v113, 16, v133
	s_delay_alu instid0(VALU_DEP_1) | instskip(NEXT) | instid1(VALU_DEP_1)
	v_and_b32_e32 v134, 0xff, v113
	v_cmp_ne_u16_e64 vcc_lo, 0, v134
	s_delay_alu instid0(VALU_DEP_1) | instskip(NEXT) | instid1(SALU_CYCLE_1)
	s_or_b32 vcc_hi, vcc_lo, vcc_hi
	s_and_not1_b32 exec_lo, exec_lo, vcc_hi
	s_cbranch_execnz .LBB430_155
; %bb.156:                              ;   in Loop: Header=BB430_152 Depth=1
	s_or_b32 exec_lo, exec_lo, vcc_hi
.LBB430_157:                            ;   in Loop: Header=BB430_152 Depth=1
	s_delay_alu instid0(SALU_CYCLE_1)
	s_or_b32 exec_lo, exec_lo, s27
	v_and_b32_e32 v31, 0xffff, v133
	v_and_b32_e32 v30, 0xff, v113
	s_mov_b32 s27, exec_lo
	ds_bpermute_b32 v134, v114, v31
	v_cmp_eq_u16_e32 vcc_lo, 2, v30
	v_and_or_b32 v30, vcc_lo, v115, 0x80000000
	s_delay_alu instid0(VALU_DEP_1) | instskip(NEXT) | instid1(VALU_DEP_1)
	v_ctz_i32_b32_e32 v30, v30
	v_cmpx_lt_u32_e64 v112, v30
	s_cbranch_execz .LBB430_161
; %bb.158:                              ;   in Loop: Header=BB430_152 Depth=1
	s_waitcnt lgkmcnt(0)
	v_cvt_f32_f16_e64 v31, v134
	v_cvt_f32_f16_e64 v135, v133
	v_cmp_u_f16_e64 vcc_lo, v134, v134
	s_delay_alu instid0(VALU_DEP_2) | instskip(SKIP_1) | instid1(VALU_DEP_2)
	v_min_f32_e32 v144, v31, v135
	v_max_f32_e32 v145, v31, v135
	v_cndmask_b32_e32 v144, v144, v31, vcc_lo
	s_delay_alu instid0(VALU_DEP_2) | instskip(SKIP_1) | instid1(VALU_DEP_3)
	v_cndmask_b32_e32 v31, v145, v31, vcc_lo
	v_cmp_u_f16_e64 vcc_lo, v133, v133
	v_cndmask_b32_e32 v133, v144, v135, vcc_lo
	s_delay_alu instid0(VALU_DEP_3) | instskip(NEXT) | instid1(VALU_DEP_1)
	v_cndmask_b32_e32 v31, v31, v135, vcc_lo
	v_cmp_neq_f32_e32 vcc_lo, v133, v31
	v_cmp_class_f32_e64 vcc_hi, v133, 0x1f8
	s_delay_alu instid0(VALU_DEP_1) | instskip(NEXT) | instid1(SALU_CYCLE_1)
	s_or_b32 vcc_lo, vcc_lo, vcc_hi
	s_and_saveexec_b32 vcc_hi, vcc_lo
	s_cbranch_execz .LBB430_160
; %bb.159:                              ;   in Loop: Header=BB430_152 Depth=1
	v_sub_f32_e32 v133, v133, v31
	s_delay_alu instid0(VALU_DEP_1) | instskip(NEXT) | instid1(VALU_DEP_1)
	v_mul_f32_e32 v134, 0x3fb8aa3b, v133
	v_fma_f32 v135, 0x3fb8aa3b, v133, -v134
	v_rndne_f32_e32 v144, v134
	s_delay_alu instid0(VALU_DEP_1) | instskip(SKIP_1) | instid1(VALU_DEP_4)
	v_sub_f32_e32 v134, v134, v144
	v_cmp_ngt_f32_e32 vcc_lo, 0xc2ce8ed0, v133
	v_fmac_f32_e32 v135, 0x32a5705f, v133
	s_delay_alu instid0(VALU_DEP_1) | instskip(SKIP_1) | instid1(VALU_DEP_2)
	v_add_f32_e32 v134, v134, v135
	v_cvt_i32_f32_e32 v135, v144
	v_exp_f32_e32 v134, v134
	s_waitcnt_depctr 0xfff
	v_ldexp_f32 v134, v134, v135
	s_delay_alu instid0(VALU_DEP_1) | instskip(SKIP_1) | instid1(VALU_DEP_2)
	v_cndmask_b32_e32 v134, 0, v134, vcc_lo
	v_cmp_nlt_f32_e32 vcc_lo, 0x42b17218, v133
	v_cndmask_b32_e32 v135, 0x7f800000, v134, vcc_lo
	s_delay_alu instid0(VALU_DEP_1) | instskip(NEXT) | instid1(VALU_DEP_1)
	v_add_f32_e32 v144, 1.0, v135
	v_cvt_f64_f32_e32 v[133:134], v144
	s_delay_alu instid0(VALU_DEP_1) | instskip(SKIP_1) | instid1(VALU_DEP_1)
	v_frexp_exp_i32_f64_e32 v133, v[133:134]
	v_frexp_mant_f32_e32 v134, v144
	v_cmp_gt_f32_e32 vcc_lo, 0x3f2aaaab, v134
	v_add_f32_e32 v134, -1.0, v144
	v_cmp_gt_f32_e64 s30, 0x33800000, |v135|
	s_delay_alu instid0(VALU_DEP_2) | instskip(SKIP_3) | instid1(VALU_DEP_2)
	v_sub_f32_e32 v146, v134, v144
	v_sub_f32_e32 v134, v135, v134
	v_subrev_co_ci_u32_e32 v133, vcc_lo, 0, v133, vcc_lo
	v_cmp_eq_f32_e32 vcc_lo, 0x7f800000, v135
	v_sub_nc_u32_e32 v145, 0, v133
	v_cvt_f32_i32_e32 v133, v133
	s_or_b32 vcc_lo, vcc_lo, s30
	s_delay_alu instid0(VALU_DEP_2) | instskip(NEXT) | instid1(VALU_DEP_1)
	v_ldexp_f32 v144, v144, v145
	v_dual_add_f32 v147, 1.0, v144 :: v_dual_add_f32 v146, 1.0, v146
	s_delay_alu instid0(VALU_DEP_1) | instskip(NEXT) | instid1(VALU_DEP_2)
	v_add_f32_e32 v134, v134, v146
	v_add_f32_e32 v146, -1.0, v147
	s_delay_alu instid0(VALU_DEP_2) | instskip(NEXT) | instid1(VALU_DEP_2)
	v_ldexp_f32 v134, v134, v145
	v_dual_add_f32 v145, -1.0, v144 :: v_dual_sub_f32 v146, v144, v146
	s_delay_alu instid0(VALU_DEP_1) | instskip(NEXT) | instid1(VALU_DEP_2)
	v_add_f32_e32 v148, 1.0, v145
	v_add_f32_e32 v146, v134, v146
	s_delay_alu instid0(VALU_DEP_2) | instskip(NEXT) | instid1(VALU_DEP_2)
	v_sub_f32_e32 v144, v144, v148
	v_add_f32_e32 v148, v147, v146
	s_delay_alu instid0(VALU_DEP_2) | instskip(NEXT) | instid1(VALU_DEP_2)
	v_add_f32_e32 v134, v134, v144
	v_rcp_f32_e32 v144, v148
	v_sub_f32_e32 v147, v147, v148
	s_delay_alu instid0(VALU_DEP_1) | instskip(NEXT) | instid1(VALU_DEP_1)
	v_dual_add_f32 v149, v145, v134 :: v_dual_add_f32 v146, v146, v147
	v_sub_f32_e32 v145, v145, v149
	s_waitcnt_depctr 0xfff
	v_mul_f32_e32 v150, v149, v144
	s_delay_alu instid0(VALU_DEP_1) | instskip(NEXT) | instid1(VALU_DEP_1)
	v_dual_add_f32 v134, v134, v145 :: v_dual_mul_f32 v151, v148, v150
	v_fma_f32 v147, v150, v148, -v151
	s_delay_alu instid0(VALU_DEP_1) | instskip(NEXT) | instid1(VALU_DEP_1)
	v_fmac_f32_e32 v147, v150, v146
	v_add_f32_e32 v160, v151, v147
	s_delay_alu instid0(VALU_DEP_1) | instskip(SKIP_1) | instid1(VALU_DEP_2)
	v_sub_f32_e32 v161, v149, v160
	v_sub_f32_e32 v145, v160, v151
	;; [unrolled: 1-line block ×3, first 2 shown]
	s_delay_alu instid0(VALU_DEP_2) | instskip(NEXT) | instid1(VALU_DEP_2)
	v_sub_f32_e32 v145, v145, v147
	v_sub_f32_e32 v149, v149, v160
	s_delay_alu instid0(VALU_DEP_1) | instskip(NEXT) | instid1(VALU_DEP_1)
	v_add_f32_e32 v134, v134, v149
	v_add_f32_e32 v134, v145, v134
	s_delay_alu instid0(VALU_DEP_1) | instskip(NEXT) | instid1(VALU_DEP_1)
	v_add_f32_e32 v145, v161, v134
	v_mul_f32_e32 v147, v144, v145
	s_delay_alu instid0(VALU_DEP_1) | instskip(NEXT) | instid1(VALU_DEP_1)
	v_dual_sub_f32 v160, v161, v145 :: v_dual_mul_f32 v149, v148, v147
	v_add_f32_e32 v134, v134, v160
	s_delay_alu instid0(VALU_DEP_2) | instskip(NEXT) | instid1(VALU_DEP_1)
	v_fma_f32 v148, v147, v148, -v149
	v_fmac_f32_e32 v148, v147, v146
	s_delay_alu instid0(VALU_DEP_1) | instskip(NEXT) | instid1(VALU_DEP_1)
	v_add_f32_e32 v146, v149, v148
	v_sub_f32_e32 v151, v145, v146
	v_sub_f32_e32 v149, v146, v149
	s_delay_alu instid0(VALU_DEP_2) | instskip(NEXT) | instid1(VALU_DEP_1)
	v_sub_f32_e32 v145, v145, v151
	v_sub_f32_e32 v145, v145, v146
	s_delay_alu instid0(VALU_DEP_3) | instskip(NEXT) | instid1(VALU_DEP_2)
	v_sub_f32_e32 v146, v149, v148
	v_add_f32_e32 v134, v134, v145
	v_add_f32_e32 v145, v150, v147
	s_delay_alu instid0(VALU_DEP_2) | instskip(NEXT) | instid1(VALU_DEP_2)
	v_add_f32_e32 v134, v146, v134
	v_sub_f32_e32 v146, v145, v150
	s_delay_alu instid0(VALU_DEP_2) | instskip(NEXT) | instid1(VALU_DEP_2)
	v_add_f32_e32 v134, v151, v134
	v_sub_f32_e32 v146, v147, v146
	s_delay_alu instid0(VALU_DEP_2) | instskip(NEXT) | instid1(VALU_DEP_1)
	v_mul_f32_e32 v134, v144, v134
	v_add_f32_e32 v134, v146, v134
	s_delay_alu instid0(VALU_DEP_1) | instskip(NEXT) | instid1(VALU_DEP_1)
	v_add_f32_e32 v144, v145, v134
	v_mul_f32_e32 v146, v144, v144
	s_delay_alu instid0(VALU_DEP_1) | instskip(SKIP_1) | instid1(VALU_DEP_2)
	v_fmaak_f32 v147, s26, v146, 0x3ecc95a3
	v_mul_f32_e32 v148, v144, v146
	v_fmaak_f32 v146, v146, v147, 0x3f2aaada
	v_ldexp_f32 v147, v144, 1
	v_sub_f32_e32 v144, v144, v145
	s_delay_alu instid0(VALU_DEP_3) | instskip(SKIP_1) | instid1(VALU_DEP_2)
	v_mul_f32_e32 v146, v148, v146
	v_mul_f32_e32 v148, 0x3f317218, v133
	v_dual_sub_f32 v134, v134, v144 :: v_dual_add_f32 v145, v147, v146
	s_delay_alu instid0(VALU_DEP_1) | instskip(NEXT) | instid1(VALU_DEP_2)
	v_ldexp_f32 v134, v134, 1
	v_sub_f32_e32 v144, v145, v147
	s_delay_alu instid0(VALU_DEP_4) | instskip(NEXT) | instid1(VALU_DEP_1)
	v_fma_f32 v147, 0x3f317218, v133, -v148
	v_dual_sub_f32 v144, v146, v144 :: v_dual_fmac_f32 v147, 0xb102e308, v133
	s_delay_alu instid0(VALU_DEP_1) | instskip(NEXT) | instid1(VALU_DEP_1)
	v_dual_add_f32 v133, v134, v144 :: v_dual_add_f32 v134, v148, v147
	v_add_f32_e32 v144, v145, v133
	s_delay_alu instid0(VALU_DEP_2) | instskip(NEXT) | instid1(VALU_DEP_2)
	v_sub_f32_e32 v148, v134, v148
	v_dual_add_f32 v146, v134, v144 :: v_dual_sub_f32 v145, v144, v145
	s_delay_alu instid0(VALU_DEP_2) | instskip(NEXT) | instid1(VALU_DEP_2)
	v_sub_f32_e32 v147, v147, v148
	v_sub_f32_e32 v149, v146, v134
	s_delay_alu instid0(VALU_DEP_3) | instskip(NEXT) | instid1(VALU_DEP_2)
	v_sub_f32_e32 v133, v133, v145
	v_sub_f32_e32 v150, v146, v149
	;; [unrolled: 1-line block ×3, first 2 shown]
	s_delay_alu instid0(VALU_DEP_2) | instskip(NEXT) | instid1(VALU_DEP_1)
	v_dual_add_f32 v145, v147, v133 :: v_dual_sub_f32 v134, v134, v150
	v_add_f32_e32 v134, v144, v134
	s_delay_alu instid0(VALU_DEP_2) | instskip(NEXT) | instid1(VALU_DEP_2)
	v_sub_f32_e32 v144, v145, v147
	v_add_f32_e32 v134, v145, v134
	s_delay_alu instid0(VALU_DEP_2) | instskip(NEXT) | instid1(VALU_DEP_2)
	v_sub_f32_e32 v145, v145, v144
	v_dual_sub_f32 v133, v133, v144 :: v_dual_add_f32 v148, v146, v134
	s_delay_alu instid0(VALU_DEP_1) | instskip(NEXT) | instid1(VALU_DEP_1)
	v_dual_sub_f32 v145, v147, v145 :: v_dual_sub_f32 v144, v148, v146
	v_dual_add_f32 v133, v133, v145 :: v_dual_sub_f32 v134, v134, v144
	s_delay_alu instid0(VALU_DEP_1) | instskip(NEXT) | instid1(VALU_DEP_1)
	v_add_f32_e32 v133, v133, v134
	v_add_f32_e32 v133, v148, v133
	s_delay_alu instid0(VALU_DEP_1) | instskip(NEXT) | instid1(VALU_DEP_1)
	v_cndmask_b32_e32 v133, v133, v135, vcc_lo
	v_add_f32_e32 v31, v31, v133
	s_delay_alu instid0(VALU_DEP_1)
	v_cvt_f16_f32_e64 v134, v31
.LBB430_160:                            ;   in Loop: Header=BB430_152 Depth=1
	s_or_b32 exec_lo, exec_lo, vcc_hi
	s_delay_alu instid0(VALU_DEP_1)
	v_and_b32_e32 v31, 0xffff, v134
	v_mov_b32_e32 v133, v134
.LBB430_161:                            ;   in Loop: Header=BB430_152 Depth=1
	s_or_b32 exec_lo, exec_lo, s27
	s_waitcnt lgkmcnt(0)
	ds_bpermute_b32 v134, v116, v31
	s_mov_b32 s27, exec_lo
	v_cmpx_le_u32_e64 v117, v30
	s_cbranch_execz .LBB430_165
; %bb.162:                              ;   in Loop: Header=BB430_152 Depth=1
	s_waitcnt lgkmcnt(0)
	v_cvt_f32_f16_e64 v31, v134
	v_cvt_f32_f16_e64 v135, v133
	v_cmp_u_f16_e64 vcc_lo, v134, v134
	s_delay_alu instid0(VALU_DEP_2) | instskip(SKIP_1) | instid1(VALU_DEP_2)
	v_min_f32_e32 v144, v31, v135
	v_max_f32_e32 v145, v31, v135
	v_cndmask_b32_e32 v144, v144, v31, vcc_lo
	s_delay_alu instid0(VALU_DEP_2) | instskip(SKIP_1) | instid1(VALU_DEP_3)
	v_cndmask_b32_e32 v31, v145, v31, vcc_lo
	v_cmp_u_f16_e64 vcc_lo, v133, v133
	v_cndmask_b32_e32 v133, v144, v135, vcc_lo
	s_delay_alu instid0(VALU_DEP_3) | instskip(NEXT) | instid1(VALU_DEP_1)
	v_cndmask_b32_e32 v31, v31, v135, vcc_lo
	v_cmp_neq_f32_e32 vcc_lo, v133, v31
	v_cmp_class_f32_e64 vcc_hi, v133, 0x1f8
	s_delay_alu instid0(VALU_DEP_1) | instskip(NEXT) | instid1(SALU_CYCLE_1)
	s_or_b32 vcc_lo, vcc_lo, vcc_hi
	s_and_saveexec_b32 vcc_hi, vcc_lo
	s_cbranch_execz .LBB430_164
; %bb.163:                              ;   in Loop: Header=BB430_152 Depth=1
	v_sub_f32_e32 v133, v133, v31
	s_delay_alu instid0(VALU_DEP_1) | instskip(NEXT) | instid1(VALU_DEP_1)
	v_mul_f32_e32 v134, 0x3fb8aa3b, v133
	v_fma_f32 v135, 0x3fb8aa3b, v133, -v134
	v_rndne_f32_e32 v144, v134
	s_delay_alu instid0(VALU_DEP_1) | instskip(SKIP_1) | instid1(VALU_DEP_4)
	v_sub_f32_e32 v134, v134, v144
	v_cmp_ngt_f32_e32 vcc_lo, 0xc2ce8ed0, v133
	v_fmac_f32_e32 v135, 0x32a5705f, v133
	s_delay_alu instid0(VALU_DEP_1) | instskip(SKIP_1) | instid1(VALU_DEP_2)
	v_add_f32_e32 v134, v134, v135
	v_cvt_i32_f32_e32 v135, v144
	v_exp_f32_e32 v134, v134
	s_waitcnt_depctr 0xfff
	v_ldexp_f32 v134, v134, v135
	s_delay_alu instid0(VALU_DEP_1) | instskip(SKIP_1) | instid1(VALU_DEP_2)
	v_cndmask_b32_e32 v134, 0, v134, vcc_lo
	v_cmp_nlt_f32_e32 vcc_lo, 0x42b17218, v133
	v_cndmask_b32_e32 v135, 0x7f800000, v134, vcc_lo
	s_delay_alu instid0(VALU_DEP_1) | instskip(NEXT) | instid1(VALU_DEP_1)
	v_add_f32_e32 v144, 1.0, v135
	v_cvt_f64_f32_e32 v[133:134], v144
	s_delay_alu instid0(VALU_DEP_1) | instskip(SKIP_1) | instid1(VALU_DEP_1)
	v_frexp_exp_i32_f64_e32 v133, v[133:134]
	v_frexp_mant_f32_e32 v134, v144
	v_cmp_gt_f32_e32 vcc_lo, 0x3f2aaaab, v134
	v_add_f32_e32 v134, -1.0, v144
	v_cmp_gt_f32_e64 s30, 0x33800000, |v135|
	s_delay_alu instid0(VALU_DEP_2) | instskip(SKIP_3) | instid1(VALU_DEP_2)
	v_sub_f32_e32 v146, v134, v144
	v_sub_f32_e32 v134, v135, v134
	v_subrev_co_ci_u32_e32 v133, vcc_lo, 0, v133, vcc_lo
	v_cmp_eq_f32_e32 vcc_lo, 0x7f800000, v135
	v_sub_nc_u32_e32 v145, 0, v133
	v_cvt_f32_i32_e32 v133, v133
	s_or_b32 vcc_lo, vcc_lo, s30
	s_delay_alu instid0(VALU_DEP_2) | instskip(NEXT) | instid1(VALU_DEP_1)
	v_ldexp_f32 v144, v144, v145
	v_dual_add_f32 v147, 1.0, v144 :: v_dual_add_f32 v146, 1.0, v146
	s_delay_alu instid0(VALU_DEP_1) | instskip(NEXT) | instid1(VALU_DEP_2)
	v_add_f32_e32 v134, v134, v146
	v_add_f32_e32 v146, -1.0, v147
	s_delay_alu instid0(VALU_DEP_2) | instskip(NEXT) | instid1(VALU_DEP_2)
	v_ldexp_f32 v134, v134, v145
	v_dual_add_f32 v145, -1.0, v144 :: v_dual_sub_f32 v146, v144, v146
	s_delay_alu instid0(VALU_DEP_1) | instskip(NEXT) | instid1(VALU_DEP_2)
	v_add_f32_e32 v148, 1.0, v145
	v_add_f32_e32 v146, v134, v146
	s_delay_alu instid0(VALU_DEP_2) | instskip(NEXT) | instid1(VALU_DEP_2)
	v_sub_f32_e32 v144, v144, v148
	v_add_f32_e32 v148, v147, v146
	s_delay_alu instid0(VALU_DEP_2) | instskip(NEXT) | instid1(VALU_DEP_2)
	v_add_f32_e32 v134, v134, v144
	v_rcp_f32_e32 v144, v148
	v_sub_f32_e32 v147, v147, v148
	s_delay_alu instid0(VALU_DEP_1) | instskip(NEXT) | instid1(VALU_DEP_1)
	v_dual_add_f32 v149, v145, v134 :: v_dual_add_f32 v146, v146, v147
	v_sub_f32_e32 v145, v145, v149
	s_waitcnt_depctr 0xfff
	v_mul_f32_e32 v150, v149, v144
	s_delay_alu instid0(VALU_DEP_1) | instskip(NEXT) | instid1(VALU_DEP_1)
	v_dual_add_f32 v134, v134, v145 :: v_dual_mul_f32 v151, v148, v150
	v_fma_f32 v147, v150, v148, -v151
	s_delay_alu instid0(VALU_DEP_1) | instskip(NEXT) | instid1(VALU_DEP_1)
	v_fmac_f32_e32 v147, v150, v146
	v_add_f32_e32 v160, v151, v147
	s_delay_alu instid0(VALU_DEP_1) | instskip(SKIP_1) | instid1(VALU_DEP_2)
	v_sub_f32_e32 v161, v149, v160
	v_sub_f32_e32 v145, v160, v151
	;; [unrolled: 1-line block ×3, first 2 shown]
	s_delay_alu instid0(VALU_DEP_2) | instskip(NEXT) | instid1(VALU_DEP_2)
	v_sub_f32_e32 v145, v145, v147
	v_sub_f32_e32 v149, v149, v160
	s_delay_alu instid0(VALU_DEP_1) | instskip(NEXT) | instid1(VALU_DEP_1)
	v_add_f32_e32 v134, v134, v149
	v_add_f32_e32 v134, v145, v134
	s_delay_alu instid0(VALU_DEP_1) | instskip(NEXT) | instid1(VALU_DEP_1)
	v_add_f32_e32 v145, v161, v134
	v_mul_f32_e32 v147, v144, v145
	s_delay_alu instid0(VALU_DEP_1) | instskip(NEXT) | instid1(VALU_DEP_1)
	v_dual_sub_f32 v160, v161, v145 :: v_dual_mul_f32 v149, v148, v147
	v_add_f32_e32 v134, v134, v160
	s_delay_alu instid0(VALU_DEP_2) | instskip(NEXT) | instid1(VALU_DEP_1)
	v_fma_f32 v148, v147, v148, -v149
	v_fmac_f32_e32 v148, v147, v146
	s_delay_alu instid0(VALU_DEP_1) | instskip(NEXT) | instid1(VALU_DEP_1)
	v_add_f32_e32 v146, v149, v148
	v_sub_f32_e32 v151, v145, v146
	v_sub_f32_e32 v149, v146, v149
	s_delay_alu instid0(VALU_DEP_2) | instskip(NEXT) | instid1(VALU_DEP_1)
	v_sub_f32_e32 v145, v145, v151
	v_sub_f32_e32 v145, v145, v146
	s_delay_alu instid0(VALU_DEP_3) | instskip(NEXT) | instid1(VALU_DEP_2)
	v_sub_f32_e32 v146, v149, v148
	v_add_f32_e32 v134, v134, v145
	v_add_f32_e32 v145, v150, v147
	s_delay_alu instid0(VALU_DEP_2) | instskip(NEXT) | instid1(VALU_DEP_2)
	v_add_f32_e32 v134, v146, v134
	v_sub_f32_e32 v146, v145, v150
	s_delay_alu instid0(VALU_DEP_2) | instskip(NEXT) | instid1(VALU_DEP_2)
	v_add_f32_e32 v134, v151, v134
	v_sub_f32_e32 v146, v147, v146
	s_delay_alu instid0(VALU_DEP_2) | instskip(NEXT) | instid1(VALU_DEP_1)
	v_mul_f32_e32 v134, v144, v134
	v_add_f32_e32 v134, v146, v134
	s_delay_alu instid0(VALU_DEP_1) | instskip(NEXT) | instid1(VALU_DEP_1)
	v_add_f32_e32 v144, v145, v134
	v_mul_f32_e32 v146, v144, v144
	s_delay_alu instid0(VALU_DEP_1) | instskip(SKIP_1) | instid1(VALU_DEP_2)
	v_fmaak_f32 v147, s26, v146, 0x3ecc95a3
	v_mul_f32_e32 v148, v144, v146
	v_fmaak_f32 v146, v146, v147, 0x3f2aaada
	v_ldexp_f32 v147, v144, 1
	v_sub_f32_e32 v144, v144, v145
	s_delay_alu instid0(VALU_DEP_3) | instskip(SKIP_1) | instid1(VALU_DEP_2)
	v_mul_f32_e32 v146, v148, v146
	v_mul_f32_e32 v148, 0x3f317218, v133
	v_dual_sub_f32 v134, v134, v144 :: v_dual_add_f32 v145, v147, v146
	s_delay_alu instid0(VALU_DEP_1) | instskip(NEXT) | instid1(VALU_DEP_2)
	v_ldexp_f32 v134, v134, 1
	v_sub_f32_e32 v144, v145, v147
	s_delay_alu instid0(VALU_DEP_4) | instskip(NEXT) | instid1(VALU_DEP_1)
	v_fma_f32 v147, 0x3f317218, v133, -v148
	v_dual_sub_f32 v144, v146, v144 :: v_dual_fmac_f32 v147, 0xb102e308, v133
	s_delay_alu instid0(VALU_DEP_1) | instskip(NEXT) | instid1(VALU_DEP_1)
	v_dual_add_f32 v133, v134, v144 :: v_dual_add_f32 v134, v148, v147
	v_add_f32_e32 v144, v145, v133
	s_delay_alu instid0(VALU_DEP_2) | instskip(NEXT) | instid1(VALU_DEP_2)
	v_sub_f32_e32 v148, v134, v148
	v_dual_add_f32 v146, v134, v144 :: v_dual_sub_f32 v145, v144, v145
	s_delay_alu instid0(VALU_DEP_2) | instskip(NEXT) | instid1(VALU_DEP_2)
	v_sub_f32_e32 v147, v147, v148
	v_sub_f32_e32 v149, v146, v134
	s_delay_alu instid0(VALU_DEP_3) | instskip(NEXT) | instid1(VALU_DEP_2)
	v_sub_f32_e32 v133, v133, v145
	v_sub_f32_e32 v150, v146, v149
	;; [unrolled: 1-line block ×3, first 2 shown]
	s_delay_alu instid0(VALU_DEP_2) | instskip(NEXT) | instid1(VALU_DEP_1)
	v_dual_add_f32 v145, v147, v133 :: v_dual_sub_f32 v134, v134, v150
	v_add_f32_e32 v134, v144, v134
	s_delay_alu instid0(VALU_DEP_2) | instskip(NEXT) | instid1(VALU_DEP_2)
	v_sub_f32_e32 v144, v145, v147
	v_add_f32_e32 v134, v145, v134
	s_delay_alu instid0(VALU_DEP_2) | instskip(NEXT) | instid1(VALU_DEP_2)
	v_sub_f32_e32 v145, v145, v144
	v_dual_sub_f32 v133, v133, v144 :: v_dual_add_f32 v148, v146, v134
	s_delay_alu instid0(VALU_DEP_1) | instskip(NEXT) | instid1(VALU_DEP_1)
	v_dual_sub_f32 v145, v147, v145 :: v_dual_sub_f32 v144, v148, v146
	v_dual_add_f32 v133, v133, v145 :: v_dual_sub_f32 v134, v134, v144
	s_delay_alu instid0(VALU_DEP_1) | instskip(NEXT) | instid1(VALU_DEP_1)
	v_add_f32_e32 v133, v133, v134
	v_add_f32_e32 v133, v148, v133
	s_delay_alu instid0(VALU_DEP_1) | instskip(NEXT) | instid1(VALU_DEP_1)
	v_cndmask_b32_e32 v133, v133, v135, vcc_lo
	v_add_f32_e32 v31, v31, v133
	s_delay_alu instid0(VALU_DEP_1)
	v_cvt_f16_f32_e64 v134, v31
.LBB430_164:                            ;   in Loop: Header=BB430_152 Depth=1
	s_or_b32 exec_lo, exec_lo, vcc_hi
	s_delay_alu instid0(VALU_DEP_1)
	v_and_b32_e32 v31, 0xffff, v134
	v_mov_b32_e32 v133, v134
.LBB430_165:                            ;   in Loop: Header=BB430_152 Depth=1
	s_or_b32 exec_lo, exec_lo, s27
	s_waitcnt lgkmcnt(0)
	ds_bpermute_b32 v134, v118, v31
	s_mov_b32 s27, exec_lo
	v_cmpx_le_u32_e64 v119, v30
	s_cbranch_execz .LBB430_169
; %bb.166:                              ;   in Loop: Header=BB430_152 Depth=1
	s_waitcnt lgkmcnt(0)
	v_cvt_f32_f16_e64 v31, v134
	v_cvt_f32_f16_e64 v135, v133
	v_cmp_u_f16_e64 vcc_lo, v134, v134
	s_delay_alu instid0(VALU_DEP_2) | instskip(SKIP_1) | instid1(VALU_DEP_2)
	v_min_f32_e32 v144, v31, v135
	v_max_f32_e32 v145, v31, v135
	v_cndmask_b32_e32 v144, v144, v31, vcc_lo
	s_delay_alu instid0(VALU_DEP_2) | instskip(SKIP_1) | instid1(VALU_DEP_3)
	v_cndmask_b32_e32 v31, v145, v31, vcc_lo
	v_cmp_u_f16_e64 vcc_lo, v133, v133
	v_cndmask_b32_e32 v133, v144, v135, vcc_lo
	s_delay_alu instid0(VALU_DEP_3) | instskip(NEXT) | instid1(VALU_DEP_1)
	v_cndmask_b32_e32 v31, v31, v135, vcc_lo
	v_cmp_neq_f32_e32 vcc_lo, v133, v31
	v_cmp_class_f32_e64 vcc_hi, v133, 0x1f8
	s_delay_alu instid0(VALU_DEP_1) | instskip(NEXT) | instid1(SALU_CYCLE_1)
	s_or_b32 vcc_lo, vcc_lo, vcc_hi
	s_and_saveexec_b32 vcc_hi, vcc_lo
	s_cbranch_execz .LBB430_168
; %bb.167:                              ;   in Loop: Header=BB430_152 Depth=1
	v_sub_f32_e32 v133, v133, v31
	s_delay_alu instid0(VALU_DEP_1) | instskip(NEXT) | instid1(VALU_DEP_1)
	v_mul_f32_e32 v134, 0x3fb8aa3b, v133
	v_fma_f32 v135, 0x3fb8aa3b, v133, -v134
	v_rndne_f32_e32 v144, v134
	s_delay_alu instid0(VALU_DEP_1) | instskip(SKIP_1) | instid1(VALU_DEP_4)
	v_sub_f32_e32 v134, v134, v144
	v_cmp_ngt_f32_e32 vcc_lo, 0xc2ce8ed0, v133
	v_fmac_f32_e32 v135, 0x32a5705f, v133
	s_delay_alu instid0(VALU_DEP_1) | instskip(SKIP_1) | instid1(VALU_DEP_2)
	v_add_f32_e32 v134, v134, v135
	v_cvt_i32_f32_e32 v135, v144
	v_exp_f32_e32 v134, v134
	s_waitcnt_depctr 0xfff
	v_ldexp_f32 v134, v134, v135
	s_delay_alu instid0(VALU_DEP_1) | instskip(SKIP_1) | instid1(VALU_DEP_2)
	v_cndmask_b32_e32 v134, 0, v134, vcc_lo
	v_cmp_nlt_f32_e32 vcc_lo, 0x42b17218, v133
	v_cndmask_b32_e32 v135, 0x7f800000, v134, vcc_lo
	s_delay_alu instid0(VALU_DEP_1) | instskip(NEXT) | instid1(VALU_DEP_1)
	v_add_f32_e32 v144, 1.0, v135
	v_cvt_f64_f32_e32 v[133:134], v144
	s_delay_alu instid0(VALU_DEP_1) | instskip(SKIP_1) | instid1(VALU_DEP_1)
	v_frexp_exp_i32_f64_e32 v133, v[133:134]
	v_frexp_mant_f32_e32 v134, v144
	v_cmp_gt_f32_e32 vcc_lo, 0x3f2aaaab, v134
	v_add_f32_e32 v134, -1.0, v144
	v_cmp_gt_f32_e64 s30, 0x33800000, |v135|
	s_delay_alu instid0(VALU_DEP_2) | instskip(SKIP_3) | instid1(VALU_DEP_2)
	v_sub_f32_e32 v146, v134, v144
	v_sub_f32_e32 v134, v135, v134
	v_subrev_co_ci_u32_e32 v133, vcc_lo, 0, v133, vcc_lo
	v_cmp_eq_f32_e32 vcc_lo, 0x7f800000, v135
	v_sub_nc_u32_e32 v145, 0, v133
	v_cvt_f32_i32_e32 v133, v133
	s_or_b32 vcc_lo, vcc_lo, s30
	s_delay_alu instid0(VALU_DEP_2) | instskip(NEXT) | instid1(VALU_DEP_1)
	v_ldexp_f32 v144, v144, v145
	v_dual_add_f32 v147, 1.0, v144 :: v_dual_add_f32 v146, 1.0, v146
	s_delay_alu instid0(VALU_DEP_1) | instskip(NEXT) | instid1(VALU_DEP_2)
	v_add_f32_e32 v134, v134, v146
	v_add_f32_e32 v146, -1.0, v147
	s_delay_alu instid0(VALU_DEP_2) | instskip(NEXT) | instid1(VALU_DEP_2)
	v_ldexp_f32 v134, v134, v145
	v_dual_add_f32 v145, -1.0, v144 :: v_dual_sub_f32 v146, v144, v146
	s_delay_alu instid0(VALU_DEP_1) | instskip(NEXT) | instid1(VALU_DEP_2)
	v_add_f32_e32 v148, 1.0, v145
	v_add_f32_e32 v146, v134, v146
	s_delay_alu instid0(VALU_DEP_2) | instskip(NEXT) | instid1(VALU_DEP_2)
	v_sub_f32_e32 v144, v144, v148
	v_add_f32_e32 v148, v147, v146
	s_delay_alu instid0(VALU_DEP_2) | instskip(NEXT) | instid1(VALU_DEP_2)
	v_add_f32_e32 v134, v134, v144
	v_rcp_f32_e32 v144, v148
	v_sub_f32_e32 v147, v147, v148
	s_delay_alu instid0(VALU_DEP_1) | instskip(NEXT) | instid1(VALU_DEP_1)
	v_dual_add_f32 v149, v145, v134 :: v_dual_add_f32 v146, v146, v147
	v_sub_f32_e32 v145, v145, v149
	s_waitcnt_depctr 0xfff
	v_mul_f32_e32 v150, v149, v144
	s_delay_alu instid0(VALU_DEP_1) | instskip(NEXT) | instid1(VALU_DEP_1)
	v_dual_add_f32 v134, v134, v145 :: v_dual_mul_f32 v151, v148, v150
	v_fma_f32 v147, v150, v148, -v151
	s_delay_alu instid0(VALU_DEP_1) | instskip(NEXT) | instid1(VALU_DEP_1)
	v_fmac_f32_e32 v147, v150, v146
	v_add_f32_e32 v160, v151, v147
	s_delay_alu instid0(VALU_DEP_1) | instskip(SKIP_1) | instid1(VALU_DEP_2)
	v_sub_f32_e32 v161, v149, v160
	v_sub_f32_e32 v145, v160, v151
	;; [unrolled: 1-line block ×3, first 2 shown]
	s_delay_alu instid0(VALU_DEP_2) | instskip(NEXT) | instid1(VALU_DEP_2)
	v_sub_f32_e32 v145, v145, v147
	v_sub_f32_e32 v149, v149, v160
	s_delay_alu instid0(VALU_DEP_1) | instskip(NEXT) | instid1(VALU_DEP_1)
	v_add_f32_e32 v134, v134, v149
	v_add_f32_e32 v134, v145, v134
	s_delay_alu instid0(VALU_DEP_1) | instskip(NEXT) | instid1(VALU_DEP_1)
	v_add_f32_e32 v145, v161, v134
	v_mul_f32_e32 v147, v144, v145
	s_delay_alu instid0(VALU_DEP_1) | instskip(NEXT) | instid1(VALU_DEP_1)
	v_dual_sub_f32 v160, v161, v145 :: v_dual_mul_f32 v149, v148, v147
	v_add_f32_e32 v134, v134, v160
	s_delay_alu instid0(VALU_DEP_2) | instskip(NEXT) | instid1(VALU_DEP_1)
	v_fma_f32 v148, v147, v148, -v149
	v_fmac_f32_e32 v148, v147, v146
	s_delay_alu instid0(VALU_DEP_1) | instskip(NEXT) | instid1(VALU_DEP_1)
	v_add_f32_e32 v146, v149, v148
	v_sub_f32_e32 v151, v145, v146
	v_sub_f32_e32 v149, v146, v149
	s_delay_alu instid0(VALU_DEP_2) | instskip(NEXT) | instid1(VALU_DEP_1)
	v_sub_f32_e32 v145, v145, v151
	v_sub_f32_e32 v145, v145, v146
	s_delay_alu instid0(VALU_DEP_3) | instskip(NEXT) | instid1(VALU_DEP_2)
	v_sub_f32_e32 v146, v149, v148
	v_add_f32_e32 v134, v134, v145
	v_add_f32_e32 v145, v150, v147
	s_delay_alu instid0(VALU_DEP_2) | instskip(NEXT) | instid1(VALU_DEP_2)
	v_add_f32_e32 v134, v146, v134
	v_sub_f32_e32 v146, v145, v150
	s_delay_alu instid0(VALU_DEP_2) | instskip(NEXT) | instid1(VALU_DEP_2)
	v_add_f32_e32 v134, v151, v134
	v_sub_f32_e32 v146, v147, v146
	s_delay_alu instid0(VALU_DEP_2) | instskip(NEXT) | instid1(VALU_DEP_1)
	v_mul_f32_e32 v134, v144, v134
	v_add_f32_e32 v134, v146, v134
	s_delay_alu instid0(VALU_DEP_1) | instskip(NEXT) | instid1(VALU_DEP_1)
	v_add_f32_e32 v144, v145, v134
	v_mul_f32_e32 v146, v144, v144
	s_delay_alu instid0(VALU_DEP_1) | instskip(SKIP_1) | instid1(VALU_DEP_2)
	v_fmaak_f32 v147, s26, v146, 0x3ecc95a3
	v_mul_f32_e32 v148, v144, v146
	v_fmaak_f32 v146, v146, v147, 0x3f2aaada
	v_ldexp_f32 v147, v144, 1
	v_sub_f32_e32 v144, v144, v145
	s_delay_alu instid0(VALU_DEP_3) | instskip(SKIP_1) | instid1(VALU_DEP_2)
	v_mul_f32_e32 v146, v148, v146
	v_mul_f32_e32 v148, 0x3f317218, v133
	v_dual_sub_f32 v134, v134, v144 :: v_dual_add_f32 v145, v147, v146
	s_delay_alu instid0(VALU_DEP_1) | instskip(NEXT) | instid1(VALU_DEP_2)
	v_ldexp_f32 v134, v134, 1
	v_sub_f32_e32 v144, v145, v147
	s_delay_alu instid0(VALU_DEP_4) | instskip(NEXT) | instid1(VALU_DEP_1)
	v_fma_f32 v147, 0x3f317218, v133, -v148
	v_dual_sub_f32 v144, v146, v144 :: v_dual_fmac_f32 v147, 0xb102e308, v133
	s_delay_alu instid0(VALU_DEP_1) | instskip(NEXT) | instid1(VALU_DEP_1)
	v_dual_add_f32 v133, v134, v144 :: v_dual_add_f32 v134, v148, v147
	v_add_f32_e32 v144, v145, v133
	s_delay_alu instid0(VALU_DEP_2) | instskip(NEXT) | instid1(VALU_DEP_2)
	v_sub_f32_e32 v148, v134, v148
	v_dual_add_f32 v146, v134, v144 :: v_dual_sub_f32 v145, v144, v145
	s_delay_alu instid0(VALU_DEP_2) | instskip(NEXT) | instid1(VALU_DEP_2)
	v_sub_f32_e32 v147, v147, v148
	v_sub_f32_e32 v149, v146, v134
	s_delay_alu instid0(VALU_DEP_3) | instskip(NEXT) | instid1(VALU_DEP_2)
	v_sub_f32_e32 v133, v133, v145
	v_sub_f32_e32 v150, v146, v149
	;; [unrolled: 1-line block ×3, first 2 shown]
	s_delay_alu instid0(VALU_DEP_2) | instskip(NEXT) | instid1(VALU_DEP_1)
	v_dual_add_f32 v145, v147, v133 :: v_dual_sub_f32 v134, v134, v150
	v_add_f32_e32 v134, v144, v134
	s_delay_alu instid0(VALU_DEP_2) | instskip(NEXT) | instid1(VALU_DEP_2)
	v_sub_f32_e32 v144, v145, v147
	v_add_f32_e32 v134, v145, v134
	s_delay_alu instid0(VALU_DEP_2) | instskip(NEXT) | instid1(VALU_DEP_2)
	v_sub_f32_e32 v145, v145, v144
	v_dual_sub_f32 v133, v133, v144 :: v_dual_add_f32 v148, v146, v134
	s_delay_alu instid0(VALU_DEP_1) | instskip(NEXT) | instid1(VALU_DEP_1)
	v_dual_sub_f32 v145, v147, v145 :: v_dual_sub_f32 v144, v148, v146
	v_dual_add_f32 v133, v133, v145 :: v_dual_sub_f32 v134, v134, v144
	s_delay_alu instid0(VALU_DEP_1) | instskip(NEXT) | instid1(VALU_DEP_1)
	v_add_f32_e32 v133, v133, v134
	v_add_f32_e32 v133, v148, v133
	s_delay_alu instid0(VALU_DEP_1) | instskip(NEXT) | instid1(VALU_DEP_1)
	v_cndmask_b32_e32 v133, v133, v135, vcc_lo
	v_add_f32_e32 v31, v31, v133
	s_delay_alu instid0(VALU_DEP_1)
	v_cvt_f16_f32_e64 v134, v31
.LBB430_168:                            ;   in Loop: Header=BB430_152 Depth=1
	s_or_b32 exec_lo, exec_lo, vcc_hi
	s_delay_alu instid0(VALU_DEP_1)
	v_and_b32_e32 v31, 0xffff, v134
	v_mov_b32_e32 v133, v134
.LBB430_169:                            ;   in Loop: Header=BB430_152 Depth=1
	s_or_b32 exec_lo, exec_lo, s27
	s_waitcnt lgkmcnt(0)
	ds_bpermute_b32 v134, v128, v31
	s_mov_b32 s27, exec_lo
	v_cmpx_le_u32_e64 v129, v30
	s_cbranch_execz .LBB430_173
; %bb.170:                              ;   in Loop: Header=BB430_152 Depth=1
	s_waitcnt lgkmcnt(0)
	v_cvt_f32_f16_e64 v31, v134
	v_cvt_f32_f16_e64 v135, v133
	v_cmp_u_f16_e64 vcc_lo, v134, v134
	s_delay_alu instid0(VALU_DEP_2) | instskip(SKIP_1) | instid1(VALU_DEP_2)
	v_min_f32_e32 v144, v31, v135
	v_max_f32_e32 v145, v31, v135
	v_cndmask_b32_e32 v144, v144, v31, vcc_lo
	s_delay_alu instid0(VALU_DEP_2) | instskip(SKIP_1) | instid1(VALU_DEP_3)
	v_cndmask_b32_e32 v31, v145, v31, vcc_lo
	v_cmp_u_f16_e64 vcc_lo, v133, v133
	v_cndmask_b32_e32 v133, v144, v135, vcc_lo
	s_delay_alu instid0(VALU_DEP_3) | instskip(NEXT) | instid1(VALU_DEP_1)
	v_cndmask_b32_e32 v31, v31, v135, vcc_lo
	v_cmp_neq_f32_e32 vcc_lo, v133, v31
	v_cmp_class_f32_e64 vcc_hi, v133, 0x1f8
	s_delay_alu instid0(VALU_DEP_1) | instskip(NEXT) | instid1(SALU_CYCLE_1)
	s_or_b32 vcc_lo, vcc_lo, vcc_hi
	s_and_saveexec_b32 vcc_hi, vcc_lo
	s_cbranch_execz .LBB430_172
; %bb.171:                              ;   in Loop: Header=BB430_152 Depth=1
	v_sub_f32_e32 v133, v133, v31
	s_delay_alu instid0(VALU_DEP_1) | instskip(NEXT) | instid1(VALU_DEP_1)
	v_mul_f32_e32 v134, 0x3fb8aa3b, v133
	v_fma_f32 v135, 0x3fb8aa3b, v133, -v134
	v_rndne_f32_e32 v144, v134
	s_delay_alu instid0(VALU_DEP_1) | instskip(SKIP_1) | instid1(VALU_DEP_4)
	v_sub_f32_e32 v134, v134, v144
	v_cmp_ngt_f32_e32 vcc_lo, 0xc2ce8ed0, v133
	v_fmac_f32_e32 v135, 0x32a5705f, v133
	s_delay_alu instid0(VALU_DEP_1) | instskip(SKIP_1) | instid1(VALU_DEP_2)
	v_add_f32_e32 v134, v134, v135
	v_cvt_i32_f32_e32 v135, v144
	v_exp_f32_e32 v134, v134
	s_waitcnt_depctr 0xfff
	v_ldexp_f32 v134, v134, v135
	s_delay_alu instid0(VALU_DEP_1) | instskip(SKIP_1) | instid1(VALU_DEP_2)
	v_cndmask_b32_e32 v134, 0, v134, vcc_lo
	v_cmp_nlt_f32_e32 vcc_lo, 0x42b17218, v133
	v_cndmask_b32_e32 v135, 0x7f800000, v134, vcc_lo
	s_delay_alu instid0(VALU_DEP_1) | instskip(NEXT) | instid1(VALU_DEP_1)
	v_add_f32_e32 v144, 1.0, v135
	v_cvt_f64_f32_e32 v[133:134], v144
	s_delay_alu instid0(VALU_DEP_1) | instskip(SKIP_1) | instid1(VALU_DEP_1)
	v_frexp_exp_i32_f64_e32 v133, v[133:134]
	v_frexp_mant_f32_e32 v134, v144
	v_cmp_gt_f32_e32 vcc_lo, 0x3f2aaaab, v134
	v_add_f32_e32 v134, -1.0, v144
	v_cmp_gt_f32_e64 s30, 0x33800000, |v135|
	s_delay_alu instid0(VALU_DEP_2) | instskip(SKIP_3) | instid1(VALU_DEP_2)
	v_sub_f32_e32 v146, v134, v144
	v_sub_f32_e32 v134, v135, v134
	v_subrev_co_ci_u32_e32 v133, vcc_lo, 0, v133, vcc_lo
	v_cmp_eq_f32_e32 vcc_lo, 0x7f800000, v135
	v_sub_nc_u32_e32 v145, 0, v133
	v_cvt_f32_i32_e32 v133, v133
	s_or_b32 vcc_lo, vcc_lo, s30
	s_delay_alu instid0(VALU_DEP_2) | instskip(NEXT) | instid1(VALU_DEP_1)
	v_ldexp_f32 v144, v144, v145
	v_dual_add_f32 v147, 1.0, v144 :: v_dual_add_f32 v146, 1.0, v146
	s_delay_alu instid0(VALU_DEP_1) | instskip(NEXT) | instid1(VALU_DEP_2)
	v_add_f32_e32 v134, v134, v146
	v_add_f32_e32 v146, -1.0, v147
	s_delay_alu instid0(VALU_DEP_2) | instskip(NEXT) | instid1(VALU_DEP_2)
	v_ldexp_f32 v134, v134, v145
	v_dual_add_f32 v145, -1.0, v144 :: v_dual_sub_f32 v146, v144, v146
	s_delay_alu instid0(VALU_DEP_1) | instskip(NEXT) | instid1(VALU_DEP_2)
	v_add_f32_e32 v148, 1.0, v145
	v_add_f32_e32 v146, v134, v146
	s_delay_alu instid0(VALU_DEP_2) | instskip(NEXT) | instid1(VALU_DEP_2)
	v_sub_f32_e32 v144, v144, v148
	v_add_f32_e32 v148, v147, v146
	s_delay_alu instid0(VALU_DEP_2) | instskip(NEXT) | instid1(VALU_DEP_2)
	v_add_f32_e32 v134, v134, v144
	v_rcp_f32_e32 v144, v148
	v_sub_f32_e32 v147, v147, v148
	s_delay_alu instid0(VALU_DEP_1) | instskip(NEXT) | instid1(VALU_DEP_1)
	v_dual_add_f32 v149, v145, v134 :: v_dual_add_f32 v146, v146, v147
	v_sub_f32_e32 v145, v145, v149
	s_waitcnt_depctr 0xfff
	v_mul_f32_e32 v150, v149, v144
	s_delay_alu instid0(VALU_DEP_1) | instskip(NEXT) | instid1(VALU_DEP_1)
	v_dual_add_f32 v134, v134, v145 :: v_dual_mul_f32 v151, v148, v150
	v_fma_f32 v147, v150, v148, -v151
	s_delay_alu instid0(VALU_DEP_1) | instskip(NEXT) | instid1(VALU_DEP_1)
	v_fmac_f32_e32 v147, v150, v146
	v_add_f32_e32 v160, v151, v147
	s_delay_alu instid0(VALU_DEP_1) | instskip(SKIP_1) | instid1(VALU_DEP_2)
	v_sub_f32_e32 v161, v149, v160
	v_sub_f32_e32 v145, v160, v151
	;; [unrolled: 1-line block ×3, first 2 shown]
	s_delay_alu instid0(VALU_DEP_2) | instskip(NEXT) | instid1(VALU_DEP_2)
	v_sub_f32_e32 v145, v145, v147
	v_sub_f32_e32 v149, v149, v160
	s_delay_alu instid0(VALU_DEP_1) | instskip(NEXT) | instid1(VALU_DEP_1)
	v_add_f32_e32 v134, v134, v149
	v_add_f32_e32 v134, v145, v134
	s_delay_alu instid0(VALU_DEP_1) | instskip(NEXT) | instid1(VALU_DEP_1)
	v_add_f32_e32 v145, v161, v134
	v_mul_f32_e32 v147, v144, v145
	s_delay_alu instid0(VALU_DEP_1) | instskip(NEXT) | instid1(VALU_DEP_1)
	v_dual_sub_f32 v160, v161, v145 :: v_dual_mul_f32 v149, v148, v147
	v_add_f32_e32 v134, v134, v160
	s_delay_alu instid0(VALU_DEP_2) | instskip(NEXT) | instid1(VALU_DEP_1)
	v_fma_f32 v148, v147, v148, -v149
	v_fmac_f32_e32 v148, v147, v146
	s_delay_alu instid0(VALU_DEP_1) | instskip(NEXT) | instid1(VALU_DEP_1)
	v_add_f32_e32 v146, v149, v148
	v_sub_f32_e32 v151, v145, v146
	v_sub_f32_e32 v149, v146, v149
	s_delay_alu instid0(VALU_DEP_2) | instskip(NEXT) | instid1(VALU_DEP_1)
	v_sub_f32_e32 v145, v145, v151
	v_sub_f32_e32 v145, v145, v146
	s_delay_alu instid0(VALU_DEP_3) | instskip(NEXT) | instid1(VALU_DEP_2)
	v_sub_f32_e32 v146, v149, v148
	v_add_f32_e32 v134, v134, v145
	v_add_f32_e32 v145, v150, v147
	s_delay_alu instid0(VALU_DEP_2) | instskip(NEXT) | instid1(VALU_DEP_2)
	v_add_f32_e32 v134, v146, v134
	v_sub_f32_e32 v146, v145, v150
	s_delay_alu instid0(VALU_DEP_2) | instskip(NEXT) | instid1(VALU_DEP_2)
	v_add_f32_e32 v134, v151, v134
	v_sub_f32_e32 v146, v147, v146
	s_delay_alu instid0(VALU_DEP_2) | instskip(NEXT) | instid1(VALU_DEP_1)
	v_mul_f32_e32 v134, v144, v134
	v_add_f32_e32 v134, v146, v134
	s_delay_alu instid0(VALU_DEP_1) | instskip(NEXT) | instid1(VALU_DEP_1)
	v_add_f32_e32 v144, v145, v134
	v_mul_f32_e32 v146, v144, v144
	s_delay_alu instid0(VALU_DEP_1) | instskip(SKIP_1) | instid1(VALU_DEP_2)
	v_fmaak_f32 v147, s26, v146, 0x3ecc95a3
	v_mul_f32_e32 v148, v144, v146
	v_fmaak_f32 v146, v146, v147, 0x3f2aaada
	v_ldexp_f32 v147, v144, 1
	v_sub_f32_e32 v144, v144, v145
	s_delay_alu instid0(VALU_DEP_3) | instskip(SKIP_1) | instid1(VALU_DEP_2)
	v_mul_f32_e32 v146, v148, v146
	v_mul_f32_e32 v148, 0x3f317218, v133
	v_dual_sub_f32 v134, v134, v144 :: v_dual_add_f32 v145, v147, v146
	s_delay_alu instid0(VALU_DEP_1) | instskip(NEXT) | instid1(VALU_DEP_2)
	v_ldexp_f32 v134, v134, 1
	v_sub_f32_e32 v144, v145, v147
	s_delay_alu instid0(VALU_DEP_4) | instskip(NEXT) | instid1(VALU_DEP_1)
	v_fma_f32 v147, 0x3f317218, v133, -v148
	v_dual_sub_f32 v144, v146, v144 :: v_dual_fmac_f32 v147, 0xb102e308, v133
	s_delay_alu instid0(VALU_DEP_1) | instskip(NEXT) | instid1(VALU_DEP_1)
	v_dual_add_f32 v133, v134, v144 :: v_dual_add_f32 v134, v148, v147
	v_add_f32_e32 v144, v145, v133
	s_delay_alu instid0(VALU_DEP_2) | instskip(NEXT) | instid1(VALU_DEP_2)
	v_sub_f32_e32 v148, v134, v148
	v_dual_add_f32 v146, v134, v144 :: v_dual_sub_f32 v145, v144, v145
	s_delay_alu instid0(VALU_DEP_2) | instskip(NEXT) | instid1(VALU_DEP_2)
	v_sub_f32_e32 v147, v147, v148
	v_sub_f32_e32 v149, v146, v134
	s_delay_alu instid0(VALU_DEP_3) | instskip(NEXT) | instid1(VALU_DEP_2)
	v_sub_f32_e32 v133, v133, v145
	v_sub_f32_e32 v150, v146, v149
	v_sub_f32_e32 v144, v144, v149
	s_delay_alu instid0(VALU_DEP_2) | instskip(NEXT) | instid1(VALU_DEP_1)
	v_dual_add_f32 v145, v147, v133 :: v_dual_sub_f32 v134, v134, v150
	v_add_f32_e32 v134, v144, v134
	s_delay_alu instid0(VALU_DEP_2) | instskip(NEXT) | instid1(VALU_DEP_2)
	v_sub_f32_e32 v144, v145, v147
	v_add_f32_e32 v134, v145, v134
	s_delay_alu instid0(VALU_DEP_2) | instskip(NEXT) | instid1(VALU_DEP_2)
	v_sub_f32_e32 v145, v145, v144
	v_dual_sub_f32 v133, v133, v144 :: v_dual_add_f32 v148, v146, v134
	s_delay_alu instid0(VALU_DEP_1) | instskip(NEXT) | instid1(VALU_DEP_1)
	v_dual_sub_f32 v145, v147, v145 :: v_dual_sub_f32 v144, v148, v146
	v_dual_add_f32 v133, v133, v145 :: v_dual_sub_f32 v134, v134, v144
	s_delay_alu instid0(VALU_DEP_1) | instskip(NEXT) | instid1(VALU_DEP_1)
	v_add_f32_e32 v133, v133, v134
	v_add_f32_e32 v133, v148, v133
	s_delay_alu instid0(VALU_DEP_1) | instskip(NEXT) | instid1(VALU_DEP_1)
	v_cndmask_b32_e32 v133, v133, v135, vcc_lo
	v_add_f32_e32 v31, v31, v133
	s_delay_alu instid0(VALU_DEP_1)
	v_cvt_f16_f32_e64 v134, v31
.LBB430_172:                            ;   in Loop: Header=BB430_152 Depth=1
	s_or_b32 exec_lo, exec_lo, vcc_hi
	s_delay_alu instid0(VALU_DEP_1)
	v_and_b32_e32 v31, 0xffff, v134
	v_mov_b32_e32 v133, v134
.LBB430_173:                            ;   in Loop: Header=BB430_152 Depth=1
	s_or_b32 exec_lo, exec_lo, s27
	ds_bpermute_b32 v31, v131, v31
	s_mov_b32 s27, exec_lo
	v_cmpx_le_u32_e64 v132, v30
	s_cbranch_execz .LBB430_177
; %bb.174:                              ;   in Loop: Header=BB430_152 Depth=1
	s_waitcnt lgkmcnt(0)
	v_cvt_f32_f16_e32 v30, v31
	v_cvt_f32_f16_e64 v134, v133
	v_cmp_u_f16_e32 vcc_lo, v31, v31
	s_delay_alu instid0(VALU_DEP_2) | instskip(SKIP_1) | instid1(VALU_DEP_2)
	v_min_f32_e32 v135, v30, v134
	v_max_f32_e32 v144, v30, v134
	v_cndmask_b32_e32 v135, v135, v30, vcc_lo
	s_delay_alu instid0(VALU_DEP_2) | instskip(SKIP_1) | instid1(VALU_DEP_3)
	v_cndmask_b32_e32 v30, v144, v30, vcc_lo
	v_cmp_u_f16_e64 vcc_lo, v133, v133
	v_cndmask_b32_e32 v133, v135, v134, vcc_lo
	s_delay_alu instid0(VALU_DEP_3) | instskip(NEXT) | instid1(VALU_DEP_1)
	v_cndmask_b32_e32 v30, v30, v134, vcc_lo
	v_cmp_neq_f32_e32 vcc_lo, v133, v30
	v_cmp_class_f32_e64 vcc_hi, v133, 0x1f8
	s_delay_alu instid0(VALU_DEP_1) | instskip(NEXT) | instid1(SALU_CYCLE_1)
	s_or_b32 vcc_lo, vcc_lo, vcc_hi
	s_and_saveexec_b32 vcc_hi, vcc_lo
	s_cbranch_execz .LBB430_176
; %bb.175:                              ;   in Loop: Header=BB430_152 Depth=1
	v_sub_f32_e32 v31, v133, v30
	s_delay_alu instid0(VALU_DEP_1) | instskip(SKIP_1) | instid1(VALU_DEP_2)
	v_mul_f32_e32 v133, 0x3fb8aa3b, v31
	v_cmp_ngt_f32_e32 vcc_lo, 0xc2ce8ed0, v31
	v_fma_f32 v134, 0x3fb8aa3b, v31, -v133
	v_rndne_f32_e32 v135, v133
	s_delay_alu instid0(VALU_DEP_2) | instskip(NEXT) | instid1(VALU_DEP_2)
	v_fmac_f32_e32 v134, 0x32a5705f, v31
	v_sub_f32_e32 v133, v133, v135
	s_delay_alu instid0(VALU_DEP_1) | instskip(SKIP_1) | instid1(VALU_DEP_2)
	v_add_f32_e32 v133, v133, v134
	v_cvt_i32_f32_e32 v134, v135
	v_exp_f32_e32 v133, v133
	s_waitcnt_depctr 0xfff
	v_ldexp_f32 v133, v133, v134
	s_delay_alu instid0(VALU_DEP_1) | instskip(SKIP_1) | instid1(VALU_DEP_2)
	v_cndmask_b32_e32 v133, 0, v133, vcc_lo
	v_cmp_nlt_f32_e32 vcc_lo, 0x42b17218, v31
	v_cndmask_b32_e32 v31, 0x7f800000, v133, vcc_lo
	s_delay_alu instid0(VALU_DEP_1) | instskip(NEXT) | instid1(VALU_DEP_1)
	v_add_f32_e32 v135, 1.0, v31
	v_cvt_f64_f32_e32 v[133:134], v135
	s_delay_alu instid0(VALU_DEP_1) | instskip(SKIP_1) | instid1(VALU_DEP_1)
	v_frexp_exp_i32_f64_e32 v133, v[133:134]
	v_frexp_mant_f32_e32 v134, v135
	v_cmp_gt_f32_e32 vcc_lo, 0x3f2aaaab, v134
	v_add_f32_e32 v134, -1.0, v135
	s_delay_alu instid0(VALU_DEP_1) | instskip(NEXT) | instid1(VALU_DEP_1)
	v_dual_sub_f32 v145, v134, v135 :: v_dual_sub_f32 v134, v31, v134
	v_add_f32_e32 v145, 1.0, v145
	s_delay_alu instid0(VALU_DEP_1) | instskip(SKIP_1) | instid1(VALU_DEP_1)
	v_add_f32_e32 v134, v134, v145
	v_subrev_co_ci_u32_e32 v133, vcc_lo, 0, v133, vcc_lo
	v_sub_nc_u32_e32 v144, 0, v133
	v_cvt_f32_i32_e32 v133, v133
	s_delay_alu instid0(VALU_DEP_2) | instskip(SKIP_1) | instid1(VALU_DEP_2)
	v_ldexp_f32 v135, v135, v144
	v_ldexp_f32 v134, v134, v144
	v_add_f32_e32 v146, 1.0, v135
	v_add_f32_e32 v144, -1.0, v135
	v_cmp_eq_f32_e32 vcc_lo, 0x7f800000, v31
	v_cmp_gt_f32_e64 s30, 0x33800000, |v31|
	s_delay_alu instid0(VALU_DEP_4) | instskip(NEXT) | instid1(VALU_DEP_4)
	v_add_f32_e32 v145, -1.0, v146
	v_add_f32_e32 v147, 1.0, v144
	s_delay_alu instid0(VALU_DEP_3) | instskip(NEXT) | instid1(VALU_DEP_2)
	s_or_b32 vcc_lo, vcc_lo, s30
	v_sub_f32_e32 v145, v135, v145
	s_delay_alu instid0(VALU_DEP_2) | instskip(NEXT) | instid1(VALU_DEP_2)
	v_sub_f32_e32 v135, v135, v147
	v_add_f32_e32 v145, v134, v145
	s_delay_alu instid0(VALU_DEP_2) | instskip(NEXT) | instid1(VALU_DEP_1)
	v_add_f32_e32 v134, v134, v135
	v_add_f32_e32 v148, v144, v134
	s_delay_alu instid0(VALU_DEP_1) | instskip(NEXT) | instid1(VALU_DEP_1)
	v_dual_sub_f32 v144, v144, v148 :: v_dual_add_f32 v147, v146, v145
	v_add_f32_e32 v134, v134, v144
	s_delay_alu instid0(VALU_DEP_2) | instskip(SKIP_1) | instid1(VALU_DEP_1)
	v_rcp_f32_e32 v135, v147
	v_sub_f32_e32 v146, v146, v147
	v_add_f32_e32 v145, v145, v146
	s_waitcnt_depctr 0xfff
	v_mul_f32_e32 v149, v148, v135
	s_delay_alu instid0(VALU_DEP_1) | instskip(NEXT) | instid1(VALU_DEP_1)
	v_mul_f32_e32 v150, v147, v149
	v_fma_f32 v146, v149, v147, -v150
	s_delay_alu instid0(VALU_DEP_1) | instskip(NEXT) | instid1(VALU_DEP_1)
	v_fmac_f32_e32 v146, v149, v145
	v_add_f32_e32 v151, v150, v146
	s_delay_alu instid0(VALU_DEP_1) | instskip(SKIP_1) | instid1(VALU_DEP_2)
	v_sub_f32_e32 v160, v148, v151
	v_sub_f32_e32 v144, v151, v150
	;; [unrolled: 1-line block ×3, first 2 shown]
	s_delay_alu instid0(VALU_DEP_1) | instskip(NEXT) | instid1(VALU_DEP_3)
	v_sub_f32_e32 v148, v148, v151
	v_sub_f32_e32 v144, v144, v146
	s_delay_alu instid0(VALU_DEP_2) | instskip(NEXT) | instid1(VALU_DEP_1)
	v_add_f32_e32 v134, v134, v148
	v_add_f32_e32 v134, v144, v134
	s_delay_alu instid0(VALU_DEP_1) | instskip(NEXT) | instid1(VALU_DEP_1)
	v_add_f32_e32 v144, v160, v134
	v_mul_f32_e32 v146, v135, v144
	s_delay_alu instid0(VALU_DEP_1) | instskip(NEXT) | instid1(VALU_DEP_1)
	v_dual_sub_f32 v151, v160, v144 :: v_dual_mul_f32 v148, v147, v146
	v_add_f32_e32 v134, v134, v151
	s_delay_alu instid0(VALU_DEP_2) | instskip(NEXT) | instid1(VALU_DEP_1)
	v_fma_f32 v147, v146, v147, -v148
	v_fmac_f32_e32 v147, v146, v145
	s_delay_alu instid0(VALU_DEP_1) | instskip(NEXT) | instid1(VALU_DEP_1)
	v_add_f32_e32 v145, v148, v147
	v_sub_f32_e32 v150, v144, v145
	s_delay_alu instid0(VALU_DEP_1) | instskip(NEXT) | instid1(VALU_DEP_1)
	v_sub_f32_e32 v144, v144, v150
	v_sub_f32_e32 v144, v144, v145
	s_delay_alu instid0(VALU_DEP_1) | instskip(SKIP_2) | instid1(VALU_DEP_1)
	v_add_f32_e32 v134, v134, v144
	v_add_f32_e32 v144, v149, v146
	v_sub_f32_e32 v148, v145, v148
	v_sub_f32_e32 v145, v148, v147
	s_delay_alu instid0(VALU_DEP_1) | instskip(NEXT) | instid1(VALU_DEP_1)
	v_dual_add_f32 v134, v145, v134 :: v_dual_sub_f32 v145, v144, v149
	v_add_f32_e32 v134, v150, v134
	s_delay_alu instid0(VALU_DEP_1) | instskip(NEXT) | instid1(VALU_DEP_1)
	v_dual_sub_f32 v145, v146, v145 :: v_dual_mul_f32 v134, v135, v134
	v_add_f32_e32 v134, v145, v134
	s_delay_alu instid0(VALU_DEP_1) | instskip(NEXT) | instid1(VALU_DEP_1)
	v_add_f32_e32 v135, v144, v134
	v_mul_f32_e32 v145, v135, v135
	s_delay_alu instid0(VALU_DEP_1) | instskip(SKIP_1) | instid1(VALU_DEP_2)
	v_fmaak_f32 v146, s26, v145, 0x3ecc95a3
	v_mul_f32_e32 v147, v135, v145
	v_fmaak_f32 v145, v145, v146, 0x3f2aaada
	v_ldexp_f32 v146, v135, 1
	s_delay_alu instid0(VALU_DEP_2) | instskip(SKIP_1) | instid1(VALU_DEP_2)
	v_mul_f32_e32 v145, v147, v145
	v_mul_f32_e32 v147, 0x3f317218, v133
	v_dual_sub_f32 v135, v135, v144 :: v_dual_add_f32 v144, v146, v145
	s_delay_alu instid0(VALU_DEP_1) | instskip(NEXT) | instid1(VALU_DEP_3)
	v_dual_sub_f32 v134, v134, v135 :: v_dual_sub_f32 v135, v144, v146
	v_fma_f32 v146, 0x3f317218, v133, -v147
	s_delay_alu instid0(VALU_DEP_2) | instskip(NEXT) | instid1(VALU_DEP_2)
	v_ldexp_f32 v134, v134, 1
	v_dual_sub_f32 v135, v145, v135 :: v_dual_fmac_f32 v146, 0xb102e308, v133
	s_delay_alu instid0(VALU_DEP_1) | instskip(NEXT) | instid1(VALU_DEP_1)
	v_dual_add_f32 v133, v134, v135 :: v_dual_add_f32 v134, v147, v146
	v_add_f32_e32 v135, v144, v133
	s_delay_alu instid0(VALU_DEP_1) | instskip(NEXT) | instid1(VALU_DEP_1)
	v_add_f32_e32 v145, v134, v135
	v_sub_f32_e32 v148, v145, v134
	s_delay_alu instid0(VALU_DEP_1) | instskip(SKIP_1) | instid1(VALU_DEP_1)
	v_sub_f32_e32 v149, v145, v148
	v_sub_f32_e32 v144, v135, v144
	;; [unrolled: 1-line block ×4, first 2 shown]
	s_delay_alu instid0(VALU_DEP_1) | instskip(NEXT) | instid1(VALU_DEP_1)
	v_dual_sub_f32 v135, v135, v148 :: v_dual_sub_f32 v146, v146, v147
	v_add_f32_e32 v144, v146, v133
	v_sub_f32_e32 v134, v134, v149
	s_delay_alu instid0(VALU_DEP_1) | instskip(NEXT) | instid1(VALU_DEP_3)
	v_add_f32_e32 v134, v135, v134
	v_sub_f32_e32 v135, v144, v146
	s_delay_alu instid0(VALU_DEP_1) | instskip(NEXT) | instid1(VALU_DEP_1)
	v_dual_sub_f32 v133, v133, v135 :: v_dual_add_f32 v134, v144, v134
	v_dual_sub_f32 v144, v144, v135 :: v_dual_add_f32 v147, v145, v134
	s_delay_alu instid0(VALU_DEP_1) | instskip(NEXT) | instid1(VALU_DEP_1)
	v_dual_sub_f32 v135, v147, v145 :: v_dual_sub_f32 v144, v146, v144
	v_dual_sub_f32 v134, v134, v135 :: v_dual_add_f32 v133, v133, v144
	s_delay_alu instid0(VALU_DEP_1) | instskip(NEXT) | instid1(VALU_DEP_1)
	v_add_f32_e32 v133, v133, v134
	v_add_f32_e32 v133, v147, v133
	s_delay_alu instid0(VALU_DEP_1) | instskip(NEXT) | instid1(VALU_DEP_1)
	v_cndmask_b32_e32 v31, v133, v31, vcc_lo
	v_add_f32_e32 v30, v30, v31
	s_delay_alu instid0(VALU_DEP_1)
	v_cvt_f16_f32_e32 v31, v30
.LBB430_176:                            ;   in Loop: Header=BB430_152 Depth=1
	s_or_b32 exec_lo, exec_lo, vcc_hi
	s_delay_alu instid0(VALU_DEP_1)
	v_mov_b32_e32 v133, v31
.LBB430_177:                            ;   in Loop: Header=BB430_152 Depth=1
	s_or_b32 exec_lo, exec_lo, s27
	s_delay_alu instid0(VALU_DEP_1) | instskip(SKIP_4) | instid1(VALU_DEP_2)
	v_cvt_f32_f16_e64 v30, v133
	s_waitcnt lgkmcnt(1)
	v_cvt_f32_f16_e64 v134, v130
	v_cmp_u_f16_e64 vcc_lo, v133, v133
	s_waitcnt lgkmcnt(0)
	v_min_f32_e32 v31, v30, v134
	v_max_f32_e32 v135, v30, v134
	s_delay_alu instid0(VALU_DEP_2) | instskip(NEXT) | instid1(VALU_DEP_2)
	v_cndmask_b32_e32 v31, v31, v30, vcc_lo
	v_cndmask_b32_e32 v30, v135, v30, vcc_lo
	v_cmp_u_f16_e64 vcc_lo, v130, v130
	s_delay_alu instid0(VALU_DEP_3) | instskip(NEXT) | instid1(VALU_DEP_3)
	v_cndmask_b32_e32 v31, v31, v134, vcc_lo
	v_cndmask_b32_e32 v30, v30, v134, vcc_lo
	s_delay_alu instid0(VALU_DEP_2) | instskip(NEXT) | instid1(VALU_DEP_2)
	v_cmp_class_f32_e64 s27, v31, 0x1f8
	v_cmp_neq_f32_e32 vcc_lo, v31, v30
	s_delay_alu instid0(VALU_DEP_2) | instskip(NEXT) | instid1(SALU_CYCLE_1)
	s_or_b32 s27, vcc_lo, s27
	s_and_saveexec_b32 vcc_lo, s27
	s_delay_alu instid0(SALU_CYCLE_1)
	s_xor_b32 s27, exec_lo, vcc_lo
	s_cbranch_execz .LBB430_151
; %bb.178:                              ;   in Loop: Header=BB430_152 Depth=1
	v_sub_f32_e32 v31, v31, v30
	s_delay_alu instid0(VALU_DEP_1) | instskip(SKIP_1) | instid1(VALU_DEP_2)
	v_mul_f32_e32 v133, 0x3fb8aa3b, v31
	v_cmp_ngt_f32_e32 vcc_lo, 0xc2ce8ed0, v31
	v_fma_f32 v134, 0x3fb8aa3b, v31, -v133
	v_rndne_f32_e32 v135, v133
	s_delay_alu instid0(VALU_DEP_2) | instskip(NEXT) | instid1(VALU_DEP_2)
	v_fmac_f32_e32 v134, 0x32a5705f, v31
	v_sub_f32_e32 v133, v133, v135
	s_delay_alu instid0(VALU_DEP_1) | instskip(SKIP_1) | instid1(VALU_DEP_2)
	v_add_f32_e32 v133, v133, v134
	v_cvt_i32_f32_e32 v134, v135
	v_exp_f32_e32 v133, v133
	s_waitcnt_depctr 0xfff
	v_ldexp_f32 v133, v133, v134
	s_delay_alu instid0(VALU_DEP_1) | instskip(SKIP_1) | instid1(VALU_DEP_2)
	v_cndmask_b32_e32 v133, 0, v133, vcc_lo
	v_cmp_nlt_f32_e32 vcc_lo, 0x42b17218, v31
	v_cndmask_b32_e32 v31, 0x7f800000, v133, vcc_lo
	s_delay_alu instid0(VALU_DEP_1) | instskip(NEXT) | instid1(VALU_DEP_1)
	v_add_f32_e32 v135, 1.0, v31
	v_cvt_f64_f32_e32 v[133:134], v135
	s_delay_alu instid0(VALU_DEP_1) | instskip(SKIP_1) | instid1(VALU_DEP_1)
	v_frexp_exp_i32_f64_e32 v133, v[133:134]
	v_frexp_mant_f32_e32 v134, v135
	v_cmp_gt_f32_e32 vcc_lo, 0x3f2aaaab, v134
	v_add_f32_e32 v134, -1.0, v135
	s_delay_alu instid0(VALU_DEP_1) | instskip(NEXT) | instid1(VALU_DEP_1)
	v_dual_sub_f32 v145, v134, v135 :: v_dual_sub_f32 v134, v31, v134
	v_add_f32_e32 v145, 1.0, v145
	s_delay_alu instid0(VALU_DEP_1) | instskip(SKIP_1) | instid1(VALU_DEP_1)
	v_add_f32_e32 v134, v134, v145
	v_subrev_co_ci_u32_e32 v133, vcc_lo, 0, v133, vcc_lo
	v_sub_nc_u32_e32 v144, 0, v133
	v_cvt_f32_i32_e32 v133, v133
	s_delay_alu instid0(VALU_DEP_2) | instskip(SKIP_1) | instid1(VALU_DEP_2)
	v_ldexp_f32 v135, v135, v144
	v_ldexp_f32 v134, v134, v144
	v_add_f32_e32 v146, 1.0, v135
	v_add_f32_e32 v144, -1.0, v135
	v_cmp_eq_f32_e32 vcc_lo, 0x7f800000, v31
	v_cmp_gt_f32_e64 vcc_hi, 0x33800000, |v31|
	s_delay_alu instid0(VALU_DEP_4) | instskip(NEXT) | instid1(VALU_DEP_4)
	v_add_f32_e32 v145, -1.0, v146
	v_add_f32_e32 v147, 1.0, v144
	s_delay_alu instid0(VALU_DEP_3) | instskip(NEXT) | instid1(VALU_DEP_2)
	s_or_b32 vcc_lo, vcc_lo, vcc_hi
	v_sub_f32_e32 v145, v135, v145
	s_delay_alu instid0(VALU_DEP_2) | instskip(NEXT) | instid1(VALU_DEP_2)
	v_sub_f32_e32 v135, v135, v147
	v_add_f32_e32 v145, v134, v145
	s_delay_alu instid0(VALU_DEP_2) | instskip(NEXT) | instid1(VALU_DEP_1)
	v_add_f32_e32 v134, v134, v135
	v_add_f32_e32 v148, v144, v134
	s_delay_alu instid0(VALU_DEP_1) | instskip(NEXT) | instid1(VALU_DEP_1)
	v_dual_sub_f32 v144, v144, v148 :: v_dual_add_f32 v147, v146, v145
	v_add_f32_e32 v134, v134, v144
	s_delay_alu instid0(VALU_DEP_2) | instskip(SKIP_1) | instid1(VALU_DEP_1)
	v_rcp_f32_e32 v135, v147
	v_sub_f32_e32 v146, v146, v147
	v_add_f32_e32 v145, v145, v146
	s_waitcnt_depctr 0xfff
	v_mul_f32_e32 v149, v148, v135
	s_delay_alu instid0(VALU_DEP_1) | instskip(NEXT) | instid1(VALU_DEP_1)
	v_mul_f32_e32 v150, v147, v149
	v_fma_f32 v146, v149, v147, -v150
	s_delay_alu instid0(VALU_DEP_1) | instskip(NEXT) | instid1(VALU_DEP_1)
	v_fmac_f32_e32 v146, v149, v145
	v_add_f32_e32 v151, v150, v146
	s_delay_alu instid0(VALU_DEP_1) | instskip(SKIP_1) | instid1(VALU_DEP_2)
	v_sub_f32_e32 v160, v148, v151
	v_sub_f32_e32 v144, v151, v150
	;; [unrolled: 1-line block ×3, first 2 shown]
	s_delay_alu instid0(VALU_DEP_1) | instskip(NEXT) | instid1(VALU_DEP_3)
	v_sub_f32_e32 v148, v148, v151
	v_sub_f32_e32 v144, v144, v146
	s_delay_alu instid0(VALU_DEP_2) | instskip(NEXT) | instid1(VALU_DEP_1)
	v_add_f32_e32 v134, v134, v148
	v_add_f32_e32 v134, v144, v134
	s_delay_alu instid0(VALU_DEP_1) | instskip(NEXT) | instid1(VALU_DEP_1)
	v_add_f32_e32 v144, v160, v134
	v_mul_f32_e32 v146, v135, v144
	s_delay_alu instid0(VALU_DEP_1) | instskip(NEXT) | instid1(VALU_DEP_1)
	v_dual_sub_f32 v151, v160, v144 :: v_dual_mul_f32 v148, v147, v146
	v_add_f32_e32 v134, v134, v151
	s_delay_alu instid0(VALU_DEP_2) | instskip(NEXT) | instid1(VALU_DEP_1)
	v_fma_f32 v147, v146, v147, -v148
	v_fmac_f32_e32 v147, v146, v145
	s_delay_alu instid0(VALU_DEP_1) | instskip(NEXT) | instid1(VALU_DEP_1)
	v_add_f32_e32 v145, v148, v147
	v_sub_f32_e32 v150, v144, v145
	s_delay_alu instid0(VALU_DEP_1) | instskip(NEXT) | instid1(VALU_DEP_1)
	v_sub_f32_e32 v144, v144, v150
	v_sub_f32_e32 v144, v144, v145
	s_delay_alu instid0(VALU_DEP_1) | instskip(SKIP_2) | instid1(VALU_DEP_1)
	v_add_f32_e32 v134, v134, v144
	v_add_f32_e32 v144, v149, v146
	v_sub_f32_e32 v148, v145, v148
	v_sub_f32_e32 v145, v148, v147
	s_delay_alu instid0(VALU_DEP_1) | instskip(NEXT) | instid1(VALU_DEP_1)
	v_dual_add_f32 v134, v145, v134 :: v_dual_sub_f32 v145, v144, v149
	v_add_f32_e32 v134, v150, v134
	s_delay_alu instid0(VALU_DEP_1) | instskip(NEXT) | instid1(VALU_DEP_1)
	v_dual_sub_f32 v145, v146, v145 :: v_dual_mul_f32 v134, v135, v134
	v_add_f32_e32 v134, v145, v134
	s_delay_alu instid0(VALU_DEP_1) | instskip(NEXT) | instid1(VALU_DEP_1)
	v_add_f32_e32 v135, v144, v134
	v_mul_f32_e32 v145, v135, v135
	s_delay_alu instid0(VALU_DEP_1) | instskip(SKIP_1) | instid1(VALU_DEP_2)
	v_fmaak_f32 v146, s26, v145, 0x3ecc95a3
	v_mul_f32_e32 v147, v135, v145
	v_fmaak_f32 v145, v145, v146, 0x3f2aaada
	v_ldexp_f32 v146, v135, 1
	s_delay_alu instid0(VALU_DEP_2) | instskip(SKIP_1) | instid1(VALU_DEP_2)
	v_mul_f32_e32 v145, v147, v145
	v_mul_f32_e32 v147, 0x3f317218, v133
	v_dual_sub_f32 v135, v135, v144 :: v_dual_add_f32 v144, v146, v145
	s_delay_alu instid0(VALU_DEP_1) | instskip(NEXT) | instid1(VALU_DEP_3)
	v_dual_sub_f32 v134, v134, v135 :: v_dual_sub_f32 v135, v144, v146
	v_fma_f32 v146, 0x3f317218, v133, -v147
	s_delay_alu instid0(VALU_DEP_2) | instskip(NEXT) | instid1(VALU_DEP_2)
	v_ldexp_f32 v134, v134, 1
	v_dual_sub_f32 v135, v145, v135 :: v_dual_fmac_f32 v146, 0xb102e308, v133
	s_delay_alu instid0(VALU_DEP_1) | instskip(NEXT) | instid1(VALU_DEP_1)
	v_dual_add_f32 v133, v134, v135 :: v_dual_add_f32 v134, v147, v146
	v_add_f32_e32 v135, v144, v133
	s_delay_alu instid0(VALU_DEP_1) | instskip(NEXT) | instid1(VALU_DEP_1)
	v_add_f32_e32 v145, v134, v135
	v_sub_f32_e32 v148, v145, v134
	s_delay_alu instid0(VALU_DEP_1) | instskip(SKIP_1) | instid1(VALU_DEP_1)
	v_sub_f32_e32 v149, v145, v148
	v_sub_f32_e32 v144, v135, v144
	;; [unrolled: 1-line block ×4, first 2 shown]
	s_delay_alu instid0(VALU_DEP_1) | instskip(NEXT) | instid1(VALU_DEP_1)
	v_dual_sub_f32 v135, v135, v148 :: v_dual_sub_f32 v146, v146, v147
	v_add_f32_e32 v144, v146, v133
	v_sub_f32_e32 v134, v134, v149
	s_delay_alu instid0(VALU_DEP_1) | instskip(NEXT) | instid1(VALU_DEP_3)
	v_add_f32_e32 v134, v135, v134
	v_sub_f32_e32 v135, v144, v146
	s_delay_alu instid0(VALU_DEP_1) | instskip(NEXT) | instid1(VALU_DEP_1)
	v_dual_sub_f32 v133, v133, v135 :: v_dual_add_f32 v134, v144, v134
	v_dual_sub_f32 v144, v144, v135 :: v_dual_add_f32 v147, v145, v134
	s_delay_alu instid0(VALU_DEP_1) | instskip(NEXT) | instid1(VALU_DEP_1)
	v_dual_sub_f32 v135, v147, v145 :: v_dual_sub_f32 v144, v146, v144
	v_dual_sub_f32 v134, v134, v135 :: v_dual_add_f32 v133, v133, v144
	s_delay_alu instid0(VALU_DEP_1) | instskip(NEXT) | instid1(VALU_DEP_1)
	v_add_f32_e32 v133, v133, v134
	v_add_f32_e32 v133, v147, v133
	s_delay_alu instid0(VALU_DEP_1) | instskip(NEXT) | instid1(VALU_DEP_1)
	v_cndmask_b32_e32 v31, v133, v31, vcc_lo
	v_add_f32_e32 v30, v30, v31
	s_delay_alu instid0(VALU_DEP_1)
	v_cvt_f16_f32_e64 v133, v30
	s_branch .LBB430_151
.LBB430_179:                            ;   in Loop: Header=BB430_152 Depth=1
                                        ; implicit-def: $vgpr133
                                        ; implicit-def: $vgpr113
	s_cbranch_execz .LBB430_152
; %bb.180:
	s_and_saveexec_b32 s26, s25
	s_cbranch_execz .LBB430_184
; %bb.181:
	v_cvt_f32_f16_e64 v28, v130
	v_cvt_f32_f16_e32 v29, v103
	v_cmp_u_f16_e64 vcc_lo, v130, v130
	s_delay_alu instid0(VALU_DEP_2) | instskip(NEXT) | instid1(VALU_DEP_1)
	v_min_f32_e32 v30, v28, v29
	v_dual_max_f32 v31, v28, v29 :: v_dual_cndmask_b32 v30, v30, v28
	s_delay_alu instid0(VALU_DEP_1) | instskip(SKIP_1) | instid1(VALU_DEP_3)
	v_cndmask_b32_e32 v28, v31, v28, vcc_lo
	v_cmp_u_f16_e32 vcc_lo, v103, v103
	v_cndmask_b32_e32 v30, v30, v29, vcc_lo
	s_delay_alu instid0(VALU_DEP_3) | instskip(NEXT) | instid1(VALU_DEP_2)
	v_dual_cndmask_b32 v28, v28, v29 :: v_dual_mov_b32 v29, v130
	v_cmp_class_f32_e64 s25, v30, 0x1f8
	s_delay_alu instid0(VALU_DEP_2) | instskip(NEXT) | instid1(VALU_DEP_2)
	v_cmp_neq_f32_e32 vcc_lo, v30, v28
	s_or_b32 s27, vcc_lo, s25
	s_delay_alu instid0(SALU_CYCLE_1)
	s_and_saveexec_b32 s25, s27
	s_cbranch_execz .LBB430_183
; %bb.182:
	v_sub_f32_e32 v29, v30, v28
	s_mov_b32 s27, 0x3e9b6dac
	s_delay_alu instid0(VALU_DEP_1) | instskip(SKIP_1) | instid1(VALU_DEP_2)
	v_mul_f32_e32 v30, 0x3fb8aa3b, v29
	v_cmp_ngt_f32_e32 vcc_lo, 0xc2ce8ed0, v29
	v_fma_f32 v31, 0x3fb8aa3b, v29, -v30
	v_rndne_f32_e32 v103, v30
	s_delay_alu instid0(VALU_DEP_1) | instskip(NEXT) | instid1(VALU_DEP_1)
	v_dual_fmamk_f32 v31, v29, 0x32a5705f, v31 :: v_dual_sub_f32 v30, v30, v103
	v_add_f32_e32 v30, v30, v31
	v_cvt_i32_f32_e32 v31, v103
	s_delay_alu instid0(VALU_DEP_2) | instskip(SKIP_2) | instid1(VALU_DEP_1)
	v_exp_f32_e32 v30, v30
	s_waitcnt_depctr 0xfff
	v_ldexp_f32 v30, v30, v31
	v_cndmask_b32_e32 v30, 0, v30, vcc_lo
	v_cmp_nlt_f32_e32 vcc_lo, 0x42b17218, v29
	s_delay_alu instid0(VALU_DEP_2) | instskip(NEXT) | instid1(VALU_DEP_1)
	v_cndmask_b32_e32 v31, 0x7f800000, v30, vcc_lo
	v_add_f32_e32 v103, 1.0, v31
	s_delay_alu instid0(VALU_DEP_1) | instskip(NEXT) | instid1(VALU_DEP_1)
	v_cvt_f64_f32_e32 v[29:30], v103
	v_frexp_exp_i32_f64_e32 v29, v[29:30]
	v_frexp_mant_f32_e32 v30, v103
	s_delay_alu instid0(VALU_DEP_1) | instskip(SKIP_1) | instid1(VALU_DEP_1)
	v_cmp_gt_f32_e32 vcc_lo, 0x3f2aaaab, v30
	v_add_f32_e32 v30, -1.0, v103
	v_dual_sub_f32 v113, v30, v103 :: v_dual_sub_f32 v30, v31, v30
	s_delay_alu instid0(VALU_DEP_1) | instskip(SKIP_2) | instid1(VALU_DEP_2)
	v_add_f32_e32 v113, 1.0, v113
	v_subrev_co_ci_u32_e32 v29, vcc_lo, 0, v29, vcc_lo
	v_cmp_eq_f32_e32 vcc_lo, 0x7f800000, v31
	v_sub_nc_u32_e32 v112, 0, v29
	v_cvt_f32_i32_e32 v29, v29
	s_delay_alu instid0(VALU_DEP_2) | instskip(NEXT) | instid1(VALU_DEP_1)
	v_ldexp_f32 v103, v103, v112
	v_add_f32_e32 v114, 1.0, v103
	s_delay_alu instid0(VALU_DEP_1) | instskip(NEXT) | instid1(VALU_DEP_1)
	v_dual_add_f32 v30, v30, v113 :: v_dual_add_f32 v113, -1.0, v114
	v_ldexp_f32 v30, v30, v112
	s_delay_alu instid0(VALU_DEP_2) | instskip(NEXT) | instid1(VALU_DEP_1)
	v_dual_sub_f32 v113, v103, v113 :: v_dual_add_f32 v112, -1.0, v103
	v_add_f32_e32 v113, v30, v113
	s_delay_alu instid0(VALU_DEP_2) | instskip(NEXT) | instid1(VALU_DEP_1)
	v_add_f32_e32 v115, 1.0, v112
	v_sub_f32_e32 v103, v103, v115
	s_delay_alu instid0(VALU_DEP_1) | instskip(NEXT) | instid1(VALU_DEP_1)
	v_add_f32_e32 v30, v30, v103
	v_dual_add_f32 v116, v112, v30 :: v_dual_add_f32 v115, v114, v113
	s_delay_alu instid0(VALU_DEP_1) | instskip(NEXT) | instid1(VALU_DEP_2)
	v_sub_f32_e32 v112, v112, v116
	v_rcp_f32_e32 v103, v115
	v_sub_f32_e32 v114, v114, v115
	s_delay_alu instid0(VALU_DEP_1) | instskip(SKIP_2) | instid1(VALU_DEP_1)
	v_dual_add_f32 v30, v30, v112 :: v_dual_add_f32 v113, v113, v114
	s_waitcnt_depctr 0xfff
	v_mul_f32_e32 v117, v116, v103
	v_mul_f32_e32 v118, v115, v117
	s_delay_alu instid0(VALU_DEP_1) | instskip(NEXT) | instid1(VALU_DEP_1)
	v_fma_f32 v114, v117, v115, -v118
	v_fmac_f32_e32 v114, v117, v113
	s_delay_alu instid0(VALU_DEP_1) | instskip(NEXT) | instid1(VALU_DEP_1)
	v_add_f32_e32 v119, v118, v114
	v_sub_f32_e32 v128, v116, v119
	s_delay_alu instid0(VALU_DEP_1) | instskip(SKIP_1) | instid1(VALU_DEP_2)
	v_sub_f32_e32 v116, v116, v128
	v_sub_f32_e32 v112, v119, v118
	;; [unrolled: 1-line block ×3, first 2 shown]
	s_delay_alu instid0(VALU_DEP_2) | instskip(NEXT) | instid1(VALU_DEP_2)
	v_sub_f32_e32 v112, v112, v114
	v_add_f32_e32 v30, v30, v116
	s_delay_alu instid0(VALU_DEP_1) | instskip(NEXT) | instid1(VALU_DEP_1)
	v_add_f32_e32 v30, v112, v30
	v_add_f32_e32 v112, v128, v30
	s_delay_alu instid0(VALU_DEP_1) | instskip(NEXT) | instid1(VALU_DEP_1)
	v_mul_f32_e32 v114, v103, v112
	v_dual_sub_f32 v119, v128, v112 :: v_dual_mul_f32 v116, v115, v114
	s_delay_alu instid0(VALU_DEP_1) | instskip(NEXT) | instid1(VALU_DEP_2)
	v_add_f32_e32 v30, v30, v119
	v_fma_f32 v115, v114, v115, -v116
	s_delay_alu instid0(VALU_DEP_1) | instskip(NEXT) | instid1(VALU_DEP_1)
	v_fmac_f32_e32 v115, v114, v113
	v_add_f32_e32 v113, v116, v115
	s_delay_alu instid0(VALU_DEP_1) | instskip(SKIP_1) | instid1(VALU_DEP_2)
	v_sub_f32_e32 v118, v112, v113
	v_sub_f32_e32 v116, v113, v116
	;; [unrolled: 1-line block ×3, first 2 shown]
	s_delay_alu instid0(VALU_DEP_1) | instskip(NEXT) | instid1(VALU_DEP_1)
	v_sub_f32_e32 v112, v112, v113
	v_dual_sub_f32 v113, v116, v115 :: v_dual_add_f32 v30, v30, v112
	v_add_f32_e32 v112, v117, v114
	s_delay_alu instid0(VALU_DEP_1) | instskip(NEXT) | instid1(VALU_DEP_1)
	v_dual_add_f32 v30, v113, v30 :: v_dual_sub_f32 v113, v112, v117
	v_add_f32_e32 v30, v118, v30
	s_delay_alu instid0(VALU_DEP_1) | instskip(NEXT) | instid1(VALU_DEP_1)
	v_dual_sub_f32 v113, v114, v113 :: v_dual_mul_f32 v30, v103, v30
	v_add_f32_e32 v30, v113, v30
	s_delay_alu instid0(VALU_DEP_1) | instskip(NEXT) | instid1(VALU_DEP_1)
	v_add_f32_e32 v103, v112, v30
	v_mul_f32_e32 v113, v103, v103
	s_delay_alu instid0(VALU_DEP_1) | instskip(SKIP_2) | instid1(VALU_DEP_3)
	v_fmaak_f32 v114, s27, v113, 0x3ecc95a3
	v_mul_f32_e32 v115, v103, v113
	v_cmp_gt_f32_e64 s27, 0x33800000, |v31|
	v_fmaak_f32 v113, v113, v114, 0x3f2aaada
	v_ldexp_f32 v114, v103, 1
	v_sub_f32_e32 v103, v103, v112
	s_delay_alu instid0(VALU_DEP_4) | instskip(NEXT) | instid1(VALU_DEP_3)
	s_or_b32 vcc_lo, vcc_lo, s27
	v_mul_f32_e32 v113, v115, v113
	s_delay_alu instid0(VALU_DEP_2) | instskip(NEXT) | instid1(VALU_DEP_2)
	v_dual_mul_f32 v115, 0x3f317218, v29 :: v_dual_sub_f32 v30, v30, v103
	v_add_f32_e32 v112, v114, v113
	s_delay_alu instid0(VALU_DEP_2) | instskip(NEXT) | instid1(VALU_DEP_2)
	v_ldexp_f32 v30, v30, 1
	v_sub_f32_e32 v103, v112, v114
	s_delay_alu instid0(VALU_DEP_4) | instskip(NEXT) | instid1(VALU_DEP_2)
	v_fma_f32 v114, 0x3f317218, v29, -v115
	v_sub_f32_e32 v103, v113, v103
	s_delay_alu instid0(VALU_DEP_1) | instskip(NEXT) | instid1(VALU_DEP_1)
	v_dual_fmamk_f32 v29, v29, 0xb102e308, v114 :: v_dual_add_f32 v30, v30, v103
	v_add_f32_e32 v103, v115, v29
	s_delay_alu instid0(VALU_DEP_2) | instskip(NEXT) | instid1(VALU_DEP_2)
	v_add_f32_e32 v113, v112, v30
	v_sub_f32_e32 v115, v103, v115
	s_delay_alu instid0(VALU_DEP_2) | instskip(SKIP_1) | instid1(VALU_DEP_3)
	v_add_f32_e32 v114, v103, v113
	v_sub_f32_e32 v112, v113, v112
	v_sub_f32_e32 v29, v29, v115
	s_delay_alu instid0(VALU_DEP_3) | instskip(NEXT) | instid1(VALU_DEP_3)
	v_sub_f32_e32 v116, v114, v103
	v_sub_f32_e32 v30, v30, v112
	s_delay_alu instid0(VALU_DEP_2) | instskip(SKIP_1) | instid1(VALU_DEP_3)
	v_sub_f32_e32 v117, v114, v116
	v_sub_f32_e32 v112, v113, v116
	v_add_f32_e32 v113, v29, v30
	s_delay_alu instid0(VALU_DEP_3) | instskip(NEXT) | instid1(VALU_DEP_1)
	v_sub_f32_e32 v103, v103, v117
	v_dual_add_f32 v103, v112, v103 :: v_dual_sub_f32 v112, v113, v29
	s_delay_alu instid0(VALU_DEP_1) | instskip(NEXT) | instid1(VALU_DEP_2)
	v_add_f32_e32 v103, v113, v103
	v_sub_f32_e32 v113, v113, v112
	v_sub_f32_e32 v30, v30, v112
	s_delay_alu instid0(VALU_DEP_3) | instskip(NEXT) | instid1(VALU_DEP_1)
	v_add_f32_e32 v115, v114, v103
	v_dual_sub_f32 v29, v29, v113 :: v_dual_sub_f32 v112, v115, v114
	s_delay_alu instid0(VALU_DEP_1) | instskip(NEXT) | instid1(VALU_DEP_1)
	v_dual_add_f32 v29, v30, v29 :: v_dual_sub_f32 v30, v103, v112
	v_add_f32_e32 v29, v29, v30
	s_delay_alu instid0(VALU_DEP_1) | instskip(NEXT) | instid1(VALU_DEP_1)
	v_add_f32_e32 v29, v115, v29
	v_cndmask_b32_e32 v29, v29, v31, vcc_lo
	s_delay_alu instid0(VALU_DEP_1) | instskip(NEXT) | instid1(VALU_DEP_1)
	v_add_f32_e32 v28, v28, v29
	v_cvt_f16_f32_e32 v29, v28
.LBB430_183:
	s_or_b32 exec_lo, exec_lo, s25
	s_add_i32 vcc_lo, s28, 32
	s_mov_b32 vcc_hi, 0
	s_delay_alu instid0(VALU_DEP_1) | instskip(SKIP_1) | instid1(SALU_CYCLE_1)
	v_and_b32_e32 v30, 0xffff, v29
	s_lshl_b64 vcc, vcc, 2
	v_add_co_u32 v28, vcc_lo, v18, vcc_lo
	v_add_co_ci_u32_e32 v29, vcc_lo, vcc_hi, v19, vcc_lo
	s_delay_alu instid0(VALU_DEP_3)
	v_or_b32_e32 v30, 0x20000, v30
	flat_store_b32 v[28:29], v30
.LBB430_184:
	s_or_b32 exec_lo, exec_lo, s26
	s_delay_alu instid0(SALU_CYCLE_1)
	s_and_b32 exec_lo, exec_lo, s2
	s_cbranch_execz .LBB430_186
; %bb.185:
	v_mov_b32_e32 v28, 0
	ds_store_b16 v28, v130
.LBB430_186:
	s_or_b32 exec_lo, exec_lo, s29
	v_mov_b32_e32 v28, 0
	s_waitcnt lgkmcnt(0)
	s_waitcnt_vscnt null, 0x0
	s_barrier
	buffer_gl0_inv
	ds_load_u16 v103, v28
	v_mov_b32_e32 v28, v12
	s_and_saveexec_b32 s25, s1
	s_cbranch_execz .LBB430_190
; %bb.187:
	v_cvt_f32_f16_e32 v29, v102
	v_max_f32_e32 v28, v101, v101
	v_cmp_u_f16_e32 vcc_lo, v102, v102
	s_delay_alu instid0(VALU_DEP_2) | instskip(SKIP_1) | instid1(VALU_DEP_2)
	v_min_f32_e32 v30, v29, v28
	v_max_f32_e32 v28, v29, v28
	v_cndmask_b32_e32 v30, v30, v29, vcc_lo
	s_delay_alu instid0(VALU_DEP_2) | instskip(NEXT) | instid1(VALU_DEP_2)
	v_cndmask_b32_e32 v28, v28, v29, vcc_lo
	v_cndmask_b32_e64 v30, v30, v101, s24
	s_delay_alu instid0(VALU_DEP_2) | instskip(NEXT) | instid1(VALU_DEP_2)
	v_cndmask_b32_e64 v28, v28, v101, s24
	v_cmp_class_f32_e64 s24, v30, 0x1f8
	s_delay_alu instid0(VALU_DEP_2) | instskip(NEXT) | instid1(VALU_DEP_2)
	v_cmp_neq_f32_e32 vcc_lo, v30, v28
	s_or_b32 s26, vcc_lo, s24
	s_delay_alu instid0(SALU_CYCLE_1)
	s_and_saveexec_b32 s24, s26
	s_cbranch_execz .LBB430_189
; %bb.188:
	v_sub_f32_e32 v29, v30, v28
	s_mov_b32 s26, 0x3e9b6dac
	s_delay_alu instid0(VALU_DEP_1) | instskip(SKIP_1) | instid1(VALU_DEP_2)
	v_mul_f32_e32 v30, 0x3fb8aa3b, v29
	v_cmp_ngt_f32_e32 vcc_lo, 0xc2ce8ed0, v29
	v_fma_f32 v31, 0x3fb8aa3b, v29, -v30
	v_rndne_f32_e32 v101, v30
	s_delay_alu instid0(VALU_DEP_1) | instskip(NEXT) | instid1(VALU_DEP_1)
	v_dual_fmamk_f32 v31, v29, 0x32a5705f, v31 :: v_dual_sub_f32 v30, v30, v101
	v_add_f32_e32 v30, v30, v31
	v_cvt_i32_f32_e32 v31, v101
	s_delay_alu instid0(VALU_DEP_2) | instskip(SKIP_2) | instid1(VALU_DEP_1)
	v_exp_f32_e32 v30, v30
	s_waitcnt_depctr 0xfff
	v_ldexp_f32 v30, v30, v31
	v_cndmask_b32_e32 v30, 0, v30, vcc_lo
	v_cmp_nlt_f32_e32 vcc_lo, 0x42b17218, v29
	s_delay_alu instid0(VALU_DEP_2) | instskip(NEXT) | instid1(VALU_DEP_1)
	v_cndmask_b32_e32 v31, 0x7f800000, v30, vcc_lo
	v_add_f32_e32 v101, 1.0, v31
	s_delay_alu instid0(VALU_DEP_1) | instskip(NEXT) | instid1(VALU_DEP_1)
	v_cvt_f64_f32_e32 v[29:30], v101
	v_frexp_exp_i32_f64_e32 v29, v[29:30]
	v_frexp_mant_f32_e32 v30, v101
	s_delay_alu instid0(VALU_DEP_1) | instskip(SKIP_1) | instid1(VALU_DEP_1)
	v_cmp_gt_f32_e32 vcc_lo, 0x3f2aaaab, v30
	v_add_f32_e32 v30, -1.0, v101
	v_sub_f32_e32 v112, v30, v101
	v_sub_f32_e32 v30, v31, v30
	s_delay_alu instid0(VALU_DEP_2) | instskip(SKIP_2) | instid1(VALU_DEP_2)
	v_add_f32_e32 v112, 1.0, v112
	v_subrev_co_ci_u32_e32 v29, vcc_lo, 0, v29, vcc_lo
	v_cmp_eq_f32_e32 vcc_lo, 0x7f800000, v31
	v_sub_nc_u32_e32 v102, 0, v29
	v_cvt_f32_i32_e32 v29, v29
	s_delay_alu instid0(VALU_DEP_2) | instskip(NEXT) | instid1(VALU_DEP_1)
	v_ldexp_f32 v101, v101, v102
	v_dual_add_f32 v113, 1.0, v101 :: v_dual_add_f32 v30, v30, v112
	s_delay_alu instid0(VALU_DEP_1) | instskip(NEXT) | instid1(VALU_DEP_2)
	v_add_f32_e32 v112, -1.0, v113
	v_ldexp_f32 v30, v30, v102
	v_add_f32_e32 v102, -1.0, v101
	s_delay_alu instid0(VALU_DEP_3) | instskip(NEXT) | instid1(VALU_DEP_2)
	v_sub_f32_e32 v112, v101, v112
	v_add_f32_e32 v114, 1.0, v102
	s_delay_alu instid0(VALU_DEP_1) | instskip(NEXT) | instid1(VALU_DEP_1)
	v_dual_add_f32 v112, v30, v112 :: v_dual_sub_f32 v101, v101, v114
	v_add_f32_e32 v114, v113, v112
	s_delay_alu instid0(VALU_DEP_2) | instskip(NEXT) | instid1(VALU_DEP_2)
	v_add_f32_e32 v30, v30, v101
	v_rcp_f32_e32 v101, v114
	v_sub_f32_e32 v113, v113, v114
	s_delay_alu instid0(VALU_DEP_1) | instskip(SKIP_2) | instid1(VALU_DEP_1)
	v_dual_add_f32 v115, v102, v30 :: v_dual_add_f32 v112, v112, v113
	s_waitcnt_depctr 0xfff
	v_mul_f32_e32 v116, v115, v101
	v_mul_f32_e32 v117, v114, v116
	s_delay_alu instid0(VALU_DEP_1) | instskip(NEXT) | instid1(VALU_DEP_1)
	v_fma_f32 v113, v116, v114, -v117
	v_dual_fmac_f32 v113, v116, v112 :: v_dual_sub_f32 v102, v102, v115
	s_delay_alu instid0(VALU_DEP_1) | instskip(NEXT) | instid1(VALU_DEP_2)
	v_add_f32_e32 v118, v117, v113
	v_add_f32_e32 v30, v30, v102
	s_delay_alu instid0(VALU_DEP_2) | instskip(NEXT) | instid1(VALU_DEP_1)
	v_dual_sub_f32 v119, v115, v118 :: v_dual_sub_f32 v102, v118, v117
	v_dual_sub_f32 v115, v115, v119 :: v_dual_sub_f32 v102, v102, v113
	s_delay_alu instid0(VALU_DEP_1) | instskip(NEXT) | instid1(VALU_DEP_1)
	v_sub_f32_e32 v115, v115, v118
	v_add_f32_e32 v30, v30, v115
	s_delay_alu instid0(VALU_DEP_1) | instskip(NEXT) | instid1(VALU_DEP_1)
	v_add_f32_e32 v30, v102, v30
	v_add_f32_e32 v102, v119, v30
	s_delay_alu instid0(VALU_DEP_1) | instskip(NEXT) | instid1(VALU_DEP_1)
	v_mul_f32_e32 v113, v101, v102
	v_dual_mul_f32 v115, v114, v113 :: v_dual_sub_f32 v118, v119, v102
	s_delay_alu instid0(VALU_DEP_1) | instskip(NEXT) | instid1(VALU_DEP_2)
	v_fma_f32 v114, v113, v114, -v115
	v_add_f32_e32 v30, v30, v118
	s_delay_alu instid0(VALU_DEP_2) | instskip(NEXT) | instid1(VALU_DEP_1)
	v_fmac_f32_e32 v114, v113, v112
	v_add_f32_e32 v112, v115, v114
	s_delay_alu instid0(VALU_DEP_1) | instskip(NEXT) | instid1(VALU_DEP_1)
	v_sub_f32_e32 v117, v102, v112
	v_dual_sub_f32 v115, v112, v115 :: v_dual_sub_f32 v102, v102, v117
	s_delay_alu instid0(VALU_DEP_1) | instskip(NEXT) | instid1(VALU_DEP_2)
	v_sub_f32_e32 v102, v102, v112
	v_sub_f32_e32 v112, v115, v114
	s_delay_alu instid0(VALU_DEP_2) | instskip(SKIP_1) | instid1(VALU_DEP_2)
	v_add_f32_e32 v30, v30, v102
	v_add_f32_e32 v102, v116, v113
	;; [unrolled: 1-line block ×3, first 2 shown]
	s_delay_alu instid0(VALU_DEP_2) | instskip(NEXT) | instid1(VALU_DEP_2)
	v_sub_f32_e32 v112, v102, v116
	v_add_f32_e32 v30, v117, v30
	s_delay_alu instid0(VALU_DEP_2) | instskip(NEXT) | instid1(VALU_DEP_2)
	v_sub_f32_e32 v112, v113, v112
	v_mul_f32_e32 v30, v101, v30
	s_delay_alu instid0(VALU_DEP_1) | instskip(NEXT) | instid1(VALU_DEP_1)
	v_add_f32_e32 v30, v112, v30
	v_add_f32_e32 v101, v102, v30
	s_delay_alu instid0(VALU_DEP_1) | instskip(NEXT) | instid1(VALU_DEP_1)
	v_mul_f32_e32 v112, v101, v101
	v_fmaak_f32 v113, s26, v112, 0x3ecc95a3
	v_mul_f32_e32 v114, v101, v112
	v_cmp_gt_f32_e64 s26, 0x33800000, |v31|
	s_delay_alu instid0(VALU_DEP_3) | instskip(SKIP_2) | instid1(VALU_DEP_4)
	v_fmaak_f32 v112, v112, v113, 0x3f2aaada
	v_ldexp_f32 v113, v101, 1
	v_sub_f32_e32 v101, v101, v102
	s_or_b32 vcc_lo, vcc_lo, s26
	s_delay_alu instid0(VALU_DEP_3) | instskip(SKIP_1) | instid1(VALU_DEP_3)
	v_mul_f32_e32 v112, v114, v112
	v_mul_f32_e32 v114, 0x3f317218, v29
	v_sub_f32_e32 v30, v30, v101
	s_delay_alu instid0(VALU_DEP_3) | instskip(NEXT) | instid1(VALU_DEP_2)
	v_add_f32_e32 v102, v113, v112
	v_ldexp_f32 v30, v30, 1
	s_delay_alu instid0(VALU_DEP_2) | instskip(SKIP_1) | instid1(VALU_DEP_2)
	v_sub_f32_e32 v101, v102, v113
	v_fma_f32 v113, 0x3f317218, v29, -v114
	v_sub_f32_e32 v101, v112, v101
	s_delay_alu instid0(VALU_DEP_1) | instskip(NEXT) | instid1(VALU_DEP_1)
	v_dual_fmamk_f32 v29, v29, 0xb102e308, v113 :: v_dual_add_f32 v30, v30, v101
	v_add_f32_e32 v101, v114, v29
	s_delay_alu instid0(VALU_DEP_2) | instskip(NEXT) | instid1(VALU_DEP_2)
	v_add_f32_e32 v112, v102, v30
	v_sub_f32_e32 v114, v101, v114
	s_delay_alu instid0(VALU_DEP_2) | instskip(NEXT) | instid1(VALU_DEP_2)
	v_dual_add_f32 v113, v101, v112 :: v_dual_sub_f32 v102, v112, v102
	v_sub_f32_e32 v29, v29, v114
	s_delay_alu instid0(VALU_DEP_2) | instskip(NEXT) | instid1(VALU_DEP_1)
	v_dual_sub_f32 v115, v113, v101 :: v_dual_sub_f32 v30, v30, v102
	v_sub_f32_e32 v116, v113, v115
	v_sub_f32_e32 v102, v112, v115
	s_delay_alu instid0(VALU_DEP_3) | instskip(NEXT) | instid1(VALU_DEP_3)
	v_add_f32_e32 v112, v29, v30
	v_sub_f32_e32 v101, v101, v116
	s_delay_alu instid0(VALU_DEP_1) | instskip(NEXT) | instid1(VALU_DEP_3)
	v_add_f32_e32 v101, v102, v101
	v_sub_f32_e32 v102, v112, v29
	s_delay_alu instid0(VALU_DEP_2) | instskip(NEXT) | instid1(VALU_DEP_2)
	v_add_f32_e32 v101, v112, v101
	v_sub_f32_e32 v112, v112, v102
	v_sub_f32_e32 v30, v30, v102
	s_delay_alu instid0(VALU_DEP_3) | instskip(NEXT) | instid1(VALU_DEP_1)
	v_add_f32_e32 v114, v113, v101
	v_dual_sub_f32 v29, v29, v112 :: v_dual_sub_f32 v102, v114, v113
	s_delay_alu instid0(VALU_DEP_1) | instskip(NEXT) | instid1(VALU_DEP_1)
	v_dual_add_f32 v29, v30, v29 :: v_dual_sub_f32 v30, v101, v102
	v_add_f32_e32 v29, v29, v30
	s_delay_alu instid0(VALU_DEP_1) | instskip(NEXT) | instid1(VALU_DEP_1)
	v_add_f32_e32 v29, v114, v29
	v_cndmask_b32_e32 v29, v29, v31, vcc_lo
	s_delay_alu instid0(VALU_DEP_1) | instskip(NEXT) | instid1(VALU_DEP_1)
	v_add_f32_e32 v28, v28, v29
	v_cvt_f16_f32_e32 v102, v28
	s_delay_alu instid0(VALU_DEP_1)
	v_cvt_f32_f16_e32 v29, v102
.LBB430_189:
	s_or_b32 exec_lo, exec_lo, s24
	s_delay_alu instid0(VALU_DEP_1)
	v_dual_mov_b32 v101, v29 :: v_dual_mov_b32 v28, v102
.LBB430_190:
	s_or_b32 exec_lo, exec_lo, s25
	s_waitcnt lgkmcnt(0)
	v_cvt_f32_f16_e32 v102, v103
	v_cmp_u_f16_e32 vcc_lo, v103, v103
	v_max_f32_e32 v29, v101, v101
	s_delay_alu instid0(VALU_DEP_1) | instskip(NEXT) | instid1(VALU_DEP_1)
	v_min_f32_e32 v30, v102, v29
	v_cndmask_b32_e32 v30, v30, v102, vcc_lo
	v_max_f32_e32 v29, v102, v29
	s_delay_alu instid0(VALU_DEP_1) | instskip(SKIP_1) | instid1(VALU_DEP_4)
	v_cndmask_b32_e32 v31, v29, v102, vcc_lo
	v_cmp_u_f16_e32 vcc_lo, v28, v28
	v_cndmask_b32_e32 v29, v30, v101, vcc_lo
	s_delay_alu instid0(VALU_DEP_3) | instskip(NEXT) | instid1(VALU_DEP_2)
	v_cndmask_b32_e32 v28, v31, v101, vcc_lo
	v_cmp_class_f32_e64 s24, v29, 0x1f8
	s_delay_alu instid0(VALU_DEP_2) | instskip(NEXT) | instid1(VALU_DEP_2)
	v_cmp_neq_f32_e32 vcc_lo, v29, v28
	s_or_b32 s25, vcc_lo, s24
	s_delay_alu instid0(SALU_CYCLE_1)
	s_and_saveexec_b32 s24, s25
	s_cbranch_execz .LBB430_192
; %bb.191:
	v_sub_f32_e32 v29, v29, v28
	s_mov_b32 s25, 0x3e9b6dac
	s_delay_alu instid0(VALU_DEP_1) | instskip(NEXT) | instid1(VALU_DEP_1)
	v_mul_f32_e32 v30, 0x3fb8aa3b, v29
	v_fma_f32 v31, 0x3fb8aa3b, v29, -v30
	v_rndne_f32_e32 v101, v30
	s_delay_alu instid0(VALU_DEP_1) | instskip(SKIP_1) | instid1(VALU_DEP_4)
	v_sub_f32_e32 v30, v30, v101
	v_cmp_ngt_f32_e32 vcc_lo, 0xc2ce8ed0, v29
	v_fmamk_f32 v31, v29, 0x32a5705f, v31
	s_delay_alu instid0(VALU_DEP_1) | instskip(SKIP_1) | instid1(VALU_DEP_2)
	v_add_f32_e32 v30, v30, v31
	v_cvt_i32_f32_e32 v31, v101
	v_exp_f32_e32 v30, v30
	s_waitcnt_depctr 0xfff
	v_ldexp_f32 v30, v30, v31
	s_delay_alu instid0(VALU_DEP_1) | instskip(SKIP_1) | instid1(VALU_DEP_2)
	v_cndmask_b32_e32 v30, 0, v30, vcc_lo
	v_cmp_nlt_f32_e32 vcc_lo, 0x42b17218, v29
	v_cndmask_b32_e32 v31, 0x7f800000, v30, vcc_lo
	s_delay_alu instid0(VALU_DEP_1) | instskip(NEXT) | instid1(VALU_DEP_1)
	v_add_f32_e32 v101, 1.0, v31
	v_cvt_f64_f32_e32 v[29:30], v101
	s_delay_alu instid0(VALU_DEP_1) | instskip(SKIP_1) | instid1(VALU_DEP_1)
	v_frexp_exp_i32_f64_e32 v29, v[29:30]
	v_frexp_mant_f32_e32 v30, v101
	v_cmp_gt_f32_e32 vcc_lo, 0x3f2aaaab, v30
	v_add_f32_e32 v30, -1.0, v101
	s_delay_alu instid0(VALU_DEP_1) | instskip(SKIP_2) | instid1(VALU_DEP_2)
	v_dual_sub_f32 v103, v30, v101 :: v_dual_sub_f32 v30, v31, v30
	v_subrev_co_ci_u32_e32 v29, vcc_lo, 0, v29, vcc_lo
	v_cmp_eq_f32_e32 vcc_lo, 0x7f800000, v31
	v_sub_nc_u32_e32 v102, 0, v29
	v_cvt_f32_i32_e32 v29, v29
	s_delay_alu instid0(VALU_DEP_2) | instskip(NEXT) | instid1(VALU_DEP_1)
	v_ldexp_f32 v101, v101, v102
	v_dual_add_f32 v103, 1.0, v103 :: v_dual_add_f32 v112, 1.0, v101
	s_delay_alu instid0(VALU_DEP_1) | instskip(NEXT) | instid1(VALU_DEP_1)
	v_dual_add_f32 v30, v30, v103 :: v_dual_add_f32 v103, -1.0, v112
	v_ldexp_f32 v30, v30, v102
	s_delay_alu instid0(VALU_DEP_2) | instskip(NEXT) | instid1(VALU_DEP_1)
	v_dual_add_f32 v102, -1.0, v101 :: v_dual_sub_f32 v103, v101, v103
	v_add_f32_e32 v113, 1.0, v102
	s_delay_alu instid0(VALU_DEP_2) | instskip(NEXT) | instid1(VALU_DEP_2)
	v_add_f32_e32 v103, v30, v103
	v_sub_f32_e32 v101, v101, v113
	s_delay_alu instid0(VALU_DEP_1) | instskip(NEXT) | instid1(VALU_DEP_1)
	v_dual_add_f32 v113, v112, v103 :: v_dual_add_f32 v30, v30, v101
	v_rcp_f32_e32 v101, v113
	v_sub_f32_e32 v112, v112, v113
	s_delay_alu instid0(VALU_DEP_1) | instskip(NEXT) | instid1(VALU_DEP_1)
	v_dual_add_f32 v114, v102, v30 :: v_dual_add_f32 v103, v103, v112
	v_sub_f32_e32 v102, v102, v114
	s_waitcnt_depctr 0xfff
	v_mul_f32_e32 v115, v114, v101
	v_add_f32_e32 v30, v30, v102
	s_delay_alu instid0(VALU_DEP_2) | instskip(NEXT) | instid1(VALU_DEP_1)
	v_mul_f32_e32 v116, v113, v115
	v_fma_f32 v112, v115, v113, -v116
	s_delay_alu instid0(VALU_DEP_1) | instskip(NEXT) | instid1(VALU_DEP_1)
	v_fmac_f32_e32 v112, v115, v103
	v_add_f32_e32 v117, v116, v112
	s_delay_alu instid0(VALU_DEP_1) | instskip(SKIP_1) | instid1(VALU_DEP_2)
	v_sub_f32_e32 v118, v114, v117
	v_sub_f32_e32 v102, v117, v116
	;; [unrolled: 1-line block ×3, first 2 shown]
	s_delay_alu instid0(VALU_DEP_2) | instskip(NEXT) | instid1(VALU_DEP_2)
	v_sub_f32_e32 v102, v102, v112
	v_sub_f32_e32 v114, v114, v117
	s_delay_alu instid0(VALU_DEP_1) | instskip(NEXT) | instid1(VALU_DEP_1)
	v_add_f32_e32 v30, v30, v114
	v_add_f32_e32 v30, v102, v30
	s_delay_alu instid0(VALU_DEP_1) | instskip(NEXT) | instid1(VALU_DEP_1)
	v_add_f32_e32 v102, v118, v30
	v_mul_f32_e32 v112, v101, v102
	s_delay_alu instid0(VALU_DEP_1) | instskip(NEXT) | instid1(VALU_DEP_1)
	v_mul_f32_e32 v114, v113, v112
	v_fma_f32 v113, v112, v113, -v114
	s_delay_alu instid0(VALU_DEP_1) | instskip(SKIP_1) | instid1(VALU_DEP_2)
	v_fmac_f32_e32 v113, v112, v103
	v_sub_f32_e32 v117, v118, v102
	v_add_f32_e32 v103, v114, v113
	s_delay_alu instid0(VALU_DEP_2) | instskip(NEXT) | instid1(VALU_DEP_2)
	v_add_f32_e32 v30, v30, v117
	v_sub_f32_e32 v116, v102, v103
	v_sub_f32_e32 v114, v103, v114
	s_delay_alu instid0(VALU_DEP_2) | instskip(NEXT) | instid1(VALU_DEP_1)
	v_sub_f32_e32 v102, v102, v116
	v_sub_f32_e32 v102, v102, v103
	s_delay_alu instid0(VALU_DEP_3) | instskip(NEXT) | instid1(VALU_DEP_2)
	v_sub_f32_e32 v103, v114, v113
	v_add_f32_e32 v30, v30, v102
	v_add_f32_e32 v102, v115, v112
	s_delay_alu instid0(VALU_DEP_1) | instskip(NEXT) | instid1(VALU_DEP_1)
	v_dual_add_f32 v30, v103, v30 :: v_dual_sub_f32 v103, v102, v115
	v_add_f32_e32 v30, v116, v30
	s_delay_alu instid0(VALU_DEP_1) | instskip(NEXT) | instid1(VALU_DEP_1)
	v_dual_sub_f32 v103, v112, v103 :: v_dual_mul_f32 v30, v101, v30
	v_add_f32_e32 v30, v103, v30
	s_delay_alu instid0(VALU_DEP_1) | instskip(NEXT) | instid1(VALU_DEP_1)
	v_add_f32_e32 v101, v102, v30
	v_mul_f32_e32 v103, v101, v101
	s_delay_alu instid0(VALU_DEP_1) | instskip(SKIP_2) | instid1(VALU_DEP_3)
	v_fmaak_f32 v112, s25, v103, 0x3ecc95a3
	v_mul_f32_e32 v113, v101, v103
	v_cmp_gt_f32_e64 s25, 0x33800000, |v31|
	v_fmaak_f32 v103, v103, v112, 0x3f2aaada
	v_ldexp_f32 v112, v101, 1
	v_sub_f32_e32 v101, v101, v102
	s_delay_alu instid0(VALU_DEP_4) | instskip(NEXT) | instid1(VALU_DEP_3)
	s_or_b32 vcc_lo, vcc_lo, s25
	v_mul_f32_e32 v103, v113, v103
	v_mul_f32_e32 v113, 0x3f317218, v29
	s_delay_alu instid0(VALU_DEP_3) | instskip(NEXT) | instid1(VALU_DEP_3)
	v_sub_f32_e32 v30, v30, v101
	v_add_f32_e32 v102, v112, v103
	s_delay_alu instid0(VALU_DEP_2) | instskip(NEXT) | instid1(VALU_DEP_2)
	v_ldexp_f32 v30, v30, 1
	v_sub_f32_e32 v101, v102, v112
	v_fma_f32 v112, 0x3f317218, v29, -v113
	s_delay_alu instid0(VALU_DEP_2) | instskip(NEXT) | instid1(VALU_DEP_1)
	v_sub_f32_e32 v101, v103, v101
	v_dual_fmamk_f32 v29, v29, 0xb102e308, v112 :: v_dual_add_f32 v30, v30, v101
	s_delay_alu instid0(VALU_DEP_1) | instskip(NEXT) | instid1(VALU_DEP_2)
	v_add_f32_e32 v101, v113, v29
	v_add_f32_e32 v103, v102, v30
	s_delay_alu instid0(VALU_DEP_2) | instskip(NEXT) | instid1(VALU_DEP_2)
	v_sub_f32_e32 v113, v101, v113
	v_add_f32_e32 v112, v101, v103
	s_delay_alu instid0(VALU_DEP_2) | instskip(NEXT) | instid1(VALU_DEP_2)
	v_sub_f32_e32 v29, v29, v113
	v_sub_f32_e32 v114, v112, v101
	;; [unrolled: 1-line block ×3, first 2 shown]
	s_delay_alu instid0(VALU_DEP_2) | instskip(NEXT) | instid1(VALU_DEP_2)
	v_sub_f32_e32 v115, v112, v114
	v_sub_f32_e32 v30, v30, v102
	s_delay_alu instid0(VALU_DEP_2) | instskip(NEXT) | instid1(VALU_DEP_2)
	v_dual_sub_f32 v102, v103, v114 :: v_dual_sub_f32 v101, v101, v115
	v_add_f32_e32 v103, v29, v30
	s_delay_alu instid0(VALU_DEP_2) | instskip(NEXT) | instid1(VALU_DEP_2)
	v_add_f32_e32 v101, v102, v101
	v_sub_f32_e32 v102, v103, v29
	s_delay_alu instid0(VALU_DEP_2) | instskip(NEXT) | instid1(VALU_DEP_2)
	v_add_f32_e32 v101, v103, v101
	v_sub_f32_e32 v103, v103, v102
	s_delay_alu instid0(VALU_DEP_2) | instskip(NEXT) | instid1(VALU_DEP_2)
	v_dual_sub_f32 v30, v30, v102 :: v_dual_add_f32 v113, v112, v101
	v_sub_f32_e32 v29, v29, v103
	s_delay_alu instid0(VALU_DEP_1) | instskip(NEXT) | instid1(VALU_DEP_1)
	v_dual_sub_f32 v102, v113, v112 :: v_dual_add_f32 v29, v30, v29
	v_sub_f32_e32 v30, v101, v102
	s_delay_alu instid0(VALU_DEP_1) | instskip(NEXT) | instid1(VALU_DEP_1)
	v_add_f32_e32 v29, v29, v30
	v_add_f32_e32 v29, v113, v29
	s_delay_alu instid0(VALU_DEP_1) | instskip(NEXT) | instid1(VALU_DEP_1)
	v_cndmask_b32_e32 v29, v29, v31, vcc_lo
	v_add_f32_e32 v28, v28, v29
	s_delay_alu instid0(VALU_DEP_1) | instskip(NEXT) | instid1(VALU_DEP_1)
	v_cvt_f16_f32_e32 v103, v28
	v_cvt_f32_f16_e32 v102, v103
.LBB430_192:
	s_or_b32 exec_lo, exec_lo, s24
	s_delay_alu instid0(VALU_DEP_1) | instskip(SKIP_1) | instid1(VALU_DEP_2)
	v_dual_max_f32 v28, v36, v36 :: v_dual_max_f32 v29, v102, v102
	v_cmp_u_f16_e32 vcc_lo, v103, v103
	v_dual_mov_b32 v101, v103 :: v_dual_min_f32 v30, v29, v28
	s_delay_alu instid0(VALU_DEP_1) | instskip(NEXT) | instid1(VALU_DEP_1)
	v_dual_max_f32 v28, v29, v28 :: v_dual_cndmask_b32 v29, v30, v102
	v_cndmask_b32_e32 v28, v28, v102, vcc_lo
	s_delay_alu instid0(VALU_DEP_2) | instskip(NEXT) | instid1(VALU_DEP_2)
	v_cndmask_b32_e64 v30, v29, v36, s3
	v_cndmask_b32_e64 v29, v28, v36, s3
	v_mov_b32_e32 v28, v103
	s_delay_alu instid0(VALU_DEP_3) | instskip(NEXT) | instid1(VALU_DEP_3)
	v_cmp_class_f32_e64 s3, v30, 0x1f8
	v_cmp_neq_f32_e32 vcc_lo, v30, v29
	s_delay_alu instid0(VALU_DEP_2) | instskip(NEXT) | instid1(SALU_CYCLE_1)
	s_or_b32 s24, vcc_lo, s3
	s_and_saveexec_b32 s3, s24
	s_cbranch_execz .LBB430_194
; %bb.193:
	v_sub_f32_e32 v28, v30, v29
	s_mov_b32 s24, 0x3e9b6dac
	s_delay_alu instid0(VALU_DEP_1) | instskip(SKIP_1) | instid1(VALU_DEP_2)
	v_mul_f32_e32 v30, 0x3fb8aa3b, v28
	v_cmp_ngt_f32_e32 vcc_lo, 0xc2ce8ed0, v28
	v_fma_f32 v31, 0x3fb8aa3b, v28, -v30
	v_rndne_f32_e32 v101, v30
	s_delay_alu instid0(VALU_DEP_1) | instskip(NEXT) | instid1(VALU_DEP_1)
	v_dual_fmamk_f32 v31, v28, 0x32a5705f, v31 :: v_dual_sub_f32 v30, v30, v101
	v_add_f32_e32 v30, v30, v31
	v_cvt_i32_f32_e32 v31, v101
	s_delay_alu instid0(VALU_DEP_2) | instskip(SKIP_2) | instid1(VALU_DEP_1)
	v_exp_f32_e32 v30, v30
	s_waitcnt_depctr 0xfff
	v_ldexp_f32 v30, v30, v31
	v_cndmask_b32_e32 v30, 0, v30, vcc_lo
	v_cmp_nlt_f32_e32 vcc_lo, 0x42b17218, v28
	s_delay_alu instid0(VALU_DEP_2) | instskip(NEXT) | instid1(VALU_DEP_1)
	v_cndmask_b32_e32 v28, 0x7f800000, v30, vcc_lo
	v_add_f32_e32 v101, 1.0, v28
	s_delay_alu instid0(VALU_DEP_1) | instskip(NEXT) | instid1(VALU_DEP_1)
	v_cvt_f64_f32_e32 v[30:31], v101
	v_frexp_exp_i32_f64_e32 v30, v[30:31]
	v_frexp_mant_f32_e32 v31, v101
	s_delay_alu instid0(VALU_DEP_1) | instskip(SKIP_1) | instid1(VALU_DEP_1)
	v_cmp_gt_f32_e32 vcc_lo, 0x3f2aaaab, v31
	v_add_f32_e32 v31, -1.0, v101
	v_sub_f32_e32 v112, v31, v101
	s_delay_alu instid0(VALU_DEP_1) | instskip(SKIP_1) | instid1(VALU_DEP_1)
	v_add_f32_e32 v112, 1.0, v112
	v_subrev_co_ci_u32_e32 v30, vcc_lo, 0, v30, vcc_lo
	v_sub_nc_u32_e32 v102, 0, v30
	v_cvt_f32_i32_e32 v30, v30
	s_delay_alu instid0(VALU_DEP_2) | instskip(NEXT) | instid1(VALU_DEP_1)
	v_ldexp_f32 v101, v101, v102
	v_add_f32_e32 v113, 1.0, v101
	v_sub_f32_e32 v31, v28, v31
	v_cmp_eq_f32_e32 vcc_lo, 0x7f800000, v28
	s_delay_alu instid0(VALU_DEP_2) | instskip(NEXT) | instid1(VALU_DEP_1)
	v_add_f32_e32 v31, v31, v112
	v_ldexp_f32 v31, v31, v102
	v_add_f32_e32 v102, -1.0, v101
	v_add_f32_e32 v112, -1.0, v113
	s_delay_alu instid0(VALU_DEP_2) | instskip(NEXT) | instid1(VALU_DEP_2)
	v_add_f32_e32 v114, 1.0, v102
	v_sub_f32_e32 v112, v101, v112
	s_delay_alu instid0(VALU_DEP_1) | instskip(NEXT) | instid1(VALU_DEP_1)
	v_dual_sub_f32 v101, v101, v114 :: v_dual_add_f32 v112, v31, v112
	v_dual_add_f32 v31, v31, v101 :: v_dual_add_f32 v114, v113, v112
	s_delay_alu instid0(VALU_DEP_1) | instskip(SKIP_1) | instid1(VALU_DEP_1)
	v_rcp_f32_e32 v101, v114
	v_sub_f32_e32 v113, v113, v114
	v_dual_add_f32 v115, v102, v31 :: v_dual_add_f32 v112, v112, v113
	s_delay_alu instid0(VALU_DEP_1) | instskip(SKIP_3) | instid1(VALU_DEP_2)
	v_sub_f32_e32 v102, v102, v115
	s_waitcnt_depctr 0xfff
	v_mul_f32_e32 v116, v115, v101
	v_add_f32_e32 v31, v31, v102
	v_mul_f32_e32 v117, v114, v116
	s_delay_alu instid0(VALU_DEP_1) | instskip(NEXT) | instid1(VALU_DEP_1)
	v_fma_f32 v113, v116, v114, -v117
	v_fmac_f32_e32 v113, v116, v112
	s_delay_alu instid0(VALU_DEP_1) | instskip(NEXT) | instid1(VALU_DEP_1)
	v_add_f32_e32 v118, v117, v113
	v_sub_f32_e32 v119, v115, v118
	s_delay_alu instid0(VALU_DEP_1) | instskip(NEXT) | instid1(VALU_DEP_1)
	v_sub_f32_e32 v115, v115, v119
	v_dual_sub_f32 v115, v115, v118 :: v_dual_sub_f32 v102, v118, v117
	s_delay_alu instid0(VALU_DEP_1) | instskip(NEXT) | instid1(VALU_DEP_1)
	v_dual_add_f32 v31, v31, v115 :: v_dual_sub_f32 v102, v102, v113
	v_add_f32_e32 v31, v102, v31
	s_delay_alu instid0(VALU_DEP_1) | instskip(NEXT) | instid1(VALU_DEP_1)
	v_add_f32_e32 v102, v119, v31
	v_mul_f32_e32 v113, v101, v102
	s_delay_alu instid0(VALU_DEP_1) | instskip(NEXT) | instid1(VALU_DEP_1)
	v_dual_mul_f32 v115, v114, v113 :: v_dual_sub_f32 v118, v119, v102
	v_fma_f32 v114, v113, v114, -v115
	s_delay_alu instid0(VALU_DEP_1) | instskip(NEXT) | instid1(VALU_DEP_1)
	v_dual_add_f32 v31, v31, v118 :: v_dual_fmac_f32 v114, v113, v112
	v_add_f32_e32 v112, v115, v114
	s_delay_alu instid0(VALU_DEP_1) | instskip(NEXT) | instid1(VALU_DEP_1)
	v_sub_f32_e32 v117, v102, v112
	v_dual_sub_f32 v115, v112, v115 :: v_dual_sub_f32 v102, v102, v117
	s_delay_alu instid0(VALU_DEP_1) | instskip(NEXT) | instid1(VALU_DEP_1)
	v_sub_f32_e32 v102, v102, v112
	v_dual_add_f32 v31, v31, v102 :: v_dual_add_f32 v102, v116, v113
	s_delay_alu instid0(VALU_DEP_3) | instskip(NEXT) | instid1(VALU_DEP_1)
	v_sub_f32_e32 v112, v115, v114
	v_dual_add_f32 v31, v112, v31 :: v_dual_sub_f32 v112, v102, v116
	s_delay_alu instid0(VALU_DEP_1) | instskip(NEXT) | instid1(VALU_DEP_2)
	v_add_f32_e32 v31, v117, v31
	v_sub_f32_e32 v112, v113, v112
	s_delay_alu instid0(VALU_DEP_2) | instskip(NEXT) | instid1(VALU_DEP_1)
	v_mul_f32_e32 v31, v101, v31
	v_add_f32_e32 v31, v112, v31
	s_delay_alu instid0(VALU_DEP_1) | instskip(NEXT) | instid1(VALU_DEP_1)
	v_add_f32_e32 v101, v102, v31
	v_mul_f32_e32 v112, v101, v101
	s_delay_alu instid0(VALU_DEP_1) | instskip(SKIP_2) | instid1(VALU_DEP_3)
	v_fmaak_f32 v113, s24, v112, 0x3ecc95a3
	v_mul_f32_e32 v114, v101, v112
	v_cmp_gt_f32_e64 s24, 0x33800000, |v28|
	v_fmaak_f32 v112, v112, v113, 0x3f2aaada
	v_ldexp_f32 v113, v101, 1
	v_sub_f32_e32 v101, v101, v102
	s_delay_alu instid0(VALU_DEP_4) | instskip(NEXT) | instid1(VALU_DEP_1)
	s_or_b32 vcc_lo, vcc_lo, s24
	v_sub_f32_e32 v31, v31, v101
	s_delay_alu instid0(VALU_DEP_1) | instskip(SKIP_1) | instid1(VALU_DEP_1)
	v_ldexp_f32 v31, v31, 1
	v_mul_f32_e32 v112, v114, v112
	v_add_f32_e32 v102, v113, v112
	s_delay_alu instid0(VALU_DEP_1) | instskip(NEXT) | instid1(VALU_DEP_1)
	v_sub_f32_e32 v101, v102, v113
	v_sub_f32_e32 v101, v112, v101
	s_delay_alu instid0(VALU_DEP_1) | instskip(NEXT) | instid1(VALU_DEP_1)
	v_add_f32_e32 v31, v31, v101
	v_add_f32_e32 v112, v102, v31
	v_mul_f32_e32 v114, 0x3f317218, v30
	s_delay_alu instid0(VALU_DEP_1) | instskip(NEXT) | instid1(VALU_DEP_1)
	v_fma_f32 v113, 0x3f317218, v30, -v114
	v_fmamk_f32 v30, v30, 0xb102e308, v113
	s_delay_alu instid0(VALU_DEP_1) | instskip(NEXT) | instid1(VALU_DEP_1)
	v_add_f32_e32 v101, v114, v30
	v_add_f32_e32 v113, v101, v112
	s_delay_alu instid0(VALU_DEP_1) | instskip(NEXT) | instid1(VALU_DEP_1)
	v_sub_f32_e32 v115, v113, v101
	v_sub_f32_e32 v116, v113, v115
	;; [unrolled: 1-line block ×3, first 2 shown]
	s_delay_alu instid0(VALU_DEP_1) | instskip(SKIP_1) | instid1(VALU_DEP_4)
	v_dual_sub_f32 v31, v31, v102 :: v_dual_sub_f32 v102, v112, v115
	v_sub_f32_e32 v114, v101, v114
	v_sub_f32_e32 v101, v101, v116
	s_delay_alu instid0(VALU_DEP_1) | instskip(NEXT) | instid1(VALU_DEP_3)
	v_add_f32_e32 v101, v102, v101
	v_sub_f32_e32 v30, v30, v114
	s_delay_alu instid0(VALU_DEP_1) | instskip(NEXT) | instid1(VALU_DEP_1)
	v_add_f32_e32 v112, v30, v31
	v_add_f32_e32 v101, v112, v101
	v_sub_f32_e32 v102, v112, v30
	s_delay_alu instid0(VALU_DEP_1) | instskip(SKIP_1) | instid1(VALU_DEP_2)
	v_dual_add_f32 v114, v113, v101 :: v_dual_sub_f32 v31, v31, v102
	v_sub_f32_e32 v112, v112, v102
	v_sub_f32_e32 v102, v114, v113
	s_delay_alu instid0(VALU_DEP_2) | instskip(NEXT) | instid1(VALU_DEP_1)
	v_sub_f32_e32 v30, v30, v112
	v_add_f32_e32 v30, v31, v30
	s_delay_alu instid0(VALU_DEP_3) | instskip(NEXT) | instid1(VALU_DEP_1)
	v_sub_f32_e32 v31, v101, v102
	v_add_f32_e32 v30, v30, v31
	s_delay_alu instid0(VALU_DEP_1) | instskip(NEXT) | instid1(VALU_DEP_1)
	v_add_f32_e32 v30, v114, v30
	v_cndmask_b32_e32 v28, v30, v28, vcc_lo
	s_delay_alu instid0(VALU_DEP_1) | instskip(NEXT) | instid1(VALU_DEP_1)
	v_add_f32_e32 v28, v29, v28
	v_cvt_f16_f32_e32 v101, v28
	s_delay_alu instid0(VALU_DEP_1)
	v_cvt_f32_f16_e32 v102, v101
	v_mov_b32_e32 v28, v101
.LBB430_194:
	s_or_b32 exec_lo, exec_lo, s3
	s_delay_alu instid0(VALU_DEP_2) | instskip(SKIP_1) | instid1(VALU_DEP_2)
	v_dual_max_f32 v29, v65, v65 :: v_dual_max_f32 v30, v102, v102
	v_cmp_u_f16_e32 vcc_lo, v101, v101
	v_min_f32_e32 v31, v30, v29
	s_delay_alu instid0(VALU_DEP_1) | instskip(NEXT) | instid1(VALU_DEP_1)
	v_dual_max_f32 v29, v30, v29 :: v_dual_cndmask_b32 v30, v31, v102
	v_cndmask_b32_e32 v29, v29, v102, vcc_lo
	s_delay_alu instid0(VALU_DEP_2) | instskip(NEXT) | instid1(VALU_DEP_2)
	v_cndmask_b32_e64 v31, v30, v65, s4
	v_cndmask_b32_e64 v30, v29, v65, s4
	v_mov_b32_e32 v29, v28
	s_delay_alu instid0(VALU_DEP_3) | instskip(NEXT) | instid1(VALU_DEP_3)
	v_cmp_class_f32_e64 s3, v31, 0x1f8
	v_cmp_neq_f32_e32 vcc_lo, v31, v30
	s_delay_alu instid0(VALU_DEP_2) | instskip(NEXT) | instid1(SALU_CYCLE_1)
	s_or_b32 s4, vcc_lo, s3
	s_and_saveexec_b32 s3, s4
	s_cbranch_execz .LBB430_196
; %bb.195:
	v_sub_f32_e32 v29, v31, v30
	s_mov_b32 s4, 0x3e9b6dac
	s_delay_alu instid0(VALU_DEP_1) | instskip(SKIP_1) | instid1(VALU_DEP_2)
	v_mul_f32_e32 v31, 0x3fb8aa3b, v29
	v_cmp_ngt_f32_e32 vcc_lo, 0xc2ce8ed0, v29
	v_fma_f32 v65, 0x3fb8aa3b, v29, -v31
	v_rndne_f32_e32 v101, v31
	s_delay_alu instid0(VALU_DEP_2) | instskip(NEXT) | instid1(VALU_DEP_2)
	v_fmamk_f32 v65, v29, 0x32a5705f, v65
	v_sub_f32_e32 v31, v31, v101
	s_delay_alu instid0(VALU_DEP_1) | instskip(SKIP_1) | instid1(VALU_DEP_2)
	v_add_f32_e32 v31, v31, v65
	v_cvt_i32_f32_e32 v65, v101
	v_exp_f32_e32 v31, v31
	s_waitcnt_depctr 0xfff
	v_ldexp_f32 v31, v31, v65
	s_delay_alu instid0(VALU_DEP_1) | instskip(SKIP_1) | instid1(VALU_DEP_2)
	v_cndmask_b32_e32 v31, 0, v31, vcc_lo
	v_cmp_nlt_f32_e32 vcc_lo, 0x42b17218, v29
	v_cndmask_b32_e32 v29, 0x7f800000, v31, vcc_lo
	s_delay_alu instid0(VALU_DEP_1) | instskip(NEXT) | instid1(VALU_DEP_1)
	v_add_f32_e32 v31, 1.0, v29
	v_cvt_f64_f32_e32 v[101:102], v31
	s_delay_alu instid0(VALU_DEP_1) | instskip(SKIP_1) | instid1(VALU_DEP_1)
	v_frexp_exp_i32_f64_e32 v65, v[101:102]
	v_frexp_mant_f32_e32 v101, v31
	v_cmp_gt_f32_e32 vcc_lo, 0x3f2aaaab, v101
	v_add_f32_e32 v101, -1.0, v31
	s_delay_alu instid0(VALU_DEP_1) | instskip(NEXT) | instid1(VALU_DEP_1)
	v_sub_f32_e32 v112, v101, v31
	v_add_f32_e32 v112, 1.0, v112
	v_subrev_co_ci_u32_e32 v65, vcc_lo, 0, v65, vcc_lo
	s_delay_alu instid0(VALU_DEP_1) | instskip(SKIP_1) | instid1(VALU_DEP_2)
	v_sub_nc_u32_e32 v102, 0, v65
	v_cvt_f32_i32_e32 v65, v65
	v_ldexp_f32 v31, v31, v102
	v_sub_f32_e32 v101, v29, v101
	s_delay_alu instid0(VALU_DEP_2) | instskip(NEXT) | instid1(VALU_DEP_1)
	v_add_f32_e32 v113, 1.0, v31
	v_dual_add_f32 v101, v101, v112 :: v_dual_add_f32 v112, -1.0, v113
	s_delay_alu instid0(VALU_DEP_1) | instskip(SKIP_1) | instid1(VALU_DEP_3)
	v_ldexp_f32 v101, v101, v102
	v_add_f32_e32 v102, -1.0, v31
	v_sub_f32_e32 v112, v31, v112
	v_cmp_eq_f32_e32 vcc_lo, 0x7f800000, v29
	s_delay_alu instid0(VALU_DEP_3) | instskip(NEXT) | instid1(VALU_DEP_1)
	v_add_f32_e32 v114, 1.0, v102
	v_dual_add_f32 v112, v101, v112 :: v_dual_sub_f32 v31, v31, v114
	s_delay_alu instid0(VALU_DEP_1) | instskip(NEXT) | instid1(VALU_DEP_2)
	v_add_f32_e32 v114, v113, v112
	v_add_f32_e32 v31, v101, v31
	s_delay_alu instid0(VALU_DEP_2) | instskip(NEXT) | instid1(VALU_DEP_1)
	v_rcp_f32_e32 v101, v114
	v_add_f32_e32 v115, v102, v31
	s_delay_alu instid0(VALU_DEP_1) | instskip(SKIP_3) | instid1(VALU_DEP_2)
	v_sub_f32_e32 v102, v102, v115
	s_waitcnt_depctr 0xfff
	v_dual_mul_f32 v116, v115, v101 :: v_dual_sub_f32 v113, v113, v114
	v_add_f32_e32 v31, v31, v102
	v_dual_mul_f32 v117, v114, v116 :: v_dual_add_f32 v112, v112, v113
	s_delay_alu instid0(VALU_DEP_1) | instskip(NEXT) | instid1(VALU_DEP_1)
	v_fma_f32 v113, v116, v114, -v117
	v_fmac_f32_e32 v113, v116, v112
	s_delay_alu instid0(VALU_DEP_1) | instskip(NEXT) | instid1(VALU_DEP_1)
	v_add_f32_e32 v118, v117, v113
	v_dual_sub_f32 v119, v115, v118 :: v_dual_sub_f32 v102, v118, v117
	s_delay_alu instid0(VALU_DEP_1) | instskip(NEXT) | instid1(VALU_DEP_1)
	v_dual_sub_f32 v115, v115, v119 :: v_dual_sub_f32 v102, v102, v113
	v_sub_f32_e32 v115, v115, v118
	s_delay_alu instid0(VALU_DEP_1) | instskip(NEXT) | instid1(VALU_DEP_1)
	v_add_f32_e32 v31, v31, v115
	v_add_f32_e32 v31, v102, v31
	s_delay_alu instid0(VALU_DEP_1) | instskip(NEXT) | instid1(VALU_DEP_1)
	v_add_f32_e32 v102, v119, v31
	v_mul_f32_e32 v113, v101, v102
	s_delay_alu instid0(VALU_DEP_1) | instskip(NEXT) | instid1(VALU_DEP_1)
	v_dual_sub_f32 v118, v119, v102 :: v_dual_mul_f32 v115, v114, v113
	v_fma_f32 v114, v113, v114, -v115
	s_delay_alu instid0(VALU_DEP_1) | instskip(NEXT) | instid1(VALU_DEP_1)
	v_fmac_f32_e32 v114, v113, v112
	v_add_f32_e32 v112, v115, v114
	s_delay_alu instid0(VALU_DEP_1) | instskip(NEXT) | instid1(VALU_DEP_1)
	v_sub_f32_e32 v117, v102, v112
	v_dual_sub_f32 v115, v112, v115 :: v_dual_sub_f32 v102, v102, v117
	s_delay_alu instid0(VALU_DEP_1) | instskip(NEXT) | instid1(VALU_DEP_2)
	v_sub_f32_e32 v102, v102, v112
	v_sub_f32_e32 v112, v115, v114
	v_add_f32_e32 v31, v31, v118
	s_delay_alu instid0(VALU_DEP_1) | instskip(NEXT) | instid1(VALU_DEP_1)
	v_dual_add_f32 v31, v31, v102 :: v_dual_add_f32 v102, v116, v113
	v_dual_add_f32 v31, v112, v31 :: v_dual_sub_f32 v112, v102, v116
	s_delay_alu instid0(VALU_DEP_1) | instskip(NEXT) | instid1(VALU_DEP_2)
	v_add_f32_e32 v31, v117, v31
	v_sub_f32_e32 v112, v113, v112
	s_delay_alu instid0(VALU_DEP_2) | instskip(NEXT) | instid1(VALU_DEP_1)
	v_mul_f32_e32 v31, v101, v31
	v_add_f32_e32 v31, v112, v31
	s_delay_alu instid0(VALU_DEP_1) | instskip(NEXT) | instid1(VALU_DEP_1)
	v_add_f32_e32 v101, v102, v31
	v_mul_f32_e32 v112, v101, v101
	s_delay_alu instid0(VALU_DEP_1) | instskip(SKIP_2) | instid1(VALU_DEP_3)
	v_fmaak_f32 v113, s4, v112, 0x3ecc95a3
	v_mul_f32_e32 v114, v101, v112
	v_cmp_gt_f32_e64 s4, 0x33800000, |v29|
	v_fmaak_f32 v112, v112, v113, 0x3f2aaada
	v_ldexp_f32 v113, v101, 1
	v_sub_f32_e32 v101, v101, v102
	s_delay_alu instid0(VALU_DEP_4) | instskip(NEXT) | instid1(VALU_DEP_3)
	s_or_b32 vcc_lo, vcc_lo, s4
	v_mul_f32_e32 v112, v114, v112
	v_mul_f32_e32 v114, 0x3f317218, v65
	s_delay_alu instid0(VALU_DEP_2) | instskip(NEXT) | instid1(VALU_DEP_1)
	v_dual_sub_f32 v31, v31, v101 :: v_dual_add_f32 v102, v113, v112
	v_ldexp_f32 v31, v31, 1
	s_delay_alu instid0(VALU_DEP_2) | instskip(NEXT) | instid1(VALU_DEP_4)
	v_sub_f32_e32 v101, v102, v113
	v_fma_f32 v113, 0x3f317218, v65, -v114
	s_delay_alu instid0(VALU_DEP_2) | instskip(NEXT) | instid1(VALU_DEP_2)
	v_sub_f32_e32 v101, v112, v101
	v_fmamk_f32 v65, v65, 0xb102e308, v113
	s_delay_alu instid0(VALU_DEP_2) | instskip(NEXT) | instid1(VALU_DEP_2)
	v_add_f32_e32 v31, v31, v101
	v_add_f32_e32 v101, v114, v65
	s_delay_alu instid0(VALU_DEP_2) | instskip(NEXT) | instid1(VALU_DEP_2)
	v_add_f32_e32 v112, v102, v31
	v_sub_f32_e32 v114, v101, v114
	s_delay_alu instid0(VALU_DEP_2) | instskip(NEXT) | instid1(VALU_DEP_2)
	v_dual_add_f32 v113, v101, v112 :: v_dual_sub_f32 v102, v112, v102
	v_sub_f32_e32 v65, v65, v114
	s_delay_alu instid0(VALU_DEP_2) | instskip(NEXT) | instid1(VALU_DEP_1)
	v_sub_f32_e32 v115, v113, v101
	v_dual_sub_f32 v31, v31, v102 :: v_dual_sub_f32 v116, v113, v115
	v_sub_f32_e32 v102, v112, v115
	s_delay_alu instid0(VALU_DEP_2) | instskip(NEXT) | instid1(VALU_DEP_3)
	v_add_f32_e32 v112, v65, v31
	v_sub_f32_e32 v101, v101, v116
	s_delay_alu instid0(VALU_DEP_1) | instskip(NEXT) | instid1(VALU_DEP_3)
	v_add_f32_e32 v101, v102, v101
	v_sub_f32_e32 v102, v112, v65
	s_delay_alu instid0(VALU_DEP_2) | instskip(NEXT) | instid1(VALU_DEP_2)
	v_add_f32_e32 v101, v112, v101
	v_sub_f32_e32 v112, v112, v102
	s_delay_alu instid0(VALU_DEP_2) | instskip(NEXT) | instid1(VALU_DEP_1)
	v_dual_sub_f32 v31, v31, v102 :: v_dual_add_f32 v114, v113, v101
	v_dual_sub_f32 v65, v65, v112 :: v_dual_sub_f32 v102, v114, v113
	s_delay_alu instid0(VALU_DEP_1) | instskip(NEXT) | instid1(VALU_DEP_2)
	v_add_f32_e32 v31, v31, v65
	v_sub_f32_e32 v65, v101, v102
	s_delay_alu instid0(VALU_DEP_1) | instskip(NEXT) | instid1(VALU_DEP_1)
	v_add_f32_e32 v31, v31, v65
	v_add_f32_e32 v31, v114, v31
	s_delay_alu instid0(VALU_DEP_1) | instskip(NEXT) | instid1(VALU_DEP_1)
	v_cndmask_b32_e32 v29, v31, v29, vcc_lo
	v_add_f32_e32 v29, v30, v29
	s_delay_alu instid0(VALU_DEP_1) | instskip(NEXT) | instid1(VALU_DEP_1)
	v_cvt_f16_f32_e32 v101, v29
	v_cvt_f32_f16_e32 v102, v101
	v_mov_b32_e32 v29, v101
.LBB430_196:
	s_or_b32 exec_lo, exec_lo, s3
	v_max_f32_e32 v30, v66, v66
	s_delay_alu instid0(VALU_DEP_3) | instskip(SKIP_1) | instid1(VALU_DEP_2)
	v_max_f32_e32 v31, v102, v102
	v_cmp_u_f16_e32 vcc_lo, v101, v101
	v_min_f32_e32 v65, v31, v30
	v_max_f32_e32 v30, v31, v30
	s_delay_alu instid0(VALU_DEP_2) | instskip(NEXT) | instid1(VALU_DEP_2)
	v_cndmask_b32_e32 v31, v65, v102, vcc_lo
	v_cndmask_b32_e32 v30, v30, v102, vcc_lo
	s_delay_alu instid0(VALU_DEP_2) | instskip(NEXT) | instid1(VALU_DEP_2)
	v_cndmask_b32_e64 v65, v31, v66, s5
	v_cndmask_b32_e64 v31, v30, v66, s5
	v_mov_b32_e32 v30, v29
	s_delay_alu instid0(VALU_DEP_3) | instskip(NEXT) | instid1(VALU_DEP_3)
	v_cmp_class_f32_e64 s3, v65, 0x1f8
	v_cmp_neq_f32_e32 vcc_lo, v65, v31
	s_delay_alu instid0(VALU_DEP_2) | instskip(NEXT) | instid1(SALU_CYCLE_1)
	s_or_b32 s4, vcc_lo, s3
	s_and_saveexec_b32 s3, s4
	s_cbranch_execz .LBB430_198
; %bb.197:
	v_sub_f32_e32 v30, v65, v31
	s_mov_b32 s4, 0x3e9b6dac
	s_delay_alu instid0(VALU_DEP_1) | instskip(SKIP_1) | instid1(VALU_DEP_2)
	v_mul_f32_e32 v65, 0x3fb8aa3b, v30
	v_cmp_ngt_f32_e32 vcc_lo, 0xc2ce8ed0, v30
	v_fma_f32 v66, 0x3fb8aa3b, v30, -v65
	v_rndne_f32_e32 v101, v65
	s_delay_alu instid0(VALU_DEP_1) | instskip(NEXT) | instid1(VALU_DEP_1)
	v_dual_fmamk_f32 v66, v30, 0x32a5705f, v66 :: v_dual_sub_f32 v65, v65, v101
	v_add_f32_e32 v65, v65, v66
	v_cvt_i32_f32_e32 v66, v101
	s_delay_alu instid0(VALU_DEP_2) | instskip(SKIP_2) | instid1(VALU_DEP_1)
	v_exp_f32_e32 v65, v65
	s_waitcnt_depctr 0xfff
	v_ldexp_f32 v65, v65, v66
	v_cndmask_b32_e32 v65, 0, v65, vcc_lo
	v_cmp_nlt_f32_e32 vcc_lo, 0x42b17218, v30
	s_delay_alu instid0(VALU_DEP_2) | instskip(NEXT) | instid1(VALU_DEP_1)
	v_cndmask_b32_e32 v30, 0x7f800000, v65, vcc_lo
	v_add_f32_e32 v101, 1.0, v30
	s_delay_alu instid0(VALU_DEP_1) | instskip(NEXT) | instid1(VALU_DEP_1)
	v_cvt_f64_f32_e32 v[65:66], v101
	v_frexp_exp_i32_f64_e32 v65, v[65:66]
	v_frexp_mant_f32_e32 v66, v101
	s_delay_alu instid0(VALU_DEP_1) | instskip(SKIP_1) | instid1(VALU_DEP_1)
	v_cmp_gt_f32_e32 vcc_lo, 0x3f2aaaab, v66
	v_add_f32_e32 v66, -1.0, v101
	v_sub_f32_e32 v112, v66, v101
	s_delay_alu instid0(VALU_DEP_1) | instskip(SKIP_1) | instid1(VALU_DEP_1)
	v_add_f32_e32 v112, 1.0, v112
	v_subrev_co_ci_u32_e32 v65, vcc_lo, 0, v65, vcc_lo
	v_sub_nc_u32_e32 v102, 0, v65
	v_cvt_f32_i32_e32 v65, v65
	s_delay_alu instid0(VALU_DEP_2) | instskip(NEXT) | instid1(VALU_DEP_1)
	v_ldexp_f32 v101, v101, v102
	v_dual_sub_f32 v66, v30, v66 :: v_dual_add_f32 v113, 1.0, v101
	s_delay_alu instid0(VALU_DEP_1) | instskip(NEXT) | instid1(VALU_DEP_1)
	v_add_f32_e32 v66, v66, v112
	v_ldexp_f32 v66, v66, v102
	v_add_f32_e32 v102, -1.0, v101
	s_delay_alu instid0(VALU_DEP_4) | instskip(NEXT) | instid1(VALU_DEP_2)
	v_add_f32_e32 v112, -1.0, v113
	v_add_f32_e32 v114, 1.0, v102
	s_delay_alu instid0(VALU_DEP_2) | instskip(NEXT) | instid1(VALU_DEP_1)
	v_sub_f32_e32 v112, v101, v112
	v_dual_sub_f32 v101, v101, v114 :: v_dual_add_f32 v112, v66, v112
	v_cmp_eq_f32_e32 vcc_lo, 0x7f800000, v30
	s_delay_alu instid0(VALU_DEP_2) | instskip(NEXT) | instid1(VALU_DEP_1)
	v_add_f32_e32 v66, v66, v101
	v_dual_add_f32 v114, v113, v112 :: v_dual_add_f32 v115, v102, v66
	s_delay_alu instid0(VALU_DEP_1) | instskip(SKIP_1) | instid1(VALU_DEP_1)
	v_rcp_f32_e32 v101, v114
	v_sub_f32_e32 v113, v113, v114
	v_add_f32_e32 v112, v112, v113
	s_waitcnt_depctr 0xfff
	v_mul_f32_e32 v116, v115, v101
	s_delay_alu instid0(VALU_DEP_1) | instskip(SKIP_1) | instid1(VALU_DEP_2)
	v_mul_f32_e32 v117, v114, v116
	v_sub_f32_e32 v102, v102, v115
	v_fma_f32 v113, v116, v114, -v117
	s_delay_alu instid0(VALU_DEP_1) | instskip(NEXT) | instid1(VALU_DEP_1)
	v_dual_add_f32 v66, v66, v102 :: v_dual_fmac_f32 v113, v116, v112
	v_add_f32_e32 v118, v117, v113
	s_delay_alu instid0(VALU_DEP_1) | instskip(NEXT) | instid1(VALU_DEP_1)
	v_dual_sub_f32 v119, v115, v118 :: v_dual_sub_f32 v102, v118, v117
	v_dual_sub_f32 v115, v115, v119 :: v_dual_sub_f32 v102, v102, v113
	s_delay_alu instid0(VALU_DEP_1) | instskip(NEXT) | instid1(VALU_DEP_1)
	v_sub_f32_e32 v115, v115, v118
	v_add_f32_e32 v66, v66, v115
	s_delay_alu instid0(VALU_DEP_1) | instskip(NEXT) | instid1(VALU_DEP_1)
	v_add_f32_e32 v66, v102, v66
	v_add_f32_e32 v102, v119, v66
	s_delay_alu instid0(VALU_DEP_1) | instskip(NEXT) | instid1(VALU_DEP_1)
	v_mul_f32_e32 v113, v101, v102
	v_dual_mul_f32 v115, v114, v113 :: v_dual_sub_f32 v118, v119, v102
	s_delay_alu instid0(VALU_DEP_1) | instskip(NEXT) | instid1(VALU_DEP_2)
	v_fma_f32 v114, v113, v114, -v115
	v_add_f32_e32 v66, v66, v118
	s_delay_alu instid0(VALU_DEP_2) | instskip(NEXT) | instid1(VALU_DEP_1)
	v_fmac_f32_e32 v114, v113, v112
	v_add_f32_e32 v112, v115, v114
	s_delay_alu instid0(VALU_DEP_1) | instskip(NEXT) | instid1(VALU_DEP_1)
	v_sub_f32_e32 v117, v102, v112
	v_dual_sub_f32 v115, v112, v115 :: v_dual_sub_f32 v102, v102, v117
	s_delay_alu instid0(VALU_DEP_1) | instskip(NEXT) | instid1(VALU_DEP_2)
	v_sub_f32_e32 v102, v102, v112
	v_sub_f32_e32 v112, v115, v114
	s_delay_alu instid0(VALU_DEP_2) | instskip(SKIP_1) | instid1(VALU_DEP_2)
	v_add_f32_e32 v66, v66, v102
	v_add_f32_e32 v102, v116, v113
	;; [unrolled: 1-line block ×3, first 2 shown]
	s_delay_alu instid0(VALU_DEP_2) | instskip(NEXT) | instid1(VALU_DEP_2)
	v_sub_f32_e32 v112, v102, v116
	v_add_f32_e32 v66, v117, v66
	s_delay_alu instid0(VALU_DEP_2) | instskip(NEXT) | instid1(VALU_DEP_2)
	v_sub_f32_e32 v112, v113, v112
	v_mul_f32_e32 v66, v101, v66
	s_delay_alu instid0(VALU_DEP_1) | instskip(NEXT) | instid1(VALU_DEP_1)
	v_add_f32_e32 v66, v112, v66
	v_add_f32_e32 v101, v102, v66
	s_delay_alu instid0(VALU_DEP_1) | instskip(NEXT) | instid1(VALU_DEP_1)
	v_mul_f32_e32 v112, v101, v101
	v_fmaak_f32 v113, s4, v112, 0x3ecc95a3
	v_mul_f32_e32 v114, v101, v112
	v_cmp_gt_f32_e64 s4, 0x33800000, |v30|
	s_delay_alu instid0(VALU_DEP_3) | instskip(SKIP_2) | instid1(VALU_DEP_4)
	v_fmaak_f32 v112, v112, v113, 0x3f2aaada
	v_ldexp_f32 v113, v101, 1
	v_sub_f32_e32 v101, v101, v102
	s_or_b32 vcc_lo, vcc_lo, s4
	s_delay_alu instid0(VALU_DEP_3) | instskip(SKIP_1) | instid1(VALU_DEP_3)
	v_mul_f32_e32 v112, v114, v112
	v_mul_f32_e32 v114, 0x3f317218, v65
	v_sub_f32_e32 v66, v66, v101
	s_delay_alu instid0(VALU_DEP_3) | instskip(NEXT) | instid1(VALU_DEP_2)
	v_add_f32_e32 v102, v113, v112
	v_ldexp_f32 v66, v66, 1
	s_delay_alu instid0(VALU_DEP_2) | instskip(SKIP_1) | instid1(VALU_DEP_2)
	v_sub_f32_e32 v101, v102, v113
	v_fma_f32 v113, 0x3f317218, v65, -v114
	v_sub_f32_e32 v101, v112, v101
	s_delay_alu instid0(VALU_DEP_1) | instskip(NEXT) | instid1(VALU_DEP_1)
	v_dual_fmamk_f32 v65, v65, 0xb102e308, v113 :: v_dual_add_f32 v66, v66, v101
	v_add_f32_e32 v101, v114, v65
	s_delay_alu instid0(VALU_DEP_2) | instskip(NEXT) | instid1(VALU_DEP_2)
	v_add_f32_e32 v112, v102, v66
	v_sub_f32_e32 v114, v101, v114
	s_delay_alu instid0(VALU_DEP_2) | instskip(NEXT) | instid1(VALU_DEP_2)
	v_dual_add_f32 v113, v101, v112 :: v_dual_sub_f32 v102, v112, v102
	v_sub_f32_e32 v65, v65, v114
	s_delay_alu instid0(VALU_DEP_2) | instskip(NEXT) | instid1(VALU_DEP_1)
	v_dual_sub_f32 v115, v113, v101 :: v_dual_sub_f32 v66, v66, v102
	v_sub_f32_e32 v116, v113, v115
	v_sub_f32_e32 v102, v112, v115
	s_delay_alu instid0(VALU_DEP_3) | instskip(NEXT) | instid1(VALU_DEP_3)
	v_add_f32_e32 v112, v65, v66
	v_sub_f32_e32 v101, v101, v116
	s_delay_alu instid0(VALU_DEP_1) | instskip(NEXT) | instid1(VALU_DEP_3)
	v_add_f32_e32 v101, v102, v101
	v_sub_f32_e32 v102, v112, v65
	s_delay_alu instid0(VALU_DEP_2) | instskip(NEXT) | instid1(VALU_DEP_2)
	v_add_f32_e32 v101, v112, v101
	v_sub_f32_e32 v112, v112, v102
	v_sub_f32_e32 v66, v66, v102
	s_delay_alu instid0(VALU_DEP_3) | instskip(NEXT) | instid1(VALU_DEP_1)
	v_add_f32_e32 v114, v113, v101
	v_dual_sub_f32 v65, v65, v112 :: v_dual_sub_f32 v102, v114, v113
	s_delay_alu instid0(VALU_DEP_1) | instskip(NEXT) | instid1(VALU_DEP_1)
	v_dual_add_f32 v65, v66, v65 :: v_dual_sub_f32 v66, v101, v102
	v_add_f32_e32 v65, v65, v66
	s_delay_alu instid0(VALU_DEP_1) | instskip(NEXT) | instid1(VALU_DEP_1)
	v_add_f32_e32 v65, v114, v65
	v_cndmask_b32_e32 v30, v65, v30, vcc_lo
	s_delay_alu instid0(VALU_DEP_1) | instskip(NEXT) | instid1(VALU_DEP_1)
	v_add_f32_e32 v30, v31, v30
	v_cvt_f16_f32_e32 v101, v30
	s_delay_alu instid0(VALU_DEP_1)
	v_cvt_f32_f16_e32 v102, v101
	v_mov_b32_e32 v30, v101
.LBB430_198:
	s_or_b32 exec_lo, exec_lo, s3
	v_max_f32_e32 v31, v67, v67
	s_delay_alu instid0(VALU_DEP_3) | instskip(SKIP_1) | instid1(VALU_DEP_2)
	v_max_f32_e32 v65, v102, v102
	v_cmp_u_f16_e32 vcc_lo, v101, v101
	v_min_f32_e32 v66, v65, v31
	v_max_f32_e32 v31, v65, v31
	s_delay_alu instid0(VALU_DEP_1) | instskip(NEXT) | instid1(VALU_DEP_3)
	v_cndmask_b32_e32 v31, v31, v102, vcc_lo
	v_cndmask_b32_e32 v65, v66, v102, vcc_lo
	s_delay_alu instid0(VALU_DEP_1) | instskip(NEXT) | instid1(VALU_DEP_3)
	v_cndmask_b32_e64 v66, v65, v67, s6
	v_cndmask_b32_e64 v65, v31, v67, s6
	v_mov_b32_e32 v31, v30
	s_delay_alu instid0(VALU_DEP_3) | instskip(NEXT) | instid1(VALU_DEP_3)
	v_cmp_class_f32_e64 s3, v66, 0x1f8
	v_cmp_neq_f32_e32 vcc_lo, v66, v65
	s_delay_alu instid0(VALU_DEP_2) | instskip(NEXT) | instid1(SALU_CYCLE_1)
	s_or_b32 s4, vcc_lo, s3
	s_and_saveexec_b32 s3, s4
	s_cbranch_execz .LBB430_200
; %bb.199:
	v_sub_f32_e32 v31, v66, v65
	s_mov_b32 s4, 0x3e9b6dac
	s_delay_alu instid0(VALU_DEP_1) | instskip(SKIP_1) | instid1(VALU_DEP_2)
	v_mul_f32_e32 v66, 0x3fb8aa3b, v31
	v_cmp_ngt_f32_e32 vcc_lo, 0xc2ce8ed0, v31
	v_fma_f32 v67, 0x3fb8aa3b, v31, -v66
	v_rndne_f32_e32 v101, v66
	s_delay_alu instid0(VALU_DEP_1) | instskip(NEXT) | instid1(VALU_DEP_1)
	v_dual_fmamk_f32 v67, v31, 0x32a5705f, v67 :: v_dual_sub_f32 v66, v66, v101
	v_add_f32_e32 v66, v66, v67
	v_cvt_i32_f32_e32 v67, v101
	s_delay_alu instid0(VALU_DEP_2) | instskip(SKIP_2) | instid1(VALU_DEP_1)
	v_exp_f32_e32 v66, v66
	s_waitcnt_depctr 0xfff
	v_ldexp_f32 v66, v66, v67
	v_cndmask_b32_e32 v66, 0, v66, vcc_lo
	v_cmp_nlt_f32_e32 vcc_lo, 0x42b17218, v31
	s_delay_alu instid0(VALU_DEP_2) | instskip(NEXT) | instid1(VALU_DEP_1)
	v_cndmask_b32_e32 v31, 0x7f800000, v66, vcc_lo
	v_add_f32_e32 v101, 1.0, v31
	s_delay_alu instid0(VALU_DEP_1) | instskip(NEXT) | instid1(VALU_DEP_1)
	v_cvt_f64_f32_e32 v[66:67], v101
	v_frexp_exp_i32_f64_e32 v66, v[66:67]
	v_frexp_mant_f32_e32 v67, v101
	s_delay_alu instid0(VALU_DEP_1) | instskip(SKIP_1) | instid1(VALU_DEP_1)
	v_cmp_gt_f32_e32 vcc_lo, 0x3f2aaaab, v67
	v_add_f32_e32 v67, -1.0, v101
	v_sub_f32_e32 v112, v67, v101
	s_delay_alu instid0(VALU_DEP_1) | instskip(SKIP_2) | instid1(VALU_DEP_2)
	v_add_f32_e32 v112, 1.0, v112
	v_subrev_co_ci_u32_e32 v66, vcc_lo, 0, v66, vcc_lo
	v_cmp_eq_f32_e32 vcc_lo, 0x7f800000, v31
	v_sub_nc_u32_e32 v102, 0, v66
	v_cvt_f32_i32_e32 v66, v66
	s_delay_alu instid0(VALU_DEP_2) | instskip(NEXT) | instid1(VALU_DEP_1)
	v_ldexp_f32 v101, v101, v102
	v_add_f32_e32 v113, 1.0, v101
	v_sub_f32_e32 v67, v31, v67
	s_delay_alu instid0(VALU_DEP_1) | instskip(NEXT) | instid1(VALU_DEP_1)
	v_dual_add_f32 v67, v67, v112 :: v_dual_add_f32 v112, -1.0, v113
	v_ldexp_f32 v67, v67, v102
	v_add_f32_e32 v102, -1.0, v101
	s_delay_alu instid0(VALU_DEP_3) | instskip(NEXT) | instid1(VALU_DEP_2)
	v_sub_f32_e32 v112, v101, v112
	v_add_f32_e32 v114, 1.0, v102
	s_delay_alu instid0(VALU_DEP_1) | instskip(NEXT) | instid1(VALU_DEP_1)
	v_dual_add_f32 v112, v67, v112 :: v_dual_sub_f32 v101, v101, v114
	v_add_f32_e32 v67, v67, v101
	s_delay_alu instid0(VALU_DEP_1) | instskip(NEXT) | instid1(VALU_DEP_1)
	v_dual_add_f32 v115, v102, v67 :: v_dual_add_f32 v114, v113, v112
	v_sub_f32_e32 v102, v102, v115
	s_delay_alu instid0(VALU_DEP_2) | instskip(SKIP_1) | instid1(VALU_DEP_1)
	v_rcp_f32_e32 v101, v114
	v_sub_f32_e32 v113, v113, v114
	v_add_f32_e32 v112, v112, v113
	s_waitcnt_depctr 0xfff
	v_mul_f32_e32 v116, v115, v101
	s_delay_alu instid0(VALU_DEP_1) | instskip(NEXT) | instid1(VALU_DEP_1)
	v_mul_f32_e32 v117, v114, v116
	v_fma_f32 v113, v116, v114, -v117
	s_delay_alu instid0(VALU_DEP_1) | instskip(NEXT) | instid1(VALU_DEP_1)
	v_fmac_f32_e32 v113, v116, v112
	v_add_f32_e32 v118, v117, v113
	s_delay_alu instid0(VALU_DEP_1) | instskip(NEXT) | instid1(VALU_DEP_1)
	v_sub_f32_e32 v119, v115, v118
	v_sub_f32_e32 v115, v115, v119
	v_dual_add_f32 v67, v67, v102 :: v_dual_sub_f32 v102, v118, v117
	s_delay_alu instid0(VALU_DEP_1) | instskip(NEXT) | instid1(VALU_DEP_1)
	v_dual_sub_f32 v115, v115, v118 :: v_dual_sub_f32 v102, v102, v113
	v_add_f32_e32 v67, v67, v115
	s_delay_alu instid0(VALU_DEP_1) | instskip(NEXT) | instid1(VALU_DEP_1)
	v_add_f32_e32 v67, v102, v67
	v_add_f32_e32 v102, v119, v67
	s_delay_alu instid0(VALU_DEP_1) | instskip(NEXT) | instid1(VALU_DEP_1)
	v_mul_f32_e32 v113, v101, v102
	v_dual_mul_f32 v115, v114, v113 :: v_dual_sub_f32 v118, v119, v102
	s_delay_alu instid0(VALU_DEP_1) | instskip(NEXT) | instid1(VALU_DEP_1)
	v_fma_f32 v114, v113, v114, -v115
	v_fmac_f32_e32 v114, v113, v112
	s_delay_alu instid0(VALU_DEP_1) | instskip(NEXT) | instid1(VALU_DEP_1)
	v_add_f32_e32 v112, v115, v114
	v_sub_f32_e32 v117, v102, v112
	s_delay_alu instid0(VALU_DEP_1) | instskip(NEXT) | instid1(VALU_DEP_1)
	v_dual_sub_f32 v102, v102, v117 :: v_dual_add_f32 v67, v67, v118
	v_sub_f32_e32 v102, v102, v112
	s_delay_alu instid0(VALU_DEP_1) | instskip(SKIP_1) | instid1(VALU_DEP_1)
	v_dual_add_f32 v67, v67, v102 :: v_dual_add_f32 v102, v116, v113
	v_sub_f32_e32 v115, v112, v115
	v_sub_f32_e32 v112, v115, v114
	s_delay_alu instid0(VALU_DEP_1) | instskip(NEXT) | instid1(VALU_DEP_1)
	v_dual_add_f32 v67, v112, v67 :: v_dual_sub_f32 v112, v102, v116
	v_sub_f32_e32 v112, v113, v112
	s_delay_alu instid0(VALU_DEP_2) | instskip(NEXT) | instid1(VALU_DEP_1)
	v_add_f32_e32 v67, v117, v67
	v_mul_f32_e32 v67, v101, v67
	s_delay_alu instid0(VALU_DEP_1) | instskip(NEXT) | instid1(VALU_DEP_1)
	v_add_f32_e32 v67, v112, v67
	v_add_f32_e32 v101, v102, v67
	s_delay_alu instid0(VALU_DEP_1) | instskip(NEXT) | instid1(VALU_DEP_1)
	v_mul_f32_e32 v112, v101, v101
	v_fmaak_f32 v113, s4, v112, 0x3ecc95a3
	v_mul_f32_e32 v114, v101, v112
	v_cmp_gt_f32_e64 s4, 0x33800000, |v31|
	s_delay_alu instid0(VALU_DEP_3) | instskip(SKIP_2) | instid1(VALU_DEP_4)
	v_fmaak_f32 v112, v112, v113, 0x3f2aaada
	v_ldexp_f32 v113, v101, 1
	v_sub_f32_e32 v101, v101, v102
	s_or_b32 vcc_lo, vcc_lo, s4
	s_delay_alu instid0(VALU_DEP_1) | instskip(NEXT) | instid1(VALU_DEP_1)
	v_sub_f32_e32 v67, v67, v101
	v_ldexp_f32 v67, v67, 1
	v_mul_f32_e32 v112, v114, v112
	s_delay_alu instid0(VALU_DEP_1) | instskip(NEXT) | instid1(VALU_DEP_1)
	v_add_f32_e32 v102, v113, v112
	v_dual_mul_f32 v114, 0x3f317218, v66 :: v_dual_sub_f32 v101, v102, v113
	s_delay_alu instid0(VALU_DEP_1) | instskip(NEXT) | instid1(VALU_DEP_1)
	v_fma_f32 v113, 0x3f317218, v66, -v114
	v_dual_sub_f32 v101, v112, v101 :: v_dual_fmamk_f32 v66, v66, 0xb102e308, v113
	s_delay_alu instid0(VALU_DEP_1) | instskip(NEXT) | instid1(VALU_DEP_1)
	v_add_f32_e32 v67, v67, v101
	v_add_f32_e32 v112, v102, v67
	s_delay_alu instid0(VALU_DEP_3) | instskip(NEXT) | instid1(VALU_DEP_1)
	v_add_f32_e32 v101, v114, v66
	v_dual_sub_f32 v102, v112, v102 :: v_dual_add_f32 v113, v101, v112
	s_delay_alu instid0(VALU_DEP_1) | instskip(NEXT) | instid1(VALU_DEP_2)
	v_sub_f32_e32 v67, v67, v102
	v_sub_f32_e32 v115, v113, v101
	s_delay_alu instid0(VALU_DEP_1) | instskip(SKIP_1) | instid1(VALU_DEP_1)
	v_sub_f32_e32 v102, v112, v115
	v_sub_f32_e32 v114, v101, v114
	;; [unrolled: 1-line block ×4, first 2 shown]
	s_delay_alu instid0(VALU_DEP_1) | instskip(NEXT) | instid1(VALU_DEP_1)
	v_dual_add_f32 v112, v66, v67 :: v_dual_sub_f32 v101, v101, v116
	v_dual_add_f32 v101, v102, v101 :: v_dual_sub_f32 v102, v112, v66
	s_delay_alu instid0(VALU_DEP_1) | instskip(NEXT) | instid1(VALU_DEP_2)
	v_add_f32_e32 v101, v112, v101
	v_sub_f32_e32 v112, v112, v102
	s_delay_alu instid0(VALU_DEP_1) | instskip(NEXT) | instid1(VALU_DEP_3)
	v_sub_f32_e32 v66, v66, v112
	v_dual_add_f32 v114, v113, v101 :: v_dual_sub_f32 v67, v67, v102
	s_delay_alu instid0(VALU_DEP_1) | instskip(NEXT) | instid1(VALU_DEP_2)
	v_sub_f32_e32 v102, v114, v113
	v_add_f32_e32 v66, v67, v66
	s_delay_alu instid0(VALU_DEP_2) | instskip(NEXT) | instid1(VALU_DEP_1)
	v_sub_f32_e32 v67, v101, v102
	v_add_f32_e32 v66, v66, v67
	s_delay_alu instid0(VALU_DEP_1) | instskip(NEXT) | instid1(VALU_DEP_1)
	v_add_f32_e32 v66, v114, v66
	v_cndmask_b32_e32 v31, v66, v31, vcc_lo
	s_delay_alu instid0(VALU_DEP_1) | instskip(NEXT) | instid1(VALU_DEP_1)
	v_add_f32_e32 v31, v65, v31
	v_cvt_f16_f32_e32 v101, v31
	s_delay_alu instid0(VALU_DEP_1)
	v_mov_b32_e32 v31, v101
	v_cvt_f32_f16_e32 v102, v101
.LBB430_200:
	s_or_b32 exec_lo, exec_lo, s3
	s_delay_alu instid0(VALU_DEP_1) | instskip(SKIP_1) | instid1(VALU_DEP_2)
	v_dual_max_f32 v65, v68, v68 :: v_dual_max_f32 v66, v102, v102
	v_cmp_u_f16_e32 vcc_lo, v101, v101
	v_min_f32_e32 v67, v66, v65
	s_delay_alu instid0(VALU_DEP_1) | instskip(NEXT) | instid1(VALU_DEP_1)
	v_dual_max_f32 v65, v66, v65 :: v_dual_cndmask_b32 v66, v67, v102
	v_cndmask_b32_e32 v65, v65, v102, vcc_lo
	s_delay_alu instid0(VALU_DEP_2) | instskip(NEXT) | instid1(VALU_DEP_2)
	v_cndmask_b32_e64 v67, v66, v68, s7
	v_cndmask_b32_e64 v66, v65, v68, s7
	v_mov_b32_e32 v65, v31
	s_delay_alu instid0(VALU_DEP_3) | instskip(NEXT) | instid1(VALU_DEP_3)
	v_cmp_class_f32_e64 s3, v67, 0x1f8
	v_cmp_neq_f32_e32 vcc_lo, v67, v66
	s_delay_alu instid0(VALU_DEP_2) | instskip(NEXT) | instid1(SALU_CYCLE_1)
	s_or_b32 s4, vcc_lo, s3
	s_and_saveexec_b32 s3, s4
	s_cbranch_execz .LBB430_202
; %bb.201:
	v_sub_f32_e32 v65, v67, v66
	s_mov_b32 s4, 0x3e9b6dac
	s_delay_alu instid0(VALU_DEP_1) | instskip(SKIP_1) | instid1(VALU_DEP_2)
	v_mul_f32_e32 v67, 0x3fb8aa3b, v65
	v_cmp_ngt_f32_e32 vcc_lo, 0xc2ce8ed0, v65
	v_fma_f32 v68, 0x3fb8aa3b, v65, -v67
	v_rndne_f32_e32 v101, v67
	s_delay_alu instid0(VALU_DEP_1) | instskip(NEXT) | instid1(VALU_DEP_1)
	v_dual_fmamk_f32 v68, v65, 0x32a5705f, v68 :: v_dual_sub_f32 v67, v67, v101
	v_add_f32_e32 v67, v67, v68
	v_cvt_i32_f32_e32 v68, v101
	s_delay_alu instid0(VALU_DEP_2) | instskip(SKIP_2) | instid1(VALU_DEP_1)
	v_exp_f32_e32 v67, v67
	s_waitcnt_depctr 0xfff
	v_ldexp_f32 v67, v67, v68
	v_cndmask_b32_e32 v67, 0, v67, vcc_lo
	v_cmp_nlt_f32_e32 vcc_lo, 0x42b17218, v65
	s_delay_alu instid0(VALU_DEP_2) | instskip(NEXT) | instid1(VALU_DEP_1)
	v_cndmask_b32_e32 v65, 0x7f800000, v67, vcc_lo
	v_add_f32_e32 v101, 1.0, v65
	s_delay_alu instid0(VALU_DEP_1) | instskip(NEXT) | instid1(VALU_DEP_1)
	v_cvt_f64_f32_e32 v[67:68], v101
	v_frexp_exp_i32_f64_e32 v67, v[67:68]
	v_frexp_mant_f32_e32 v68, v101
	s_delay_alu instid0(VALU_DEP_1) | instskip(SKIP_1) | instid1(VALU_DEP_1)
	v_cmp_gt_f32_e32 vcc_lo, 0x3f2aaaab, v68
	v_add_f32_e32 v68, -1.0, v101
	v_sub_f32_e32 v112, v68, v101
	v_sub_f32_e32 v68, v65, v68
	s_delay_alu instid0(VALU_DEP_2) | instskip(NEXT) | instid1(VALU_DEP_1)
	v_add_f32_e32 v112, 1.0, v112
	v_add_f32_e32 v68, v68, v112
	v_subrev_co_ci_u32_e32 v67, vcc_lo, 0, v67, vcc_lo
	v_cmp_eq_f32_e32 vcc_lo, 0x7f800000, v65
	s_delay_alu instid0(VALU_DEP_2) | instskip(SKIP_1) | instid1(VALU_DEP_2)
	v_sub_nc_u32_e32 v102, 0, v67
	v_cvt_f32_i32_e32 v67, v67
	v_ldexp_f32 v101, v101, v102
	v_ldexp_f32 v68, v68, v102
	s_delay_alu instid0(VALU_DEP_2) | instskip(SKIP_1) | instid1(VALU_DEP_1)
	v_add_f32_e32 v113, 1.0, v101
	v_add_f32_e32 v102, -1.0, v101
	v_add_f32_e32 v114, 1.0, v102
	s_delay_alu instid0(VALU_DEP_3) | instskip(NEXT) | instid1(VALU_DEP_1)
	v_add_f32_e32 v112, -1.0, v113
	v_sub_f32_e32 v112, v101, v112
	s_delay_alu instid0(VALU_DEP_1) | instskip(NEXT) | instid1(VALU_DEP_1)
	v_dual_sub_f32 v101, v101, v114 :: v_dual_add_f32 v112, v68, v112
	v_add_f32_e32 v114, v113, v112
	s_delay_alu instid0(VALU_DEP_2) | instskip(NEXT) | instid1(VALU_DEP_2)
	v_add_f32_e32 v68, v68, v101
	v_rcp_f32_e32 v101, v114
	v_sub_f32_e32 v113, v113, v114
	s_delay_alu instid0(VALU_DEP_1) | instskip(NEXT) | instid1(VALU_DEP_1)
	v_dual_add_f32 v115, v102, v68 :: v_dual_add_f32 v112, v112, v113
	v_sub_f32_e32 v102, v102, v115
	s_waitcnt_depctr 0xfff
	v_mul_f32_e32 v116, v115, v101
	s_delay_alu instid0(VALU_DEP_1) | instskip(NEXT) | instid1(VALU_DEP_1)
	v_mul_f32_e32 v117, v114, v116
	v_fma_f32 v113, v116, v114, -v117
	s_delay_alu instid0(VALU_DEP_1) | instskip(NEXT) | instid1(VALU_DEP_1)
	v_fmac_f32_e32 v113, v116, v112
	v_add_f32_e32 v118, v117, v113
	s_delay_alu instid0(VALU_DEP_1) | instskip(NEXT) | instid1(VALU_DEP_1)
	v_sub_f32_e32 v119, v115, v118
	v_dual_sub_f32 v115, v115, v119 :: v_dual_add_f32 v68, v68, v102
	s_delay_alu instid0(VALU_DEP_1) | instskip(NEXT) | instid1(VALU_DEP_1)
	v_dual_sub_f32 v102, v118, v117 :: v_dual_sub_f32 v115, v115, v118
	v_sub_f32_e32 v102, v102, v113
	s_delay_alu instid0(VALU_DEP_2) | instskip(NEXT) | instid1(VALU_DEP_1)
	v_add_f32_e32 v68, v68, v115
	v_add_f32_e32 v68, v102, v68
	s_delay_alu instid0(VALU_DEP_1) | instskip(NEXT) | instid1(VALU_DEP_1)
	v_add_f32_e32 v102, v119, v68
	v_mul_f32_e32 v113, v101, v102
	s_delay_alu instid0(VALU_DEP_1) | instskip(NEXT) | instid1(VALU_DEP_1)
	v_dual_sub_f32 v118, v119, v102 :: v_dual_mul_f32 v115, v114, v113
	v_add_f32_e32 v68, v68, v118
	s_delay_alu instid0(VALU_DEP_2) | instskip(NEXT) | instid1(VALU_DEP_1)
	v_fma_f32 v114, v113, v114, -v115
	v_fmac_f32_e32 v114, v113, v112
	s_delay_alu instid0(VALU_DEP_1) | instskip(NEXT) | instid1(VALU_DEP_1)
	v_add_f32_e32 v112, v115, v114
	v_sub_f32_e32 v117, v102, v112
	s_delay_alu instid0(VALU_DEP_1) | instskip(NEXT) | instid1(VALU_DEP_1)
	v_dual_sub_f32 v115, v112, v115 :: v_dual_sub_f32 v102, v102, v117
	v_sub_f32_e32 v102, v102, v112
	s_delay_alu instid0(VALU_DEP_2) | instskip(NEXT) | instid1(VALU_DEP_2)
	v_sub_f32_e32 v112, v115, v114
	v_add_f32_e32 v68, v68, v102
	v_add_f32_e32 v102, v116, v113
	s_delay_alu instid0(VALU_DEP_2) | instskip(NEXT) | instid1(VALU_DEP_2)
	v_add_f32_e32 v68, v112, v68
	v_sub_f32_e32 v112, v102, v116
	s_delay_alu instid0(VALU_DEP_2) | instskip(NEXT) | instid1(VALU_DEP_2)
	v_add_f32_e32 v68, v117, v68
	v_sub_f32_e32 v112, v113, v112
	s_delay_alu instid0(VALU_DEP_2) | instskip(NEXT) | instid1(VALU_DEP_1)
	v_mul_f32_e32 v68, v101, v68
	v_add_f32_e32 v68, v112, v68
	s_delay_alu instid0(VALU_DEP_1) | instskip(NEXT) | instid1(VALU_DEP_1)
	v_add_f32_e32 v101, v102, v68
	v_mul_f32_e32 v112, v101, v101
	s_delay_alu instid0(VALU_DEP_1) | instskip(SKIP_2) | instid1(VALU_DEP_3)
	v_fmaak_f32 v113, s4, v112, 0x3ecc95a3
	v_mul_f32_e32 v114, v101, v112
	v_cmp_gt_f32_e64 s4, 0x33800000, |v65|
	v_fmaak_f32 v112, v112, v113, 0x3f2aaada
	v_ldexp_f32 v113, v101, 1
	v_sub_f32_e32 v101, v101, v102
	s_delay_alu instid0(VALU_DEP_4) | instskip(NEXT) | instid1(VALU_DEP_3)
	s_or_b32 vcc_lo, vcc_lo, s4
	v_mul_f32_e32 v112, v114, v112
	v_mul_f32_e32 v114, 0x3f317218, v67
	s_delay_alu instid0(VALU_DEP_3) | instskip(NEXT) | instid1(VALU_DEP_3)
	v_sub_f32_e32 v68, v68, v101
	v_add_f32_e32 v102, v113, v112
	s_delay_alu instid0(VALU_DEP_2) | instskip(NEXT) | instid1(VALU_DEP_2)
	v_ldexp_f32 v68, v68, 1
	v_sub_f32_e32 v101, v102, v113
	v_fma_f32 v113, 0x3f317218, v67, -v114
	s_delay_alu instid0(VALU_DEP_2) | instskip(NEXT) | instid1(VALU_DEP_1)
	v_sub_f32_e32 v101, v112, v101
	v_dual_fmamk_f32 v67, v67, 0xb102e308, v113 :: v_dual_add_f32 v68, v68, v101
	s_delay_alu instid0(VALU_DEP_1) | instskip(NEXT) | instid1(VALU_DEP_2)
	v_add_f32_e32 v101, v114, v67
	v_add_f32_e32 v112, v102, v68
	s_delay_alu instid0(VALU_DEP_2) | instskip(NEXT) | instid1(VALU_DEP_2)
	v_sub_f32_e32 v114, v101, v114
	v_dual_add_f32 v113, v101, v112 :: v_dual_sub_f32 v102, v112, v102
	s_delay_alu instid0(VALU_DEP_2) | instskip(NEXT) | instid1(VALU_DEP_2)
	v_sub_f32_e32 v67, v67, v114
	v_dual_sub_f32 v115, v113, v101 :: v_dual_sub_f32 v68, v68, v102
	s_delay_alu instid0(VALU_DEP_1) | instskip(SKIP_1) | instid1(VALU_DEP_3)
	v_sub_f32_e32 v116, v113, v115
	v_sub_f32_e32 v102, v112, v115
	v_add_f32_e32 v112, v67, v68
	s_delay_alu instid0(VALU_DEP_3) | instskip(NEXT) | instid1(VALU_DEP_1)
	v_sub_f32_e32 v101, v101, v116
	v_dual_add_f32 v101, v102, v101 :: v_dual_sub_f32 v102, v112, v67
	s_delay_alu instid0(VALU_DEP_1) | instskip(NEXT) | instid1(VALU_DEP_2)
	v_add_f32_e32 v101, v112, v101
	v_sub_f32_e32 v112, v112, v102
	v_sub_f32_e32 v68, v68, v102
	s_delay_alu instid0(VALU_DEP_2) | instskip(NEXT) | instid1(VALU_DEP_1)
	v_dual_add_f32 v114, v113, v101 :: v_dual_sub_f32 v67, v67, v112
	v_dual_sub_f32 v102, v114, v113 :: v_dual_add_f32 v67, v68, v67
	s_delay_alu instid0(VALU_DEP_1) | instskip(NEXT) | instid1(VALU_DEP_1)
	v_sub_f32_e32 v68, v101, v102
	v_add_f32_e32 v67, v67, v68
	s_delay_alu instid0(VALU_DEP_1) | instskip(NEXT) | instid1(VALU_DEP_1)
	v_add_f32_e32 v67, v114, v67
	v_cndmask_b32_e32 v65, v67, v65, vcc_lo
	s_delay_alu instid0(VALU_DEP_1) | instskip(NEXT) | instid1(VALU_DEP_1)
	v_add_f32_e32 v65, v66, v65
	v_cvt_f16_f32_e32 v101, v65
	s_delay_alu instid0(VALU_DEP_1)
	v_cvt_f32_f16_e32 v102, v101
	v_mov_b32_e32 v65, v101
.LBB430_202:
	s_or_b32 exec_lo, exec_lo, s3
	s_delay_alu instid0(VALU_DEP_2) | instskip(SKIP_1) | instid1(VALU_DEP_2)
	v_dual_max_f32 v66, v69, v69 :: v_dual_max_f32 v67, v102, v102
	v_cmp_u_f16_e32 vcc_lo, v101, v101
	v_min_f32_e32 v68, v67, v66
	v_max_f32_e32 v66, v67, v66
	s_delay_alu instid0(VALU_DEP_2) | instskip(NEXT) | instid1(VALU_DEP_2)
	v_cndmask_b32_e32 v67, v68, v102, vcc_lo
	v_cndmask_b32_e32 v66, v66, v102, vcc_lo
	s_delay_alu instid0(VALU_DEP_2) | instskip(NEXT) | instid1(VALU_DEP_2)
	v_cndmask_b32_e64 v68, v67, v69, s8
	v_cndmask_b32_e64 v67, v66, v69, s8
	v_mov_b32_e32 v66, v65
	s_delay_alu instid0(VALU_DEP_3) | instskip(NEXT) | instid1(VALU_DEP_3)
	v_cmp_class_f32_e64 s3, v68, 0x1f8
	v_cmp_neq_f32_e32 vcc_lo, v68, v67
	s_delay_alu instid0(VALU_DEP_2) | instskip(NEXT) | instid1(SALU_CYCLE_1)
	s_or_b32 s4, vcc_lo, s3
	s_and_saveexec_b32 s3, s4
	s_cbranch_execz .LBB430_204
; %bb.203:
	v_sub_f32_e32 v66, v68, v67
	s_mov_b32 s4, 0x3e9b6dac
	s_delay_alu instid0(VALU_DEP_1) | instskip(SKIP_1) | instid1(VALU_DEP_2)
	v_mul_f32_e32 v68, 0x3fb8aa3b, v66
	v_cmp_ngt_f32_e32 vcc_lo, 0xc2ce8ed0, v66
	v_fma_f32 v69, 0x3fb8aa3b, v66, -v68
	v_rndne_f32_e32 v101, v68
	s_delay_alu instid0(VALU_DEP_1) | instskip(NEXT) | instid1(VALU_DEP_1)
	v_dual_fmamk_f32 v69, v66, 0x32a5705f, v69 :: v_dual_sub_f32 v68, v68, v101
	v_add_f32_e32 v68, v68, v69
	v_cvt_i32_f32_e32 v69, v101
	s_delay_alu instid0(VALU_DEP_2) | instskip(SKIP_2) | instid1(VALU_DEP_1)
	v_exp_f32_e32 v68, v68
	s_waitcnt_depctr 0xfff
	v_ldexp_f32 v68, v68, v69
	v_cndmask_b32_e32 v68, 0, v68, vcc_lo
	v_cmp_nlt_f32_e32 vcc_lo, 0x42b17218, v66
	s_delay_alu instid0(VALU_DEP_2) | instskip(NEXT) | instid1(VALU_DEP_1)
	v_cndmask_b32_e32 v66, 0x7f800000, v68, vcc_lo
	v_add_f32_e32 v101, 1.0, v66
	s_delay_alu instid0(VALU_DEP_1) | instskip(NEXT) | instid1(VALU_DEP_1)
	v_cvt_f64_f32_e32 v[68:69], v101
	v_frexp_exp_i32_f64_e32 v68, v[68:69]
	v_frexp_mant_f32_e32 v69, v101
	s_delay_alu instid0(VALU_DEP_1) | instskip(SKIP_1) | instid1(VALU_DEP_1)
	v_cmp_gt_f32_e32 vcc_lo, 0x3f2aaaab, v69
	v_add_f32_e32 v69, -1.0, v101
	v_sub_f32_e32 v112, v69, v101
	s_delay_alu instid0(VALU_DEP_1) | instskip(SKIP_1) | instid1(VALU_DEP_1)
	v_dual_sub_f32 v69, v66, v69 :: v_dual_add_f32 v112, 1.0, v112
	v_subrev_co_ci_u32_e32 v68, vcc_lo, 0, v68, vcc_lo
	v_sub_nc_u32_e32 v102, 0, v68
	v_cvt_f32_i32_e32 v68, v68
	s_delay_alu instid0(VALU_DEP_2) | instskip(NEXT) | instid1(VALU_DEP_1)
	v_ldexp_f32 v101, v101, v102
	v_add_f32_e32 v113, 1.0, v101
	s_delay_alu instid0(VALU_DEP_1) | instskip(NEXT) | instid1(VALU_DEP_1)
	v_dual_add_f32 v69, v69, v112 :: v_dual_add_f32 v112, -1.0, v113
	v_ldexp_f32 v69, v69, v102
	v_add_f32_e32 v102, -1.0, v101
	s_delay_alu instid0(VALU_DEP_3) | instskip(NEXT) | instid1(VALU_DEP_2)
	v_sub_f32_e32 v112, v101, v112
	v_add_f32_e32 v114, 1.0, v102
	s_delay_alu instid0(VALU_DEP_2) | instskip(NEXT) | instid1(VALU_DEP_2)
	v_add_f32_e32 v112, v69, v112
	v_sub_f32_e32 v101, v101, v114
	v_cmp_eq_f32_e32 vcc_lo, 0x7f800000, v66
	s_delay_alu instid0(VALU_DEP_3) | instskip(NEXT) | instid1(VALU_DEP_3)
	v_add_f32_e32 v114, v113, v112
	v_add_f32_e32 v69, v69, v101
	s_delay_alu instid0(VALU_DEP_2) | instskip(SKIP_1) | instid1(VALU_DEP_2)
	v_rcp_f32_e32 v101, v114
	v_sub_f32_e32 v113, v113, v114
	v_add_f32_e32 v115, v102, v69
	s_delay_alu instid0(VALU_DEP_2) | instskip(NEXT) | instid1(VALU_DEP_2)
	v_add_f32_e32 v112, v112, v113
	v_sub_f32_e32 v102, v102, v115
	s_waitcnt_depctr 0xfff
	v_dual_mul_f32 v116, v115, v101 :: v_dual_add_f32 v69, v69, v102
	s_delay_alu instid0(VALU_DEP_1) | instskip(NEXT) | instid1(VALU_DEP_1)
	v_mul_f32_e32 v117, v114, v116
	v_fma_f32 v113, v116, v114, -v117
	s_delay_alu instid0(VALU_DEP_1) | instskip(NEXT) | instid1(VALU_DEP_1)
	v_fmac_f32_e32 v113, v116, v112
	v_add_f32_e32 v118, v117, v113
	s_delay_alu instid0(VALU_DEP_1) | instskip(NEXT) | instid1(VALU_DEP_1)
	v_sub_f32_e32 v119, v115, v118
	v_sub_f32_e32 v115, v115, v119
	s_delay_alu instid0(VALU_DEP_1) | instskip(NEXT) | instid1(VALU_DEP_1)
	v_dual_sub_f32 v115, v115, v118 :: v_dual_sub_f32 v102, v118, v117
	v_dual_add_f32 v69, v69, v115 :: v_dual_sub_f32 v102, v102, v113
	s_delay_alu instid0(VALU_DEP_1) | instskip(NEXT) | instid1(VALU_DEP_1)
	v_add_f32_e32 v69, v102, v69
	v_add_f32_e32 v102, v119, v69
	s_delay_alu instid0(VALU_DEP_1) | instskip(NEXT) | instid1(VALU_DEP_1)
	v_mul_f32_e32 v113, v101, v102
	v_dual_sub_f32 v118, v119, v102 :: v_dual_mul_f32 v115, v114, v113
	s_delay_alu instid0(VALU_DEP_1) | instskip(NEXT) | instid1(VALU_DEP_1)
	v_fma_f32 v114, v113, v114, -v115
	v_fmac_f32_e32 v114, v113, v112
	s_delay_alu instid0(VALU_DEP_3) | instskip(NEXT) | instid1(VALU_DEP_2)
	v_add_f32_e32 v69, v69, v118
	v_add_f32_e32 v112, v115, v114
	s_delay_alu instid0(VALU_DEP_1) | instskip(NEXT) | instid1(VALU_DEP_1)
	v_sub_f32_e32 v117, v102, v112
	v_dual_sub_f32 v115, v112, v115 :: v_dual_sub_f32 v102, v102, v117
	s_delay_alu instid0(VALU_DEP_1) | instskip(NEXT) | instid1(VALU_DEP_2)
	v_sub_f32_e32 v102, v102, v112
	v_sub_f32_e32 v112, v115, v114
	s_delay_alu instid0(VALU_DEP_2) | instskip(NEXT) | instid1(VALU_DEP_1)
	v_dual_add_f32 v69, v69, v102 :: v_dual_add_f32 v102, v116, v113
	v_dual_add_f32 v69, v112, v69 :: v_dual_sub_f32 v112, v102, v116
	s_delay_alu instid0(VALU_DEP_1) | instskip(NEXT) | instid1(VALU_DEP_2)
	v_add_f32_e32 v69, v117, v69
	v_sub_f32_e32 v112, v113, v112
	s_delay_alu instid0(VALU_DEP_2) | instskip(NEXT) | instid1(VALU_DEP_1)
	v_mul_f32_e32 v69, v101, v69
	v_add_f32_e32 v69, v112, v69
	s_delay_alu instid0(VALU_DEP_1) | instskip(NEXT) | instid1(VALU_DEP_1)
	v_add_f32_e32 v101, v102, v69
	v_mul_f32_e32 v112, v101, v101
	s_delay_alu instid0(VALU_DEP_1) | instskip(SKIP_2) | instid1(VALU_DEP_3)
	v_fmaak_f32 v113, s4, v112, 0x3ecc95a3
	v_mul_f32_e32 v114, v101, v112
	v_cmp_gt_f32_e64 s4, 0x33800000, |v66|
	v_fmaak_f32 v112, v112, v113, 0x3f2aaada
	v_ldexp_f32 v113, v101, 1
	v_sub_f32_e32 v101, v101, v102
	s_delay_alu instid0(VALU_DEP_4) | instskip(NEXT) | instid1(VALU_DEP_1)
	s_or_b32 vcc_lo, vcc_lo, s4
	v_dual_mul_f32 v112, v114, v112 :: v_dual_sub_f32 v69, v69, v101
	s_delay_alu instid0(VALU_DEP_1) | instskip(SKIP_1) | instid1(VALU_DEP_3)
	v_add_f32_e32 v102, v113, v112
	v_mul_f32_e32 v114, 0x3f317218, v68
	v_ldexp_f32 v69, v69, 1
	s_delay_alu instid0(VALU_DEP_3) | instskip(NEXT) | instid1(VALU_DEP_3)
	v_sub_f32_e32 v101, v102, v113
	v_fma_f32 v113, 0x3f317218, v68, -v114
	s_delay_alu instid0(VALU_DEP_2) | instskip(NEXT) | instid1(VALU_DEP_1)
	v_sub_f32_e32 v101, v112, v101
	v_dual_fmamk_f32 v68, v68, 0xb102e308, v113 :: v_dual_add_f32 v69, v69, v101
	s_delay_alu instid0(VALU_DEP_1) | instskip(NEXT) | instid1(VALU_DEP_2)
	v_add_f32_e32 v101, v114, v68
	v_add_f32_e32 v112, v102, v69
	s_delay_alu instid0(VALU_DEP_2) | instskip(NEXT) | instid1(VALU_DEP_1)
	v_sub_f32_e32 v114, v101, v114
	v_dual_add_f32 v113, v101, v112 :: v_dual_sub_f32 v68, v68, v114
	s_delay_alu instid0(VALU_DEP_1) | instskip(NEXT) | instid1(VALU_DEP_1)
	v_sub_f32_e32 v115, v113, v101
	v_sub_f32_e32 v116, v113, v115
	s_delay_alu instid0(VALU_DEP_1) | instskip(NEXT) | instid1(VALU_DEP_1)
	v_dual_sub_f32 v101, v101, v116 :: v_dual_sub_f32 v102, v112, v102
	v_dual_sub_f32 v69, v69, v102 :: v_dual_sub_f32 v102, v112, v115
	s_delay_alu instid0(VALU_DEP_1) | instskip(NEXT) | instid1(VALU_DEP_1)
	v_add_f32_e32 v112, v68, v69
	v_dual_add_f32 v101, v102, v101 :: v_dual_sub_f32 v102, v112, v68
	s_delay_alu instid0(VALU_DEP_1) | instskip(NEXT) | instid1(VALU_DEP_2)
	v_sub_f32_e32 v69, v69, v102
	v_add_f32_e32 v101, v112, v101
	v_sub_f32_e32 v112, v112, v102
	s_delay_alu instid0(VALU_DEP_2) | instskip(NEXT) | instid1(VALU_DEP_1)
	v_add_f32_e32 v114, v113, v101
	v_sub_f32_e32 v102, v114, v113
	s_delay_alu instid0(VALU_DEP_3) | instskip(NEXT) | instid1(VALU_DEP_1)
	v_sub_f32_e32 v68, v68, v112
	v_add_f32_e32 v68, v69, v68
	s_delay_alu instid0(VALU_DEP_3) | instskip(NEXT) | instid1(VALU_DEP_1)
	v_sub_f32_e32 v69, v101, v102
	v_add_f32_e32 v68, v68, v69
	s_delay_alu instid0(VALU_DEP_1) | instskip(NEXT) | instid1(VALU_DEP_1)
	v_add_f32_e32 v68, v114, v68
	v_cndmask_b32_e32 v66, v68, v66, vcc_lo
	s_delay_alu instid0(VALU_DEP_1) | instskip(NEXT) | instid1(VALU_DEP_1)
	v_add_f32_e32 v66, v67, v66
	v_cvt_f16_f32_e32 v101, v66
	s_delay_alu instid0(VALU_DEP_1)
	v_cvt_f32_f16_e32 v102, v101
	v_mov_b32_e32 v66, v101
.LBB430_204:
	s_or_b32 exec_lo, exec_lo, s3
	v_max_f32_e32 v67, v70, v70
	s_delay_alu instid0(VALU_DEP_3) | instskip(SKIP_1) | instid1(VALU_DEP_2)
	v_max_f32_e32 v68, v102, v102
	v_cmp_u_f16_e32 vcc_lo, v101, v101
	v_min_f32_e32 v69, v68, v67
	s_delay_alu instid0(VALU_DEP_1) | instskip(NEXT) | instid1(VALU_DEP_1)
	v_dual_max_f32 v67, v68, v67 :: v_dual_cndmask_b32 v68, v69, v102
	v_cndmask_b32_e32 v67, v67, v102, vcc_lo
	s_delay_alu instid0(VALU_DEP_2) | instskip(NEXT) | instid1(VALU_DEP_2)
	v_cndmask_b32_e64 v69, v68, v70, s9
	v_cndmask_b32_e64 v68, v67, v70, s9
	v_mov_b32_e32 v67, v66
	s_delay_alu instid0(VALU_DEP_3) | instskip(NEXT) | instid1(VALU_DEP_3)
	v_cmp_class_f32_e64 s3, v69, 0x1f8
	v_cmp_neq_f32_e32 vcc_lo, v69, v68
	s_delay_alu instid0(VALU_DEP_2) | instskip(NEXT) | instid1(SALU_CYCLE_1)
	s_or_b32 s4, vcc_lo, s3
	s_and_saveexec_b32 s3, s4
	s_cbranch_execz .LBB430_206
; %bb.205:
	v_sub_f32_e32 v67, v69, v68
	s_mov_b32 s4, 0x3e9b6dac
	s_delay_alu instid0(VALU_DEP_1) | instskip(SKIP_1) | instid1(VALU_DEP_2)
	v_mul_f32_e32 v69, 0x3fb8aa3b, v67
	v_cmp_ngt_f32_e32 vcc_lo, 0xc2ce8ed0, v67
	v_fma_f32 v70, 0x3fb8aa3b, v67, -v69
	v_rndne_f32_e32 v101, v69
	s_delay_alu instid0(VALU_DEP_1) | instskip(NEXT) | instid1(VALU_DEP_1)
	v_dual_fmamk_f32 v70, v67, 0x32a5705f, v70 :: v_dual_sub_f32 v69, v69, v101
	v_add_f32_e32 v69, v69, v70
	v_cvt_i32_f32_e32 v70, v101
	s_delay_alu instid0(VALU_DEP_2) | instskip(SKIP_2) | instid1(VALU_DEP_1)
	v_exp_f32_e32 v69, v69
	s_waitcnt_depctr 0xfff
	v_ldexp_f32 v69, v69, v70
	v_cndmask_b32_e32 v69, 0, v69, vcc_lo
	v_cmp_nlt_f32_e32 vcc_lo, 0x42b17218, v67
	s_delay_alu instid0(VALU_DEP_2) | instskip(NEXT) | instid1(VALU_DEP_1)
	v_cndmask_b32_e32 v67, 0x7f800000, v69, vcc_lo
	v_add_f32_e32 v101, 1.0, v67
	s_delay_alu instid0(VALU_DEP_1) | instskip(NEXT) | instid1(VALU_DEP_1)
	v_cvt_f64_f32_e32 v[69:70], v101
	v_frexp_exp_i32_f64_e32 v69, v[69:70]
	v_frexp_mant_f32_e32 v70, v101
	s_delay_alu instid0(VALU_DEP_1) | instskip(SKIP_1) | instid1(VALU_DEP_1)
	v_cmp_gt_f32_e32 vcc_lo, 0x3f2aaaab, v70
	v_add_f32_e32 v70, -1.0, v101
	v_sub_f32_e32 v112, v70, v101
	v_sub_f32_e32 v70, v67, v70
	s_delay_alu instid0(VALU_DEP_2) | instskip(NEXT) | instid1(VALU_DEP_1)
	v_add_f32_e32 v112, 1.0, v112
	v_add_f32_e32 v70, v70, v112
	v_subrev_co_ci_u32_e32 v69, vcc_lo, 0, v69, vcc_lo
	v_cmp_eq_f32_e32 vcc_lo, 0x7f800000, v67
	s_delay_alu instid0(VALU_DEP_2) | instskip(SKIP_1) | instid1(VALU_DEP_2)
	v_sub_nc_u32_e32 v102, 0, v69
	v_cvt_f32_i32_e32 v69, v69
	v_ldexp_f32 v101, v101, v102
	v_ldexp_f32 v70, v70, v102
	s_delay_alu instid0(VALU_DEP_2) | instskip(SKIP_1) | instid1(VALU_DEP_2)
	v_add_f32_e32 v113, 1.0, v101
	v_add_f32_e32 v102, -1.0, v101
	v_add_f32_e32 v112, -1.0, v113
	s_delay_alu instid0(VALU_DEP_2) | instskip(NEXT) | instid1(VALU_DEP_2)
	v_add_f32_e32 v114, 1.0, v102
	v_sub_f32_e32 v112, v101, v112
	s_delay_alu instid0(VALU_DEP_1) | instskip(NEXT) | instid1(VALU_DEP_1)
	v_dual_sub_f32 v101, v101, v114 :: v_dual_add_f32 v112, v70, v112
	v_add_f32_e32 v70, v70, v101
	s_delay_alu instid0(VALU_DEP_1) | instskip(NEXT) | instid1(VALU_DEP_1)
	v_dual_add_f32 v114, v113, v112 :: v_dual_add_f32 v115, v102, v70
	v_rcp_f32_e32 v101, v114
	v_sub_f32_e32 v113, v113, v114
	s_delay_alu instid0(VALU_DEP_1) | instskip(SKIP_2) | instid1(VALU_DEP_1)
	v_add_f32_e32 v112, v112, v113
	s_waitcnt_depctr 0xfff
	v_mul_f32_e32 v116, v115, v101
	v_mul_f32_e32 v117, v114, v116
	s_delay_alu instid0(VALU_DEP_1) | instskip(NEXT) | instid1(VALU_DEP_1)
	v_fma_f32 v113, v116, v114, -v117
	v_fmac_f32_e32 v113, v116, v112
	s_delay_alu instid0(VALU_DEP_1) | instskip(NEXT) | instid1(VALU_DEP_1)
	v_add_f32_e32 v118, v117, v113
	v_dual_sub_f32 v102, v102, v115 :: v_dual_sub_f32 v119, v115, v118
	s_delay_alu instid0(VALU_DEP_1) | instskip(NEXT) | instid1(VALU_DEP_1)
	v_sub_f32_e32 v115, v115, v119
	v_sub_f32_e32 v115, v115, v118
	s_delay_alu instid0(VALU_DEP_3) | instskip(SKIP_1) | instid1(VALU_DEP_2)
	v_add_f32_e32 v70, v70, v102
	v_sub_f32_e32 v102, v118, v117
	v_add_f32_e32 v70, v70, v115
	s_delay_alu instid0(VALU_DEP_2) | instskip(NEXT) | instid1(VALU_DEP_1)
	v_sub_f32_e32 v102, v102, v113
	v_add_f32_e32 v70, v102, v70
	s_delay_alu instid0(VALU_DEP_1) | instskip(NEXT) | instid1(VALU_DEP_1)
	v_add_f32_e32 v102, v119, v70
	v_mul_f32_e32 v113, v101, v102
	s_delay_alu instid0(VALU_DEP_1) | instskip(NEXT) | instid1(VALU_DEP_1)
	v_dual_mul_f32 v115, v114, v113 :: v_dual_sub_f32 v118, v119, v102
	v_fma_f32 v114, v113, v114, -v115
	s_delay_alu instid0(VALU_DEP_2) | instskip(NEXT) | instid1(VALU_DEP_2)
	v_add_f32_e32 v70, v70, v118
	v_fmac_f32_e32 v114, v113, v112
	s_delay_alu instid0(VALU_DEP_1) | instskip(NEXT) | instid1(VALU_DEP_1)
	v_add_f32_e32 v112, v115, v114
	v_sub_f32_e32 v117, v102, v112
	s_delay_alu instid0(VALU_DEP_1) | instskip(NEXT) | instid1(VALU_DEP_1)
	v_dual_sub_f32 v115, v112, v115 :: v_dual_sub_f32 v102, v102, v117
	v_sub_f32_e32 v102, v102, v112
	s_delay_alu instid0(VALU_DEP_2) | instskip(NEXT) | instid1(VALU_DEP_2)
	v_sub_f32_e32 v112, v115, v114
	v_add_f32_e32 v70, v70, v102
	v_add_f32_e32 v102, v116, v113
	s_delay_alu instid0(VALU_DEP_2) | instskip(NEXT) | instid1(VALU_DEP_2)
	v_add_f32_e32 v70, v112, v70
	v_sub_f32_e32 v112, v102, v116
	s_delay_alu instid0(VALU_DEP_2) | instskip(NEXT) | instid1(VALU_DEP_2)
	v_add_f32_e32 v70, v117, v70
	v_sub_f32_e32 v112, v113, v112
	s_delay_alu instid0(VALU_DEP_2) | instskip(NEXT) | instid1(VALU_DEP_1)
	v_mul_f32_e32 v70, v101, v70
	v_add_f32_e32 v70, v112, v70
	s_delay_alu instid0(VALU_DEP_1) | instskip(NEXT) | instid1(VALU_DEP_1)
	v_add_f32_e32 v101, v102, v70
	v_mul_f32_e32 v112, v101, v101
	s_delay_alu instid0(VALU_DEP_1) | instskip(SKIP_2) | instid1(VALU_DEP_3)
	v_fmaak_f32 v113, s4, v112, 0x3ecc95a3
	v_mul_f32_e32 v114, v101, v112
	v_cmp_gt_f32_e64 s4, 0x33800000, |v67|
	v_fmaak_f32 v112, v112, v113, 0x3f2aaada
	v_ldexp_f32 v113, v101, 1
	v_sub_f32_e32 v101, v101, v102
	s_delay_alu instid0(VALU_DEP_4) | instskip(NEXT) | instid1(VALU_DEP_3)
	s_or_b32 vcc_lo, vcc_lo, s4
	v_mul_f32_e32 v112, v114, v112
	v_mul_f32_e32 v114, 0x3f317218, v69
	s_delay_alu instid0(VALU_DEP_3) | instskip(NEXT) | instid1(VALU_DEP_3)
	v_sub_f32_e32 v70, v70, v101
	v_add_f32_e32 v102, v113, v112
	s_delay_alu instid0(VALU_DEP_2) | instskip(NEXT) | instid1(VALU_DEP_2)
	v_ldexp_f32 v70, v70, 1
	v_sub_f32_e32 v101, v102, v113
	v_fma_f32 v113, 0x3f317218, v69, -v114
	s_delay_alu instid0(VALU_DEP_2) | instskip(NEXT) | instid1(VALU_DEP_1)
	v_sub_f32_e32 v101, v112, v101
	v_dual_fmamk_f32 v69, v69, 0xb102e308, v113 :: v_dual_add_f32 v70, v70, v101
	s_delay_alu instid0(VALU_DEP_1) | instskip(NEXT) | instid1(VALU_DEP_2)
	v_add_f32_e32 v101, v114, v69
	v_add_f32_e32 v112, v102, v70
	s_delay_alu instid0(VALU_DEP_2) | instskip(NEXT) | instid1(VALU_DEP_2)
	v_sub_f32_e32 v114, v101, v114
	v_dual_add_f32 v113, v101, v112 :: v_dual_sub_f32 v102, v112, v102
	s_delay_alu instid0(VALU_DEP_2) | instskip(NEXT) | instid1(VALU_DEP_2)
	v_sub_f32_e32 v69, v69, v114
	v_dual_sub_f32 v115, v113, v101 :: v_dual_sub_f32 v70, v70, v102
	s_delay_alu instid0(VALU_DEP_1) | instskip(SKIP_1) | instid1(VALU_DEP_3)
	v_sub_f32_e32 v116, v113, v115
	v_sub_f32_e32 v102, v112, v115
	v_add_f32_e32 v112, v69, v70
	s_delay_alu instid0(VALU_DEP_3) | instskip(NEXT) | instid1(VALU_DEP_1)
	v_sub_f32_e32 v101, v101, v116
	v_add_f32_e32 v101, v102, v101
	s_delay_alu instid0(VALU_DEP_3) | instskip(NEXT) | instid1(VALU_DEP_2)
	v_sub_f32_e32 v102, v112, v69
	v_add_f32_e32 v101, v112, v101
	s_delay_alu instid0(VALU_DEP_2) | instskip(SKIP_1) | instid1(VALU_DEP_3)
	v_sub_f32_e32 v112, v112, v102
	v_sub_f32_e32 v70, v70, v102
	v_add_f32_e32 v114, v113, v101
	s_delay_alu instid0(VALU_DEP_1) | instskip(NEXT) | instid1(VALU_DEP_1)
	v_dual_sub_f32 v69, v69, v112 :: v_dual_sub_f32 v102, v114, v113
	v_dual_add_f32 v69, v70, v69 :: v_dual_sub_f32 v70, v101, v102
	s_delay_alu instid0(VALU_DEP_1) | instskip(NEXT) | instid1(VALU_DEP_1)
	v_add_f32_e32 v69, v69, v70
	v_add_f32_e32 v69, v114, v69
	s_delay_alu instid0(VALU_DEP_1) | instskip(NEXT) | instid1(VALU_DEP_1)
	v_cndmask_b32_e32 v67, v69, v67, vcc_lo
	v_add_f32_e32 v67, v68, v67
	s_delay_alu instid0(VALU_DEP_1) | instskip(NEXT) | instid1(VALU_DEP_1)
	v_cvt_f16_f32_e32 v101, v67
	v_mov_b32_e32 v67, v101
	v_cvt_f32_f16_e32 v102, v101
.LBB430_206:
	s_or_b32 exec_lo, exec_lo, s3
	s_delay_alu instid0(VALU_DEP_1) | instskip(SKIP_1) | instid1(VALU_DEP_2)
	v_dual_max_f32 v68, v71, v71 :: v_dual_max_f32 v69, v102, v102
	v_cmp_u_f16_e32 vcc_lo, v101, v101
	v_min_f32_e32 v70, v69, v68
	s_delay_alu instid0(VALU_DEP_1) | instskip(NEXT) | instid1(VALU_DEP_1)
	v_dual_max_f32 v68, v69, v68 :: v_dual_cndmask_b32 v69, v70, v102
	v_cndmask_b32_e32 v68, v68, v102, vcc_lo
	s_delay_alu instid0(VALU_DEP_2) | instskip(NEXT) | instid1(VALU_DEP_2)
	v_cndmask_b32_e64 v70, v69, v71, s10
	v_cndmask_b32_e64 v69, v68, v71, s10
	v_mov_b32_e32 v68, v67
	s_delay_alu instid0(VALU_DEP_3) | instskip(NEXT) | instid1(VALU_DEP_3)
	v_cmp_class_f32_e64 s3, v70, 0x1f8
	v_cmp_neq_f32_e32 vcc_lo, v70, v69
	s_delay_alu instid0(VALU_DEP_2) | instskip(NEXT) | instid1(SALU_CYCLE_1)
	s_or_b32 s4, vcc_lo, s3
	s_and_saveexec_b32 s3, s4
	s_cbranch_execz .LBB430_208
; %bb.207:
	v_sub_f32_e32 v68, v70, v69
	s_mov_b32 s4, 0x3e9b6dac
	s_delay_alu instid0(VALU_DEP_1) | instskip(SKIP_1) | instid1(VALU_DEP_2)
	v_mul_f32_e32 v70, 0x3fb8aa3b, v68
	v_cmp_ngt_f32_e32 vcc_lo, 0xc2ce8ed0, v68
	v_fma_f32 v71, 0x3fb8aa3b, v68, -v70
	v_rndne_f32_e32 v101, v70
	s_delay_alu instid0(VALU_DEP_1) | instskip(NEXT) | instid1(VALU_DEP_1)
	v_dual_fmamk_f32 v71, v68, 0x32a5705f, v71 :: v_dual_sub_f32 v70, v70, v101
	v_add_f32_e32 v70, v70, v71
	v_cvt_i32_f32_e32 v71, v101
	s_delay_alu instid0(VALU_DEP_2) | instskip(SKIP_2) | instid1(VALU_DEP_1)
	v_exp_f32_e32 v70, v70
	s_waitcnt_depctr 0xfff
	v_ldexp_f32 v70, v70, v71
	v_cndmask_b32_e32 v70, 0, v70, vcc_lo
	v_cmp_nlt_f32_e32 vcc_lo, 0x42b17218, v68
	s_delay_alu instid0(VALU_DEP_2) | instskip(NEXT) | instid1(VALU_DEP_1)
	v_cndmask_b32_e32 v68, 0x7f800000, v70, vcc_lo
	v_add_f32_e32 v101, 1.0, v68
	s_delay_alu instid0(VALU_DEP_1) | instskip(NEXT) | instid1(VALU_DEP_1)
	v_cvt_f64_f32_e32 v[70:71], v101
	v_frexp_exp_i32_f64_e32 v70, v[70:71]
	v_frexp_mant_f32_e32 v71, v101
	s_delay_alu instid0(VALU_DEP_1) | instskip(SKIP_1) | instid1(VALU_DEP_1)
	v_cmp_gt_f32_e32 vcc_lo, 0x3f2aaaab, v71
	v_add_f32_e32 v71, -1.0, v101
	v_sub_f32_e32 v112, v71, v101
	s_delay_alu instid0(VALU_DEP_1) | instskip(SKIP_1) | instid1(VALU_DEP_1)
	v_add_f32_e32 v112, 1.0, v112
	v_subrev_co_ci_u32_e32 v70, vcc_lo, 0, v70, vcc_lo
	v_sub_nc_u32_e32 v102, 0, v70
	v_cvt_f32_i32_e32 v70, v70
	s_delay_alu instid0(VALU_DEP_2) | instskip(NEXT) | instid1(VALU_DEP_1)
	v_ldexp_f32 v101, v101, v102
	v_add_f32_e32 v113, 1.0, v101
	v_sub_f32_e32 v71, v68, v71
	v_cmp_eq_f32_e32 vcc_lo, 0x7f800000, v68
	s_delay_alu instid0(VALU_DEP_2) | instskip(NEXT) | instid1(VALU_DEP_1)
	v_add_f32_e32 v71, v71, v112
	v_ldexp_f32 v71, v71, v102
	v_add_f32_e32 v102, -1.0, v101
	v_add_f32_e32 v112, -1.0, v113
	s_delay_alu instid0(VALU_DEP_2) | instskip(NEXT) | instid1(VALU_DEP_2)
	v_add_f32_e32 v114, 1.0, v102
	v_sub_f32_e32 v112, v101, v112
	s_delay_alu instid0(VALU_DEP_1) | instskip(NEXT) | instid1(VALU_DEP_1)
	v_dual_sub_f32 v101, v101, v114 :: v_dual_add_f32 v112, v71, v112
	v_dual_add_f32 v71, v71, v101 :: v_dual_add_f32 v114, v113, v112
	s_delay_alu instid0(VALU_DEP_1) | instskip(SKIP_1) | instid1(VALU_DEP_1)
	v_rcp_f32_e32 v101, v114
	v_sub_f32_e32 v113, v113, v114
	v_dual_add_f32 v115, v102, v71 :: v_dual_add_f32 v112, v112, v113
	s_delay_alu instid0(VALU_DEP_1) | instskip(SKIP_3) | instid1(VALU_DEP_2)
	v_sub_f32_e32 v102, v102, v115
	s_waitcnt_depctr 0xfff
	v_mul_f32_e32 v116, v115, v101
	v_add_f32_e32 v71, v71, v102
	v_mul_f32_e32 v117, v114, v116
	s_delay_alu instid0(VALU_DEP_1) | instskip(NEXT) | instid1(VALU_DEP_1)
	v_fma_f32 v113, v116, v114, -v117
	v_fmac_f32_e32 v113, v116, v112
	s_delay_alu instid0(VALU_DEP_1) | instskip(NEXT) | instid1(VALU_DEP_1)
	v_add_f32_e32 v118, v117, v113
	v_sub_f32_e32 v119, v115, v118
	s_delay_alu instid0(VALU_DEP_1) | instskip(NEXT) | instid1(VALU_DEP_1)
	v_sub_f32_e32 v115, v115, v119
	v_dual_sub_f32 v115, v115, v118 :: v_dual_sub_f32 v102, v118, v117
	s_delay_alu instid0(VALU_DEP_1) | instskip(NEXT) | instid1(VALU_DEP_1)
	v_dual_add_f32 v71, v71, v115 :: v_dual_sub_f32 v102, v102, v113
	v_add_f32_e32 v71, v102, v71
	s_delay_alu instid0(VALU_DEP_1) | instskip(NEXT) | instid1(VALU_DEP_1)
	v_add_f32_e32 v102, v119, v71
	v_mul_f32_e32 v113, v101, v102
	s_delay_alu instid0(VALU_DEP_1) | instskip(NEXT) | instid1(VALU_DEP_1)
	v_dual_mul_f32 v115, v114, v113 :: v_dual_sub_f32 v118, v119, v102
	v_fma_f32 v114, v113, v114, -v115
	s_delay_alu instid0(VALU_DEP_1) | instskip(NEXT) | instid1(VALU_DEP_1)
	v_dual_add_f32 v71, v71, v118 :: v_dual_fmac_f32 v114, v113, v112
	v_add_f32_e32 v112, v115, v114
	s_delay_alu instid0(VALU_DEP_1) | instskip(NEXT) | instid1(VALU_DEP_1)
	v_sub_f32_e32 v117, v102, v112
	v_dual_sub_f32 v115, v112, v115 :: v_dual_sub_f32 v102, v102, v117
	s_delay_alu instid0(VALU_DEP_1) | instskip(NEXT) | instid1(VALU_DEP_1)
	v_sub_f32_e32 v102, v102, v112
	v_dual_add_f32 v71, v71, v102 :: v_dual_add_f32 v102, v116, v113
	s_delay_alu instid0(VALU_DEP_3) | instskip(NEXT) | instid1(VALU_DEP_1)
	v_sub_f32_e32 v112, v115, v114
	v_dual_add_f32 v71, v112, v71 :: v_dual_sub_f32 v112, v102, v116
	s_delay_alu instid0(VALU_DEP_1) | instskip(NEXT) | instid1(VALU_DEP_2)
	v_add_f32_e32 v71, v117, v71
	v_sub_f32_e32 v112, v113, v112
	s_delay_alu instid0(VALU_DEP_2) | instskip(NEXT) | instid1(VALU_DEP_1)
	v_mul_f32_e32 v71, v101, v71
	v_add_f32_e32 v71, v112, v71
	s_delay_alu instid0(VALU_DEP_1) | instskip(NEXT) | instid1(VALU_DEP_1)
	v_add_f32_e32 v101, v102, v71
	v_mul_f32_e32 v112, v101, v101
	s_delay_alu instid0(VALU_DEP_1) | instskip(SKIP_2) | instid1(VALU_DEP_3)
	v_fmaak_f32 v113, s4, v112, 0x3ecc95a3
	v_mul_f32_e32 v114, v101, v112
	v_cmp_gt_f32_e64 s4, 0x33800000, |v68|
	v_fmaak_f32 v112, v112, v113, 0x3f2aaada
	v_ldexp_f32 v113, v101, 1
	v_sub_f32_e32 v101, v101, v102
	s_delay_alu instid0(VALU_DEP_4) | instskip(NEXT) | instid1(VALU_DEP_1)
	s_or_b32 vcc_lo, vcc_lo, s4
	v_sub_f32_e32 v71, v71, v101
	s_delay_alu instid0(VALU_DEP_1) | instskip(SKIP_1) | instid1(VALU_DEP_1)
	v_ldexp_f32 v71, v71, 1
	v_mul_f32_e32 v112, v114, v112
	v_add_f32_e32 v102, v113, v112
	s_delay_alu instid0(VALU_DEP_1) | instskip(NEXT) | instid1(VALU_DEP_1)
	v_sub_f32_e32 v101, v102, v113
	v_sub_f32_e32 v101, v112, v101
	s_delay_alu instid0(VALU_DEP_1) | instskip(NEXT) | instid1(VALU_DEP_1)
	v_add_f32_e32 v71, v71, v101
	v_add_f32_e32 v112, v102, v71
	v_mul_f32_e32 v114, 0x3f317218, v70
	s_delay_alu instid0(VALU_DEP_1) | instskip(NEXT) | instid1(VALU_DEP_1)
	v_fma_f32 v113, 0x3f317218, v70, -v114
	v_fmamk_f32 v70, v70, 0xb102e308, v113
	s_delay_alu instid0(VALU_DEP_1) | instskip(NEXT) | instid1(VALU_DEP_1)
	v_add_f32_e32 v101, v114, v70
	v_add_f32_e32 v113, v101, v112
	s_delay_alu instid0(VALU_DEP_1) | instskip(NEXT) | instid1(VALU_DEP_1)
	v_sub_f32_e32 v115, v113, v101
	v_sub_f32_e32 v116, v113, v115
	;; [unrolled: 1-line block ×3, first 2 shown]
	s_delay_alu instid0(VALU_DEP_1) | instskip(SKIP_1) | instid1(VALU_DEP_4)
	v_dual_sub_f32 v71, v71, v102 :: v_dual_sub_f32 v102, v112, v115
	v_sub_f32_e32 v114, v101, v114
	v_sub_f32_e32 v101, v101, v116
	s_delay_alu instid0(VALU_DEP_1) | instskip(NEXT) | instid1(VALU_DEP_3)
	v_add_f32_e32 v101, v102, v101
	v_sub_f32_e32 v70, v70, v114
	s_delay_alu instid0(VALU_DEP_1) | instskip(NEXT) | instid1(VALU_DEP_1)
	v_add_f32_e32 v112, v70, v71
	v_add_f32_e32 v101, v112, v101
	v_sub_f32_e32 v102, v112, v70
	s_delay_alu instid0(VALU_DEP_1) | instskip(SKIP_1) | instid1(VALU_DEP_2)
	v_dual_add_f32 v114, v113, v101 :: v_dual_sub_f32 v71, v71, v102
	v_sub_f32_e32 v112, v112, v102
	v_sub_f32_e32 v102, v114, v113
	s_delay_alu instid0(VALU_DEP_2) | instskip(NEXT) | instid1(VALU_DEP_1)
	v_sub_f32_e32 v70, v70, v112
	v_add_f32_e32 v70, v71, v70
	s_delay_alu instid0(VALU_DEP_3) | instskip(NEXT) | instid1(VALU_DEP_1)
	v_sub_f32_e32 v71, v101, v102
	v_add_f32_e32 v70, v70, v71
	s_delay_alu instid0(VALU_DEP_1) | instskip(NEXT) | instid1(VALU_DEP_1)
	v_add_f32_e32 v70, v114, v70
	v_cndmask_b32_e32 v68, v70, v68, vcc_lo
	s_delay_alu instid0(VALU_DEP_1) | instskip(NEXT) | instid1(VALU_DEP_1)
	v_add_f32_e32 v68, v69, v68
	v_cvt_f16_f32_e32 v101, v68
	s_delay_alu instid0(VALU_DEP_1)
	v_cvt_f32_f16_e32 v102, v101
	v_mov_b32_e32 v68, v101
.LBB430_208:
	s_or_b32 exec_lo, exec_lo, s3
	s_delay_alu instid0(VALU_DEP_2) | instskip(SKIP_1) | instid1(VALU_DEP_2)
	v_dual_max_f32 v69, v80, v80 :: v_dual_max_f32 v70, v102, v102
	v_cmp_u_f16_e32 vcc_lo, v101, v101
	v_min_f32_e32 v71, v70, v69
	s_delay_alu instid0(VALU_DEP_1) | instskip(NEXT) | instid1(VALU_DEP_1)
	v_dual_max_f32 v69, v70, v69 :: v_dual_cndmask_b32 v70, v71, v102
	v_cndmask_b32_e32 v69, v69, v102, vcc_lo
	s_delay_alu instid0(VALU_DEP_2) | instskip(NEXT) | instid1(VALU_DEP_2)
	v_cndmask_b32_e64 v71, v70, v80, s11
	v_cndmask_b32_e64 v70, v69, v80, s11
	v_mov_b32_e32 v69, v68
	s_delay_alu instid0(VALU_DEP_3) | instskip(NEXT) | instid1(VALU_DEP_3)
	v_cmp_class_f32_e64 s3, v71, 0x1f8
	v_cmp_neq_f32_e32 vcc_lo, v71, v70
	s_delay_alu instid0(VALU_DEP_2) | instskip(NEXT) | instid1(SALU_CYCLE_1)
	s_or_b32 s4, vcc_lo, s3
	s_and_saveexec_b32 s3, s4
	s_cbranch_execz .LBB430_210
; %bb.209:
	v_sub_f32_e32 v69, v71, v70
	s_mov_b32 s4, 0x3e9b6dac
	s_delay_alu instid0(VALU_DEP_1) | instskip(SKIP_1) | instid1(VALU_DEP_2)
	v_mul_f32_e32 v71, 0x3fb8aa3b, v69
	v_cmp_ngt_f32_e32 vcc_lo, 0xc2ce8ed0, v69
	v_fma_f32 v80, 0x3fb8aa3b, v69, -v71
	v_rndne_f32_e32 v101, v71
	s_delay_alu instid0(VALU_DEP_1) | instskip(NEXT) | instid1(VALU_DEP_1)
	v_dual_fmamk_f32 v80, v69, 0x32a5705f, v80 :: v_dual_sub_f32 v71, v71, v101
	v_add_f32_e32 v71, v71, v80
	v_cvt_i32_f32_e32 v80, v101
	s_delay_alu instid0(VALU_DEP_2) | instskip(SKIP_2) | instid1(VALU_DEP_1)
	v_exp_f32_e32 v71, v71
	s_waitcnt_depctr 0xfff
	v_ldexp_f32 v71, v71, v80
	v_cndmask_b32_e32 v71, 0, v71, vcc_lo
	v_cmp_nlt_f32_e32 vcc_lo, 0x42b17218, v69
	s_delay_alu instid0(VALU_DEP_2) | instskip(NEXT) | instid1(VALU_DEP_1)
	v_cndmask_b32_e32 v69, 0x7f800000, v71, vcc_lo
	v_add_f32_e32 v71, 1.0, v69
	s_delay_alu instid0(VALU_DEP_1) | instskip(NEXT) | instid1(VALU_DEP_1)
	v_cvt_f64_f32_e32 v[101:102], v71
	v_frexp_exp_i32_f64_e32 v80, v[101:102]
	v_frexp_mant_f32_e32 v101, v71
	s_delay_alu instid0(VALU_DEP_1) | instskip(SKIP_1) | instid1(VALU_DEP_1)
	v_cmp_gt_f32_e32 vcc_lo, 0x3f2aaaab, v101
	v_add_f32_e32 v101, -1.0, v71
	v_sub_f32_e32 v112, v101, v71
	s_delay_alu instid0(VALU_DEP_1) | instskip(SKIP_1) | instid1(VALU_DEP_1)
	v_add_f32_e32 v112, 1.0, v112
	v_subrev_co_ci_u32_e32 v80, vcc_lo, 0, v80, vcc_lo
	v_sub_nc_u32_e32 v102, 0, v80
	v_cvt_f32_i32_e32 v80, v80
	s_delay_alu instid0(VALU_DEP_2) | instskip(SKIP_1) | instid1(VALU_DEP_2)
	v_ldexp_f32 v71, v71, v102
	v_sub_f32_e32 v101, v69, v101
	v_add_f32_e32 v113, 1.0, v71
	s_delay_alu instid0(VALU_DEP_1) | instskip(NEXT) | instid1(VALU_DEP_1)
	v_dual_add_f32 v101, v101, v112 :: v_dual_add_f32 v112, -1.0, v113
	v_ldexp_f32 v101, v101, v102
	v_add_f32_e32 v102, -1.0, v71
	s_delay_alu instid0(VALU_DEP_3) | instskip(SKIP_1) | instid1(VALU_DEP_3)
	v_sub_f32_e32 v112, v71, v112
	v_cmp_eq_f32_e32 vcc_lo, 0x7f800000, v69
	v_add_f32_e32 v114, 1.0, v102
	s_delay_alu instid0(VALU_DEP_1) | instskip(NEXT) | instid1(VALU_DEP_1)
	v_dual_add_f32 v112, v101, v112 :: v_dual_sub_f32 v71, v71, v114
	v_add_f32_e32 v114, v113, v112
	s_delay_alu instid0(VALU_DEP_2) | instskip(NEXT) | instid1(VALU_DEP_2)
	v_add_f32_e32 v71, v101, v71
	v_rcp_f32_e32 v101, v114
	s_delay_alu instid0(VALU_DEP_1) | instskip(NEXT) | instid1(VALU_DEP_1)
	v_add_f32_e32 v115, v102, v71
	v_sub_f32_e32 v102, v102, v115
	s_waitcnt_depctr 0xfff
	v_dual_mul_f32 v116, v115, v101 :: v_dual_sub_f32 v113, v113, v114
	v_add_f32_e32 v71, v71, v102
	s_delay_alu instid0(VALU_DEP_2) | instskip(NEXT) | instid1(VALU_DEP_1)
	v_dual_mul_f32 v117, v114, v116 :: v_dual_add_f32 v112, v112, v113
	v_fma_f32 v113, v116, v114, -v117
	s_delay_alu instid0(VALU_DEP_1) | instskip(NEXT) | instid1(VALU_DEP_1)
	v_fmac_f32_e32 v113, v116, v112
	v_add_f32_e32 v118, v117, v113
	s_delay_alu instid0(VALU_DEP_1) | instskip(NEXT) | instid1(VALU_DEP_1)
	v_dual_sub_f32 v102, v118, v117 :: v_dual_sub_f32 v119, v115, v118
	v_dual_sub_f32 v102, v102, v113 :: v_dual_sub_f32 v115, v115, v119
	s_delay_alu instid0(VALU_DEP_1) | instskip(NEXT) | instid1(VALU_DEP_1)
	v_sub_f32_e32 v115, v115, v118
	v_add_f32_e32 v71, v71, v115
	s_delay_alu instid0(VALU_DEP_1) | instskip(NEXT) | instid1(VALU_DEP_1)
	v_add_f32_e32 v71, v102, v71
	v_add_f32_e32 v102, v119, v71
	s_delay_alu instid0(VALU_DEP_1) | instskip(SKIP_1) | instid1(VALU_DEP_2)
	v_sub_f32_e32 v118, v119, v102
	v_mul_f32_e32 v113, v101, v102
	v_add_f32_e32 v71, v71, v118
	s_delay_alu instid0(VALU_DEP_2) | instskip(NEXT) | instid1(VALU_DEP_1)
	v_mul_f32_e32 v115, v114, v113
	v_fma_f32 v114, v113, v114, -v115
	s_delay_alu instid0(VALU_DEP_1) | instskip(NEXT) | instid1(VALU_DEP_1)
	v_fmac_f32_e32 v114, v113, v112
	v_add_f32_e32 v112, v115, v114
	s_delay_alu instid0(VALU_DEP_1) | instskip(SKIP_1) | instid1(VALU_DEP_1)
	v_sub_f32_e32 v115, v112, v115
	v_sub_f32_e32 v117, v102, v112
	;; [unrolled: 1-line block ×3, first 2 shown]
	s_delay_alu instid0(VALU_DEP_1) | instskip(NEXT) | instid1(VALU_DEP_4)
	v_sub_f32_e32 v102, v102, v112
	v_sub_f32_e32 v112, v115, v114
	s_delay_alu instid0(VALU_DEP_2) | instskip(NEXT) | instid1(VALU_DEP_1)
	v_dual_add_f32 v71, v71, v102 :: v_dual_add_f32 v102, v116, v113
	v_dual_add_f32 v71, v112, v71 :: v_dual_sub_f32 v112, v102, v116
	s_delay_alu instid0(VALU_DEP_1) | instskip(NEXT) | instid1(VALU_DEP_2)
	v_add_f32_e32 v71, v117, v71
	v_sub_f32_e32 v112, v113, v112
	s_delay_alu instid0(VALU_DEP_2) | instskip(NEXT) | instid1(VALU_DEP_1)
	v_mul_f32_e32 v71, v101, v71
	v_add_f32_e32 v71, v112, v71
	s_delay_alu instid0(VALU_DEP_1) | instskip(NEXT) | instid1(VALU_DEP_1)
	v_add_f32_e32 v101, v102, v71
	v_mul_f32_e32 v112, v101, v101
	s_delay_alu instid0(VALU_DEP_1) | instskip(SKIP_2) | instid1(VALU_DEP_3)
	v_fmaak_f32 v113, s4, v112, 0x3ecc95a3
	v_mul_f32_e32 v114, v101, v112
	v_cmp_gt_f32_e64 s4, 0x33800000, |v69|
	v_fmaak_f32 v112, v112, v113, 0x3f2aaada
	v_ldexp_f32 v113, v101, 1
	v_sub_f32_e32 v101, v101, v102
	s_delay_alu instid0(VALU_DEP_4) | instskip(NEXT) | instid1(VALU_DEP_3)
	s_or_b32 vcc_lo, vcc_lo, s4
	v_mul_f32_e32 v112, v114, v112
	s_delay_alu instid0(VALU_DEP_2) | instskip(NEXT) | instid1(VALU_DEP_2)
	v_dual_mul_f32 v114, 0x3f317218, v80 :: v_dual_sub_f32 v71, v71, v101
	v_add_f32_e32 v102, v113, v112
	s_delay_alu instid0(VALU_DEP_2) | instskip(NEXT) | instid1(VALU_DEP_2)
	v_ldexp_f32 v71, v71, 1
	v_sub_f32_e32 v101, v102, v113
	s_delay_alu instid0(VALU_DEP_4) | instskip(NEXT) | instid1(VALU_DEP_2)
	v_fma_f32 v113, 0x3f317218, v80, -v114
	v_sub_f32_e32 v101, v112, v101
	s_delay_alu instid0(VALU_DEP_1) | instskip(NEXT) | instid1(VALU_DEP_1)
	v_dual_fmamk_f32 v80, v80, 0xb102e308, v113 :: v_dual_add_f32 v71, v71, v101
	v_add_f32_e32 v112, v102, v71
	s_delay_alu instid0(VALU_DEP_1) | instskip(NEXT) | instid1(VALU_DEP_1)
	v_sub_f32_e32 v102, v112, v102
	v_sub_f32_e32 v71, v71, v102
	s_delay_alu instid0(VALU_DEP_4) | instskip(NEXT) | instid1(VALU_DEP_1)
	v_add_f32_e32 v101, v114, v80
	v_add_f32_e32 v113, v101, v112
	v_sub_f32_e32 v114, v101, v114
	s_delay_alu instid0(VALU_DEP_1) | instskip(NEXT) | instid1(VALU_DEP_1)
	v_dual_sub_f32 v80, v80, v114 :: v_dual_sub_f32 v115, v113, v101
	v_sub_f32_e32 v116, v113, v115
	v_sub_f32_e32 v102, v112, v115
	s_delay_alu instid0(VALU_DEP_2) | instskip(NEXT) | instid1(VALU_DEP_1)
	v_dual_add_f32 v112, v80, v71 :: v_dual_sub_f32 v101, v101, v116
	v_dual_add_f32 v101, v102, v101 :: v_dual_sub_f32 v102, v112, v80
	s_delay_alu instid0(VALU_DEP_1) | instskip(NEXT) | instid1(VALU_DEP_2)
	v_add_f32_e32 v101, v112, v101
	v_sub_f32_e32 v112, v112, v102
	s_delay_alu instid0(VALU_DEP_2) | instskip(NEXT) | instid1(VALU_DEP_2)
	v_dual_add_f32 v114, v113, v101 :: v_dual_sub_f32 v71, v71, v102
	v_sub_f32_e32 v80, v80, v112
	s_delay_alu instid0(VALU_DEP_1) | instskip(NEXT) | instid1(VALU_DEP_1)
	v_dual_sub_f32 v102, v114, v113 :: v_dual_add_f32 v71, v71, v80
	v_sub_f32_e32 v80, v101, v102
	s_delay_alu instid0(VALU_DEP_1) | instskip(NEXT) | instid1(VALU_DEP_1)
	v_add_f32_e32 v71, v71, v80
	v_add_f32_e32 v71, v114, v71
	s_delay_alu instid0(VALU_DEP_1) | instskip(NEXT) | instid1(VALU_DEP_1)
	v_cndmask_b32_e32 v69, v71, v69, vcc_lo
	v_add_f32_e32 v69, v70, v69
	s_delay_alu instid0(VALU_DEP_1) | instskip(NEXT) | instid1(VALU_DEP_1)
	v_cvt_f16_f32_e32 v101, v69
	v_cvt_f32_f16_e32 v102, v101
	v_mov_b32_e32 v69, v101
.LBB430_210:
	s_or_b32 exec_lo, exec_lo, s3
	s_delay_alu instid0(VALU_DEP_2) | instskip(SKIP_1) | instid1(VALU_DEP_2)
	v_dual_max_f32 v70, v81, v81 :: v_dual_max_f32 v71, v102, v102
	v_cmp_u_f16_e32 vcc_lo, v101, v101
	v_min_f32_e32 v80, v71, v70
	v_max_f32_e32 v70, v71, v70
	s_delay_alu instid0(VALU_DEP_2) | instskip(NEXT) | instid1(VALU_DEP_2)
	v_cndmask_b32_e32 v71, v80, v102, vcc_lo
	v_cndmask_b32_e32 v70, v70, v102, vcc_lo
	s_delay_alu instid0(VALU_DEP_2) | instskip(NEXT) | instid1(VALU_DEP_2)
	v_cndmask_b32_e64 v80, v71, v81, s12
	v_cndmask_b32_e64 v71, v70, v81, s12
	v_mov_b32_e32 v70, v69
	s_delay_alu instid0(VALU_DEP_3) | instskip(NEXT) | instid1(VALU_DEP_3)
	v_cmp_class_f32_e64 s3, v80, 0x1f8
	v_cmp_neq_f32_e32 vcc_lo, v80, v71
	s_delay_alu instid0(VALU_DEP_2) | instskip(NEXT) | instid1(SALU_CYCLE_1)
	s_or_b32 s4, vcc_lo, s3
	s_and_saveexec_b32 s3, s4
	s_cbranch_execz .LBB430_212
; %bb.211:
	v_sub_f32_e32 v70, v80, v71
	s_mov_b32 s4, 0x3e9b6dac
	s_delay_alu instid0(VALU_DEP_1) | instskip(SKIP_1) | instid1(VALU_DEP_2)
	v_mul_f32_e32 v80, 0x3fb8aa3b, v70
	v_cmp_ngt_f32_e32 vcc_lo, 0xc2ce8ed0, v70
	v_fma_f32 v81, 0x3fb8aa3b, v70, -v80
	v_rndne_f32_e32 v101, v80
	s_delay_alu instid0(VALU_DEP_1) | instskip(NEXT) | instid1(VALU_DEP_1)
	v_dual_fmamk_f32 v81, v70, 0x32a5705f, v81 :: v_dual_sub_f32 v80, v80, v101
	v_add_f32_e32 v80, v80, v81
	v_cvt_i32_f32_e32 v81, v101
	s_delay_alu instid0(VALU_DEP_2) | instskip(SKIP_2) | instid1(VALU_DEP_1)
	v_exp_f32_e32 v80, v80
	s_waitcnt_depctr 0xfff
	v_ldexp_f32 v80, v80, v81
	v_cndmask_b32_e32 v80, 0, v80, vcc_lo
	v_cmp_nlt_f32_e32 vcc_lo, 0x42b17218, v70
	s_delay_alu instid0(VALU_DEP_2) | instskip(NEXT) | instid1(VALU_DEP_1)
	v_cndmask_b32_e32 v70, 0x7f800000, v80, vcc_lo
	v_add_f32_e32 v101, 1.0, v70
	s_delay_alu instid0(VALU_DEP_1) | instskip(NEXT) | instid1(VALU_DEP_1)
	v_cvt_f64_f32_e32 v[80:81], v101
	v_frexp_exp_i32_f64_e32 v80, v[80:81]
	v_frexp_mant_f32_e32 v81, v101
	s_delay_alu instid0(VALU_DEP_1) | instskip(SKIP_1) | instid1(VALU_DEP_1)
	v_cmp_gt_f32_e32 vcc_lo, 0x3f2aaaab, v81
	v_add_f32_e32 v81, -1.0, v101
	v_sub_f32_e32 v112, v81, v101
	s_delay_alu instid0(VALU_DEP_1) | instskip(SKIP_1) | instid1(VALU_DEP_1)
	v_dual_sub_f32 v81, v70, v81 :: v_dual_add_f32 v112, 1.0, v112
	v_subrev_co_ci_u32_e32 v80, vcc_lo, 0, v80, vcc_lo
	v_sub_nc_u32_e32 v102, 0, v80
	v_cvt_f32_i32_e32 v80, v80
	s_delay_alu instid0(VALU_DEP_2) | instskip(NEXT) | instid1(VALU_DEP_1)
	v_ldexp_f32 v101, v101, v102
	v_add_f32_e32 v113, 1.0, v101
	s_delay_alu instid0(VALU_DEP_1) | instskip(NEXT) | instid1(VALU_DEP_1)
	v_dual_add_f32 v81, v81, v112 :: v_dual_add_f32 v112, -1.0, v113
	v_ldexp_f32 v81, v81, v102
	v_add_f32_e32 v102, -1.0, v101
	s_delay_alu instid0(VALU_DEP_3) | instskip(NEXT) | instid1(VALU_DEP_2)
	v_sub_f32_e32 v112, v101, v112
	v_add_f32_e32 v114, 1.0, v102
	s_delay_alu instid0(VALU_DEP_2) | instskip(NEXT) | instid1(VALU_DEP_2)
	v_add_f32_e32 v112, v81, v112
	v_sub_f32_e32 v101, v101, v114
	v_cmp_eq_f32_e32 vcc_lo, 0x7f800000, v70
	s_delay_alu instid0(VALU_DEP_3) | instskip(NEXT) | instid1(VALU_DEP_3)
	v_add_f32_e32 v114, v113, v112
	v_add_f32_e32 v81, v81, v101
	s_delay_alu instid0(VALU_DEP_2) | instskip(SKIP_1) | instid1(VALU_DEP_2)
	v_rcp_f32_e32 v101, v114
	v_sub_f32_e32 v113, v113, v114
	v_add_f32_e32 v115, v102, v81
	s_delay_alu instid0(VALU_DEP_2) | instskip(NEXT) | instid1(VALU_DEP_2)
	v_add_f32_e32 v112, v112, v113
	v_sub_f32_e32 v102, v102, v115
	s_waitcnt_depctr 0xfff
	v_dual_mul_f32 v116, v115, v101 :: v_dual_add_f32 v81, v81, v102
	s_delay_alu instid0(VALU_DEP_1) | instskip(NEXT) | instid1(VALU_DEP_1)
	v_mul_f32_e32 v117, v114, v116
	v_fma_f32 v113, v116, v114, -v117
	s_delay_alu instid0(VALU_DEP_1) | instskip(NEXT) | instid1(VALU_DEP_1)
	v_fmac_f32_e32 v113, v116, v112
	v_add_f32_e32 v118, v117, v113
	s_delay_alu instid0(VALU_DEP_1) | instskip(NEXT) | instid1(VALU_DEP_1)
	v_sub_f32_e32 v119, v115, v118
	v_sub_f32_e32 v115, v115, v119
	s_delay_alu instid0(VALU_DEP_1) | instskip(NEXT) | instid1(VALU_DEP_1)
	v_dual_sub_f32 v115, v115, v118 :: v_dual_sub_f32 v102, v118, v117
	v_dual_add_f32 v81, v81, v115 :: v_dual_sub_f32 v102, v102, v113
	s_delay_alu instid0(VALU_DEP_1) | instskip(NEXT) | instid1(VALU_DEP_1)
	v_add_f32_e32 v81, v102, v81
	v_add_f32_e32 v102, v119, v81
	s_delay_alu instid0(VALU_DEP_1) | instskip(NEXT) | instid1(VALU_DEP_1)
	v_mul_f32_e32 v113, v101, v102
	v_dual_sub_f32 v118, v119, v102 :: v_dual_mul_f32 v115, v114, v113
	s_delay_alu instid0(VALU_DEP_1) | instskip(NEXT) | instid1(VALU_DEP_1)
	v_fma_f32 v114, v113, v114, -v115
	v_fmac_f32_e32 v114, v113, v112
	s_delay_alu instid0(VALU_DEP_3) | instskip(NEXT) | instid1(VALU_DEP_2)
	v_add_f32_e32 v81, v81, v118
	v_add_f32_e32 v112, v115, v114
	s_delay_alu instid0(VALU_DEP_1) | instskip(NEXT) | instid1(VALU_DEP_1)
	v_sub_f32_e32 v117, v102, v112
	v_dual_sub_f32 v115, v112, v115 :: v_dual_sub_f32 v102, v102, v117
	s_delay_alu instid0(VALU_DEP_1) | instskip(NEXT) | instid1(VALU_DEP_2)
	v_sub_f32_e32 v102, v102, v112
	v_sub_f32_e32 v112, v115, v114
	s_delay_alu instid0(VALU_DEP_2) | instskip(NEXT) | instid1(VALU_DEP_1)
	v_dual_add_f32 v81, v81, v102 :: v_dual_add_f32 v102, v116, v113
	v_dual_add_f32 v81, v112, v81 :: v_dual_sub_f32 v112, v102, v116
	s_delay_alu instid0(VALU_DEP_1) | instskip(NEXT) | instid1(VALU_DEP_2)
	v_add_f32_e32 v81, v117, v81
	v_sub_f32_e32 v112, v113, v112
	s_delay_alu instid0(VALU_DEP_2) | instskip(NEXT) | instid1(VALU_DEP_1)
	v_mul_f32_e32 v81, v101, v81
	v_add_f32_e32 v81, v112, v81
	s_delay_alu instid0(VALU_DEP_1) | instskip(NEXT) | instid1(VALU_DEP_1)
	v_add_f32_e32 v101, v102, v81
	v_mul_f32_e32 v112, v101, v101
	s_delay_alu instid0(VALU_DEP_1) | instskip(SKIP_2) | instid1(VALU_DEP_3)
	v_fmaak_f32 v113, s4, v112, 0x3ecc95a3
	v_mul_f32_e32 v114, v101, v112
	v_cmp_gt_f32_e64 s4, 0x33800000, |v70|
	v_fmaak_f32 v112, v112, v113, 0x3f2aaada
	v_ldexp_f32 v113, v101, 1
	v_sub_f32_e32 v101, v101, v102
	s_delay_alu instid0(VALU_DEP_4) | instskip(NEXT) | instid1(VALU_DEP_1)
	s_or_b32 vcc_lo, vcc_lo, s4
	v_dual_mul_f32 v112, v114, v112 :: v_dual_sub_f32 v81, v81, v101
	s_delay_alu instid0(VALU_DEP_1) | instskip(SKIP_1) | instid1(VALU_DEP_3)
	v_add_f32_e32 v102, v113, v112
	v_mul_f32_e32 v114, 0x3f317218, v80
	v_ldexp_f32 v81, v81, 1
	s_delay_alu instid0(VALU_DEP_3) | instskip(NEXT) | instid1(VALU_DEP_3)
	v_sub_f32_e32 v101, v102, v113
	v_fma_f32 v113, 0x3f317218, v80, -v114
	s_delay_alu instid0(VALU_DEP_2) | instskip(NEXT) | instid1(VALU_DEP_1)
	v_sub_f32_e32 v101, v112, v101
	v_dual_fmamk_f32 v80, v80, 0xb102e308, v113 :: v_dual_add_f32 v81, v81, v101
	s_delay_alu instid0(VALU_DEP_1) | instskip(NEXT) | instid1(VALU_DEP_2)
	v_add_f32_e32 v101, v114, v80
	v_add_f32_e32 v112, v102, v81
	s_delay_alu instid0(VALU_DEP_2) | instskip(NEXT) | instid1(VALU_DEP_1)
	v_sub_f32_e32 v114, v101, v114
	v_dual_add_f32 v113, v101, v112 :: v_dual_sub_f32 v80, v80, v114
	s_delay_alu instid0(VALU_DEP_1) | instskip(NEXT) | instid1(VALU_DEP_1)
	v_sub_f32_e32 v115, v113, v101
	v_sub_f32_e32 v116, v113, v115
	s_delay_alu instid0(VALU_DEP_1) | instskip(NEXT) | instid1(VALU_DEP_1)
	v_dual_sub_f32 v101, v101, v116 :: v_dual_sub_f32 v102, v112, v102
	v_dual_sub_f32 v81, v81, v102 :: v_dual_sub_f32 v102, v112, v115
	s_delay_alu instid0(VALU_DEP_1) | instskip(NEXT) | instid1(VALU_DEP_1)
	v_add_f32_e32 v112, v80, v81
	v_dual_add_f32 v101, v102, v101 :: v_dual_sub_f32 v102, v112, v80
	s_delay_alu instid0(VALU_DEP_1) | instskip(NEXT) | instid1(VALU_DEP_2)
	v_sub_f32_e32 v81, v81, v102
	v_add_f32_e32 v101, v112, v101
	v_sub_f32_e32 v112, v112, v102
	s_delay_alu instid0(VALU_DEP_2) | instskip(NEXT) | instid1(VALU_DEP_1)
	v_add_f32_e32 v114, v113, v101
	v_sub_f32_e32 v102, v114, v113
	s_delay_alu instid0(VALU_DEP_3) | instskip(NEXT) | instid1(VALU_DEP_1)
	v_sub_f32_e32 v80, v80, v112
	v_add_f32_e32 v80, v81, v80
	s_delay_alu instid0(VALU_DEP_3) | instskip(NEXT) | instid1(VALU_DEP_1)
	v_sub_f32_e32 v81, v101, v102
	v_add_f32_e32 v80, v80, v81
	s_delay_alu instid0(VALU_DEP_1) | instskip(NEXT) | instid1(VALU_DEP_1)
	v_add_f32_e32 v80, v114, v80
	v_cndmask_b32_e32 v70, v80, v70, vcc_lo
	s_delay_alu instid0(VALU_DEP_1) | instskip(NEXT) | instid1(VALU_DEP_1)
	v_add_f32_e32 v70, v71, v70
	v_cvt_f16_f32_e32 v101, v70
	s_delay_alu instid0(VALU_DEP_1)
	v_cvt_f32_f16_e32 v102, v101
	v_mov_b32_e32 v70, v101
.LBB430_212:
	s_or_b32 exec_lo, exec_lo, s3
	v_max_f32_e32 v71, v82, v82
	s_delay_alu instid0(VALU_DEP_3) | instskip(SKIP_1) | instid1(VALU_DEP_2)
	v_max_f32_e32 v80, v102, v102
	v_cmp_u_f16_e32 vcc_lo, v101, v101
	v_min_f32_e32 v81, v80, v71
	s_delay_alu instid0(VALU_DEP_1) | instskip(NEXT) | instid1(VALU_DEP_1)
	v_dual_max_f32 v71, v80, v71 :: v_dual_cndmask_b32 v80, v81, v102
	v_cndmask_b32_e32 v71, v71, v102, vcc_lo
	s_delay_alu instid0(VALU_DEP_2) | instskip(NEXT) | instid1(VALU_DEP_2)
	v_cndmask_b32_e64 v81, v80, v82, s13
	v_cndmask_b32_e64 v80, v71, v82, s13
	v_mov_b32_e32 v71, v70
	s_delay_alu instid0(VALU_DEP_3) | instskip(NEXT) | instid1(VALU_DEP_3)
	v_cmp_class_f32_e64 s3, v81, 0x1f8
	v_cmp_neq_f32_e32 vcc_lo, v81, v80
	s_delay_alu instid0(VALU_DEP_2) | instskip(NEXT) | instid1(SALU_CYCLE_1)
	s_or_b32 s4, vcc_lo, s3
	s_and_saveexec_b32 s3, s4
	s_cbranch_execz .LBB430_214
; %bb.213:
	v_sub_f32_e32 v71, v81, v80
	s_mov_b32 s4, 0x3e9b6dac
	s_delay_alu instid0(VALU_DEP_1) | instskip(SKIP_1) | instid1(VALU_DEP_2)
	v_mul_f32_e32 v81, 0x3fb8aa3b, v71
	v_cmp_ngt_f32_e32 vcc_lo, 0xc2ce8ed0, v71
	v_fma_f32 v82, 0x3fb8aa3b, v71, -v81
	v_rndne_f32_e32 v101, v81
	s_delay_alu instid0(VALU_DEP_1) | instskip(NEXT) | instid1(VALU_DEP_1)
	v_dual_fmamk_f32 v82, v71, 0x32a5705f, v82 :: v_dual_sub_f32 v81, v81, v101
	v_add_f32_e32 v81, v81, v82
	v_cvt_i32_f32_e32 v82, v101
	s_delay_alu instid0(VALU_DEP_2) | instskip(SKIP_2) | instid1(VALU_DEP_1)
	v_exp_f32_e32 v81, v81
	s_waitcnt_depctr 0xfff
	v_ldexp_f32 v81, v81, v82
	v_cndmask_b32_e32 v81, 0, v81, vcc_lo
	v_cmp_nlt_f32_e32 vcc_lo, 0x42b17218, v71
	s_delay_alu instid0(VALU_DEP_2) | instskip(NEXT) | instid1(VALU_DEP_1)
	v_cndmask_b32_e32 v71, 0x7f800000, v81, vcc_lo
	v_add_f32_e32 v101, 1.0, v71
	s_delay_alu instid0(VALU_DEP_1) | instskip(NEXT) | instid1(VALU_DEP_1)
	v_cvt_f64_f32_e32 v[81:82], v101
	v_frexp_exp_i32_f64_e32 v81, v[81:82]
	v_frexp_mant_f32_e32 v82, v101
	s_delay_alu instid0(VALU_DEP_1) | instskip(SKIP_1) | instid1(VALU_DEP_1)
	v_cmp_gt_f32_e32 vcc_lo, 0x3f2aaaab, v82
	v_add_f32_e32 v82, -1.0, v101
	v_sub_f32_e32 v112, v82, v101
	v_sub_f32_e32 v82, v71, v82
	s_delay_alu instid0(VALU_DEP_2) | instskip(NEXT) | instid1(VALU_DEP_1)
	v_add_f32_e32 v112, 1.0, v112
	v_add_f32_e32 v82, v82, v112
	v_subrev_co_ci_u32_e32 v81, vcc_lo, 0, v81, vcc_lo
	v_cmp_eq_f32_e32 vcc_lo, 0x7f800000, v71
	s_delay_alu instid0(VALU_DEP_2) | instskip(SKIP_1) | instid1(VALU_DEP_2)
	v_sub_nc_u32_e32 v102, 0, v81
	v_cvt_f32_i32_e32 v81, v81
	v_ldexp_f32 v101, v101, v102
	v_ldexp_f32 v82, v82, v102
	s_delay_alu instid0(VALU_DEP_2) | instskip(SKIP_1) | instid1(VALU_DEP_2)
	v_add_f32_e32 v113, 1.0, v101
	v_add_f32_e32 v102, -1.0, v101
	v_add_f32_e32 v112, -1.0, v113
	s_delay_alu instid0(VALU_DEP_2) | instskip(NEXT) | instid1(VALU_DEP_2)
	v_add_f32_e32 v114, 1.0, v102
	v_sub_f32_e32 v112, v101, v112
	s_delay_alu instid0(VALU_DEP_1) | instskip(NEXT) | instid1(VALU_DEP_1)
	v_dual_sub_f32 v101, v101, v114 :: v_dual_add_f32 v112, v82, v112
	v_add_f32_e32 v82, v82, v101
	s_delay_alu instid0(VALU_DEP_1) | instskip(NEXT) | instid1(VALU_DEP_1)
	v_dual_add_f32 v114, v113, v112 :: v_dual_add_f32 v115, v102, v82
	v_rcp_f32_e32 v101, v114
	v_sub_f32_e32 v113, v113, v114
	s_delay_alu instid0(VALU_DEP_1) | instskip(SKIP_2) | instid1(VALU_DEP_1)
	v_add_f32_e32 v112, v112, v113
	s_waitcnt_depctr 0xfff
	v_mul_f32_e32 v116, v115, v101
	v_mul_f32_e32 v117, v114, v116
	s_delay_alu instid0(VALU_DEP_1) | instskip(NEXT) | instid1(VALU_DEP_1)
	v_fma_f32 v113, v116, v114, -v117
	v_fmac_f32_e32 v113, v116, v112
	s_delay_alu instid0(VALU_DEP_1) | instskip(NEXT) | instid1(VALU_DEP_1)
	v_add_f32_e32 v118, v117, v113
	v_dual_sub_f32 v102, v102, v115 :: v_dual_sub_f32 v119, v115, v118
	s_delay_alu instid0(VALU_DEP_1) | instskip(NEXT) | instid1(VALU_DEP_1)
	v_sub_f32_e32 v115, v115, v119
	v_sub_f32_e32 v115, v115, v118
	s_delay_alu instid0(VALU_DEP_3) | instskip(SKIP_1) | instid1(VALU_DEP_2)
	v_add_f32_e32 v82, v82, v102
	v_sub_f32_e32 v102, v118, v117
	v_add_f32_e32 v82, v82, v115
	s_delay_alu instid0(VALU_DEP_2) | instskip(NEXT) | instid1(VALU_DEP_1)
	v_sub_f32_e32 v102, v102, v113
	v_add_f32_e32 v82, v102, v82
	s_delay_alu instid0(VALU_DEP_1) | instskip(NEXT) | instid1(VALU_DEP_1)
	v_add_f32_e32 v102, v119, v82
	v_mul_f32_e32 v113, v101, v102
	s_delay_alu instid0(VALU_DEP_1) | instskip(NEXT) | instid1(VALU_DEP_1)
	v_dual_mul_f32 v115, v114, v113 :: v_dual_sub_f32 v118, v119, v102
	v_fma_f32 v114, v113, v114, -v115
	s_delay_alu instid0(VALU_DEP_2) | instskip(NEXT) | instid1(VALU_DEP_2)
	v_add_f32_e32 v82, v82, v118
	v_fmac_f32_e32 v114, v113, v112
	s_delay_alu instid0(VALU_DEP_1) | instskip(NEXT) | instid1(VALU_DEP_1)
	v_add_f32_e32 v112, v115, v114
	v_sub_f32_e32 v117, v102, v112
	s_delay_alu instid0(VALU_DEP_1) | instskip(NEXT) | instid1(VALU_DEP_1)
	v_dual_sub_f32 v115, v112, v115 :: v_dual_sub_f32 v102, v102, v117
	v_sub_f32_e32 v102, v102, v112
	s_delay_alu instid0(VALU_DEP_2) | instskip(NEXT) | instid1(VALU_DEP_2)
	v_sub_f32_e32 v112, v115, v114
	v_add_f32_e32 v82, v82, v102
	v_add_f32_e32 v102, v116, v113
	s_delay_alu instid0(VALU_DEP_2) | instskip(NEXT) | instid1(VALU_DEP_2)
	v_add_f32_e32 v82, v112, v82
	v_sub_f32_e32 v112, v102, v116
	s_delay_alu instid0(VALU_DEP_2) | instskip(NEXT) | instid1(VALU_DEP_2)
	v_add_f32_e32 v82, v117, v82
	v_sub_f32_e32 v112, v113, v112
	s_delay_alu instid0(VALU_DEP_2) | instskip(NEXT) | instid1(VALU_DEP_1)
	v_mul_f32_e32 v82, v101, v82
	v_add_f32_e32 v82, v112, v82
	s_delay_alu instid0(VALU_DEP_1) | instskip(NEXT) | instid1(VALU_DEP_1)
	v_add_f32_e32 v101, v102, v82
	v_mul_f32_e32 v112, v101, v101
	s_delay_alu instid0(VALU_DEP_1) | instskip(SKIP_2) | instid1(VALU_DEP_3)
	v_fmaak_f32 v113, s4, v112, 0x3ecc95a3
	v_mul_f32_e32 v114, v101, v112
	v_cmp_gt_f32_e64 s4, 0x33800000, |v71|
	v_fmaak_f32 v112, v112, v113, 0x3f2aaada
	v_ldexp_f32 v113, v101, 1
	v_sub_f32_e32 v101, v101, v102
	s_delay_alu instid0(VALU_DEP_4) | instskip(NEXT) | instid1(VALU_DEP_3)
	s_or_b32 vcc_lo, vcc_lo, s4
	v_mul_f32_e32 v112, v114, v112
	v_mul_f32_e32 v114, 0x3f317218, v81
	s_delay_alu instid0(VALU_DEP_3) | instskip(NEXT) | instid1(VALU_DEP_3)
	v_sub_f32_e32 v82, v82, v101
	v_add_f32_e32 v102, v113, v112
	s_delay_alu instid0(VALU_DEP_2) | instskip(NEXT) | instid1(VALU_DEP_2)
	v_ldexp_f32 v82, v82, 1
	v_sub_f32_e32 v101, v102, v113
	v_fma_f32 v113, 0x3f317218, v81, -v114
	s_delay_alu instid0(VALU_DEP_2) | instskip(NEXT) | instid1(VALU_DEP_1)
	v_sub_f32_e32 v101, v112, v101
	v_dual_fmamk_f32 v81, v81, 0xb102e308, v113 :: v_dual_add_f32 v82, v82, v101
	s_delay_alu instid0(VALU_DEP_1) | instskip(NEXT) | instid1(VALU_DEP_2)
	v_add_f32_e32 v101, v114, v81
	v_add_f32_e32 v112, v102, v82
	s_delay_alu instid0(VALU_DEP_2) | instskip(NEXT) | instid1(VALU_DEP_2)
	v_sub_f32_e32 v114, v101, v114
	v_dual_add_f32 v113, v101, v112 :: v_dual_sub_f32 v102, v112, v102
	s_delay_alu instid0(VALU_DEP_2) | instskip(NEXT) | instid1(VALU_DEP_2)
	v_sub_f32_e32 v81, v81, v114
	v_dual_sub_f32 v115, v113, v101 :: v_dual_sub_f32 v82, v82, v102
	s_delay_alu instid0(VALU_DEP_1) | instskip(SKIP_1) | instid1(VALU_DEP_3)
	v_sub_f32_e32 v116, v113, v115
	v_sub_f32_e32 v102, v112, v115
	v_add_f32_e32 v112, v81, v82
	s_delay_alu instid0(VALU_DEP_3) | instskip(NEXT) | instid1(VALU_DEP_1)
	v_sub_f32_e32 v101, v101, v116
	v_add_f32_e32 v101, v102, v101
	s_delay_alu instid0(VALU_DEP_3) | instskip(NEXT) | instid1(VALU_DEP_2)
	v_sub_f32_e32 v102, v112, v81
	v_add_f32_e32 v101, v112, v101
	s_delay_alu instid0(VALU_DEP_2) | instskip(SKIP_1) | instid1(VALU_DEP_3)
	v_sub_f32_e32 v112, v112, v102
	v_sub_f32_e32 v82, v82, v102
	v_add_f32_e32 v114, v113, v101
	s_delay_alu instid0(VALU_DEP_1) | instskip(NEXT) | instid1(VALU_DEP_1)
	v_dual_sub_f32 v81, v81, v112 :: v_dual_sub_f32 v102, v114, v113
	v_dual_add_f32 v81, v82, v81 :: v_dual_sub_f32 v82, v101, v102
	s_delay_alu instid0(VALU_DEP_1) | instskip(NEXT) | instid1(VALU_DEP_1)
	v_add_f32_e32 v81, v81, v82
	v_add_f32_e32 v81, v114, v81
	s_delay_alu instid0(VALU_DEP_1) | instskip(NEXT) | instid1(VALU_DEP_1)
	v_cndmask_b32_e32 v71, v81, v71, vcc_lo
	v_add_f32_e32 v71, v80, v71
	s_delay_alu instid0(VALU_DEP_1) | instskip(NEXT) | instid1(VALU_DEP_1)
	v_cvt_f16_f32_e32 v101, v71
	v_mov_b32_e32 v71, v101
	v_cvt_f32_f16_e32 v102, v101
.LBB430_214:
	s_or_b32 exec_lo, exec_lo, s3
	s_delay_alu instid0(VALU_DEP_1) | instskip(SKIP_1) | instid1(VALU_DEP_2)
	v_dual_max_f32 v80, v83, v83 :: v_dual_max_f32 v81, v102, v102
	v_cmp_u_f16_e32 vcc_lo, v101, v101
	v_min_f32_e32 v82, v81, v80
	s_delay_alu instid0(VALU_DEP_1) | instskip(NEXT) | instid1(VALU_DEP_1)
	v_dual_max_f32 v80, v81, v80 :: v_dual_cndmask_b32 v81, v82, v102
	v_cndmask_b32_e32 v80, v80, v102, vcc_lo
	s_delay_alu instid0(VALU_DEP_2) | instskip(NEXT) | instid1(VALU_DEP_2)
	v_cndmask_b32_e64 v82, v81, v83, s14
	v_cndmask_b32_e64 v81, v80, v83, s14
	v_mov_b32_e32 v80, v71
	s_delay_alu instid0(VALU_DEP_3) | instskip(NEXT) | instid1(VALU_DEP_3)
	v_cmp_class_f32_e64 s3, v82, 0x1f8
	v_cmp_neq_f32_e32 vcc_lo, v82, v81
	s_delay_alu instid0(VALU_DEP_2) | instskip(NEXT) | instid1(SALU_CYCLE_1)
	s_or_b32 s4, vcc_lo, s3
	s_and_saveexec_b32 s3, s4
	s_cbranch_execz .LBB430_216
; %bb.215:
	v_sub_f32_e32 v80, v82, v81
	s_mov_b32 s4, 0x3e9b6dac
	s_delay_alu instid0(VALU_DEP_1) | instskip(SKIP_1) | instid1(VALU_DEP_2)
	v_mul_f32_e32 v82, 0x3fb8aa3b, v80
	v_cmp_ngt_f32_e32 vcc_lo, 0xc2ce8ed0, v80
	v_fma_f32 v83, 0x3fb8aa3b, v80, -v82
	v_rndne_f32_e32 v101, v82
	s_delay_alu instid0(VALU_DEP_1) | instskip(NEXT) | instid1(VALU_DEP_1)
	v_dual_fmamk_f32 v83, v80, 0x32a5705f, v83 :: v_dual_sub_f32 v82, v82, v101
	v_add_f32_e32 v82, v82, v83
	v_cvt_i32_f32_e32 v83, v101
	s_delay_alu instid0(VALU_DEP_2) | instskip(SKIP_2) | instid1(VALU_DEP_1)
	v_exp_f32_e32 v82, v82
	s_waitcnt_depctr 0xfff
	v_ldexp_f32 v82, v82, v83
	v_cndmask_b32_e32 v82, 0, v82, vcc_lo
	v_cmp_nlt_f32_e32 vcc_lo, 0x42b17218, v80
	s_delay_alu instid0(VALU_DEP_2) | instskip(NEXT) | instid1(VALU_DEP_1)
	v_cndmask_b32_e32 v80, 0x7f800000, v82, vcc_lo
	v_add_f32_e32 v101, 1.0, v80
	s_delay_alu instid0(VALU_DEP_1) | instskip(NEXT) | instid1(VALU_DEP_1)
	v_cvt_f64_f32_e32 v[82:83], v101
	v_frexp_exp_i32_f64_e32 v82, v[82:83]
	v_frexp_mant_f32_e32 v83, v101
	s_delay_alu instid0(VALU_DEP_1) | instskip(SKIP_1) | instid1(VALU_DEP_1)
	v_cmp_gt_f32_e32 vcc_lo, 0x3f2aaaab, v83
	v_add_f32_e32 v83, -1.0, v101
	v_sub_f32_e32 v112, v83, v101
	s_delay_alu instid0(VALU_DEP_1) | instskip(SKIP_1) | instid1(VALU_DEP_1)
	v_add_f32_e32 v112, 1.0, v112
	v_subrev_co_ci_u32_e32 v82, vcc_lo, 0, v82, vcc_lo
	v_sub_nc_u32_e32 v102, 0, v82
	v_cvt_f32_i32_e32 v82, v82
	s_delay_alu instid0(VALU_DEP_2) | instskip(NEXT) | instid1(VALU_DEP_1)
	v_ldexp_f32 v101, v101, v102
	v_add_f32_e32 v113, 1.0, v101
	v_sub_f32_e32 v83, v80, v83
	v_cmp_eq_f32_e32 vcc_lo, 0x7f800000, v80
	s_delay_alu instid0(VALU_DEP_2) | instskip(NEXT) | instid1(VALU_DEP_1)
	v_add_f32_e32 v83, v83, v112
	v_ldexp_f32 v83, v83, v102
	v_add_f32_e32 v102, -1.0, v101
	v_add_f32_e32 v112, -1.0, v113
	s_delay_alu instid0(VALU_DEP_2) | instskip(NEXT) | instid1(VALU_DEP_2)
	v_add_f32_e32 v114, 1.0, v102
	v_sub_f32_e32 v112, v101, v112
	s_delay_alu instid0(VALU_DEP_1) | instskip(NEXT) | instid1(VALU_DEP_1)
	v_dual_sub_f32 v101, v101, v114 :: v_dual_add_f32 v112, v83, v112
	v_dual_add_f32 v83, v83, v101 :: v_dual_add_f32 v114, v113, v112
	s_delay_alu instid0(VALU_DEP_1) | instskip(SKIP_1) | instid1(VALU_DEP_1)
	v_rcp_f32_e32 v101, v114
	v_sub_f32_e32 v113, v113, v114
	v_dual_add_f32 v115, v102, v83 :: v_dual_add_f32 v112, v112, v113
	s_delay_alu instid0(VALU_DEP_1) | instskip(SKIP_3) | instid1(VALU_DEP_2)
	v_sub_f32_e32 v102, v102, v115
	s_waitcnt_depctr 0xfff
	v_mul_f32_e32 v116, v115, v101
	v_add_f32_e32 v83, v83, v102
	v_mul_f32_e32 v117, v114, v116
	s_delay_alu instid0(VALU_DEP_1) | instskip(NEXT) | instid1(VALU_DEP_1)
	v_fma_f32 v113, v116, v114, -v117
	v_fmac_f32_e32 v113, v116, v112
	s_delay_alu instid0(VALU_DEP_1) | instskip(NEXT) | instid1(VALU_DEP_1)
	v_add_f32_e32 v118, v117, v113
	v_sub_f32_e32 v119, v115, v118
	s_delay_alu instid0(VALU_DEP_1) | instskip(NEXT) | instid1(VALU_DEP_1)
	v_sub_f32_e32 v115, v115, v119
	v_dual_sub_f32 v115, v115, v118 :: v_dual_sub_f32 v102, v118, v117
	s_delay_alu instid0(VALU_DEP_1) | instskip(NEXT) | instid1(VALU_DEP_1)
	v_dual_add_f32 v83, v83, v115 :: v_dual_sub_f32 v102, v102, v113
	v_add_f32_e32 v83, v102, v83
	s_delay_alu instid0(VALU_DEP_1) | instskip(NEXT) | instid1(VALU_DEP_1)
	v_add_f32_e32 v102, v119, v83
	v_mul_f32_e32 v113, v101, v102
	s_delay_alu instid0(VALU_DEP_1) | instskip(NEXT) | instid1(VALU_DEP_1)
	v_dual_mul_f32 v115, v114, v113 :: v_dual_sub_f32 v118, v119, v102
	v_fma_f32 v114, v113, v114, -v115
	s_delay_alu instid0(VALU_DEP_1) | instskip(NEXT) | instid1(VALU_DEP_1)
	v_dual_add_f32 v83, v83, v118 :: v_dual_fmac_f32 v114, v113, v112
	v_add_f32_e32 v112, v115, v114
	s_delay_alu instid0(VALU_DEP_1) | instskip(NEXT) | instid1(VALU_DEP_1)
	v_sub_f32_e32 v117, v102, v112
	v_dual_sub_f32 v115, v112, v115 :: v_dual_sub_f32 v102, v102, v117
	s_delay_alu instid0(VALU_DEP_1) | instskip(NEXT) | instid1(VALU_DEP_1)
	v_sub_f32_e32 v102, v102, v112
	v_dual_add_f32 v83, v83, v102 :: v_dual_add_f32 v102, v116, v113
	s_delay_alu instid0(VALU_DEP_3) | instskip(NEXT) | instid1(VALU_DEP_1)
	v_sub_f32_e32 v112, v115, v114
	v_dual_add_f32 v83, v112, v83 :: v_dual_sub_f32 v112, v102, v116
	s_delay_alu instid0(VALU_DEP_1) | instskip(NEXT) | instid1(VALU_DEP_2)
	v_add_f32_e32 v83, v117, v83
	v_sub_f32_e32 v112, v113, v112
	s_delay_alu instid0(VALU_DEP_2) | instskip(NEXT) | instid1(VALU_DEP_1)
	v_mul_f32_e32 v83, v101, v83
	v_add_f32_e32 v83, v112, v83
	s_delay_alu instid0(VALU_DEP_1) | instskip(NEXT) | instid1(VALU_DEP_1)
	v_add_f32_e32 v101, v102, v83
	v_mul_f32_e32 v112, v101, v101
	s_delay_alu instid0(VALU_DEP_1) | instskip(SKIP_2) | instid1(VALU_DEP_3)
	v_fmaak_f32 v113, s4, v112, 0x3ecc95a3
	v_mul_f32_e32 v114, v101, v112
	v_cmp_gt_f32_e64 s4, 0x33800000, |v80|
	v_fmaak_f32 v112, v112, v113, 0x3f2aaada
	v_ldexp_f32 v113, v101, 1
	v_sub_f32_e32 v101, v101, v102
	s_delay_alu instid0(VALU_DEP_4) | instskip(NEXT) | instid1(VALU_DEP_1)
	s_or_b32 vcc_lo, vcc_lo, s4
	v_sub_f32_e32 v83, v83, v101
	s_delay_alu instid0(VALU_DEP_1) | instskip(SKIP_1) | instid1(VALU_DEP_1)
	v_ldexp_f32 v83, v83, 1
	v_mul_f32_e32 v112, v114, v112
	v_add_f32_e32 v102, v113, v112
	s_delay_alu instid0(VALU_DEP_1) | instskip(NEXT) | instid1(VALU_DEP_1)
	v_sub_f32_e32 v101, v102, v113
	v_sub_f32_e32 v101, v112, v101
	s_delay_alu instid0(VALU_DEP_1) | instskip(NEXT) | instid1(VALU_DEP_1)
	v_add_f32_e32 v83, v83, v101
	v_add_f32_e32 v112, v102, v83
	v_mul_f32_e32 v114, 0x3f317218, v82
	s_delay_alu instid0(VALU_DEP_1) | instskip(NEXT) | instid1(VALU_DEP_1)
	v_fma_f32 v113, 0x3f317218, v82, -v114
	v_fmamk_f32 v82, v82, 0xb102e308, v113
	s_delay_alu instid0(VALU_DEP_1) | instskip(NEXT) | instid1(VALU_DEP_1)
	v_add_f32_e32 v101, v114, v82
	v_add_f32_e32 v113, v101, v112
	s_delay_alu instid0(VALU_DEP_1) | instskip(NEXT) | instid1(VALU_DEP_1)
	v_sub_f32_e32 v115, v113, v101
	v_sub_f32_e32 v116, v113, v115
	;; [unrolled: 1-line block ×3, first 2 shown]
	s_delay_alu instid0(VALU_DEP_1) | instskip(SKIP_1) | instid1(VALU_DEP_4)
	v_dual_sub_f32 v83, v83, v102 :: v_dual_sub_f32 v102, v112, v115
	v_sub_f32_e32 v114, v101, v114
	v_sub_f32_e32 v101, v101, v116
	s_delay_alu instid0(VALU_DEP_1) | instskip(NEXT) | instid1(VALU_DEP_3)
	v_add_f32_e32 v101, v102, v101
	v_sub_f32_e32 v82, v82, v114
	s_delay_alu instid0(VALU_DEP_1) | instskip(NEXT) | instid1(VALU_DEP_1)
	v_add_f32_e32 v112, v82, v83
	v_add_f32_e32 v101, v112, v101
	v_sub_f32_e32 v102, v112, v82
	s_delay_alu instid0(VALU_DEP_1) | instskip(SKIP_1) | instid1(VALU_DEP_2)
	v_dual_add_f32 v114, v113, v101 :: v_dual_sub_f32 v83, v83, v102
	v_sub_f32_e32 v112, v112, v102
	v_sub_f32_e32 v102, v114, v113
	s_delay_alu instid0(VALU_DEP_2) | instskip(NEXT) | instid1(VALU_DEP_1)
	v_sub_f32_e32 v82, v82, v112
	v_add_f32_e32 v82, v83, v82
	s_delay_alu instid0(VALU_DEP_3) | instskip(NEXT) | instid1(VALU_DEP_1)
	v_sub_f32_e32 v83, v101, v102
	v_add_f32_e32 v82, v82, v83
	s_delay_alu instid0(VALU_DEP_1) | instskip(NEXT) | instid1(VALU_DEP_1)
	v_add_f32_e32 v82, v114, v82
	v_cndmask_b32_e32 v80, v82, v80, vcc_lo
	s_delay_alu instid0(VALU_DEP_1) | instskip(NEXT) | instid1(VALU_DEP_1)
	v_add_f32_e32 v80, v81, v80
	v_cvt_f16_f32_e32 v101, v80
	s_delay_alu instid0(VALU_DEP_1)
	v_cvt_f32_f16_e32 v102, v101
	v_mov_b32_e32 v80, v101
.LBB430_216:
	s_or_b32 exec_lo, exec_lo, s3
	s_delay_alu instid0(VALU_DEP_2) | instskip(SKIP_1) | instid1(VALU_DEP_2)
	v_dual_max_f32 v81, v84, v84 :: v_dual_max_f32 v82, v102, v102
	v_cmp_u_f16_e32 vcc_lo, v101, v101
	v_min_f32_e32 v83, v82, v81
	s_delay_alu instid0(VALU_DEP_1) | instskip(NEXT) | instid1(VALU_DEP_1)
	v_dual_max_f32 v81, v82, v81 :: v_dual_cndmask_b32 v82, v83, v102
	v_cndmask_b32_e32 v81, v81, v102, vcc_lo
	s_delay_alu instid0(VALU_DEP_2) | instskip(NEXT) | instid1(VALU_DEP_2)
	v_cndmask_b32_e64 v83, v82, v84, s15
	v_cndmask_b32_e64 v82, v81, v84, s15
	v_mov_b32_e32 v81, v80
	s_delay_alu instid0(VALU_DEP_3) | instskip(NEXT) | instid1(VALU_DEP_3)
	v_cmp_class_f32_e64 s3, v83, 0x1f8
	v_cmp_neq_f32_e32 vcc_lo, v83, v82
	s_delay_alu instid0(VALU_DEP_2) | instskip(NEXT) | instid1(SALU_CYCLE_1)
	s_or_b32 s4, vcc_lo, s3
	s_and_saveexec_b32 s3, s4
	s_cbranch_execz .LBB430_218
; %bb.217:
	v_sub_f32_e32 v81, v83, v82
	s_mov_b32 s4, 0x3e9b6dac
	s_delay_alu instid0(VALU_DEP_1) | instskip(SKIP_1) | instid1(VALU_DEP_2)
	v_mul_f32_e32 v83, 0x3fb8aa3b, v81
	v_cmp_ngt_f32_e32 vcc_lo, 0xc2ce8ed0, v81
	v_fma_f32 v84, 0x3fb8aa3b, v81, -v83
	v_rndne_f32_e32 v101, v83
	s_delay_alu instid0(VALU_DEP_1) | instskip(NEXT) | instid1(VALU_DEP_1)
	v_dual_fmamk_f32 v84, v81, 0x32a5705f, v84 :: v_dual_sub_f32 v83, v83, v101
	v_add_f32_e32 v83, v83, v84
	v_cvt_i32_f32_e32 v84, v101
	s_delay_alu instid0(VALU_DEP_2) | instskip(SKIP_2) | instid1(VALU_DEP_1)
	v_exp_f32_e32 v83, v83
	s_waitcnt_depctr 0xfff
	v_ldexp_f32 v83, v83, v84
	v_cndmask_b32_e32 v83, 0, v83, vcc_lo
	v_cmp_nlt_f32_e32 vcc_lo, 0x42b17218, v81
	s_delay_alu instid0(VALU_DEP_2) | instskip(NEXT) | instid1(VALU_DEP_1)
	v_cndmask_b32_e32 v81, 0x7f800000, v83, vcc_lo
	v_add_f32_e32 v101, 1.0, v81
	s_delay_alu instid0(VALU_DEP_1) | instskip(NEXT) | instid1(VALU_DEP_1)
	v_cvt_f64_f32_e32 v[83:84], v101
	v_frexp_exp_i32_f64_e32 v83, v[83:84]
	v_frexp_mant_f32_e32 v84, v101
	s_delay_alu instid0(VALU_DEP_1) | instskip(SKIP_1) | instid1(VALU_DEP_1)
	v_cmp_gt_f32_e32 vcc_lo, 0x3f2aaaab, v84
	v_add_f32_e32 v84, -1.0, v101
	v_sub_f32_e32 v112, v84, v101
	v_sub_f32_e32 v84, v81, v84
	s_delay_alu instid0(VALU_DEP_2) | instskip(NEXT) | instid1(VALU_DEP_1)
	v_add_f32_e32 v112, 1.0, v112
	v_add_f32_e32 v84, v84, v112
	v_subrev_co_ci_u32_e32 v83, vcc_lo, 0, v83, vcc_lo
	v_cmp_eq_f32_e32 vcc_lo, 0x7f800000, v81
	s_delay_alu instid0(VALU_DEP_2) | instskip(SKIP_1) | instid1(VALU_DEP_2)
	v_sub_nc_u32_e32 v102, 0, v83
	v_cvt_f32_i32_e32 v83, v83
	v_ldexp_f32 v101, v101, v102
	v_ldexp_f32 v84, v84, v102
	s_delay_alu instid0(VALU_DEP_2) | instskip(SKIP_1) | instid1(VALU_DEP_1)
	v_add_f32_e32 v113, 1.0, v101
	v_add_f32_e32 v102, -1.0, v101
	v_add_f32_e32 v114, 1.0, v102
	s_delay_alu instid0(VALU_DEP_3) | instskip(NEXT) | instid1(VALU_DEP_1)
	v_add_f32_e32 v112, -1.0, v113
	v_sub_f32_e32 v112, v101, v112
	s_delay_alu instid0(VALU_DEP_1) | instskip(NEXT) | instid1(VALU_DEP_1)
	v_dual_sub_f32 v101, v101, v114 :: v_dual_add_f32 v112, v84, v112
	v_add_f32_e32 v114, v113, v112
	s_delay_alu instid0(VALU_DEP_2) | instskip(NEXT) | instid1(VALU_DEP_2)
	v_add_f32_e32 v84, v84, v101
	v_rcp_f32_e32 v101, v114
	v_sub_f32_e32 v113, v113, v114
	s_delay_alu instid0(VALU_DEP_1) | instskip(NEXT) | instid1(VALU_DEP_1)
	v_dual_add_f32 v115, v102, v84 :: v_dual_add_f32 v112, v112, v113
	v_sub_f32_e32 v102, v102, v115
	s_waitcnt_depctr 0xfff
	v_mul_f32_e32 v116, v115, v101
	s_delay_alu instid0(VALU_DEP_1) | instskip(NEXT) | instid1(VALU_DEP_1)
	v_mul_f32_e32 v117, v114, v116
	v_fma_f32 v113, v116, v114, -v117
	s_delay_alu instid0(VALU_DEP_1) | instskip(NEXT) | instid1(VALU_DEP_1)
	v_fmac_f32_e32 v113, v116, v112
	v_add_f32_e32 v118, v117, v113
	s_delay_alu instid0(VALU_DEP_1) | instskip(NEXT) | instid1(VALU_DEP_1)
	v_sub_f32_e32 v119, v115, v118
	v_dual_sub_f32 v115, v115, v119 :: v_dual_add_f32 v84, v84, v102
	s_delay_alu instid0(VALU_DEP_1) | instskip(NEXT) | instid1(VALU_DEP_1)
	v_dual_sub_f32 v102, v118, v117 :: v_dual_sub_f32 v115, v115, v118
	v_sub_f32_e32 v102, v102, v113
	s_delay_alu instid0(VALU_DEP_2) | instskip(NEXT) | instid1(VALU_DEP_1)
	v_add_f32_e32 v84, v84, v115
	v_add_f32_e32 v84, v102, v84
	s_delay_alu instid0(VALU_DEP_1) | instskip(NEXT) | instid1(VALU_DEP_1)
	v_add_f32_e32 v102, v119, v84
	v_mul_f32_e32 v113, v101, v102
	s_delay_alu instid0(VALU_DEP_1) | instskip(NEXT) | instid1(VALU_DEP_1)
	v_dual_sub_f32 v118, v119, v102 :: v_dual_mul_f32 v115, v114, v113
	v_add_f32_e32 v84, v84, v118
	s_delay_alu instid0(VALU_DEP_2) | instskip(NEXT) | instid1(VALU_DEP_1)
	v_fma_f32 v114, v113, v114, -v115
	v_fmac_f32_e32 v114, v113, v112
	s_delay_alu instid0(VALU_DEP_1) | instskip(NEXT) | instid1(VALU_DEP_1)
	v_add_f32_e32 v112, v115, v114
	v_sub_f32_e32 v117, v102, v112
	s_delay_alu instid0(VALU_DEP_1) | instskip(NEXT) | instid1(VALU_DEP_1)
	v_dual_sub_f32 v115, v112, v115 :: v_dual_sub_f32 v102, v102, v117
	v_sub_f32_e32 v102, v102, v112
	s_delay_alu instid0(VALU_DEP_2) | instskip(NEXT) | instid1(VALU_DEP_2)
	v_sub_f32_e32 v112, v115, v114
	v_add_f32_e32 v84, v84, v102
	v_add_f32_e32 v102, v116, v113
	s_delay_alu instid0(VALU_DEP_2) | instskip(NEXT) | instid1(VALU_DEP_2)
	v_add_f32_e32 v84, v112, v84
	v_sub_f32_e32 v112, v102, v116
	s_delay_alu instid0(VALU_DEP_2) | instskip(NEXT) | instid1(VALU_DEP_2)
	v_add_f32_e32 v84, v117, v84
	v_sub_f32_e32 v112, v113, v112
	s_delay_alu instid0(VALU_DEP_2) | instskip(NEXT) | instid1(VALU_DEP_1)
	v_mul_f32_e32 v84, v101, v84
	v_add_f32_e32 v84, v112, v84
	s_delay_alu instid0(VALU_DEP_1) | instskip(NEXT) | instid1(VALU_DEP_1)
	v_add_f32_e32 v101, v102, v84
	v_mul_f32_e32 v112, v101, v101
	s_delay_alu instid0(VALU_DEP_1) | instskip(SKIP_2) | instid1(VALU_DEP_3)
	v_fmaak_f32 v113, s4, v112, 0x3ecc95a3
	v_mul_f32_e32 v114, v101, v112
	v_cmp_gt_f32_e64 s4, 0x33800000, |v81|
	v_fmaak_f32 v112, v112, v113, 0x3f2aaada
	v_ldexp_f32 v113, v101, 1
	v_sub_f32_e32 v101, v101, v102
	s_delay_alu instid0(VALU_DEP_4) | instskip(NEXT) | instid1(VALU_DEP_3)
	s_or_b32 vcc_lo, vcc_lo, s4
	v_mul_f32_e32 v112, v114, v112
	v_mul_f32_e32 v114, 0x3f317218, v83
	s_delay_alu instid0(VALU_DEP_3) | instskip(NEXT) | instid1(VALU_DEP_3)
	v_sub_f32_e32 v84, v84, v101
	v_add_f32_e32 v102, v113, v112
	s_delay_alu instid0(VALU_DEP_2) | instskip(NEXT) | instid1(VALU_DEP_2)
	v_ldexp_f32 v84, v84, 1
	v_sub_f32_e32 v101, v102, v113
	v_fma_f32 v113, 0x3f317218, v83, -v114
	s_delay_alu instid0(VALU_DEP_2) | instskip(NEXT) | instid1(VALU_DEP_1)
	v_sub_f32_e32 v101, v112, v101
	v_dual_fmamk_f32 v83, v83, 0xb102e308, v113 :: v_dual_add_f32 v84, v84, v101
	s_delay_alu instid0(VALU_DEP_1) | instskip(NEXT) | instid1(VALU_DEP_2)
	v_add_f32_e32 v101, v114, v83
	v_add_f32_e32 v112, v102, v84
	s_delay_alu instid0(VALU_DEP_2) | instskip(NEXT) | instid1(VALU_DEP_2)
	v_sub_f32_e32 v114, v101, v114
	v_dual_add_f32 v113, v101, v112 :: v_dual_sub_f32 v102, v112, v102
	s_delay_alu instid0(VALU_DEP_2) | instskip(NEXT) | instid1(VALU_DEP_2)
	v_sub_f32_e32 v83, v83, v114
	v_dual_sub_f32 v115, v113, v101 :: v_dual_sub_f32 v84, v84, v102
	s_delay_alu instid0(VALU_DEP_1) | instskip(SKIP_1) | instid1(VALU_DEP_3)
	v_sub_f32_e32 v116, v113, v115
	v_sub_f32_e32 v102, v112, v115
	v_add_f32_e32 v112, v83, v84
	s_delay_alu instid0(VALU_DEP_3) | instskip(NEXT) | instid1(VALU_DEP_1)
	v_sub_f32_e32 v101, v101, v116
	v_dual_add_f32 v101, v102, v101 :: v_dual_sub_f32 v102, v112, v83
	s_delay_alu instid0(VALU_DEP_1) | instskip(NEXT) | instid1(VALU_DEP_2)
	v_add_f32_e32 v101, v112, v101
	v_sub_f32_e32 v112, v112, v102
	v_sub_f32_e32 v84, v84, v102
	s_delay_alu instid0(VALU_DEP_2) | instskip(NEXT) | instid1(VALU_DEP_1)
	v_dual_add_f32 v114, v113, v101 :: v_dual_sub_f32 v83, v83, v112
	v_dual_sub_f32 v102, v114, v113 :: v_dual_add_f32 v83, v84, v83
	s_delay_alu instid0(VALU_DEP_1) | instskip(NEXT) | instid1(VALU_DEP_1)
	v_sub_f32_e32 v84, v101, v102
	v_add_f32_e32 v83, v83, v84
	s_delay_alu instid0(VALU_DEP_1) | instskip(NEXT) | instid1(VALU_DEP_1)
	v_add_f32_e32 v83, v114, v83
	v_cndmask_b32_e32 v81, v83, v81, vcc_lo
	s_delay_alu instid0(VALU_DEP_1) | instskip(NEXT) | instid1(VALU_DEP_1)
	v_add_f32_e32 v81, v82, v81
	v_cvt_f16_f32_e32 v101, v81
	s_delay_alu instid0(VALU_DEP_1)
	v_cvt_f32_f16_e32 v102, v101
	v_mov_b32_e32 v81, v101
.LBB430_218:
	s_or_b32 exec_lo, exec_lo, s3
	s_delay_alu instid0(VALU_DEP_2) | instskip(SKIP_1) | instid1(VALU_DEP_2)
	v_dual_max_f32 v82, v85, v85 :: v_dual_max_f32 v83, v102, v102
	v_cmp_u_f16_e32 vcc_lo, v101, v101
	v_min_f32_e32 v84, v83, v82
	v_max_f32_e32 v82, v83, v82
	s_delay_alu instid0(VALU_DEP_2) | instskip(NEXT) | instid1(VALU_DEP_2)
	v_cndmask_b32_e32 v83, v84, v102, vcc_lo
	v_cndmask_b32_e32 v82, v82, v102, vcc_lo
	s_delay_alu instid0(VALU_DEP_2) | instskip(NEXT) | instid1(VALU_DEP_2)
	v_cndmask_b32_e64 v84, v83, v85, s16
	v_cndmask_b32_e64 v83, v82, v85, s16
	v_mov_b32_e32 v82, v81
	s_delay_alu instid0(VALU_DEP_3) | instskip(NEXT) | instid1(VALU_DEP_3)
	v_cmp_class_f32_e64 s3, v84, 0x1f8
	v_cmp_neq_f32_e32 vcc_lo, v84, v83
	s_delay_alu instid0(VALU_DEP_2) | instskip(NEXT) | instid1(SALU_CYCLE_1)
	s_or_b32 s4, vcc_lo, s3
	s_and_saveexec_b32 s3, s4
	s_cbranch_execz .LBB430_220
; %bb.219:
	v_sub_f32_e32 v82, v84, v83
	s_mov_b32 s4, 0x3e9b6dac
	s_delay_alu instid0(VALU_DEP_1) | instskip(SKIP_1) | instid1(VALU_DEP_2)
	v_mul_f32_e32 v84, 0x3fb8aa3b, v82
	v_cmp_ngt_f32_e32 vcc_lo, 0xc2ce8ed0, v82
	v_fma_f32 v85, 0x3fb8aa3b, v82, -v84
	v_rndne_f32_e32 v101, v84
	s_delay_alu instid0(VALU_DEP_1) | instskip(NEXT) | instid1(VALU_DEP_1)
	v_dual_fmamk_f32 v85, v82, 0x32a5705f, v85 :: v_dual_sub_f32 v84, v84, v101
	v_add_f32_e32 v84, v84, v85
	v_cvt_i32_f32_e32 v85, v101
	s_delay_alu instid0(VALU_DEP_2) | instskip(SKIP_2) | instid1(VALU_DEP_1)
	v_exp_f32_e32 v84, v84
	s_waitcnt_depctr 0xfff
	v_ldexp_f32 v84, v84, v85
	v_cndmask_b32_e32 v84, 0, v84, vcc_lo
	v_cmp_nlt_f32_e32 vcc_lo, 0x42b17218, v82
	s_delay_alu instid0(VALU_DEP_2) | instskip(NEXT) | instid1(VALU_DEP_1)
	v_cndmask_b32_e32 v82, 0x7f800000, v84, vcc_lo
	v_add_f32_e32 v101, 1.0, v82
	s_delay_alu instid0(VALU_DEP_1) | instskip(NEXT) | instid1(VALU_DEP_1)
	v_cvt_f64_f32_e32 v[84:85], v101
	v_frexp_exp_i32_f64_e32 v84, v[84:85]
	v_frexp_mant_f32_e32 v85, v101
	s_delay_alu instid0(VALU_DEP_1) | instskip(SKIP_1) | instid1(VALU_DEP_1)
	v_cmp_gt_f32_e32 vcc_lo, 0x3f2aaaab, v85
	v_add_f32_e32 v85, -1.0, v101
	v_sub_f32_e32 v112, v85, v101
	s_delay_alu instid0(VALU_DEP_1) | instskip(SKIP_1) | instid1(VALU_DEP_1)
	v_dual_sub_f32 v85, v82, v85 :: v_dual_add_f32 v112, 1.0, v112
	v_subrev_co_ci_u32_e32 v84, vcc_lo, 0, v84, vcc_lo
	v_sub_nc_u32_e32 v102, 0, v84
	v_cvt_f32_i32_e32 v84, v84
	s_delay_alu instid0(VALU_DEP_2) | instskip(NEXT) | instid1(VALU_DEP_1)
	v_ldexp_f32 v101, v101, v102
	v_add_f32_e32 v113, 1.0, v101
	s_delay_alu instid0(VALU_DEP_1) | instskip(NEXT) | instid1(VALU_DEP_1)
	v_dual_add_f32 v85, v85, v112 :: v_dual_add_f32 v112, -1.0, v113
	v_ldexp_f32 v85, v85, v102
	v_add_f32_e32 v102, -1.0, v101
	s_delay_alu instid0(VALU_DEP_3) | instskip(NEXT) | instid1(VALU_DEP_2)
	v_sub_f32_e32 v112, v101, v112
	v_add_f32_e32 v114, 1.0, v102
	s_delay_alu instid0(VALU_DEP_2) | instskip(NEXT) | instid1(VALU_DEP_2)
	v_add_f32_e32 v112, v85, v112
	v_sub_f32_e32 v101, v101, v114
	v_cmp_eq_f32_e32 vcc_lo, 0x7f800000, v82
	s_delay_alu instid0(VALU_DEP_3) | instskip(NEXT) | instid1(VALU_DEP_3)
	v_add_f32_e32 v114, v113, v112
	v_add_f32_e32 v85, v85, v101
	s_delay_alu instid0(VALU_DEP_2) | instskip(SKIP_1) | instid1(VALU_DEP_2)
	v_rcp_f32_e32 v101, v114
	v_sub_f32_e32 v113, v113, v114
	v_add_f32_e32 v115, v102, v85
	s_delay_alu instid0(VALU_DEP_2) | instskip(NEXT) | instid1(VALU_DEP_2)
	v_add_f32_e32 v112, v112, v113
	v_sub_f32_e32 v102, v102, v115
	s_waitcnt_depctr 0xfff
	v_dual_mul_f32 v116, v115, v101 :: v_dual_add_f32 v85, v85, v102
	s_delay_alu instid0(VALU_DEP_1) | instskip(NEXT) | instid1(VALU_DEP_1)
	v_mul_f32_e32 v117, v114, v116
	v_fma_f32 v113, v116, v114, -v117
	s_delay_alu instid0(VALU_DEP_1) | instskip(NEXT) | instid1(VALU_DEP_1)
	v_fmac_f32_e32 v113, v116, v112
	v_add_f32_e32 v118, v117, v113
	s_delay_alu instid0(VALU_DEP_1) | instskip(NEXT) | instid1(VALU_DEP_1)
	v_sub_f32_e32 v119, v115, v118
	v_sub_f32_e32 v115, v115, v119
	s_delay_alu instid0(VALU_DEP_1) | instskip(NEXT) | instid1(VALU_DEP_1)
	v_dual_sub_f32 v115, v115, v118 :: v_dual_sub_f32 v102, v118, v117
	v_dual_add_f32 v85, v85, v115 :: v_dual_sub_f32 v102, v102, v113
	s_delay_alu instid0(VALU_DEP_1) | instskip(NEXT) | instid1(VALU_DEP_1)
	v_add_f32_e32 v85, v102, v85
	v_add_f32_e32 v102, v119, v85
	s_delay_alu instid0(VALU_DEP_1) | instskip(NEXT) | instid1(VALU_DEP_1)
	v_mul_f32_e32 v113, v101, v102
	v_dual_sub_f32 v118, v119, v102 :: v_dual_mul_f32 v115, v114, v113
	s_delay_alu instid0(VALU_DEP_1) | instskip(NEXT) | instid1(VALU_DEP_1)
	v_fma_f32 v114, v113, v114, -v115
	v_fmac_f32_e32 v114, v113, v112
	s_delay_alu instid0(VALU_DEP_3) | instskip(NEXT) | instid1(VALU_DEP_2)
	v_add_f32_e32 v85, v85, v118
	v_add_f32_e32 v112, v115, v114
	s_delay_alu instid0(VALU_DEP_1) | instskip(NEXT) | instid1(VALU_DEP_1)
	v_sub_f32_e32 v117, v102, v112
	v_dual_sub_f32 v115, v112, v115 :: v_dual_sub_f32 v102, v102, v117
	s_delay_alu instid0(VALU_DEP_1) | instskip(NEXT) | instid1(VALU_DEP_2)
	v_sub_f32_e32 v102, v102, v112
	v_sub_f32_e32 v112, v115, v114
	s_delay_alu instid0(VALU_DEP_2) | instskip(NEXT) | instid1(VALU_DEP_1)
	v_dual_add_f32 v85, v85, v102 :: v_dual_add_f32 v102, v116, v113
	v_dual_add_f32 v85, v112, v85 :: v_dual_sub_f32 v112, v102, v116
	s_delay_alu instid0(VALU_DEP_1) | instskip(NEXT) | instid1(VALU_DEP_2)
	v_add_f32_e32 v85, v117, v85
	v_sub_f32_e32 v112, v113, v112
	s_delay_alu instid0(VALU_DEP_2) | instskip(NEXT) | instid1(VALU_DEP_1)
	v_mul_f32_e32 v85, v101, v85
	v_add_f32_e32 v85, v112, v85
	s_delay_alu instid0(VALU_DEP_1) | instskip(NEXT) | instid1(VALU_DEP_1)
	v_add_f32_e32 v101, v102, v85
	v_mul_f32_e32 v112, v101, v101
	s_delay_alu instid0(VALU_DEP_1) | instskip(SKIP_2) | instid1(VALU_DEP_3)
	v_fmaak_f32 v113, s4, v112, 0x3ecc95a3
	v_mul_f32_e32 v114, v101, v112
	v_cmp_gt_f32_e64 s4, 0x33800000, |v82|
	v_fmaak_f32 v112, v112, v113, 0x3f2aaada
	v_ldexp_f32 v113, v101, 1
	v_sub_f32_e32 v101, v101, v102
	s_delay_alu instid0(VALU_DEP_4) | instskip(NEXT) | instid1(VALU_DEP_1)
	s_or_b32 vcc_lo, vcc_lo, s4
	v_dual_mul_f32 v112, v114, v112 :: v_dual_sub_f32 v85, v85, v101
	s_delay_alu instid0(VALU_DEP_1) | instskip(SKIP_1) | instid1(VALU_DEP_3)
	v_add_f32_e32 v102, v113, v112
	v_mul_f32_e32 v114, 0x3f317218, v84
	v_ldexp_f32 v85, v85, 1
	s_delay_alu instid0(VALU_DEP_3) | instskip(NEXT) | instid1(VALU_DEP_3)
	v_sub_f32_e32 v101, v102, v113
	v_fma_f32 v113, 0x3f317218, v84, -v114
	s_delay_alu instid0(VALU_DEP_2) | instskip(NEXT) | instid1(VALU_DEP_1)
	v_sub_f32_e32 v101, v112, v101
	v_dual_fmamk_f32 v84, v84, 0xb102e308, v113 :: v_dual_add_f32 v85, v85, v101
	s_delay_alu instid0(VALU_DEP_1) | instskip(NEXT) | instid1(VALU_DEP_2)
	v_add_f32_e32 v101, v114, v84
	v_add_f32_e32 v112, v102, v85
	s_delay_alu instid0(VALU_DEP_2) | instskip(NEXT) | instid1(VALU_DEP_1)
	v_sub_f32_e32 v114, v101, v114
	v_dual_add_f32 v113, v101, v112 :: v_dual_sub_f32 v84, v84, v114
	s_delay_alu instid0(VALU_DEP_1) | instskip(NEXT) | instid1(VALU_DEP_1)
	v_sub_f32_e32 v115, v113, v101
	v_sub_f32_e32 v116, v113, v115
	s_delay_alu instid0(VALU_DEP_1) | instskip(NEXT) | instid1(VALU_DEP_1)
	v_dual_sub_f32 v101, v101, v116 :: v_dual_sub_f32 v102, v112, v102
	v_dual_sub_f32 v85, v85, v102 :: v_dual_sub_f32 v102, v112, v115
	s_delay_alu instid0(VALU_DEP_1) | instskip(NEXT) | instid1(VALU_DEP_1)
	v_add_f32_e32 v112, v84, v85
	v_dual_add_f32 v101, v102, v101 :: v_dual_sub_f32 v102, v112, v84
	s_delay_alu instid0(VALU_DEP_1) | instskip(NEXT) | instid1(VALU_DEP_2)
	v_sub_f32_e32 v85, v85, v102
	v_add_f32_e32 v101, v112, v101
	v_sub_f32_e32 v112, v112, v102
	s_delay_alu instid0(VALU_DEP_2) | instskip(NEXT) | instid1(VALU_DEP_1)
	v_add_f32_e32 v114, v113, v101
	v_sub_f32_e32 v102, v114, v113
	s_delay_alu instid0(VALU_DEP_3) | instskip(NEXT) | instid1(VALU_DEP_1)
	v_sub_f32_e32 v84, v84, v112
	v_add_f32_e32 v84, v85, v84
	s_delay_alu instid0(VALU_DEP_3) | instskip(NEXT) | instid1(VALU_DEP_1)
	v_sub_f32_e32 v85, v101, v102
	v_add_f32_e32 v84, v84, v85
	s_delay_alu instid0(VALU_DEP_1) | instskip(NEXT) | instid1(VALU_DEP_1)
	v_add_f32_e32 v84, v114, v84
	v_cndmask_b32_e32 v82, v84, v82, vcc_lo
	s_delay_alu instid0(VALU_DEP_1) | instskip(NEXT) | instid1(VALU_DEP_1)
	v_add_f32_e32 v82, v83, v82
	v_cvt_f16_f32_e32 v101, v82
	s_delay_alu instid0(VALU_DEP_1)
	v_cvt_f32_f16_e32 v102, v101
	v_mov_b32_e32 v82, v101
.LBB430_220:
	s_or_b32 exec_lo, exec_lo, s3
	v_max_f32_e32 v83, v86, v86
	s_delay_alu instid0(VALU_DEP_3) | instskip(SKIP_1) | instid1(VALU_DEP_2)
	v_max_f32_e32 v84, v102, v102
	v_cmp_u_f16_e32 vcc_lo, v101, v101
	v_min_f32_e32 v85, v84, v83
	s_delay_alu instid0(VALU_DEP_1) | instskip(NEXT) | instid1(VALU_DEP_1)
	v_dual_max_f32 v83, v84, v83 :: v_dual_cndmask_b32 v84, v85, v102
	v_cndmask_b32_e32 v83, v83, v102, vcc_lo
	s_delay_alu instid0(VALU_DEP_2) | instskip(NEXT) | instid1(VALU_DEP_2)
	v_cndmask_b32_e64 v85, v84, v86, s17
	v_cndmask_b32_e64 v84, v83, v86, s17
	v_mov_b32_e32 v83, v82
	s_delay_alu instid0(VALU_DEP_3) | instskip(NEXT) | instid1(VALU_DEP_3)
	v_cmp_class_f32_e64 s3, v85, 0x1f8
	v_cmp_neq_f32_e32 vcc_lo, v85, v84
	s_delay_alu instid0(VALU_DEP_2) | instskip(NEXT) | instid1(SALU_CYCLE_1)
	s_or_b32 s4, vcc_lo, s3
	s_and_saveexec_b32 s3, s4
	s_cbranch_execz .LBB430_222
; %bb.221:
	v_sub_f32_e32 v83, v85, v84
	s_mov_b32 s4, 0x3e9b6dac
	s_delay_alu instid0(VALU_DEP_1) | instskip(SKIP_1) | instid1(VALU_DEP_2)
	v_mul_f32_e32 v85, 0x3fb8aa3b, v83
	v_cmp_ngt_f32_e32 vcc_lo, 0xc2ce8ed0, v83
	v_fma_f32 v86, 0x3fb8aa3b, v83, -v85
	v_rndne_f32_e32 v101, v85
	s_delay_alu instid0(VALU_DEP_1) | instskip(NEXT) | instid1(VALU_DEP_1)
	v_dual_fmamk_f32 v86, v83, 0x32a5705f, v86 :: v_dual_sub_f32 v85, v85, v101
	v_add_f32_e32 v85, v85, v86
	v_cvt_i32_f32_e32 v86, v101
	s_delay_alu instid0(VALU_DEP_2) | instskip(SKIP_2) | instid1(VALU_DEP_1)
	v_exp_f32_e32 v85, v85
	s_waitcnt_depctr 0xfff
	v_ldexp_f32 v85, v85, v86
	v_cndmask_b32_e32 v85, 0, v85, vcc_lo
	v_cmp_nlt_f32_e32 vcc_lo, 0x42b17218, v83
	s_delay_alu instid0(VALU_DEP_2) | instskip(NEXT) | instid1(VALU_DEP_1)
	v_cndmask_b32_e32 v83, 0x7f800000, v85, vcc_lo
	v_add_f32_e32 v101, 1.0, v83
	s_delay_alu instid0(VALU_DEP_1) | instskip(NEXT) | instid1(VALU_DEP_1)
	v_cvt_f64_f32_e32 v[85:86], v101
	v_frexp_exp_i32_f64_e32 v85, v[85:86]
	v_frexp_mant_f32_e32 v86, v101
	s_delay_alu instid0(VALU_DEP_1) | instskip(SKIP_1) | instid1(VALU_DEP_1)
	v_cmp_gt_f32_e32 vcc_lo, 0x3f2aaaab, v86
	v_add_f32_e32 v86, -1.0, v101
	v_sub_f32_e32 v112, v86, v101
	v_sub_f32_e32 v86, v83, v86
	s_delay_alu instid0(VALU_DEP_2) | instskip(NEXT) | instid1(VALU_DEP_1)
	v_add_f32_e32 v112, 1.0, v112
	v_add_f32_e32 v86, v86, v112
	v_subrev_co_ci_u32_e32 v85, vcc_lo, 0, v85, vcc_lo
	v_cmp_eq_f32_e32 vcc_lo, 0x7f800000, v83
	s_delay_alu instid0(VALU_DEP_2) | instskip(SKIP_1) | instid1(VALU_DEP_2)
	v_sub_nc_u32_e32 v102, 0, v85
	v_cvt_f32_i32_e32 v85, v85
	v_ldexp_f32 v101, v101, v102
	v_ldexp_f32 v86, v86, v102
	s_delay_alu instid0(VALU_DEP_2) | instskip(SKIP_1) | instid1(VALU_DEP_2)
	v_add_f32_e32 v113, 1.0, v101
	v_add_f32_e32 v102, -1.0, v101
	v_add_f32_e32 v112, -1.0, v113
	s_delay_alu instid0(VALU_DEP_2) | instskip(NEXT) | instid1(VALU_DEP_2)
	v_add_f32_e32 v114, 1.0, v102
	v_sub_f32_e32 v112, v101, v112
	s_delay_alu instid0(VALU_DEP_1) | instskip(NEXT) | instid1(VALU_DEP_1)
	v_dual_sub_f32 v101, v101, v114 :: v_dual_add_f32 v112, v86, v112
	v_add_f32_e32 v86, v86, v101
	s_delay_alu instid0(VALU_DEP_1) | instskip(NEXT) | instid1(VALU_DEP_1)
	v_dual_add_f32 v114, v113, v112 :: v_dual_add_f32 v115, v102, v86
	v_rcp_f32_e32 v101, v114
	v_sub_f32_e32 v113, v113, v114
	s_delay_alu instid0(VALU_DEP_1) | instskip(SKIP_2) | instid1(VALU_DEP_1)
	v_add_f32_e32 v112, v112, v113
	s_waitcnt_depctr 0xfff
	v_mul_f32_e32 v116, v115, v101
	v_mul_f32_e32 v117, v114, v116
	s_delay_alu instid0(VALU_DEP_1) | instskip(NEXT) | instid1(VALU_DEP_1)
	v_fma_f32 v113, v116, v114, -v117
	v_fmac_f32_e32 v113, v116, v112
	s_delay_alu instid0(VALU_DEP_1) | instskip(NEXT) | instid1(VALU_DEP_1)
	v_add_f32_e32 v118, v117, v113
	v_dual_sub_f32 v102, v102, v115 :: v_dual_sub_f32 v119, v115, v118
	s_delay_alu instid0(VALU_DEP_1) | instskip(NEXT) | instid1(VALU_DEP_1)
	v_sub_f32_e32 v115, v115, v119
	v_sub_f32_e32 v115, v115, v118
	s_delay_alu instid0(VALU_DEP_3) | instskip(SKIP_1) | instid1(VALU_DEP_2)
	v_add_f32_e32 v86, v86, v102
	v_sub_f32_e32 v102, v118, v117
	v_add_f32_e32 v86, v86, v115
	s_delay_alu instid0(VALU_DEP_2) | instskip(NEXT) | instid1(VALU_DEP_1)
	v_sub_f32_e32 v102, v102, v113
	v_add_f32_e32 v86, v102, v86
	s_delay_alu instid0(VALU_DEP_1) | instskip(NEXT) | instid1(VALU_DEP_1)
	v_add_f32_e32 v102, v119, v86
	v_mul_f32_e32 v113, v101, v102
	s_delay_alu instid0(VALU_DEP_1) | instskip(NEXT) | instid1(VALU_DEP_1)
	v_dual_mul_f32 v115, v114, v113 :: v_dual_sub_f32 v118, v119, v102
	v_fma_f32 v114, v113, v114, -v115
	s_delay_alu instid0(VALU_DEP_2) | instskip(NEXT) | instid1(VALU_DEP_2)
	v_add_f32_e32 v86, v86, v118
	v_fmac_f32_e32 v114, v113, v112
	s_delay_alu instid0(VALU_DEP_1) | instskip(NEXT) | instid1(VALU_DEP_1)
	v_add_f32_e32 v112, v115, v114
	v_sub_f32_e32 v117, v102, v112
	s_delay_alu instid0(VALU_DEP_1) | instskip(NEXT) | instid1(VALU_DEP_1)
	v_dual_sub_f32 v115, v112, v115 :: v_dual_sub_f32 v102, v102, v117
	v_sub_f32_e32 v102, v102, v112
	s_delay_alu instid0(VALU_DEP_2) | instskip(NEXT) | instid1(VALU_DEP_2)
	v_sub_f32_e32 v112, v115, v114
	v_add_f32_e32 v86, v86, v102
	v_add_f32_e32 v102, v116, v113
	s_delay_alu instid0(VALU_DEP_2) | instskip(NEXT) | instid1(VALU_DEP_2)
	v_add_f32_e32 v86, v112, v86
	v_sub_f32_e32 v112, v102, v116
	s_delay_alu instid0(VALU_DEP_2) | instskip(NEXT) | instid1(VALU_DEP_2)
	v_add_f32_e32 v86, v117, v86
	v_sub_f32_e32 v112, v113, v112
	s_delay_alu instid0(VALU_DEP_2) | instskip(NEXT) | instid1(VALU_DEP_1)
	v_mul_f32_e32 v86, v101, v86
	v_add_f32_e32 v86, v112, v86
	s_delay_alu instid0(VALU_DEP_1) | instskip(NEXT) | instid1(VALU_DEP_1)
	v_add_f32_e32 v101, v102, v86
	v_mul_f32_e32 v112, v101, v101
	s_delay_alu instid0(VALU_DEP_1) | instskip(SKIP_2) | instid1(VALU_DEP_3)
	v_fmaak_f32 v113, s4, v112, 0x3ecc95a3
	v_mul_f32_e32 v114, v101, v112
	v_cmp_gt_f32_e64 s4, 0x33800000, |v83|
	v_fmaak_f32 v112, v112, v113, 0x3f2aaada
	v_ldexp_f32 v113, v101, 1
	v_sub_f32_e32 v101, v101, v102
	s_delay_alu instid0(VALU_DEP_4) | instskip(NEXT) | instid1(VALU_DEP_3)
	s_or_b32 vcc_lo, vcc_lo, s4
	v_mul_f32_e32 v112, v114, v112
	v_mul_f32_e32 v114, 0x3f317218, v85
	s_delay_alu instid0(VALU_DEP_3) | instskip(NEXT) | instid1(VALU_DEP_3)
	v_sub_f32_e32 v86, v86, v101
	v_add_f32_e32 v102, v113, v112
	s_delay_alu instid0(VALU_DEP_2) | instskip(NEXT) | instid1(VALU_DEP_2)
	v_ldexp_f32 v86, v86, 1
	v_sub_f32_e32 v101, v102, v113
	v_fma_f32 v113, 0x3f317218, v85, -v114
	s_delay_alu instid0(VALU_DEP_2) | instskip(NEXT) | instid1(VALU_DEP_1)
	v_sub_f32_e32 v101, v112, v101
	v_dual_fmamk_f32 v85, v85, 0xb102e308, v113 :: v_dual_add_f32 v86, v86, v101
	s_delay_alu instid0(VALU_DEP_1) | instskip(NEXT) | instid1(VALU_DEP_2)
	v_add_f32_e32 v101, v114, v85
	v_add_f32_e32 v112, v102, v86
	s_delay_alu instid0(VALU_DEP_2) | instskip(NEXT) | instid1(VALU_DEP_2)
	v_sub_f32_e32 v114, v101, v114
	v_dual_add_f32 v113, v101, v112 :: v_dual_sub_f32 v102, v112, v102
	s_delay_alu instid0(VALU_DEP_2) | instskip(NEXT) | instid1(VALU_DEP_2)
	v_sub_f32_e32 v85, v85, v114
	v_dual_sub_f32 v115, v113, v101 :: v_dual_sub_f32 v86, v86, v102
	s_delay_alu instid0(VALU_DEP_1) | instskip(SKIP_1) | instid1(VALU_DEP_3)
	v_sub_f32_e32 v116, v113, v115
	v_sub_f32_e32 v102, v112, v115
	v_add_f32_e32 v112, v85, v86
	s_delay_alu instid0(VALU_DEP_3) | instskip(NEXT) | instid1(VALU_DEP_1)
	v_sub_f32_e32 v101, v101, v116
	v_add_f32_e32 v101, v102, v101
	s_delay_alu instid0(VALU_DEP_3) | instskip(NEXT) | instid1(VALU_DEP_2)
	v_sub_f32_e32 v102, v112, v85
	v_add_f32_e32 v101, v112, v101
	s_delay_alu instid0(VALU_DEP_2) | instskip(SKIP_1) | instid1(VALU_DEP_3)
	v_sub_f32_e32 v112, v112, v102
	v_sub_f32_e32 v86, v86, v102
	v_add_f32_e32 v114, v113, v101
	s_delay_alu instid0(VALU_DEP_1) | instskip(NEXT) | instid1(VALU_DEP_1)
	v_dual_sub_f32 v85, v85, v112 :: v_dual_sub_f32 v102, v114, v113
	v_dual_add_f32 v85, v86, v85 :: v_dual_sub_f32 v86, v101, v102
	s_delay_alu instid0(VALU_DEP_1) | instskip(NEXT) | instid1(VALU_DEP_1)
	v_add_f32_e32 v85, v85, v86
	v_add_f32_e32 v85, v114, v85
	s_delay_alu instid0(VALU_DEP_1) | instskip(NEXT) | instid1(VALU_DEP_1)
	v_cndmask_b32_e32 v83, v85, v83, vcc_lo
	v_add_f32_e32 v83, v84, v83
	s_delay_alu instid0(VALU_DEP_1) | instskip(NEXT) | instid1(VALU_DEP_1)
	v_cvt_f16_f32_e32 v101, v83
	v_mov_b32_e32 v83, v101
	v_cvt_f32_f16_e32 v102, v101
.LBB430_222:
	s_or_b32 exec_lo, exec_lo, s3
	s_delay_alu instid0(VALU_DEP_1) | instskip(SKIP_1) | instid1(VALU_DEP_2)
	v_dual_max_f32 v84, v87, v87 :: v_dual_max_f32 v85, v102, v102
	v_cmp_u_f16_e32 vcc_lo, v101, v101
	v_min_f32_e32 v86, v85, v84
	s_delay_alu instid0(VALU_DEP_1) | instskip(NEXT) | instid1(VALU_DEP_1)
	v_dual_max_f32 v84, v85, v84 :: v_dual_cndmask_b32 v85, v86, v102
	v_cndmask_b32_e32 v84, v84, v102, vcc_lo
	s_delay_alu instid0(VALU_DEP_2) | instskip(NEXT) | instid1(VALU_DEP_2)
	v_cndmask_b32_e64 v86, v85, v87, s18
	v_cndmask_b32_e64 v85, v84, v87, s18
	v_mov_b32_e32 v84, v83
	s_delay_alu instid0(VALU_DEP_3) | instskip(NEXT) | instid1(VALU_DEP_3)
	v_cmp_class_f32_e64 s3, v86, 0x1f8
	v_cmp_neq_f32_e32 vcc_lo, v86, v85
	s_delay_alu instid0(VALU_DEP_2) | instskip(NEXT) | instid1(SALU_CYCLE_1)
	s_or_b32 s4, vcc_lo, s3
	s_and_saveexec_b32 s3, s4
	s_cbranch_execz .LBB430_224
; %bb.223:
	v_sub_f32_e32 v84, v86, v85
	s_mov_b32 s4, 0x3e9b6dac
	s_delay_alu instid0(VALU_DEP_1) | instskip(SKIP_1) | instid1(VALU_DEP_2)
	v_mul_f32_e32 v86, 0x3fb8aa3b, v84
	v_cmp_ngt_f32_e32 vcc_lo, 0xc2ce8ed0, v84
	v_fma_f32 v87, 0x3fb8aa3b, v84, -v86
	v_rndne_f32_e32 v101, v86
	s_delay_alu instid0(VALU_DEP_1) | instskip(NEXT) | instid1(VALU_DEP_1)
	v_dual_fmamk_f32 v87, v84, 0x32a5705f, v87 :: v_dual_sub_f32 v86, v86, v101
	v_add_f32_e32 v86, v86, v87
	v_cvt_i32_f32_e32 v87, v101
	s_delay_alu instid0(VALU_DEP_2) | instskip(SKIP_2) | instid1(VALU_DEP_1)
	v_exp_f32_e32 v86, v86
	s_waitcnt_depctr 0xfff
	v_ldexp_f32 v86, v86, v87
	v_cndmask_b32_e32 v86, 0, v86, vcc_lo
	v_cmp_nlt_f32_e32 vcc_lo, 0x42b17218, v84
	s_delay_alu instid0(VALU_DEP_2) | instskip(NEXT) | instid1(VALU_DEP_1)
	v_cndmask_b32_e32 v84, 0x7f800000, v86, vcc_lo
	v_add_f32_e32 v101, 1.0, v84
	s_delay_alu instid0(VALU_DEP_1) | instskip(NEXT) | instid1(VALU_DEP_1)
	v_cvt_f64_f32_e32 v[86:87], v101
	v_frexp_exp_i32_f64_e32 v86, v[86:87]
	v_frexp_mant_f32_e32 v87, v101
	s_delay_alu instid0(VALU_DEP_1) | instskip(SKIP_1) | instid1(VALU_DEP_1)
	v_cmp_gt_f32_e32 vcc_lo, 0x3f2aaaab, v87
	v_add_f32_e32 v87, -1.0, v101
	v_sub_f32_e32 v112, v87, v101
	s_delay_alu instid0(VALU_DEP_1) | instskip(SKIP_1) | instid1(VALU_DEP_1)
	v_add_f32_e32 v112, 1.0, v112
	v_subrev_co_ci_u32_e32 v86, vcc_lo, 0, v86, vcc_lo
	v_sub_nc_u32_e32 v102, 0, v86
	v_cvt_f32_i32_e32 v86, v86
	s_delay_alu instid0(VALU_DEP_2) | instskip(NEXT) | instid1(VALU_DEP_1)
	v_ldexp_f32 v101, v101, v102
	v_add_f32_e32 v113, 1.0, v101
	v_sub_f32_e32 v87, v84, v87
	v_cmp_eq_f32_e32 vcc_lo, 0x7f800000, v84
	s_delay_alu instid0(VALU_DEP_2) | instskip(NEXT) | instid1(VALU_DEP_1)
	v_add_f32_e32 v87, v87, v112
	v_ldexp_f32 v87, v87, v102
	v_add_f32_e32 v102, -1.0, v101
	v_add_f32_e32 v112, -1.0, v113
	s_delay_alu instid0(VALU_DEP_2) | instskip(NEXT) | instid1(VALU_DEP_2)
	v_add_f32_e32 v114, 1.0, v102
	v_sub_f32_e32 v112, v101, v112
	s_delay_alu instid0(VALU_DEP_1) | instskip(NEXT) | instid1(VALU_DEP_1)
	v_dual_sub_f32 v101, v101, v114 :: v_dual_add_f32 v112, v87, v112
	v_dual_add_f32 v87, v87, v101 :: v_dual_add_f32 v114, v113, v112
	s_delay_alu instid0(VALU_DEP_1) | instskip(SKIP_1) | instid1(VALU_DEP_1)
	v_rcp_f32_e32 v101, v114
	v_sub_f32_e32 v113, v113, v114
	v_dual_add_f32 v115, v102, v87 :: v_dual_add_f32 v112, v112, v113
	s_delay_alu instid0(VALU_DEP_1) | instskip(SKIP_3) | instid1(VALU_DEP_2)
	v_sub_f32_e32 v102, v102, v115
	s_waitcnt_depctr 0xfff
	v_mul_f32_e32 v116, v115, v101
	v_add_f32_e32 v87, v87, v102
	v_mul_f32_e32 v117, v114, v116
	s_delay_alu instid0(VALU_DEP_1) | instskip(NEXT) | instid1(VALU_DEP_1)
	v_fma_f32 v113, v116, v114, -v117
	v_fmac_f32_e32 v113, v116, v112
	s_delay_alu instid0(VALU_DEP_1) | instskip(NEXT) | instid1(VALU_DEP_1)
	v_add_f32_e32 v118, v117, v113
	v_sub_f32_e32 v119, v115, v118
	s_delay_alu instid0(VALU_DEP_1) | instskip(NEXT) | instid1(VALU_DEP_1)
	v_sub_f32_e32 v115, v115, v119
	v_dual_sub_f32 v115, v115, v118 :: v_dual_sub_f32 v102, v118, v117
	s_delay_alu instid0(VALU_DEP_1) | instskip(NEXT) | instid1(VALU_DEP_1)
	v_dual_add_f32 v87, v87, v115 :: v_dual_sub_f32 v102, v102, v113
	v_add_f32_e32 v87, v102, v87
	s_delay_alu instid0(VALU_DEP_1) | instskip(NEXT) | instid1(VALU_DEP_1)
	v_add_f32_e32 v102, v119, v87
	v_mul_f32_e32 v113, v101, v102
	s_delay_alu instid0(VALU_DEP_1) | instskip(NEXT) | instid1(VALU_DEP_1)
	v_dual_mul_f32 v115, v114, v113 :: v_dual_sub_f32 v118, v119, v102
	v_fma_f32 v114, v113, v114, -v115
	s_delay_alu instid0(VALU_DEP_1) | instskip(NEXT) | instid1(VALU_DEP_1)
	v_dual_add_f32 v87, v87, v118 :: v_dual_fmac_f32 v114, v113, v112
	v_add_f32_e32 v112, v115, v114
	s_delay_alu instid0(VALU_DEP_1) | instskip(NEXT) | instid1(VALU_DEP_1)
	v_sub_f32_e32 v117, v102, v112
	v_dual_sub_f32 v115, v112, v115 :: v_dual_sub_f32 v102, v102, v117
	s_delay_alu instid0(VALU_DEP_1) | instskip(NEXT) | instid1(VALU_DEP_1)
	v_sub_f32_e32 v102, v102, v112
	v_dual_add_f32 v87, v87, v102 :: v_dual_add_f32 v102, v116, v113
	s_delay_alu instid0(VALU_DEP_3) | instskip(NEXT) | instid1(VALU_DEP_1)
	v_sub_f32_e32 v112, v115, v114
	v_dual_add_f32 v87, v112, v87 :: v_dual_sub_f32 v112, v102, v116
	s_delay_alu instid0(VALU_DEP_1) | instskip(NEXT) | instid1(VALU_DEP_2)
	v_add_f32_e32 v87, v117, v87
	v_sub_f32_e32 v112, v113, v112
	s_delay_alu instid0(VALU_DEP_2) | instskip(NEXT) | instid1(VALU_DEP_1)
	v_mul_f32_e32 v87, v101, v87
	v_add_f32_e32 v87, v112, v87
	s_delay_alu instid0(VALU_DEP_1) | instskip(NEXT) | instid1(VALU_DEP_1)
	v_add_f32_e32 v101, v102, v87
	v_mul_f32_e32 v112, v101, v101
	s_delay_alu instid0(VALU_DEP_1) | instskip(SKIP_2) | instid1(VALU_DEP_3)
	v_fmaak_f32 v113, s4, v112, 0x3ecc95a3
	v_mul_f32_e32 v114, v101, v112
	v_cmp_gt_f32_e64 s4, 0x33800000, |v84|
	v_fmaak_f32 v112, v112, v113, 0x3f2aaada
	v_ldexp_f32 v113, v101, 1
	v_sub_f32_e32 v101, v101, v102
	s_delay_alu instid0(VALU_DEP_4) | instskip(NEXT) | instid1(VALU_DEP_1)
	s_or_b32 vcc_lo, vcc_lo, s4
	v_sub_f32_e32 v87, v87, v101
	s_delay_alu instid0(VALU_DEP_1) | instskip(SKIP_1) | instid1(VALU_DEP_1)
	v_ldexp_f32 v87, v87, 1
	v_mul_f32_e32 v112, v114, v112
	v_add_f32_e32 v102, v113, v112
	s_delay_alu instid0(VALU_DEP_1) | instskip(NEXT) | instid1(VALU_DEP_1)
	v_sub_f32_e32 v101, v102, v113
	v_sub_f32_e32 v101, v112, v101
	s_delay_alu instid0(VALU_DEP_1) | instskip(NEXT) | instid1(VALU_DEP_1)
	v_add_f32_e32 v87, v87, v101
	v_add_f32_e32 v112, v102, v87
	v_mul_f32_e32 v114, 0x3f317218, v86
	s_delay_alu instid0(VALU_DEP_1) | instskip(NEXT) | instid1(VALU_DEP_1)
	v_fma_f32 v113, 0x3f317218, v86, -v114
	v_fmamk_f32 v86, v86, 0xb102e308, v113
	s_delay_alu instid0(VALU_DEP_1) | instskip(NEXT) | instid1(VALU_DEP_1)
	v_add_f32_e32 v101, v114, v86
	v_add_f32_e32 v113, v101, v112
	s_delay_alu instid0(VALU_DEP_1) | instskip(NEXT) | instid1(VALU_DEP_1)
	v_sub_f32_e32 v115, v113, v101
	v_sub_f32_e32 v116, v113, v115
	;; [unrolled: 1-line block ×3, first 2 shown]
	s_delay_alu instid0(VALU_DEP_1) | instskip(SKIP_1) | instid1(VALU_DEP_4)
	v_dual_sub_f32 v87, v87, v102 :: v_dual_sub_f32 v102, v112, v115
	v_sub_f32_e32 v114, v101, v114
	v_sub_f32_e32 v101, v101, v116
	s_delay_alu instid0(VALU_DEP_1) | instskip(NEXT) | instid1(VALU_DEP_3)
	v_add_f32_e32 v101, v102, v101
	v_sub_f32_e32 v86, v86, v114
	s_delay_alu instid0(VALU_DEP_1) | instskip(NEXT) | instid1(VALU_DEP_1)
	v_add_f32_e32 v112, v86, v87
	v_add_f32_e32 v101, v112, v101
	v_sub_f32_e32 v102, v112, v86
	s_delay_alu instid0(VALU_DEP_1) | instskip(SKIP_1) | instid1(VALU_DEP_2)
	v_dual_add_f32 v114, v113, v101 :: v_dual_sub_f32 v87, v87, v102
	v_sub_f32_e32 v112, v112, v102
	v_sub_f32_e32 v102, v114, v113
	s_delay_alu instid0(VALU_DEP_2) | instskip(NEXT) | instid1(VALU_DEP_1)
	v_sub_f32_e32 v86, v86, v112
	v_add_f32_e32 v86, v87, v86
	s_delay_alu instid0(VALU_DEP_3) | instskip(NEXT) | instid1(VALU_DEP_1)
	v_sub_f32_e32 v87, v101, v102
	v_add_f32_e32 v86, v86, v87
	s_delay_alu instid0(VALU_DEP_1) | instskip(NEXT) | instid1(VALU_DEP_1)
	v_add_f32_e32 v86, v114, v86
	v_cndmask_b32_e32 v84, v86, v84, vcc_lo
	s_delay_alu instid0(VALU_DEP_1) | instskip(NEXT) | instid1(VALU_DEP_1)
	v_add_f32_e32 v84, v85, v84
	v_cvt_f16_f32_e32 v101, v84
	s_delay_alu instid0(VALU_DEP_1)
	v_cvt_f32_f16_e32 v102, v101
	v_mov_b32_e32 v84, v101
.LBB430_224:
	s_or_b32 exec_lo, exec_lo, s3
	s_delay_alu instid0(VALU_DEP_2) | instskip(SKIP_1) | instid1(VALU_DEP_2)
	v_dual_max_f32 v85, v96, v96 :: v_dual_max_f32 v86, v102, v102
	v_cmp_u_f16_e32 vcc_lo, v101, v101
	v_min_f32_e32 v87, v86, v85
	s_delay_alu instid0(VALU_DEP_1) | instskip(NEXT) | instid1(VALU_DEP_1)
	v_dual_max_f32 v85, v86, v85 :: v_dual_cndmask_b32 v86, v87, v102
	v_cndmask_b32_e32 v85, v85, v102, vcc_lo
	s_delay_alu instid0(VALU_DEP_2) | instskip(NEXT) | instid1(VALU_DEP_2)
	v_cndmask_b32_e64 v87, v86, v96, s19
	v_cndmask_b32_e64 v86, v85, v96, s19
	v_mov_b32_e32 v85, v84
	s_delay_alu instid0(VALU_DEP_3) | instskip(NEXT) | instid1(VALU_DEP_3)
	v_cmp_class_f32_e64 s3, v87, 0x1f8
	v_cmp_neq_f32_e32 vcc_lo, v87, v86
	s_delay_alu instid0(VALU_DEP_2) | instskip(NEXT) | instid1(SALU_CYCLE_1)
	s_or_b32 s4, vcc_lo, s3
	s_and_saveexec_b32 s3, s4
	s_cbranch_execz .LBB430_226
; %bb.225:
	v_sub_f32_e32 v85, v87, v86
	s_mov_b32 s4, 0x3e9b6dac
	s_delay_alu instid0(VALU_DEP_1) | instskip(SKIP_1) | instid1(VALU_DEP_2)
	v_mul_f32_e32 v87, 0x3fb8aa3b, v85
	v_cmp_ngt_f32_e32 vcc_lo, 0xc2ce8ed0, v85
	v_fma_f32 v96, 0x3fb8aa3b, v85, -v87
	v_rndne_f32_e32 v101, v87
	s_delay_alu instid0(VALU_DEP_1) | instskip(NEXT) | instid1(VALU_DEP_1)
	v_dual_fmamk_f32 v96, v85, 0x32a5705f, v96 :: v_dual_sub_f32 v87, v87, v101
	v_add_f32_e32 v87, v87, v96
	v_cvt_i32_f32_e32 v96, v101
	s_delay_alu instid0(VALU_DEP_2) | instskip(SKIP_2) | instid1(VALU_DEP_1)
	v_exp_f32_e32 v87, v87
	s_waitcnt_depctr 0xfff
	v_ldexp_f32 v87, v87, v96
	v_cndmask_b32_e32 v87, 0, v87, vcc_lo
	v_cmp_nlt_f32_e32 vcc_lo, 0x42b17218, v85
	s_delay_alu instid0(VALU_DEP_2) | instskip(NEXT) | instid1(VALU_DEP_1)
	v_cndmask_b32_e32 v85, 0x7f800000, v87, vcc_lo
	v_add_f32_e32 v87, 1.0, v85
	s_delay_alu instid0(VALU_DEP_1) | instskip(NEXT) | instid1(VALU_DEP_1)
	v_cvt_f64_f32_e32 v[101:102], v87
	v_frexp_exp_i32_f64_e32 v96, v[101:102]
	v_frexp_mant_f32_e32 v101, v87
	s_delay_alu instid0(VALU_DEP_1) | instskip(SKIP_1) | instid1(VALU_DEP_1)
	v_cmp_gt_f32_e32 vcc_lo, 0x3f2aaaab, v101
	v_add_f32_e32 v101, -1.0, v87
	v_sub_f32_e32 v112, v101, v87
	s_delay_alu instid0(VALU_DEP_1) | instskip(SKIP_1) | instid1(VALU_DEP_1)
	v_add_f32_e32 v112, 1.0, v112
	v_subrev_co_ci_u32_e32 v96, vcc_lo, 0, v96, vcc_lo
	v_sub_nc_u32_e32 v102, 0, v96
	v_cvt_f32_i32_e32 v96, v96
	s_delay_alu instid0(VALU_DEP_2) | instskip(SKIP_1) | instid1(VALU_DEP_2)
	v_ldexp_f32 v87, v87, v102
	v_sub_f32_e32 v101, v85, v101
	v_add_f32_e32 v113, 1.0, v87
	s_delay_alu instid0(VALU_DEP_1) | instskip(NEXT) | instid1(VALU_DEP_1)
	v_dual_add_f32 v101, v101, v112 :: v_dual_add_f32 v112, -1.0, v113
	v_ldexp_f32 v101, v101, v102
	v_add_f32_e32 v102, -1.0, v87
	s_delay_alu instid0(VALU_DEP_3) | instskip(SKIP_1) | instid1(VALU_DEP_3)
	v_sub_f32_e32 v112, v87, v112
	v_cmp_eq_f32_e32 vcc_lo, 0x7f800000, v85
	v_add_f32_e32 v114, 1.0, v102
	s_delay_alu instid0(VALU_DEP_1) | instskip(NEXT) | instid1(VALU_DEP_1)
	v_dual_add_f32 v112, v101, v112 :: v_dual_sub_f32 v87, v87, v114
	v_add_f32_e32 v114, v113, v112
	s_delay_alu instid0(VALU_DEP_2) | instskip(NEXT) | instid1(VALU_DEP_2)
	v_add_f32_e32 v87, v101, v87
	v_rcp_f32_e32 v101, v114
	s_delay_alu instid0(VALU_DEP_1) | instskip(NEXT) | instid1(VALU_DEP_1)
	v_add_f32_e32 v115, v102, v87
	v_sub_f32_e32 v102, v102, v115
	s_waitcnt_depctr 0xfff
	v_dual_mul_f32 v116, v115, v101 :: v_dual_sub_f32 v113, v113, v114
	v_add_f32_e32 v87, v87, v102
	s_delay_alu instid0(VALU_DEP_2) | instskip(NEXT) | instid1(VALU_DEP_1)
	v_dual_mul_f32 v117, v114, v116 :: v_dual_add_f32 v112, v112, v113
	v_fma_f32 v113, v116, v114, -v117
	s_delay_alu instid0(VALU_DEP_1) | instskip(NEXT) | instid1(VALU_DEP_1)
	v_fmac_f32_e32 v113, v116, v112
	v_add_f32_e32 v118, v117, v113
	s_delay_alu instid0(VALU_DEP_1) | instskip(NEXT) | instid1(VALU_DEP_1)
	v_dual_sub_f32 v102, v118, v117 :: v_dual_sub_f32 v119, v115, v118
	v_dual_sub_f32 v102, v102, v113 :: v_dual_sub_f32 v115, v115, v119
	s_delay_alu instid0(VALU_DEP_1) | instskip(NEXT) | instid1(VALU_DEP_1)
	v_sub_f32_e32 v115, v115, v118
	v_add_f32_e32 v87, v87, v115
	s_delay_alu instid0(VALU_DEP_1) | instskip(NEXT) | instid1(VALU_DEP_1)
	v_add_f32_e32 v87, v102, v87
	v_add_f32_e32 v102, v119, v87
	s_delay_alu instid0(VALU_DEP_1) | instskip(SKIP_1) | instid1(VALU_DEP_2)
	v_sub_f32_e32 v118, v119, v102
	v_mul_f32_e32 v113, v101, v102
	v_add_f32_e32 v87, v87, v118
	s_delay_alu instid0(VALU_DEP_2) | instskip(NEXT) | instid1(VALU_DEP_1)
	v_mul_f32_e32 v115, v114, v113
	v_fma_f32 v114, v113, v114, -v115
	s_delay_alu instid0(VALU_DEP_1) | instskip(NEXT) | instid1(VALU_DEP_1)
	v_fmac_f32_e32 v114, v113, v112
	v_add_f32_e32 v112, v115, v114
	s_delay_alu instid0(VALU_DEP_1) | instskip(SKIP_1) | instid1(VALU_DEP_1)
	v_sub_f32_e32 v115, v112, v115
	v_sub_f32_e32 v117, v102, v112
	;; [unrolled: 1-line block ×3, first 2 shown]
	s_delay_alu instid0(VALU_DEP_1) | instskip(NEXT) | instid1(VALU_DEP_4)
	v_sub_f32_e32 v102, v102, v112
	v_sub_f32_e32 v112, v115, v114
	s_delay_alu instid0(VALU_DEP_2) | instskip(NEXT) | instid1(VALU_DEP_1)
	v_dual_add_f32 v87, v87, v102 :: v_dual_add_f32 v102, v116, v113
	v_dual_add_f32 v87, v112, v87 :: v_dual_sub_f32 v112, v102, v116
	s_delay_alu instid0(VALU_DEP_1) | instskip(NEXT) | instid1(VALU_DEP_2)
	v_add_f32_e32 v87, v117, v87
	v_sub_f32_e32 v112, v113, v112
	s_delay_alu instid0(VALU_DEP_2) | instskip(NEXT) | instid1(VALU_DEP_1)
	v_mul_f32_e32 v87, v101, v87
	v_add_f32_e32 v87, v112, v87
	s_delay_alu instid0(VALU_DEP_1) | instskip(NEXT) | instid1(VALU_DEP_1)
	v_add_f32_e32 v101, v102, v87
	v_mul_f32_e32 v112, v101, v101
	s_delay_alu instid0(VALU_DEP_1) | instskip(SKIP_2) | instid1(VALU_DEP_3)
	v_fmaak_f32 v113, s4, v112, 0x3ecc95a3
	v_mul_f32_e32 v114, v101, v112
	v_cmp_gt_f32_e64 s4, 0x33800000, |v85|
	v_fmaak_f32 v112, v112, v113, 0x3f2aaada
	v_ldexp_f32 v113, v101, 1
	v_sub_f32_e32 v101, v101, v102
	s_delay_alu instid0(VALU_DEP_4) | instskip(NEXT) | instid1(VALU_DEP_3)
	s_or_b32 vcc_lo, vcc_lo, s4
	v_mul_f32_e32 v112, v114, v112
	s_delay_alu instid0(VALU_DEP_2) | instskip(NEXT) | instid1(VALU_DEP_2)
	v_dual_mul_f32 v114, 0x3f317218, v96 :: v_dual_sub_f32 v87, v87, v101
	v_add_f32_e32 v102, v113, v112
	s_delay_alu instid0(VALU_DEP_2) | instskip(NEXT) | instid1(VALU_DEP_2)
	v_ldexp_f32 v87, v87, 1
	v_sub_f32_e32 v101, v102, v113
	s_delay_alu instid0(VALU_DEP_4) | instskip(NEXT) | instid1(VALU_DEP_2)
	v_fma_f32 v113, 0x3f317218, v96, -v114
	v_sub_f32_e32 v101, v112, v101
	s_delay_alu instid0(VALU_DEP_1) | instskip(NEXT) | instid1(VALU_DEP_1)
	v_dual_fmamk_f32 v96, v96, 0xb102e308, v113 :: v_dual_add_f32 v87, v87, v101
	v_add_f32_e32 v112, v102, v87
	s_delay_alu instid0(VALU_DEP_1) | instskip(NEXT) | instid1(VALU_DEP_1)
	v_sub_f32_e32 v102, v112, v102
	v_sub_f32_e32 v87, v87, v102
	s_delay_alu instid0(VALU_DEP_4) | instskip(NEXT) | instid1(VALU_DEP_1)
	v_add_f32_e32 v101, v114, v96
	v_add_f32_e32 v113, v101, v112
	v_sub_f32_e32 v114, v101, v114
	s_delay_alu instid0(VALU_DEP_1) | instskip(NEXT) | instid1(VALU_DEP_1)
	v_dual_sub_f32 v96, v96, v114 :: v_dual_sub_f32 v115, v113, v101
	v_sub_f32_e32 v116, v113, v115
	v_sub_f32_e32 v102, v112, v115
	s_delay_alu instid0(VALU_DEP_2) | instskip(NEXT) | instid1(VALU_DEP_1)
	v_dual_add_f32 v112, v96, v87 :: v_dual_sub_f32 v101, v101, v116
	v_dual_add_f32 v101, v102, v101 :: v_dual_sub_f32 v102, v112, v96
	s_delay_alu instid0(VALU_DEP_1) | instskip(NEXT) | instid1(VALU_DEP_2)
	v_add_f32_e32 v101, v112, v101
	v_sub_f32_e32 v112, v112, v102
	s_delay_alu instid0(VALU_DEP_2) | instskip(NEXT) | instid1(VALU_DEP_2)
	v_dual_add_f32 v114, v113, v101 :: v_dual_sub_f32 v87, v87, v102
	v_sub_f32_e32 v96, v96, v112
	s_delay_alu instid0(VALU_DEP_1) | instskip(NEXT) | instid1(VALU_DEP_1)
	v_dual_sub_f32 v102, v114, v113 :: v_dual_add_f32 v87, v87, v96
	v_sub_f32_e32 v96, v101, v102
	s_delay_alu instid0(VALU_DEP_1) | instskip(NEXT) | instid1(VALU_DEP_1)
	v_add_f32_e32 v87, v87, v96
	v_add_f32_e32 v87, v114, v87
	s_delay_alu instid0(VALU_DEP_1) | instskip(NEXT) | instid1(VALU_DEP_1)
	v_cndmask_b32_e32 v85, v87, v85, vcc_lo
	v_add_f32_e32 v85, v86, v85
	s_delay_alu instid0(VALU_DEP_1) | instskip(NEXT) | instid1(VALU_DEP_1)
	v_cvt_f16_f32_e32 v101, v85
	v_cvt_f32_f16_e32 v102, v101
	v_mov_b32_e32 v85, v101
.LBB430_226:
	s_or_b32 exec_lo, exec_lo, s3
	s_delay_alu instid0(VALU_DEP_2) | instskip(SKIP_1) | instid1(VALU_DEP_2)
	v_dual_max_f32 v86, v97, v97 :: v_dual_max_f32 v87, v102, v102
	v_cmp_u_f16_e32 vcc_lo, v101, v101
	v_min_f32_e32 v96, v87, v86
	v_max_f32_e32 v86, v87, v86
	s_delay_alu instid0(VALU_DEP_2) | instskip(NEXT) | instid1(VALU_DEP_2)
	v_cndmask_b32_e32 v87, v96, v102, vcc_lo
	v_cndmask_b32_e32 v86, v86, v102, vcc_lo
	s_delay_alu instid0(VALU_DEP_2) | instskip(NEXT) | instid1(VALU_DEP_2)
	v_cndmask_b32_e64 v96, v87, v97, s20
	v_cndmask_b32_e64 v87, v86, v97, s20
	v_mov_b32_e32 v86, v85
	s_delay_alu instid0(VALU_DEP_3) | instskip(NEXT) | instid1(VALU_DEP_3)
	v_cmp_class_f32_e64 s3, v96, 0x1f8
	v_cmp_neq_f32_e32 vcc_lo, v96, v87
	s_delay_alu instid0(VALU_DEP_2) | instskip(NEXT) | instid1(SALU_CYCLE_1)
	s_or_b32 s4, vcc_lo, s3
	s_and_saveexec_b32 s3, s4
	s_cbranch_execz .LBB430_228
; %bb.227:
	v_sub_f32_e32 v86, v96, v87
	s_mov_b32 s4, 0x3e9b6dac
	s_delay_alu instid0(VALU_DEP_1) | instskip(SKIP_1) | instid1(VALU_DEP_2)
	v_mul_f32_e32 v96, 0x3fb8aa3b, v86
	v_cmp_ngt_f32_e32 vcc_lo, 0xc2ce8ed0, v86
	v_fma_f32 v97, 0x3fb8aa3b, v86, -v96
	v_rndne_f32_e32 v101, v96
	s_delay_alu instid0(VALU_DEP_1) | instskip(NEXT) | instid1(VALU_DEP_1)
	v_dual_fmamk_f32 v97, v86, 0x32a5705f, v97 :: v_dual_sub_f32 v96, v96, v101
	v_add_f32_e32 v96, v96, v97
	v_cvt_i32_f32_e32 v97, v101
	s_delay_alu instid0(VALU_DEP_2) | instskip(SKIP_2) | instid1(VALU_DEP_1)
	v_exp_f32_e32 v96, v96
	s_waitcnt_depctr 0xfff
	v_ldexp_f32 v96, v96, v97
	v_cndmask_b32_e32 v96, 0, v96, vcc_lo
	v_cmp_nlt_f32_e32 vcc_lo, 0x42b17218, v86
	s_delay_alu instid0(VALU_DEP_2) | instskip(NEXT) | instid1(VALU_DEP_1)
	v_cndmask_b32_e32 v86, 0x7f800000, v96, vcc_lo
	v_add_f32_e32 v101, 1.0, v86
	s_delay_alu instid0(VALU_DEP_1) | instskip(NEXT) | instid1(VALU_DEP_1)
	v_cvt_f64_f32_e32 v[96:97], v101
	v_frexp_exp_i32_f64_e32 v96, v[96:97]
	v_frexp_mant_f32_e32 v97, v101
	s_delay_alu instid0(VALU_DEP_1) | instskip(SKIP_1) | instid1(VALU_DEP_1)
	v_cmp_gt_f32_e32 vcc_lo, 0x3f2aaaab, v97
	v_add_f32_e32 v97, -1.0, v101
	v_sub_f32_e32 v112, v97, v101
	s_delay_alu instid0(VALU_DEP_1) | instskip(SKIP_1) | instid1(VALU_DEP_1)
	v_dual_sub_f32 v97, v86, v97 :: v_dual_add_f32 v112, 1.0, v112
	v_subrev_co_ci_u32_e32 v96, vcc_lo, 0, v96, vcc_lo
	v_sub_nc_u32_e32 v102, 0, v96
	v_cvt_f32_i32_e32 v96, v96
	s_delay_alu instid0(VALU_DEP_2) | instskip(NEXT) | instid1(VALU_DEP_1)
	v_ldexp_f32 v101, v101, v102
	v_add_f32_e32 v113, 1.0, v101
	s_delay_alu instid0(VALU_DEP_1) | instskip(NEXT) | instid1(VALU_DEP_1)
	v_dual_add_f32 v97, v97, v112 :: v_dual_add_f32 v112, -1.0, v113
	v_ldexp_f32 v97, v97, v102
	v_add_f32_e32 v102, -1.0, v101
	s_delay_alu instid0(VALU_DEP_3) | instskip(NEXT) | instid1(VALU_DEP_2)
	v_sub_f32_e32 v112, v101, v112
	v_add_f32_e32 v114, 1.0, v102
	s_delay_alu instid0(VALU_DEP_2) | instskip(NEXT) | instid1(VALU_DEP_2)
	v_add_f32_e32 v112, v97, v112
	v_sub_f32_e32 v101, v101, v114
	v_cmp_eq_f32_e32 vcc_lo, 0x7f800000, v86
	s_delay_alu instid0(VALU_DEP_3) | instskip(NEXT) | instid1(VALU_DEP_3)
	v_add_f32_e32 v114, v113, v112
	v_add_f32_e32 v97, v97, v101
	s_delay_alu instid0(VALU_DEP_2) | instskip(SKIP_1) | instid1(VALU_DEP_2)
	v_rcp_f32_e32 v101, v114
	v_sub_f32_e32 v113, v113, v114
	v_add_f32_e32 v115, v102, v97
	s_delay_alu instid0(VALU_DEP_2) | instskip(NEXT) | instid1(VALU_DEP_2)
	v_add_f32_e32 v112, v112, v113
	v_sub_f32_e32 v102, v102, v115
	s_waitcnt_depctr 0xfff
	v_dual_mul_f32 v116, v115, v101 :: v_dual_add_f32 v97, v97, v102
	s_delay_alu instid0(VALU_DEP_1) | instskip(NEXT) | instid1(VALU_DEP_1)
	v_mul_f32_e32 v117, v114, v116
	v_fma_f32 v113, v116, v114, -v117
	s_delay_alu instid0(VALU_DEP_1) | instskip(NEXT) | instid1(VALU_DEP_1)
	v_fmac_f32_e32 v113, v116, v112
	v_add_f32_e32 v118, v117, v113
	s_delay_alu instid0(VALU_DEP_1) | instskip(NEXT) | instid1(VALU_DEP_1)
	v_sub_f32_e32 v119, v115, v118
	v_sub_f32_e32 v115, v115, v119
	s_delay_alu instid0(VALU_DEP_1) | instskip(NEXT) | instid1(VALU_DEP_1)
	v_dual_sub_f32 v115, v115, v118 :: v_dual_sub_f32 v102, v118, v117
	v_dual_add_f32 v97, v97, v115 :: v_dual_sub_f32 v102, v102, v113
	s_delay_alu instid0(VALU_DEP_1) | instskip(NEXT) | instid1(VALU_DEP_1)
	v_add_f32_e32 v97, v102, v97
	v_add_f32_e32 v102, v119, v97
	s_delay_alu instid0(VALU_DEP_1) | instskip(NEXT) | instid1(VALU_DEP_1)
	v_mul_f32_e32 v113, v101, v102
	v_dual_sub_f32 v118, v119, v102 :: v_dual_mul_f32 v115, v114, v113
	s_delay_alu instid0(VALU_DEP_1) | instskip(NEXT) | instid1(VALU_DEP_1)
	v_fma_f32 v114, v113, v114, -v115
	v_fmac_f32_e32 v114, v113, v112
	s_delay_alu instid0(VALU_DEP_3) | instskip(NEXT) | instid1(VALU_DEP_2)
	v_add_f32_e32 v97, v97, v118
	v_add_f32_e32 v112, v115, v114
	s_delay_alu instid0(VALU_DEP_1) | instskip(NEXT) | instid1(VALU_DEP_1)
	v_sub_f32_e32 v117, v102, v112
	v_dual_sub_f32 v115, v112, v115 :: v_dual_sub_f32 v102, v102, v117
	s_delay_alu instid0(VALU_DEP_1) | instskip(NEXT) | instid1(VALU_DEP_2)
	v_sub_f32_e32 v102, v102, v112
	v_sub_f32_e32 v112, v115, v114
	s_delay_alu instid0(VALU_DEP_2) | instskip(NEXT) | instid1(VALU_DEP_1)
	v_dual_add_f32 v97, v97, v102 :: v_dual_add_f32 v102, v116, v113
	v_dual_add_f32 v97, v112, v97 :: v_dual_sub_f32 v112, v102, v116
	s_delay_alu instid0(VALU_DEP_1) | instskip(NEXT) | instid1(VALU_DEP_2)
	v_add_f32_e32 v97, v117, v97
	v_sub_f32_e32 v112, v113, v112
	s_delay_alu instid0(VALU_DEP_2) | instskip(NEXT) | instid1(VALU_DEP_1)
	v_mul_f32_e32 v97, v101, v97
	v_add_f32_e32 v97, v112, v97
	s_delay_alu instid0(VALU_DEP_1) | instskip(NEXT) | instid1(VALU_DEP_1)
	v_add_f32_e32 v101, v102, v97
	v_mul_f32_e32 v112, v101, v101
	s_delay_alu instid0(VALU_DEP_1) | instskip(SKIP_2) | instid1(VALU_DEP_3)
	v_fmaak_f32 v113, s4, v112, 0x3ecc95a3
	v_mul_f32_e32 v114, v101, v112
	v_cmp_gt_f32_e64 s4, 0x33800000, |v86|
	v_fmaak_f32 v112, v112, v113, 0x3f2aaada
	v_ldexp_f32 v113, v101, 1
	v_sub_f32_e32 v101, v101, v102
	s_delay_alu instid0(VALU_DEP_4) | instskip(NEXT) | instid1(VALU_DEP_1)
	s_or_b32 vcc_lo, vcc_lo, s4
	v_dual_mul_f32 v112, v114, v112 :: v_dual_sub_f32 v97, v97, v101
	s_delay_alu instid0(VALU_DEP_1) | instskip(SKIP_1) | instid1(VALU_DEP_3)
	v_add_f32_e32 v102, v113, v112
	v_mul_f32_e32 v114, 0x3f317218, v96
	v_ldexp_f32 v97, v97, 1
	s_delay_alu instid0(VALU_DEP_3) | instskip(NEXT) | instid1(VALU_DEP_3)
	v_sub_f32_e32 v101, v102, v113
	v_fma_f32 v113, 0x3f317218, v96, -v114
	s_delay_alu instid0(VALU_DEP_2) | instskip(NEXT) | instid1(VALU_DEP_1)
	v_sub_f32_e32 v101, v112, v101
	v_dual_fmamk_f32 v96, v96, 0xb102e308, v113 :: v_dual_add_f32 v97, v97, v101
	s_delay_alu instid0(VALU_DEP_1) | instskip(NEXT) | instid1(VALU_DEP_2)
	v_add_f32_e32 v101, v114, v96
	v_add_f32_e32 v112, v102, v97
	s_delay_alu instid0(VALU_DEP_2) | instskip(NEXT) | instid1(VALU_DEP_1)
	v_sub_f32_e32 v114, v101, v114
	v_dual_add_f32 v113, v101, v112 :: v_dual_sub_f32 v96, v96, v114
	s_delay_alu instid0(VALU_DEP_1) | instskip(NEXT) | instid1(VALU_DEP_1)
	v_sub_f32_e32 v115, v113, v101
	v_sub_f32_e32 v116, v113, v115
	s_delay_alu instid0(VALU_DEP_1) | instskip(NEXT) | instid1(VALU_DEP_1)
	v_dual_sub_f32 v101, v101, v116 :: v_dual_sub_f32 v102, v112, v102
	v_dual_sub_f32 v97, v97, v102 :: v_dual_sub_f32 v102, v112, v115
	s_delay_alu instid0(VALU_DEP_1) | instskip(NEXT) | instid1(VALU_DEP_1)
	v_add_f32_e32 v112, v96, v97
	v_dual_add_f32 v101, v102, v101 :: v_dual_sub_f32 v102, v112, v96
	s_delay_alu instid0(VALU_DEP_1) | instskip(NEXT) | instid1(VALU_DEP_2)
	v_sub_f32_e32 v97, v97, v102
	v_add_f32_e32 v101, v112, v101
	v_sub_f32_e32 v112, v112, v102
	s_delay_alu instid0(VALU_DEP_2) | instskip(NEXT) | instid1(VALU_DEP_1)
	v_add_f32_e32 v114, v113, v101
	v_sub_f32_e32 v102, v114, v113
	s_delay_alu instid0(VALU_DEP_3) | instskip(NEXT) | instid1(VALU_DEP_1)
	v_sub_f32_e32 v96, v96, v112
	v_add_f32_e32 v96, v97, v96
	s_delay_alu instid0(VALU_DEP_3) | instskip(NEXT) | instid1(VALU_DEP_1)
	v_sub_f32_e32 v97, v101, v102
	v_add_f32_e32 v96, v96, v97
	s_delay_alu instid0(VALU_DEP_1) | instskip(NEXT) | instid1(VALU_DEP_1)
	v_add_f32_e32 v96, v114, v96
	v_cndmask_b32_e32 v86, v96, v86, vcc_lo
	s_delay_alu instid0(VALU_DEP_1) | instskip(NEXT) | instid1(VALU_DEP_1)
	v_add_f32_e32 v86, v87, v86
	v_cvt_f16_f32_e32 v101, v86
	s_delay_alu instid0(VALU_DEP_1)
	v_cvt_f32_f16_e32 v102, v101
	v_mov_b32_e32 v86, v101
.LBB430_228:
	s_or_b32 exec_lo, exec_lo, s3
	v_max_f32_e32 v87, v98, v98
	s_delay_alu instid0(VALU_DEP_3) | instskip(SKIP_1) | instid1(VALU_DEP_2)
	v_max_f32_e32 v96, v102, v102
	v_cmp_u_f16_e32 vcc_lo, v101, v101
	v_min_f32_e32 v97, v96, v87
	s_delay_alu instid0(VALU_DEP_1) | instskip(NEXT) | instid1(VALU_DEP_1)
	v_dual_max_f32 v87, v96, v87 :: v_dual_cndmask_b32 v96, v97, v102
	v_cndmask_b32_e32 v87, v87, v102, vcc_lo
	s_delay_alu instid0(VALU_DEP_2) | instskip(NEXT) | instid1(VALU_DEP_2)
	v_cndmask_b32_e64 v97, v96, v98, s21
	v_cndmask_b32_e64 v96, v87, v98, s21
	v_mov_b32_e32 v87, v86
	s_delay_alu instid0(VALU_DEP_3) | instskip(NEXT) | instid1(VALU_DEP_3)
	v_cmp_class_f32_e64 s3, v97, 0x1f8
	v_cmp_neq_f32_e32 vcc_lo, v97, v96
	s_delay_alu instid0(VALU_DEP_2) | instskip(NEXT) | instid1(SALU_CYCLE_1)
	s_or_b32 s4, vcc_lo, s3
	s_and_saveexec_b32 s3, s4
	s_cbranch_execz .LBB430_230
; %bb.229:
	v_sub_f32_e32 v87, v97, v96
	s_mov_b32 s4, 0x3e9b6dac
	s_delay_alu instid0(VALU_DEP_1) | instskip(SKIP_1) | instid1(VALU_DEP_2)
	v_mul_f32_e32 v97, 0x3fb8aa3b, v87
	v_cmp_ngt_f32_e32 vcc_lo, 0xc2ce8ed0, v87
	v_fma_f32 v98, 0x3fb8aa3b, v87, -v97
	v_rndne_f32_e32 v101, v97
	s_delay_alu instid0(VALU_DEP_1) | instskip(NEXT) | instid1(VALU_DEP_1)
	v_dual_fmamk_f32 v98, v87, 0x32a5705f, v98 :: v_dual_sub_f32 v97, v97, v101
	v_add_f32_e32 v97, v97, v98
	v_cvt_i32_f32_e32 v98, v101
	s_delay_alu instid0(VALU_DEP_2) | instskip(SKIP_2) | instid1(VALU_DEP_1)
	v_exp_f32_e32 v97, v97
	s_waitcnt_depctr 0xfff
	v_ldexp_f32 v97, v97, v98
	v_cndmask_b32_e32 v97, 0, v97, vcc_lo
	v_cmp_nlt_f32_e32 vcc_lo, 0x42b17218, v87
	s_delay_alu instid0(VALU_DEP_2) | instskip(NEXT) | instid1(VALU_DEP_1)
	v_cndmask_b32_e32 v87, 0x7f800000, v97, vcc_lo
	v_add_f32_e32 v101, 1.0, v87
	s_delay_alu instid0(VALU_DEP_1) | instskip(NEXT) | instid1(VALU_DEP_1)
	v_cvt_f64_f32_e32 v[97:98], v101
	v_frexp_exp_i32_f64_e32 v97, v[97:98]
	v_frexp_mant_f32_e32 v98, v101
	s_delay_alu instid0(VALU_DEP_1) | instskip(SKIP_1) | instid1(VALU_DEP_1)
	v_cmp_gt_f32_e32 vcc_lo, 0x3f2aaaab, v98
	v_add_f32_e32 v98, -1.0, v101
	v_sub_f32_e32 v112, v98, v101
	v_sub_f32_e32 v98, v87, v98
	s_delay_alu instid0(VALU_DEP_2) | instskip(NEXT) | instid1(VALU_DEP_1)
	v_add_f32_e32 v112, 1.0, v112
	v_add_f32_e32 v98, v98, v112
	v_subrev_co_ci_u32_e32 v97, vcc_lo, 0, v97, vcc_lo
	v_cmp_eq_f32_e32 vcc_lo, 0x7f800000, v87
	s_delay_alu instid0(VALU_DEP_2) | instskip(SKIP_1) | instid1(VALU_DEP_2)
	v_sub_nc_u32_e32 v102, 0, v97
	v_cvt_f32_i32_e32 v97, v97
	v_ldexp_f32 v101, v101, v102
	v_ldexp_f32 v98, v98, v102
	s_delay_alu instid0(VALU_DEP_2) | instskip(SKIP_1) | instid1(VALU_DEP_2)
	v_add_f32_e32 v113, 1.0, v101
	v_add_f32_e32 v102, -1.0, v101
	v_add_f32_e32 v112, -1.0, v113
	s_delay_alu instid0(VALU_DEP_2) | instskip(NEXT) | instid1(VALU_DEP_2)
	v_add_f32_e32 v114, 1.0, v102
	v_sub_f32_e32 v112, v101, v112
	s_delay_alu instid0(VALU_DEP_1) | instskip(NEXT) | instid1(VALU_DEP_1)
	v_dual_sub_f32 v101, v101, v114 :: v_dual_add_f32 v112, v98, v112
	v_add_f32_e32 v98, v98, v101
	s_delay_alu instid0(VALU_DEP_1) | instskip(NEXT) | instid1(VALU_DEP_1)
	v_dual_add_f32 v114, v113, v112 :: v_dual_add_f32 v115, v102, v98
	v_rcp_f32_e32 v101, v114
	v_sub_f32_e32 v113, v113, v114
	s_delay_alu instid0(VALU_DEP_1) | instskip(SKIP_2) | instid1(VALU_DEP_1)
	v_add_f32_e32 v112, v112, v113
	s_waitcnt_depctr 0xfff
	v_mul_f32_e32 v116, v115, v101
	v_mul_f32_e32 v117, v114, v116
	s_delay_alu instid0(VALU_DEP_1) | instskip(NEXT) | instid1(VALU_DEP_1)
	v_fma_f32 v113, v116, v114, -v117
	v_fmac_f32_e32 v113, v116, v112
	s_delay_alu instid0(VALU_DEP_1) | instskip(NEXT) | instid1(VALU_DEP_1)
	v_add_f32_e32 v118, v117, v113
	v_dual_sub_f32 v102, v102, v115 :: v_dual_sub_f32 v119, v115, v118
	s_delay_alu instid0(VALU_DEP_1) | instskip(NEXT) | instid1(VALU_DEP_1)
	v_sub_f32_e32 v115, v115, v119
	v_sub_f32_e32 v115, v115, v118
	s_delay_alu instid0(VALU_DEP_3) | instskip(SKIP_1) | instid1(VALU_DEP_2)
	v_add_f32_e32 v98, v98, v102
	v_sub_f32_e32 v102, v118, v117
	v_add_f32_e32 v98, v98, v115
	s_delay_alu instid0(VALU_DEP_2) | instskip(NEXT) | instid1(VALU_DEP_1)
	v_sub_f32_e32 v102, v102, v113
	v_add_f32_e32 v98, v102, v98
	s_delay_alu instid0(VALU_DEP_1) | instskip(NEXT) | instid1(VALU_DEP_1)
	v_add_f32_e32 v102, v119, v98
	v_mul_f32_e32 v113, v101, v102
	s_delay_alu instid0(VALU_DEP_1) | instskip(NEXT) | instid1(VALU_DEP_1)
	v_dual_mul_f32 v115, v114, v113 :: v_dual_sub_f32 v118, v119, v102
	v_fma_f32 v114, v113, v114, -v115
	s_delay_alu instid0(VALU_DEP_2) | instskip(NEXT) | instid1(VALU_DEP_2)
	v_add_f32_e32 v98, v98, v118
	v_fmac_f32_e32 v114, v113, v112
	s_delay_alu instid0(VALU_DEP_1) | instskip(NEXT) | instid1(VALU_DEP_1)
	v_add_f32_e32 v112, v115, v114
	v_sub_f32_e32 v117, v102, v112
	s_delay_alu instid0(VALU_DEP_1) | instskip(NEXT) | instid1(VALU_DEP_1)
	v_dual_sub_f32 v115, v112, v115 :: v_dual_sub_f32 v102, v102, v117
	v_sub_f32_e32 v102, v102, v112
	s_delay_alu instid0(VALU_DEP_2) | instskip(NEXT) | instid1(VALU_DEP_2)
	v_sub_f32_e32 v112, v115, v114
	v_add_f32_e32 v98, v98, v102
	v_add_f32_e32 v102, v116, v113
	s_delay_alu instid0(VALU_DEP_2) | instskip(NEXT) | instid1(VALU_DEP_2)
	v_add_f32_e32 v98, v112, v98
	v_sub_f32_e32 v112, v102, v116
	s_delay_alu instid0(VALU_DEP_2) | instskip(NEXT) | instid1(VALU_DEP_2)
	v_add_f32_e32 v98, v117, v98
	v_sub_f32_e32 v112, v113, v112
	s_delay_alu instid0(VALU_DEP_2) | instskip(NEXT) | instid1(VALU_DEP_1)
	v_mul_f32_e32 v98, v101, v98
	v_add_f32_e32 v98, v112, v98
	s_delay_alu instid0(VALU_DEP_1) | instskip(NEXT) | instid1(VALU_DEP_1)
	v_add_f32_e32 v101, v102, v98
	v_mul_f32_e32 v112, v101, v101
	s_delay_alu instid0(VALU_DEP_1) | instskip(SKIP_2) | instid1(VALU_DEP_3)
	v_fmaak_f32 v113, s4, v112, 0x3ecc95a3
	v_mul_f32_e32 v114, v101, v112
	v_cmp_gt_f32_e64 s4, 0x33800000, |v87|
	v_fmaak_f32 v112, v112, v113, 0x3f2aaada
	v_ldexp_f32 v113, v101, 1
	v_sub_f32_e32 v101, v101, v102
	s_delay_alu instid0(VALU_DEP_4) | instskip(NEXT) | instid1(VALU_DEP_3)
	s_or_b32 vcc_lo, vcc_lo, s4
	v_mul_f32_e32 v112, v114, v112
	v_mul_f32_e32 v114, 0x3f317218, v97
	s_delay_alu instid0(VALU_DEP_3) | instskip(NEXT) | instid1(VALU_DEP_3)
	v_sub_f32_e32 v98, v98, v101
	v_add_f32_e32 v102, v113, v112
	s_delay_alu instid0(VALU_DEP_2) | instskip(NEXT) | instid1(VALU_DEP_2)
	v_ldexp_f32 v98, v98, 1
	v_sub_f32_e32 v101, v102, v113
	v_fma_f32 v113, 0x3f317218, v97, -v114
	s_delay_alu instid0(VALU_DEP_2) | instskip(NEXT) | instid1(VALU_DEP_1)
	v_sub_f32_e32 v101, v112, v101
	v_dual_fmamk_f32 v97, v97, 0xb102e308, v113 :: v_dual_add_f32 v98, v98, v101
	s_delay_alu instid0(VALU_DEP_1) | instskip(NEXT) | instid1(VALU_DEP_2)
	v_add_f32_e32 v101, v114, v97
	v_add_f32_e32 v112, v102, v98
	s_delay_alu instid0(VALU_DEP_2) | instskip(NEXT) | instid1(VALU_DEP_2)
	v_sub_f32_e32 v114, v101, v114
	v_dual_add_f32 v113, v101, v112 :: v_dual_sub_f32 v102, v112, v102
	s_delay_alu instid0(VALU_DEP_2) | instskip(NEXT) | instid1(VALU_DEP_2)
	v_sub_f32_e32 v97, v97, v114
	v_dual_sub_f32 v115, v113, v101 :: v_dual_sub_f32 v98, v98, v102
	s_delay_alu instid0(VALU_DEP_1) | instskip(SKIP_1) | instid1(VALU_DEP_3)
	v_sub_f32_e32 v116, v113, v115
	v_sub_f32_e32 v102, v112, v115
	v_add_f32_e32 v112, v97, v98
	s_delay_alu instid0(VALU_DEP_3) | instskip(NEXT) | instid1(VALU_DEP_1)
	v_sub_f32_e32 v101, v101, v116
	v_add_f32_e32 v101, v102, v101
	s_delay_alu instid0(VALU_DEP_3) | instskip(NEXT) | instid1(VALU_DEP_2)
	v_sub_f32_e32 v102, v112, v97
	v_add_f32_e32 v101, v112, v101
	s_delay_alu instid0(VALU_DEP_2) | instskip(SKIP_1) | instid1(VALU_DEP_3)
	v_sub_f32_e32 v112, v112, v102
	v_sub_f32_e32 v98, v98, v102
	v_add_f32_e32 v114, v113, v101
	s_delay_alu instid0(VALU_DEP_1) | instskip(NEXT) | instid1(VALU_DEP_1)
	v_dual_sub_f32 v97, v97, v112 :: v_dual_sub_f32 v102, v114, v113
	v_dual_add_f32 v97, v98, v97 :: v_dual_sub_f32 v98, v101, v102
	s_delay_alu instid0(VALU_DEP_1) | instskip(NEXT) | instid1(VALU_DEP_1)
	v_add_f32_e32 v97, v97, v98
	v_add_f32_e32 v97, v114, v97
	s_delay_alu instid0(VALU_DEP_1) | instskip(NEXT) | instid1(VALU_DEP_1)
	v_cndmask_b32_e32 v87, v97, v87, vcc_lo
	v_add_f32_e32 v87, v96, v87
	s_delay_alu instid0(VALU_DEP_1) | instskip(NEXT) | instid1(VALU_DEP_1)
	v_cvt_f16_f32_e32 v101, v87
	v_mov_b32_e32 v87, v101
	v_cvt_f32_f16_e32 v102, v101
.LBB430_230:
	s_or_b32 exec_lo, exec_lo, s3
	s_delay_alu instid0(VALU_DEP_1) | instskip(SKIP_1) | instid1(VALU_DEP_2)
	v_dual_max_f32 v96, v99, v99 :: v_dual_max_f32 v97, v102, v102
	v_cmp_u_f16_e32 vcc_lo, v101, v101
	v_min_f32_e32 v98, v97, v96
	s_delay_alu instid0(VALU_DEP_1) | instskip(NEXT) | instid1(VALU_DEP_1)
	v_dual_max_f32 v96, v97, v96 :: v_dual_cndmask_b32 v97, v98, v102
	v_cndmask_b32_e32 v96, v96, v102, vcc_lo
	s_delay_alu instid0(VALU_DEP_2) | instskip(NEXT) | instid1(VALU_DEP_2)
	v_cndmask_b32_e64 v98, v97, v99, s22
	v_cndmask_b32_e64 v97, v96, v99, s22
	v_mov_b32_e32 v96, v87
	s_delay_alu instid0(VALU_DEP_3) | instskip(NEXT) | instid1(VALU_DEP_3)
	v_cmp_class_f32_e64 s3, v98, 0x1f8
	v_cmp_neq_f32_e32 vcc_lo, v98, v97
	s_delay_alu instid0(VALU_DEP_2) | instskip(NEXT) | instid1(SALU_CYCLE_1)
	s_or_b32 s4, vcc_lo, s3
	s_and_saveexec_b32 s3, s4
	s_cbranch_execz .LBB430_232
; %bb.231:
	v_sub_f32_e32 v96, v98, v97
	s_mov_b32 s4, 0x3e9b6dac
	s_delay_alu instid0(VALU_DEP_1) | instskip(SKIP_1) | instid1(VALU_DEP_2)
	v_mul_f32_e32 v98, 0x3fb8aa3b, v96
	v_cmp_ngt_f32_e32 vcc_lo, 0xc2ce8ed0, v96
	v_fma_f32 v99, 0x3fb8aa3b, v96, -v98
	v_rndne_f32_e32 v101, v98
	s_delay_alu instid0(VALU_DEP_1) | instskip(NEXT) | instid1(VALU_DEP_1)
	v_dual_fmamk_f32 v99, v96, 0x32a5705f, v99 :: v_dual_sub_f32 v98, v98, v101
	v_add_f32_e32 v98, v98, v99
	v_cvt_i32_f32_e32 v99, v101
	s_delay_alu instid0(VALU_DEP_2) | instskip(SKIP_2) | instid1(VALU_DEP_1)
	v_exp_f32_e32 v98, v98
	s_waitcnt_depctr 0xfff
	v_ldexp_f32 v98, v98, v99
	v_cndmask_b32_e32 v98, 0, v98, vcc_lo
	v_cmp_nlt_f32_e32 vcc_lo, 0x42b17218, v96
	s_delay_alu instid0(VALU_DEP_2) | instskip(NEXT) | instid1(VALU_DEP_1)
	v_cndmask_b32_e32 v96, 0x7f800000, v98, vcc_lo
	v_add_f32_e32 v101, 1.0, v96
	s_delay_alu instid0(VALU_DEP_1) | instskip(NEXT) | instid1(VALU_DEP_1)
	v_cvt_f64_f32_e32 v[98:99], v101
	v_frexp_exp_i32_f64_e32 v98, v[98:99]
	v_frexp_mant_f32_e32 v99, v101
	s_delay_alu instid0(VALU_DEP_1) | instskip(SKIP_1) | instid1(VALU_DEP_1)
	v_cmp_gt_f32_e32 vcc_lo, 0x3f2aaaab, v99
	v_add_f32_e32 v99, -1.0, v101
	v_sub_f32_e32 v112, v99, v101
	s_delay_alu instid0(VALU_DEP_1) | instskip(SKIP_1) | instid1(VALU_DEP_1)
	v_add_f32_e32 v112, 1.0, v112
	v_subrev_co_ci_u32_e32 v98, vcc_lo, 0, v98, vcc_lo
	v_sub_nc_u32_e32 v102, 0, v98
	v_cvt_f32_i32_e32 v98, v98
	s_delay_alu instid0(VALU_DEP_2) | instskip(NEXT) | instid1(VALU_DEP_1)
	v_ldexp_f32 v101, v101, v102
	v_add_f32_e32 v113, 1.0, v101
	v_sub_f32_e32 v99, v96, v99
	v_cmp_eq_f32_e32 vcc_lo, 0x7f800000, v96
	s_delay_alu instid0(VALU_DEP_2) | instskip(NEXT) | instid1(VALU_DEP_1)
	v_add_f32_e32 v99, v99, v112
	v_ldexp_f32 v99, v99, v102
	v_add_f32_e32 v102, -1.0, v101
	v_add_f32_e32 v112, -1.0, v113
	s_delay_alu instid0(VALU_DEP_2) | instskip(NEXT) | instid1(VALU_DEP_2)
	v_add_f32_e32 v114, 1.0, v102
	v_sub_f32_e32 v112, v101, v112
	s_delay_alu instid0(VALU_DEP_1) | instskip(NEXT) | instid1(VALU_DEP_1)
	v_dual_sub_f32 v101, v101, v114 :: v_dual_add_f32 v112, v99, v112
	v_dual_add_f32 v99, v99, v101 :: v_dual_add_f32 v114, v113, v112
	s_delay_alu instid0(VALU_DEP_1) | instskip(SKIP_1) | instid1(VALU_DEP_1)
	v_rcp_f32_e32 v101, v114
	v_sub_f32_e32 v113, v113, v114
	v_dual_add_f32 v115, v102, v99 :: v_dual_add_f32 v112, v112, v113
	s_delay_alu instid0(VALU_DEP_1) | instskip(SKIP_3) | instid1(VALU_DEP_2)
	v_sub_f32_e32 v102, v102, v115
	s_waitcnt_depctr 0xfff
	v_mul_f32_e32 v116, v115, v101
	v_add_f32_e32 v99, v99, v102
	v_mul_f32_e32 v117, v114, v116
	s_delay_alu instid0(VALU_DEP_1) | instskip(NEXT) | instid1(VALU_DEP_1)
	v_fma_f32 v113, v116, v114, -v117
	v_fmac_f32_e32 v113, v116, v112
	s_delay_alu instid0(VALU_DEP_1) | instskip(NEXT) | instid1(VALU_DEP_1)
	v_add_f32_e32 v118, v117, v113
	v_sub_f32_e32 v119, v115, v118
	s_delay_alu instid0(VALU_DEP_1) | instskip(NEXT) | instid1(VALU_DEP_1)
	v_sub_f32_e32 v115, v115, v119
	v_dual_sub_f32 v115, v115, v118 :: v_dual_sub_f32 v102, v118, v117
	s_delay_alu instid0(VALU_DEP_1) | instskip(NEXT) | instid1(VALU_DEP_1)
	v_dual_add_f32 v99, v99, v115 :: v_dual_sub_f32 v102, v102, v113
	v_add_f32_e32 v99, v102, v99
	s_delay_alu instid0(VALU_DEP_1) | instskip(NEXT) | instid1(VALU_DEP_1)
	v_add_f32_e32 v102, v119, v99
	v_mul_f32_e32 v113, v101, v102
	s_delay_alu instid0(VALU_DEP_1) | instskip(NEXT) | instid1(VALU_DEP_1)
	v_dual_mul_f32 v115, v114, v113 :: v_dual_sub_f32 v118, v119, v102
	v_fma_f32 v114, v113, v114, -v115
	s_delay_alu instid0(VALU_DEP_1) | instskip(NEXT) | instid1(VALU_DEP_1)
	v_dual_add_f32 v99, v99, v118 :: v_dual_fmac_f32 v114, v113, v112
	v_add_f32_e32 v112, v115, v114
	s_delay_alu instid0(VALU_DEP_1) | instskip(NEXT) | instid1(VALU_DEP_1)
	v_sub_f32_e32 v117, v102, v112
	v_dual_sub_f32 v115, v112, v115 :: v_dual_sub_f32 v102, v102, v117
	s_delay_alu instid0(VALU_DEP_1) | instskip(NEXT) | instid1(VALU_DEP_1)
	v_sub_f32_e32 v102, v102, v112
	v_dual_add_f32 v99, v99, v102 :: v_dual_add_f32 v102, v116, v113
	s_delay_alu instid0(VALU_DEP_3) | instskip(NEXT) | instid1(VALU_DEP_1)
	v_sub_f32_e32 v112, v115, v114
	v_dual_add_f32 v99, v112, v99 :: v_dual_sub_f32 v112, v102, v116
	s_delay_alu instid0(VALU_DEP_1) | instskip(NEXT) | instid1(VALU_DEP_2)
	v_add_f32_e32 v99, v117, v99
	v_sub_f32_e32 v112, v113, v112
	s_delay_alu instid0(VALU_DEP_2) | instskip(NEXT) | instid1(VALU_DEP_1)
	v_mul_f32_e32 v99, v101, v99
	v_add_f32_e32 v99, v112, v99
	s_delay_alu instid0(VALU_DEP_1) | instskip(NEXT) | instid1(VALU_DEP_1)
	v_add_f32_e32 v101, v102, v99
	v_mul_f32_e32 v112, v101, v101
	s_delay_alu instid0(VALU_DEP_1) | instskip(SKIP_2) | instid1(VALU_DEP_3)
	v_fmaak_f32 v113, s4, v112, 0x3ecc95a3
	v_mul_f32_e32 v114, v101, v112
	v_cmp_gt_f32_e64 s4, 0x33800000, |v96|
	v_fmaak_f32 v112, v112, v113, 0x3f2aaada
	v_ldexp_f32 v113, v101, 1
	v_sub_f32_e32 v101, v101, v102
	s_delay_alu instid0(VALU_DEP_4) | instskip(NEXT) | instid1(VALU_DEP_1)
	s_or_b32 vcc_lo, vcc_lo, s4
	v_sub_f32_e32 v99, v99, v101
	s_delay_alu instid0(VALU_DEP_1) | instskip(SKIP_1) | instid1(VALU_DEP_1)
	v_ldexp_f32 v99, v99, 1
	v_mul_f32_e32 v112, v114, v112
	v_add_f32_e32 v102, v113, v112
	s_delay_alu instid0(VALU_DEP_1) | instskip(NEXT) | instid1(VALU_DEP_1)
	v_sub_f32_e32 v101, v102, v113
	v_sub_f32_e32 v101, v112, v101
	s_delay_alu instid0(VALU_DEP_1) | instskip(NEXT) | instid1(VALU_DEP_1)
	v_add_f32_e32 v99, v99, v101
	v_add_f32_e32 v112, v102, v99
	v_mul_f32_e32 v114, 0x3f317218, v98
	s_delay_alu instid0(VALU_DEP_1) | instskip(NEXT) | instid1(VALU_DEP_1)
	v_fma_f32 v113, 0x3f317218, v98, -v114
	v_fmamk_f32 v98, v98, 0xb102e308, v113
	s_delay_alu instid0(VALU_DEP_1) | instskip(NEXT) | instid1(VALU_DEP_1)
	v_add_f32_e32 v101, v114, v98
	v_add_f32_e32 v113, v101, v112
	s_delay_alu instid0(VALU_DEP_1) | instskip(NEXT) | instid1(VALU_DEP_1)
	v_sub_f32_e32 v115, v113, v101
	v_sub_f32_e32 v116, v113, v115
	;; [unrolled: 1-line block ×3, first 2 shown]
	s_delay_alu instid0(VALU_DEP_1) | instskip(SKIP_1) | instid1(VALU_DEP_4)
	v_dual_sub_f32 v99, v99, v102 :: v_dual_sub_f32 v102, v112, v115
	v_sub_f32_e32 v114, v101, v114
	v_sub_f32_e32 v101, v101, v116
	s_delay_alu instid0(VALU_DEP_1) | instskip(NEXT) | instid1(VALU_DEP_3)
	v_add_f32_e32 v101, v102, v101
	v_sub_f32_e32 v98, v98, v114
	s_delay_alu instid0(VALU_DEP_1) | instskip(NEXT) | instid1(VALU_DEP_1)
	v_add_f32_e32 v112, v98, v99
	v_add_f32_e32 v101, v112, v101
	v_sub_f32_e32 v102, v112, v98
	s_delay_alu instid0(VALU_DEP_1) | instskip(SKIP_1) | instid1(VALU_DEP_2)
	v_dual_add_f32 v114, v113, v101 :: v_dual_sub_f32 v99, v99, v102
	v_sub_f32_e32 v112, v112, v102
	v_sub_f32_e32 v102, v114, v113
	s_delay_alu instid0(VALU_DEP_2) | instskip(NEXT) | instid1(VALU_DEP_1)
	v_sub_f32_e32 v98, v98, v112
	v_add_f32_e32 v98, v99, v98
	s_delay_alu instid0(VALU_DEP_3) | instskip(NEXT) | instid1(VALU_DEP_1)
	v_sub_f32_e32 v99, v101, v102
	v_add_f32_e32 v98, v98, v99
	s_delay_alu instid0(VALU_DEP_1) | instskip(NEXT) | instid1(VALU_DEP_1)
	v_add_f32_e32 v98, v114, v98
	v_cndmask_b32_e32 v96, v98, v96, vcc_lo
	s_delay_alu instid0(VALU_DEP_1) | instskip(NEXT) | instid1(VALU_DEP_1)
	v_add_f32_e32 v96, v97, v96
	v_cvt_f16_f32_e32 v101, v96
	s_delay_alu instid0(VALU_DEP_1)
	v_cvt_f32_f16_e32 v102, v101
	v_mov_b32_e32 v96, v101
.LBB430_232:
	s_or_b32 exec_lo, exec_lo, s3
	s_delay_alu instid0(VALU_DEP_2) | instskip(SKIP_1) | instid1(VALU_DEP_2)
	v_dual_max_f32 v97, v100, v100 :: v_dual_max_f32 v98, v102, v102
	v_cmp_u_f16_e32 vcc_lo, v101, v101
	v_min_f32_e32 v99, v98, v97
	s_delay_alu instid0(VALU_DEP_1) | instskip(NEXT) | instid1(VALU_DEP_1)
	v_dual_max_f32 v97, v98, v97 :: v_dual_cndmask_b32 v98, v99, v102
	v_cndmask_b32_e32 v97, v97, v102, vcc_lo
	s_delay_alu instid0(VALU_DEP_2) | instskip(NEXT) | instid1(VALU_DEP_2)
	v_cndmask_b32_e64 v99, v98, v100, s23
	v_cndmask_b32_e64 v97, v97, v100, s23
	v_mov_b32_e32 v98, v96
	s_delay_alu instid0(VALU_DEP_3) | instskip(NEXT) | instid1(VALU_DEP_3)
	v_cmp_class_f32_e64 s3, v99, 0x1f8
	v_cmp_neq_f32_e32 vcc_lo, v99, v97
	s_delay_alu instid0(VALU_DEP_2) | instskip(NEXT) | instid1(SALU_CYCLE_1)
	s_or_b32 s4, vcc_lo, s3
	s_and_saveexec_b32 s3, s4
	s_cbranch_execz .LBB430_234
; %bb.233:
	v_sub_f32_e32 v98, v99, v97
	s_mov_b32 s4, 0x3e9b6dac
	s_delay_alu instid0(VALU_DEP_1) | instskip(SKIP_1) | instid1(VALU_DEP_2)
	v_mul_f32_e32 v99, 0x3fb8aa3b, v98
	v_cmp_ngt_f32_e32 vcc_lo, 0xc2ce8ed0, v98
	v_fma_f32 v100, 0x3fb8aa3b, v98, -v99
	v_rndne_f32_e32 v101, v99
	s_delay_alu instid0(VALU_DEP_1) | instskip(NEXT) | instid1(VALU_DEP_1)
	v_dual_fmamk_f32 v100, v98, 0x32a5705f, v100 :: v_dual_sub_f32 v99, v99, v101
	v_add_f32_e32 v99, v99, v100
	v_cvt_i32_f32_e32 v100, v101
	s_delay_alu instid0(VALU_DEP_2) | instskip(SKIP_2) | instid1(VALU_DEP_1)
	v_exp_f32_e32 v99, v99
	s_waitcnt_depctr 0xfff
	v_ldexp_f32 v99, v99, v100
	v_cndmask_b32_e32 v99, 0, v99, vcc_lo
	v_cmp_nlt_f32_e32 vcc_lo, 0x42b17218, v98
	s_delay_alu instid0(VALU_DEP_2) | instskip(NEXT) | instid1(VALU_DEP_1)
	v_cndmask_b32_e32 v100, 0x7f800000, v99, vcc_lo
	v_add_f32_e32 v101, 1.0, v100
	s_delay_alu instid0(VALU_DEP_1) | instskip(NEXT) | instid1(VALU_DEP_1)
	v_cvt_f64_f32_e32 v[98:99], v101
	v_frexp_exp_i32_f64_e32 v98, v[98:99]
	v_frexp_mant_f32_e32 v99, v101
	s_delay_alu instid0(VALU_DEP_1) | instskip(SKIP_1) | instid1(VALU_DEP_1)
	v_cmp_gt_f32_e32 vcc_lo, 0x3f2aaaab, v99
	v_add_f32_e32 v99, -1.0, v101
	v_dual_sub_f32 v112, v99, v101 :: v_dual_sub_f32 v99, v100, v99
	s_delay_alu instid0(VALU_DEP_1) | instskip(SKIP_2) | instid1(VALU_DEP_2)
	v_add_f32_e32 v112, 1.0, v112
	v_subrev_co_ci_u32_e32 v98, vcc_lo, 0, v98, vcc_lo
	v_cmp_eq_f32_e32 vcc_lo, 0x7f800000, v100
	v_sub_nc_u32_e32 v102, 0, v98
	v_cvt_f32_i32_e32 v98, v98
	s_delay_alu instid0(VALU_DEP_2) | instskip(SKIP_1) | instid1(VALU_DEP_2)
	v_ldexp_f32 v101, v101, v102
	v_add_f32_e32 v99, v99, v112
	v_add_f32_e32 v113, 1.0, v101
	s_delay_alu instid0(VALU_DEP_2) | instskip(SKIP_1) | instid1(VALU_DEP_3)
	v_ldexp_f32 v99, v99, v102
	v_add_f32_e32 v102, -1.0, v101
	v_add_f32_e32 v112, -1.0, v113
	s_delay_alu instid0(VALU_DEP_2) | instskip(NEXT) | instid1(VALU_DEP_2)
	v_add_f32_e32 v114, 1.0, v102
	v_sub_f32_e32 v112, v101, v112
	s_delay_alu instid0(VALU_DEP_1) | instskip(NEXT) | instid1(VALU_DEP_1)
	v_dual_sub_f32 v101, v101, v114 :: v_dual_add_f32 v112, v99, v112
	v_dual_add_f32 v99, v99, v101 :: v_dual_add_f32 v114, v113, v112
	s_delay_alu instid0(VALU_DEP_1) | instskip(SKIP_1) | instid1(VALU_DEP_1)
	v_rcp_f32_e32 v101, v114
	v_sub_f32_e32 v113, v113, v114
	v_dual_add_f32 v115, v102, v99 :: v_dual_add_f32 v112, v112, v113
	s_delay_alu instid0(VALU_DEP_1) | instskip(SKIP_3) | instid1(VALU_DEP_2)
	v_sub_f32_e32 v102, v102, v115
	s_waitcnt_depctr 0xfff
	v_mul_f32_e32 v116, v115, v101
	v_add_f32_e32 v99, v99, v102
	v_mul_f32_e32 v117, v114, v116
	s_delay_alu instid0(VALU_DEP_1) | instskip(NEXT) | instid1(VALU_DEP_1)
	v_fma_f32 v113, v116, v114, -v117
	v_fmac_f32_e32 v113, v116, v112
	s_delay_alu instid0(VALU_DEP_1) | instskip(NEXT) | instid1(VALU_DEP_1)
	v_add_f32_e32 v118, v117, v113
	v_sub_f32_e32 v119, v115, v118
	s_delay_alu instid0(VALU_DEP_1) | instskip(NEXT) | instid1(VALU_DEP_1)
	v_dual_sub_f32 v115, v115, v119 :: v_dual_sub_f32 v102, v118, v117
	v_dual_sub_f32 v115, v115, v118 :: v_dual_sub_f32 v102, v102, v113
	s_delay_alu instid0(VALU_DEP_1) | instskip(NEXT) | instid1(VALU_DEP_1)
	v_add_f32_e32 v99, v99, v115
	v_add_f32_e32 v99, v102, v99
	s_delay_alu instid0(VALU_DEP_1) | instskip(NEXT) | instid1(VALU_DEP_1)
	v_add_f32_e32 v102, v119, v99
	v_mul_f32_e32 v113, v101, v102
	s_delay_alu instid0(VALU_DEP_1) | instskip(NEXT) | instid1(VALU_DEP_1)
	v_dual_sub_f32 v118, v119, v102 :: v_dual_mul_f32 v115, v114, v113
	v_add_f32_e32 v99, v99, v118
	s_delay_alu instid0(VALU_DEP_2) | instskip(NEXT) | instid1(VALU_DEP_1)
	v_fma_f32 v114, v113, v114, -v115
	v_fmac_f32_e32 v114, v113, v112
	s_delay_alu instid0(VALU_DEP_1) | instskip(NEXT) | instid1(VALU_DEP_1)
	v_add_f32_e32 v112, v115, v114
	v_sub_f32_e32 v115, v112, v115
	v_sub_f32_e32 v117, v102, v112
	s_delay_alu instid0(VALU_DEP_1) | instskip(NEXT) | instid1(VALU_DEP_1)
	v_sub_f32_e32 v102, v102, v117
	v_sub_f32_e32 v102, v102, v112
	s_delay_alu instid0(VALU_DEP_4) | instskip(NEXT) | instid1(VALU_DEP_2)
	v_sub_f32_e32 v112, v115, v114
	v_dual_add_f32 v99, v99, v102 :: v_dual_add_f32 v102, v116, v113
	s_delay_alu instid0(VALU_DEP_1) | instskip(NEXT) | instid1(VALU_DEP_1)
	v_dual_add_f32 v99, v112, v99 :: v_dual_sub_f32 v112, v102, v116
	v_add_f32_e32 v99, v117, v99
	s_delay_alu instid0(VALU_DEP_2) | instskip(NEXT) | instid1(VALU_DEP_2)
	v_sub_f32_e32 v112, v113, v112
	v_mul_f32_e32 v99, v101, v99
	s_delay_alu instid0(VALU_DEP_1) | instskip(NEXT) | instid1(VALU_DEP_1)
	v_add_f32_e32 v99, v112, v99
	v_add_f32_e32 v101, v102, v99
	s_delay_alu instid0(VALU_DEP_1) | instskip(NEXT) | instid1(VALU_DEP_1)
	v_mul_f32_e32 v112, v101, v101
	v_fmaak_f32 v113, s4, v112, 0x3ecc95a3
	v_mul_f32_e32 v114, v101, v112
	v_cmp_gt_f32_e64 s4, 0x33800000, |v100|
	s_delay_alu instid0(VALU_DEP_3) | instskip(SKIP_2) | instid1(VALU_DEP_4)
	v_fmaak_f32 v112, v112, v113, 0x3f2aaada
	v_ldexp_f32 v113, v101, 1
	v_sub_f32_e32 v101, v101, v102
	s_or_b32 vcc_lo, vcc_lo, s4
	s_delay_alu instid0(VALU_DEP_3) | instskip(NEXT) | instid1(VALU_DEP_2)
	v_mul_f32_e32 v112, v114, v112
	v_dual_mul_f32 v114, 0x3f317218, v98 :: v_dual_sub_f32 v99, v99, v101
	s_delay_alu instid0(VALU_DEP_2) | instskip(NEXT) | instid1(VALU_DEP_2)
	v_add_f32_e32 v102, v113, v112
	v_ldexp_f32 v99, v99, 1
	s_delay_alu instid0(VALU_DEP_2) | instskip(NEXT) | instid1(VALU_DEP_4)
	v_sub_f32_e32 v101, v102, v113
	v_fma_f32 v113, 0x3f317218, v98, -v114
	s_delay_alu instid0(VALU_DEP_1) | instskip(NEXT) | instid1(VALU_DEP_1)
	v_dual_sub_f32 v101, v112, v101 :: v_dual_fmamk_f32 v98, v98, 0xb102e308, v113
	v_add_f32_e32 v99, v99, v101
	s_delay_alu instid0(VALU_DEP_2) | instskip(NEXT) | instid1(VALU_DEP_1)
	v_add_f32_e32 v101, v114, v98
	v_sub_f32_e32 v114, v101, v114
	s_delay_alu instid0(VALU_DEP_3) | instskip(NEXT) | instid1(VALU_DEP_1)
	v_add_f32_e32 v112, v102, v99
	v_dual_sub_f32 v98, v98, v114 :: v_dual_add_f32 v113, v101, v112
	v_sub_f32_e32 v102, v112, v102
	s_delay_alu instid0(VALU_DEP_1) | instskip(NEXT) | instid1(VALU_DEP_3)
	v_sub_f32_e32 v99, v99, v102
	v_sub_f32_e32 v115, v113, v101
	s_delay_alu instid0(VALU_DEP_1) | instskip(NEXT) | instid1(VALU_DEP_3)
	v_sub_f32_e32 v102, v112, v115
	v_add_f32_e32 v112, v98, v99
	v_sub_f32_e32 v116, v113, v115
	s_delay_alu instid0(VALU_DEP_1) | instskip(NEXT) | instid1(VALU_DEP_1)
	v_sub_f32_e32 v101, v101, v116
	v_dual_add_f32 v101, v102, v101 :: v_dual_sub_f32 v102, v112, v98
	s_delay_alu instid0(VALU_DEP_1) | instskip(NEXT) | instid1(VALU_DEP_2)
	v_add_f32_e32 v101, v112, v101
	v_sub_f32_e32 v112, v112, v102
	s_delay_alu instid0(VALU_DEP_1) | instskip(NEXT) | instid1(VALU_DEP_3)
	v_sub_f32_e32 v98, v98, v112
	v_dual_add_f32 v114, v113, v101 :: v_dual_sub_f32 v99, v99, v102
	s_delay_alu instid0(VALU_DEP_1) | instskip(NEXT) | instid1(VALU_DEP_2)
	v_sub_f32_e32 v102, v114, v113
	v_add_f32_e32 v98, v99, v98
	s_delay_alu instid0(VALU_DEP_2) | instskip(NEXT) | instid1(VALU_DEP_1)
	v_sub_f32_e32 v99, v101, v102
	v_add_f32_e32 v98, v98, v99
	s_delay_alu instid0(VALU_DEP_1) | instskip(NEXT) | instid1(VALU_DEP_1)
	v_add_f32_e32 v98, v114, v98
	v_cndmask_b32_e32 v98, v98, v100, vcc_lo
	s_delay_alu instid0(VALU_DEP_1) | instskip(NEXT) | instid1(VALU_DEP_1)
	v_add_f32_e32 v97, v97, v98
	v_cvt_f16_f32_e32 v98, v97
.LBB430_234:
	s_or_b32 exec_lo, exec_lo, s3
	s_branch .LBB430_361
.LBB430_235:
                                        ; implicit-def: $vgpr103
                                        ; implicit-def: $vgpr28
                                        ; implicit-def: $vgpr29
                                        ; implicit-def: $vgpr30
                                        ; implicit-def: $vgpr31
                                        ; implicit-def: $vgpr65
                                        ; implicit-def: $vgpr66
                                        ; implicit-def: $vgpr67
                                        ; implicit-def: $vgpr68
                                        ; implicit-def: $vgpr69
                                        ; implicit-def: $vgpr70
                                        ; implicit-def: $vgpr71
                                        ; implicit-def: $vgpr80
                                        ; implicit-def: $vgpr81
                                        ; implicit-def: $vgpr82
                                        ; implicit-def: $vgpr83
                                        ; implicit-def: $vgpr84
                                        ; implicit-def: $vgpr85
                                        ; implicit-def: $vgpr86
                                        ; implicit-def: $vgpr87
                                        ; implicit-def: $vgpr96
                                        ; implicit-def: $vgpr98
	s_cbranch_execz .LBB430_361
; %bb.236:
	v_cmp_ne_u64_e32 vcc_lo, 0, v[6:7]
	s_and_b32 s4, s2, vcc_lo
	s_delay_alu instid0(SALU_CYCLE_1)
	s_and_saveexec_b32 s3, s4
	s_cbranch_execz .LBB430_240
; %bb.237:
	flat_load_u16 v3, v[2:3]
	v_cvt_f32_f16_e32 v2, v12
	s_waitcnt vmcnt(0) lgkmcnt(0)
	v_cvt_f32_f16_e32 v6, v3
	v_cmp_u_f16_e32 vcc_lo, v3, v3
	s_delay_alu instid0(VALU_DEP_2) | instskip(SKIP_1) | instid1(VALU_DEP_2)
	v_min_f32_e32 v7, v6, v2
	v_max_f32_e32 v28, v6, v2
	v_cndmask_b32_e32 v7, v7, v6, vcc_lo
	s_delay_alu instid0(VALU_DEP_2) | instskip(SKIP_1) | instid1(VALU_DEP_3)
	v_cndmask_b32_e32 v28, v28, v6, vcc_lo
	v_cmp_u_f16_e32 vcc_lo, v12, v12
	v_cndmask_b32_e32 v6, v7, v2, vcc_lo
	s_delay_alu instid0(VALU_DEP_3) | instskip(NEXT) | instid1(VALU_DEP_2)
	v_cndmask_b32_e32 v2, v28, v2, vcc_lo
	v_cmp_class_f32_e64 s4, v6, 0x1f8
	s_delay_alu instid0(VALU_DEP_2) | instskip(NEXT) | instid1(VALU_DEP_2)
	v_cmp_neq_f32_e32 vcc_lo, v6, v2
	s_or_b32 s5, vcc_lo, s4
	s_delay_alu instid0(SALU_CYCLE_1)
	s_and_saveexec_b32 s4, s5
	s_cbranch_execz .LBB430_239
; %bb.238:
	v_sub_f32_e32 v3, v6, v2
	s_mov_b32 s5, 0x3e9b6dac
	s_delay_alu instid0(VALU_DEP_1) | instskip(SKIP_1) | instid1(VALU_DEP_2)
	v_mul_f32_e32 v6, 0x3fb8aa3b, v3
	v_cmp_ngt_f32_e32 vcc_lo, 0xc2ce8ed0, v3
	v_fma_f32 v7, 0x3fb8aa3b, v3, -v6
	v_rndne_f32_e32 v12, v6
	s_delay_alu instid0(VALU_DEP_1) | instskip(NEXT) | instid1(VALU_DEP_1)
	v_dual_fmamk_f32 v7, v3, 0x32a5705f, v7 :: v_dual_sub_f32 v6, v6, v12
	v_add_f32_e32 v6, v6, v7
	v_cvt_i32_f32_e32 v7, v12
	s_delay_alu instid0(VALU_DEP_2) | instskip(SKIP_2) | instid1(VALU_DEP_1)
	v_exp_f32_e32 v6, v6
	s_waitcnt_depctr 0xfff
	v_ldexp_f32 v6, v6, v7
	v_cndmask_b32_e32 v6, 0, v6, vcc_lo
	v_cmp_nlt_f32_e32 vcc_lo, 0x42b17218, v3
	s_delay_alu instid0(VALU_DEP_2) | instskip(NEXT) | instid1(VALU_DEP_1)
	v_cndmask_b32_e32 v3, 0x7f800000, v6, vcc_lo
	v_add_f32_e32 v12, 1.0, v3
	s_delay_alu instid0(VALU_DEP_1) | instskip(NEXT) | instid1(VALU_DEP_1)
	v_cvt_f64_f32_e32 v[6:7], v12
	v_frexp_exp_i32_f64_e32 v6, v[6:7]
	v_frexp_mant_f32_e32 v7, v12
	s_delay_alu instid0(VALU_DEP_1) | instskip(SKIP_1) | instid1(VALU_DEP_1)
	v_cmp_gt_f32_e32 vcc_lo, 0x3f2aaaab, v7
	v_add_f32_e32 v7, -1.0, v12
	v_sub_f32_e32 v29, v7, v12
	v_sub_f32_e32 v7, v3, v7
	s_delay_alu instid0(VALU_DEP_2) | instskip(SKIP_1) | instid1(VALU_DEP_1)
	v_add_f32_e32 v29, 1.0, v29
	v_subrev_co_ci_u32_e32 v6, vcc_lo, 0, v6, vcc_lo
	v_sub_nc_u32_e32 v28, 0, v6
	v_cvt_f32_i32_e32 v6, v6
	s_delay_alu instid0(VALU_DEP_2) | instskip(NEXT) | instid1(VALU_DEP_1)
	v_ldexp_f32 v12, v12, v28
	v_dual_add_f32 v7, v7, v29 :: v_dual_add_f32 v30, 1.0, v12
	s_delay_alu instid0(VALU_DEP_1) | instskip(SKIP_2) | instid1(VALU_DEP_4)
	v_ldexp_f32 v7, v7, v28
	v_add_f32_e32 v28, -1.0, v12
	v_cmp_eq_f32_e32 vcc_lo, 0x7f800000, v3
	v_add_f32_e32 v29, -1.0, v30
	s_delay_alu instid0(VALU_DEP_3) | instskip(NEXT) | instid1(VALU_DEP_2)
	v_add_f32_e32 v31, 1.0, v28
	v_sub_f32_e32 v29, v12, v29
	s_delay_alu instid0(VALU_DEP_1) | instskip(NEXT) | instid1(VALU_DEP_1)
	v_dual_sub_f32 v12, v12, v31 :: v_dual_add_f32 v29, v7, v29
	v_add_f32_e32 v7, v7, v12
	s_delay_alu instid0(VALU_DEP_2) | instskip(NEXT) | instid1(VALU_DEP_2)
	v_add_f32_e32 v31, v30, v29
	v_add_f32_e32 v65, v28, v7
	s_delay_alu instid0(VALU_DEP_2) | instskip(SKIP_1) | instid1(VALU_DEP_1)
	v_rcp_f32_e32 v12, v31
	v_sub_f32_e32 v30, v30, v31
	v_dual_sub_f32 v28, v28, v65 :: v_dual_add_f32 v29, v29, v30
	s_delay_alu instid0(VALU_DEP_1) | instskip(SKIP_2) | instid1(VALU_DEP_1)
	v_add_f32_e32 v7, v7, v28
	s_waitcnt_depctr 0xfff
	v_mul_f32_e32 v66, v65, v12
	v_mul_f32_e32 v67, v31, v66
	s_delay_alu instid0(VALU_DEP_1) | instskip(NEXT) | instid1(VALU_DEP_1)
	v_fma_f32 v30, v66, v31, -v67
	v_fmac_f32_e32 v30, v66, v29
	s_delay_alu instid0(VALU_DEP_1) | instskip(NEXT) | instid1(VALU_DEP_1)
	v_add_f32_e32 v68, v67, v30
	v_dual_sub_f32 v28, v68, v67 :: v_dual_sub_f32 v69, v65, v68
	s_delay_alu instid0(VALU_DEP_1) | instskip(NEXT) | instid1(VALU_DEP_1)
	v_dual_sub_f32 v28, v28, v30 :: v_dual_sub_f32 v65, v65, v69
	v_sub_f32_e32 v65, v65, v68
	s_delay_alu instid0(VALU_DEP_1) | instskip(NEXT) | instid1(VALU_DEP_1)
	v_add_f32_e32 v7, v7, v65
	v_add_f32_e32 v7, v28, v7
	s_delay_alu instid0(VALU_DEP_1) | instskip(NEXT) | instid1(VALU_DEP_1)
	v_add_f32_e32 v28, v69, v7
	v_mul_f32_e32 v30, v12, v28
	s_delay_alu instid0(VALU_DEP_1) | instskip(NEXT) | instid1(VALU_DEP_1)
	v_dual_sub_f32 v68, v69, v28 :: v_dual_mul_f32 v65, v31, v30
	v_add_f32_e32 v7, v7, v68
	s_delay_alu instid0(VALU_DEP_2) | instskip(NEXT) | instid1(VALU_DEP_1)
	v_fma_f32 v31, v30, v31, -v65
	v_fmac_f32_e32 v31, v30, v29
	s_delay_alu instid0(VALU_DEP_1) | instskip(NEXT) | instid1(VALU_DEP_1)
	v_add_f32_e32 v29, v65, v31
	v_sub_f32_e32 v67, v28, v29
	s_delay_alu instid0(VALU_DEP_1) | instskip(NEXT) | instid1(VALU_DEP_1)
	v_dual_sub_f32 v65, v29, v65 :: v_dual_sub_f32 v28, v28, v67
	v_dual_sub_f32 v28, v28, v29 :: v_dual_sub_f32 v29, v65, v31
	s_delay_alu instid0(VALU_DEP_1) | instskip(NEXT) | instid1(VALU_DEP_1)
	v_dual_add_f32 v7, v7, v28 :: v_dual_add_f32 v28, v66, v30
	v_add_f32_e32 v7, v29, v7
	s_delay_alu instid0(VALU_DEP_2) | instskip(NEXT) | instid1(VALU_DEP_2)
	v_sub_f32_e32 v29, v28, v66
	v_add_f32_e32 v7, v67, v7
	s_delay_alu instid0(VALU_DEP_2) | instskip(NEXT) | instid1(VALU_DEP_2)
	v_sub_f32_e32 v29, v30, v29
	v_mul_f32_e32 v7, v12, v7
	s_delay_alu instid0(VALU_DEP_1) | instskip(NEXT) | instid1(VALU_DEP_1)
	v_add_f32_e32 v7, v29, v7
	v_add_f32_e32 v12, v28, v7
	s_delay_alu instid0(VALU_DEP_1) | instskip(NEXT) | instid1(VALU_DEP_1)
	v_mul_f32_e32 v29, v12, v12
	v_fmaak_f32 v30, s5, v29, 0x3ecc95a3
	v_mul_f32_e32 v31, v12, v29
	v_cmp_gt_f32_e64 s5, 0x33800000, |v3|
	s_delay_alu instid0(VALU_DEP_3) | instskip(SKIP_2) | instid1(VALU_DEP_4)
	v_fmaak_f32 v29, v29, v30, 0x3f2aaada
	v_ldexp_f32 v30, v12, 1
	v_sub_f32_e32 v12, v12, v28
	s_or_b32 vcc_lo, vcc_lo, s5
	s_delay_alu instid0(VALU_DEP_3) | instskip(SKIP_1) | instid1(VALU_DEP_2)
	v_mul_f32_e32 v29, v31, v29
	v_mul_f32_e32 v31, 0x3f317218, v6
	v_dual_sub_f32 v7, v7, v12 :: v_dual_add_f32 v28, v30, v29
	s_delay_alu instid0(VALU_DEP_1) | instskip(NEXT) | instid1(VALU_DEP_2)
	v_ldexp_f32 v7, v7, 1
	v_sub_f32_e32 v12, v28, v30
	s_delay_alu instid0(VALU_DEP_4) | instskip(NEXT) | instid1(VALU_DEP_2)
	v_fma_f32 v30, 0x3f317218, v6, -v31
	v_sub_f32_e32 v12, v29, v12
	s_delay_alu instid0(VALU_DEP_1) | instskip(NEXT) | instid1(VALU_DEP_1)
	v_dual_fmamk_f32 v6, v6, 0xb102e308, v30 :: v_dual_add_f32 v7, v7, v12
	v_dual_add_f32 v12, v31, v6 :: v_dual_add_f32 v29, v28, v7
	s_delay_alu instid0(VALU_DEP_1) | instskip(NEXT) | instid1(VALU_DEP_2)
	v_sub_f32_e32 v31, v12, v31
	v_add_f32_e32 v30, v12, v29
	v_sub_f32_e32 v28, v29, v28
	s_delay_alu instid0(VALU_DEP_3) | instskip(NEXT) | instid1(VALU_DEP_3)
	v_sub_f32_e32 v6, v6, v31
	v_sub_f32_e32 v65, v30, v12
	s_delay_alu instid0(VALU_DEP_1) | instskip(NEXT) | instid1(VALU_DEP_1)
	v_dual_sub_f32 v7, v7, v28 :: v_dual_sub_f32 v66, v30, v65
	v_dual_sub_f32 v28, v29, v65 :: v_dual_add_f32 v29, v6, v7
	s_delay_alu instid0(VALU_DEP_2) | instskip(NEXT) | instid1(VALU_DEP_1)
	v_sub_f32_e32 v12, v12, v66
	v_add_f32_e32 v12, v28, v12
	s_delay_alu instid0(VALU_DEP_3) | instskip(NEXT) | instid1(VALU_DEP_2)
	v_sub_f32_e32 v28, v29, v6
	v_add_f32_e32 v12, v29, v12
	s_delay_alu instid0(VALU_DEP_2) | instskip(SKIP_1) | instid1(VALU_DEP_3)
	v_sub_f32_e32 v29, v29, v28
	v_sub_f32_e32 v7, v7, v28
	v_add_f32_e32 v31, v30, v12
	s_delay_alu instid0(VALU_DEP_3) | instskip(NEXT) | instid1(VALU_DEP_2)
	v_sub_f32_e32 v6, v6, v29
	v_sub_f32_e32 v28, v31, v30
	s_delay_alu instid0(VALU_DEP_1) | instskip(NEXT) | instid1(VALU_DEP_1)
	v_dual_add_f32 v6, v7, v6 :: v_dual_sub_f32 v7, v12, v28
	v_add_f32_e32 v6, v6, v7
	s_delay_alu instid0(VALU_DEP_1) | instskip(NEXT) | instid1(VALU_DEP_1)
	v_add_f32_e32 v6, v31, v6
	v_cndmask_b32_e32 v3, v6, v3, vcc_lo
	s_delay_alu instid0(VALU_DEP_1) | instskip(NEXT) | instid1(VALU_DEP_1)
	v_add_f32_e32 v2, v2, v3
	v_cvt_f16_f32_e32 v3, v2
.LBB430_239:
	s_or_b32 exec_lo, exec_lo, s4
	s_delay_alu instid0(VALU_DEP_1)
	v_mov_b32_e32 v12, v3
.LBB430_240:
	s_or_b32 exec_lo, exec_lo, s3
	s_delay_alu instid0(VALU_DEP_1)
	v_cvt_f32_f16_e32 v2, v12
	v_cmp_u_f16_e64 s23, v12, v12
	v_cmp_u_f16_e32 vcc_lo, v64, v64
	v_mov_b32_e32 v31, v12
	v_mov_b32_e32 v30, v12
	v_min_f32_e32 v28, v2, v36
	v_max_f32_e32 v29, v2, v36
	v_mov_b32_e32 v64, v2
	s_delay_alu instid0(VALU_DEP_3) | instskip(NEXT) | instid1(VALU_DEP_3)
	v_cndmask_b32_e64 v3, v28, v2, s23
	v_cndmask_b32_e64 v7, v29, v2, s23
	s_delay_alu instid0(VALU_DEP_2) | instskip(NEXT) | instid1(VALU_DEP_2)
	v_cndmask_b32_e32 v6, v3, v36, vcc_lo
	v_cndmask_b32_e32 v3, v7, v36, vcc_lo
	s_delay_alu instid0(VALU_DEP_2) | instskip(NEXT) | instid1(VALU_DEP_2)
	v_cmp_class_f32_e64 s4, v6, 0x1f8
	v_cmp_neq_f32_e64 s3, v6, v3
	s_delay_alu instid0(VALU_DEP_1) | instskip(NEXT) | instid1(SALU_CYCLE_1)
	s_or_b32 s3, s3, s4
	s_and_saveexec_b32 s4, s3
	s_cbranch_execz .LBB430_242
; %bb.241:
	v_sub_f32_e32 v6, v6, v3
	s_delay_alu instid0(VALU_DEP_1) | instskip(NEXT) | instid1(VALU_DEP_1)
	v_mul_f32_e32 v7, 0x3fb8aa3b, v6
	v_fma_f32 v30, 0x3fb8aa3b, v6, -v7
	v_rndne_f32_e32 v31, v7
	s_delay_alu instid0(VALU_DEP_1) | instskip(NEXT) | instid1(VALU_DEP_1)
	v_dual_fmamk_f32 v30, v6, 0x32a5705f, v30 :: v_dual_sub_f32 v7, v7, v31
	v_add_f32_e32 v7, v7, v30
	v_cvt_i32_f32_e32 v30, v31
	v_cmp_ngt_f32_e64 s3, 0xc2ce8ed0, v6
	s_delay_alu instid0(VALU_DEP_3) | instskip(SKIP_2) | instid1(VALU_DEP_1)
	v_exp_f32_e32 v7, v7
	s_waitcnt_depctr 0xfff
	v_ldexp_f32 v7, v7, v30
	v_cndmask_b32_e64 v7, 0, v7, s3
	v_cmp_nlt_f32_e64 s3, 0x42b17218, v6
	s_delay_alu instid0(VALU_DEP_1) | instskip(NEXT) | instid1(VALU_DEP_1)
	v_cndmask_b32_e64 v30, 0x7f800000, v7, s3
	v_add_f32_e32 v31, 1.0, v30
	v_cmp_gt_f32_e64 s5, 0x33800000, |v30|
	s_delay_alu instid0(VALU_DEP_2) | instskip(NEXT) | instid1(VALU_DEP_1)
	v_cvt_f64_f32_e32 v[6:7], v31
	v_frexp_exp_i32_f64_e32 v6, v[6:7]
	v_frexp_mant_f32_e32 v7, v31
	s_delay_alu instid0(VALU_DEP_1) | instskip(SKIP_1) | instid1(VALU_DEP_1)
	v_cmp_gt_f32_e64 s3, 0x3f2aaaab, v7
	v_add_f32_e32 v7, -1.0, v31
	v_sub_f32_e32 v65, v7, v31
	v_sub_f32_e32 v7, v30, v7
	s_delay_alu instid0(VALU_DEP_4) | instskip(SKIP_1) | instid1(VALU_DEP_1)
	v_subrev_co_ci_u32_e64 v6, s3, 0, v6, s3
	s_mov_b32 s3, 0x3e9b6dac
	v_sub_nc_u32_e32 v64, 0, v6
	v_cvt_f32_i32_e32 v6, v6
	s_delay_alu instid0(VALU_DEP_2) | instskip(NEXT) | instid1(VALU_DEP_1)
	v_ldexp_f32 v31, v31, v64
	v_dual_add_f32 v65, 1.0, v65 :: v_dual_add_f32 v66, 1.0, v31
	s_delay_alu instid0(VALU_DEP_1) | instskip(NEXT) | instid1(VALU_DEP_2)
	v_add_f32_e32 v7, v7, v65
	v_add_f32_e32 v65, -1.0, v66
	s_delay_alu instid0(VALU_DEP_2) | instskip(NEXT) | instid1(VALU_DEP_2)
	v_ldexp_f32 v7, v7, v64
	v_dual_add_f32 v64, -1.0, v31 :: v_dual_sub_f32 v65, v31, v65
	s_delay_alu instid0(VALU_DEP_1) | instskip(NEXT) | instid1(VALU_DEP_2)
	v_add_f32_e32 v67, 1.0, v64
	v_add_f32_e32 v65, v7, v65
	s_delay_alu instid0(VALU_DEP_2) | instskip(NEXT) | instid1(VALU_DEP_2)
	v_sub_f32_e32 v31, v31, v67
	v_add_f32_e32 v67, v66, v65
	s_delay_alu instid0(VALU_DEP_2) | instskip(NEXT) | instid1(VALU_DEP_2)
	v_add_f32_e32 v7, v7, v31
	v_rcp_f32_e32 v31, v67
	v_sub_f32_e32 v66, v66, v67
	s_delay_alu instid0(VALU_DEP_1) | instskip(NEXT) | instid1(VALU_DEP_1)
	v_dual_add_f32 v68, v64, v7 :: v_dual_add_f32 v65, v65, v66
	v_sub_f32_e32 v64, v64, v68
	s_waitcnt_depctr 0xfff
	v_mul_f32_e32 v69, v68, v31
	v_add_f32_e32 v7, v7, v64
	s_delay_alu instid0(VALU_DEP_2) | instskip(NEXT) | instid1(VALU_DEP_1)
	v_mul_f32_e32 v70, v67, v69
	v_fma_f32 v66, v69, v67, -v70
	s_delay_alu instid0(VALU_DEP_1) | instskip(NEXT) | instid1(VALU_DEP_1)
	v_fmac_f32_e32 v66, v69, v65
	v_add_f32_e32 v71, v70, v66
	s_delay_alu instid0(VALU_DEP_1) | instskip(SKIP_1) | instid1(VALU_DEP_2)
	v_sub_f32_e32 v80, v68, v71
	v_sub_f32_e32 v64, v71, v70
	;; [unrolled: 1-line block ×3, first 2 shown]
	s_delay_alu instid0(VALU_DEP_2) | instskip(NEXT) | instid1(VALU_DEP_2)
	v_sub_f32_e32 v64, v64, v66
	v_sub_f32_e32 v68, v68, v71
	s_delay_alu instid0(VALU_DEP_1) | instskip(NEXT) | instid1(VALU_DEP_1)
	v_add_f32_e32 v7, v7, v68
	v_add_f32_e32 v7, v64, v7
	s_delay_alu instid0(VALU_DEP_1) | instskip(NEXT) | instid1(VALU_DEP_1)
	v_add_f32_e32 v64, v80, v7
	v_mul_f32_e32 v66, v31, v64
	s_delay_alu instid0(VALU_DEP_1) | instskip(NEXT) | instid1(VALU_DEP_1)
	v_dual_sub_f32 v71, v80, v64 :: v_dual_mul_f32 v68, v67, v66
	v_add_f32_e32 v7, v7, v71
	s_delay_alu instid0(VALU_DEP_2) | instskip(NEXT) | instid1(VALU_DEP_1)
	v_fma_f32 v67, v66, v67, -v68
	v_fmac_f32_e32 v67, v66, v65
	s_delay_alu instid0(VALU_DEP_1) | instskip(NEXT) | instid1(VALU_DEP_1)
	v_add_f32_e32 v65, v68, v67
	v_sub_f32_e32 v70, v64, v65
	v_sub_f32_e32 v68, v65, v68
	s_delay_alu instid0(VALU_DEP_2) | instskip(NEXT) | instid1(VALU_DEP_1)
	v_sub_f32_e32 v64, v64, v70
	v_sub_f32_e32 v64, v64, v65
	s_delay_alu instid0(VALU_DEP_1) | instskip(NEXT) | instid1(VALU_DEP_4)
	v_dual_add_f32 v7, v7, v64 :: v_dual_add_f32 v64, v69, v66
	v_sub_f32_e32 v65, v68, v67
	s_delay_alu instid0(VALU_DEP_1) | instskip(NEXT) | instid1(VALU_DEP_3)
	v_add_f32_e32 v7, v65, v7
	v_sub_f32_e32 v65, v64, v69
	s_delay_alu instid0(VALU_DEP_2) | instskip(NEXT) | instid1(VALU_DEP_2)
	v_add_f32_e32 v7, v70, v7
	v_sub_f32_e32 v65, v66, v65
	s_delay_alu instid0(VALU_DEP_2) | instskip(NEXT) | instid1(VALU_DEP_1)
	v_mul_f32_e32 v7, v31, v7
	v_add_f32_e32 v7, v65, v7
	s_delay_alu instid0(VALU_DEP_1) | instskip(NEXT) | instid1(VALU_DEP_1)
	v_add_f32_e32 v31, v64, v7
	v_mul_f32_e32 v65, v31, v31
	s_delay_alu instid0(VALU_DEP_1) | instskip(SKIP_2) | instid1(VALU_DEP_3)
	v_fmaak_f32 v66, s3, v65, 0x3ecc95a3
	v_mul_f32_e32 v67, v31, v65
	v_cmp_eq_f32_e64 s3, 0x7f800000, v30
	v_fmaak_f32 v65, v65, v66, 0x3f2aaada
	v_ldexp_f32 v66, v31, 1
	v_sub_f32_e32 v31, v31, v64
	s_delay_alu instid0(VALU_DEP_4) | instskip(NEXT) | instid1(VALU_DEP_3)
	s_or_b32 s3, s3, s5
	v_mul_f32_e32 v65, v67, v65
	v_mul_f32_e32 v67, 0x3f317218, v6
	s_delay_alu instid0(VALU_DEP_2) | instskip(NEXT) | instid1(VALU_DEP_1)
	v_dual_sub_f32 v7, v7, v31 :: v_dual_add_f32 v64, v66, v65
	v_ldexp_f32 v7, v7, 1
	s_delay_alu instid0(VALU_DEP_2) | instskip(NEXT) | instid1(VALU_DEP_4)
	v_sub_f32_e32 v31, v64, v66
	v_fma_f32 v66, 0x3f317218, v6, -v67
	s_delay_alu instid0(VALU_DEP_1) | instskip(NEXT) | instid1(VALU_DEP_1)
	v_dual_sub_f32 v31, v65, v31 :: v_dual_fmamk_f32 v6, v6, 0xb102e308, v66
	v_add_f32_e32 v7, v7, v31
	s_delay_alu instid0(VALU_DEP_2) | instskip(NEXT) | instid1(VALU_DEP_2)
	v_add_f32_e32 v31, v67, v6
	v_add_f32_e32 v65, v64, v7
	s_delay_alu instid0(VALU_DEP_2) | instskip(NEXT) | instid1(VALU_DEP_2)
	v_sub_f32_e32 v67, v31, v67
	v_add_f32_e32 v66, v31, v65
	v_sub_f32_e32 v64, v65, v64
	s_delay_alu instid0(VALU_DEP_3) | instskip(NEXT) | instid1(VALU_DEP_2)
	v_sub_f32_e32 v6, v6, v67
	v_dual_sub_f32 v68, v66, v31 :: v_dual_sub_f32 v7, v7, v64
	s_delay_alu instid0(VALU_DEP_1) | instskip(NEXT) | instid1(VALU_DEP_2)
	v_sub_f32_e32 v69, v66, v68
	v_dual_sub_f32 v64, v65, v68 :: v_dual_add_f32 v65, v6, v7
	s_delay_alu instid0(VALU_DEP_2) | instskip(NEXT) | instid1(VALU_DEP_1)
	v_sub_f32_e32 v31, v31, v69
	v_dual_add_f32 v31, v64, v31 :: v_dual_sub_f32 v64, v65, v6
	s_delay_alu instid0(VALU_DEP_1) | instskip(NEXT) | instid1(VALU_DEP_2)
	v_add_f32_e32 v31, v65, v31
	v_sub_f32_e32 v65, v65, v64
	v_sub_f32_e32 v7, v7, v64
	s_delay_alu instid0(VALU_DEP_3) | instskip(NEXT) | instid1(VALU_DEP_3)
	v_add_f32_e32 v67, v66, v31
	v_sub_f32_e32 v6, v6, v65
	s_delay_alu instid0(VALU_DEP_2) | instskip(NEXT) | instid1(VALU_DEP_2)
	v_sub_f32_e32 v64, v67, v66
	v_add_f32_e32 v6, v7, v6
	s_delay_alu instid0(VALU_DEP_2) | instskip(NEXT) | instid1(VALU_DEP_1)
	v_sub_f32_e32 v7, v31, v64
	v_add_f32_e32 v6, v6, v7
	s_delay_alu instid0(VALU_DEP_1) | instskip(NEXT) | instid1(VALU_DEP_1)
	v_add_f32_e32 v6, v67, v6
	v_cndmask_b32_e64 v6, v6, v30, s3
	s_delay_alu instid0(VALU_DEP_1) | instskip(NEXT) | instid1(VALU_DEP_1)
	v_add_f32_e32 v3, v3, v6
	v_cvt_f16_f32_e32 v31, v3
	s_delay_alu instid0(VALU_DEP_1)
	v_mov_b32_e32 v30, v31
	v_cvt_f32_f16_e32 v64, v31
.LBB430_242:
	s_or_b32 exec_lo, exec_lo, s4
	v_cvt_f32_f16_e32 v3, v13
	s_delay_alu instid0(VALU_DEP_2) | instskip(SKIP_1) | instid1(VALU_DEP_2)
	v_max_f32_e32 v6, v64, v64
	v_cmp_u_f16_e64 s3, v31, v31
	v_min_f32_e32 v7, v6, v3
	v_max_f32_e32 v6, v6, v3
	s_delay_alu instid0(VALU_DEP_2) | instskip(NEXT) | instid1(VALU_DEP_2)
	v_cndmask_b32_e64 v7, v7, v64, s3
	v_cndmask_b32_e64 v6, v6, v64, s3
	v_cmp_u_f16_e64 s3, v13, v13
	s_delay_alu instid0(VALU_DEP_1) | instskip(NEXT) | instid1(VALU_DEP_3)
	v_cndmask_b32_e64 v7, v7, v3, s3
	v_cndmask_b32_e64 v6, v6, v3, s3
	s_delay_alu instid0(VALU_DEP_2) | instskip(NEXT) | instid1(VALU_DEP_2)
	v_cmp_class_f32_e64 s5, v7, 0x1f8
	v_cmp_neq_f32_e64 s4, v7, v6
	s_delay_alu instid0(VALU_DEP_1) | instskip(NEXT) | instid1(SALU_CYCLE_1)
	s_or_b32 s4, s4, s5
	s_and_saveexec_b32 s5, s4
	s_cbranch_execz .LBB430_244
; %bb.243:
	v_sub_f32_e32 v7, v7, v6
	s_delay_alu instid0(VALU_DEP_1) | instskip(SKIP_1) | instid1(VALU_DEP_2)
	v_mul_f32_e32 v13, 0x3fb8aa3b, v7
	v_cmp_ngt_f32_e64 s4, 0xc2ce8ed0, v7
	v_fma_f32 v30, 0x3fb8aa3b, v7, -v13
	v_rndne_f32_e32 v31, v13
	s_delay_alu instid0(VALU_DEP_1) | instskip(NEXT) | instid1(VALU_DEP_1)
	v_dual_fmamk_f32 v30, v7, 0x32a5705f, v30 :: v_dual_sub_f32 v13, v13, v31
	v_add_f32_e32 v13, v13, v30
	v_cvt_i32_f32_e32 v30, v31
	s_delay_alu instid0(VALU_DEP_2) | instskip(SKIP_2) | instid1(VALU_DEP_1)
	v_exp_f32_e32 v13, v13
	s_waitcnt_depctr 0xfff
	v_ldexp_f32 v13, v13, v30
	v_cndmask_b32_e64 v13, 0, v13, s4
	v_cmp_nlt_f32_e64 s4, 0x42b17218, v7
	s_delay_alu instid0(VALU_DEP_1) | instskip(NEXT) | instid1(VALU_DEP_1)
	v_cndmask_b32_e64 v7, 0x7f800000, v13, s4
	v_add_f32_e32 v13, 1.0, v7
	v_cmp_gt_f32_e64 s6, 0x33800000, |v7|
	s_delay_alu instid0(VALU_DEP_2) | instskip(NEXT) | instid1(VALU_DEP_1)
	v_cvt_f64_f32_e32 v[30:31], v13
	v_frexp_exp_i32_f64_e32 v30, v[30:31]
	v_frexp_mant_f32_e32 v31, v13
	s_delay_alu instid0(VALU_DEP_1) | instskip(SKIP_1) | instid1(VALU_DEP_1)
	v_cmp_gt_f32_e64 s4, 0x3f2aaaab, v31
	v_add_f32_e32 v31, -1.0, v13
	v_sub_f32_e32 v65, v31, v13
	s_delay_alu instid0(VALU_DEP_1) | instskip(NEXT) | instid1(VALU_DEP_4)
	v_add_f32_e32 v65, 1.0, v65
	v_subrev_co_ci_u32_e64 v30, s4, 0, v30, s4
	s_mov_b32 s4, 0x3e9b6dac
	s_delay_alu instid0(VALU_DEP_1) | instskip(SKIP_1) | instid1(VALU_DEP_2)
	v_sub_nc_u32_e32 v64, 0, v30
	v_cvt_f32_i32_e32 v30, v30
	v_ldexp_f32 v13, v13, v64
	s_delay_alu instid0(VALU_DEP_1) | instskip(NEXT) | instid1(VALU_DEP_1)
	v_dual_sub_f32 v31, v7, v31 :: v_dual_add_f32 v66, 1.0, v13
	v_add_f32_e32 v31, v31, v65
	s_delay_alu instid0(VALU_DEP_1) | instskip(NEXT) | instid1(VALU_DEP_3)
	v_ldexp_f32 v31, v31, v64
	v_dual_add_f32 v64, -1.0, v13 :: v_dual_add_f32 v65, -1.0, v66
	s_delay_alu instid0(VALU_DEP_1) | instskip(NEXT) | instid1(VALU_DEP_2)
	v_add_f32_e32 v67, 1.0, v64
	v_sub_f32_e32 v65, v13, v65
	s_delay_alu instid0(VALU_DEP_2) | instskip(NEXT) | instid1(VALU_DEP_2)
	v_sub_f32_e32 v13, v13, v67
	v_add_f32_e32 v65, v31, v65
	s_delay_alu instid0(VALU_DEP_2) | instskip(NEXT) | instid1(VALU_DEP_2)
	v_add_f32_e32 v13, v31, v13
	v_add_f32_e32 v67, v66, v65
	s_delay_alu instid0(VALU_DEP_2) | instskip(NEXT) | instid1(VALU_DEP_2)
	v_add_f32_e32 v68, v64, v13
	v_rcp_f32_e32 v31, v67
	v_sub_f32_e32 v66, v66, v67
	s_delay_alu instid0(VALU_DEP_1) | instskip(NEXT) | instid1(VALU_DEP_1)
	v_dual_sub_f32 v64, v64, v68 :: v_dual_add_f32 v65, v65, v66
	v_add_f32_e32 v13, v13, v64
	s_waitcnt_depctr 0xfff
	v_mul_f32_e32 v69, v68, v31
	s_delay_alu instid0(VALU_DEP_1) | instskip(NEXT) | instid1(VALU_DEP_1)
	v_mul_f32_e32 v70, v67, v69
	v_fma_f32 v66, v69, v67, -v70
	s_delay_alu instid0(VALU_DEP_1) | instskip(NEXT) | instid1(VALU_DEP_1)
	v_fmac_f32_e32 v66, v69, v65
	v_add_f32_e32 v71, v70, v66
	s_delay_alu instid0(VALU_DEP_1) | instskip(SKIP_1) | instid1(VALU_DEP_2)
	v_sub_f32_e32 v80, v68, v71
	v_sub_f32_e32 v64, v71, v70
	;; [unrolled: 1-line block ×3, first 2 shown]
	s_delay_alu instid0(VALU_DEP_2) | instskip(NEXT) | instid1(VALU_DEP_2)
	v_sub_f32_e32 v64, v64, v66
	v_sub_f32_e32 v68, v68, v71
	s_delay_alu instid0(VALU_DEP_1) | instskip(NEXT) | instid1(VALU_DEP_1)
	v_add_f32_e32 v13, v13, v68
	v_add_f32_e32 v13, v64, v13
	s_delay_alu instid0(VALU_DEP_1) | instskip(NEXT) | instid1(VALU_DEP_1)
	v_add_f32_e32 v64, v80, v13
	v_mul_f32_e32 v66, v31, v64
	s_delay_alu instid0(VALU_DEP_1) | instskip(NEXT) | instid1(VALU_DEP_1)
	v_dual_sub_f32 v71, v80, v64 :: v_dual_mul_f32 v68, v67, v66
	v_add_f32_e32 v13, v13, v71
	s_delay_alu instid0(VALU_DEP_2) | instskip(NEXT) | instid1(VALU_DEP_1)
	v_fma_f32 v67, v66, v67, -v68
	v_fmac_f32_e32 v67, v66, v65
	s_delay_alu instid0(VALU_DEP_1) | instskip(NEXT) | instid1(VALU_DEP_1)
	v_add_f32_e32 v65, v68, v67
	v_sub_f32_e32 v70, v64, v65
	v_sub_f32_e32 v68, v65, v68
	s_delay_alu instid0(VALU_DEP_2) | instskip(NEXT) | instid1(VALU_DEP_1)
	v_sub_f32_e32 v64, v64, v70
	v_sub_f32_e32 v64, v64, v65
	s_delay_alu instid0(VALU_DEP_3) | instskip(NEXT) | instid1(VALU_DEP_2)
	v_sub_f32_e32 v65, v68, v67
	v_add_f32_e32 v13, v13, v64
	v_add_f32_e32 v64, v69, v66
	s_delay_alu instid0(VALU_DEP_2) | instskip(NEXT) | instid1(VALU_DEP_2)
	v_add_f32_e32 v13, v65, v13
	v_sub_f32_e32 v65, v64, v69
	s_delay_alu instid0(VALU_DEP_2) | instskip(NEXT) | instid1(VALU_DEP_2)
	v_add_f32_e32 v13, v70, v13
	v_sub_f32_e32 v65, v66, v65
	s_delay_alu instid0(VALU_DEP_2) | instskip(NEXT) | instid1(VALU_DEP_1)
	v_mul_f32_e32 v13, v31, v13
	v_add_f32_e32 v13, v65, v13
	s_delay_alu instid0(VALU_DEP_1) | instskip(NEXT) | instid1(VALU_DEP_1)
	v_add_f32_e32 v31, v64, v13
	v_mul_f32_e32 v65, v31, v31
	s_delay_alu instid0(VALU_DEP_1) | instskip(SKIP_2) | instid1(VALU_DEP_3)
	v_fmaak_f32 v66, s4, v65, 0x3ecc95a3
	v_mul_f32_e32 v67, v31, v65
	v_cmp_eq_f32_e64 s4, 0x7f800000, v7
	v_fmaak_f32 v65, v65, v66, 0x3f2aaada
	v_ldexp_f32 v66, v31, 1
	v_sub_f32_e32 v31, v31, v64
	s_delay_alu instid0(VALU_DEP_4) | instskip(NEXT) | instid1(VALU_DEP_3)
	s_or_b32 s4, s4, s6
	v_mul_f32_e32 v65, v67, v65
	v_mul_f32_e32 v67, 0x3f317218, v30
	s_delay_alu instid0(VALU_DEP_2) | instskip(NEXT) | instid1(VALU_DEP_1)
	v_dual_sub_f32 v13, v13, v31 :: v_dual_add_f32 v64, v66, v65
	v_ldexp_f32 v13, v13, 1
	s_delay_alu instid0(VALU_DEP_2) | instskip(NEXT) | instid1(VALU_DEP_4)
	v_sub_f32_e32 v31, v64, v66
	v_fma_f32 v66, 0x3f317218, v30, -v67
	s_delay_alu instid0(VALU_DEP_1) | instskip(NEXT) | instid1(VALU_DEP_1)
	v_dual_sub_f32 v31, v65, v31 :: v_dual_fmamk_f32 v30, v30, 0xb102e308, v66
	v_add_f32_e32 v13, v13, v31
	s_delay_alu instid0(VALU_DEP_2) | instskip(NEXT) | instid1(VALU_DEP_2)
	v_add_f32_e32 v31, v67, v30
	v_add_f32_e32 v65, v64, v13
	s_delay_alu instid0(VALU_DEP_2) | instskip(NEXT) | instid1(VALU_DEP_2)
	v_sub_f32_e32 v67, v31, v67
	v_add_f32_e32 v66, v31, v65
	v_sub_f32_e32 v64, v65, v64
	s_delay_alu instid0(VALU_DEP_3) | instskip(NEXT) | instid1(VALU_DEP_2)
	v_sub_f32_e32 v30, v30, v67
	v_dual_sub_f32 v68, v66, v31 :: v_dual_sub_f32 v13, v13, v64
	s_delay_alu instid0(VALU_DEP_1) | instskip(NEXT) | instid1(VALU_DEP_2)
	v_sub_f32_e32 v69, v66, v68
	v_dual_sub_f32 v64, v65, v68 :: v_dual_add_f32 v65, v30, v13
	s_delay_alu instid0(VALU_DEP_2) | instskip(NEXT) | instid1(VALU_DEP_1)
	v_sub_f32_e32 v31, v31, v69
	v_dual_add_f32 v31, v64, v31 :: v_dual_sub_f32 v64, v65, v30
	s_delay_alu instid0(VALU_DEP_1) | instskip(NEXT) | instid1(VALU_DEP_2)
	v_add_f32_e32 v31, v65, v31
	v_sub_f32_e32 v65, v65, v64
	v_sub_f32_e32 v13, v13, v64
	s_delay_alu instid0(VALU_DEP_3) | instskip(NEXT) | instid1(VALU_DEP_3)
	v_add_f32_e32 v67, v66, v31
	v_sub_f32_e32 v30, v30, v65
	s_delay_alu instid0(VALU_DEP_2) | instskip(NEXT) | instid1(VALU_DEP_1)
	v_sub_f32_e32 v64, v67, v66
	v_dual_add_f32 v13, v13, v30 :: v_dual_sub_f32 v30, v31, v64
	s_delay_alu instid0(VALU_DEP_1) | instskip(NEXT) | instid1(VALU_DEP_1)
	v_add_f32_e32 v13, v13, v30
	v_add_f32_e32 v13, v67, v13
	s_delay_alu instid0(VALU_DEP_1) | instskip(NEXT) | instid1(VALU_DEP_1)
	v_cndmask_b32_e64 v7, v13, v7, s4
	v_add_f32_e32 v6, v6, v7
	s_delay_alu instid0(VALU_DEP_1) | instskip(NEXT) | instid1(VALU_DEP_1)
	v_cvt_f16_f32_e32 v31, v6
	v_cvt_f32_f16_e32 v64, v31
	v_mov_b32_e32 v30, v31
.LBB430_244:
	s_or_b32 exec_lo, exec_lo, s5
	v_cvt_f32_f16_e32 v6, v55
	s_delay_alu instid0(VALU_DEP_3) | instskip(SKIP_1) | instid1(VALU_DEP_2)
	v_max_f32_e32 v7, v64, v64
	v_cmp_u_f16_e64 s4, v31, v31
	v_min_f32_e32 v13, v7, v6
	v_max_f32_e32 v7, v7, v6
	s_delay_alu instid0(VALU_DEP_2) | instskip(NEXT) | instid1(VALU_DEP_2)
	v_cndmask_b32_e64 v13, v13, v64, s4
	v_cndmask_b32_e64 v7, v7, v64, s4
	v_cmp_u_f16_e64 s4, v55, v55
	s_delay_alu instid0(VALU_DEP_1) | instskip(NEXT) | instid1(VALU_DEP_3)
	v_cndmask_b32_e64 v13, v13, v6, s4
	v_cndmask_b32_e64 v7, v7, v6, s4
	s_delay_alu instid0(VALU_DEP_2) | instskip(NEXT) | instid1(VALU_DEP_2)
	v_cmp_class_f32_e64 s6, v13, 0x1f8
	v_cmp_neq_f32_e64 s5, v13, v7
	s_delay_alu instid0(VALU_DEP_1) | instskip(NEXT) | instid1(SALU_CYCLE_1)
	s_or_b32 s5, s5, s6
	s_and_saveexec_b32 s6, s5
	s_cbranch_execz .LBB430_246
; %bb.245:
	v_sub_f32_e32 v13, v13, v7
	s_delay_alu instid0(VALU_DEP_1) | instskip(SKIP_1) | instid1(VALU_DEP_2)
	v_mul_f32_e32 v30, 0x3fb8aa3b, v13
	v_cmp_ngt_f32_e64 s5, 0xc2ce8ed0, v13
	v_fma_f32 v31, 0x3fb8aa3b, v13, -v30
	v_rndne_f32_e32 v55, v30
	s_delay_alu instid0(VALU_DEP_1) | instskip(NEXT) | instid1(VALU_DEP_1)
	v_dual_fmamk_f32 v31, v13, 0x32a5705f, v31 :: v_dual_sub_f32 v30, v30, v55
	v_add_f32_e32 v30, v30, v31
	v_cvt_i32_f32_e32 v31, v55
	s_delay_alu instid0(VALU_DEP_2) | instskip(SKIP_2) | instid1(VALU_DEP_1)
	v_exp_f32_e32 v30, v30
	s_waitcnt_depctr 0xfff
	v_ldexp_f32 v30, v30, v31
	v_cndmask_b32_e64 v30, 0, v30, s5
	v_cmp_nlt_f32_e64 s5, 0x42b17218, v13
	s_delay_alu instid0(VALU_DEP_1) | instskip(NEXT) | instid1(VALU_DEP_1)
	v_cndmask_b32_e64 v13, 0x7f800000, v30, s5
	v_add_f32_e32 v55, 1.0, v13
	v_cmp_gt_f32_e64 s7, 0x33800000, |v13|
	s_delay_alu instid0(VALU_DEP_2) | instskip(NEXT) | instid1(VALU_DEP_1)
	v_cvt_f64_f32_e32 v[30:31], v55
	v_frexp_exp_i32_f64_e32 v30, v[30:31]
	v_frexp_mant_f32_e32 v31, v55
	s_delay_alu instid0(VALU_DEP_1) | instskip(SKIP_1) | instid1(VALU_DEP_1)
	v_cmp_gt_f32_e64 s5, 0x3f2aaaab, v31
	v_add_f32_e32 v31, -1.0, v55
	v_sub_f32_e32 v65, v31, v55
	v_sub_f32_e32 v31, v13, v31
	s_delay_alu instid0(VALU_DEP_4) | instskip(SKIP_1) | instid1(VALU_DEP_1)
	v_subrev_co_ci_u32_e64 v30, s5, 0, v30, s5
	s_mov_b32 s5, 0x3e9b6dac
	v_sub_nc_u32_e32 v64, 0, v30
	v_cvt_f32_i32_e32 v30, v30
	s_delay_alu instid0(VALU_DEP_2) | instskip(NEXT) | instid1(VALU_DEP_1)
	v_ldexp_f32 v55, v55, v64
	v_dual_add_f32 v65, 1.0, v65 :: v_dual_add_f32 v66, 1.0, v55
	s_delay_alu instid0(VALU_DEP_1) | instskip(NEXT) | instid1(VALU_DEP_1)
	v_add_f32_e32 v31, v31, v65
	v_ldexp_f32 v31, v31, v64
	s_delay_alu instid0(VALU_DEP_3) | instskip(NEXT) | instid1(VALU_DEP_1)
	v_dual_add_f32 v64, -1.0, v55 :: v_dual_add_f32 v65, -1.0, v66
	v_add_f32_e32 v67, 1.0, v64
	s_delay_alu instid0(VALU_DEP_2) | instskip(NEXT) | instid1(VALU_DEP_2)
	v_sub_f32_e32 v65, v55, v65
	v_sub_f32_e32 v55, v55, v67
	s_delay_alu instid0(VALU_DEP_2) | instskip(NEXT) | instid1(VALU_DEP_2)
	v_add_f32_e32 v65, v31, v65
	v_add_f32_e32 v31, v31, v55
	s_delay_alu instid0(VALU_DEP_1) | instskip(NEXT) | instid1(VALU_DEP_1)
	v_dual_add_f32 v67, v66, v65 :: v_dual_add_f32 v68, v64, v31
	v_rcp_f32_e32 v55, v67
	v_sub_f32_e32 v66, v66, v67
	s_delay_alu instid0(VALU_DEP_1) | instskip(NEXT) | instid1(VALU_DEP_1)
	v_dual_sub_f32 v64, v64, v68 :: v_dual_add_f32 v65, v65, v66
	v_add_f32_e32 v31, v31, v64
	s_waitcnt_depctr 0xfff
	v_mul_f32_e32 v69, v68, v55
	s_delay_alu instid0(VALU_DEP_1) | instskip(NEXT) | instid1(VALU_DEP_1)
	v_mul_f32_e32 v70, v67, v69
	v_fma_f32 v66, v69, v67, -v70
	s_delay_alu instid0(VALU_DEP_1) | instskip(NEXT) | instid1(VALU_DEP_1)
	v_fmac_f32_e32 v66, v69, v65
	v_add_f32_e32 v71, v70, v66
	s_delay_alu instid0(VALU_DEP_1) | instskip(SKIP_1) | instid1(VALU_DEP_2)
	v_sub_f32_e32 v80, v68, v71
	v_sub_f32_e32 v64, v71, v70
	;; [unrolled: 1-line block ×3, first 2 shown]
	s_delay_alu instid0(VALU_DEP_2) | instskip(NEXT) | instid1(VALU_DEP_2)
	v_sub_f32_e32 v64, v64, v66
	v_sub_f32_e32 v68, v68, v71
	s_delay_alu instid0(VALU_DEP_1) | instskip(NEXT) | instid1(VALU_DEP_1)
	v_add_f32_e32 v31, v31, v68
	v_add_f32_e32 v31, v64, v31
	s_delay_alu instid0(VALU_DEP_1) | instskip(NEXT) | instid1(VALU_DEP_1)
	v_add_f32_e32 v64, v80, v31
	v_mul_f32_e32 v66, v55, v64
	s_delay_alu instid0(VALU_DEP_1) | instskip(NEXT) | instid1(VALU_DEP_1)
	v_dual_sub_f32 v71, v80, v64 :: v_dual_mul_f32 v68, v67, v66
	v_add_f32_e32 v31, v31, v71
	s_delay_alu instid0(VALU_DEP_2) | instskip(NEXT) | instid1(VALU_DEP_1)
	v_fma_f32 v67, v66, v67, -v68
	v_fmac_f32_e32 v67, v66, v65
	s_delay_alu instid0(VALU_DEP_1) | instskip(NEXT) | instid1(VALU_DEP_1)
	v_add_f32_e32 v65, v68, v67
	v_sub_f32_e32 v70, v64, v65
	s_delay_alu instid0(VALU_DEP_1) | instskip(NEXT) | instid1(VALU_DEP_1)
	v_sub_f32_e32 v64, v64, v70
	v_sub_f32_e32 v64, v64, v65
	s_delay_alu instid0(VALU_DEP_1) | instskip(SKIP_1) | instid1(VALU_DEP_1)
	v_dual_add_f32 v31, v31, v64 :: v_dual_add_f32 v64, v69, v66
	v_sub_f32_e32 v68, v65, v68
	v_sub_f32_e32 v65, v68, v67
	s_delay_alu instid0(VALU_DEP_1) | instskip(NEXT) | instid1(VALU_DEP_4)
	v_add_f32_e32 v31, v65, v31
	v_sub_f32_e32 v65, v64, v69
	s_delay_alu instid0(VALU_DEP_2) | instskip(NEXT) | instid1(VALU_DEP_2)
	v_add_f32_e32 v31, v70, v31
	v_sub_f32_e32 v65, v66, v65
	s_delay_alu instid0(VALU_DEP_2) | instskip(NEXT) | instid1(VALU_DEP_1)
	v_mul_f32_e32 v31, v55, v31
	v_add_f32_e32 v31, v65, v31
	s_delay_alu instid0(VALU_DEP_1) | instskip(NEXT) | instid1(VALU_DEP_1)
	v_add_f32_e32 v55, v64, v31
	v_mul_f32_e32 v65, v55, v55
	s_delay_alu instid0(VALU_DEP_1) | instskip(SKIP_2) | instid1(VALU_DEP_3)
	v_fmaak_f32 v66, s5, v65, 0x3ecc95a3
	v_mul_f32_e32 v67, v55, v65
	v_cmp_eq_f32_e64 s5, 0x7f800000, v13
	v_fmaak_f32 v65, v65, v66, 0x3f2aaada
	v_ldexp_f32 v66, v55, 1
	v_sub_f32_e32 v55, v55, v64
	s_delay_alu instid0(VALU_DEP_4) | instskip(NEXT) | instid1(VALU_DEP_3)
	s_or_b32 s5, s5, s7
	v_mul_f32_e32 v65, v67, v65
	v_mul_f32_e32 v67, 0x3f317218, v30
	s_delay_alu instid0(VALU_DEP_2) | instskip(NEXT) | instid1(VALU_DEP_1)
	v_dual_sub_f32 v31, v31, v55 :: v_dual_add_f32 v64, v66, v65
	v_ldexp_f32 v31, v31, 1
	s_delay_alu instid0(VALU_DEP_2) | instskip(NEXT) | instid1(VALU_DEP_4)
	v_sub_f32_e32 v55, v64, v66
	v_fma_f32 v66, 0x3f317218, v30, -v67
	s_delay_alu instid0(VALU_DEP_1) | instskip(NEXT) | instid1(VALU_DEP_1)
	v_dual_sub_f32 v55, v65, v55 :: v_dual_fmamk_f32 v30, v30, 0xb102e308, v66
	v_add_f32_e32 v31, v31, v55
	s_delay_alu instid0(VALU_DEP_2) | instskip(NEXT) | instid1(VALU_DEP_2)
	v_add_f32_e32 v55, v67, v30
	v_add_f32_e32 v65, v64, v31
	s_delay_alu instid0(VALU_DEP_2) | instskip(NEXT) | instid1(VALU_DEP_2)
	v_sub_f32_e32 v67, v55, v67
	v_add_f32_e32 v66, v55, v65
	v_sub_f32_e32 v64, v65, v64
	s_delay_alu instid0(VALU_DEP_3) | instskip(NEXT) | instid1(VALU_DEP_2)
	v_sub_f32_e32 v30, v30, v67
	v_dual_sub_f32 v68, v66, v55 :: v_dual_sub_f32 v31, v31, v64
	s_delay_alu instid0(VALU_DEP_1) | instskip(NEXT) | instid1(VALU_DEP_2)
	v_sub_f32_e32 v69, v66, v68
	v_dual_sub_f32 v64, v65, v68 :: v_dual_add_f32 v65, v30, v31
	s_delay_alu instid0(VALU_DEP_2) | instskip(NEXT) | instid1(VALU_DEP_1)
	v_sub_f32_e32 v55, v55, v69
	v_dual_add_f32 v55, v64, v55 :: v_dual_sub_f32 v64, v65, v30
	s_delay_alu instid0(VALU_DEP_1) | instskip(NEXT) | instid1(VALU_DEP_2)
	v_add_f32_e32 v55, v65, v55
	v_sub_f32_e32 v65, v65, v64
	v_sub_f32_e32 v31, v31, v64
	s_delay_alu instid0(VALU_DEP_3) | instskip(NEXT) | instid1(VALU_DEP_3)
	v_add_f32_e32 v67, v66, v55
	v_sub_f32_e32 v30, v30, v65
	s_delay_alu instid0(VALU_DEP_2) | instskip(NEXT) | instid1(VALU_DEP_2)
	v_sub_f32_e32 v64, v67, v66
	v_add_f32_e32 v30, v31, v30
	s_delay_alu instid0(VALU_DEP_2) | instskip(NEXT) | instid1(VALU_DEP_1)
	v_sub_f32_e32 v31, v55, v64
	v_add_f32_e32 v30, v30, v31
	s_delay_alu instid0(VALU_DEP_1) | instskip(NEXT) | instid1(VALU_DEP_1)
	v_add_f32_e32 v30, v67, v30
	v_cndmask_b32_e64 v13, v30, v13, s5
	s_delay_alu instid0(VALU_DEP_1) | instskip(NEXT) | instid1(VALU_DEP_1)
	v_add_f32_e32 v7, v7, v13
	v_cvt_f16_f32_e32 v31, v7
	s_delay_alu instid0(VALU_DEP_1)
	v_cvt_f32_f16_e32 v64, v31
	v_mov_b32_e32 v30, v31
.LBB430_246:
	s_or_b32 exec_lo, exec_lo, s6
	v_cvt_f32_f16_e32 v7, v26
	s_delay_alu instid0(VALU_DEP_3) | instskip(SKIP_1) | instid1(VALU_DEP_2)
	v_max_f32_e32 v13, v64, v64
	v_cmp_u_f16_e64 s5, v31, v31
	v_min_f32_e32 v55, v13, v7
	v_max_f32_e32 v13, v13, v7
	s_delay_alu instid0(VALU_DEP_2) | instskip(NEXT) | instid1(VALU_DEP_2)
	v_cndmask_b32_e64 v55, v55, v64, s5
	v_cndmask_b32_e64 v13, v13, v64, s5
	v_cmp_u_f16_e64 s5, v26, v26
	s_delay_alu instid0(VALU_DEP_1) | instskip(NEXT) | instid1(VALU_DEP_3)
	v_cndmask_b32_e64 v26, v55, v7, s5
	v_cndmask_b32_e64 v13, v13, v7, s5
	s_delay_alu instid0(VALU_DEP_2) | instskip(NEXT) | instid1(VALU_DEP_2)
	v_cmp_class_f32_e64 s7, v26, 0x1f8
	v_cmp_neq_f32_e64 s6, v26, v13
	s_delay_alu instid0(VALU_DEP_1) | instskip(NEXT) | instid1(SALU_CYCLE_1)
	s_or_b32 s6, s6, s7
	s_and_saveexec_b32 s7, s6
	s_cbranch_execz .LBB430_248
; %bb.247:
	v_sub_f32_e32 v26, v26, v13
	s_delay_alu instid0(VALU_DEP_1) | instskip(SKIP_1) | instid1(VALU_DEP_2)
	v_mul_f32_e32 v30, 0x3fb8aa3b, v26
	v_cmp_ngt_f32_e64 s6, 0xc2ce8ed0, v26
	v_fma_f32 v31, 0x3fb8aa3b, v26, -v30
	v_rndne_f32_e32 v55, v30
	s_delay_alu instid0(VALU_DEP_2) | instskip(NEXT) | instid1(VALU_DEP_2)
	v_fmamk_f32 v31, v26, 0x32a5705f, v31
	v_sub_f32_e32 v30, v30, v55
	s_delay_alu instid0(VALU_DEP_1) | instskip(SKIP_1) | instid1(VALU_DEP_2)
	v_add_f32_e32 v30, v30, v31
	v_cvt_i32_f32_e32 v31, v55
	v_exp_f32_e32 v30, v30
	s_waitcnt_depctr 0xfff
	v_ldexp_f32 v30, v30, v31
	s_delay_alu instid0(VALU_DEP_1) | instskip(SKIP_1) | instid1(VALU_DEP_1)
	v_cndmask_b32_e64 v30, 0, v30, s6
	v_cmp_nlt_f32_e64 s6, 0x42b17218, v26
	v_cndmask_b32_e64 v26, 0x7f800000, v30, s6
	s_delay_alu instid0(VALU_DEP_1) | instskip(SKIP_1) | instid1(VALU_DEP_2)
	v_add_f32_e32 v55, 1.0, v26
	v_cmp_gt_f32_e64 s8, 0x33800000, |v26|
	v_cvt_f64_f32_e32 v[30:31], v55
	s_delay_alu instid0(VALU_DEP_1) | instskip(SKIP_1) | instid1(VALU_DEP_1)
	v_frexp_exp_i32_f64_e32 v30, v[30:31]
	v_frexp_mant_f32_e32 v31, v55
	v_cmp_gt_f32_e64 s6, 0x3f2aaaab, v31
	v_add_f32_e32 v31, -1.0, v55
	s_delay_alu instid0(VALU_DEP_1) | instskip(SKIP_1) | instid1(VALU_DEP_2)
	v_sub_f32_e32 v65, v31, v55
	v_sub_f32_e32 v31, v26, v31
	v_add_f32_e32 v65, 1.0, v65
	v_subrev_co_ci_u32_e64 v30, s6, 0, v30, s6
	s_mov_b32 s6, 0x3e9b6dac
	s_delay_alu instid0(VALU_DEP_1) | instskip(SKIP_1) | instid1(VALU_DEP_2)
	v_sub_nc_u32_e32 v64, 0, v30
	v_cvt_f32_i32_e32 v30, v30
	v_ldexp_f32 v55, v55, v64
	s_delay_alu instid0(VALU_DEP_1) | instskip(NEXT) | instid1(VALU_DEP_1)
	v_dual_add_f32 v31, v31, v65 :: v_dual_add_f32 v66, 1.0, v55
	v_ldexp_f32 v31, v31, v64
	s_delay_alu instid0(VALU_DEP_2) | instskip(NEXT) | instid1(VALU_DEP_1)
	v_dual_add_f32 v64, -1.0, v55 :: v_dual_add_f32 v65, -1.0, v66
	v_add_f32_e32 v67, 1.0, v64
	s_delay_alu instid0(VALU_DEP_2) | instskip(NEXT) | instid1(VALU_DEP_2)
	v_sub_f32_e32 v65, v55, v65
	v_sub_f32_e32 v55, v55, v67
	s_delay_alu instid0(VALU_DEP_2) | instskip(NEXT) | instid1(VALU_DEP_2)
	v_add_f32_e32 v65, v31, v65
	v_add_f32_e32 v31, v31, v55
	s_delay_alu instid0(VALU_DEP_1) | instskip(NEXT) | instid1(VALU_DEP_1)
	v_dual_add_f32 v68, v64, v31 :: v_dual_add_f32 v67, v66, v65
	v_sub_f32_e32 v64, v64, v68
	s_delay_alu instid0(VALU_DEP_2) | instskip(NEXT) | instid1(VALU_DEP_1)
	v_rcp_f32_e32 v55, v67
	v_dual_sub_f32 v66, v66, v67 :: v_dual_add_f32 v31, v31, v64
	s_delay_alu instid0(VALU_DEP_1) | instskip(SKIP_2) | instid1(VALU_DEP_1)
	v_add_f32_e32 v65, v65, v66
	s_waitcnt_depctr 0xfff
	v_mul_f32_e32 v69, v68, v55
	v_mul_f32_e32 v70, v67, v69
	s_delay_alu instid0(VALU_DEP_1) | instskip(NEXT) | instid1(VALU_DEP_1)
	v_fma_f32 v66, v69, v67, -v70
	v_fmac_f32_e32 v66, v69, v65
	s_delay_alu instid0(VALU_DEP_1) | instskip(NEXT) | instid1(VALU_DEP_1)
	v_add_f32_e32 v71, v70, v66
	v_sub_f32_e32 v80, v68, v71
	v_sub_f32_e32 v64, v71, v70
	s_delay_alu instid0(VALU_DEP_2) | instskip(NEXT) | instid1(VALU_DEP_2)
	v_sub_f32_e32 v68, v68, v80
	v_sub_f32_e32 v64, v64, v66
	s_delay_alu instid0(VALU_DEP_2) | instskip(NEXT) | instid1(VALU_DEP_1)
	v_sub_f32_e32 v68, v68, v71
	v_add_f32_e32 v31, v31, v68
	s_delay_alu instid0(VALU_DEP_1) | instskip(NEXT) | instid1(VALU_DEP_1)
	v_add_f32_e32 v31, v64, v31
	v_add_f32_e32 v64, v80, v31
	s_delay_alu instid0(VALU_DEP_1) | instskip(NEXT) | instid1(VALU_DEP_1)
	v_mul_f32_e32 v66, v55, v64
	v_dual_sub_f32 v71, v80, v64 :: v_dual_mul_f32 v68, v67, v66
	s_delay_alu instid0(VALU_DEP_1) | instskip(NEXT) | instid1(VALU_DEP_1)
	v_fma_f32 v67, v66, v67, -v68
	v_fmac_f32_e32 v67, v66, v65
	s_delay_alu instid0(VALU_DEP_1) | instskip(NEXT) | instid1(VALU_DEP_1)
	v_add_f32_e32 v65, v68, v67
	v_dual_add_f32 v31, v31, v71 :: v_dual_sub_f32 v70, v64, v65
	s_delay_alu instid0(VALU_DEP_1) | instskip(NEXT) | instid1(VALU_DEP_1)
	v_sub_f32_e32 v64, v64, v70
	v_sub_f32_e32 v64, v64, v65
	s_delay_alu instid0(VALU_DEP_1) | instskip(SKIP_1) | instid1(VALU_DEP_1)
	v_dual_add_f32 v31, v31, v64 :: v_dual_add_f32 v64, v69, v66
	v_sub_f32_e32 v68, v65, v68
	v_sub_f32_e32 v65, v68, v67
	s_delay_alu instid0(VALU_DEP_1) | instskip(NEXT) | instid1(VALU_DEP_4)
	v_add_f32_e32 v31, v65, v31
	v_sub_f32_e32 v65, v64, v69
	s_delay_alu instid0(VALU_DEP_2) | instskip(NEXT) | instid1(VALU_DEP_2)
	v_add_f32_e32 v31, v70, v31
	v_sub_f32_e32 v65, v66, v65
	s_delay_alu instid0(VALU_DEP_2) | instskip(NEXT) | instid1(VALU_DEP_1)
	v_mul_f32_e32 v31, v55, v31
	v_add_f32_e32 v31, v65, v31
	s_delay_alu instid0(VALU_DEP_1) | instskip(NEXT) | instid1(VALU_DEP_1)
	v_add_f32_e32 v55, v64, v31
	v_mul_f32_e32 v65, v55, v55
	s_delay_alu instid0(VALU_DEP_1) | instskip(SKIP_2) | instid1(VALU_DEP_3)
	v_fmaak_f32 v66, s6, v65, 0x3ecc95a3
	v_mul_f32_e32 v67, v55, v65
	v_cmp_eq_f32_e64 s6, 0x7f800000, v26
	v_fmaak_f32 v65, v65, v66, 0x3f2aaada
	v_ldexp_f32 v66, v55, 1
	v_sub_f32_e32 v55, v55, v64
	s_delay_alu instid0(VALU_DEP_4) | instskip(NEXT) | instid1(VALU_DEP_3)
	s_or_b32 s6, s6, s8
	v_mul_f32_e32 v65, v67, v65
	v_mul_f32_e32 v67, 0x3f317218, v30
	s_delay_alu instid0(VALU_DEP_2) | instskip(NEXT) | instid1(VALU_DEP_1)
	v_dual_sub_f32 v31, v31, v55 :: v_dual_add_f32 v64, v66, v65
	v_ldexp_f32 v31, v31, 1
	s_delay_alu instid0(VALU_DEP_2) | instskip(NEXT) | instid1(VALU_DEP_4)
	v_sub_f32_e32 v55, v64, v66
	v_fma_f32 v66, 0x3f317218, v30, -v67
	s_delay_alu instid0(VALU_DEP_1) | instskip(NEXT) | instid1(VALU_DEP_1)
	v_dual_sub_f32 v55, v65, v55 :: v_dual_fmamk_f32 v30, v30, 0xb102e308, v66
	v_add_f32_e32 v31, v31, v55
	s_delay_alu instid0(VALU_DEP_2) | instskip(NEXT) | instid1(VALU_DEP_2)
	v_add_f32_e32 v55, v67, v30
	v_add_f32_e32 v65, v64, v31
	s_delay_alu instid0(VALU_DEP_2) | instskip(NEXT) | instid1(VALU_DEP_2)
	v_sub_f32_e32 v67, v55, v67
	v_add_f32_e32 v66, v55, v65
	v_sub_f32_e32 v64, v65, v64
	s_delay_alu instid0(VALU_DEP_3) | instskip(NEXT) | instid1(VALU_DEP_2)
	v_sub_f32_e32 v30, v30, v67
	v_dual_sub_f32 v68, v66, v55 :: v_dual_sub_f32 v31, v31, v64
	s_delay_alu instid0(VALU_DEP_1) | instskip(NEXT) | instid1(VALU_DEP_2)
	v_sub_f32_e32 v69, v66, v68
	v_dual_sub_f32 v64, v65, v68 :: v_dual_add_f32 v65, v30, v31
	s_delay_alu instid0(VALU_DEP_2) | instskip(NEXT) | instid1(VALU_DEP_1)
	v_sub_f32_e32 v55, v55, v69
	v_dual_add_f32 v55, v64, v55 :: v_dual_sub_f32 v64, v65, v30
	s_delay_alu instid0(VALU_DEP_1) | instskip(NEXT) | instid1(VALU_DEP_2)
	v_add_f32_e32 v55, v65, v55
	v_sub_f32_e32 v65, v65, v64
	v_sub_f32_e32 v31, v31, v64
	s_delay_alu instid0(VALU_DEP_3) | instskip(NEXT) | instid1(VALU_DEP_3)
	v_add_f32_e32 v67, v66, v55
	v_sub_f32_e32 v30, v30, v65
	s_delay_alu instid0(VALU_DEP_2) | instskip(NEXT) | instid1(VALU_DEP_2)
	v_sub_f32_e32 v64, v67, v66
	v_add_f32_e32 v30, v31, v30
	s_delay_alu instid0(VALU_DEP_2) | instskip(NEXT) | instid1(VALU_DEP_1)
	v_sub_f32_e32 v31, v55, v64
	v_add_f32_e32 v30, v30, v31
	s_delay_alu instid0(VALU_DEP_1) | instskip(NEXT) | instid1(VALU_DEP_1)
	v_add_f32_e32 v30, v67, v30
	v_cndmask_b32_e64 v26, v30, v26, s6
	s_delay_alu instid0(VALU_DEP_1) | instskip(NEXT) | instid1(VALU_DEP_1)
	v_add_f32_e32 v13, v13, v26
	v_cvt_f16_f32_e32 v31, v13
	s_delay_alu instid0(VALU_DEP_1)
	v_cvt_f32_f16_e32 v64, v31
	v_mov_b32_e32 v30, v31
.LBB430_248:
	s_or_b32 exec_lo, exec_lo, s7
	v_cvt_f32_f16_e32 v13, v54
	s_delay_alu instid0(VALU_DEP_3) | instskip(SKIP_1) | instid1(VALU_DEP_2)
	v_max_f32_e32 v26, v64, v64
	v_cmp_u_f16_e64 s6, v31, v31
	v_min_f32_e32 v55, v26, v13
	v_max_f32_e32 v26, v26, v13
	s_delay_alu instid0(VALU_DEP_2) | instskip(NEXT) | instid1(VALU_DEP_2)
	v_cndmask_b32_e64 v55, v55, v64, s6
	v_cndmask_b32_e64 v26, v26, v64, s6
	v_cmp_u_f16_e64 s6, v54, v54
	s_delay_alu instid0(VALU_DEP_1) | instskip(NEXT) | instid1(VALU_DEP_3)
	v_cndmask_b32_e64 v54, v55, v13, s6
	v_cndmask_b32_e64 v26, v26, v13, s6
	s_delay_alu instid0(VALU_DEP_2) | instskip(NEXT) | instid1(VALU_DEP_2)
	v_cmp_class_f32_e64 s8, v54, 0x1f8
	v_cmp_neq_f32_e64 s7, v54, v26
	s_delay_alu instid0(VALU_DEP_1) | instskip(NEXT) | instid1(SALU_CYCLE_1)
	s_or_b32 s7, s7, s8
	s_and_saveexec_b32 s8, s7
	s_cbranch_execz .LBB430_250
; %bb.249:
	v_sub_f32_e32 v30, v54, v26
	s_delay_alu instid0(VALU_DEP_1) | instskip(NEXT) | instid1(VALU_DEP_1)
	v_mul_f32_e32 v31, 0x3fb8aa3b, v30
	v_fma_f32 v54, 0x3fb8aa3b, v30, -v31
	v_rndne_f32_e32 v55, v31
	s_delay_alu instid0(VALU_DEP_1) | instskip(SKIP_1) | instid1(VALU_DEP_2)
	v_dual_sub_f32 v31, v31, v55 :: v_dual_fmamk_f32 v54, v30, 0x32a5705f, v54
	v_cmp_ngt_f32_e64 s7, 0xc2ce8ed0, v30
	v_add_f32_e32 v31, v31, v54
	v_cvt_i32_f32_e32 v54, v55
	s_delay_alu instid0(VALU_DEP_2) | instskip(SKIP_2) | instid1(VALU_DEP_1)
	v_exp_f32_e32 v31, v31
	s_waitcnt_depctr 0xfff
	v_ldexp_f32 v31, v31, v54
	v_cndmask_b32_e64 v31, 0, v31, s7
	v_cmp_nlt_f32_e64 s7, 0x42b17218, v30
	s_delay_alu instid0(VALU_DEP_1) | instskip(NEXT) | instid1(VALU_DEP_1)
	v_cndmask_b32_e64 v54, 0x7f800000, v31, s7
	v_add_f32_e32 v55, 1.0, v54
	v_cmp_gt_f32_e64 s9, 0x33800000, |v54|
	s_delay_alu instid0(VALU_DEP_2) | instskip(NEXT) | instid1(VALU_DEP_1)
	v_cvt_f64_f32_e32 v[30:31], v55
	v_frexp_exp_i32_f64_e32 v30, v[30:31]
	v_frexp_mant_f32_e32 v31, v55
	s_delay_alu instid0(VALU_DEP_1) | instskip(SKIP_1) | instid1(VALU_DEP_1)
	v_cmp_gt_f32_e64 s7, 0x3f2aaaab, v31
	v_add_f32_e32 v31, -1.0, v55
	v_sub_f32_e32 v65, v31, v55
	v_sub_f32_e32 v31, v54, v31
	s_delay_alu instid0(VALU_DEP_4) | instskip(SKIP_1) | instid1(VALU_DEP_1)
	v_subrev_co_ci_u32_e64 v30, s7, 0, v30, s7
	s_mov_b32 s7, 0x3e9b6dac
	v_sub_nc_u32_e32 v64, 0, v30
	v_cvt_f32_i32_e32 v30, v30
	s_delay_alu instid0(VALU_DEP_2) | instskip(NEXT) | instid1(VALU_DEP_1)
	v_ldexp_f32 v55, v55, v64
	v_dual_add_f32 v66, 1.0, v55 :: v_dual_add_f32 v65, 1.0, v65
	s_delay_alu instid0(VALU_DEP_1) | instskip(NEXT) | instid1(VALU_DEP_2)
	v_add_f32_e32 v31, v31, v65
	v_add_f32_e32 v65, -1.0, v66
	s_delay_alu instid0(VALU_DEP_2) | instskip(NEXT) | instid1(VALU_DEP_2)
	v_ldexp_f32 v31, v31, v64
	v_dual_add_f32 v64, -1.0, v55 :: v_dual_sub_f32 v65, v55, v65
	s_delay_alu instid0(VALU_DEP_1) | instskip(NEXT) | instid1(VALU_DEP_2)
	v_add_f32_e32 v67, 1.0, v64
	v_add_f32_e32 v65, v31, v65
	s_delay_alu instid0(VALU_DEP_2) | instskip(NEXT) | instid1(VALU_DEP_2)
	v_sub_f32_e32 v55, v55, v67
	v_add_f32_e32 v67, v66, v65
	s_delay_alu instid0(VALU_DEP_2) | instskip(NEXT) | instid1(VALU_DEP_2)
	v_add_f32_e32 v31, v31, v55
	v_rcp_f32_e32 v55, v67
	v_sub_f32_e32 v66, v66, v67
	s_delay_alu instid0(VALU_DEP_1) | instskip(NEXT) | instid1(VALU_DEP_1)
	v_dual_add_f32 v68, v64, v31 :: v_dual_add_f32 v65, v65, v66
	v_sub_f32_e32 v64, v64, v68
	s_waitcnt_depctr 0xfff
	v_mul_f32_e32 v69, v68, v55
	v_add_f32_e32 v31, v31, v64
	s_delay_alu instid0(VALU_DEP_2) | instskip(NEXT) | instid1(VALU_DEP_1)
	v_mul_f32_e32 v70, v67, v69
	v_fma_f32 v66, v69, v67, -v70
	s_delay_alu instid0(VALU_DEP_1) | instskip(NEXT) | instid1(VALU_DEP_1)
	v_fmac_f32_e32 v66, v69, v65
	v_add_f32_e32 v71, v70, v66
	s_delay_alu instid0(VALU_DEP_1) | instskip(SKIP_1) | instid1(VALU_DEP_2)
	v_sub_f32_e32 v80, v68, v71
	v_sub_f32_e32 v64, v71, v70
	;; [unrolled: 1-line block ×3, first 2 shown]
	s_delay_alu instid0(VALU_DEP_2) | instskip(NEXT) | instid1(VALU_DEP_2)
	v_sub_f32_e32 v64, v64, v66
	v_sub_f32_e32 v68, v68, v71
	s_delay_alu instid0(VALU_DEP_1) | instskip(NEXT) | instid1(VALU_DEP_1)
	v_add_f32_e32 v31, v31, v68
	v_add_f32_e32 v31, v64, v31
	s_delay_alu instid0(VALU_DEP_1) | instskip(NEXT) | instid1(VALU_DEP_1)
	v_add_f32_e32 v64, v80, v31
	v_mul_f32_e32 v66, v55, v64
	s_delay_alu instid0(VALU_DEP_1) | instskip(NEXT) | instid1(VALU_DEP_1)
	v_dual_sub_f32 v71, v80, v64 :: v_dual_mul_f32 v68, v67, v66
	v_add_f32_e32 v31, v31, v71
	s_delay_alu instid0(VALU_DEP_2) | instskip(NEXT) | instid1(VALU_DEP_1)
	v_fma_f32 v67, v66, v67, -v68
	v_fmac_f32_e32 v67, v66, v65
	s_delay_alu instid0(VALU_DEP_1) | instskip(NEXT) | instid1(VALU_DEP_1)
	v_add_f32_e32 v65, v68, v67
	v_sub_f32_e32 v70, v64, v65
	v_sub_f32_e32 v68, v65, v68
	s_delay_alu instid0(VALU_DEP_2) | instskip(NEXT) | instid1(VALU_DEP_1)
	v_sub_f32_e32 v64, v64, v70
	v_sub_f32_e32 v64, v64, v65
	s_delay_alu instid0(VALU_DEP_3) | instskip(NEXT) | instid1(VALU_DEP_2)
	v_sub_f32_e32 v65, v68, v67
	v_dual_add_f32 v31, v31, v64 :: v_dual_add_f32 v64, v69, v66
	s_delay_alu instid0(VALU_DEP_1) | instskip(NEXT) | instid1(VALU_DEP_2)
	v_add_f32_e32 v31, v65, v31
	v_sub_f32_e32 v65, v64, v69
	s_delay_alu instid0(VALU_DEP_2) | instskip(NEXT) | instid1(VALU_DEP_2)
	v_add_f32_e32 v31, v70, v31
	v_sub_f32_e32 v65, v66, v65
	s_delay_alu instid0(VALU_DEP_2) | instskip(NEXT) | instid1(VALU_DEP_1)
	v_mul_f32_e32 v31, v55, v31
	v_add_f32_e32 v31, v65, v31
	s_delay_alu instid0(VALU_DEP_1) | instskip(NEXT) | instid1(VALU_DEP_1)
	v_add_f32_e32 v55, v64, v31
	v_mul_f32_e32 v65, v55, v55
	s_delay_alu instid0(VALU_DEP_1) | instskip(SKIP_2) | instid1(VALU_DEP_3)
	v_fmaak_f32 v66, s7, v65, 0x3ecc95a3
	v_mul_f32_e32 v67, v55, v65
	v_cmp_eq_f32_e64 s7, 0x7f800000, v54
	v_fmaak_f32 v65, v65, v66, 0x3f2aaada
	v_ldexp_f32 v66, v55, 1
	v_sub_f32_e32 v55, v55, v64
	s_delay_alu instid0(VALU_DEP_4) | instskip(NEXT) | instid1(VALU_DEP_3)
	s_or_b32 s7, s7, s9
	v_mul_f32_e32 v65, v67, v65
	v_mul_f32_e32 v67, 0x3f317218, v30
	s_delay_alu instid0(VALU_DEP_2) | instskip(NEXT) | instid1(VALU_DEP_1)
	v_dual_sub_f32 v31, v31, v55 :: v_dual_add_f32 v64, v66, v65
	v_ldexp_f32 v31, v31, 1
	s_delay_alu instid0(VALU_DEP_2) | instskip(NEXT) | instid1(VALU_DEP_4)
	v_sub_f32_e32 v55, v64, v66
	v_fma_f32 v66, 0x3f317218, v30, -v67
	s_delay_alu instid0(VALU_DEP_1) | instskip(NEXT) | instid1(VALU_DEP_1)
	v_dual_sub_f32 v55, v65, v55 :: v_dual_fmamk_f32 v30, v30, 0xb102e308, v66
	v_add_f32_e32 v31, v31, v55
	s_delay_alu instid0(VALU_DEP_2) | instskip(NEXT) | instid1(VALU_DEP_2)
	v_add_f32_e32 v55, v67, v30
	v_add_f32_e32 v65, v64, v31
	s_delay_alu instid0(VALU_DEP_2) | instskip(NEXT) | instid1(VALU_DEP_2)
	v_sub_f32_e32 v67, v55, v67
	v_add_f32_e32 v66, v55, v65
	v_sub_f32_e32 v64, v65, v64
	s_delay_alu instid0(VALU_DEP_3) | instskip(NEXT) | instid1(VALU_DEP_2)
	v_sub_f32_e32 v30, v30, v67
	v_dual_sub_f32 v68, v66, v55 :: v_dual_sub_f32 v31, v31, v64
	s_delay_alu instid0(VALU_DEP_1) | instskip(NEXT) | instid1(VALU_DEP_2)
	v_sub_f32_e32 v69, v66, v68
	v_dual_sub_f32 v64, v65, v68 :: v_dual_add_f32 v65, v30, v31
	s_delay_alu instid0(VALU_DEP_2) | instskip(NEXT) | instid1(VALU_DEP_1)
	v_sub_f32_e32 v55, v55, v69
	v_dual_add_f32 v55, v64, v55 :: v_dual_sub_f32 v64, v65, v30
	s_delay_alu instid0(VALU_DEP_1) | instskip(NEXT) | instid1(VALU_DEP_2)
	v_add_f32_e32 v55, v65, v55
	v_sub_f32_e32 v65, v65, v64
	v_sub_f32_e32 v31, v31, v64
	s_delay_alu instid0(VALU_DEP_3) | instskip(NEXT) | instid1(VALU_DEP_3)
	v_add_f32_e32 v67, v66, v55
	v_sub_f32_e32 v30, v30, v65
	s_delay_alu instid0(VALU_DEP_2) | instskip(NEXT) | instid1(VALU_DEP_2)
	v_sub_f32_e32 v64, v67, v66
	v_add_f32_e32 v30, v31, v30
	s_delay_alu instid0(VALU_DEP_2) | instskip(NEXT) | instid1(VALU_DEP_1)
	v_sub_f32_e32 v31, v55, v64
	v_add_f32_e32 v30, v30, v31
	s_delay_alu instid0(VALU_DEP_1) | instskip(NEXT) | instid1(VALU_DEP_1)
	v_add_f32_e32 v30, v67, v30
	v_cndmask_b32_e64 v30, v30, v54, s7
	s_delay_alu instid0(VALU_DEP_1) | instskip(NEXT) | instid1(VALU_DEP_1)
	v_add_f32_e32 v26, v26, v30
	v_cvt_f16_f32_e32 v31, v26
	s_delay_alu instid0(VALU_DEP_1)
	v_mov_b32_e32 v30, v31
	v_cvt_f32_f16_e32 v64, v31
.LBB430_250:
	s_or_b32 exec_lo, exec_lo, s8
	v_cvt_f32_f16_e32 v26, v27
	s_delay_alu instid0(VALU_DEP_2) | instskip(SKIP_1) | instid1(VALU_DEP_2)
	v_max_f32_e32 v54, v64, v64
	v_cmp_u_f16_e64 s7, v31, v31
	v_min_f32_e32 v55, v54, v26
	v_max_f32_e32 v54, v54, v26
	s_delay_alu instid0(VALU_DEP_2) | instskip(NEXT) | instid1(VALU_DEP_2)
	v_cndmask_b32_e64 v55, v55, v64, s7
	v_cndmask_b32_e64 v65, v54, v64, s7
	v_cmp_u_f16_e64 s7, v27, v27
	s_delay_alu instid0(VALU_DEP_1) | instskip(NEXT) | instid1(VALU_DEP_3)
	v_cndmask_b32_e64 v54, v55, v26, s7
	v_cndmask_b32_e64 v27, v65, v26, s7
	s_delay_alu instid0(VALU_DEP_2) | instskip(NEXT) | instid1(VALU_DEP_2)
	v_cmp_class_f32_e64 s9, v54, 0x1f8
	v_cmp_neq_f32_e64 s8, v54, v27
	s_delay_alu instid0(VALU_DEP_1) | instskip(NEXT) | instid1(SALU_CYCLE_1)
	s_or_b32 s8, s8, s9
	s_and_saveexec_b32 s9, s8
	s_cbranch_execz .LBB430_252
; %bb.251:
	v_sub_f32_e32 v30, v54, v27
	s_delay_alu instid0(VALU_DEP_1) | instskip(NEXT) | instid1(VALU_DEP_1)
	v_mul_f32_e32 v31, 0x3fb8aa3b, v30
	v_fma_f32 v54, 0x3fb8aa3b, v30, -v31
	v_rndne_f32_e32 v55, v31
	s_delay_alu instid0(VALU_DEP_1) | instskip(NEXT) | instid1(VALU_DEP_1)
	v_dual_fmamk_f32 v54, v30, 0x32a5705f, v54 :: v_dual_sub_f32 v31, v31, v55
	v_add_f32_e32 v31, v31, v54
	v_cvt_i32_f32_e32 v54, v55
	v_cmp_ngt_f32_e64 s8, 0xc2ce8ed0, v30
	s_delay_alu instid0(VALU_DEP_3) | instskip(SKIP_2) | instid1(VALU_DEP_1)
	v_exp_f32_e32 v31, v31
	s_waitcnt_depctr 0xfff
	v_ldexp_f32 v31, v31, v54
	v_cndmask_b32_e64 v31, 0, v31, s8
	v_cmp_nlt_f32_e64 s8, 0x42b17218, v30
	s_delay_alu instid0(VALU_DEP_1) | instskip(NEXT) | instid1(VALU_DEP_1)
	v_cndmask_b32_e64 v54, 0x7f800000, v31, s8
	v_add_f32_e32 v55, 1.0, v54
	v_cmp_gt_f32_e64 s10, 0x33800000, |v54|
	s_delay_alu instid0(VALU_DEP_2) | instskip(NEXT) | instid1(VALU_DEP_1)
	v_cvt_f64_f32_e32 v[30:31], v55
	v_frexp_exp_i32_f64_e32 v30, v[30:31]
	v_frexp_mant_f32_e32 v31, v55
	s_delay_alu instid0(VALU_DEP_1) | instskip(SKIP_1) | instid1(VALU_DEP_1)
	v_cmp_gt_f32_e64 s8, 0x3f2aaaab, v31
	v_add_f32_e32 v31, -1.0, v55
	v_sub_f32_e32 v65, v31, v55
	v_sub_f32_e32 v31, v54, v31
	s_delay_alu instid0(VALU_DEP_4) | instskip(SKIP_1) | instid1(VALU_DEP_1)
	v_subrev_co_ci_u32_e64 v30, s8, 0, v30, s8
	s_mov_b32 s8, 0x3e9b6dac
	v_sub_nc_u32_e32 v64, 0, v30
	v_cvt_f32_i32_e32 v30, v30
	s_delay_alu instid0(VALU_DEP_2) | instskip(NEXT) | instid1(VALU_DEP_1)
	v_ldexp_f32 v55, v55, v64
	v_dual_add_f32 v65, 1.0, v65 :: v_dual_add_f32 v66, 1.0, v55
	s_delay_alu instid0(VALU_DEP_1) | instskip(NEXT) | instid1(VALU_DEP_2)
	v_add_f32_e32 v31, v31, v65
	v_add_f32_e32 v65, -1.0, v66
	s_delay_alu instid0(VALU_DEP_2) | instskip(NEXT) | instid1(VALU_DEP_2)
	v_ldexp_f32 v31, v31, v64
	v_dual_add_f32 v64, -1.0, v55 :: v_dual_sub_f32 v65, v55, v65
	s_delay_alu instid0(VALU_DEP_1) | instskip(NEXT) | instid1(VALU_DEP_2)
	v_add_f32_e32 v67, 1.0, v64
	v_add_f32_e32 v65, v31, v65
	s_delay_alu instid0(VALU_DEP_2) | instskip(NEXT) | instid1(VALU_DEP_2)
	v_sub_f32_e32 v55, v55, v67
	v_add_f32_e32 v67, v66, v65
	s_delay_alu instid0(VALU_DEP_2) | instskip(NEXT) | instid1(VALU_DEP_2)
	v_add_f32_e32 v31, v31, v55
	v_rcp_f32_e32 v55, v67
	v_sub_f32_e32 v66, v66, v67
	s_delay_alu instid0(VALU_DEP_1) | instskip(NEXT) | instid1(VALU_DEP_1)
	v_dual_add_f32 v68, v64, v31 :: v_dual_add_f32 v65, v65, v66
	v_sub_f32_e32 v64, v64, v68
	s_waitcnt_depctr 0xfff
	v_mul_f32_e32 v69, v68, v55
	v_add_f32_e32 v31, v31, v64
	s_delay_alu instid0(VALU_DEP_2) | instskip(NEXT) | instid1(VALU_DEP_1)
	v_mul_f32_e32 v70, v67, v69
	v_fma_f32 v66, v69, v67, -v70
	s_delay_alu instid0(VALU_DEP_1) | instskip(NEXT) | instid1(VALU_DEP_1)
	v_fmac_f32_e32 v66, v69, v65
	v_add_f32_e32 v71, v70, v66
	s_delay_alu instid0(VALU_DEP_1) | instskip(SKIP_1) | instid1(VALU_DEP_2)
	v_sub_f32_e32 v80, v68, v71
	v_sub_f32_e32 v64, v71, v70
	;; [unrolled: 1-line block ×3, first 2 shown]
	s_delay_alu instid0(VALU_DEP_2) | instskip(NEXT) | instid1(VALU_DEP_2)
	v_sub_f32_e32 v64, v64, v66
	v_sub_f32_e32 v68, v68, v71
	s_delay_alu instid0(VALU_DEP_1) | instskip(NEXT) | instid1(VALU_DEP_1)
	v_add_f32_e32 v31, v31, v68
	v_add_f32_e32 v31, v64, v31
	s_delay_alu instid0(VALU_DEP_1) | instskip(NEXT) | instid1(VALU_DEP_1)
	v_add_f32_e32 v64, v80, v31
	v_mul_f32_e32 v66, v55, v64
	s_delay_alu instid0(VALU_DEP_1) | instskip(NEXT) | instid1(VALU_DEP_1)
	v_dual_sub_f32 v71, v80, v64 :: v_dual_mul_f32 v68, v67, v66
	v_add_f32_e32 v31, v31, v71
	s_delay_alu instid0(VALU_DEP_2) | instskip(NEXT) | instid1(VALU_DEP_1)
	v_fma_f32 v67, v66, v67, -v68
	v_fmac_f32_e32 v67, v66, v65
	s_delay_alu instid0(VALU_DEP_1) | instskip(NEXT) | instid1(VALU_DEP_1)
	v_add_f32_e32 v65, v68, v67
	v_sub_f32_e32 v70, v64, v65
	v_sub_f32_e32 v68, v65, v68
	s_delay_alu instid0(VALU_DEP_2) | instskip(NEXT) | instid1(VALU_DEP_1)
	v_sub_f32_e32 v64, v64, v70
	v_sub_f32_e32 v64, v64, v65
	s_delay_alu instid0(VALU_DEP_1) | instskip(NEXT) | instid1(VALU_DEP_4)
	v_dual_add_f32 v31, v31, v64 :: v_dual_add_f32 v64, v69, v66
	v_sub_f32_e32 v65, v68, v67
	s_delay_alu instid0(VALU_DEP_1) | instskip(NEXT) | instid1(VALU_DEP_3)
	v_add_f32_e32 v31, v65, v31
	v_sub_f32_e32 v65, v64, v69
	s_delay_alu instid0(VALU_DEP_2) | instskip(NEXT) | instid1(VALU_DEP_2)
	v_add_f32_e32 v31, v70, v31
	v_sub_f32_e32 v65, v66, v65
	s_delay_alu instid0(VALU_DEP_2) | instskip(NEXT) | instid1(VALU_DEP_1)
	v_mul_f32_e32 v31, v55, v31
	v_add_f32_e32 v31, v65, v31
	s_delay_alu instid0(VALU_DEP_1) | instskip(NEXT) | instid1(VALU_DEP_1)
	v_add_f32_e32 v55, v64, v31
	v_mul_f32_e32 v65, v55, v55
	s_delay_alu instid0(VALU_DEP_1) | instskip(SKIP_2) | instid1(VALU_DEP_3)
	v_fmaak_f32 v66, s8, v65, 0x3ecc95a3
	v_mul_f32_e32 v67, v55, v65
	v_cmp_eq_f32_e64 s8, 0x7f800000, v54
	v_fmaak_f32 v65, v65, v66, 0x3f2aaada
	v_ldexp_f32 v66, v55, 1
	v_sub_f32_e32 v55, v55, v64
	s_delay_alu instid0(VALU_DEP_4) | instskip(NEXT) | instid1(VALU_DEP_3)
	s_or_b32 s8, s8, s10
	v_mul_f32_e32 v65, v67, v65
	v_mul_f32_e32 v67, 0x3f317218, v30
	s_delay_alu instid0(VALU_DEP_2) | instskip(NEXT) | instid1(VALU_DEP_1)
	v_dual_sub_f32 v31, v31, v55 :: v_dual_add_f32 v64, v66, v65
	v_ldexp_f32 v31, v31, 1
	s_delay_alu instid0(VALU_DEP_2) | instskip(NEXT) | instid1(VALU_DEP_4)
	v_sub_f32_e32 v55, v64, v66
	v_fma_f32 v66, 0x3f317218, v30, -v67
	s_delay_alu instid0(VALU_DEP_1) | instskip(NEXT) | instid1(VALU_DEP_1)
	v_dual_sub_f32 v55, v65, v55 :: v_dual_fmamk_f32 v30, v30, 0xb102e308, v66
	v_add_f32_e32 v31, v31, v55
	s_delay_alu instid0(VALU_DEP_2) | instskip(NEXT) | instid1(VALU_DEP_2)
	v_add_f32_e32 v55, v67, v30
	v_add_f32_e32 v65, v64, v31
	s_delay_alu instid0(VALU_DEP_2) | instskip(NEXT) | instid1(VALU_DEP_2)
	v_sub_f32_e32 v67, v55, v67
	v_add_f32_e32 v66, v55, v65
	v_sub_f32_e32 v64, v65, v64
	s_delay_alu instid0(VALU_DEP_3) | instskip(NEXT) | instid1(VALU_DEP_2)
	v_sub_f32_e32 v30, v30, v67
	v_dual_sub_f32 v68, v66, v55 :: v_dual_sub_f32 v31, v31, v64
	s_delay_alu instid0(VALU_DEP_1) | instskip(NEXT) | instid1(VALU_DEP_2)
	v_sub_f32_e32 v69, v66, v68
	v_dual_sub_f32 v64, v65, v68 :: v_dual_add_f32 v65, v30, v31
	s_delay_alu instid0(VALU_DEP_2) | instskip(NEXT) | instid1(VALU_DEP_1)
	v_sub_f32_e32 v55, v55, v69
	v_dual_add_f32 v55, v64, v55 :: v_dual_sub_f32 v64, v65, v30
	s_delay_alu instid0(VALU_DEP_1) | instskip(NEXT) | instid1(VALU_DEP_2)
	v_add_f32_e32 v55, v65, v55
	v_sub_f32_e32 v65, v65, v64
	v_sub_f32_e32 v31, v31, v64
	s_delay_alu instid0(VALU_DEP_3) | instskip(NEXT) | instid1(VALU_DEP_3)
	v_add_f32_e32 v67, v66, v55
	v_sub_f32_e32 v30, v30, v65
	s_delay_alu instid0(VALU_DEP_2) | instskip(NEXT) | instid1(VALU_DEP_2)
	v_sub_f32_e32 v64, v67, v66
	v_add_f32_e32 v30, v31, v30
	s_delay_alu instid0(VALU_DEP_2) | instskip(NEXT) | instid1(VALU_DEP_1)
	v_sub_f32_e32 v31, v55, v64
	v_add_f32_e32 v30, v30, v31
	s_delay_alu instid0(VALU_DEP_1) | instskip(NEXT) | instid1(VALU_DEP_1)
	v_add_f32_e32 v30, v67, v30
	v_cndmask_b32_e64 v30, v30, v54, s8
	s_delay_alu instid0(VALU_DEP_1) | instskip(NEXT) | instid1(VALU_DEP_1)
	v_add_f32_e32 v27, v27, v30
	v_cvt_f16_f32_e32 v31, v27
	s_delay_alu instid0(VALU_DEP_1)
	v_mov_b32_e32 v30, v31
	v_cvt_f32_f16_e32 v64, v31
.LBB430_252:
	s_or_b32 exec_lo, exec_lo, s9
	v_cvt_f32_f16_e32 v27, v53
	s_delay_alu instid0(VALU_DEP_2) | instskip(SKIP_1) | instid1(VALU_DEP_2)
	v_max_f32_e32 v54, v64, v64
	v_cmp_u_f16_e64 s8, v31, v31
	v_min_f32_e32 v55, v54, v27
	v_max_f32_e32 v54, v54, v27
	s_delay_alu instid0(VALU_DEP_2) | instskip(NEXT) | instid1(VALU_DEP_2)
	v_cndmask_b32_e64 v55, v55, v64, s8
	v_cndmask_b32_e64 v65, v54, v64, s8
	v_cmp_u_f16_e64 s8, v53, v53
	s_delay_alu instid0(VALU_DEP_1) | instskip(NEXT) | instid1(VALU_DEP_3)
	v_cndmask_b32_e64 v54, v55, v27, s8
	v_cndmask_b32_e64 v53, v65, v27, s8
	s_delay_alu instid0(VALU_DEP_2) | instskip(NEXT) | instid1(VALU_DEP_2)
	v_cmp_class_f32_e64 s10, v54, 0x1f8
	v_cmp_neq_f32_e64 s9, v54, v53
	s_delay_alu instid0(VALU_DEP_1) | instskip(NEXT) | instid1(SALU_CYCLE_1)
	s_or_b32 s9, s9, s10
	s_and_saveexec_b32 s10, s9
	s_cbranch_execz .LBB430_254
; %bb.253:
	v_sub_f32_e32 v30, v54, v53
	s_delay_alu instid0(VALU_DEP_1) | instskip(NEXT) | instid1(VALU_DEP_1)
	v_mul_f32_e32 v31, 0x3fb8aa3b, v30
	v_fma_f32 v54, 0x3fb8aa3b, v30, -v31
	v_rndne_f32_e32 v55, v31
	s_delay_alu instid0(VALU_DEP_1) | instskip(SKIP_1) | instid1(VALU_DEP_2)
	v_dual_sub_f32 v31, v31, v55 :: v_dual_fmamk_f32 v54, v30, 0x32a5705f, v54
	v_cmp_ngt_f32_e64 s9, 0xc2ce8ed0, v30
	v_add_f32_e32 v31, v31, v54
	v_cvt_i32_f32_e32 v54, v55
	s_delay_alu instid0(VALU_DEP_2) | instskip(SKIP_2) | instid1(VALU_DEP_1)
	v_exp_f32_e32 v31, v31
	s_waitcnt_depctr 0xfff
	v_ldexp_f32 v31, v31, v54
	v_cndmask_b32_e64 v31, 0, v31, s9
	v_cmp_nlt_f32_e64 s9, 0x42b17218, v30
	s_delay_alu instid0(VALU_DEP_1) | instskip(NEXT) | instid1(VALU_DEP_1)
	v_cndmask_b32_e64 v54, 0x7f800000, v31, s9
	v_add_f32_e32 v55, 1.0, v54
	v_cmp_gt_f32_e64 s11, 0x33800000, |v54|
	s_delay_alu instid0(VALU_DEP_2) | instskip(NEXT) | instid1(VALU_DEP_1)
	v_cvt_f64_f32_e32 v[30:31], v55
	v_frexp_exp_i32_f64_e32 v30, v[30:31]
	v_frexp_mant_f32_e32 v31, v55
	s_delay_alu instid0(VALU_DEP_1) | instskip(SKIP_1) | instid1(VALU_DEP_1)
	v_cmp_gt_f32_e64 s9, 0x3f2aaaab, v31
	v_add_f32_e32 v31, -1.0, v55
	v_sub_f32_e32 v65, v31, v55
	v_sub_f32_e32 v31, v54, v31
	s_delay_alu instid0(VALU_DEP_4) | instskip(SKIP_1) | instid1(VALU_DEP_1)
	v_subrev_co_ci_u32_e64 v30, s9, 0, v30, s9
	s_mov_b32 s9, 0x3e9b6dac
	v_sub_nc_u32_e32 v64, 0, v30
	v_cvt_f32_i32_e32 v30, v30
	s_delay_alu instid0(VALU_DEP_2) | instskip(NEXT) | instid1(VALU_DEP_1)
	v_ldexp_f32 v55, v55, v64
	v_dual_add_f32 v66, 1.0, v55 :: v_dual_add_f32 v65, 1.0, v65
	s_delay_alu instid0(VALU_DEP_1) | instskip(NEXT) | instid1(VALU_DEP_2)
	v_add_f32_e32 v31, v31, v65
	v_add_f32_e32 v65, -1.0, v66
	s_delay_alu instid0(VALU_DEP_2) | instskip(NEXT) | instid1(VALU_DEP_2)
	v_ldexp_f32 v31, v31, v64
	v_dual_add_f32 v64, -1.0, v55 :: v_dual_sub_f32 v65, v55, v65
	s_delay_alu instid0(VALU_DEP_1) | instskip(NEXT) | instid1(VALU_DEP_2)
	v_add_f32_e32 v67, 1.0, v64
	v_add_f32_e32 v65, v31, v65
	s_delay_alu instid0(VALU_DEP_2) | instskip(NEXT) | instid1(VALU_DEP_2)
	v_sub_f32_e32 v55, v55, v67
	v_add_f32_e32 v67, v66, v65
	s_delay_alu instid0(VALU_DEP_2) | instskip(NEXT) | instid1(VALU_DEP_2)
	v_add_f32_e32 v31, v31, v55
	v_rcp_f32_e32 v55, v67
	v_sub_f32_e32 v66, v66, v67
	s_delay_alu instid0(VALU_DEP_1) | instskip(NEXT) | instid1(VALU_DEP_1)
	v_dual_add_f32 v68, v64, v31 :: v_dual_add_f32 v65, v65, v66
	v_sub_f32_e32 v64, v64, v68
	s_waitcnt_depctr 0xfff
	v_mul_f32_e32 v69, v68, v55
	v_add_f32_e32 v31, v31, v64
	s_delay_alu instid0(VALU_DEP_2) | instskip(NEXT) | instid1(VALU_DEP_1)
	v_mul_f32_e32 v70, v67, v69
	v_fma_f32 v66, v69, v67, -v70
	s_delay_alu instid0(VALU_DEP_1) | instskip(NEXT) | instid1(VALU_DEP_1)
	v_fmac_f32_e32 v66, v69, v65
	v_add_f32_e32 v71, v70, v66
	s_delay_alu instid0(VALU_DEP_1) | instskip(SKIP_1) | instid1(VALU_DEP_2)
	v_sub_f32_e32 v80, v68, v71
	v_sub_f32_e32 v64, v71, v70
	;; [unrolled: 1-line block ×3, first 2 shown]
	s_delay_alu instid0(VALU_DEP_2) | instskip(NEXT) | instid1(VALU_DEP_2)
	v_sub_f32_e32 v64, v64, v66
	v_sub_f32_e32 v68, v68, v71
	s_delay_alu instid0(VALU_DEP_1) | instskip(NEXT) | instid1(VALU_DEP_1)
	v_add_f32_e32 v31, v31, v68
	v_add_f32_e32 v31, v64, v31
	s_delay_alu instid0(VALU_DEP_1) | instskip(NEXT) | instid1(VALU_DEP_1)
	v_add_f32_e32 v64, v80, v31
	v_mul_f32_e32 v66, v55, v64
	s_delay_alu instid0(VALU_DEP_1) | instskip(NEXT) | instid1(VALU_DEP_1)
	v_dual_sub_f32 v71, v80, v64 :: v_dual_mul_f32 v68, v67, v66
	v_add_f32_e32 v31, v31, v71
	s_delay_alu instid0(VALU_DEP_2) | instskip(NEXT) | instid1(VALU_DEP_1)
	v_fma_f32 v67, v66, v67, -v68
	v_fmac_f32_e32 v67, v66, v65
	s_delay_alu instid0(VALU_DEP_1) | instskip(NEXT) | instid1(VALU_DEP_1)
	v_add_f32_e32 v65, v68, v67
	v_sub_f32_e32 v70, v64, v65
	v_sub_f32_e32 v68, v65, v68
	s_delay_alu instid0(VALU_DEP_2) | instskip(NEXT) | instid1(VALU_DEP_1)
	v_sub_f32_e32 v64, v64, v70
	v_sub_f32_e32 v64, v64, v65
	s_delay_alu instid0(VALU_DEP_3) | instskip(NEXT) | instid1(VALU_DEP_2)
	v_sub_f32_e32 v65, v68, v67
	v_dual_add_f32 v31, v31, v64 :: v_dual_add_f32 v64, v69, v66
	s_delay_alu instid0(VALU_DEP_1) | instskip(NEXT) | instid1(VALU_DEP_2)
	v_add_f32_e32 v31, v65, v31
	v_sub_f32_e32 v65, v64, v69
	s_delay_alu instid0(VALU_DEP_2) | instskip(NEXT) | instid1(VALU_DEP_2)
	v_add_f32_e32 v31, v70, v31
	v_sub_f32_e32 v65, v66, v65
	s_delay_alu instid0(VALU_DEP_2) | instskip(NEXT) | instid1(VALU_DEP_1)
	v_mul_f32_e32 v31, v55, v31
	v_add_f32_e32 v31, v65, v31
	s_delay_alu instid0(VALU_DEP_1) | instskip(NEXT) | instid1(VALU_DEP_1)
	v_add_f32_e32 v55, v64, v31
	v_mul_f32_e32 v65, v55, v55
	s_delay_alu instid0(VALU_DEP_1) | instskip(SKIP_2) | instid1(VALU_DEP_3)
	v_fmaak_f32 v66, s9, v65, 0x3ecc95a3
	v_mul_f32_e32 v67, v55, v65
	v_cmp_eq_f32_e64 s9, 0x7f800000, v54
	v_fmaak_f32 v65, v65, v66, 0x3f2aaada
	v_ldexp_f32 v66, v55, 1
	v_sub_f32_e32 v55, v55, v64
	s_delay_alu instid0(VALU_DEP_4) | instskip(NEXT) | instid1(VALU_DEP_3)
	s_or_b32 s9, s9, s11
	v_mul_f32_e32 v65, v67, v65
	v_mul_f32_e32 v67, 0x3f317218, v30
	s_delay_alu instid0(VALU_DEP_2) | instskip(NEXT) | instid1(VALU_DEP_1)
	v_dual_sub_f32 v31, v31, v55 :: v_dual_add_f32 v64, v66, v65
	v_ldexp_f32 v31, v31, 1
	s_delay_alu instid0(VALU_DEP_2) | instskip(NEXT) | instid1(VALU_DEP_4)
	v_sub_f32_e32 v55, v64, v66
	v_fma_f32 v66, 0x3f317218, v30, -v67
	s_delay_alu instid0(VALU_DEP_1) | instskip(NEXT) | instid1(VALU_DEP_1)
	v_dual_sub_f32 v55, v65, v55 :: v_dual_fmamk_f32 v30, v30, 0xb102e308, v66
	v_add_f32_e32 v31, v31, v55
	s_delay_alu instid0(VALU_DEP_2) | instskip(NEXT) | instid1(VALU_DEP_2)
	v_add_f32_e32 v55, v67, v30
	v_add_f32_e32 v65, v64, v31
	s_delay_alu instid0(VALU_DEP_2) | instskip(NEXT) | instid1(VALU_DEP_2)
	v_sub_f32_e32 v67, v55, v67
	v_add_f32_e32 v66, v55, v65
	v_sub_f32_e32 v64, v65, v64
	s_delay_alu instid0(VALU_DEP_3) | instskip(NEXT) | instid1(VALU_DEP_2)
	v_sub_f32_e32 v30, v30, v67
	v_dual_sub_f32 v68, v66, v55 :: v_dual_sub_f32 v31, v31, v64
	s_delay_alu instid0(VALU_DEP_1) | instskip(NEXT) | instid1(VALU_DEP_2)
	v_sub_f32_e32 v69, v66, v68
	v_dual_sub_f32 v64, v65, v68 :: v_dual_add_f32 v65, v30, v31
	s_delay_alu instid0(VALU_DEP_2) | instskip(NEXT) | instid1(VALU_DEP_1)
	v_sub_f32_e32 v55, v55, v69
	v_dual_add_f32 v55, v64, v55 :: v_dual_sub_f32 v64, v65, v30
	s_delay_alu instid0(VALU_DEP_1) | instskip(NEXT) | instid1(VALU_DEP_2)
	v_add_f32_e32 v55, v65, v55
	v_sub_f32_e32 v65, v65, v64
	v_sub_f32_e32 v31, v31, v64
	s_delay_alu instid0(VALU_DEP_3) | instskip(NEXT) | instid1(VALU_DEP_3)
	v_add_f32_e32 v67, v66, v55
	v_sub_f32_e32 v30, v30, v65
	s_delay_alu instid0(VALU_DEP_2) | instskip(NEXT) | instid1(VALU_DEP_2)
	v_sub_f32_e32 v64, v67, v66
	v_add_f32_e32 v30, v31, v30
	s_delay_alu instid0(VALU_DEP_2) | instskip(NEXT) | instid1(VALU_DEP_1)
	v_sub_f32_e32 v31, v55, v64
	v_add_f32_e32 v30, v30, v31
	s_delay_alu instid0(VALU_DEP_1) | instskip(NEXT) | instid1(VALU_DEP_1)
	v_add_f32_e32 v30, v67, v30
	v_cndmask_b32_e64 v30, v30, v54, s9
	s_delay_alu instid0(VALU_DEP_1) | instskip(NEXT) | instid1(VALU_DEP_1)
	v_add_f32_e32 v30, v53, v30
	v_cvt_f16_f32_e32 v31, v30
	s_delay_alu instid0(VALU_DEP_1)
	v_mov_b32_e32 v30, v31
	v_cvt_f32_f16_e32 v64, v31
.LBB430_254:
	s_or_b32 exec_lo, exec_lo, s10
	v_cvt_f32_f16_e32 v53, v24
	s_delay_alu instid0(VALU_DEP_2) | instskip(SKIP_1) | instid1(VALU_DEP_2)
	v_max_f32_e32 v54, v64, v64
	v_cmp_u_f16_e64 s9, v31, v31
	v_min_f32_e32 v55, v54, v53
	v_max_f32_e32 v54, v54, v53
	s_delay_alu instid0(VALU_DEP_2) | instskip(NEXT) | instid1(VALU_DEP_2)
	v_cndmask_b32_e64 v55, v55, v64, s9
	v_cndmask_b32_e64 v65, v54, v64, s9
	v_cmp_u_f16_e64 s9, v24, v24
	s_delay_alu instid0(VALU_DEP_1) | instskip(NEXT) | instid1(VALU_DEP_3)
	v_cndmask_b32_e64 v54, v55, v53, s9
	v_cndmask_b32_e64 v24, v65, v53, s9
	s_delay_alu instid0(VALU_DEP_2) | instskip(NEXT) | instid1(VALU_DEP_2)
	v_cmp_class_f32_e64 s11, v54, 0x1f8
	v_cmp_neq_f32_e64 s10, v54, v24
	s_delay_alu instid0(VALU_DEP_1) | instskip(NEXT) | instid1(SALU_CYCLE_1)
	s_or_b32 s10, s10, s11
	s_and_saveexec_b32 s11, s10
	s_cbranch_execz .LBB430_256
; %bb.255:
	v_sub_f32_e32 v30, v54, v24
	s_delay_alu instid0(VALU_DEP_1) | instskip(NEXT) | instid1(VALU_DEP_1)
	v_mul_f32_e32 v31, 0x3fb8aa3b, v30
	v_fma_f32 v54, 0x3fb8aa3b, v30, -v31
	v_rndne_f32_e32 v55, v31
	s_delay_alu instid0(VALU_DEP_1) | instskip(SKIP_1) | instid1(VALU_DEP_2)
	v_dual_sub_f32 v31, v31, v55 :: v_dual_fmamk_f32 v54, v30, 0x32a5705f, v54
	v_cmp_ngt_f32_e64 s10, 0xc2ce8ed0, v30
	v_add_f32_e32 v31, v31, v54
	v_cvt_i32_f32_e32 v54, v55
	s_delay_alu instid0(VALU_DEP_2) | instskip(SKIP_2) | instid1(VALU_DEP_1)
	v_exp_f32_e32 v31, v31
	s_waitcnt_depctr 0xfff
	v_ldexp_f32 v31, v31, v54
	v_cndmask_b32_e64 v31, 0, v31, s10
	v_cmp_nlt_f32_e64 s10, 0x42b17218, v30
	s_delay_alu instid0(VALU_DEP_1) | instskip(NEXT) | instid1(VALU_DEP_1)
	v_cndmask_b32_e64 v54, 0x7f800000, v31, s10
	v_add_f32_e32 v55, 1.0, v54
	v_cmp_gt_f32_e64 s12, 0x33800000, |v54|
	s_delay_alu instid0(VALU_DEP_2) | instskip(NEXT) | instid1(VALU_DEP_1)
	v_cvt_f64_f32_e32 v[30:31], v55
	v_frexp_exp_i32_f64_e32 v30, v[30:31]
	v_frexp_mant_f32_e32 v31, v55
	s_delay_alu instid0(VALU_DEP_1) | instskip(SKIP_1) | instid1(VALU_DEP_1)
	v_cmp_gt_f32_e64 s10, 0x3f2aaaab, v31
	v_add_f32_e32 v31, -1.0, v55
	v_sub_f32_e32 v65, v31, v55
	v_sub_f32_e32 v31, v54, v31
	s_delay_alu instid0(VALU_DEP_4) | instskip(SKIP_1) | instid1(VALU_DEP_1)
	v_subrev_co_ci_u32_e64 v30, s10, 0, v30, s10
	s_mov_b32 s10, 0x3e9b6dac
	v_sub_nc_u32_e32 v64, 0, v30
	v_cvt_f32_i32_e32 v30, v30
	s_delay_alu instid0(VALU_DEP_2) | instskip(NEXT) | instid1(VALU_DEP_1)
	v_ldexp_f32 v55, v55, v64
	v_dual_add_f32 v66, 1.0, v55 :: v_dual_add_f32 v65, 1.0, v65
	s_delay_alu instid0(VALU_DEP_1) | instskip(NEXT) | instid1(VALU_DEP_2)
	v_add_f32_e32 v31, v31, v65
	v_add_f32_e32 v65, -1.0, v66
	s_delay_alu instid0(VALU_DEP_2) | instskip(NEXT) | instid1(VALU_DEP_2)
	v_ldexp_f32 v31, v31, v64
	v_dual_add_f32 v64, -1.0, v55 :: v_dual_sub_f32 v65, v55, v65
	s_delay_alu instid0(VALU_DEP_1) | instskip(NEXT) | instid1(VALU_DEP_2)
	v_add_f32_e32 v67, 1.0, v64
	v_add_f32_e32 v65, v31, v65
	s_delay_alu instid0(VALU_DEP_2) | instskip(NEXT) | instid1(VALU_DEP_2)
	v_sub_f32_e32 v55, v55, v67
	v_add_f32_e32 v67, v66, v65
	s_delay_alu instid0(VALU_DEP_2) | instskip(NEXT) | instid1(VALU_DEP_2)
	v_add_f32_e32 v31, v31, v55
	v_rcp_f32_e32 v55, v67
	v_sub_f32_e32 v66, v66, v67
	s_delay_alu instid0(VALU_DEP_1) | instskip(NEXT) | instid1(VALU_DEP_1)
	v_dual_add_f32 v68, v64, v31 :: v_dual_add_f32 v65, v65, v66
	v_sub_f32_e32 v64, v64, v68
	s_waitcnt_depctr 0xfff
	v_mul_f32_e32 v69, v68, v55
	v_add_f32_e32 v31, v31, v64
	s_delay_alu instid0(VALU_DEP_2) | instskip(NEXT) | instid1(VALU_DEP_1)
	v_mul_f32_e32 v70, v67, v69
	v_fma_f32 v66, v69, v67, -v70
	s_delay_alu instid0(VALU_DEP_1) | instskip(NEXT) | instid1(VALU_DEP_1)
	v_fmac_f32_e32 v66, v69, v65
	v_add_f32_e32 v71, v70, v66
	s_delay_alu instid0(VALU_DEP_1) | instskip(SKIP_1) | instid1(VALU_DEP_2)
	v_sub_f32_e32 v80, v68, v71
	v_sub_f32_e32 v64, v71, v70
	v_sub_f32_e32 v68, v68, v80
	s_delay_alu instid0(VALU_DEP_2) | instskip(NEXT) | instid1(VALU_DEP_2)
	v_sub_f32_e32 v64, v64, v66
	v_sub_f32_e32 v68, v68, v71
	s_delay_alu instid0(VALU_DEP_1) | instskip(NEXT) | instid1(VALU_DEP_1)
	v_add_f32_e32 v31, v31, v68
	v_add_f32_e32 v31, v64, v31
	s_delay_alu instid0(VALU_DEP_1) | instskip(NEXT) | instid1(VALU_DEP_1)
	v_add_f32_e32 v64, v80, v31
	v_mul_f32_e32 v66, v55, v64
	s_delay_alu instid0(VALU_DEP_1) | instskip(NEXT) | instid1(VALU_DEP_1)
	v_dual_sub_f32 v71, v80, v64 :: v_dual_mul_f32 v68, v67, v66
	v_add_f32_e32 v31, v31, v71
	s_delay_alu instid0(VALU_DEP_2) | instskip(NEXT) | instid1(VALU_DEP_1)
	v_fma_f32 v67, v66, v67, -v68
	v_fmac_f32_e32 v67, v66, v65
	s_delay_alu instid0(VALU_DEP_1) | instskip(NEXT) | instid1(VALU_DEP_1)
	v_add_f32_e32 v65, v68, v67
	v_sub_f32_e32 v70, v64, v65
	v_sub_f32_e32 v68, v65, v68
	s_delay_alu instid0(VALU_DEP_2) | instskip(NEXT) | instid1(VALU_DEP_1)
	v_sub_f32_e32 v64, v64, v70
	v_sub_f32_e32 v64, v64, v65
	s_delay_alu instid0(VALU_DEP_3) | instskip(NEXT) | instid1(VALU_DEP_2)
	v_sub_f32_e32 v65, v68, v67
	v_dual_add_f32 v31, v31, v64 :: v_dual_add_f32 v64, v69, v66
	s_delay_alu instid0(VALU_DEP_1) | instskip(NEXT) | instid1(VALU_DEP_2)
	v_add_f32_e32 v31, v65, v31
	v_sub_f32_e32 v65, v64, v69
	s_delay_alu instid0(VALU_DEP_2) | instskip(NEXT) | instid1(VALU_DEP_2)
	v_add_f32_e32 v31, v70, v31
	v_sub_f32_e32 v65, v66, v65
	s_delay_alu instid0(VALU_DEP_2) | instskip(NEXT) | instid1(VALU_DEP_1)
	v_mul_f32_e32 v31, v55, v31
	v_add_f32_e32 v31, v65, v31
	s_delay_alu instid0(VALU_DEP_1) | instskip(NEXT) | instid1(VALU_DEP_1)
	v_add_f32_e32 v55, v64, v31
	v_mul_f32_e32 v65, v55, v55
	s_delay_alu instid0(VALU_DEP_1) | instskip(SKIP_2) | instid1(VALU_DEP_3)
	v_fmaak_f32 v66, s10, v65, 0x3ecc95a3
	v_mul_f32_e32 v67, v55, v65
	v_cmp_eq_f32_e64 s10, 0x7f800000, v54
	v_fmaak_f32 v65, v65, v66, 0x3f2aaada
	v_ldexp_f32 v66, v55, 1
	v_sub_f32_e32 v55, v55, v64
	s_delay_alu instid0(VALU_DEP_4) | instskip(NEXT) | instid1(VALU_DEP_3)
	s_or_b32 s10, s10, s12
	v_mul_f32_e32 v65, v67, v65
	v_mul_f32_e32 v67, 0x3f317218, v30
	s_delay_alu instid0(VALU_DEP_2) | instskip(NEXT) | instid1(VALU_DEP_1)
	v_dual_sub_f32 v31, v31, v55 :: v_dual_add_f32 v64, v66, v65
	v_ldexp_f32 v31, v31, 1
	s_delay_alu instid0(VALU_DEP_2) | instskip(NEXT) | instid1(VALU_DEP_4)
	v_sub_f32_e32 v55, v64, v66
	v_fma_f32 v66, 0x3f317218, v30, -v67
	s_delay_alu instid0(VALU_DEP_1) | instskip(NEXT) | instid1(VALU_DEP_1)
	v_dual_sub_f32 v55, v65, v55 :: v_dual_fmamk_f32 v30, v30, 0xb102e308, v66
	v_add_f32_e32 v31, v31, v55
	s_delay_alu instid0(VALU_DEP_2) | instskip(NEXT) | instid1(VALU_DEP_2)
	v_add_f32_e32 v55, v67, v30
	v_add_f32_e32 v65, v64, v31
	s_delay_alu instid0(VALU_DEP_2) | instskip(NEXT) | instid1(VALU_DEP_2)
	v_sub_f32_e32 v67, v55, v67
	v_add_f32_e32 v66, v55, v65
	v_sub_f32_e32 v64, v65, v64
	s_delay_alu instid0(VALU_DEP_3) | instskip(NEXT) | instid1(VALU_DEP_2)
	v_sub_f32_e32 v30, v30, v67
	v_dual_sub_f32 v68, v66, v55 :: v_dual_sub_f32 v31, v31, v64
	s_delay_alu instid0(VALU_DEP_1) | instskip(NEXT) | instid1(VALU_DEP_2)
	v_sub_f32_e32 v69, v66, v68
	v_dual_sub_f32 v64, v65, v68 :: v_dual_add_f32 v65, v30, v31
	s_delay_alu instid0(VALU_DEP_2) | instskip(NEXT) | instid1(VALU_DEP_1)
	v_sub_f32_e32 v55, v55, v69
	v_dual_add_f32 v55, v64, v55 :: v_dual_sub_f32 v64, v65, v30
	s_delay_alu instid0(VALU_DEP_1) | instskip(NEXT) | instid1(VALU_DEP_2)
	v_add_f32_e32 v55, v65, v55
	v_sub_f32_e32 v65, v65, v64
	v_sub_f32_e32 v31, v31, v64
	s_delay_alu instid0(VALU_DEP_3) | instskip(NEXT) | instid1(VALU_DEP_3)
	v_add_f32_e32 v67, v66, v55
	v_sub_f32_e32 v30, v30, v65
	s_delay_alu instid0(VALU_DEP_2) | instskip(NEXT) | instid1(VALU_DEP_2)
	v_sub_f32_e32 v64, v67, v66
	v_add_f32_e32 v30, v31, v30
	s_delay_alu instid0(VALU_DEP_2) | instskip(NEXT) | instid1(VALU_DEP_1)
	v_sub_f32_e32 v31, v55, v64
	v_add_f32_e32 v30, v30, v31
	s_delay_alu instid0(VALU_DEP_1) | instskip(NEXT) | instid1(VALU_DEP_1)
	v_add_f32_e32 v30, v67, v30
	v_cndmask_b32_e64 v30, v30, v54, s10
	s_delay_alu instid0(VALU_DEP_1) | instskip(NEXT) | instid1(VALU_DEP_1)
	v_add_f32_e32 v24, v24, v30
	v_cvt_f16_f32_e32 v31, v24
	s_delay_alu instid0(VALU_DEP_1)
	v_mov_b32_e32 v30, v31
	v_cvt_f32_f16_e32 v64, v31
.LBB430_256:
	s_or_b32 exec_lo, exec_lo, s11
	v_cvt_f32_f16_e32 v24, v52
	s_delay_alu instid0(VALU_DEP_2) | instskip(SKIP_1) | instid1(VALU_DEP_2)
	v_max_f32_e32 v54, v64, v64
	v_cmp_u_f16_e64 s10, v31, v31
	v_min_f32_e32 v55, v54, v24
	v_max_f32_e32 v54, v54, v24
	s_delay_alu instid0(VALU_DEP_2) | instskip(NEXT) | instid1(VALU_DEP_2)
	v_cndmask_b32_e64 v55, v55, v64, s10
	v_cndmask_b32_e64 v65, v54, v64, s10
	v_cmp_u_f16_e64 s10, v52, v52
	s_delay_alu instid0(VALU_DEP_1) | instskip(NEXT) | instid1(VALU_DEP_3)
	v_cndmask_b32_e64 v54, v55, v24, s10
	v_cndmask_b32_e64 v52, v65, v24, s10
	s_delay_alu instid0(VALU_DEP_2) | instskip(NEXT) | instid1(VALU_DEP_2)
	v_cmp_class_f32_e64 s12, v54, 0x1f8
	v_cmp_neq_f32_e64 s11, v54, v52
	s_delay_alu instid0(VALU_DEP_1) | instskip(NEXT) | instid1(SALU_CYCLE_1)
	s_or_b32 s11, s11, s12
	s_and_saveexec_b32 s12, s11
	s_cbranch_execz .LBB430_258
; %bb.257:
	v_sub_f32_e32 v30, v54, v52
	s_delay_alu instid0(VALU_DEP_1) | instskip(NEXT) | instid1(VALU_DEP_1)
	v_mul_f32_e32 v31, 0x3fb8aa3b, v30
	v_fma_f32 v54, 0x3fb8aa3b, v30, -v31
	v_rndne_f32_e32 v55, v31
	s_delay_alu instid0(VALU_DEP_1) | instskip(SKIP_1) | instid1(VALU_DEP_2)
	v_dual_sub_f32 v31, v31, v55 :: v_dual_fmamk_f32 v54, v30, 0x32a5705f, v54
	v_cmp_ngt_f32_e64 s11, 0xc2ce8ed0, v30
	v_add_f32_e32 v31, v31, v54
	v_cvt_i32_f32_e32 v54, v55
	s_delay_alu instid0(VALU_DEP_2) | instskip(SKIP_2) | instid1(VALU_DEP_1)
	v_exp_f32_e32 v31, v31
	s_waitcnt_depctr 0xfff
	v_ldexp_f32 v31, v31, v54
	v_cndmask_b32_e64 v31, 0, v31, s11
	v_cmp_nlt_f32_e64 s11, 0x42b17218, v30
	s_delay_alu instid0(VALU_DEP_1) | instskip(NEXT) | instid1(VALU_DEP_1)
	v_cndmask_b32_e64 v54, 0x7f800000, v31, s11
	v_add_f32_e32 v55, 1.0, v54
	v_cmp_gt_f32_e64 s13, 0x33800000, |v54|
	s_delay_alu instid0(VALU_DEP_2) | instskip(NEXT) | instid1(VALU_DEP_1)
	v_cvt_f64_f32_e32 v[30:31], v55
	v_frexp_exp_i32_f64_e32 v30, v[30:31]
	v_frexp_mant_f32_e32 v31, v55
	s_delay_alu instid0(VALU_DEP_1) | instskip(SKIP_1) | instid1(VALU_DEP_1)
	v_cmp_gt_f32_e64 s11, 0x3f2aaaab, v31
	v_add_f32_e32 v31, -1.0, v55
	v_sub_f32_e32 v65, v31, v55
	v_sub_f32_e32 v31, v54, v31
	s_delay_alu instid0(VALU_DEP_4) | instskip(SKIP_1) | instid1(VALU_DEP_1)
	v_subrev_co_ci_u32_e64 v30, s11, 0, v30, s11
	s_mov_b32 s11, 0x3e9b6dac
	v_sub_nc_u32_e32 v64, 0, v30
	v_cvt_f32_i32_e32 v30, v30
	s_delay_alu instid0(VALU_DEP_2) | instskip(NEXT) | instid1(VALU_DEP_1)
	v_ldexp_f32 v55, v55, v64
	v_dual_add_f32 v66, 1.0, v55 :: v_dual_add_f32 v65, 1.0, v65
	s_delay_alu instid0(VALU_DEP_1) | instskip(NEXT) | instid1(VALU_DEP_2)
	v_add_f32_e32 v31, v31, v65
	v_add_f32_e32 v65, -1.0, v66
	s_delay_alu instid0(VALU_DEP_2) | instskip(NEXT) | instid1(VALU_DEP_2)
	v_ldexp_f32 v31, v31, v64
	v_dual_add_f32 v64, -1.0, v55 :: v_dual_sub_f32 v65, v55, v65
	s_delay_alu instid0(VALU_DEP_1) | instskip(NEXT) | instid1(VALU_DEP_2)
	v_add_f32_e32 v67, 1.0, v64
	v_add_f32_e32 v65, v31, v65
	s_delay_alu instid0(VALU_DEP_2) | instskip(NEXT) | instid1(VALU_DEP_2)
	v_sub_f32_e32 v55, v55, v67
	v_add_f32_e32 v67, v66, v65
	s_delay_alu instid0(VALU_DEP_2) | instskip(NEXT) | instid1(VALU_DEP_2)
	v_add_f32_e32 v31, v31, v55
	v_rcp_f32_e32 v55, v67
	v_sub_f32_e32 v66, v66, v67
	s_delay_alu instid0(VALU_DEP_1) | instskip(NEXT) | instid1(VALU_DEP_1)
	v_dual_add_f32 v68, v64, v31 :: v_dual_add_f32 v65, v65, v66
	v_sub_f32_e32 v64, v64, v68
	s_waitcnt_depctr 0xfff
	v_mul_f32_e32 v69, v68, v55
	v_add_f32_e32 v31, v31, v64
	s_delay_alu instid0(VALU_DEP_2) | instskip(NEXT) | instid1(VALU_DEP_1)
	v_mul_f32_e32 v70, v67, v69
	v_fma_f32 v66, v69, v67, -v70
	s_delay_alu instid0(VALU_DEP_1) | instskip(NEXT) | instid1(VALU_DEP_1)
	v_fmac_f32_e32 v66, v69, v65
	v_add_f32_e32 v71, v70, v66
	s_delay_alu instid0(VALU_DEP_1) | instskip(SKIP_1) | instid1(VALU_DEP_2)
	v_sub_f32_e32 v80, v68, v71
	v_sub_f32_e32 v64, v71, v70
	;; [unrolled: 1-line block ×3, first 2 shown]
	s_delay_alu instid0(VALU_DEP_2) | instskip(NEXT) | instid1(VALU_DEP_2)
	v_sub_f32_e32 v64, v64, v66
	v_sub_f32_e32 v68, v68, v71
	s_delay_alu instid0(VALU_DEP_1) | instskip(NEXT) | instid1(VALU_DEP_1)
	v_add_f32_e32 v31, v31, v68
	v_add_f32_e32 v31, v64, v31
	s_delay_alu instid0(VALU_DEP_1) | instskip(NEXT) | instid1(VALU_DEP_1)
	v_add_f32_e32 v64, v80, v31
	v_mul_f32_e32 v66, v55, v64
	s_delay_alu instid0(VALU_DEP_1) | instskip(NEXT) | instid1(VALU_DEP_1)
	v_dual_sub_f32 v71, v80, v64 :: v_dual_mul_f32 v68, v67, v66
	v_add_f32_e32 v31, v31, v71
	s_delay_alu instid0(VALU_DEP_2) | instskip(NEXT) | instid1(VALU_DEP_1)
	v_fma_f32 v67, v66, v67, -v68
	v_fmac_f32_e32 v67, v66, v65
	s_delay_alu instid0(VALU_DEP_1) | instskip(NEXT) | instid1(VALU_DEP_1)
	v_add_f32_e32 v65, v68, v67
	v_sub_f32_e32 v70, v64, v65
	v_sub_f32_e32 v68, v65, v68
	s_delay_alu instid0(VALU_DEP_2) | instskip(NEXT) | instid1(VALU_DEP_1)
	v_sub_f32_e32 v64, v64, v70
	v_sub_f32_e32 v64, v64, v65
	s_delay_alu instid0(VALU_DEP_3) | instskip(NEXT) | instid1(VALU_DEP_2)
	v_sub_f32_e32 v65, v68, v67
	v_dual_add_f32 v31, v31, v64 :: v_dual_add_f32 v64, v69, v66
	s_delay_alu instid0(VALU_DEP_1) | instskip(NEXT) | instid1(VALU_DEP_2)
	v_add_f32_e32 v31, v65, v31
	v_sub_f32_e32 v65, v64, v69
	s_delay_alu instid0(VALU_DEP_2) | instskip(NEXT) | instid1(VALU_DEP_2)
	v_add_f32_e32 v31, v70, v31
	v_sub_f32_e32 v65, v66, v65
	s_delay_alu instid0(VALU_DEP_2) | instskip(NEXT) | instid1(VALU_DEP_1)
	v_mul_f32_e32 v31, v55, v31
	v_add_f32_e32 v31, v65, v31
	s_delay_alu instid0(VALU_DEP_1) | instskip(NEXT) | instid1(VALU_DEP_1)
	v_add_f32_e32 v55, v64, v31
	v_mul_f32_e32 v65, v55, v55
	s_delay_alu instid0(VALU_DEP_1) | instskip(SKIP_2) | instid1(VALU_DEP_3)
	v_fmaak_f32 v66, s11, v65, 0x3ecc95a3
	v_mul_f32_e32 v67, v55, v65
	v_cmp_eq_f32_e64 s11, 0x7f800000, v54
	v_fmaak_f32 v65, v65, v66, 0x3f2aaada
	v_ldexp_f32 v66, v55, 1
	v_sub_f32_e32 v55, v55, v64
	s_delay_alu instid0(VALU_DEP_4) | instskip(NEXT) | instid1(VALU_DEP_3)
	s_or_b32 s11, s11, s13
	v_mul_f32_e32 v65, v67, v65
	v_mul_f32_e32 v67, 0x3f317218, v30
	s_delay_alu instid0(VALU_DEP_2) | instskip(NEXT) | instid1(VALU_DEP_1)
	v_dual_sub_f32 v31, v31, v55 :: v_dual_add_f32 v64, v66, v65
	v_ldexp_f32 v31, v31, 1
	s_delay_alu instid0(VALU_DEP_2) | instskip(NEXT) | instid1(VALU_DEP_4)
	v_sub_f32_e32 v55, v64, v66
	v_fma_f32 v66, 0x3f317218, v30, -v67
	s_delay_alu instid0(VALU_DEP_1) | instskip(NEXT) | instid1(VALU_DEP_1)
	v_dual_sub_f32 v55, v65, v55 :: v_dual_fmamk_f32 v30, v30, 0xb102e308, v66
	v_add_f32_e32 v31, v31, v55
	s_delay_alu instid0(VALU_DEP_2) | instskip(NEXT) | instid1(VALU_DEP_2)
	v_add_f32_e32 v55, v67, v30
	v_add_f32_e32 v65, v64, v31
	s_delay_alu instid0(VALU_DEP_2) | instskip(NEXT) | instid1(VALU_DEP_2)
	v_sub_f32_e32 v67, v55, v67
	v_add_f32_e32 v66, v55, v65
	v_sub_f32_e32 v64, v65, v64
	s_delay_alu instid0(VALU_DEP_3) | instskip(NEXT) | instid1(VALU_DEP_2)
	v_sub_f32_e32 v30, v30, v67
	v_dual_sub_f32 v68, v66, v55 :: v_dual_sub_f32 v31, v31, v64
	s_delay_alu instid0(VALU_DEP_1) | instskip(NEXT) | instid1(VALU_DEP_2)
	v_sub_f32_e32 v69, v66, v68
	v_dual_sub_f32 v64, v65, v68 :: v_dual_add_f32 v65, v30, v31
	s_delay_alu instid0(VALU_DEP_2) | instskip(NEXT) | instid1(VALU_DEP_1)
	v_sub_f32_e32 v55, v55, v69
	v_dual_add_f32 v55, v64, v55 :: v_dual_sub_f32 v64, v65, v30
	s_delay_alu instid0(VALU_DEP_1) | instskip(NEXT) | instid1(VALU_DEP_2)
	v_add_f32_e32 v55, v65, v55
	v_sub_f32_e32 v65, v65, v64
	v_sub_f32_e32 v31, v31, v64
	s_delay_alu instid0(VALU_DEP_3) | instskip(NEXT) | instid1(VALU_DEP_3)
	v_add_f32_e32 v67, v66, v55
	v_sub_f32_e32 v30, v30, v65
	s_delay_alu instid0(VALU_DEP_2) | instskip(NEXT) | instid1(VALU_DEP_2)
	v_sub_f32_e32 v64, v67, v66
	v_add_f32_e32 v30, v31, v30
	s_delay_alu instid0(VALU_DEP_2) | instskip(NEXT) | instid1(VALU_DEP_1)
	v_sub_f32_e32 v31, v55, v64
	v_add_f32_e32 v30, v30, v31
	s_delay_alu instid0(VALU_DEP_1) | instskip(NEXT) | instid1(VALU_DEP_1)
	v_add_f32_e32 v30, v67, v30
	v_cndmask_b32_e64 v30, v30, v54, s11
	s_delay_alu instid0(VALU_DEP_1) | instskip(NEXT) | instid1(VALU_DEP_1)
	v_add_f32_e32 v30, v52, v30
	v_cvt_f16_f32_e32 v31, v30
	s_delay_alu instid0(VALU_DEP_1)
	v_mov_b32_e32 v30, v31
	v_cvt_f32_f16_e32 v64, v31
.LBB430_258:
	s_or_b32 exec_lo, exec_lo, s12
	v_cvt_f32_f16_e32 v52, v25
	s_delay_alu instid0(VALU_DEP_2) | instskip(SKIP_1) | instid1(VALU_DEP_2)
	v_max_f32_e32 v54, v64, v64
	v_cmp_u_f16_e64 s11, v31, v31
	v_min_f32_e32 v55, v54, v52
	v_max_f32_e32 v54, v54, v52
	s_delay_alu instid0(VALU_DEP_2) | instskip(NEXT) | instid1(VALU_DEP_2)
	v_cndmask_b32_e64 v55, v55, v64, s11
	v_cndmask_b32_e64 v65, v54, v64, s11
	v_cmp_u_f16_e64 s11, v25, v25
	s_delay_alu instid0(VALU_DEP_1) | instskip(NEXT) | instid1(VALU_DEP_3)
	v_cndmask_b32_e64 v54, v55, v52, s11
	v_cndmask_b32_e64 v25, v65, v52, s11
	s_delay_alu instid0(VALU_DEP_2) | instskip(NEXT) | instid1(VALU_DEP_2)
	v_cmp_class_f32_e64 s13, v54, 0x1f8
	v_cmp_neq_f32_e64 s12, v54, v25
	s_delay_alu instid0(VALU_DEP_1) | instskip(NEXT) | instid1(SALU_CYCLE_1)
	s_or_b32 s12, s12, s13
	s_and_saveexec_b32 s13, s12
	s_cbranch_execz .LBB430_260
; %bb.259:
	v_sub_f32_e32 v30, v54, v25
	s_delay_alu instid0(VALU_DEP_1) | instskip(NEXT) | instid1(VALU_DEP_1)
	v_mul_f32_e32 v31, 0x3fb8aa3b, v30
	v_fma_f32 v54, 0x3fb8aa3b, v30, -v31
	v_rndne_f32_e32 v55, v31
	s_delay_alu instid0(VALU_DEP_1) | instskip(SKIP_1) | instid1(VALU_DEP_2)
	v_dual_sub_f32 v31, v31, v55 :: v_dual_fmamk_f32 v54, v30, 0x32a5705f, v54
	v_cmp_ngt_f32_e64 s12, 0xc2ce8ed0, v30
	v_add_f32_e32 v31, v31, v54
	v_cvt_i32_f32_e32 v54, v55
	s_delay_alu instid0(VALU_DEP_2) | instskip(SKIP_2) | instid1(VALU_DEP_1)
	v_exp_f32_e32 v31, v31
	s_waitcnt_depctr 0xfff
	v_ldexp_f32 v31, v31, v54
	v_cndmask_b32_e64 v31, 0, v31, s12
	v_cmp_nlt_f32_e64 s12, 0x42b17218, v30
	s_delay_alu instid0(VALU_DEP_1) | instskip(NEXT) | instid1(VALU_DEP_1)
	v_cndmask_b32_e64 v54, 0x7f800000, v31, s12
	v_add_f32_e32 v55, 1.0, v54
	v_cmp_gt_f32_e64 s14, 0x33800000, |v54|
	s_delay_alu instid0(VALU_DEP_2) | instskip(NEXT) | instid1(VALU_DEP_1)
	v_cvt_f64_f32_e32 v[30:31], v55
	v_frexp_exp_i32_f64_e32 v30, v[30:31]
	v_frexp_mant_f32_e32 v31, v55
	s_delay_alu instid0(VALU_DEP_1) | instskip(SKIP_1) | instid1(VALU_DEP_1)
	v_cmp_gt_f32_e64 s12, 0x3f2aaaab, v31
	v_add_f32_e32 v31, -1.0, v55
	v_sub_f32_e32 v65, v31, v55
	v_sub_f32_e32 v31, v54, v31
	s_delay_alu instid0(VALU_DEP_4) | instskip(SKIP_1) | instid1(VALU_DEP_1)
	v_subrev_co_ci_u32_e64 v30, s12, 0, v30, s12
	s_mov_b32 s12, 0x3e9b6dac
	v_sub_nc_u32_e32 v64, 0, v30
	v_cvt_f32_i32_e32 v30, v30
	s_delay_alu instid0(VALU_DEP_2) | instskip(NEXT) | instid1(VALU_DEP_1)
	v_ldexp_f32 v55, v55, v64
	v_dual_add_f32 v66, 1.0, v55 :: v_dual_add_f32 v65, 1.0, v65
	s_delay_alu instid0(VALU_DEP_1) | instskip(NEXT) | instid1(VALU_DEP_2)
	v_add_f32_e32 v31, v31, v65
	v_add_f32_e32 v65, -1.0, v66
	s_delay_alu instid0(VALU_DEP_2) | instskip(NEXT) | instid1(VALU_DEP_2)
	v_ldexp_f32 v31, v31, v64
	v_dual_add_f32 v64, -1.0, v55 :: v_dual_sub_f32 v65, v55, v65
	s_delay_alu instid0(VALU_DEP_1) | instskip(NEXT) | instid1(VALU_DEP_2)
	v_add_f32_e32 v67, 1.0, v64
	v_add_f32_e32 v65, v31, v65
	s_delay_alu instid0(VALU_DEP_2) | instskip(NEXT) | instid1(VALU_DEP_2)
	v_sub_f32_e32 v55, v55, v67
	v_add_f32_e32 v67, v66, v65
	s_delay_alu instid0(VALU_DEP_2) | instskip(NEXT) | instid1(VALU_DEP_2)
	v_add_f32_e32 v31, v31, v55
	v_rcp_f32_e32 v55, v67
	v_sub_f32_e32 v66, v66, v67
	s_delay_alu instid0(VALU_DEP_1) | instskip(NEXT) | instid1(VALU_DEP_1)
	v_dual_add_f32 v68, v64, v31 :: v_dual_add_f32 v65, v65, v66
	v_sub_f32_e32 v64, v64, v68
	s_waitcnt_depctr 0xfff
	v_mul_f32_e32 v69, v68, v55
	v_add_f32_e32 v31, v31, v64
	s_delay_alu instid0(VALU_DEP_2) | instskip(NEXT) | instid1(VALU_DEP_1)
	v_mul_f32_e32 v70, v67, v69
	v_fma_f32 v66, v69, v67, -v70
	s_delay_alu instid0(VALU_DEP_1) | instskip(NEXT) | instid1(VALU_DEP_1)
	v_fmac_f32_e32 v66, v69, v65
	v_add_f32_e32 v71, v70, v66
	s_delay_alu instid0(VALU_DEP_1) | instskip(SKIP_1) | instid1(VALU_DEP_2)
	v_sub_f32_e32 v80, v68, v71
	v_sub_f32_e32 v64, v71, v70
	;; [unrolled: 1-line block ×3, first 2 shown]
	s_delay_alu instid0(VALU_DEP_2) | instskip(NEXT) | instid1(VALU_DEP_2)
	v_sub_f32_e32 v64, v64, v66
	v_sub_f32_e32 v68, v68, v71
	s_delay_alu instid0(VALU_DEP_1) | instskip(NEXT) | instid1(VALU_DEP_1)
	v_add_f32_e32 v31, v31, v68
	v_add_f32_e32 v31, v64, v31
	s_delay_alu instid0(VALU_DEP_1) | instskip(NEXT) | instid1(VALU_DEP_1)
	v_add_f32_e32 v64, v80, v31
	v_mul_f32_e32 v66, v55, v64
	s_delay_alu instid0(VALU_DEP_1) | instskip(NEXT) | instid1(VALU_DEP_1)
	v_dual_sub_f32 v71, v80, v64 :: v_dual_mul_f32 v68, v67, v66
	v_add_f32_e32 v31, v31, v71
	s_delay_alu instid0(VALU_DEP_2) | instskip(NEXT) | instid1(VALU_DEP_1)
	v_fma_f32 v67, v66, v67, -v68
	v_fmac_f32_e32 v67, v66, v65
	s_delay_alu instid0(VALU_DEP_1) | instskip(NEXT) | instid1(VALU_DEP_1)
	v_add_f32_e32 v65, v68, v67
	v_sub_f32_e32 v70, v64, v65
	v_sub_f32_e32 v68, v65, v68
	s_delay_alu instid0(VALU_DEP_2) | instskip(NEXT) | instid1(VALU_DEP_1)
	v_sub_f32_e32 v64, v64, v70
	v_sub_f32_e32 v64, v64, v65
	s_delay_alu instid0(VALU_DEP_3) | instskip(NEXT) | instid1(VALU_DEP_2)
	v_sub_f32_e32 v65, v68, v67
	v_dual_add_f32 v31, v31, v64 :: v_dual_add_f32 v64, v69, v66
	s_delay_alu instid0(VALU_DEP_1) | instskip(NEXT) | instid1(VALU_DEP_2)
	v_add_f32_e32 v31, v65, v31
	v_sub_f32_e32 v65, v64, v69
	s_delay_alu instid0(VALU_DEP_2) | instskip(NEXT) | instid1(VALU_DEP_2)
	v_add_f32_e32 v31, v70, v31
	v_sub_f32_e32 v65, v66, v65
	s_delay_alu instid0(VALU_DEP_2) | instskip(NEXT) | instid1(VALU_DEP_1)
	v_mul_f32_e32 v31, v55, v31
	v_add_f32_e32 v31, v65, v31
	s_delay_alu instid0(VALU_DEP_1) | instskip(NEXT) | instid1(VALU_DEP_1)
	v_add_f32_e32 v55, v64, v31
	v_mul_f32_e32 v65, v55, v55
	s_delay_alu instid0(VALU_DEP_1) | instskip(SKIP_2) | instid1(VALU_DEP_3)
	v_fmaak_f32 v66, s12, v65, 0x3ecc95a3
	v_mul_f32_e32 v67, v55, v65
	v_cmp_eq_f32_e64 s12, 0x7f800000, v54
	v_fmaak_f32 v65, v65, v66, 0x3f2aaada
	v_ldexp_f32 v66, v55, 1
	v_sub_f32_e32 v55, v55, v64
	s_delay_alu instid0(VALU_DEP_4) | instskip(NEXT) | instid1(VALU_DEP_3)
	s_or_b32 s12, s12, s14
	v_mul_f32_e32 v65, v67, v65
	v_mul_f32_e32 v67, 0x3f317218, v30
	s_delay_alu instid0(VALU_DEP_2) | instskip(NEXT) | instid1(VALU_DEP_1)
	v_dual_sub_f32 v31, v31, v55 :: v_dual_add_f32 v64, v66, v65
	v_ldexp_f32 v31, v31, 1
	s_delay_alu instid0(VALU_DEP_2) | instskip(NEXT) | instid1(VALU_DEP_4)
	v_sub_f32_e32 v55, v64, v66
	v_fma_f32 v66, 0x3f317218, v30, -v67
	s_delay_alu instid0(VALU_DEP_1) | instskip(NEXT) | instid1(VALU_DEP_1)
	v_dual_sub_f32 v55, v65, v55 :: v_dual_fmamk_f32 v30, v30, 0xb102e308, v66
	v_add_f32_e32 v31, v31, v55
	s_delay_alu instid0(VALU_DEP_2) | instskip(NEXT) | instid1(VALU_DEP_2)
	v_add_f32_e32 v55, v67, v30
	v_add_f32_e32 v65, v64, v31
	s_delay_alu instid0(VALU_DEP_2) | instskip(NEXT) | instid1(VALU_DEP_2)
	v_sub_f32_e32 v67, v55, v67
	v_add_f32_e32 v66, v55, v65
	v_sub_f32_e32 v64, v65, v64
	s_delay_alu instid0(VALU_DEP_3) | instskip(NEXT) | instid1(VALU_DEP_2)
	v_sub_f32_e32 v30, v30, v67
	v_dual_sub_f32 v68, v66, v55 :: v_dual_sub_f32 v31, v31, v64
	s_delay_alu instid0(VALU_DEP_1) | instskip(NEXT) | instid1(VALU_DEP_2)
	v_sub_f32_e32 v69, v66, v68
	v_dual_sub_f32 v64, v65, v68 :: v_dual_add_f32 v65, v30, v31
	s_delay_alu instid0(VALU_DEP_2) | instskip(NEXT) | instid1(VALU_DEP_1)
	v_sub_f32_e32 v55, v55, v69
	v_dual_add_f32 v55, v64, v55 :: v_dual_sub_f32 v64, v65, v30
	s_delay_alu instid0(VALU_DEP_1) | instskip(NEXT) | instid1(VALU_DEP_2)
	v_add_f32_e32 v55, v65, v55
	v_sub_f32_e32 v65, v65, v64
	v_sub_f32_e32 v31, v31, v64
	s_delay_alu instid0(VALU_DEP_3) | instskip(NEXT) | instid1(VALU_DEP_3)
	v_add_f32_e32 v67, v66, v55
	v_sub_f32_e32 v30, v30, v65
	s_delay_alu instid0(VALU_DEP_2) | instskip(NEXT) | instid1(VALU_DEP_2)
	v_sub_f32_e32 v64, v67, v66
	v_add_f32_e32 v30, v31, v30
	s_delay_alu instid0(VALU_DEP_2) | instskip(NEXT) | instid1(VALU_DEP_1)
	v_sub_f32_e32 v31, v55, v64
	v_add_f32_e32 v30, v30, v31
	s_delay_alu instid0(VALU_DEP_1) | instskip(NEXT) | instid1(VALU_DEP_1)
	v_add_f32_e32 v30, v67, v30
	v_cndmask_b32_e64 v30, v30, v54, s12
	s_delay_alu instid0(VALU_DEP_1) | instskip(NEXT) | instid1(VALU_DEP_1)
	v_add_f32_e32 v25, v25, v30
	v_cvt_f16_f32_e32 v31, v25
	s_delay_alu instid0(VALU_DEP_1)
	v_mov_b32_e32 v30, v31
	v_cvt_f32_f16_e32 v64, v31
.LBB430_260:
	s_or_b32 exec_lo, exec_lo, s13
	v_cvt_f32_f16_e32 v25, v51
	s_delay_alu instid0(VALU_DEP_2) | instskip(SKIP_1) | instid1(VALU_DEP_2)
	v_max_f32_e32 v54, v64, v64
	v_cmp_u_f16_e64 s12, v31, v31
	v_min_f32_e32 v55, v54, v25
	v_max_f32_e32 v54, v54, v25
	s_delay_alu instid0(VALU_DEP_2) | instskip(NEXT) | instid1(VALU_DEP_2)
	v_cndmask_b32_e64 v55, v55, v64, s12
	v_cndmask_b32_e64 v65, v54, v64, s12
	v_cmp_u_f16_e64 s12, v51, v51
	s_delay_alu instid0(VALU_DEP_1) | instskip(NEXT) | instid1(VALU_DEP_3)
	v_cndmask_b32_e64 v54, v55, v25, s12
	v_cndmask_b32_e64 v51, v65, v25, s12
	s_delay_alu instid0(VALU_DEP_2) | instskip(NEXT) | instid1(VALU_DEP_2)
	v_cmp_class_f32_e64 s14, v54, 0x1f8
	v_cmp_neq_f32_e64 s13, v54, v51
	s_delay_alu instid0(VALU_DEP_1) | instskip(NEXT) | instid1(SALU_CYCLE_1)
	s_or_b32 s13, s13, s14
	s_and_saveexec_b32 s14, s13
	s_cbranch_execz .LBB430_262
; %bb.261:
	v_sub_f32_e32 v30, v54, v51
	s_delay_alu instid0(VALU_DEP_1) | instskip(NEXT) | instid1(VALU_DEP_1)
	v_mul_f32_e32 v31, 0x3fb8aa3b, v30
	v_fma_f32 v54, 0x3fb8aa3b, v30, -v31
	v_rndne_f32_e32 v55, v31
	s_delay_alu instid0(VALU_DEP_1) | instskip(NEXT) | instid1(VALU_DEP_1)
	v_dual_fmamk_f32 v54, v30, 0x32a5705f, v54 :: v_dual_sub_f32 v31, v31, v55
	v_add_f32_e32 v31, v31, v54
	v_cvt_i32_f32_e32 v54, v55
	v_cmp_ngt_f32_e64 s13, 0xc2ce8ed0, v30
	s_delay_alu instid0(VALU_DEP_3) | instskip(SKIP_2) | instid1(VALU_DEP_1)
	v_exp_f32_e32 v31, v31
	s_waitcnt_depctr 0xfff
	v_ldexp_f32 v31, v31, v54
	v_cndmask_b32_e64 v31, 0, v31, s13
	v_cmp_nlt_f32_e64 s13, 0x42b17218, v30
	s_delay_alu instid0(VALU_DEP_1) | instskip(NEXT) | instid1(VALU_DEP_1)
	v_cndmask_b32_e64 v54, 0x7f800000, v31, s13
	v_add_f32_e32 v55, 1.0, v54
	v_cmp_gt_f32_e64 s15, 0x33800000, |v54|
	s_delay_alu instid0(VALU_DEP_2) | instskip(NEXT) | instid1(VALU_DEP_1)
	v_cvt_f64_f32_e32 v[30:31], v55
	v_frexp_exp_i32_f64_e32 v30, v[30:31]
	v_frexp_mant_f32_e32 v31, v55
	s_delay_alu instid0(VALU_DEP_1) | instskip(SKIP_1) | instid1(VALU_DEP_1)
	v_cmp_gt_f32_e64 s13, 0x3f2aaaab, v31
	v_add_f32_e32 v31, -1.0, v55
	v_sub_f32_e32 v65, v31, v55
	v_sub_f32_e32 v31, v54, v31
	s_delay_alu instid0(VALU_DEP_4) | instskip(SKIP_1) | instid1(VALU_DEP_1)
	v_subrev_co_ci_u32_e64 v30, s13, 0, v30, s13
	s_mov_b32 s13, 0x3e9b6dac
	v_sub_nc_u32_e32 v64, 0, v30
	v_cvt_f32_i32_e32 v30, v30
	s_delay_alu instid0(VALU_DEP_2) | instskip(NEXT) | instid1(VALU_DEP_1)
	v_ldexp_f32 v55, v55, v64
	v_dual_add_f32 v65, 1.0, v65 :: v_dual_add_f32 v66, 1.0, v55
	s_delay_alu instid0(VALU_DEP_1) | instskip(NEXT) | instid1(VALU_DEP_2)
	v_add_f32_e32 v31, v31, v65
	v_add_f32_e32 v65, -1.0, v66
	s_delay_alu instid0(VALU_DEP_2) | instskip(NEXT) | instid1(VALU_DEP_2)
	v_ldexp_f32 v31, v31, v64
	v_dual_add_f32 v64, -1.0, v55 :: v_dual_sub_f32 v65, v55, v65
	s_delay_alu instid0(VALU_DEP_1) | instskip(NEXT) | instid1(VALU_DEP_2)
	v_add_f32_e32 v67, 1.0, v64
	v_add_f32_e32 v65, v31, v65
	s_delay_alu instid0(VALU_DEP_2) | instskip(NEXT) | instid1(VALU_DEP_2)
	v_sub_f32_e32 v55, v55, v67
	v_add_f32_e32 v67, v66, v65
	s_delay_alu instid0(VALU_DEP_2) | instskip(NEXT) | instid1(VALU_DEP_2)
	v_add_f32_e32 v31, v31, v55
	v_rcp_f32_e32 v55, v67
	v_sub_f32_e32 v66, v66, v67
	s_delay_alu instid0(VALU_DEP_1) | instskip(NEXT) | instid1(VALU_DEP_1)
	v_dual_add_f32 v68, v64, v31 :: v_dual_add_f32 v65, v65, v66
	v_sub_f32_e32 v64, v64, v68
	s_waitcnt_depctr 0xfff
	v_mul_f32_e32 v69, v68, v55
	v_add_f32_e32 v31, v31, v64
	s_delay_alu instid0(VALU_DEP_2) | instskip(NEXT) | instid1(VALU_DEP_1)
	v_mul_f32_e32 v70, v67, v69
	v_fma_f32 v66, v69, v67, -v70
	s_delay_alu instid0(VALU_DEP_1) | instskip(NEXT) | instid1(VALU_DEP_1)
	v_fmac_f32_e32 v66, v69, v65
	v_add_f32_e32 v71, v70, v66
	s_delay_alu instid0(VALU_DEP_1) | instskip(SKIP_1) | instid1(VALU_DEP_2)
	v_sub_f32_e32 v80, v68, v71
	v_sub_f32_e32 v64, v71, v70
	v_sub_f32_e32 v68, v68, v80
	s_delay_alu instid0(VALU_DEP_2) | instskip(NEXT) | instid1(VALU_DEP_2)
	v_sub_f32_e32 v64, v64, v66
	v_sub_f32_e32 v68, v68, v71
	s_delay_alu instid0(VALU_DEP_1) | instskip(NEXT) | instid1(VALU_DEP_1)
	v_add_f32_e32 v31, v31, v68
	v_add_f32_e32 v31, v64, v31
	s_delay_alu instid0(VALU_DEP_1) | instskip(NEXT) | instid1(VALU_DEP_1)
	v_add_f32_e32 v64, v80, v31
	v_mul_f32_e32 v66, v55, v64
	s_delay_alu instid0(VALU_DEP_1) | instskip(NEXT) | instid1(VALU_DEP_1)
	v_dual_sub_f32 v71, v80, v64 :: v_dual_mul_f32 v68, v67, v66
	v_add_f32_e32 v31, v31, v71
	s_delay_alu instid0(VALU_DEP_2) | instskip(NEXT) | instid1(VALU_DEP_1)
	v_fma_f32 v67, v66, v67, -v68
	v_fmac_f32_e32 v67, v66, v65
	s_delay_alu instid0(VALU_DEP_1) | instskip(NEXT) | instid1(VALU_DEP_1)
	v_add_f32_e32 v65, v68, v67
	v_sub_f32_e32 v70, v64, v65
	v_sub_f32_e32 v68, v65, v68
	s_delay_alu instid0(VALU_DEP_2) | instskip(NEXT) | instid1(VALU_DEP_1)
	v_sub_f32_e32 v64, v64, v70
	v_sub_f32_e32 v64, v64, v65
	s_delay_alu instid0(VALU_DEP_1) | instskip(NEXT) | instid1(VALU_DEP_4)
	v_dual_add_f32 v31, v31, v64 :: v_dual_add_f32 v64, v69, v66
	v_sub_f32_e32 v65, v68, v67
	s_delay_alu instid0(VALU_DEP_1) | instskip(NEXT) | instid1(VALU_DEP_3)
	v_add_f32_e32 v31, v65, v31
	v_sub_f32_e32 v65, v64, v69
	s_delay_alu instid0(VALU_DEP_2) | instskip(NEXT) | instid1(VALU_DEP_2)
	v_add_f32_e32 v31, v70, v31
	v_sub_f32_e32 v65, v66, v65
	s_delay_alu instid0(VALU_DEP_2) | instskip(NEXT) | instid1(VALU_DEP_1)
	v_mul_f32_e32 v31, v55, v31
	v_add_f32_e32 v31, v65, v31
	s_delay_alu instid0(VALU_DEP_1) | instskip(NEXT) | instid1(VALU_DEP_1)
	v_add_f32_e32 v55, v64, v31
	v_mul_f32_e32 v65, v55, v55
	s_delay_alu instid0(VALU_DEP_1) | instskip(SKIP_2) | instid1(VALU_DEP_3)
	v_fmaak_f32 v66, s13, v65, 0x3ecc95a3
	v_mul_f32_e32 v67, v55, v65
	v_cmp_eq_f32_e64 s13, 0x7f800000, v54
	v_fmaak_f32 v65, v65, v66, 0x3f2aaada
	v_ldexp_f32 v66, v55, 1
	v_sub_f32_e32 v55, v55, v64
	s_delay_alu instid0(VALU_DEP_4) | instskip(NEXT) | instid1(VALU_DEP_3)
	s_or_b32 s13, s13, s15
	v_mul_f32_e32 v65, v67, v65
	v_mul_f32_e32 v67, 0x3f317218, v30
	s_delay_alu instid0(VALU_DEP_2) | instskip(NEXT) | instid1(VALU_DEP_1)
	v_dual_sub_f32 v31, v31, v55 :: v_dual_add_f32 v64, v66, v65
	v_ldexp_f32 v31, v31, 1
	s_delay_alu instid0(VALU_DEP_2) | instskip(NEXT) | instid1(VALU_DEP_4)
	v_sub_f32_e32 v55, v64, v66
	v_fma_f32 v66, 0x3f317218, v30, -v67
	s_delay_alu instid0(VALU_DEP_1) | instskip(NEXT) | instid1(VALU_DEP_1)
	v_dual_sub_f32 v55, v65, v55 :: v_dual_fmamk_f32 v30, v30, 0xb102e308, v66
	v_add_f32_e32 v31, v31, v55
	s_delay_alu instid0(VALU_DEP_2) | instskip(NEXT) | instid1(VALU_DEP_2)
	v_add_f32_e32 v55, v67, v30
	v_add_f32_e32 v65, v64, v31
	s_delay_alu instid0(VALU_DEP_2) | instskip(NEXT) | instid1(VALU_DEP_2)
	v_sub_f32_e32 v67, v55, v67
	v_add_f32_e32 v66, v55, v65
	v_sub_f32_e32 v64, v65, v64
	s_delay_alu instid0(VALU_DEP_3) | instskip(NEXT) | instid1(VALU_DEP_2)
	v_sub_f32_e32 v30, v30, v67
	v_dual_sub_f32 v68, v66, v55 :: v_dual_sub_f32 v31, v31, v64
	s_delay_alu instid0(VALU_DEP_1) | instskip(NEXT) | instid1(VALU_DEP_2)
	v_sub_f32_e32 v69, v66, v68
	v_dual_sub_f32 v64, v65, v68 :: v_dual_add_f32 v65, v30, v31
	s_delay_alu instid0(VALU_DEP_2) | instskip(NEXT) | instid1(VALU_DEP_1)
	v_sub_f32_e32 v55, v55, v69
	v_dual_add_f32 v55, v64, v55 :: v_dual_sub_f32 v64, v65, v30
	s_delay_alu instid0(VALU_DEP_1) | instskip(NEXT) | instid1(VALU_DEP_2)
	v_add_f32_e32 v55, v65, v55
	v_sub_f32_e32 v65, v65, v64
	v_sub_f32_e32 v31, v31, v64
	s_delay_alu instid0(VALU_DEP_3) | instskip(NEXT) | instid1(VALU_DEP_3)
	v_add_f32_e32 v67, v66, v55
	v_sub_f32_e32 v30, v30, v65
	s_delay_alu instid0(VALU_DEP_2) | instskip(NEXT) | instid1(VALU_DEP_2)
	v_sub_f32_e32 v64, v67, v66
	v_add_f32_e32 v30, v31, v30
	s_delay_alu instid0(VALU_DEP_2) | instskip(NEXT) | instid1(VALU_DEP_1)
	v_sub_f32_e32 v31, v55, v64
	v_add_f32_e32 v30, v30, v31
	s_delay_alu instid0(VALU_DEP_1) | instskip(NEXT) | instid1(VALU_DEP_1)
	v_add_f32_e32 v30, v67, v30
	v_cndmask_b32_e64 v30, v30, v54, s13
	s_delay_alu instid0(VALU_DEP_1) | instskip(NEXT) | instid1(VALU_DEP_1)
	v_add_f32_e32 v30, v51, v30
	v_cvt_f16_f32_e32 v31, v30
	s_delay_alu instid0(VALU_DEP_1)
	v_cvt_f32_f16_e32 v64, v31
	v_mov_b32_e32 v30, v31
.LBB430_262:
	s_or_b32 exec_lo, exec_lo, s14
	v_cvt_f32_f16_e32 v51, v22
	s_delay_alu instid0(VALU_DEP_3) | instskip(SKIP_1) | instid1(VALU_DEP_2)
	v_max_f32_e32 v54, v64, v64
	v_cmp_u_f16_e64 s13, v31, v31
	v_min_f32_e32 v55, v54, v51
	v_max_f32_e32 v54, v54, v51
	s_delay_alu instid0(VALU_DEP_2) | instskip(NEXT) | instid1(VALU_DEP_2)
	v_cndmask_b32_e64 v55, v55, v64, s13
	v_cndmask_b32_e64 v65, v54, v64, s13
	v_cmp_u_f16_e64 s13, v22, v22
	s_delay_alu instid0(VALU_DEP_1) | instskip(NEXT) | instid1(VALU_DEP_3)
	v_cndmask_b32_e64 v54, v55, v51, s13
	v_cndmask_b32_e64 v22, v65, v51, s13
	s_delay_alu instid0(VALU_DEP_2) | instskip(NEXT) | instid1(VALU_DEP_2)
	v_cmp_class_f32_e64 s15, v54, 0x1f8
	v_cmp_neq_f32_e64 s14, v54, v22
	s_delay_alu instid0(VALU_DEP_1) | instskip(NEXT) | instid1(SALU_CYCLE_1)
	s_or_b32 s14, s14, s15
	s_and_saveexec_b32 s15, s14
	s_cbranch_execz .LBB430_264
; %bb.263:
	v_sub_f32_e32 v30, v54, v22
	s_delay_alu instid0(VALU_DEP_1) | instskip(NEXT) | instid1(VALU_DEP_1)
	v_mul_f32_e32 v31, 0x3fb8aa3b, v30
	v_fma_f32 v54, 0x3fb8aa3b, v30, -v31
	v_rndne_f32_e32 v55, v31
	s_delay_alu instid0(VALU_DEP_1) | instskip(SKIP_1) | instid1(VALU_DEP_2)
	v_dual_sub_f32 v31, v31, v55 :: v_dual_fmamk_f32 v54, v30, 0x32a5705f, v54
	v_cmp_ngt_f32_e64 s14, 0xc2ce8ed0, v30
	v_add_f32_e32 v31, v31, v54
	v_cvt_i32_f32_e32 v54, v55
	s_delay_alu instid0(VALU_DEP_2) | instskip(SKIP_2) | instid1(VALU_DEP_1)
	v_exp_f32_e32 v31, v31
	s_waitcnt_depctr 0xfff
	v_ldexp_f32 v31, v31, v54
	v_cndmask_b32_e64 v31, 0, v31, s14
	v_cmp_nlt_f32_e64 s14, 0x42b17218, v30
	s_delay_alu instid0(VALU_DEP_1) | instskip(NEXT) | instid1(VALU_DEP_1)
	v_cndmask_b32_e64 v54, 0x7f800000, v31, s14
	v_add_f32_e32 v55, 1.0, v54
	v_cmp_gt_f32_e64 s16, 0x33800000, |v54|
	s_delay_alu instid0(VALU_DEP_2) | instskip(NEXT) | instid1(VALU_DEP_1)
	v_cvt_f64_f32_e32 v[30:31], v55
	v_frexp_exp_i32_f64_e32 v30, v[30:31]
	v_frexp_mant_f32_e32 v31, v55
	s_delay_alu instid0(VALU_DEP_1) | instskip(SKIP_1) | instid1(VALU_DEP_1)
	v_cmp_gt_f32_e64 s14, 0x3f2aaaab, v31
	v_add_f32_e32 v31, -1.0, v55
	v_sub_f32_e32 v65, v31, v55
	v_sub_f32_e32 v31, v54, v31
	s_delay_alu instid0(VALU_DEP_4) | instskip(SKIP_1) | instid1(VALU_DEP_1)
	v_subrev_co_ci_u32_e64 v30, s14, 0, v30, s14
	s_mov_b32 s14, 0x3e9b6dac
	v_sub_nc_u32_e32 v64, 0, v30
	v_cvt_f32_i32_e32 v30, v30
	s_delay_alu instid0(VALU_DEP_2) | instskip(NEXT) | instid1(VALU_DEP_1)
	v_ldexp_f32 v55, v55, v64
	v_dual_add_f32 v66, 1.0, v55 :: v_dual_add_f32 v65, 1.0, v65
	s_delay_alu instid0(VALU_DEP_1) | instskip(NEXT) | instid1(VALU_DEP_2)
	v_add_f32_e32 v31, v31, v65
	v_add_f32_e32 v65, -1.0, v66
	s_delay_alu instid0(VALU_DEP_2) | instskip(NEXT) | instid1(VALU_DEP_2)
	v_ldexp_f32 v31, v31, v64
	v_dual_add_f32 v64, -1.0, v55 :: v_dual_sub_f32 v65, v55, v65
	s_delay_alu instid0(VALU_DEP_1) | instskip(NEXT) | instid1(VALU_DEP_2)
	v_add_f32_e32 v67, 1.0, v64
	v_add_f32_e32 v65, v31, v65
	s_delay_alu instid0(VALU_DEP_2) | instskip(NEXT) | instid1(VALU_DEP_2)
	v_sub_f32_e32 v55, v55, v67
	v_add_f32_e32 v67, v66, v65
	s_delay_alu instid0(VALU_DEP_2) | instskip(NEXT) | instid1(VALU_DEP_2)
	v_add_f32_e32 v31, v31, v55
	v_rcp_f32_e32 v55, v67
	v_sub_f32_e32 v66, v66, v67
	s_delay_alu instid0(VALU_DEP_1) | instskip(NEXT) | instid1(VALU_DEP_1)
	v_dual_add_f32 v68, v64, v31 :: v_dual_add_f32 v65, v65, v66
	v_sub_f32_e32 v64, v64, v68
	s_waitcnt_depctr 0xfff
	v_mul_f32_e32 v69, v68, v55
	v_add_f32_e32 v31, v31, v64
	s_delay_alu instid0(VALU_DEP_2) | instskip(NEXT) | instid1(VALU_DEP_1)
	v_mul_f32_e32 v70, v67, v69
	v_fma_f32 v66, v69, v67, -v70
	s_delay_alu instid0(VALU_DEP_1) | instskip(NEXT) | instid1(VALU_DEP_1)
	v_fmac_f32_e32 v66, v69, v65
	v_add_f32_e32 v71, v70, v66
	s_delay_alu instid0(VALU_DEP_1) | instskip(SKIP_1) | instid1(VALU_DEP_2)
	v_sub_f32_e32 v80, v68, v71
	v_sub_f32_e32 v64, v71, v70
	;; [unrolled: 1-line block ×3, first 2 shown]
	s_delay_alu instid0(VALU_DEP_2) | instskip(NEXT) | instid1(VALU_DEP_2)
	v_sub_f32_e32 v64, v64, v66
	v_sub_f32_e32 v68, v68, v71
	s_delay_alu instid0(VALU_DEP_1) | instskip(NEXT) | instid1(VALU_DEP_1)
	v_add_f32_e32 v31, v31, v68
	v_add_f32_e32 v31, v64, v31
	s_delay_alu instid0(VALU_DEP_1) | instskip(NEXT) | instid1(VALU_DEP_1)
	v_add_f32_e32 v64, v80, v31
	v_mul_f32_e32 v66, v55, v64
	s_delay_alu instid0(VALU_DEP_1) | instskip(NEXT) | instid1(VALU_DEP_1)
	v_dual_sub_f32 v71, v80, v64 :: v_dual_mul_f32 v68, v67, v66
	v_add_f32_e32 v31, v31, v71
	s_delay_alu instid0(VALU_DEP_2) | instskip(NEXT) | instid1(VALU_DEP_1)
	v_fma_f32 v67, v66, v67, -v68
	v_fmac_f32_e32 v67, v66, v65
	s_delay_alu instid0(VALU_DEP_1) | instskip(NEXT) | instid1(VALU_DEP_1)
	v_add_f32_e32 v65, v68, v67
	v_sub_f32_e32 v70, v64, v65
	v_sub_f32_e32 v68, v65, v68
	s_delay_alu instid0(VALU_DEP_2) | instskip(NEXT) | instid1(VALU_DEP_1)
	v_sub_f32_e32 v64, v64, v70
	v_sub_f32_e32 v64, v64, v65
	s_delay_alu instid0(VALU_DEP_3) | instskip(NEXT) | instid1(VALU_DEP_2)
	v_sub_f32_e32 v65, v68, v67
	v_dual_add_f32 v31, v31, v64 :: v_dual_add_f32 v64, v69, v66
	s_delay_alu instid0(VALU_DEP_1) | instskip(NEXT) | instid1(VALU_DEP_2)
	v_add_f32_e32 v31, v65, v31
	v_sub_f32_e32 v65, v64, v69
	s_delay_alu instid0(VALU_DEP_2) | instskip(NEXT) | instid1(VALU_DEP_2)
	v_add_f32_e32 v31, v70, v31
	v_sub_f32_e32 v65, v66, v65
	s_delay_alu instid0(VALU_DEP_2) | instskip(NEXT) | instid1(VALU_DEP_1)
	v_mul_f32_e32 v31, v55, v31
	v_add_f32_e32 v31, v65, v31
	s_delay_alu instid0(VALU_DEP_1) | instskip(NEXT) | instid1(VALU_DEP_1)
	v_add_f32_e32 v55, v64, v31
	v_mul_f32_e32 v65, v55, v55
	s_delay_alu instid0(VALU_DEP_1) | instskip(SKIP_2) | instid1(VALU_DEP_3)
	v_fmaak_f32 v66, s14, v65, 0x3ecc95a3
	v_mul_f32_e32 v67, v55, v65
	v_cmp_eq_f32_e64 s14, 0x7f800000, v54
	v_fmaak_f32 v65, v65, v66, 0x3f2aaada
	v_ldexp_f32 v66, v55, 1
	v_sub_f32_e32 v55, v55, v64
	s_delay_alu instid0(VALU_DEP_4) | instskip(NEXT) | instid1(VALU_DEP_3)
	s_or_b32 s14, s14, s16
	v_mul_f32_e32 v65, v67, v65
	v_mul_f32_e32 v67, 0x3f317218, v30
	s_delay_alu instid0(VALU_DEP_2) | instskip(NEXT) | instid1(VALU_DEP_1)
	v_dual_sub_f32 v31, v31, v55 :: v_dual_add_f32 v64, v66, v65
	v_ldexp_f32 v31, v31, 1
	s_delay_alu instid0(VALU_DEP_2) | instskip(NEXT) | instid1(VALU_DEP_4)
	v_sub_f32_e32 v55, v64, v66
	v_fma_f32 v66, 0x3f317218, v30, -v67
	s_delay_alu instid0(VALU_DEP_1) | instskip(NEXT) | instid1(VALU_DEP_1)
	v_dual_sub_f32 v55, v65, v55 :: v_dual_fmamk_f32 v30, v30, 0xb102e308, v66
	v_add_f32_e32 v31, v31, v55
	s_delay_alu instid0(VALU_DEP_2) | instskip(NEXT) | instid1(VALU_DEP_2)
	v_add_f32_e32 v55, v67, v30
	v_add_f32_e32 v65, v64, v31
	s_delay_alu instid0(VALU_DEP_2) | instskip(NEXT) | instid1(VALU_DEP_2)
	v_sub_f32_e32 v67, v55, v67
	v_add_f32_e32 v66, v55, v65
	v_sub_f32_e32 v64, v65, v64
	s_delay_alu instid0(VALU_DEP_3) | instskip(NEXT) | instid1(VALU_DEP_2)
	v_sub_f32_e32 v30, v30, v67
	v_dual_sub_f32 v68, v66, v55 :: v_dual_sub_f32 v31, v31, v64
	s_delay_alu instid0(VALU_DEP_1) | instskip(NEXT) | instid1(VALU_DEP_2)
	v_sub_f32_e32 v69, v66, v68
	v_dual_sub_f32 v64, v65, v68 :: v_dual_add_f32 v65, v30, v31
	s_delay_alu instid0(VALU_DEP_2) | instskip(NEXT) | instid1(VALU_DEP_1)
	v_sub_f32_e32 v55, v55, v69
	v_dual_add_f32 v55, v64, v55 :: v_dual_sub_f32 v64, v65, v30
	s_delay_alu instid0(VALU_DEP_1) | instskip(NEXT) | instid1(VALU_DEP_2)
	v_add_f32_e32 v55, v65, v55
	v_sub_f32_e32 v65, v65, v64
	v_sub_f32_e32 v31, v31, v64
	s_delay_alu instid0(VALU_DEP_3) | instskip(NEXT) | instid1(VALU_DEP_3)
	v_add_f32_e32 v67, v66, v55
	v_sub_f32_e32 v30, v30, v65
	s_delay_alu instid0(VALU_DEP_2) | instskip(NEXT) | instid1(VALU_DEP_2)
	v_sub_f32_e32 v64, v67, v66
	v_add_f32_e32 v30, v31, v30
	s_delay_alu instid0(VALU_DEP_2) | instskip(NEXT) | instid1(VALU_DEP_1)
	v_sub_f32_e32 v31, v55, v64
	v_add_f32_e32 v30, v30, v31
	s_delay_alu instid0(VALU_DEP_1) | instskip(NEXT) | instid1(VALU_DEP_1)
	v_add_f32_e32 v30, v67, v30
	v_cndmask_b32_e64 v30, v30, v54, s14
	s_delay_alu instid0(VALU_DEP_1) | instskip(NEXT) | instid1(VALU_DEP_1)
	v_add_f32_e32 v22, v22, v30
	v_cvt_f16_f32_e32 v31, v22
	s_delay_alu instid0(VALU_DEP_1)
	v_mov_b32_e32 v30, v31
	v_cvt_f32_f16_e32 v64, v31
.LBB430_264:
	s_or_b32 exec_lo, exec_lo, s15
	v_cvt_f32_f16_e32 v22, v50
	s_delay_alu instid0(VALU_DEP_2) | instskip(SKIP_1) | instid1(VALU_DEP_2)
	v_max_f32_e32 v54, v64, v64
	v_cmp_u_f16_e64 s14, v31, v31
	v_min_f32_e32 v55, v54, v22
	v_max_f32_e32 v54, v54, v22
	s_delay_alu instid0(VALU_DEP_2) | instskip(NEXT) | instid1(VALU_DEP_2)
	v_cndmask_b32_e64 v55, v55, v64, s14
	v_cndmask_b32_e64 v65, v54, v64, s14
	v_cmp_u_f16_e64 s14, v50, v50
	s_delay_alu instid0(VALU_DEP_1) | instskip(NEXT) | instid1(VALU_DEP_3)
	v_cndmask_b32_e64 v54, v55, v22, s14
	v_cndmask_b32_e64 v50, v65, v22, s14
	s_delay_alu instid0(VALU_DEP_2) | instskip(NEXT) | instid1(VALU_DEP_2)
	v_cmp_class_f32_e64 s16, v54, 0x1f8
	v_cmp_neq_f32_e64 s15, v54, v50
	s_delay_alu instid0(VALU_DEP_1) | instskip(NEXT) | instid1(SALU_CYCLE_1)
	s_or_b32 s15, s15, s16
	s_and_saveexec_b32 s16, s15
	s_cbranch_execz .LBB430_266
; %bb.265:
	v_sub_f32_e32 v30, v54, v50
	s_delay_alu instid0(VALU_DEP_1) | instskip(NEXT) | instid1(VALU_DEP_1)
	v_mul_f32_e32 v31, 0x3fb8aa3b, v30
	v_fma_f32 v54, 0x3fb8aa3b, v30, -v31
	v_rndne_f32_e32 v55, v31
	s_delay_alu instid0(VALU_DEP_1) | instskip(SKIP_1) | instid1(VALU_DEP_2)
	v_dual_sub_f32 v31, v31, v55 :: v_dual_fmamk_f32 v54, v30, 0x32a5705f, v54
	v_cmp_ngt_f32_e64 s15, 0xc2ce8ed0, v30
	v_add_f32_e32 v31, v31, v54
	v_cvt_i32_f32_e32 v54, v55
	s_delay_alu instid0(VALU_DEP_2) | instskip(SKIP_2) | instid1(VALU_DEP_1)
	v_exp_f32_e32 v31, v31
	s_waitcnt_depctr 0xfff
	v_ldexp_f32 v31, v31, v54
	v_cndmask_b32_e64 v31, 0, v31, s15
	v_cmp_nlt_f32_e64 s15, 0x42b17218, v30
	s_delay_alu instid0(VALU_DEP_1) | instskip(NEXT) | instid1(VALU_DEP_1)
	v_cndmask_b32_e64 v54, 0x7f800000, v31, s15
	v_add_f32_e32 v55, 1.0, v54
	v_cmp_gt_f32_e64 s17, 0x33800000, |v54|
	s_delay_alu instid0(VALU_DEP_2) | instskip(NEXT) | instid1(VALU_DEP_1)
	v_cvt_f64_f32_e32 v[30:31], v55
	v_frexp_exp_i32_f64_e32 v30, v[30:31]
	v_frexp_mant_f32_e32 v31, v55
	s_delay_alu instid0(VALU_DEP_1) | instskip(SKIP_1) | instid1(VALU_DEP_1)
	v_cmp_gt_f32_e64 s15, 0x3f2aaaab, v31
	v_add_f32_e32 v31, -1.0, v55
	v_sub_f32_e32 v65, v31, v55
	v_sub_f32_e32 v31, v54, v31
	s_delay_alu instid0(VALU_DEP_4) | instskip(SKIP_1) | instid1(VALU_DEP_1)
	v_subrev_co_ci_u32_e64 v30, s15, 0, v30, s15
	s_mov_b32 s15, 0x3e9b6dac
	v_sub_nc_u32_e32 v64, 0, v30
	v_cvt_f32_i32_e32 v30, v30
	s_delay_alu instid0(VALU_DEP_2) | instskip(NEXT) | instid1(VALU_DEP_1)
	v_ldexp_f32 v55, v55, v64
	v_dual_add_f32 v66, 1.0, v55 :: v_dual_add_f32 v65, 1.0, v65
	s_delay_alu instid0(VALU_DEP_1) | instskip(NEXT) | instid1(VALU_DEP_2)
	v_add_f32_e32 v31, v31, v65
	v_add_f32_e32 v65, -1.0, v66
	s_delay_alu instid0(VALU_DEP_2) | instskip(NEXT) | instid1(VALU_DEP_2)
	v_ldexp_f32 v31, v31, v64
	v_dual_add_f32 v64, -1.0, v55 :: v_dual_sub_f32 v65, v55, v65
	s_delay_alu instid0(VALU_DEP_1) | instskip(NEXT) | instid1(VALU_DEP_2)
	v_add_f32_e32 v67, 1.0, v64
	v_add_f32_e32 v65, v31, v65
	s_delay_alu instid0(VALU_DEP_2) | instskip(NEXT) | instid1(VALU_DEP_2)
	v_sub_f32_e32 v55, v55, v67
	v_add_f32_e32 v67, v66, v65
	s_delay_alu instid0(VALU_DEP_2) | instskip(NEXT) | instid1(VALU_DEP_2)
	v_add_f32_e32 v31, v31, v55
	v_rcp_f32_e32 v55, v67
	v_sub_f32_e32 v66, v66, v67
	s_delay_alu instid0(VALU_DEP_1) | instskip(NEXT) | instid1(VALU_DEP_1)
	v_dual_add_f32 v68, v64, v31 :: v_dual_add_f32 v65, v65, v66
	v_sub_f32_e32 v64, v64, v68
	s_waitcnt_depctr 0xfff
	v_mul_f32_e32 v69, v68, v55
	v_add_f32_e32 v31, v31, v64
	s_delay_alu instid0(VALU_DEP_2) | instskip(NEXT) | instid1(VALU_DEP_1)
	v_mul_f32_e32 v70, v67, v69
	v_fma_f32 v66, v69, v67, -v70
	s_delay_alu instid0(VALU_DEP_1) | instskip(NEXT) | instid1(VALU_DEP_1)
	v_fmac_f32_e32 v66, v69, v65
	v_add_f32_e32 v71, v70, v66
	s_delay_alu instid0(VALU_DEP_1) | instskip(SKIP_1) | instid1(VALU_DEP_2)
	v_sub_f32_e32 v80, v68, v71
	v_sub_f32_e32 v64, v71, v70
	;; [unrolled: 1-line block ×3, first 2 shown]
	s_delay_alu instid0(VALU_DEP_2) | instskip(NEXT) | instid1(VALU_DEP_2)
	v_sub_f32_e32 v64, v64, v66
	v_sub_f32_e32 v68, v68, v71
	s_delay_alu instid0(VALU_DEP_1) | instskip(NEXT) | instid1(VALU_DEP_1)
	v_add_f32_e32 v31, v31, v68
	v_add_f32_e32 v31, v64, v31
	s_delay_alu instid0(VALU_DEP_1) | instskip(NEXT) | instid1(VALU_DEP_1)
	v_add_f32_e32 v64, v80, v31
	v_mul_f32_e32 v66, v55, v64
	s_delay_alu instid0(VALU_DEP_1) | instskip(NEXT) | instid1(VALU_DEP_1)
	v_dual_sub_f32 v71, v80, v64 :: v_dual_mul_f32 v68, v67, v66
	v_add_f32_e32 v31, v31, v71
	s_delay_alu instid0(VALU_DEP_2) | instskip(NEXT) | instid1(VALU_DEP_1)
	v_fma_f32 v67, v66, v67, -v68
	v_fmac_f32_e32 v67, v66, v65
	s_delay_alu instid0(VALU_DEP_1) | instskip(NEXT) | instid1(VALU_DEP_1)
	v_add_f32_e32 v65, v68, v67
	v_sub_f32_e32 v70, v64, v65
	v_sub_f32_e32 v68, v65, v68
	s_delay_alu instid0(VALU_DEP_2) | instskip(NEXT) | instid1(VALU_DEP_1)
	v_sub_f32_e32 v64, v64, v70
	v_sub_f32_e32 v64, v64, v65
	s_delay_alu instid0(VALU_DEP_3) | instskip(NEXT) | instid1(VALU_DEP_2)
	v_sub_f32_e32 v65, v68, v67
	v_dual_add_f32 v31, v31, v64 :: v_dual_add_f32 v64, v69, v66
	s_delay_alu instid0(VALU_DEP_1) | instskip(NEXT) | instid1(VALU_DEP_2)
	v_add_f32_e32 v31, v65, v31
	v_sub_f32_e32 v65, v64, v69
	s_delay_alu instid0(VALU_DEP_2) | instskip(NEXT) | instid1(VALU_DEP_2)
	v_add_f32_e32 v31, v70, v31
	v_sub_f32_e32 v65, v66, v65
	s_delay_alu instid0(VALU_DEP_2) | instskip(NEXT) | instid1(VALU_DEP_1)
	v_mul_f32_e32 v31, v55, v31
	v_add_f32_e32 v31, v65, v31
	s_delay_alu instid0(VALU_DEP_1) | instskip(NEXT) | instid1(VALU_DEP_1)
	v_add_f32_e32 v55, v64, v31
	v_mul_f32_e32 v65, v55, v55
	s_delay_alu instid0(VALU_DEP_1) | instskip(SKIP_2) | instid1(VALU_DEP_3)
	v_fmaak_f32 v66, s15, v65, 0x3ecc95a3
	v_mul_f32_e32 v67, v55, v65
	v_cmp_eq_f32_e64 s15, 0x7f800000, v54
	v_fmaak_f32 v65, v65, v66, 0x3f2aaada
	v_ldexp_f32 v66, v55, 1
	v_sub_f32_e32 v55, v55, v64
	s_delay_alu instid0(VALU_DEP_4) | instskip(NEXT) | instid1(VALU_DEP_3)
	s_or_b32 s15, s15, s17
	v_mul_f32_e32 v65, v67, v65
	v_mul_f32_e32 v67, 0x3f317218, v30
	s_delay_alu instid0(VALU_DEP_2) | instskip(NEXT) | instid1(VALU_DEP_1)
	v_dual_sub_f32 v31, v31, v55 :: v_dual_add_f32 v64, v66, v65
	v_ldexp_f32 v31, v31, 1
	s_delay_alu instid0(VALU_DEP_2) | instskip(NEXT) | instid1(VALU_DEP_4)
	v_sub_f32_e32 v55, v64, v66
	v_fma_f32 v66, 0x3f317218, v30, -v67
	s_delay_alu instid0(VALU_DEP_1) | instskip(NEXT) | instid1(VALU_DEP_1)
	v_dual_sub_f32 v55, v65, v55 :: v_dual_fmamk_f32 v30, v30, 0xb102e308, v66
	v_add_f32_e32 v31, v31, v55
	s_delay_alu instid0(VALU_DEP_2) | instskip(NEXT) | instid1(VALU_DEP_2)
	v_add_f32_e32 v55, v67, v30
	v_add_f32_e32 v65, v64, v31
	s_delay_alu instid0(VALU_DEP_2) | instskip(NEXT) | instid1(VALU_DEP_2)
	v_sub_f32_e32 v67, v55, v67
	v_add_f32_e32 v66, v55, v65
	v_sub_f32_e32 v64, v65, v64
	s_delay_alu instid0(VALU_DEP_3) | instskip(NEXT) | instid1(VALU_DEP_2)
	v_sub_f32_e32 v30, v30, v67
	v_dual_sub_f32 v68, v66, v55 :: v_dual_sub_f32 v31, v31, v64
	s_delay_alu instid0(VALU_DEP_1) | instskip(NEXT) | instid1(VALU_DEP_2)
	v_sub_f32_e32 v69, v66, v68
	v_dual_sub_f32 v64, v65, v68 :: v_dual_add_f32 v65, v30, v31
	s_delay_alu instid0(VALU_DEP_2) | instskip(NEXT) | instid1(VALU_DEP_1)
	v_sub_f32_e32 v55, v55, v69
	v_dual_add_f32 v55, v64, v55 :: v_dual_sub_f32 v64, v65, v30
	s_delay_alu instid0(VALU_DEP_1) | instskip(NEXT) | instid1(VALU_DEP_2)
	v_add_f32_e32 v55, v65, v55
	v_sub_f32_e32 v65, v65, v64
	v_sub_f32_e32 v31, v31, v64
	s_delay_alu instid0(VALU_DEP_3) | instskip(NEXT) | instid1(VALU_DEP_3)
	v_add_f32_e32 v67, v66, v55
	v_sub_f32_e32 v30, v30, v65
	s_delay_alu instid0(VALU_DEP_2) | instskip(NEXT) | instid1(VALU_DEP_2)
	v_sub_f32_e32 v64, v67, v66
	v_add_f32_e32 v30, v31, v30
	s_delay_alu instid0(VALU_DEP_2) | instskip(NEXT) | instid1(VALU_DEP_1)
	v_sub_f32_e32 v31, v55, v64
	v_add_f32_e32 v30, v30, v31
	s_delay_alu instid0(VALU_DEP_1) | instskip(NEXT) | instid1(VALU_DEP_1)
	v_add_f32_e32 v30, v67, v30
	v_cndmask_b32_e64 v30, v30, v54, s15
	s_delay_alu instid0(VALU_DEP_1) | instskip(NEXT) | instid1(VALU_DEP_1)
	v_add_f32_e32 v30, v50, v30
	v_cvt_f16_f32_e32 v31, v30
	s_delay_alu instid0(VALU_DEP_1)
	v_mov_b32_e32 v30, v31
	v_cvt_f32_f16_e32 v64, v31
.LBB430_266:
	s_or_b32 exec_lo, exec_lo, s16
	v_cvt_f32_f16_e32 v50, v23
	s_delay_alu instid0(VALU_DEP_2) | instskip(SKIP_1) | instid1(VALU_DEP_2)
	v_max_f32_e32 v54, v64, v64
	v_cmp_u_f16_e64 s15, v31, v31
	v_min_f32_e32 v55, v54, v50
	v_max_f32_e32 v54, v54, v50
	s_delay_alu instid0(VALU_DEP_2) | instskip(NEXT) | instid1(VALU_DEP_2)
	v_cndmask_b32_e64 v55, v55, v64, s15
	v_cndmask_b32_e64 v65, v54, v64, s15
	v_cmp_u_f16_e64 s15, v23, v23
	s_delay_alu instid0(VALU_DEP_1) | instskip(NEXT) | instid1(VALU_DEP_3)
	v_cndmask_b32_e64 v54, v55, v50, s15
	v_cndmask_b32_e64 v23, v65, v50, s15
	s_delay_alu instid0(VALU_DEP_2) | instskip(NEXT) | instid1(VALU_DEP_2)
	v_cmp_class_f32_e64 s17, v54, 0x1f8
	v_cmp_neq_f32_e64 s16, v54, v23
	s_delay_alu instid0(VALU_DEP_1) | instskip(NEXT) | instid1(SALU_CYCLE_1)
	s_or_b32 s16, s16, s17
	s_and_saveexec_b32 s17, s16
	s_cbranch_execz .LBB430_268
; %bb.267:
	v_sub_f32_e32 v30, v54, v23
	s_delay_alu instid0(VALU_DEP_1) | instskip(NEXT) | instid1(VALU_DEP_1)
	v_mul_f32_e32 v31, 0x3fb8aa3b, v30
	v_fma_f32 v54, 0x3fb8aa3b, v30, -v31
	v_rndne_f32_e32 v55, v31
	s_delay_alu instid0(VALU_DEP_1) | instskip(NEXT) | instid1(VALU_DEP_1)
	v_dual_fmamk_f32 v54, v30, 0x32a5705f, v54 :: v_dual_sub_f32 v31, v31, v55
	v_add_f32_e32 v31, v31, v54
	v_cvt_i32_f32_e32 v54, v55
	v_cmp_ngt_f32_e64 s16, 0xc2ce8ed0, v30
	s_delay_alu instid0(VALU_DEP_3) | instskip(SKIP_2) | instid1(VALU_DEP_1)
	v_exp_f32_e32 v31, v31
	s_waitcnt_depctr 0xfff
	v_ldexp_f32 v31, v31, v54
	v_cndmask_b32_e64 v31, 0, v31, s16
	v_cmp_nlt_f32_e64 s16, 0x42b17218, v30
	s_delay_alu instid0(VALU_DEP_1) | instskip(NEXT) | instid1(VALU_DEP_1)
	v_cndmask_b32_e64 v54, 0x7f800000, v31, s16
	v_add_f32_e32 v55, 1.0, v54
	v_cmp_gt_f32_e64 s18, 0x33800000, |v54|
	s_delay_alu instid0(VALU_DEP_2) | instskip(NEXT) | instid1(VALU_DEP_1)
	v_cvt_f64_f32_e32 v[30:31], v55
	v_frexp_exp_i32_f64_e32 v30, v[30:31]
	v_frexp_mant_f32_e32 v31, v55
	s_delay_alu instid0(VALU_DEP_1) | instskip(SKIP_1) | instid1(VALU_DEP_1)
	v_cmp_gt_f32_e64 s16, 0x3f2aaaab, v31
	v_add_f32_e32 v31, -1.0, v55
	v_sub_f32_e32 v65, v31, v55
	v_sub_f32_e32 v31, v54, v31
	s_delay_alu instid0(VALU_DEP_4) | instskip(SKIP_1) | instid1(VALU_DEP_1)
	v_subrev_co_ci_u32_e64 v30, s16, 0, v30, s16
	s_mov_b32 s16, 0x3e9b6dac
	v_sub_nc_u32_e32 v64, 0, v30
	v_cvt_f32_i32_e32 v30, v30
	s_delay_alu instid0(VALU_DEP_2) | instskip(NEXT) | instid1(VALU_DEP_1)
	v_ldexp_f32 v55, v55, v64
	v_dual_add_f32 v65, 1.0, v65 :: v_dual_add_f32 v66, 1.0, v55
	s_delay_alu instid0(VALU_DEP_1) | instskip(NEXT) | instid1(VALU_DEP_2)
	v_add_f32_e32 v31, v31, v65
	v_add_f32_e32 v65, -1.0, v66
	s_delay_alu instid0(VALU_DEP_2) | instskip(NEXT) | instid1(VALU_DEP_2)
	v_ldexp_f32 v31, v31, v64
	v_dual_add_f32 v64, -1.0, v55 :: v_dual_sub_f32 v65, v55, v65
	s_delay_alu instid0(VALU_DEP_1) | instskip(NEXT) | instid1(VALU_DEP_2)
	v_add_f32_e32 v67, 1.0, v64
	v_add_f32_e32 v65, v31, v65
	s_delay_alu instid0(VALU_DEP_2) | instskip(NEXT) | instid1(VALU_DEP_2)
	v_sub_f32_e32 v55, v55, v67
	v_add_f32_e32 v67, v66, v65
	s_delay_alu instid0(VALU_DEP_2) | instskip(NEXT) | instid1(VALU_DEP_2)
	v_add_f32_e32 v31, v31, v55
	v_rcp_f32_e32 v55, v67
	v_sub_f32_e32 v66, v66, v67
	s_delay_alu instid0(VALU_DEP_1) | instskip(NEXT) | instid1(VALU_DEP_1)
	v_dual_add_f32 v68, v64, v31 :: v_dual_add_f32 v65, v65, v66
	v_sub_f32_e32 v64, v64, v68
	s_waitcnt_depctr 0xfff
	v_mul_f32_e32 v69, v68, v55
	v_add_f32_e32 v31, v31, v64
	s_delay_alu instid0(VALU_DEP_2) | instskip(NEXT) | instid1(VALU_DEP_1)
	v_mul_f32_e32 v70, v67, v69
	v_fma_f32 v66, v69, v67, -v70
	s_delay_alu instid0(VALU_DEP_1) | instskip(NEXT) | instid1(VALU_DEP_1)
	v_fmac_f32_e32 v66, v69, v65
	v_add_f32_e32 v71, v70, v66
	s_delay_alu instid0(VALU_DEP_1) | instskip(SKIP_1) | instid1(VALU_DEP_2)
	v_sub_f32_e32 v80, v68, v71
	v_sub_f32_e32 v64, v71, v70
	;; [unrolled: 1-line block ×3, first 2 shown]
	s_delay_alu instid0(VALU_DEP_2) | instskip(NEXT) | instid1(VALU_DEP_2)
	v_sub_f32_e32 v64, v64, v66
	v_sub_f32_e32 v68, v68, v71
	s_delay_alu instid0(VALU_DEP_1) | instskip(NEXT) | instid1(VALU_DEP_1)
	v_add_f32_e32 v31, v31, v68
	v_add_f32_e32 v31, v64, v31
	s_delay_alu instid0(VALU_DEP_1) | instskip(NEXT) | instid1(VALU_DEP_1)
	v_add_f32_e32 v64, v80, v31
	v_mul_f32_e32 v66, v55, v64
	s_delay_alu instid0(VALU_DEP_1) | instskip(NEXT) | instid1(VALU_DEP_1)
	v_dual_sub_f32 v71, v80, v64 :: v_dual_mul_f32 v68, v67, v66
	v_add_f32_e32 v31, v31, v71
	s_delay_alu instid0(VALU_DEP_2) | instskip(NEXT) | instid1(VALU_DEP_1)
	v_fma_f32 v67, v66, v67, -v68
	v_fmac_f32_e32 v67, v66, v65
	s_delay_alu instid0(VALU_DEP_1) | instskip(NEXT) | instid1(VALU_DEP_1)
	v_add_f32_e32 v65, v68, v67
	v_sub_f32_e32 v70, v64, v65
	v_sub_f32_e32 v68, v65, v68
	s_delay_alu instid0(VALU_DEP_2) | instskip(NEXT) | instid1(VALU_DEP_1)
	v_sub_f32_e32 v64, v64, v70
	v_sub_f32_e32 v64, v64, v65
	s_delay_alu instid0(VALU_DEP_1) | instskip(NEXT) | instid1(VALU_DEP_4)
	v_dual_add_f32 v31, v31, v64 :: v_dual_add_f32 v64, v69, v66
	v_sub_f32_e32 v65, v68, v67
	s_delay_alu instid0(VALU_DEP_1) | instskip(NEXT) | instid1(VALU_DEP_3)
	v_add_f32_e32 v31, v65, v31
	v_sub_f32_e32 v65, v64, v69
	s_delay_alu instid0(VALU_DEP_2) | instskip(NEXT) | instid1(VALU_DEP_2)
	v_add_f32_e32 v31, v70, v31
	v_sub_f32_e32 v65, v66, v65
	s_delay_alu instid0(VALU_DEP_2) | instskip(NEXT) | instid1(VALU_DEP_1)
	v_mul_f32_e32 v31, v55, v31
	v_add_f32_e32 v31, v65, v31
	s_delay_alu instid0(VALU_DEP_1) | instskip(NEXT) | instid1(VALU_DEP_1)
	v_add_f32_e32 v55, v64, v31
	v_mul_f32_e32 v65, v55, v55
	s_delay_alu instid0(VALU_DEP_1) | instskip(SKIP_2) | instid1(VALU_DEP_3)
	v_fmaak_f32 v66, s16, v65, 0x3ecc95a3
	v_mul_f32_e32 v67, v55, v65
	v_cmp_eq_f32_e64 s16, 0x7f800000, v54
	v_fmaak_f32 v65, v65, v66, 0x3f2aaada
	v_ldexp_f32 v66, v55, 1
	v_sub_f32_e32 v55, v55, v64
	s_delay_alu instid0(VALU_DEP_4) | instskip(NEXT) | instid1(VALU_DEP_3)
	s_or_b32 s16, s16, s18
	v_mul_f32_e32 v65, v67, v65
	v_mul_f32_e32 v67, 0x3f317218, v30
	s_delay_alu instid0(VALU_DEP_2) | instskip(NEXT) | instid1(VALU_DEP_1)
	v_dual_sub_f32 v31, v31, v55 :: v_dual_add_f32 v64, v66, v65
	v_ldexp_f32 v31, v31, 1
	s_delay_alu instid0(VALU_DEP_2) | instskip(NEXT) | instid1(VALU_DEP_4)
	v_sub_f32_e32 v55, v64, v66
	v_fma_f32 v66, 0x3f317218, v30, -v67
	s_delay_alu instid0(VALU_DEP_1) | instskip(NEXT) | instid1(VALU_DEP_1)
	v_dual_sub_f32 v55, v65, v55 :: v_dual_fmamk_f32 v30, v30, 0xb102e308, v66
	v_add_f32_e32 v31, v31, v55
	s_delay_alu instid0(VALU_DEP_2) | instskip(NEXT) | instid1(VALU_DEP_2)
	v_add_f32_e32 v55, v67, v30
	v_add_f32_e32 v65, v64, v31
	s_delay_alu instid0(VALU_DEP_2) | instskip(NEXT) | instid1(VALU_DEP_2)
	v_sub_f32_e32 v67, v55, v67
	v_add_f32_e32 v66, v55, v65
	v_sub_f32_e32 v64, v65, v64
	s_delay_alu instid0(VALU_DEP_3) | instskip(NEXT) | instid1(VALU_DEP_2)
	v_sub_f32_e32 v30, v30, v67
	v_dual_sub_f32 v68, v66, v55 :: v_dual_sub_f32 v31, v31, v64
	s_delay_alu instid0(VALU_DEP_1) | instskip(NEXT) | instid1(VALU_DEP_2)
	v_sub_f32_e32 v69, v66, v68
	v_dual_sub_f32 v64, v65, v68 :: v_dual_add_f32 v65, v30, v31
	s_delay_alu instid0(VALU_DEP_2) | instskip(NEXT) | instid1(VALU_DEP_1)
	v_sub_f32_e32 v55, v55, v69
	v_dual_add_f32 v55, v64, v55 :: v_dual_sub_f32 v64, v65, v30
	s_delay_alu instid0(VALU_DEP_1) | instskip(NEXT) | instid1(VALU_DEP_2)
	v_add_f32_e32 v55, v65, v55
	v_sub_f32_e32 v65, v65, v64
	v_sub_f32_e32 v31, v31, v64
	s_delay_alu instid0(VALU_DEP_3) | instskip(NEXT) | instid1(VALU_DEP_3)
	v_add_f32_e32 v67, v66, v55
	v_sub_f32_e32 v30, v30, v65
	s_delay_alu instid0(VALU_DEP_2) | instskip(NEXT) | instid1(VALU_DEP_2)
	v_sub_f32_e32 v64, v67, v66
	v_add_f32_e32 v30, v31, v30
	s_delay_alu instid0(VALU_DEP_2) | instskip(NEXT) | instid1(VALU_DEP_1)
	v_sub_f32_e32 v31, v55, v64
	v_add_f32_e32 v30, v30, v31
	s_delay_alu instid0(VALU_DEP_1) | instskip(NEXT) | instid1(VALU_DEP_1)
	v_add_f32_e32 v30, v67, v30
	v_cndmask_b32_e64 v30, v30, v54, s16
	s_delay_alu instid0(VALU_DEP_1) | instskip(NEXT) | instid1(VALU_DEP_1)
	v_add_f32_e32 v23, v23, v30
	v_cvt_f16_f32_e32 v31, v23
	s_delay_alu instid0(VALU_DEP_1)
	v_mov_b32_e32 v30, v31
	v_cvt_f32_f16_e32 v64, v31
.LBB430_268:
	s_or_b32 exec_lo, exec_lo, s17
	v_cvt_f32_f16_e32 v23, v49
	s_delay_alu instid0(VALU_DEP_2) | instskip(SKIP_1) | instid1(VALU_DEP_2)
	v_max_f32_e32 v54, v64, v64
	v_cmp_u_f16_e64 s16, v31, v31
	v_min_f32_e32 v55, v54, v23
	v_max_f32_e32 v54, v54, v23
	s_delay_alu instid0(VALU_DEP_2) | instskip(NEXT) | instid1(VALU_DEP_2)
	v_cndmask_b32_e64 v55, v55, v64, s16
	v_cndmask_b32_e64 v65, v54, v64, s16
	v_cmp_u_f16_e64 s16, v49, v49
	s_delay_alu instid0(VALU_DEP_1) | instskip(NEXT) | instid1(VALU_DEP_3)
	v_cndmask_b32_e64 v54, v55, v23, s16
	v_cndmask_b32_e64 v49, v65, v23, s16
	s_delay_alu instid0(VALU_DEP_2) | instskip(NEXT) | instid1(VALU_DEP_2)
	v_cmp_class_f32_e64 s18, v54, 0x1f8
	v_cmp_neq_f32_e64 s17, v54, v49
	s_delay_alu instid0(VALU_DEP_1) | instskip(NEXT) | instid1(SALU_CYCLE_1)
	s_or_b32 s17, s17, s18
	s_and_saveexec_b32 s18, s17
	s_cbranch_execz .LBB430_270
; %bb.269:
	v_sub_f32_e32 v30, v54, v49
	s_delay_alu instid0(VALU_DEP_1) | instskip(NEXT) | instid1(VALU_DEP_1)
	v_mul_f32_e32 v31, 0x3fb8aa3b, v30
	v_fma_f32 v54, 0x3fb8aa3b, v30, -v31
	v_rndne_f32_e32 v55, v31
	s_delay_alu instid0(VALU_DEP_1) | instskip(SKIP_1) | instid1(VALU_DEP_2)
	v_dual_sub_f32 v31, v31, v55 :: v_dual_fmamk_f32 v54, v30, 0x32a5705f, v54
	v_cmp_ngt_f32_e64 s17, 0xc2ce8ed0, v30
	v_add_f32_e32 v31, v31, v54
	v_cvt_i32_f32_e32 v54, v55
	s_delay_alu instid0(VALU_DEP_2) | instskip(SKIP_2) | instid1(VALU_DEP_1)
	v_exp_f32_e32 v31, v31
	s_waitcnt_depctr 0xfff
	v_ldexp_f32 v31, v31, v54
	v_cndmask_b32_e64 v31, 0, v31, s17
	v_cmp_nlt_f32_e64 s17, 0x42b17218, v30
	s_delay_alu instid0(VALU_DEP_1) | instskip(NEXT) | instid1(VALU_DEP_1)
	v_cndmask_b32_e64 v54, 0x7f800000, v31, s17
	v_add_f32_e32 v55, 1.0, v54
	v_cmp_gt_f32_e64 s19, 0x33800000, |v54|
	s_delay_alu instid0(VALU_DEP_2) | instskip(NEXT) | instid1(VALU_DEP_1)
	v_cvt_f64_f32_e32 v[30:31], v55
	v_frexp_exp_i32_f64_e32 v30, v[30:31]
	v_frexp_mant_f32_e32 v31, v55
	s_delay_alu instid0(VALU_DEP_1) | instskip(SKIP_1) | instid1(VALU_DEP_1)
	v_cmp_gt_f32_e64 s17, 0x3f2aaaab, v31
	v_add_f32_e32 v31, -1.0, v55
	v_sub_f32_e32 v65, v31, v55
	v_sub_f32_e32 v31, v54, v31
	s_delay_alu instid0(VALU_DEP_4) | instskip(SKIP_1) | instid1(VALU_DEP_1)
	v_subrev_co_ci_u32_e64 v30, s17, 0, v30, s17
	s_mov_b32 s17, 0x3e9b6dac
	v_sub_nc_u32_e32 v64, 0, v30
	v_cvt_f32_i32_e32 v30, v30
	s_delay_alu instid0(VALU_DEP_2) | instskip(NEXT) | instid1(VALU_DEP_1)
	v_ldexp_f32 v55, v55, v64
	v_dual_add_f32 v66, 1.0, v55 :: v_dual_add_f32 v65, 1.0, v65
	s_delay_alu instid0(VALU_DEP_1) | instskip(NEXT) | instid1(VALU_DEP_2)
	v_add_f32_e32 v31, v31, v65
	v_add_f32_e32 v65, -1.0, v66
	s_delay_alu instid0(VALU_DEP_2) | instskip(NEXT) | instid1(VALU_DEP_2)
	v_ldexp_f32 v31, v31, v64
	v_dual_add_f32 v64, -1.0, v55 :: v_dual_sub_f32 v65, v55, v65
	s_delay_alu instid0(VALU_DEP_1) | instskip(NEXT) | instid1(VALU_DEP_2)
	v_add_f32_e32 v67, 1.0, v64
	v_add_f32_e32 v65, v31, v65
	s_delay_alu instid0(VALU_DEP_2) | instskip(NEXT) | instid1(VALU_DEP_2)
	v_sub_f32_e32 v55, v55, v67
	v_add_f32_e32 v67, v66, v65
	s_delay_alu instid0(VALU_DEP_2) | instskip(NEXT) | instid1(VALU_DEP_2)
	v_add_f32_e32 v31, v31, v55
	v_rcp_f32_e32 v55, v67
	v_sub_f32_e32 v66, v66, v67
	s_delay_alu instid0(VALU_DEP_1) | instskip(NEXT) | instid1(VALU_DEP_1)
	v_dual_add_f32 v68, v64, v31 :: v_dual_add_f32 v65, v65, v66
	v_sub_f32_e32 v64, v64, v68
	s_waitcnt_depctr 0xfff
	v_mul_f32_e32 v69, v68, v55
	v_add_f32_e32 v31, v31, v64
	s_delay_alu instid0(VALU_DEP_2) | instskip(NEXT) | instid1(VALU_DEP_1)
	v_mul_f32_e32 v70, v67, v69
	v_fma_f32 v66, v69, v67, -v70
	s_delay_alu instid0(VALU_DEP_1) | instskip(NEXT) | instid1(VALU_DEP_1)
	v_fmac_f32_e32 v66, v69, v65
	v_add_f32_e32 v71, v70, v66
	s_delay_alu instid0(VALU_DEP_1) | instskip(SKIP_1) | instid1(VALU_DEP_2)
	v_sub_f32_e32 v80, v68, v71
	v_sub_f32_e32 v64, v71, v70
	;; [unrolled: 1-line block ×3, first 2 shown]
	s_delay_alu instid0(VALU_DEP_2) | instskip(NEXT) | instid1(VALU_DEP_2)
	v_sub_f32_e32 v64, v64, v66
	v_sub_f32_e32 v68, v68, v71
	s_delay_alu instid0(VALU_DEP_1) | instskip(NEXT) | instid1(VALU_DEP_1)
	v_add_f32_e32 v31, v31, v68
	v_add_f32_e32 v31, v64, v31
	s_delay_alu instid0(VALU_DEP_1) | instskip(NEXT) | instid1(VALU_DEP_1)
	v_add_f32_e32 v64, v80, v31
	v_mul_f32_e32 v66, v55, v64
	s_delay_alu instid0(VALU_DEP_1) | instskip(NEXT) | instid1(VALU_DEP_1)
	v_dual_sub_f32 v71, v80, v64 :: v_dual_mul_f32 v68, v67, v66
	v_add_f32_e32 v31, v31, v71
	s_delay_alu instid0(VALU_DEP_2) | instskip(NEXT) | instid1(VALU_DEP_1)
	v_fma_f32 v67, v66, v67, -v68
	v_fmac_f32_e32 v67, v66, v65
	s_delay_alu instid0(VALU_DEP_1) | instskip(NEXT) | instid1(VALU_DEP_1)
	v_add_f32_e32 v65, v68, v67
	v_sub_f32_e32 v70, v64, v65
	v_sub_f32_e32 v68, v65, v68
	s_delay_alu instid0(VALU_DEP_2) | instskip(NEXT) | instid1(VALU_DEP_1)
	v_sub_f32_e32 v64, v64, v70
	v_sub_f32_e32 v64, v64, v65
	s_delay_alu instid0(VALU_DEP_3) | instskip(NEXT) | instid1(VALU_DEP_2)
	v_sub_f32_e32 v65, v68, v67
	v_dual_add_f32 v31, v31, v64 :: v_dual_add_f32 v64, v69, v66
	s_delay_alu instid0(VALU_DEP_1) | instskip(NEXT) | instid1(VALU_DEP_2)
	v_add_f32_e32 v31, v65, v31
	v_sub_f32_e32 v65, v64, v69
	s_delay_alu instid0(VALU_DEP_2) | instskip(NEXT) | instid1(VALU_DEP_2)
	v_add_f32_e32 v31, v70, v31
	v_sub_f32_e32 v65, v66, v65
	s_delay_alu instid0(VALU_DEP_2) | instskip(NEXT) | instid1(VALU_DEP_1)
	v_mul_f32_e32 v31, v55, v31
	v_add_f32_e32 v31, v65, v31
	s_delay_alu instid0(VALU_DEP_1) | instskip(NEXT) | instid1(VALU_DEP_1)
	v_add_f32_e32 v55, v64, v31
	v_mul_f32_e32 v65, v55, v55
	s_delay_alu instid0(VALU_DEP_1) | instskip(SKIP_2) | instid1(VALU_DEP_3)
	v_fmaak_f32 v66, s17, v65, 0x3ecc95a3
	v_mul_f32_e32 v67, v55, v65
	v_cmp_eq_f32_e64 s17, 0x7f800000, v54
	v_fmaak_f32 v65, v65, v66, 0x3f2aaada
	v_ldexp_f32 v66, v55, 1
	v_sub_f32_e32 v55, v55, v64
	s_delay_alu instid0(VALU_DEP_4) | instskip(NEXT) | instid1(VALU_DEP_3)
	s_or_b32 s17, s17, s19
	v_mul_f32_e32 v65, v67, v65
	v_mul_f32_e32 v67, 0x3f317218, v30
	s_delay_alu instid0(VALU_DEP_2) | instskip(NEXT) | instid1(VALU_DEP_1)
	v_dual_sub_f32 v31, v31, v55 :: v_dual_add_f32 v64, v66, v65
	v_ldexp_f32 v31, v31, 1
	s_delay_alu instid0(VALU_DEP_2) | instskip(NEXT) | instid1(VALU_DEP_4)
	v_sub_f32_e32 v55, v64, v66
	v_fma_f32 v66, 0x3f317218, v30, -v67
	s_delay_alu instid0(VALU_DEP_1) | instskip(NEXT) | instid1(VALU_DEP_1)
	v_dual_sub_f32 v55, v65, v55 :: v_dual_fmamk_f32 v30, v30, 0xb102e308, v66
	v_add_f32_e32 v31, v31, v55
	s_delay_alu instid0(VALU_DEP_2) | instskip(NEXT) | instid1(VALU_DEP_2)
	v_add_f32_e32 v55, v67, v30
	v_add_f32_e32 v65, v64, v31
	s_delay_alu instid0(VALU_DEP_2) | instskip(NEXT) | instid1(VALU_DEP_2)
	v_sub_f32_e32 v67, v55, v67
	v_add_f32_e32 v66, v55, v65
	v_sub_f32_e32 v64, v65, v64
	s_delay_alu instid0(VALU_DEP_3) | instskip(NEXT) | instid1(VALU_DEP_2)
	v_sub_f32_e32 v30, v30, v67
	v_dual_sub_f32 v68, v66, v55 :: v_dual_sub_f32 v31, v31, v64
	s_delay_alu instid0(VALU_DEP_1) | instskip(NEXT) | instid1(VALU_DEP_2)
	v_sub_f32_e32 v69, v66, v68
	v_dual_sub_f32 v64, v65, v68 :: v_dual_add_f32 v65, v30, v31
	s_delay_alu instid0(VALU_DEP_2) | instskip(NEXT) | instid1(VALU_DEP_1)
	v_sub_f32_e32 v55, v55, v69
	v_dual_add_f32 v55, v64, v55 :: v_dual_sub_f32 v64, v65, v30
	s_delay_alu instid0(VALU_DEP_1) | instskip(NEXT) | instid1(VALU_DEP_2)
	v_add_f32_e32 v55, v65, v55
	v_sub_f32_e32 v65, v65, v64
	v_sub_f32_e32 v31, v31, v64
	s_delay_alu instid0(VALU_DEP_3) | instskip(NEXT) | instid1(VALU_DEP_3)
	v_add_f32_e32 v67, v66, v55
	v_sub_f32_e32 v30, v30, v65
	s_delay_alu instid0(VALU_DEP_2) | instskip(NEXT) | instid1(VALU_DEP_2)
	v_sub_f32_e32 v64, v67, v66
	v_add_f32_e32 v30, v31, v30
	s_delay_alu instid0(VALU_DEP_2) | instskip(NEXT) | instid1(VALU_DEP_1)
	v_sub_f32_e32 v31, v55, v64
	v_add_f32_e32 v30, v30, v31
	s_delay_alu instid0(VALU_DEP_1) | instskip(NEXT) | instid1(VALU_DEP_1)
	v_add_f32_e32 v30, v67, v30
	v_cndmask_b32_e64 v30, v30, v54, s17
	s_delay_alu instid0(VALU_DEP_1) | instskip(NEXT) | instid1(VALU_DEP_1)
	v_add_f32_e32 v30, v49, v30
	v_cvt_f16_f32_e32 v31, v30
	s_delay_alu instid0(VALU_DEP_1)
	v_mov_b32_e32 v30, v31
	v_cvt_f32_f16_e32 v64, v31
.LBB430_270:
	s_or_b32 exec_lo, exec_lo, s18
	v_cvt_f32_f16_e32 v49, v16
	s_delay_alu instid0(VALU_DEP_2) | instskip(SKIP_1) | instid1(VALU_DEP_2)
	v_max_f32_e32 v54, v64, v64
	v_cmp_u_f16_e64 s17, v31, v31
	v_min_f32_e32 v55, v54, v49
	v_max_f32_e32 v54, v54, v49
	s_delay_alu instid0(VALU_DEP_2) | instskip(NEXT) | instid1(VALU_DEP_2)
	v_cndmask_b32_e64 v55, v55, v64, s17
	v_cndmask_b32_e64 v65, v54, v64, s17
	v_cmp_u_f16_e64 s17, v16, v16
	s_delay_alu instid0(VALU_DEP_1) | instskip(NEXT) | instid1(VALU_DEP_3)
	v_cndmask_b32_e64 v54, v55, v49, s17
	v_cndmask_b32_e64 v16, v65, v49, s17
	s_delay_alu instid0(VALU_DEP_2) | instskip(NEXT) | instid1(VALU_DEP_2)
	v_cmp_class_f32_e64 s19, v54, 0x1f8
	v_cmp_neq_f32_e64 s18, v54, v16
	s_delay_alu instid0(VALU_DEP_1) | instskip(NEXT) | instid1(SALU_CYCLE_1)
	s_or_b32 s18, s18, s19
	s_and_saveexec_b32 s19, s18
	s_cbranch_execz .LBB430_272
; %bb.271:
	v_sub_f32_e32 v30, v54, v16
	s_delay_alu instid0(VALU_DEP_1) | instskip(NEXT) | instid1(VALU_DEP_1)
	v_mul_f32_e32 v31, 0x3fb8aa3b, v30
	v_fma_f32 v54, 0x3fb8aa3b, v30, -v31
	v_rndne_f32_e32 v55, v31
	s_delay_alu instid0(VALU_DEP_1) | instskip(SKIP_1) | instid1(VALU_DEP_2)
	v_dual_sub_f32 v31, v31, v55 :: v_dual_fmamk_f32 v54, v30, 0x32a5705f, v54
	v_cmp_ngt_f32_e64 s18, 0xc2ce8ed0, v30
	v_add_f32_e32 v31, v31, v54
	v_cvt_i32_f32_e32 v54, v55
	s_delay_alu instid0(VALU_DEP_2) | instskip(SKIP_2) | instid1(VALU_DEP_1)
	v_exp_f32_e32 v31, v31
	s_waitcnt_depctr 0xfff
	v_ldexp_f32 v31, v31, v54
	v_cndmask_b32_e64 v31, 0, v31, s18
	v_cmp_nlt_f32_e64 s18, 0x42b17218, v30
	s_delay_alu instid0(VALU_DEP_1) | instskip(NEXT) | instid1(VALU_DEP_1)
	v_cndmask_b32_e64 v54, 0x7f800000, v31, s18
	v_add_f32_e32 v55, 1.0, v54
	v_cmp_gt_f32_e64 s20, 0x33800000, |v54|
	s_delay_alu instid0(VALU_DEP_2) | instskip(NEXT) | instid1(VALU_DEP_1)
	v_cvt_f64_f32_e32 v[30:31], v55
	v_frexp_exp_i32_f64_e32 v30, v[30:31]
	v_frexp_mant_f32_e32 v31, v55
	s_delay_alu instid0(VALU_DEP_1) | instskip(SKIP_1) | instid1(VALU_DEP_1)
	v_cmp_gt_f32_e64 s18, 0x3f2aaaab, v31
	v_add_f32_e32 v31, -1.0, v55
	v_sub_f32_e32 v65, v31, v55
	v_sub_f32_e32 v31, v54, v31
	s_delay_alu instid0(VALU_DEP_4) | instskip(SKIP_1) | instid1(VALU_DEP_1)
	v_subrev_co_ci_u32_e64 v30, s18, 0, v30, s18
	s_mov_b32 s18, 0x3e9b6dac
	v_sub_nc_u32_e32 v64, 0, v30
	v_cvt_f32_i32_e32 v30, v30
	s_delay_alu instid0(VALU_DEP_2) | instskip(NEXT) | instid1(VALU_DEP_1)
	v_ldexp_f32 v55, v55, v64
	v_dual_add_f32 v66, 1.0, v55 :: v_dual_add_f32 v65, 1.0, v65
	s_delay_alu instid0(VALU_DEP_1) | instskip(NEXT) | instid1(VALU_DEP_2)
	v_add_f32_e32 v31, v31, v65
	v_add_f32_e32 v65, -1.0, v66
	s_delay_alu instid0(VALU_DEP_2) | instskip(NEXT) | instid1(VALU_DEP_2)
	v_ldexp_f32 v31, v31, v64
	v_dual_add_f32 v64, -1.0, v55 :: v_dual_sub_f32 v65, v55, v65
	s_delay_alu instid0(VALU_DEP_1) | instskip(NEXT) | instid1(VALU_DEP_2)
	v_add_f32_e32 v67, 1.0, v64
	v_add_f32_e32 v65, v31, v65
	s_delay_alu instid0(VALU_DEP_2) | instskip(NEXT) | instid1(VALU_DEP_2)
	v_sub_f32_e32 v55, v55, v67
	v_add_f32_e32 v67, v66, v65
	s_delay_alu instid0(VALU_DEP_2) | instskip(NEXT) | instid1(VALU_DEP_2)
	v_add_f32_e32 v31, v31, v55
	v_rcp_f32_e32 v55, v67
	v_sub_f32_e32 v66, v66, v67
	s_delay_alu instid0(VALU_DEP_1) | instskip(NEXT) | instid1(VALU_DEP_1)
	v_dual_add_f32 v68, v64, v31 :: v_dual_add_f32 v65, v65, v66
	v_sub_f32_e32 v64, v64, v68
	s_waitcnt_depctr 0xfff
	v_mul_f32_e32 v69, v68, v55
	v_add_f32_e32 v31, v31, v64
	s_delay_alu instid0(VALU_DEP_2) | instskip(NEXT) | instid1(VALU_DEP_1)
	v_mul_f32_e32 v70, v67, v69
	v_fma_f32 v66, v69, v67, -v70
	s_delay_alu instid0(VALU_DEP_1) | instskip(NEXT) | instid1(VALU_DEP_1)
	v_fmac_f32_e32 v66, v69, v65
	v_add_f32_e32 v71, v70, v66
	s_delay_alu instid0(VALU_DEP_1) | instskip(SKIP_1) | instid1(VALU_DEP_2)
	v_sub_f32_e32 v80, v68, v71
	v_sub_f32_e32 v64, v71, v70
	;; [unrolled: 1-line block ×3, first 2 shown]
	s_delay_alu instid0(VALU_DEP_2) | instskip(NEXT) | instid1(VALU_DEP_2)
	v_sub_f32_e32 v64, v64, v66
	v_sub_f32_e32 v68, v68, v71
	s_delay_alu instid0(VALU_DEP_1) | instskip(NEXT) | instid1(VALU_DEP_1)
	v_add_f32_e32 v31, v31, v68
	v_add_f32_e32 v31, v64, v31
	s_delay_alu instid0(VALU_DEP_1) | instskip(NEXT) | instid1(VALU_DEP_1)
	v_add_f32_e32 v64, v80, v31
	v_mul_f32_e32 v66, v55, v64
	s_delay_alu instid0(VALU_DEP_1) | instskip(NEXT) | instid1(VALU_DEP_1)
	v_dual_sub_f32 v71, v80, v64 :: v_dual_mul_f32 v68, v67, v66
	v_add_f32_e32 v31, v31, v71
	s_delay_alu instid0(VALU_DEP_2) | instskip(NEXT) | instid1(VALU_DEP_1)
	v_fma_f32 v67, v66, v67, -v68
	v_fmac_f32_e32 v67, v66, v65
	s_delay_alu instid0(VALU_DEP_1) | instskip(NEXT) | instid1(VALU_DEP_1)
	v_add_f32_e32 v65, v68, v67
	v_sub_f32_e32 v70, v64, v65
	v_sub_f32_e32 v68, v65, v68
	s_delay_alu instid0(VALU_DEP_2) | instskip(NEXT) | instid1(VALU_DEP_1)
	v_sub_f32_e32 v64, v64, v70
	v_sub_f32_e32 v64, v64, v65
	s_delay_alu instid0(VALU_DEP_3) | instskip(NEXT) | instid1(VALU_DEP_2)
	v_sub_f32_e32 v65, v68, v67
	v_dual_add_f32 v31, v31, v64 :: v_dual_add_f32 v64, v69, v66
	s_delay_alu instid0(VALU_DEP_1) | instskip(NEXT) | instid1(VALU_DEP_2)
	v_add_f32_e32 v31, v65, v31
	v_sub_f32_e32 v65, v64, v69
	s_delay_alu instid0(VALU_DEP_2) | instskip(NEXT) | instid1(VALU_DEP_2)
	v_add_f32_e32 v31, v70, v31
	v_sub_f32_e32 v65, v66, v65
	s_delay_alu instid0(VALU_DEP_2) | instskip(NEXT) | instid1(VALU_DEP_1)
	v_mul_f32_e32 v31, v55, v31
	v_add_f32_e32 v31, v65, v31
	s_delay_alu instid0(VALU_DEP_1) | instskip(NEXT) | instid1(VALU_DEP_1)
	v_add_f32_e32 v55, v64, v31
	v_mul_f32_e32 v65, v55, v55
	s_delay_alu instid0(VALU_DEP_1) | instskip(SKIP_2) | instid1(VALU_DEP_3)
	v_fmaak_f32 v66, s18, v65, 0x3ecc95a3
	v_mul_f32_e32 v67, v55, v65
	v_cmp_eq_f32_e64 s18, 0x7f800000, v54
	v_fmaak_f32 v65, v65, v66, 0x3f2aaada
	v_ldexp_f32 v66, v55, 1
	v_sub_f32_e32 v55, v55, v64
	s_delay_alu instid0(VALU_DEP_4) | instskip(NEXT) | instid1(VALU_DEP_3)
	s_or_b32 s18, s18, s20
	v_mul_f32_e32 v65, v67, v65
	v_mul_f32_e32 v67, 0x3f317218, v30
	s_delay_alu instid0(VALU_DEP_2) | instskip(NEXT) | instid1(VALU_DEP_1)
	v_dual_sub_f32 v31, v31, v55 :: v_dual_add_f32 v64, v66, v65
	v_ldexp_f32 v31, v31, 1
	s_delay_alu instid0(VALU_DEP_2) | instskip(NEXT) | instid1(VALU_DEP_4)
	v_sub_f32_e32 v55, v64, v66
	v_fma_f32 v66, 0x3f317218, v30, -v67
	s_delay_alu instid0(VALU_DEP_1) | instskip(NEXT) | instid1(VALU_DEP_1)
	v_dual_sub_f32 v55, v65, v55 :: v_dual_fmamk_f32 v30, v30, 0xb102e308, v66
	v_add_f32_e32 v31, v31, v55
	s_delay_alu instid0(VALU_DEP_2) | instskip(NEXT) | instid1(VALU_DEP_2)
	v_add_f32_e32 v55, v67, v30
	v_add_f32_e32 v65, v64, v31
	s_delay_alu instid0(VALU_DEP_2) | instskip(NEXT) | instid1(VALU_DEP_2)
	v_sub_f32_e32 v67, v55, v67
	v_add_f32_e32 v66, v55, v65
	v_sub_f32_e32 v64, v65, v64
	s_delay_alu instid0(VALU_DEP_3) | instskip(NEXT) | instid1(VALU_DEP_2)
	v_sub_f32_e32 v30, v30, v67
	v_dual_sub_f32 v68, v66, v55 :: v_dual_sub_f32 v31, v31, v64
	s_delay_alu instid0(VALU_DEP_1) | instskip(NEXT) | instid1(VALU_DEP_2)
	v_sub_f32_e32 v69, v66, v68
	v_dual_sub_f32 v64, v65, v68 :: v_dual_add_f32 v65, v30, v31
	s_delay_alu instid0(VALU_DEP_2) | instskip(NEXT) | instid1(VALU_DEP_1)
	v_sub_f32_e32 v55, v55, v69
	v_dual_add_f32 v55, v64, v55 :: v_dual_sub_f32 v64, v65, v30
	s_delay_alu instid0(VALU_DEP_1) | instskip(NEXT) | instid1(VALU_DEP_2)
	v_add_f32_e32 v55, v65, v55
	v_sub_f32_e32 v65, v65, v64
	v_sub_f32_e32 v31, v31, v64
	s_delay_alu instid0(VALU_DEP_3) | instskip(NEXT) | instid1(VALU_DEP_3)
	v_add_f32_e32 v67, v66, v55
	v_sub_f32_e32 v30, v30, v65
	s_delay_alu instid0(VALU_DEP_2) | instskip(NEXT) | instid1(VALU_DEP_2)
	v_sub_f32_e32 v64, v67, v66
	v_add_f32_e32 v30, v31, v30
	s_delay_alu instid0(VALU_DEP_2) | instskip(NEXT) | instid1(VALU_DEP_1)
	v_sub_f32_e32 v31, v55, v64
	v_add_f32_e32 v30, v30, v31
	s_delay_alu instid0(VALU_DEP_1) | instskip(NEXT) | instid1(VALU_DEP_1)
	v_add_f32_e32 v30, v67, v30
	v_cndmask_b32_e64 v30, v30, v54, s18
	s_delay_alu instid0(VALU_DEP_1) | instskip(NEXT) | instid1(VALU_DEP_1)
	v_add_f32_e32 v16, v16, v30
	v_cvt_f16_f32_e32 v31, v16
	s_delay_alu instid0(VALU_DEP_1)
	v_mov_b32_e32 v30, v31
	v_cvt_f32_f16_e32 v64, v31
.LBB430_272:
	s_or_b32 exec_lo, exec_lo, s19
	v_cvt_f32_f16_e32 v16, v48
	s_delay_alu instid0(VALU_DEP_2) | instskip(SKIP_1) | instid1(VALU_DEP_2)
	v_max_f32_e32 v54, v64, v64
	v_cmp_u_f16_e64 s18, v31, v31
	v_min_f32_e32 v55, v54, v16
	v_max_f32_e32 v54, v54, v16
	s_delay_alu instid0(VALU_DEP_2) | instskip(NEXT) | instid1(VALU_DEP_2)
	v_cndmask_b32_e64 v55, v55, v64, s18
	v_cndmask_b32_e64 v65, v54, v64, s18
	v_cmp_u_f16_e64 s18, v48, v48
	s_delay_alu instid0(VALU_DEP_1) | instskip(NEXT) | instid1(VALU_DEP_3)
	v_cndmask_b32_e64 v54, v55, v16, s18
	v_cndmask_b32_e64 v48, v65, v16, s18
	s_delay_alu instid0(VALU_DEP_2) | instskip(NEXT) | instid1(VALU_DEP_2)
	v_cmp_class_f32_e64 s20, v54, 0x1f8
	v_cmp_neq_f32_e64 s19, v54, v48
	s_delay_alu instid0(VALU_DEP_1) | instskip(NEXT) | instid1(SALU_CYCLE_1)
	s_or_b32 s19, s19, s20
	s_and_saveexec_b32 s20, s19
	s_cbranch_execz .LBB430_274
; %bb.273:
	v_sub_f32_e32 v30, v54, v48
	s_delay_alu instid0(VALU_DEP_1) | instskip(NEXT) | instid1(VALU_DEP_1)
	v_mul_f32_e32 v31, 0x3fb8aa3b, v30
	v_fma_f32 v54, 0x3fb8aa3b, v30, -v31
	v_rndne_f32_e32 v55, v31
	s_delay_alu instid0(VALU_DEP_1) | instskip(SKIP_1) | instid1(VALU_DEP_2)
	v_dual_sub_f32 v31, v31, v55 :: v_dual_fmamk_f32 v54, v30, 0x32a5705f, v54
	v_cmp_ngt_f32_e64 s19, 0xc2ce8ed0, v30
	v_add_f32_e32 v31, v31, v54
	v_cvt_i32_f32_e32 v54, v55
	s_delay_alu instid0(VALU_DEP_2) | instskip(SKIP_2) | instid1(VALU_DEP_1)
	v_exp_f32_e32 v31, v31
	s_waitcnt_depctr 0xfff
	v_ldexp_f32 v31, v31, v54
	v_cndmask_b32_e64 v31, 0, v31, s19
	v_cmp_nlt_f32_e64 s19, 0x42b17218, v30
	s_delay_alu instid0(VALU_DEP_1) | instskip(NEXT) | instid1(VALU_DEP_1)
	v_cndmask_b32_e64 v54, 0x7f800000, v31, s19
	v_add_f32_e32 v55, 1.0, v54
	v_cmp_gt_f32_e64 s21, 0x33800000, |v54|
	s_delay_alu instid0(VALU_DEP_2) | instskip(NEXT) | instid1(VALU_DEP_1)
	v_cvt_f64_f32_e32 v[30:31], v55
	v_frexp_exp_i32_f64_e32 v30, v[30:31]
	v_frexp_mant_f32_e32 v31, v55
	s_delay_alu instid0(VALU_DEP_1) | instskip(SKIP_1) | instid1(VALU_DEP_1)
	v_cmp_gt_f32_e64 s19, 0x3f2aaaab, v31
	v_add_f32_e32 v31, -1.0, v55
	v_sub_f32_e32 v65, v31, v55
	v_sub_f32_e32 v31, v54, v31
	s_delay_alu instid0(VALU_DEP_4) | instskip(SKIP_1) | instid1(VALU_DEP_1)
	v_subrev_co_ci_u32_e64 v30, s19, 0, v30, s19
	s_mov_b32 s19, 0x3e9b6dac
	v_sub_nc_u32_e32 v64, 0, v30
	v_cvt_f32_i32_e32 v30, v30
	s_delay_alu instid0(VALU_DEP_2) | instskip(NEXT) | instid1(VALU_DEP_1)
	v_ldexp_f32 v55, v55, v64
	v_dual_add_f32 v66, 1.0, v55 :: v_dual_add_f32 v65, 1.0, v65
	s_delay_alu instid0(VALU_DEP_1) | instskip(NEXT) | instid1(VALU_DEP_2)
	v_add_f32_e32 v31, v31, v65
	v_add_f32_e32 v65, -1.0, v66
	s_delay_alu instid0(VALU_DEP_2) | instskip(NEXT) | instid1(VALU_DEP_2)
	v_ldexp_f32 v31, v31, v64
	v_dual_add_f32 v64, -1.0, v55 :: v_dual_sub_f32 v65, v55, v65
	s_delay_alu instid0(VALU_DEP_1) | instskip(NEXT) | instid1(VALU_DEP_2)
	v_add_f32_e32 v67, 1.0, v64
	v_add_f32_e32 v65, v31, v65
	s_delay_alu instid0(VALU_DEP_2) | instskip(NEXT) | instid1(VALU_DEP_2)
	v_sub_f32_e32 v55, v55, v67
	v_add_f32_e32 v67, v66, v65
	s_delay_alu instid0(VALU_DEP_2) | instskip(NEXT) | instid1(VALU_DEP_2)
	v_add_f32_e32 v31, v31, v55
	v_rcp_f32_e32 v55, v67
	v_sub_f32_e32 v66, v66, v67
	s_delay_alu instid0(VALU_DEP_1) | instskip(NEXT) | instid1(VALU_DEP_1)
	v_dual_add_f32 v68, v64, v31 :: v_dual_add_f32 v65, v65, v66
	v_sub_f32_e32 v64, v64, v68
	s_waitcnt_depctr 0xfff
	v_mul_f32_e32 v69, v68, v55
	v_add_f32_e32 v31, v31, v64
	s_delay_alu instid0(VALU_DEP_2) | instskip(NEXT) | instid1(VALU_DEP_1)
	v_mul_f32_e32 v70, v67, v69
	v_fma_f32 v66, v69, v67, -v70
	s_delay_alu instid0(VALU_DEP_1) | instskip(NEXT) | instid1(VALU_DEP_1)
	v_fmac_f32_e32 v66, v69, v65
	v_add_f32_e32 v71, v70, v66
	s_delay_alu instid0(VALU_DEP_1) | instskip(SKIP_1) | instid1(VALU_DEP_2)
	v_sub_f32_e32 v80, v68, v71
	v_sub_f32_e32 v64, v71, v70
	;; [unrolled: 1-line block ×3, first 2 shown]
	s_delay_alu instid0(VALU_DEP_2) | instskip(NEXT) | instid1(VALU_DEP_2)
	v_sub_f32_e32 v64, v64, v66
	v_sub_f32_e32 v68, v68, v71
	s_delay_alu instid0(VALU_DEP_1) | instskip(NEXT) | instid1(VALU_DEP_1)
	v_add_f32_e32 v31, v31, v68
	v_add_f32_e32 v31, v64, v31
	s_delay_alu instid0(VALU_DEP_1) | instskip(NEXT) | instid1(VALU_DEP_1)
	v_add_f32_e32 v64, v80, v31
	v_mul_f32_e32 v66, v55, v64
	s_delay_alu instid0(VALU_DEP_1) | instskip(NEXT) | instid1(VALU_DEP_1)
	v_dual_sub_f32 v71, v80, v64 :: v_dual_mul_f32 v68, v67, v66
	v_add_f32_e32 v31, v31, v71
	s_delay_alu instid0(VALU_DEP_2) | instskip(NEXT) | instid1(VALU_DEP_1)
	v_fma_f32 v67, v66, v67, -v68
	v_fmac_f32_e32 v67, v66, v65
	s_delay_alu instid0(VALU_DEP_1) | instskip(NEXT) | instid1(VALU_DEP_1)
	v_add_f32_e32 v65, v68, v67
	v_sub_f32_e32 v70, v64, v65
	v_sub_f32_e32 v68, v65, v68
	s_delay_alu instid0(VALU_DEP_2) | instskip(NEXT) | instid1(VALU_DEP_1)
	v_sub_f32_e32 v64, v64, v70
	v_sub_f32_e32 v64, v64, v65
	s_delay_alu instid0(VALU_DEP_3) | instskip(NEXT) | instid1(VALU_DEP_2)
	v_sub_f32_e32 v65, v68, v67
	v_dual_add_f32 v31, v31, v64 :: v_dual_add_f32 v64, v69, v66
	s_delay_alu instid0(VALU_DEP_1) | instskip(NEXT) | instid1(VALU_DEP_2)
	v_add_f32_e32 v31, v65, v31
	v_sub_f32_e32 v65, v64, v69
	s_delay_alu instid0(VALU_DEP_2) | instskip(NEXT) | instid1(VALU_DEP_2)
	v_add_f32_e32 v31, v70, v31
	v_sub_f32_e32 v65, v66, v65
	s_delay_alu instid0(VALU_DEP_2) | instskip(NEXT) | instid1(VALU_DEP_1)
	v_mul_f32_e32 v31, v55, v31
	v_add_f32_e32 v31, v65, v31
	s_delay_alu instid0(VALU_DEP_1) | instskip(NEXT) | instid1(VALU_DEP_1)
	v_add_f32_e32 v55, v64, v31
	v_mul_f32_e32 v65, v55, v55
	s_delay_alu instid0(VALU_DEP_1) | instskip(SKIP_2) | instid1(VALU_DEP_3)
	v_fmaak_f32 v66, s19, v65, 0x3ecc95a3
	v_mul_f32_e32 v67, v55, v65
	v_cmp_eq_f32_e64 s19, 0x7f800000, v54
	v_fmaak_f32 v65, v65, v66, 0x3f2aaada
	v_ldexp_f32 v66, v55, 1
	v_sub_f32_e32 v55, v55, v64
	s_delay_alu instid0(VALU_DEP_4) | instskip(NEXT) | instid1(VALU_DEP_3)
	s_or_b32 s19, s19, s21
	v_mul_f32_e32 v65, v67, v65
	v_mul_f32_e32 v67, 0x3f317218, v30
	s_delay_alu instid0(VALU_DEP_2) | instskip(NEXT) | instid1(VALU_DEP_1)
	v_dual_sub_f32 v31, v31, v55 :: v_dual_add_f32 v64, v66, v65
	v_ldexp_f32 v31, v31, 1
	s_delay_alu instid0(VALU_DEP_2) | instskip(NEXT) | instid1(VALU_DEP_4)
	v_sub_f32_e32 v55, v64, v66
	v_fma_f32 v66, 0x3f317218, v30, -v67
	s_delay_alu instid0(VALU_DEP_1) | instskip(NEXT) | instid1(VALU_DEP_1)
	v_dual_sub_f32 v55, v65, v55 :: v_dual_fmamk_f32 v30, v30, 0xb102e308, v66
	v_add_f32_e32 v31, v31, v55
	s_delay_alu instid0(VALU_DEP_2) | instskip(NEXT) | instid1(VALU_DEP_2)
	v_add_f32_e32 v55, v67, v30
	v_add_f32_e32 v65, v64, v31
	s_delay_alu instid0(VALU_DEP_2) | instskip(NEXT) | instid1(VALU_DEP_2)
	v_sub_f32_e32 v67, v55, v67
	v_add_f32_e32 v66, v55, v65
	v_sub_f32_e32 v64, v65, v64
	s_delay_alu instid0(VALU_DEP_3) | instskip(NEXT) | instid1(VALU_DEP_2)
	v_sub_f32_e32 v30, v30, v67
	v_dual_sub_f32 v68, v66, v55 :: v_dual_sub_f32 v31, v31, v64
	s_delay_alu instid0(VALU_DEP_1) | instskip(NEXT) | instid1(VALU_DEP_2)
	v_sub_f32_e32 v69, v66, v68
	v_dual_sub_f32 v64, v65, v68 :: v_dual_add_f32 v65, v30, v31
	s_delay_alu instid0(VALU_DEP_2) | instskip(NEXT) | instid1(VALU_DEP_1)
	v_sub_f32_e32 v55, v55, v69
	v_dual_add_f32 v55, v64, v55 :: v_dual_sub_f32 v64, v65, v30
	s_delay_alu instid0(VALU_DEP_1) | instskip(NEXT) | instid1(VALU_DEP_2)
	v_add_f32_e32 v55, v65, v55
	v_sub_f32_e32 v65, v65, v64
	v_sub_f32_e32 v31, v31, v64
	s_delay_alu instid0(VALU_DEP_3) | instskip(NEXT) | instid1(VALU_DEP_3)
	v_add_f32_e32 v67, v66, v55
	v_sub_f32_e32 v30, v30, v65
	s_delay_alu instid0(VALU_DEP_2) | instskip(NEXT) | instid1(VALU_DEP_2)
	v_sub_f32_e32 v64, v67, v66
	v_add_f32_e32 v30, v31, v30
	s_delay_alu instid0(VALU_DEP_2) | instskip(NEXT) | instid1(VALU_DEP_1)
	v_sub_f32_e32 v31, v55, v64
	v_add_f32_e32 v30, v30, v31
	s_delay_alu instid0(VALU_DEP_1) | instskip(NEXT) | instid1(VALU_DEP_1)
	v_add_f32_e32 v30, v67, v30
	v_cndmask_b32_e64 v30, v30, v54, s19
	s_delay_alu instid0(VALU_DEP_1) | instskip(NEXT) | instid1(VALU_DEP_1)
	v_add_f32_e32 v30, v48, v30
	v_cvt_f16_f32_e32 v31, v30
	s_delay_alu instid0(VALU_DEP_1)
	v_mov_b32_e32 v30, v31
	v_cvt_f32_f16_e32 v64, v31
.LBB430_274:
	s_or_b32 exec_lo, exec_lo, s20
	v_cvt_f32_f16_e32 v48, v17
	s_delay_alu instid0(VALU_DEP_2) | instskip(SKIP_1) | instid1(VALU_DEP_2)
	v_max_f32_e32 v54, v64, v64
	v_cmp_u_f16_e64 s19, v31, v31
	v_min_f32_e32 v55, v54, v48
	v_max_f32_e32 v54, v54, v48
	s_delay_alu instid0(VALU_DEP_2) | instskip(NEXT) | instid1(VALU_DEP_2)
	v_cndmask_b32_e64 v55, v55, v64, s19
	v_cndmask_b32_e64 v65, v54, v64, s19
	v_cmp_u_f16_e64 s19, v17, v17
	s_delay_alu instid0(VALU_DEP_1) | instskip(NEXT) | instid1(VALU_DEP_3)
	v_cndmask_b32_e64 v54, v55, v48, s19
	v_cndmask_b32_e64 v17, v65, v48, s19
	s_delay_alu instid0(VALU_DEP_2) | instskip(NEXT) | instid1(VALU_DEP_2)
	v_cmp_class_f32_e64 s21, v54, 0x1f8
	v_cmp_neq_f32_e64 s20, v54, v17
	s_delay_alu instid0(VALU_DEP_1) | instskip(NEXT) | instid1(SALU_CYCLE_1)
	s_or_b32 s20, s20, s21
	s_and_saveexec_b32 s21, s20
	s_cbranch_execz .LBB430_276
; %bb.275:
	v_sub_f32_e32 v30, v54, v17
	s_delay_alu instid0(VALU_DEP_1) | instskip(NEXT) | instid1(VALU_DEP_1)
	v_mul_f32_e32 v31, 0x3fb8aa3b, v30
	v_fma_f32 v54, 0x3fb8aa3b, v30, -v31
	v_rndne_f32_e32 v55, v31
	s_delay_alu instid0(VALU_DEP_1) | instskip(SKIP_1) | instid1(VALU_DEP_2)
	v_dual_sub_f32 v31, v31, v55 :: v_dual_fmamk_f32 v54, v30, 0x32a5705f, v54
	v_cmp_ngt_f32_e64 s20, 0xc2ce8ed0, v30
	v_add_f32_e32 v31, v31, v54
	v_cvt_i32_f32_e32 v54, v55
	s_delay_alu instid0(VALU_DEP_2) | instskip(SKIP_2) | instid1(VALU_DEP_1)
	v_exp_f32_e32 v31, v31
	s_waitcnt_depctr 0xfff
	v_ldexp_f32 v31, v31, v54
	v_cndmask_b32_e64 v31, 0, v31, s20
	v_cmp_nlt_f32_e64 s20, 0x42b17218, v30
	s_delay_alu instid0(VALU_DEP_1) | instskip(NEXT) | instid1(VALU_DEP_1)
	v_cndmask_b32_e64 v54, 0x7f800000, v31, s20
	v_add_f32_e32 v55, 1.0, v54
	v_cmp_gt_f32_e64 s22, 0x33800000, |v54|
	s_delay_alu instid0(VALU_DEP_2) | instskip(NEXT) | instid1(VALU_DEP_1)
	v_cvt_f64_f32_e32 v[30:31], v55
	v_frexp_exp_i32_f64_e32 v30, v[30:31]
	v_frexp_mant_f32_e32 v31, v55
	s_delay_alu instid0(VALU_DEP_1) | instskip(SKIP_1) | instid1(VALU_DEP_1)
	v_cmp_gt_f32_e64 s20, 0x3f2aaaab, v31
	v_add_f32_e32 v31, -1.0, v55
	v_sub_f32_e32 v65, v31, v55
	v_sub_f32_e32 v31, v54, v31
	s_delay_alu instid0(VALU_DEP_4) | instskip(SKIP_1) | instid1(VALU_DEP_1)
	v_subrev_co_ci_u32_e64 v30, s20, 0, v30, s20
	s_mov_b32 s20, 0x3e9b6dac
	v_sub_nc_u32_e32 v64, 0, v30
	v_cvt_f32_i32_e32 v30, v30
	s_delay_alu instid0(VALU_DEP_2) | instskip(NEXT) | instid1(VALU_DEP_1)
	v_ldexp_f32 v55, v55, v64
	v_dual_add_f32 v66, 1.0, v55 :: v_dual_add_f32 v65, 1.0, v65
	s_delay_alu instid0(VALU_DEP_1) | instskip(NEXT) | instid1(VALU_DEP_2)
	v_add_f32_e32 v31, v31, v65
	v_add_f32_e32 v65, -1.0, v66
	s_delay_alu instid0(VALU_DEP_2) | instskip(NEXT) | instid1(VALU_DEP_2)
	v_ldexp_f32 v31, v31, v64
	v_dual_add_f32 v64, -1.0, v55 :: v_dual_sub_f32 v65, v55, v65
	s_delay_alu instid0(VALU_DEP_1) | instskip(NEXT) | instid1(VALU_DEP_2)
	v_add_f32_e32 v67, 1.0, v64
	v_add_f32_e32 v65, v31, v65
	s_delay_alu instid0(VALU_DEP_2) | instskip(NEXT) | instid1(VALU_DEP_2)
	v_sub_f32_e32 v55, v55, v67
	v_add_f32_e32 v67, v66, v65
	s_delay_alu instid0(VALU_DEP_2) | instskip(NEXT) | instid1(VALU_DEP_2)
	v_add_f32_e32 v31, v31, v55
	v_rcp_f32_e32 v55, v67
	v_sub_f32_e32 v66, v66, v67
	s_delay_alu instid0(VALU_DEP_1) | instskip(NEXT) | instid1(VALU_DEP_1)
	v_dual_add_f32 v68, v64, v31 :: v_dual_add_f32 v65, v65, v66
	v_sub_f32_e32 v64, v64, v68
	s_waitcnt_depctr 0xfff
	v_mul_f32_e32 v69, v68, v55
	v_add_f32_e32 v31, v31, v64
	s_delay_alu instid0(VALU_DEP_2) | instskip(NEXT) | instid1(VALU_DEP_1)
	v_mul_f32_e32 v70, v67, v69
	v_fma_f32 v66, v69, v67, -v70
	s_delay_alu instid0(VALU_DEP_1) | instskip(NEXT) | instid1(VALU_DEP_1)
	v_fmac_f32_e32 v66, v69, v65
	v_add_f32_e32 v71, v70, v66
	s_delay_alu instid0(VALU_DEP_1) | instskip(SKIP_1) | instid1(VALU_DEP_2)
	v_sub_f32_e32 v80, v68, v71
	v_sub_f32_e32 v64, v71, v70
	;; [unrolled: 1-line block ×3, first 2 shown]
	s_delay_alu instid0(VALU_DEP_2) | instskip(NEXT) | instid1(VALU_DEP_2)
	v_sub_f32_e32 v64, v64, v66
	v_sub_f32_e32 v68, v68, v71
	s_delay_alu instid0(VALU_DEP_1) | instskip(NEXT) | instid1(VALU_DEP_1)
	v_add_f32_e32 v31, v31, v68
	v_add_f32_e32 v31, v64, v31
	s_delay_alu instid0(VALU_DEP_1) | instskip(NEXT) | instid1(VALU_DEP_1)
	v_add_f32_e32 v64, v80, v31
	v_mul_f32_e32 v66, v55, v64
	s_delay_alu instid0(VALU_DEP_1) | instskip(NEXT) | instid1(VALU_DEP_1)
	v_dual_sub_f32 v71, v80, v64 :: v_dual_mul_f32 v68, v67, v66
	v_add_f32_e32 v31, v31, v71
	s_delay_alu instid0(VALU_DEP_2) | instskip(NEXT) | instid1(VALU_DEP_1)
	v_fma_f32 v67, v66, v67, -v68
	v_fmac_f32_e32 v67, v66, v65
	s_delay_alu instid0(VALU_DEP_1) | instskip(NEXT) | instid1(VALU_DEP_1)
	v_add_f32_e32 v65, v68, v67
	v_sub_f32_e32 v70, v64, v65
	v_sub_f32_e32 v68, v65, v68
	s_delay_alu instid0(VALU_DEP_2) | instskip(NEXT) | instid1(VALU_DEP_1)
	v_sub_f32_e32 v64, v64, v70
	v_sub_f32_e32 v64, v64, v65
	s_delay_alu instid0(VALU_DEP_3) | instskip(NEXT) | instid1(VALU_DEP_2)
	v_sub_f32_e32 v65, v68, v67
	v_dual_add_f32 v31, v31, v64 :: v_dual_add_f32 v64, v69, v66
	s_delay_alu instid0(VALU_DEP_1) | instskip(NEXT) | instid1(VALU_DEP_2)
	v_add_f32_e32 v31, v65, v31
	v_sub_f32_e32 v65, v64, v69
	s_delay_alu instid0(VALU_DEP_2) | instskip(NEXT) | instid1(VALU_DEP_2)
	v_add_f32_e32 v31, v70, v31
	v_sub_f32_e32 v65, v66, v65
	s_delay_alu instid0(VALU_DEP_2) | instskip(NEXT) | instid1(VALU_DEP_1)
	v_mul_f32_e32 v31, v55, v31
	v_add_f32_e32 v31, v65, v31
	s_delay_alu instid0(VALU_DEP_1) | instskip(NEXT) | instid1(VALU_DEP_1)
	v_add_f32_e32 v55, v64, v31
	v_mul_f32_e32 v65, v55, v55
	s_delay_alu instid0(VALU_DEP_1) | instskip(SKIP_2) | instid1(VALU_DEP_3)
	v_fmaak_f32 v66, s20, v65, 0x3ecc95a3
	v_mul_f32_e32 v67, v55, v65
	v_cmp_eq_f32_e64 s20, 0x7f800000, v54
	v_fmaak_f32 v65, v65, v66, 0x3f2aaada
	v_ldexp_f32 v66, v55, 1
	v_sub_f32_e32 v55, v55, v64
	s_delay_alu instid0(VALU_DEP_4) | instskip(NEXT) | instid1(VALU_DEP_3)
	s_or_b32 s20, s20, s22
	v_mul_f32_e32 v65, v67, v65
	v_mul_f32_e32 v67, 0x3f317218, v30
	s_delay_alu instid0(VALU_DEP_2) | instskip(NEXT) | instid1(VALU_DEP_1)
	v_dual_sub_f32 v31, v31, v55 :: v_dual_add_f32 v64, v66, v65
	v_ldexp_f32 v31, v31, 1
	s_delay_alu instid0(VALU_DEP_2) | instskip(NEXT) | instid1(VALU_DEP_4)
	v_sub_f32_e32 v55, v64, v66
	v_fma_f32 v66, 0x3f317218, v30, -v67
	s_delay_alu instid0(VALU_DEP_1) | instskip(NEXT) | instid1(VALU_DEP_1)
	v_dual_sub_f32 v55, v65, v55 :: v_dual_fmamk_f32 v30, v30, 0xb102e308, v66
	v_add_f32_e32 v31, v31, v55
	s_delay_alu instid0(VALU_DEP_2) | instskip(NEXT) | instid1(VALU_DEP_2)
	v_add_f32_e32 v55, v67, v30
	v_add_f32_e32 v65, v64, v31
	s_delay_alu instid0(VALU_DEP_2) | instskip(NEXT) | instid1(VALU_DEP_2)
	v_sub_f32_e32 v67, v55, v67
	v_add_f32_e32 v66, v55, v65
	v_sub_f32_e32 v64, v65, v64
	s_delay_alu instid0(VALU_DEP_3) | instskip(NEXT) | instid1(VALU_DEP_2)
	v_sub_f32_e32 v30, v30, v67
	v_dual_sub_f32 v68, v66, v55 :: v_dual_sub_f32 v31, v31, v64
	s_delay_alu instid0(VALU_DEP_1) | instskip(NEXT) | instid1(VALU_DEP_2)
	v_sub_f32_e32 v69, v66, v68
	v_dual_sub_f32 v64, v65, v68 :: v_dual_add_f32 v65, v30, v31
	s_delay_alu instid0(VALU_DEP_2) | instskip(NEXT) | instid1(VALU_DEP_1)
	v_sub_f32_e32 v55, v55, v69
	v_dual_add_f32 v55, v64, v55 :: v_dual_sub_f32 v64, v65, v30
	s_delay_alu instid0(VALU_DEP_1) | instskip(NEXT) | instid1(VALU_DEP_2)
	v_add_f32_e32 v55, v65, v55
	v_sub_f32_e32 v65, v65, v64
	v_sub_f32_e32 v31, v31, v64
	s_delay_alu instid0(VALU_DEP_3) | instskip(NEXT) | instid1(VALU_DEP_3)
	v_add_f32_e32 v67, v66, v55
	v_sub_f32_e32 v30, v30, v65
	s_delay_alu instid0(VALU_DEP_2) | instskip(NEXT) | instid1(VALU_DEP_2)
	v_sub_f32_e32 v64, v67, v66
	v_add_f32_e32 v30, v31, v30
	s_delay_alu instid0(VALU_DEP_2) | instskip(NEXT) | instid1(VALU_DEP_1)
	v_sub_f32_e32 v31, v55, v64
	v_add_f32_e32 v30, v30, v31
	s_delay_alu instid0(VALU_DEP_1) | instskip(NEXT) | instid1(VALU_DEP_1)
	v_add_f32_e32 v30, v67, v30
	v_cndmask_b32_e64 v30, v30, v54, s20
	s_delay_alu instid0(VALU_DEP_1) | instskip(NEXT) | instid1(VALU_DEP_1)
	v_add_f32_e32 v17, v17, v30
	v_cvt_f16_f32_e32 v31, v17
	s_delay_alu instid0(VALU_DEP_1)
	v_mov_b32_e32 v30, v31
	v_cvt_f32_f16_e32 v64, v31
.LBB430_276:
	s_or_b32 exec_lo, exec_lo, s21
	v_cvt_f32_f16_e32 v17, v39
	s_delay_alu instid0(VALU_DEP_2) | instskip(SKIP_1) | instid1(VALU_DEP_2)
	v_max_f32_e32 v54, v64, v64
	v_cmp_u_f16_e64 s20, v31, v31
	v_min_f32_e32 v55, v54, v17
	v_max_f32_e32 v54, v54, v17
	s_delay_alu instid0(VALU_DEP_2) | instskip(NEXT) | instid1(VALU_DEP_2)
	v_cndmask_b32_e64 v55, v55, v64, s20
	v_cndmask_b32_e64 v65, v54, v64, s20
	v_cmp_u_f16_e64 s20, v39, v39
	s_delay_alu instid0(VALU_DEP_1) | instskip(NEXT) | instid1(VALU_DEP_3)
	v_cndmask_b32_e64 v54, v55, v17, s20
	v_cndmask_b32_e64 v39, v65, v17, s20
	s_delay_alu instid0(VALU_DEP_2) | instskip(NEXT) | instid1(VALU_DEP_2)
	v_cmp_class_f32_e64 s22, v54, 0x1f8
	v_cmp_neq_f32_e64 s21, v54, v39
	s_delay_alu instid0(VALU_DEP_1) | instskip(NEXT) | instid1(SALU_CYCLE_1)
	s_or_b32 s21, s21, s22
	s_and_saveexec_b32 s22, s21
	s_cbranch_execz .LBB430_278
; %bb.277:
	v_sub_f32_e32 v30, v54, v39
	s_delay_alu instid0(VALU_DEP_1) | instskip(NEXT) | instid1(VALU_DEP_1)
	v_mul_f32_e32 v31, 0x3fb8aa3b, v30
	v_fma_f32 v54, 0x3fb8aa3b, v30, -v31
	v_rndne_f32_e32 v55, v31
	s_delay_alu instid0(VALU_DEP_1) | instskip(NEXT) | instid1(VALU_DEP_1)
	v_dual_fmamk_f32 v54, v30, 0x32a5705f, v54 :: v_dual_sub_f32 v31, v31, v55
	v_add_f32_e32 v31, v31, v54
	v_cvt_i32_f32_e32 v54, v55
	v_cmp_ngt_f32_e64 s21, 0xc2ce8ed0, v30
	s_delay_alu instid0(VALU_DEP_3) | instskip(SKIP_2) | instid1(VALU_DEP_1)
	v_exp_f32_e32 v31, v31
	s_waitcnt_depctr 0xfff
	v_ldexp_f32 v31, v31, v54
	v_cndmask_b32_e64 v31, 0, v31, s21
	v_cmp_nlt_f32_e64 s21, 0x42b17218, v30
	s_delay_alu instid0(VALU_DEP_1) | instskip(NEXT) | instid1(VALU_DEP_1)
	v_cndmask_b32_e64 v54, 0x7f800000, v31, s21
	v_add_f32_e32 v55, 1.0, v54
	v_cmp_gt_f32_e64 s24, 0x33800000, |v54|
	s_delay_alu instid0(VALU_DEP_2) | instskip(NEXT) | instid1(VALU_DEP_1)
	v_cvt_f64_f32_e32 v[30:31], v55
	v_frexp_exp_i32_f64_e32 v30, v[30:31]
	v_frexp_mant_f32_e32 v31, v55
	s_delay_alu instid0(VALU_DEP_1) | instskip(SKIP_1) | instid1(VALU_DEP_1)
	v_cmp_gt_f32_e64 s21, 0x3f2aaaab, v31
	v_add_f32_e32 v31, -1.0, v55
	v_sub_f32_e32 v65, v31, v55
	v_sub_f32_e32 v31, v54, v31
	s_delay_alu instid0(VALU_DEP_4) | instskip(SKIP_1) | instid1(VALU_DEP_1)
	v_subrev_co_ci_u32_e64 v30, s21, 0, v30, s21
	s_mov_b32 s21, 0x3e9b6dac
	v_sub_nc_u32_e32 v64, 0, v30
	v_cvt_f32_i32_e32 v30, v30
	s_delay_alu instid0(VALU_DEP_2) | instskip(NEXT) | instid1(VALU_DEP_1)
	v_ldexp_f32 v55, v55, v64
	v_dual_add_f32 v65, 1.0, v65 :: v_dual_add_f32 v66, 1.0, v55
	s_delay_alu instid0(VALU_DEP_1) | instskip(NEXT) | instid1(VALU_DEP_2)
	v_add_f32_e32 v31, v31, v65
	v_add_f32_e32 v65, -1.0, v66
	s_delay_alu instid0(VALU_DEP_2) | instskip(NEXT) | instid1(VALU_DEP_2)
	v_ldexp_f32 v31, v31, v64
	v_dual_add_f32 v64, -1.0, v55 :: v_dual_sub_f32 v65, v55, v65
	s_delay_alu instid0(VALU_DEP_1) | instskip(NEXT) | instid1(VALU_DEP_2)
	v_add_f32_e32 v67, 1.0, v64
	v_add_f32_e32 v65, v31, v65
	s_delay_alu instid0(VALU_DEP_2) | instskip(NEXT) | instid1(VALU_DEP_2)
	v_sub_f32_e32 v55, v55, v67
	v_add_f32_e32 v67, v66, v65
	s_delay_alu instid0(VALU_DEP_2) | instskip(NEXT) | instid1(VALU_DEP_2)
	v_add_f32_e32 v31, v31, v55
	v_rcp_f32_e32 v55, v67
	v_sub_f32_e32 v66, v66, v67
	s_delay_alu instid0(VALU_DEP_1) | instskip(NEXT) | instid1(VALU_DEP_1)
	v_dual_add_f32 v68, v64, v31 :: v_dual_add_f32 v65, v65, v66
	v_sub_f32_e32 v64, v64, v68
	s_waitcnt_depctr 0xfff
	v_mul_f32_e32 v69, v68, v55
	v_add_f32_e32 v31, v31, v64
	s_delay_alu instid0(VALU_DEP_2) | instskip(NEXT) | instid1(VALU_DEP_1)
	v_mul_f32_e32 v70, v67, v69
	v_fma_f32 v66, v69, v67, -v70
	s_delay_alu instid0(VALU_DEP_1) | instskip(NEXT) | instid1(VALU_DEP_1)
	v_fmac_f32_e32 v66, v69, v65
	v_add_f32_e32 v71, v70, v66
	s_delay_alu instid0(VALU_DEP_1) | instskip(SKIP_1) | instid1(VALU_DEP_2)
	v_sub_f32_e32 v80, v68, v71
	v_sub_f32_e32 v64, v71, v70
	;; [unrolled: 1-line block ×3, first 2 shown]
	s_delay_alu instid0(VALU_DEP_2) | instskip(NEXT) | instid1(VALU_DEP_2)
	v_sub_f32_e32 v64, v64, v66
	v_sub_f32_e32 v68, v68, v71
	s_delay_alu instid0(VALU_DEP_1) | instskip(NEXT) | instid1(VALU_DEP_1)
	v_add_f32_e32 v31, v31, v68
	v_add_f32_e32 v31, v64, v31
	s_delay_alu instid0(VALU_DEP_1) | instskip(NEXT) | instid1(VALU_DEP_1)
	v_add_f32_e32 v64, v80, v31
	v_mul_f32_e32 v66, v55, v64
	s_delay_alu instid0(VALU_DEP_1) | instskip(NEXT) | instid1(VALU_DEP_1)
	v_dual_sub_f32 v71, v80, v64 :: v_dual_mul_f32 v68, v67, v66
	v_add_f32_e32 v31, v31, v71
	s_delay_alu instid0(VALU_DEP_2) | instskip(NEXT) | instid1(VALU_DEP_1)
	v_fma_f32 v67, v66, v67, -v68
	v_fmac_f32_e32 v67, v66, v65
	s_delay_alu instid0(VALU_DEP_1) | instskip(NEXT) | instid1(VALU_DEP_1)
	v_add_f32_e32 v65, v68, v67
	v_sub_f32_e32 v70, v64, v65
	v_sub_f32_e32 v68, v65, v68
	s_delay_alu instid0(VALU_DEP_2) | instskip(NEXT) | instid1(VALU_DEP_1)
	v_sub_f32_e32 v64, v64, v70
	v_sub_f32_e32 v64, v64, v65
	s_delay_alu instid0(VALU_DEP_1) | instskip(NEXT) | instid1(VALU_DEP_4)
	v_dual_add_f32 v31, v31, v64 :: v_dual_add_f32 v64, v69, v66
	v_sub_f32_e32 v65, v68, v67
	s_delay_alu instid0(VALU_DEP_1) | instskip(NEXT) | instid1(VALU_DEP_3)
	v_add_f32_e32 v31, v65, v31
	v_sub_f32_e32 v65, v64, v69
	s_delay_alu instid0(VALU_DEP_2) | instskip(NEXT) | instid1(VALU_DEP_2)
	v_add_f32_e32 v31, v70, v31
	v_sub_f32_e32 v65, v66, v65
	s_delay_alu instid0(VALU_DEP_2) | instskip(NEXT) | instid1(VALU_DEP_1)
	v_mul_f32_e32 v31, v55, v31
	v_add_f32_e32 v31, v65, v31
	s_delay_alu instid0(VALU_DEP_1) | instskip(NEXT) | instid1(VALU_DEP_1)
	v_add_f32_e32 v55, v64, v31
	v_mul_f32_e32 v65, v55, v55
	s_delay_alu instid0(VALU_DEP_1) | instskip(SKIP_2) | instid1(VALU_DEP_3)
	v_fmaak_f32 v66, s21, v65, 0x3ecc95a3
	v_mul_f32_e32 v67, v55, v65
	v_cmp_eq_f32_e64 s21, 0x7f800000, v54
	v_fmaak_f32 v65, v65, v66, 0x3f2aaada
	v_ldexp_f32 v66, v55, 1
	v_sub_f32_e32 v55, v55, v64
	s_delay_alu instid0(VALU_DEP_4) | instskip(NEXT) | instid1(VALU_DEP_3)
	s_or_b32 s21, s21, s24
	v_mul_f32_e32 v65, v67, v65
	v_mul_f32_e32 v67, 0x3f317218, v30
	s_delay_alu instid0(VALU_DEP_2) | instskip(NEXT) | instid1(VALU_DEP_1)
	v_dual_sub_f32 v31, v31, v55 :: v_dual_add_f32 v64, v66, v65
	v_ldexp_f32 v31, v31, 1
	s_delay_alu instid0(VALU_DEP_2) | instskip(NEXT) | instid1(VALU_DEP_4)
	v_sub_f32_e32 v55, v64, v66
	v_fma_f32 v66, 0x3f317218, v30, -v67
	s_delay_alu instid0(VALU_DEP_1) | instskip(NEXT) | instid1(VALU_DEP_1)
	v_dual_sub_f32 v55, v65, v55 :: v_dual_fmamk_f32 v30, v30, 0xb102e308, v66
	v_add_f32_e32 v31, v31, v55
	s_delay_alu instid0(VALU_DEP_2) | instskip(NEXT) | instid1(VALU_DEP_2)
	v_add_f32_e32 v55, v67, v30
	v_add_f32_e32 v65, v64, v31
	s_delay_alu instid0(VALU_DEP_2) | instskip(NEXT) | instid1(VALU_DEP_2)
	v_sub_f32_e32 v67, v55, v67
	v_add_f32_e32 v66, v55, v65
	v_sub_f32_e32 v64, v65, v64
	s_delay_alu instid0(VALU_DEP_3) | instskip(NEXT) | instid1(VALU_DEP_2)
	v_sub_f32_e32 v30, v30, v67
	v_dual_sub_f32 v68, v66, v55 :: v_dual_sub_f32 v31, v31, v64
	s_delay_alu instid0(VALU_DEP_1) | instskip(NEXT) | instid1(VALU_DEP_2)
	v_sub_f32_e32 v69, v66, v68
	v_dual_sub_f32 v64, v65, v68 :: v_dual_add_f32 v65, v30, v31
	s_delay_alu instid0(VALU_DEP_2) | instskip(NEXT) | instid1(VALU_DEP_1)
	v_sub_f32_e32 v55, v55, v69
	v_dual_add_f32 v55, v64, v55 :: v_dual_sub_f32 v64, v65, v30
	s_delay_alu instid0(VALU_DEP_1) | instskip(NEXT) | instid1(VALU_DEP_2)
	v_add_f32_e32 v55, v65, v55
	v_sub_f32_e32 v65, v65, v64
	v_sub_f32_e32 v31, v31, v64
	s_delay_alu instid0(VALU_DEP_3) | instskip(NEXT) | instid1(VALU_DEP_3)
	v_add_f32_e32 v67, v66, v55
	v_sub_f32_e32 v30, v30, v65
	s_delay_alu instid0(VALU_DEP_2) | instskip(NEXT) | instid1(VALU_DEP_2)
	v_sub_f32_e32 v64, v67, v66
	v_add_f32_e32 v30, v31, v30
	s_delay_alu instid0(VALU_DEP_2) | instskip(NEXT) | instid1(VALU_DEP_1)
	v_sub_f32_e32 v31, v55, v64
	v_add_f32_e32 v30, v30, v31
	s_delay_alu instid0(VALU_DEP_1) | instskip(NEXT) | instid1(VALU_DEP_1)
	v_add_f32_e32 v30, v67, v30
	v_cndmask_b32_e64 v30, v30, v54, s21
	s_delay_alu instid0(VALU_DEP_1) | instskip(NEXT) | instid1(VALU_DEP_1)
	v_add_f32_e32 v30, v39, v30
	v_cvt_f16_f32_e32 v31, v30
	s_delay_alu instid0(VALU_DEP_1)
	v_cvt_f32_f16_e32 v64, v31
	v_mov_b32_e32 v30, v31
.LBB430_278:
	s_or_b32 exec_lo, exec_lo, s22
	v_cvt_f32_f16_e32 v39, v38
	s_delay_alu instid0(VALU_DEP_3) | instskip(SKIP_1) | instid1(VALU_DEP_2)
	v_max_f32_e32 v54, v64, v64
	v_cmp_u_f16_e64 s21, v31, v31
	v_min_f32_e32 v55, v54, v39
	v_max_f32_e32 v54, v54, v39
	s_delay_alu instid0(VALU_DEP_2) | instskip(NEXT) | instid1(VALU_DEP_2)
	v_cndmask_b32_e64 v55, v55, v64, s21
	v_cndmask_b32_e64 v65, v54, v64, s21
	v_cmp_u_f16_e64 s21, v38, v38
	s_delay_alu instid0(VALU_DEP_1) | instskip(NEXT) | instid1(VALU_DEP_3)
	v_cndmask_b32_e64 v54, v55, v39, s21
	v_cndmask_b32_e64 v38, v65, v39, s21
	s_delay_alu instid0(VALU_DEP_2) | instskip(NEXT) | instid1(VALU_DEP_2)
	v_cmp_class_f32_e64 s24, v54, 0x1f8
	v_cmp_neq_f32_e64 s22, v54, v38
	s_delay_alu instid0(VALU_DEP_1) | instskip(NEXT) | instid1(SALU_CYCLE_1)
	s_or_b32 s22, s22, s24
	s_and_saveexec_b32 s24, s22
	s_cbranch_execz .LBB430_280
; %bb.279:
	v_sub_f32_e32 v30, v54, v38
	s_delay_alu instid0(VALU_DEP_1) | instskip(NEXT) | instid1(VALU_DEP_1)
	v_mul_f32_e32 v31, 0x3fb8aa3b, v30
	v_fma_f32 v54, 0x3fb8aa3b, v30, -v31
	v_rndne_f32_e32 v55, v31
	s_delay_alu instid0(VALU_DEP_1) | instskip(SKIP_1) | instid1(VALU_DEP_2)
	v_dual_sub_f32 v31, v31, v55 :: v_dual_fmamk_f32 v54, v30, 0x32a5705f, v54
	v_cmp_ngt_f32_e64 s22, 0xc2ce8ed0, v30
	v_add_f32_e32 v31, v31, v54
	v_cvt_i32_f32_e32 v54, v55
	s_delay_alu instid0(VALU_DEP_2) | instskip(SKIP_2) | instid1(VALU_DEP_1)
	v_exp_f32_e32 v31, v31
	s_waitcnt_depctr 0xfff
	v_ldexp_f32 v31, v31, v54
	v_cndmask_b32_e64 v31, 0, v31, s22
	v_cmp_nlt_f32_e64 s22, 0x42b17218, v30
	s_delay_alu instid0(VALU_DEP_1) | instskip(NEXT) | instid1(VALU_DEP_1)
	v_cndmask_b32_e64 v54, 0x7f800000, v31, s22
	v_add_f32_e32 v55, 1.0, v54
	v_cmp_gt_f32_e64 s25, 0x33800000, |v54|
	s_delay_alu instid0(VALU_DEP_2) | instskip(NEXT) | instid1(VALU_DEP_1)
	v_cvt_f64_f32_e32 v[30:31], v55
	v_frexp_exp_i32_f64_e32 v30, v[30:31]
	v_frexp_mant_f32_e32 v31, v55
	s_delay_alu instid0(VALU_DEP_1) | instskip(SKIP_1) | instid1(VALU_DEP_1)
	v_cmp_gt_f32_e64 s22, 0x3f2aaaab, v31
	v_add_f32_e32 v31, -1.0, v55
	v_sub_f32_e32 v65, v31, v55
	v_sub_f32_e32 v31, v54, v31
	s_delay_alu instid0(VALU_DEP_4) | instskip(SKIP_1) | instid1(VALU_DEP_1)
	v_subrev_co_ci_u32_e64 v30, s22, 0, v30, s22
	s_mov_b32 s22, 0x3e9b6dac
	v_sub_nc_u32_e32 v64, 0, v30
	v_cvt_f32_i32_e32 v30, v30
	s_delay_alu instid0(VALU_DEP_2) | instskip(NEXT) | instid1(VALU_DEP_1)
	v_ldexp_f32 v55, v55, v64
	v_dual_add_f32 v66, 1.0, v55 :: v_dual_add_f32 v65, 1.0, v65
	s_delay_alu instid0(VALU_DEP_1) | instskip(NEXT) | instid1(VALU_DEP_2)
	v_add_f32_e32 v31, v31, v65
	v_add_f32_e32 v65, -1.0, v66
	s_delay_alu instid0(VALU_DEP_2) | instskip(NEXT) | instid1(VALU_DEP_2)
	v_ldexp_f32 v31, v31, v64
	v_dual_add_f32 v64, -1.0, v55 :: v_dual_sub_f32 v65, v55, v65
	s_delay_alu instid0(VALU_DEP_1) | instskip(NEXT) | instid1(VALU_DEP_2)
	v_add_f32_e32 v67, 1.0, v64
	v_add_f32_e32 v65, v31, v65
	s_delay_alu instid0(VALU_DEP_2) | instskip(NEXT) | instid1(VALU_DEP_2)
	v_sub_f32_e32 v55, v55, v67
	v_add_f32_e32 v67, v66, v65
	s_delay_alu instid0(VALU_DEP_2) | instskip(NEXT) | instid1(VALU_DEP_2)
	v_add_f32_e32 v31, v31, v55
	v_rcp_f32_e32 v55, v67
	v_sub_f32_e32 v66, v66, v67
	s_delay_alu instid0(VALU_DEP_1) | instskip(NEXT) | instid1(VALU_DEP_1)
	v_dual_add_f32 v68, v64, v31 :: v_dual_add_f32 v65, v65, v66
	v_sub_f32_e32 v64, v64, v68
	s_waitcnt_depctr 0xfff
	v_mul_f32_e32 v69, v68, v55
	v_add_f32_e32 v31, v31, v64
	s_delay_alu instid0(VALU_DEP_2) | instskip(NEXT) | instid1(VALU_DEP_1)
	v_mul_f32_e32 v70, v67, v69
	v_fma_f32 v66, v69, v67, -v70
	s_delay_alu instid0(VALU_DEP_1) | instskip(NEXT) | instid1(VALU_DEP_1)
	v_fmac_f32_e32 v66, v69, v65
	v_add_f32_e32 v71, v70, v66
	s_delay_alu instid0(VALU_DEP_1) | instskip(SKIP_1) | instid1(VALU_DEP_2)
	v_sub_f32_e32 v80, v68, v71
	v_sub_f32_e32 v64, v71, v70
	;; [unrolled: 1-line block ×3, first 2 shown]
	s_delay_alu instid0(VALU_DEP_2) | instskip(NEXT) | instid1(VALU_DEP_2)
	v_sub_f32_e32 v64, v64, v66
	v_sub_f32_e32 v68, v68, v71
	s_delay_alu instid0(VALU_DEP_1) | instskip(NEXT) | instid1(VALU_DEP_1)
	v_add_f32_e32 v31, v31, v68
	v_add_f32_e32 v31, v64, v31
	s_delay_alu instid0(VALU_DEP_1) | instskip(NEXT) | instid1(VALU_DEP_1)
	v_add_f32_e32 v64, v80, v31
	v_mul_f32_e32 v66, v55, v64
	s_delay_alu instid0(VALU_DEP_1) | instskip(NEXT) | instid1(VALU_DEP_1)
	v_dual_sub_f32 v71, v80, v64 :: v_dual_mul_f32 v68, v67, v66
	v_add_f32_e32 v31, v31, v71
	s_delay_alu instid0(VALU_DEP_2) | instskip(NEXT) | instid1(VALU_DEP_1)
	v_fma_f32 v67, v66, v67, -v68
	v_fmac_f32_e32 v67, v66, v65
	s_delay_alu instid0(VALU_DEP_1) | instskip(NEXT) | instid1(VALU_DEP_1)
	v_add_f32_e32 v65, v68, v67
	v_sub_f32_e32 v70, v64, v65
	v_sub_f32_e32 v68, v65, v68
	s_delay_alu instid0(VALU_DEP_2) | instskip(NEXT) | instid1(VALU_DEP_1)
	v_sub_f32_e32 v64, v64, v70
	v_sub_f32_e32 v64, v64, v65
	s_delay_alu instid0(VALU_DEP_3) | instskip(NEXT) | instid1(VALU_DEP_2)
	v_sub_f32_e32 v65, v68, v67
	v_dual_add_f32 v31, v31, v64 :: v_dual_add_f32 v64, v69, v66
	s_delay_alu instid0(VALU_DEP_1) | instskip(NEXT) | instid1(VALU_DEP_2)
	v_add_f32_e32 v31, v65, v31
	v_sub_f32_e32 v65, v64, v69
	s_delay_alu instid0(VALU_DEP_2) | instskip(NEXT) | instid1(VALU_DEP_2)
	v_add_f32_e32 v31, v70, v31
	v_sub_f32_e32 v65, v66, v65
	s_delay_alu instid0(VALU_DEP_2) | instskip(NEXT) | instid1(VALU_DEP_1)
	v_mul_f32_e32 v31, v55, v31
	v_add_f32_e32 v31, v65, v31
	s_delay_alu instid0(VALU_DEP_1) | instskip(NEXT) | instid1(VALU_DEP_1)
	v_add_f32_e32 v55, v64, v31
	v_mul_f32_e32 v65, v55, v55
	s_delay_alu instid0(VALU_DEP_1) | instskip(SKIP_2) | instid1(VALU_DEP_3)
	v_fmaak_f32 v66, s22, v65, 0x3ecc95a3
	v_mul_f32_e32 v67, v55, v65
	v_cmp_eq_f32_e64 s22, 0x7f800000, v54
	v_fmaak_f32 v65, v65, v66, 0x3f2aaada
	v_ldexp_f32 v66, v55, 1
	v_sub_f32_e32 v55, v55, v64
	s_delay_alu instid0(VALU_DEP_4) | instskip(NEXT) | instid1(VALU_DEP_3)
	s_or_b32 s22, s22, s25
	v_mul_f32_e32 v65, v67, v65
	v_mul_f32_e32 v67, 0x3f317218, v30
	s_delay_alu instid0(VALU_DEP_2) | instskip(NEXT) | instid1(VALU_DEP_1)
	v_dual_sub_f32 v31, v31, v55 :: v_dual_add_f32 v64, v66, v65
	v_ldexp_f32 v31, v31, 1
	s_delay_alu instid0(VALU_DEP_2) | instskip(NEXT) | instid1(VALU_DEP_4)
	v_sub_f32_e32 v55, v64, v66
	v_fma_f32 v66, 0x3f317218, v30, -v67
	s_delay_alu instid0(VALU_DEP_1) | instskip(NEXT) | instid1(VALU_DEP_1)
	v_dual_sub_f32 v55, v65, v55 :: v_dual_fmamk_f32 v30, v30, 0xb102e308, v66
	v_add_f32_e32 v31, v31, v55
	s_delay_alu instid0(VALU_DEP_2) | instskip(NEXT) | instid1(VALU_DEP_2)
	v_add_f32_e32 v55, v67, v30
	v_add_f32_e32 v65, v64, v31
	s_delay_alu instid0(VALU_DEP_2) | instskip(NEXT) | instid1(VALU_DEP_2)
	v_sub_f32_e32 v67, v55, v67
	v_add_f32_e32 v66, v55, v65
	v_sub_f32_e32 v64, v65, v64
	s_delay_alu instid0(VALU_DEP_3) | instskip(NEXT) | instid1(VALU_DEP_2)
	v_sub_f32_e32 v30, v30, v67
	v_dual_sub_f32 v68, v66, v55 :: v_dual_sub_f32 v31, v31, v64
	s_delay_alu instid0(VALU_DEP_1) | instskip(NEXT) | instid1(VALU_DEP_2)
	v_sub_f32_e32 v69, v66, v68
	v_dual_sub_f32 v64, v65, v68 :: v_dual_add_f32 v65, v30, v31
	s_delay_alu instid0(VALU_DEP_2) | instskip(NEXT) | instid1(VALU_DEP_1)
	v_sub_f32_e32 v55, v55, v69
	v_dual_add_f32 v55, v64, v55 :: v_dual_sub_f32 v64, v65, v30
	s_delay_alu instid0(VALU_DEP_1) | instskip(NEXT) | instid1(VALU_DEP_2)
	v_add_f32_e32 v55, v65, v55
	v_sub_f32_e32 v65, v65, v64
	v_sub_f32_e32 v31, v31, v64
	s_delay_alu instid0(VALU_DEP_3) | instskip(NEXT) | instid1(VALU_DEP_3)
	v_add_f32_e32 v67, v66, v55
	v_sub_f32_e32 v30, v30, v65
	s_delay_alu instid0(VALU_DEP_2) | instskip(NEXT) | instid1(VALU_DEP_2)
	v_sub_f32_e32 v64, v67, v66
	v_add_f32_e32 v30, v31, v30
	s_delay_alu instid0(VALU_DEP_2) | instskip(NEXT) | instid1(VALU_DEP_1)
	v_sub_f32_e32 v31, v55, v64
	v_add_f32_e32 v30, v30, v31
	s_delay_alu instid0(VALU_DEP_1) | instskip(NEXT) | instid1(VALU_DEP_1)
	v_add_f32_e32 v30, v67, v30
	v_cndmask_b32_e64 v30, v30, v54, s22
	s_delay_alu instid0(VALU_DEP_1) | instskip(NEXT) | instid1(VALU_DEP_1)
	v_add_f32_e32 v30, v38, v30
	v_cvt_f16_f32_e32 v31, v30
	s_delay_alu instid0(VALU_DEP_1)
	v_mov_b32_e32 v30, v31
	v_cvt_f32_f16_e32 v64, v31
.LBB430_280:
	s_or_b32 exec_lo, exec_lo, s24
	v_cvt_f32_f16_e32 v38, v37
	s_delay_alu instid0(VALU_DEP_2) | instskip(SKIP_1) | instid1(VALU_DEP_2)
	v_max_f32_e32 v54, v64, v64
	v_cmp_u_f16_e64 s22, v31, v31
	v_min_f32_e32 v55, v54, v38
	v_max_f32_e32 v54, v54, v38
	s_delay_alu instid0(VALU_DEP_2) | instskip(NEXT) | instid1(VALU_DEP_2)
	v_cndmask_b32_e64 v31, v55, v64, s22
	v_cndmask_b32_e64 v54, v54, v64, s22
	v_cmp_u_f16_e64 s22, v37, v37
	s_delay_alu instid0(VALU_DEP_1) | instskip(NEXT) | instid1(VALU_DEP_3)
	v_cndmask_b32_e64 v37, v31, v38, s22
	v_cndmask_b32_e64 v31, v54, v38, s22
	s_delay_alu instid0(VALU_DEP_2) | instskip(NEXT) | instid1(VALU_DEP_2)
	v_cmp_class_f32_e64 s25, v37, 0x1f8
	v_cmp_neq_f32_e64 s24, v37, v31
	s_delay_alu instid0(VALU_DEP_1) | instskip(NEXT) | instid1(SALU_CYCLE_1)
	s_or_b32 s24, s24, s25
	s_and_saveexec_b32 s25, s24
	s_cbranch_execz .LBB430_282
; %bb.281:
	v_sub_f32_e32 v30, v37, v31
	s_delay_alu instid0(VALU_DEP_1) | instskip(SKIP_1) | instid1(VALU_DEP_2)
	v_mul_f32_e32 v37, 0x3fb8aa3b, v30
	v_cmp_ngt_f32_e64 s24, 0xc2ce8ed0, v30
	v_fma_f32 v54, 0x3fb8aa3b, v30, -v37
	v_rndne_f32_e32 v55, v37
	s_delay_alu instid0(VALU_DEP_1) | instskip(NEXT) | instid1(VALU_DEP_1)
	v_dual_fmamk_f32 v54, v30, 0x32a5705f, v54 :: v_dual_sub_f32 v37, v37, v55
	v_add_f32_e32 v37, v37, v54
	v_cvt_i32_f32_e32 v54, v55
	s_delay_alu instid0(VALU_DEP_2) | instskip(SKIP_2) | instid1(VALU_DEP_1)
	v_exp_f32_e32 v37, v37
	s_waitcnt_depctr 0xfff
	v_ldexp_f32 v37, v37, v54
	v_cndmask_b32_e64 v37, 0, v37, s24
	v_cmp_nlt_f32_e64 s24, 0x42b17218, v30
	s_delay_alu instid0(VALU_DEP_1) | instskip(NEXT) | instid1(VALU_DEP_1)
	v_cndmask_b32_e64 v30, 0x7f800000, v37, s24
	v_add_f32_e32 v37, 1.0, v30
	v_cmp_gt_f32_e64 s26, 0x33800000, |v30|
	s_delay_alu instid0(VALU_DEP_2) | instskip(NEXT) | instid1(VALU_DEP_1)
	v_cvt_f64_f32_e32 v[54:55], v37
	v_frexp_exp_i32_f64_e32 v54, v[54:55]
	v_frexp_mant_f32_e32 v55, v37
	s_delay_alu instid0(VALU_DEP_1) | instskip(SKIP_1) | instid1(VALU_DEP_1)
	v_cmp_gt_f32_e64 s24, 0x3f2aaaab, v55
	v_add_f32_e32 v55, -1.0, v37
	v_sub_f32_e32 v65, v55, v37
	s_delay_alu instid0(VALU_DEP_1) | instskip(NEXT) | instid1(VALU_DEP_4)
	v_add_f32_e32 v65, 1.0, v65
	v_subrev_co_ci_u32_e64 v54, s24, 0, v54, s24
	s_mov_b32 s24, 0x3e9b6dac
	s_delay_alu instid0(VALU_DEP_1) | instskip(SKIP_1) | instid1(VALU_DEP_2)
	v_sub_nc_u32_e32 v64, 0, v54
	v_cvt_f32_i32_e32 v54, v54
	v_ldexp_f32 v37, v37, v64
	s_delay_alu instid0(VALU_DEP_1) | instskip(NEXT) | instid1(VALU_DEP_1)
	v_dual_sub_f32 v55, v30, v55 :: v_dual_add_f32 v66, 1.0, v37
	v_add_f32_e32 v55, v55, v65
	s_delay_alu instid0(VALU_DEP_2) | instskip(NEXT) | instid1(VALU_DEP_2)
	v_add_f32_e32 v65, -1.0, v66
	v_ldexp_f32 v55, v55, v64
	v_add_f32_e32 v64, -1.0, v37
	s_delay_alu instid0(VALU_DEP_3) | instskip(NEXT) | instid1(VALU_DEP_2)
	v_sub_f32_e32 v65, v37, v65
	v_add_f32_e32 v67, 1.0, v64
	s_delay_alu instid0(VALU_DEP_2) | instskip(NEXT) | instid1(VALU_DEP_2)
	v_add_f32_e32 v65, v55, v65
	v_sub_f32_e32 v37, v37, v67
	s_delay_alu instid0(VALU_DEP_2) | instskip(NEXT) | instid1(VALU_DEP_2)
	v_add_f32_e32 v67, v66, v65
	v_add_f32_e32 v37, v55, v37
	s_delay_alu instid0(VALU_DEP_2) | instskip(SKIP_1) | instid1(VALU_DEP_1)
	v_rcp_f32_e32 v55, v67
	v_sub_f32_e32 v66, v66, v67
	v_dual_add_f32 v68, v64, v37 :: v_dual_add_f32 v65, v65, v66
	s_delay_alu instid0(VALU_DEP_1) | instskip(SKIP_2) | instid1(VALU_DEP_1)
	v_sub_f32_e32 v64, v64, v68
	s_waitcnt_depctr 0xfff
	v_mul_f32_e32 v69, v68, v55
	v_dual_add_f32 v37, v37, v64 :: v_dual_mul_f32 v70, v67, v69
	s_delay_alu instid0(VALU_DEP_1) | instskip(NEXT) | instid1(VALU_DEP_1)
	v_fma_f32 v66, v69, v67, -v70
	v_fmac_f32_e32 v66, v69, v65
	s_delay_alu instid0(VALU_DEP_1) | instskip(NEXT) | instid1(VALU_DEP_1)
	v_add_f32_e32 v71, v70, v66
	v_sub_f32_e32 v80, v68, v71
	v_sub_f32_e32 v64, v71, v70
	s_delay_alu instid0(VALU_DEP_2) | instskip(NEXT) | instid1(VALU_DEP_2)
	v_sub_f32_e32 v68, v68, v80
	v_sub_f32_e32 v64, v64, v66
	s_delay_alu instid0(VALU_DEP_2) | instskip(NEXT) | instid1(VALU_DEP_1)
	v_sub_f32_e32 v68, v68, v71
	v_add_f32_e32 v37, v37, v68
	s_delay_alu instid0(VALU_DEP_1) | instskip(NEXT) | instid1(VALU_DEP_1)
	v_add_f32_e32 v37, v64, v37
	v_add_f32_e32 v64, v80, v37
	s_delay_alu instid0(VALU_DEP_1) | instskip(NEXT) | instid1(VALU_DEP_1)
	v_mul_f32_e32 v66, v55, v64
	v_dual_sub_f32 v71, v80, v64 :: v_dual_mul_f32 v68, v67, v66
	s_delay_alu instid0(VALU_DEP_1) | instskip(NEXT) | instid1(VALU_DEP_1)
	v_fma_f32 v67, v66, v67, -v68
	v_fmac_f32_e32 v67, v66, v65
	s_delay_alu instid0(VALU_DEP_1) | instskip(NEXT) | instid1(VALU_DEP_1)
	v_add_f32_e32 v65, v68, v67
	v_sub_f32_e32 v70, v64, v65
	v_sub_f32_e32 v68, v65, v68
	s_delay_alu instid0(VALU_DEP_2) | instskip(NEXT) | instid1(VALU_DEP_1)
	v_dual_add_f32 v37, v37, v71 :: v_dual_sub_f32 v64, v64, v70
	v_sub_f32_e32 v64, v64, v65
	s_delay_alu instid0(VALU_DEP_1) | instskip(NEXT) | instid1(VALU_DEP_4)
	v_add_f32_e32 v37, v37, v64
	v_dual_add_f32 v64, v69, v66 :: v_dual_sub_f32 v65, v68, v67
	s_delay_alu instid0(VALU_DEP_1) | instskip(NEXT) | instid1(VALU_DEP_2)
	v_add_f32_e32 v37, v65, v37
	v_sub_f32_e32 v65, v64, v69
	s_delay_alu instid0(VALU_DEP_2) | instskip(NEXT) | instid1(VALU_DEP_2)
	v_add_f32_e32 v37, v70, v37
	v_sub_f32_e32 v65, v66, v65
	s_delay_alu instid0(VALU_DEP_2) | instskip(NEXT) | instid1(VALU_DEP_1)
	v_mul_f32_e32 v37, v55, v37
	v_add_f32_e32 v37, v65, v37
	s_delay_alu instid0(VALU_DEP_1) | instskip(NEXT) | instid1(VALU_DEP_1)
	v_add_f32_e32 v55, v64, v37
	v_mul_f32_e32 v65, v55, v55
	s_delay_alu instid0(VALU_DEP_1) | instskip(SKIP_2) | instid1(VALU_DEP_3)
	v_fmaak_f32 v66, s24, v65, 0x3ecc95a3
	v_mul_f32_e32 v67, v55, v65
	v_cmp_eq_f32_e64 s24, 0x7f800000, v30
	v_fmaak_f32 v65, v65, v66, 0x3f2aaada
	v_ldexp_f32 v66, v55, 1
	v_sub_f32_e32 v55, v55, v64
	s_delay_alu instid0(VALU_DEP_4) | instskip(NEXT) | instid1(VALU_DEP_3)
	s_or_b32 s24, s24, s26
	v_mul_f32_e32 v65, v67, v65
	v_mul_f32_e32 v67, 0x3f317218, v54
	s_delay_alu instid0(VALU_DEP_2) | instskip(NEXT) | instid1(VALU_DEP_1)
	v_dual_sub_f32 v37, v37, v55 :: v_dual_add_f32 v64, v66, v65
	v_ldexp_f32 v37, v37, 1
	s_delay_alu instid0(VALU_DEP_2) | instskip(NEXT) | instid1(VALU_DEP_4)
	v_sub_f32_e32 v55, v64, v66
	v_fma_f32 v66, 0x3f317218, v54, -v67
	s_delay_alu instid0(VALU_DEP_1) | instskip(NEXT) | instid1(VALU_DEP_1)
	v_dual_sub_f32 v55, v65, v55 :: v_dual_fmamk_f32 v54, v54, 0xb102e308, v66
	v_add_f32_e32 v37, v37, v55
	s_delay_alu instid0(VALU_DEP_2) | instskip(NEXT) | instid1(VALU_DEP_2)
	v_add_f32_e32 v55, v67, v54
	v_add_f32_e32 v65, v64, v37
	s_delay_alu instid0(VALU_DEP_2) | instskip(NEXT) | instid1(VALU_DEP_2)
	v_sub_f32_e32 v67, v55, v67
	v_add_f32_e32 v66, v55, v65
	v_sub_f32_e32 v64, v65, v64
	s_delay_alu instid0(VALU_DEP_3) | instskip(NEXT) | instid1(VALU_DEP_2)
	v_sub_f32_e32 v54, v54, v67
	v_dual_sub_f32 v68, v66, v55 :: v_dual_sub_f32 v37, v37, v64
	s_delay_alu instid0(VALU_DEP_1) | instskip(NEXT) | instid1(VALU_DEP_2)
	v_sub_f32_e32 v69, v66, v68
	v_dual_sub_f32 v64, v65, v68 :: v_dual_add_f32 v65, v54, v37
	s_delay_alu instid0(VALU_DEP_2) | instskip(NEXT) | instid1(VALU_DEP_1)
	v_sub_f32_e32 v55, v55, v69
	v_dual_add_f32 v55, v64, v55 :: v_dual_sub_f32 v64, v65, v54
	s_delay_alu instid0(VALU_DEP_1) | instskip(NEXT) | instid1(VALU_DEP_2)
	v_add_f32_e32 v55, v65, v55
	v_sub_f32_e32 v65, v65, v64
	v_sub_f32_e32 v37, v37, v64
	s_delay_alu instid0(VALU_DEP_3) | instskip(NEXT) | instid1(VALU_DEP_3)
	v_add_f32_e32 v67, v66, v55
	v_sub_f32_e32 v54, v54, v65
	s_delay_alu instid0(VALU_DEP_2) | instskip(NEXT) | instid1(VALU_DEP_1)
	v_sub_f32_e32 v64, v67, v66
	v_dual_add_f32 v37, v37, v54 :: v_dual_sub_f32 v54, v55, v64
	s_delay_alu instid0(VALU_DEP_1) | instskip(NEXT) | instid1(VALU_DEP_1)
	v_add_f32_e32 v37, v37, v54
	v_add_f32_e32 v37, v67, v37
	s_delay_alu instid0(VALU_DEP_1) | instskip(NEXT) | instid1(VALU_DEP_1)
	v_cndmask_b32_e64 v30, v37, v30, s24
	v_add_f32_e32 v30, v31, v30
	s_delay_alu instid0(VALU_DEP_1)
	v_cvt_f16_f32_e32 v30, v30
.LBB430_282:
	s_or_b32 exec_lo, exec_lo, s25
	v_lshrrev_b32_e32 v31, 5, v21
	s_mov_b32 s26, exec_lo
	s_delay_alu instid0(VALU_DEP_1)
	v_add_lshl_u32 v31, v31, v21, 1
	ds_store_b16 v31, v30
	s_waitcnt lgkmcnt(0)
	s_barrier
	buffer_gl0_inv
	v_cmpx_gt_u32_e32 32, v21
	s_cbranch_execz .LBB430_310
; %bb.283:
	v_lshrrev_b32_e32 v31, 3, v21
	s_delay_alu instid0(VALU_DEP_1) | instskip(NEXT) | instid1(VALU_DEP_1)
	v_and_b32_e32 v31, 0x7e, v31
	v_lshl_or_b32 v31, v21, 2, v31
	ds_load_u16 v64, v31
	ds_load_u16 v54, v31 offset:2
	s_waitcnt lgkmcnt(1)
	v_cvt_f32_f16_e32 v37, v64
	s_waitcnt lgkmcnt(0)
	v_cvt_f32_f16_e32 v65, v54
	v_cmp_u_f16_e64 s24, v64, v64
	v_cmp_u_f16_e64 s25, v54, v54
	s_delay_alu instid0(VALU_DEP_3) | instskip(SKIP_1) | instid1(VALU_DEP_2)
	v_max_f32_e32 v66, v37, v65
	v_min_f32_e32 v55, v37, v65
	v_cndmask_b32_e64 v66, v66, v37, s24
	s_delay_alu instid0(VALU_DEP_2) | instskip(NEXT) | instid1(VALU_DEP_2)
	v_cndmask_b32_e64 v55, v55, v37, s24
	v_cndmask_b32_e64 v54, v66, v65, s25
	s_delay_alu instid0(VALU_DEP_2) | instskip(NEXT) | instid1(VALU_DEP_1)
	v_cndmask_b32_e64 v55, v55, v65, s25
	v_cmp_neq_f32_e64 s25, v55, v54
	v_cmp_class_f32_e64 s27, v55, 0x1f8
	s_delay_alu instid0(VALU_DEP_1) | instskip(NEXT) | instid1(SALU_CYCLE_1)
	s_or_b32 s25, s25, s27
	s_and_saveexec_b32 s27, s25
	s_cbranch_execz .LBB430_285
; %bb.284:
	v_sub_f32_e32 v55, v55, v54
	s_delay_alu instid0(VALU_DEP_1) | instskip(NEXT) | instid1(VALU_DEP_1)
	v_mul_f32_e32 v64, 0x3fb8aa3b, v55
	v_fma_f32 v65, 0x3fb8aa3b, v55, -v64
	v_rndne_f32_e32 v66, v64
	s_delay_alu instid0(VALU_DEP_1) | instskip(NEXT) | instid1(VALU_DEP_1)
	v_dual_fmamk_f32 v65, v55, 0x32a5705f, v65 :: v_dual_sub_f32 v64, v64, v66
	v_add_f32_e32 v64, v64, v65
	v_cvt_i32_f32_e32 v65, v66
	v_cmp_ngt_f32_e64 s25, 0xc2ce8ed0, v55
	s_delay_alu instid0(VALU_DEP_3) | instskip(SKIP_2) | instid1(VALU_DEP_1)
	v_exp_f32_e32 v64, v64
	s_waitcnt_depctr 0xfff
	v_ldexp_f32 v64, v64, v65
	v_cndmask_b32_e64 v64, 0, v64, s25
	v_cmp_nlt_f32_e64 s25, 0x42b17218, v55
	s_delay_alu instid0(VALU_DEP_1) | instskip(NEXT) | instid1(VALU_DEP_1)
	v_cndmask_b32_e64 v55, 0x7f800000, v64, s25
	v_add_f32_e32 v66, 1.0, v55
	v_cmp_gt_f32_e64 s28, 0x33800000, |v55|
	s_delay_alu instid0(VALU_DEP_2) | instskip(NEXT) | instid1(VALU_DEP_1)
	v_cvt_f64_f32_e32 v[64:65], v66
	v_frexp_exp_i32_f64_e32 v64, v[64:65]
	v_frexp_mant_f32_e32 v65, v66
	s_delay_alu instid0(VALU_DEP_1) | instskip(SKIP_1) | instid1(VALU_DEP_1)
	v_cmp_gt_f32_e64 s25, 0x3f2aaaab, v65
	v_add_f32_e32 v65, -1.0, v66
	v_dual_sub_f32 v68, v65, v66 :: v_dual_sub_f32 v65, v55, v65
	s_delay_alu instid0(VALU_DEP_3) | instskip(SKIP_1) | instid1(VALU_DEP_1)
	v_subrev_co_ci_u32_e64 v64, s25, 0, v64, s25
	s_mov_b32 s25, 0x3e9b6dac
	v_sub_nc_u32_e32 v67, 0, v64
	v_cvt_f32_i32_e32 v64, v64
	s_delay_alu instid0(VALU_DEP_2) | instskip(NEXT) | instid1(VALU_DEP_1)
	v_ldexp_f32 v66, v66, v67
	v_dual_add_f32 v68, 1.0, v68 :: v_dual_add_f32 v69, 1.0, v66
	s_delay_alu instid0(VALU_DEP_1) | instskip(NEXT) | instid1(VALU_DEP_1)
	v_dual_add_f32 v65, v65, v68 :: v_dual_add_f32 v68, -1.0, v69
	v_ldexp_f32 v65, v65, v67
	s_delay_alu instid0(VALU_DEP_2) | instskip(NEXT) | instid1(VALU_DEP_1)
	v_dual_add_f32 v67, -1.0, v66 :: v_dual_sub_f32 v68, v66, v68
	v_add_f32_e32 v70, 1.0, v67
	s_delay_alu instid0(VALU_DEP_2) | instskip(NEXT) | instid1(VALU_DEP_2)
	v_add_f32_e32 v68, v65, v68
	v_sub_f32_e32 v66, v66, v70
	s_delay_alu instid0(VALU_DEP_1) | instskip(NEXT) | instid1(VALU_DEP_1)
	v_add_f32_e32 v65, v65, v66
	v_dual_add_f32 v71, v67, v65 :: v_dual_add_f32 v70, v69, v68
	s_delay_alu instid0(VALU_DEP_1) | instskip(NEXT) | instid1(VALU_DEP_2)
	v_sub_f32_e32 v67, v67, v71
	v_rcp_f32_e32 v66, v70
	v_sub_f32_e32 v69, v69, v70
	s_delay_alu instid0(VALU_DEP_1) | instskip(SKIP_2) | instid1(VALU_DEP_1)
	v_dual_add_f32 v65, v65, v67 :: v_dual_add_f32 v68, v68, v69
	s_waitcnt_depctr 0xfff
	v_mul_f32_e32 v80, v71, v66
	v_mul_f32_e32 v81, v70, v80
	s_delay_alu instid0(VALU_DEP_1) | instskip(NEXT) | instid1(VALU_DEP_1)
	v_fma_f32 v69, v80, v70, -v81
	v_fmac_f32_e32 v69, v80, v68
	s_delay_alu instid0(VALU_DEP_1) | instskip(NEXT) | instid1(VALU_DEP_1)
	v_add_f32_e32 v82, v81, v69
	v_sub_f32_e32 v83, v71, v82
	s_delay_alu instid0(VALU_DEP_1) | instskip(SKIP_1) | instid1(VALU_DEP_2)
	v_sub_f32_e32 v71, v71, v83
	v_sub_f32_e32 v67, v82, v81
	;; [unrolled: 1-line block ×3, first 2 shown]
	s_delay_alu instid0(VALU_DEP_2) | instskip(NEXT) | instid1(VALU_DEP_2)
	v_sub_f32_e32 v67, v67, v69
	v_add_f32_e32 v65, v65, v71
	s_delay_alu instid0(VALU_DEP_1) | instskip(NEXT) | instid1(VALU_DEP_1)
	v_add_f32_e32 v65, v67, v65
	v_add_f32_e32 v67, v83, v65
	s_delay_alu instid0(VALU_DEP_1) | instskip(NEXT) | instid1(VALU_DEP_1)
	v_mul_f32_e32 v69, v66, v67
	v_dual_sub_f32 v82, v83, v67 :: v_dual_mul_f32 v71, v70, v69
	s_delay_alu instid0(VALU_DEP_1) | instskip(NEXT) | instid1(VALU_DEP_2)
	v_add_f32_e32 v65, v65, v82
	v_fma_f32 v70, v69, v70, -v71
	s_delay_alu instid0(VALU_DEP_1) | instskip(NEXT) | instid1(VALU_DEP_1)
	v_fmac_f32_e32 v70, v69, v68
	v_add_f32_e32 v68, v71, v70
	s_delay_alu instid0(VALU_DEP_1) | instskip(SKIP_1) | instid1(VALU_DEP_2)
	v_sub_f32_e32 v81, v67, v68
	v_sub_f32_e32 v71, v68, v71
	;; [unrolled: 1-line block ×3, first 2 shown]
	s_delay_alu instid0(VALU_DEP_1) | instskip(NEXT) | instid1(VALU_DEP_1)
	v_sub_f32_e32 v67, v67, v68
	v_dual_sub_f32 v68, v71, v70 :: v_dual_add_f32 v65, v65, v67
	v_add_f32_e32 v67, v80, v69
	s_delay_alu instid0(VALU_DEP_1) | instskip(NEXT) | instid1(VALU_DEP_1)
	v_dual_add_f32 v65, v68, v65 :: v_dual_sub_f32 v68, v67, v80
	v_add_f32_e32 v65, v81, v65
	s_delay_alu instid0(VALU_DEP_1) | instskip(NEXT) | instid1(VALU_DEP_1)
	v_dual_sub_f32 v68, v69, v68 :: v_dual_mul_f32 v65, v66, v65
	v_add_f32_e32 v65, v68, v65
	s_delay_alu instid0(VALU_DEP_1) | instskip(NEXT) | instid1(VALU_DEP_1)
	v_add_f32_e32 v66, v67, v65
	v_mul_f32_e32 v68, v66, v66
	s_delay_alu instid0(VALU_DEP_1) | instskip(SKIP_2) | instid1(VALU_DEP_3)
	v_fmaak_f32 v69, s25, v68, 0x3ecc95a3
	v_mul_f32_e32 v70, v66, v68
	v_cmp_eq_f32_e64 s25, 0x7f800000, v55
	v_fmaak_f32 v68, v68, v69, 0x3f2aaada
	v_ldexp_f32 v69, v66, 1
	v_sub_f32_e32 v66, v66, v67
	s_delay_alu instid0(VALU_DEP_4) | instskip(NEXT) | instid1(VALU_DEP_3)
	s_or_b32 s25, s25, s28
	v_mul_f32_e32 v68, v70, v68
	s_delay_alu instid0(VALU_DEP_2) | instskip(NEXT) | instid1(VALU_DEP_2)
	v_dual_mul_f32 v70, 0x3f317218, v64 :: v_dual_sub_f32 v65, v65, v66
	v_add_f32_e32 v67, v69, v68
	s_delay_alu instid0(VALU_DEP_2) | instskip(NEXT) | instid1(VALU_DEP_2)
	v_ldexp_f32 v65, v65, 1
	v_sub_f32_e32 v66, v67, v69
	s_delay_alu instid0(VALU_DEP_4) | instskip(NEXT) | instid1(VALU_DEP_2)
	v_fma_f32 v69, 0x3f317218, v64, -v70
	v_sub_f32_e32 v66, v68, v66
	s_delay_alu instid0(VALU_DEP_1) | instskip(NEXT) | instid1(VALU_DEP_1)
	v_dual_fmamk_f32 v64, v64, 0xb102e308, v69 :: v_dual_add_f32 v65, v65, v66
	v_add_f32_e32 v66, v70, v64
	s_delay_alu instid0(VALU_DEP_1) | instskip(NEXT) | instid1(VALU_DEP_1)
	v_sub_f32_e32 v70, v66, v70
	v_sub_f32_e32 v64, v64, v70
	s_delay_alu instid0(VALU_DEP_4) | instskip(NEXT) | instid1(VALU_DEP_1)
	v_add_f32_e32 v68, v67, v65
	v_sub_f32_e32 v67, v68, v67
	s_delay_alu instid0(VALU_DEP_1) | instskip(SKIP_1) | instid1(VALU_DEP_1)
	v_sub_f32_e32 v65, v65, v67
	v_add_f32_e32 v69, v66, v68
	v_sub_f32_e32 v71, v69, v66
	s_delay_alu instid0(VALU_DEP_1) | instskip(NEXT) | instid1(VALU_DEP_4)
	v_sub_f32_e32 v67, v68, v71
	v_add_f32_e32 v68, v64, v65
	v_sub_f32_e32 v80, v69, v71
	s_delay_alu instid0(VALU_DEP_1) | instskip(NEXT) | instid1(VALU_DEP_1)
	v_sub_f32_e32 v66, v66, v80
	v_dual_add_f32 v66, v67, v66 :: v_dual_sub_f32 v67, v68, v64
	s_delay_alu instid0(VALU_DEP_1) | instskip(SKIP_1) | instid1(VALU_DEP_2)
	v_dual_add_f32 v66, v68, v66 :: v_dual_sub_f32 v65, v65, v67
	v_sub_f32_e32 v68, v68, v67
	v_add_f32_e32 v70, v69, v66
	s_delay_alu instid0(VALU_DEP_1) | instskip(NEXT) | instid1(VALU_DEP_1)
	v_dual_sub_f32 v64, v64, v68 :: v_dual_sub_f32 v67, v70, v69
	v_dual_add_f32 v64, v65, v64 :: v_dual_sub_f32 v65, v66, v67
	s_delay_alu instid0(VALU_DEP_1) | instskip(NEXT) | instid1(VALU_DEP_1)
	v_add_f32_e32 v64, v64, v65
	v_add_f32_e32 v64, v70, v64
	s_delay_alu instid0(VALU_DEP_1) | instskip(NEXT) | instid1(VALU_DEP_1)
	v_cndmask_b32_e64 v55, v64, v55, s25
	v_add_f32_e32 v54, v54, v55
	s_delay_alu instid0(VALU_DEP_1)
	v_cvt_f16_f32_e32 v64, v54
.LBB430_285:
	s_or_b32 exec_lo, exec_lo, s27
	v_mbcnt_lo_u32_b32 v54, -1, 0
	s_delay_alu instid0(VALU_DEP_2) | instskip(SKIP_1) | instid1(VALU_DEP_2)
	v_and_b32_e32 v65, 0xffff, v64
	s_mov_b32 s27, exec_lo
	v_and_b32_e32 v55, 15, v54
	s_delay_alu instid0(VALU_DEP_2) | instskip(NEXT) | instid1(VALU_DEP_2)
	v_mov_b32_dpp v66, v65 row_shr:1 row_mask:0xf bank_mask:0xf
	v_cmpx_ne_u32_e32 0, v55
	s_cbranch_execz .LBB430_289
; %bb.286:
	s_delay_alu instid0(VALU_DEP_2) | instskip(SKIP_2) | instid1(VALU_DEP_2)
	v_cvt_f32_f16_e32 v65, v66
	v_cvt_f32_f16_e32 v67, v64
	v_cmp_u_f16_e64 s25, v66, v66
	v_min_f32_e32 v68, v65, v67
	v_max_f32_e32 v69, v65, v67
	s_delay_alu instid0(VALU_DEP_2) | instskip(NEXT) | instid1(VALU_DEP_2)
	v_cndmask_b32_e64 v68, v68, v65, s25
	v_cndmask_b32_e64 v69, v69, v65, s25
	v_cmp_u_f16_e64 s25, v64, v64
	s_delay_alu instid0(VALU_DEP_1) | instskip(NEXT) | instid1(VALU_DEP_3)
	v_cndmask_b32_e64 v65, v68, v67, s25
	v_cndmask_b32_e64 v64, v69, v67, s25
	s_delay_alu instid0(VALU_DEP_2) | instskip(NEXT) | instid1(VALU_DEP_2)
	v_cmp_class_f32_e64 s28, v65, 0x1f8
	v_cmp_neq_f32_e64 s25, v65, v64
	s_delay_alu instid0(VALU_DEP_1) | instskip(NEXT) | instid1(SALU_CYCLE_1)
	s_or_b32 s25, s25, s28
	s_and_saveexec_b32 s28, s25
	s_cbranch_execz .LBB430_288
; %bb.287:
	v_sub_f32_e32 v65, v65, v64
	s_delay_alu instid0(VALU_DEP_1) | instskip(NEXT) | instid1(VALU_DEP_1)
	v_mul_f32_e32 v66, 0x3fb8aa3b, v65
	v_fma_f32 v67, 0x3fb8aa3b, v65, -v66
	v_rndne_f32_e32 v68, v66
	s_delay_alu instid0(VALU_DEP_1) | instskip(NEXT) | instid1(VALU_DEP_1)
	v_dual_fmamk_f32 v67, v65, 0x32a5705f, v67 :: v_dual_sub_f32 v66, v66, v68
	v_add_f32_e32 v66, v66, v67
	v_cvt_i32_f32_e32 v67, v68
	v_cmp_ngt_f32_e64 s25, 0xc2ce8ed0, v65
	s_delay_alu instid0(VALU_DEP_3) | instskip(SKIP_2) | instid1(VALU_DEP_1)
	v_exp_f32_e32 v66, v66
	s_waitcnt_depctr 0xfff
	v_ldexp_f32 v66, v66, v67
	v_cndmask_b32_e64 v66, 0, v66, s25
	v_cmp_nlt_f32_e64 s25, 0x42b17218, v65
	s_delay_alu instid0(VALU_DEP_1) | instskip(NEXT) | instid1(VALU_DEP_1)
	v_cndmask_b32_e64 v67, 0x7f800000, v66, s25
	v_add_f32_e32 v68, 1.0, v67
	v_cmp_gt_f32_e64 s29, 0x33800000, |v67|
	s_delay_alu instid0(VALU_DEP_2) | instskip(NEXT) | instid1(VALU_DEP_1)
	v_cvt_f64_f32_e32 v[65:66], v68
	v_frexp_exp_i32_f64_e32 v65, v[65:66]
	v_frexp_mant_f32_e32 v66, v68
	s_delay_alu instid0(VALU_DEP_1) | instskip(SKIP_1) | instid1(VALU_DEP_1)
	v_cmp_gt_f32_e64 s25, 0x3f2aaaab, v66
	v_add_f32_e32 v66, -1.0, v68
	v_sub_f32_e32 v70, v66, v68
	s_delay_alu instid0(VALU_DEP_3) | instskip(SKIP_1) | instid1(VALU_DEP_1)
	v_subrev_co_ci_u32_e64 v65, s25, 0, v65, s25
	s_mov_b32 s25, 0x3e9b6dac
	v_sub_nc_u32_e32 v69, 0, v65
	v_cvt_f32_i32_e32 v65, v65
	s_delay_alu instid0(VALU_DEP_2) | instskip(NEXT) | instid1(VALU_DEP_1)
	v_ldexp_f32 v68, v68, v69
	v_dual_sub_f32 v66, v67, v66 :: v_dual_add_f32 v71, 1.0, v68
	v_add_f32_e32 v70, 1.0, v70
	s_delay_alu instid0(VALU_DEP_1) | instskip(NEXT) | instid1(VALU_DEP_3)
	v_add_f32_e32 v66, v66, v70
	v_add_f32_e32 v70, -1.0, v71
	s_delay_alu instid0(VALU_DEP_2) | instskip(NEXT) | instid1(VALU_DEP_2)
	v_ldexp_f32 v66, v66, v69
	v_dual_add_f32 v69, -1.0, v68 :: v_dual_sub_f32 v70, v68, v70
	s_delay_alu instid0(VALU_DEP_1) | instskip(NEXT) | instid1(VALU_DEP_2)
	v_add_f32_e32 v80, 1.0, v69
	v_add_f32_e32 v70, v66, v70
	s_delay_alu instid0(VALU_DEP_2) | instskip(NEXT) | instid1(VALU_DEP_2)
	v_sub_f32_e32 v68, v68, v80
	v_add_f32_e32 v80, v71, v70
	s_delay_alu instid0(VALU_DEP_2) | instskip(NEXT) | instid1(VALU_DEP_2)
	v_add_f32_e32 v66, v66, v68
	v_rcp_f32_e32 v68, v80
	v_sub_f32_e32 v71, v71, v80
	s_delay_alu instid0(VALU_DEP_1) | instskip(NEXT) | instid1(VALU_DEP_1)
	v_dual_add_f32 v81, v69, v66 :: v_dual_add_f32 v70, v70, v71
	v_sub_f32_e32 v69, v69, v81
	s_waitcnt_depctr 0xfff
	v_mul_f32_e32 v82, v81, v68
	s_delay_alu instid0(VALU_DEP_1) | instskip(NEXT) | instid1(VALU_DEP_1)
	v_dual_add_f32 v66, v66, v69 :: v_dual_mul_f32 v83, v80, v82
	v_fma_f32 v71, v82, v80, -v83
	s_delay_alu instid0(VALU_DEP_1) | instskip(NEXT) | instid1(VALU_DEP_1)
	v_fmac_f32_e32 v71, v82, v70
	v_add_f32_e32 v84, v83, v71
	s_delay_alu instid0(VALU_DEP_1) | instskip(SKIP_1) | instid1(VALU_DEP_2)
	v_sub_f32_e32 v85, v81, v84
	v_sub_f32_e32 v69, v84, v83
	;; [unrolled: 1-line block ×3, first 2 shown]
	s_delay_alu instid0(VALU_DEP_2) | instskip(NEXT) | instid1(VALU_DEP_2)
	v_sub_f32_e32 v69, v69, v71
	v_sub_f32_e32 v81, v81, v84
	s_delay_alu instid0(VALU_DEP_1) | instskip(NEXT) | instid1(VALU_DEP_1)
	v_add_f32_e32 v66, v66, v81
	v_add_f32_e32 v66, v69, v66
	s_delay_alu instid0(VALU_DEP_1) | instskip(NEXT) | instid1(VALU_DEP_1)
	v_add_f32_e32 v69, v85, v66
	v_mul_f32_e32 v71, v68, v69
	s_delay_alu instid0(VALU_DEP_1) | instskip(NEXT) | instid1(VALU_DEP_1)
	v_dual_sub_f32 v84, v85, v69 :: v_dual_mul_f32 v81, v80, v71
	v_add_f32_e32 v66, v66, v84
	s_delay_alu instid0(VALU_DEP_2) | instskip(NEXT) | instid1(VALU_DEP_1)
	v_fma_f32 v80, v71, v80, -v81
	v_fmac_f32_e32 v80, v71, v70
	s_delay_alu instid0(VALU_DEP_1) | instskip(NEXT) | instid1(VALU_DEP_1)
	v_add_f32_e32 v70, v81, v80
	v_sub_f32_e32 v83, v69, v70
	v_sub_f32_e32 v81, v70, v81
	s_delay_alu instid0(VALU_DEP_2) | instskip(NEXT) | instid1(VALU_DEP_1)
	v_sub_f32_e32 v69, v69, v83
	v_sub_f32_e32 v69, v69, v70
	s_delay_alu instid0(VALU_DEP_3) | instskip(NEXT) | instid1(VALU_DEP_2)
	v_sub_f32_e32 v70, v81, v80
	v_add_f32_e32 v66, v66, v69
	v_add_f32_e32 v69, v82, v71
	s_delay_alu instid0(VALU_DEP_2) | instskip(NEXT) | instid1(VALU_DEP_2)
	v_add_f32_e32 v66, v70, v66
	v_sub_f32_e32 v70, v69, v82
	s_delay_alu instid0(VALU_DEP_2) | instskip(NEXT) | instid1(VALU_DEP_2)
	v_add_f32_e32 v66, v83, v66
	v_sub_f32_e32 v70, v71, v70
	s_delay_alu instid0(VALU_DEP_2) | instskip(NEXT) | instid1(VALU_DEP_1)
	v_mul_f32_e32 v66, v68, v66
	v_add_f32_e32 v66, v70, v66
	s_delay_alu instid0(VALU_DEP_1) | instskip(NEXT) | instid1(VALU_DEP_1)
	v_add_f32_e32 v68, v69, v66
	v_mul_f32_e32 v70, v68, v68
	s_delay_alu instid0(VALU_DEP_1) | instskip(SKIP_2) | instid1(VALU_DEP_3)
	v_fmaak_f32 v71, s25, v70, 0x3ecc95a3
	v_mul_f32_e32 v80, v68, v70
	v_cmp_eq_f32_e64 s25, 0x7f800000, v67
	v_fmaak_f32 v70, v70, v71, 0x3f2aaada
	v_ldexp_f32 v71, v68, 1
	v_sub_f32_e32 v68, v68, v69
	s_delay_alu instid0(VALU_DEP_4) | instskip(NEXT) | instid1(VALU_DEP_3)
	s_or_b32 s25, s25, s29
	v_mul_f32_e32 v70, v80, v70
	v_mul_f32_e32 v80, 0x3f317218, v65
	s_delay_alu instid0(VALU_DEP_2) | instskip(NEXT) | instid1(VALU_DEP_1)
	v_dual_sub_f32 v66, v66, v68 :: v_dual_add_f32 v69, v71, v70
	v_ldexp_f32 v66, v66, 1
	s_delay_alu instid0(VALU_DEP_2) | instskip(NEXT) | instid1(VALU_DEP_4)
	v_sub_f32_e32 v68, v69, v71
	v_fma_f32 v71, 0x3f317218, v65, -v80
	s_delay_alu instid0(VALU_DEP_1) | instskip(NEXT) | instid1(VALU_DEP_1)
	v_dual_sub_f32 v68, v70, v68 :: v_dual_fmamk_f32 v65, v65, 0xb102e308, v71
	v_add_f32_e32 v66, v66, v68
	s_delay_alu instid0(VALU_DEP_2) | instskip(NEXT) | instid1(VALU_DEP_2)
	v_add_f32_e32 v68, v80, v65
	v_add_f32_e32 v70, v69, v66
	s_delay_alu instid0(VALU_DEP_2) | instskip(NEXT) | instid1(VALU_DEP_2)
	v_sub_f32_e32 v80, v68, v80
	v_add_f32_e32 v71, v68, v70
	v_sub_f32_e32 v69, v70, v69
	s_delay_alu instid0(VALU_DEP_3) | instskip(NEXT) | instid1(VALU_DEP_2)
	v_sub_f32_e32 v65, v65, v80
	v_dual_sub_f32 v81, v71, v68 :: v_dual_sub_f32 v66, v66, v69
	s_delay_alu instid0(VALU_DEP_1) | instskip(NEXT) | instid1(VALU_DEP_2)
	v_sub_f32_e32 v82, v71, v81
	v_dual_sub_f32 v69, v70, v81 :: v_dual_add_f32 v70, v65, v66
	s_delay_alu instid0(VALU_DEP_2) | instskip(NEXT) | instid1(VALU_DEP_1)
	v_sub_f32_e32 v68, v68, v82
	v_dual_add_f32 v68, v69, v68 :: v_dual_sub_f32 v69, v70, v65
	s_delay_alu instid0(VALU_DEP_1) | instskip(NEXT) | instid1(VALU_DEP_2)
	v_add_f32_e32 v68, v70, v68
	v_sub_f32_e32 v70, v70, v69
	v_sub_f32_e32 v66, v66, v69
	s_delay_alu instid0(VALU_DEP_2) | instskip(NEXT) | instid1(VALU_DEP_1)
	v_dual_add_f32 v80, v71, v68 :: v_dual_sub_f32 v65, v65, v70
	v_sub_f32_e32 v69, v80, v71
	s_delay_alu instid0(VALU_DEP_2) | instskip(NEXT) | instid1(VALU_DEP_2)
	v_add_f32_e32 v65, v66, v65
	v_sub_f32_e32 v66, v68, v69
	s_delay_alu instid0(VALU_DEP_1) | instskip(NEXT) | instid1(VALU_DEP_1)
	v_add_f32_e32 v65, v65, v66
	v_add_f32_e32 v65, v80, v65
	s_delay_alu instid0(VALU_DEP_1) | instskip(NEXT) | instid1(VALU_DEP_1)
	v_cndmask_b32_e64 v65, v65, v67, s25
	v_add_f32_e32 v64, v64, v65
	s_delay_alu instid0(VALU_DEP_1)
	v_cvt_f16_f32_e32 v66, v64
.LBB430_288:
	s_or_b32 exec_lo, exec_lo, s28
	s_delay_alu instid0(VALU_DEP_1)
	v_dual_mov_b32 v64, v66 :: v_dual_and_b32 v65, 0xffff, v66
.LBB430_289:
	s_or_b32 exec_lo, exec_lo, s27
	s_delay_alu instid0(VALU_DEP_1)
	v_mov_b32_dpp v66, v65 row_shr:2 row_mask:0xf bank_mask:0xf
	s_mov_b32 s27, exec_lo
	v_cmpx_lt_u32_e32 1, v55
	s_cbranch_execz .LBB430_293
; %bb.290:
	s_delay_alu instid0(VALU_DEP_2) | instskip(SKIP_2) | instid1(VALU_DEP_2)
	v_cvt_f32_f16_e32 v65, v66
	v_cvt_f32_f16_e32 v67, v64
	v_cmp_u_f16_e64 s25, v66, v66
	v_min_f32_e32 v68, v65, v67
	v_max_f32_e32 v69, v65, v67
	s_delay_alu instid0(VALU_DEP_2) | instskip(NEXT) | instid1(VALU_DEP_2)
	v_cndmask_b32_e64 v68, v68, v65, s25
	v_cndmask_b32_e64 v69, v69, v65, s25
	v_cmp_u_f16_e64 s25, v64, v64
	s_delay_alu instid0(VALU_DEP_1) | instskip(NEXT) | instid1(VALU_DEP_3)
	v_cndmask_b32_e64 v65, v68, v67, s25
	v_cndmask_b32_e64 v64, v69, v67, s25
	s_delay_alu instid0(VALU_DEP_2) | instskip(NEXT) | instid1(VALU_DEP_2)
	v_cmp_class_f32_e64 s28, v65, 0x1f8
	v_cmp_neq_f32_e64 s25, v65, v64
	s_delay_alu instid0(VALU_DEP_1) | instskip(NEXT) | instid1(SALU_CYCLE_1)
	s_or_b32 s25, s25, s28
	s_and_saveexec_b32 s28, s25
	s_cbranch_execz .LBB430_292
; %bb.291:
	v_sub_f32_e32 v65, v65, v64
	s_delay_alu instid0(VALU_DEP_1) | instskip(NEXT) | instid1(VALU_DEP_1)
	v_mul_f32_e32 v66, 0x3fb8aa3b, v65
	v_fma_f32 v67, 0x3fb8aa3b, v65, -v66
	v_rndne_f32_e32 v68, v66
	s_delay_alu instid0(VALU_DEP_1) | instskip(NEXT) | instid1(VALU_DEP_1)
	v_dual_fmamk_f32 v67, v65, 0x32a5705f, v67 :: v_dual_sub_f32 v66, v66, v68
	v_add_f32_e32 v66, v66, v67
	v_cvt_i32_f32_e32 v67, v68
	v_cmp_ngt_f32_e64 s25, 0xc2ce8ed0, v65
	s_delay_alu instid0(VALU_DEP_3) | instskip(SKIP_2) | instid1(VALU_DEP_1)
	v_exp_f32_e32 v66, v66
	s_waitcnt_depctr 0xfff
	v_ldexp_f32 v66, v66, v67
	v_cndmask_b32_e64 v66, 0, v66, s25
	v_cmp_nlt_f32_e64 s25, 0x42b17218, v65
	s_delay_alu instid0(VALU_DEP_1) | instskip(NEXT) | instid1(VALU_DEP_1)
	v_cndmask_b32_e64 v67, 0x7f800000, v66, s25
	v_add_f32_e32 v68, 1.0, v67
	v_cmp_gt_f32_e64 s29, 0x33800000, |v67|
	s_delay_alu instid0(VALU_DEP_2) | instskip(NEXT) | instid1(VALU_DEP_1)
	v_cvt_f64_f32_e32 v[65:66], v68
	v_frexp_exp_i32_f64_e32 v65, v[65:66]
	v_frexp_mant_f32_e32 v66, v68
	s_delay_alu instid0(VALU_DEP_1) | instskip(SKIP_1) | instid1(VALU_DEP_1)
	v_cmp_gt_f32_e64 s25, 0x3f2aaaab, v66
	v_add_f32_e32 v66, -1.0, v68
	v_sub_f32_e32 v70, v66, v68
	s_delay_alu instid0(VALU_DEP_3) | instskip(SKIP_1) | instid1(VALU_DEP_1)
	v_subrev_co_ci_u32_e64 v65, s25, 0, v65, s25
	s_mov_b32 s25, 0x3e9b6dac
	v_sub_nc_u32_e32 v69, 0, v65
	v_cvt_f32_i32_e32 v65, v65
	s_delay_alu instid0(VALU_DEP_2) | instskip(NEXT) | instid1(VALU_DEP_1)
	v_ldexp_f32 v68, v68, v69
	v_dual_sub_f32 v66, v67, v66 :: v_dual_add_f32 v71, 1.0, v68
	v_add_f32_e32 v70, 1.0, v70
	s_delay_alu instid0(VALU_DEP_1) | instskip(NEXT) | instid1(VALU_DEP_3)
	v_add_f32_e32 v66, v66, v70
	v_add_f32_e32 v70, -1.0, v71
	s_delay_alu instid0(VALU_DEP_2) | instskip(NEXT) | instid1(VALU_DEP_2)
	v_ldexp_f32 v66, v66, v69
	v_dual_add_f32 v69, -1.0, v68 :: v_dual_sub_f32 v70, v68, v70
	s_delay_alu instid0(VALU_DEP_1) | instskip(NEXT) | instid1(VALU_DEP_2)
	v_add_f32_e32 v80, 1.0, v69
	v_add_f32_e32 v70, v66, v70
	s_delay_alu instid0(VALU_DEP_2) | instskip(NEXT) | instid1(VALU_DEP_2)
	v_sub_f32_e32 v68, v68, v80
	v_add_f32_e32 v80, v71, v70
	s_delay_alu instid0(VALU_DEP_2) | instskip(NEXT) | instid1(VALU_DEP_2)
	v_add_f32_e32 v66, v66, v68
	v_rcp_f32_e32 v68, v80
	v_sub_f32_e32 v71, v71, v80
	s_delay_alu instid0(VALU_DEP_1) | instskip(NEXT) | instid1(VALU_DEP_1)
	v_dual_add_f32 v81, v69, v66 :: v_dual_add_f32 v70, v70, v71
	v_sub_f32_e32 v69, v69, v81
	s_waitcnt_depctr 0xfff
	v_mul_f32_e32 v82, v81, v68
	s_delay_alu instid0(VALU_DEP_1) | instskip(NEXT) | instid1(VALU_DEP_1)
	v_dual_add_f32 v66, v66, v69 :: v_dual_mul_f32 v83, v80, v82
	v_fma_f32 v71, v82, v80, -v83
	s_delay_alu instid0(VALU_DEP_1) | instskip(NEXT) | instid1(VALU_DEP_1)
	v_fmac_f32_e32 v71, v82, v70
	v_add_f32_e32 v84, v83, v71
	s_delay_alu instid0(VALU_DEP_1) | instskip(SKIP_1) | instid1(VALU_DEP_2)
	v_sub_f32_e32 v85, v81, v84
	v_sub_f32_e32 v69, v84, v83
	;; [unrolled: 1-line block ×3, first 2 shown]
	s_delay_alu instid0(VALU_DEP_2) | instskip(NEXT) | instid1(VALU_DEP_2)
	v_sub_f32_e32 v69, v69, v71
	v_sub_f32_e32 v81, v81, v84
	s_delay_alu instid0(VALU_DEP_1) | instskip(NEXT) | instid1(VALU_DEP_1)
	v_add_f32_e32 v66, v66, v81
	v_add_f32_e32 v66, v69, v66
	s_delay_alu instid0(VALU_DEP_1) | instskip(NEXT) | instid1(VALU_DEP_1)
	v_add_f32_e32 v69, v85, v66
	v_mul_f32_e32 v71, v68, v69
	s_delay_alu instid0(VALU_DEP_1) | instskip(NEXT) | instid1(VALU_DEP_1)
	v_dual_sub_f32 v84, v85, v69 :: v_dual_mul_f32 v81, v80, v71
	v_add_f32_e32 v66, v66, v84
	s_delay_alu instid0(VALU_DEP_2) | instskip(NEXT) | instid1(VALU_DEP_1)
	v_fma_f32 v80, v71, v80, -v81
	v_fmac_f32_e32 v80, v71, v70
	s_delay_alu instid0(VALU_DEP_1) | instskip(NEXT) | instid1(VALU_DEP_1)
	v_add_f32_e32 v70, v81, v80
	v_sub_f32_e32 v83, v69, v70
	v_sub_f32_e32 v81, v70, v81
	s_delay_alu instid0(VALU_DEP_2) | instskip(NEXT) | instid1(VALU_DEP_1)
	v_sub_f32_e32 v69, v69, v83
	v_sub_f32_e32 v69, v69, v70
	s_delay_alu instid0(VALU_DEP_3) | instskip(NEXT) | instid1(VALU_DEP_2)
	v_sub_f32_e32 v70, v81, v80
	v_add_f32_e32 v66, v66, v69
	v_add_f32_e32 v69, v82, v71
	s_delay_alu instid0(VALU_DEP_2) | instskip(NEXT) | instid1(VALU_DEP_2)
	v_add_f32_e32 v66, v70, v66
	v_sub_f32_e32 v70, v69, v82
	s_delay_alu instid0(VALU_DEP_2) | instskip(NEXT) | instid1(VALU_DEP_2)
	v_add_f32_e32 v66, v83, v66
	v_sub_f32_e32 v70, v71, v70
	s_delay_alu instid0(VALU_DEP_2) | instskip(NEXT) | instid1(VALU_DEP_1)
	v_mul_f32_e32 v66, v68, v66
	v_add_f32_e32 v66, v70, v66
	s_delay_alu instid0(VALU_DEP_1) | instskip(NEXT) | instid1(VALU_DEP_1)
	v_add_f32_e32 v68, v69, v66
	v_mul_f32_e32 v70, v68, v68
	s_delay_alu instid0(VALU_DEP_1) | instskip(SKIP_2) | instid1(VALU_DEP_3)
	v_fmaak_f32 v71, s25, v70, 0x3ecc95a3
	v_mul_f32_e32 v80, v68, v70
	v_cmp_eq_f32_e64 s25, 0x7f800000, v67
	v_fmaak_f32 v70, v70, v71, 0x3f2aaada
	v_ldexp_f32 v71, v68, 1
	v_sub_f32_e32 v68, v68, v69
	s_delay_alu instid0(VALU_DEP_4) | instskip(NEXT) | instid1(VALU_DEP_3)
	s_or_b32 s25, s25, s29
	v_mul_f32_e32 v70, v80, v70
	v_mul_f32_e32 v80, 0x3f317218, v65
	s_delay_alu instid0(VALU_DEP_2) | instskip(NEXT) | instid1(VALU_DEP_1)
	v_dual_sub_f32 v66, v66, v68 :: v_dual_add_f32 v69, v71, v70
	v_ldexp_f32 v66, v66, 1
	s_delay_alu instid0(VALU_DEP_2) | instskip(NEXT) | instid1(VALU_DEP_4)
	v_sub_f32_e32 v68, v69, v71
	v_fma_f32 v71, 0x3f317218, v65, -v80
	s_delay_alu instid0(VALU_DEP_1) | instskip(NEXT) | instid1(VALU_DEP_1)
	v_dual_sub_f32 v68, v70, v68 :: v_dual_fmamk_f32 v65, v65, 0xb102e308, v71
	v_add_f32_e32 v66, v66, v68
	s_delay_alu instid0(VALU_DEP_2) | instskip(NEXT) | instid1(VALU_DEP_2)
	v_add_f32_e32 v68, v80, v65
	v_add_f32_e32 v70, v69, v66
	s_delay_alu instid0(VALU_DEP_2) | instskip(NEXT) | instid1(VALU_DEP_2)
	v_sub_f32_e32 v80, v68, v80
	v_add_f32_e32 v71, v68, v70
	v_sub_f32_e32 v69, v70, v69
	s_delay_alu instid0(VALU_DEP_3) | instskip(NEXT) | instid1(VALU_DEP_2)
	v_sub_f32_e32 v65, v65, v80
	v_dual_sub_f32 v81, v71, v68 :: v_dual_sub_f32 v66, v66, v69
	s_delay_alu instid0(VALU_DEP_1) | instskip(NEXT) | instid1(VALU_DEP_2)
	v_sub_f32_e32 v82, v71, v81
	v_dual_sub_f32 v69, v70, v81 :: v_dual_add_f32 v70, v65, v66
	s_delay_alu instid0(VALU_DEP_2) | instskip(NEXT) | instid1(VALU_DEP_1)
	v_sub_f32_e32 v68, v68, v82
	v_dual_add_f32 v68, v69, v68 :: v_dual_sub_f32 v69, v70, v65
	s_delay_alu instid0(VALU_DEP_1) | instskip(NEXT) | instid1(VALU_DEP_2)
	v_add_f32_e32 v68, v70, v68
	v_sub_f32_e32 v70, v70, v69
	v_sub_f32_e32 v66, v66, v69
	s_delay_alu instid0(VALU_DEP_2) | instskip(NEXT) | instid1(VALU_DEP_1)
	v_dual_add_f32 v80, v71, v68 :: v_dual_sub_f32 v65, v65, v70
	v_sub_f32_e32 v69, v80, v71
	s_delay_alu instid0(VALU_DEP_2) | instskip(NEXT) | instid1(VALU_DEP_2)
	v_add_f32_e32 v65, v66, v65
	v_sub_f32_e32 v66, v68, v69
	s_delay_alu instid0(VALU_DEP_1) | instskip(NEXT) | instid1(VALU_DEP_1)
	v_add_f32_e32 v65, v65, v66
	v_add_f32_e32 v65, v80, v65
	s_delay_alu instid0(VALU_DEP_1) | instskip(NEXT) | instid1(VALU_DEP_1)
	v_cndmask_b32_e64 v65, v65, v67, s25
	v_add_f32_e32 v64, v64, v65
	s_delay_alu instid0(VALU_DEP_1)
	v_cvt_f16_f32_e32 v66, v64
.LBB430_292:
	s_or_b32 exec_lo, exec_lo, s28
	s_delay_alu instid0(VALU_DEP_1)
	v_dual_mov_b32 v64, v66 :: v_dual_and_b32 v65, 0xffff, v66
.LBB430_293:
	s_or_b32 exec_lo, exec_lo, s27
	s_delay_alu instid0(VALU_DEP_1)
	v_mov_b32_dpp v66, v65 row_shr:4 row_mask:0xf bank_mask:0xf
	s_mov_b32 s27, exec_lo
	v_cmpx_lt_u32_e32 3, v55
	s_cbranch_execz .LBB430_297
; %bb.294:
	s_delay_alu instid0(VALU_DEP_2) | instskip(SKIP_2) | instid1(VALU_DEP_2)
	v_cvt_f32_f16_e32 v65, v66
	v_cvt_f32_f16_e32 v67, v64
	v_cmp_u_f16_e64 s25, v66, v66
	v_min_f32_e32 v68, v65, v67
	v_max_f32_e32 v69, v65, v67
	s_delay_alu instid0(VALU_DEP_2) | instskip(NEXT) | instid1(VALU_DEP_2)
	v_cndmask_b32_e64 v68, v68, v65, s25
	v_cndmask_b32_e64 v69, v69, v65, s25
	v_cmp_u_f16_e64 s25, v64, v64
	s_delay_alu instid0(VALU_DEP_1) | instskip(NEXT) | instid1(VALU_DEP_3)
	v_cndmask_b32_e64 v65, v68, v67, s25
	v_cndmask_b32_e64 v64, v69, v67, s25
	s_delay_alu instid0(VALU_DEP_2) | instskip(NEXT) | instid1(VALU_DEP_2)
	v_cmp_class_f32_e64 s28, v65, 0x1f8
	v_cmp_neq_f32_e64 s25, v65, v64
	s_delay_alu instid0(VALU_DEP_1) | instskip(NEXT) | instid1(SALU_CYCLE_1)
	s_or_b32 s25, s25, s28
	s_and_saveexec_b32 s28, s25
	s_cbranch_execz .LBB430_296
; %bb.295:
	v_sub_f32_e32 v65, v65, v64
	s_delay_alu instid0(VALU_DEP_1) | instskip(NEXT) | instid1(VALU_DEP_1)
	v_mul_f32_e32 v66, 0x3fb8aa3b, v65
	v_fma_f32 v67, 0x3fb8aa3b, v65, -v66
	v_rndne_f32_e32 v68, v66
	s_delay_alu instid0(VALU_DEP_1) | instskip(NEXT) | instid1(VALU_DEP_1)
	v_dual_fmamk_f32 v67, v65, 0x32a5705f, v67 :: v_dual_sub_f32 v66, v66, v68
	v_add_f32_e32 v66, v66, v67
	v_cvt_i32_f32_e32 v67, v68
	v_cmp_ngt_f32_e64 s25, 0xc2ce8ed0, v65
	s_delay_alu instid0(VALU_DEP_3) | instskip(SKIP_2) | instid1(VALU_DEP_1)
	v_exp_f32_e32 v66, v66
	s_waitcnt_depctr 0xfff
	v_ldexp_f32 v66, v66, v67
	v_cndmask_b32_e64 v66, 0, v66, s25
	v_cmp_nlt_f32_e64 s25, 0x42b17218, v65
	s_delay_alu instid0(VALU_DEP_1) | instskip(NEXT) | instid1(VALU_DEP_1)
	v_cndmask_b32_e64 v67, 0x7f800000, v66, s25
	v_add_f32_e32 v68, 1.0, v67
	v_cmp_gt_f32_e64 s29, 0x33800000, |v67|
	s_delay_alu instid0(VALU_DEP_2) | instskip(NEXT) | instid1(VALU_DEP_1)
	v_cvt_f64_f32_e32 v[65:66], v68
	v_frexp_exp_i32_f64_e32 v65, v[65:66]
	v_frexp_mant_f32_e32 v66, v68
	s_delay_alu instid0(VALU_DEP_1) | instskip(SKIP_1) | instid1(VALU_DEP_1)
	v_cmp_gt_f32_e64 s25, 0x3f2aaaab, v66
	v_add_f32_e32 v66, -1.0, v68
	v_sub_f32_e32 v70, v66, v68
	s_delay_alu instid0(VALU_DEP_3) | instskip(SKIP_1) | instid1(VALU_DEP_1)
	v_subrev_co_ci_u32_e64 v65, s25, 0, v65, s25
	s_mov_b32 s25, 0x3e9b6dac
	v_sub_nc_u32_e32 v69, 0, v65
	v_cvt_f32_i32_e32 v65, v65
	s_delay_alu instid0(VALU_DEP_2) | instskip(NEXT) | instid1(VALU_DEP_1)
	v_ldexp_f32 v68, v68, v69
	v_dual_sub_f32 v66, v67, v66 :: v_dual_add_f32 v71, 1.0, v68
	v_add_f32_e32 v70, 1.0, v70
	s_delay_alu instid0(VALU_DEP_1) | instskip(NEXT) | instid1(VALU_DEP_3)
	v_add_f32_e32 v66, v66, v70
	v_add_f32_e32 v70, -1.0, v71
	s_delay_alu instid0(VALU_DEP_2) | instskip(NEXT) | instid1(VALU_DEP_2)
	v_ldexp_f32 v66, v66, v69
	v_dual_add_f32 v69, -1.0, v68 :: v_dual_sub_f32 v70, v68, v70
	s_delay_alu instid0(VALU_DEP_1) | instskip(NEXT) | instid1(VALU_DEP_2)
	v_add_f32_e32 v80, 1.0, v69
	v_add_f32_e32 v70, v66, v70
	s_delay_alu instid0(VALU_DEP_2) | instskip(NEXT) | instid1(VALU_DEP_2)
	v_sub_f32_e32 v68, v68, v80
	v_add_f32_e32 v80, v71, v70
	s_delay_alu instid0(VALU_DEP_2) | instskip(NEXT) | instid1(VALU_DEP_2)
	v_add_f32_e32 v66, v66, v68
	v_rcp_f32_e32 v68, v80
	v_sub_f32_e32 v71, v71, v80
	s_delay_alu instid0(VALU_DEP_1) | instskip(NEXT) | instid1(VALU_DEP_1)
	v_dual_add_f32 v81, v69, v66 :: v_dual_add_f32 v70, v70, v71
	v_sub_f32_e32 v69, v69, v81
	s_waitcnt_depctr 0xfff
	v_mul_f32_e32 v82, v81, v68
	s_delay_alu instid0(VALU_DEP_1) | instskip(NEXT) | instid1(VALU_DEP_1)
	v_dual_add_f32 v66, v66, v69 :: v_dual_mul_f32 v83, v80, v82
	v_fma_f32 v71, v82, v80, -v83
	s_delay_alu instid0(VALU_DEP_1) | instskip(NEXT) | instid1(VALU_DEP_1)
	v_fmac_f32_e32 v71, v82, v70
	v_add_f32_e32 v84, v83, v71
	s_delay_alu instid0(VALU_DEP_1) | instskip(SKIP_1) | instid1(VALU_DEP_2)
	v_sub_f32_e32 v85, v81, v84
	v_sub_f32_e32 v69, v84, v83
	;; [unrolled: 1-line block ×3, first 2 shown]
	s_delay_alu instid0(VALU_DEP_2) | instskip(NEXT) | instid1(VALU_DEP_2)
	v_sub_f32_e32 v69, v69, v71
	v_sub_f32_e32 v81, v81, v84
	s_delay_alu instid0(VALU_DEP_1) | instskip(NEXT) | instid1(VALU_DEP_1)
	v_add_f32_e32 v66, v66, v81
	v_add_f32_e32 v66, v69, v66
	s_delay_alu instid0(VALU_DEP_1) | instskip(NEXT) | instid1(VALU_DEP_1)
	v_add_f32_e32 v69, v85, v66
	v_mul_f32_e32 v71, v68, v69
	s_delay_alu instid0(VALU_DEP_1) | instskip(NEXT) | instid1(VALU_DEP_1)
	v_dual_sub_f32 v84, v85, v69 :: v_dual_mul_f32 v81, v80, v71
	v_add_f32_e32 v66, v66, v84
	s_delay_alu instid0(VALU_DEP_2) | instskip(NEXT) | instid1(VALU_DEP_1)
	v_fma_f32 v80, v71, v80, -v81
	v_fmac_f32_e32 v80, v71, v70
	s_delay_alu instid0(VALU_DEP_1) | instskip(NEXT) | instid1(VALU_DEP_1)
	v_add_f32_e32 v70, v81, v80
	v_sub_f32_e32 v83, v69, v70
	v_sub_f32_e32 v81, v70, v81
	s_delay_alu instid0(VALU_DEP_2) | instskip(NEXT) | instid1(VALU_DEP_1)
	v_sub_f32_e32 v69, v69, v83
	v_sub_f32_e32 v69, v69, v70
	s_delay_alu instid0(VALU_DEP_3) | instskip(NEXT) | instid1(VALU_DEP_2)
	v_sub_f32_e32 v70, v81, v80
	v_add_f32_e32 v66, v66, v69
	v_add_f32_e32 v69, v82, v71
	s_delay_alu instid0(VALU_DEP_2) | instskip(NEXT) | instid1(VALU_DEP_2)
	v_add_f32_e32 v66, v70, v66
	v_sub_f32_e32 v70, v69, v82
	s_delay_alu instid0(VALU_DEP_2) | instskip(NEXT) | instid1(VALU_DEP_2)
	v_add_f32_e32 v66, v83, v66
	v_sub_f32_e32 v70, v71, v70
	s_delay_alu instid0(VALU_DEP_2) | instskip(NEXT) | instid1(VALU_DEP_1)
	v_mul_f32_e32 v66, v68, v66
	v_add_f32_e32 v66, v70, v66
	s_delay_alu instid0(VALU_DEP_1) | instskip(NEXT) | instid1(VALU_DEP_1)
	v_add_f32_e32 v68, v69, v66
	v_mul_f32_e32 v70, v68, v68
	s_delay_alu instid0(VALU_DEP_1) | instskip(SKIP_2) | instid1(VALU_DEP_3)
	v_fmaak_f32 v71, s25, v70, 0x3ecc95a3
	v_mul_f32_e32 v80, v68, v70
	v_cmp_eq_f32_e64 s25, 0x7f800000, v67
	v_fmaak_f32 v70, v70, v71, 0x3f2aaada
	v_ldexp_f32 v71, v68, 1
	v_sub_f32_e32 v68, v68, v69
	s_delay_alu instid0(VALU_DEP_4) | instskip(NEXT) | instid1(VALU_DEP_3)
	s_or_b32 s25, s25, s29
	v_mul_f32_e32 v70, v80, v70
	v_mul_f32_e32 v80, 0x3f317218, v65
	s_delay_alu instid0(VALU_DEP_2) | instskip(NEXT) | instid1(VALU_DEP_1)
	v_dual_sub_f32 v66, v66, v68 :: v_dual_add_f32 v69, v71, v70
	v_ldexp_f32 v66, v66, 1
	s_delay_alu instid0(VALU_DEP_2) | instskip(NEXT) | instid1(VALU_DEP_4)
	v_sub_f32_e32 v68, v69, v71
	v_fma_f32 v71, 0x3f317218, v65, -v80
	s_delay_alu instid0(VALU_DEP_1) | instskip(NEXT) | instid1(VALU_DEP_1)
	v_dual_sub_f32 v68, v70, v68 :: v_dual_fmamk_f32 v65, v65, 0xb102e308, v71
	v_add_f32_e32 v66, v66, v68
	s_delay_alu instid0(VALU_DEP_2) | instskip(NEXT) | instid1(VALU_DEP_2)
	v_add_f32_e32 v68, v80, v65
	v_add_f32_e32 v70, v69, v66
	s_delay_alu instid0(VALU_DEP_2) | instskip(NEXT) | instid1(VALU_DEP_2)
	v_sub_f32_e32 v80, v68, v80
	v_add_f32_e32 v71, v68, v70
	v_sub_f32_e32 v69, v70, v69
	s_delay_alu instid0(VALU_DEP_3) | instskip(NEXT) | instid1(VALU_DEP_2)
	v_sub_f32_e32 v65, v65, v80
	v_dual_sub_f32 v81, v71, v68 :: v_dual_sub_f32 v66, v66, v69
	s_delay_alu instid0(VALU_DEP_1) | instskip(NEXT) | instid1(VALU_DEP_2)
	v_sub_f32_e32 v82, v71, v81
	v_dual_sub_f32 v69, v70, v81 :: v_dual_add_f32 v70, v65, v66
	s_delay_alu instid0(VALU_DEP_2) | instskip(NEXT) | instid1(VALU_DEP_1)
	v_sub_f32_e32 v68, v68, v82
	v_dual_add_f32 v68, v69, v68 :: v_dual_sub_f32 v69, v70, v65
	s_delay_alu instid0(VALU_DEP_1) | instskip(NEXT) | instid1(VALU_DEP_2)
	v_add_f32_e32 v68, v70, v68
	v_sub_f32_e32 v70, v70, v69
	v_sub_f32_e32 v66, v66, v69
	s_delay_alu instid0(VALU_DEP_2) | instskip(NEXT) | instid1(VALU_DEP_1)
	v_dual_add_f32 v80, v71, v68 :: v_dual_sub_f32 v65, v65, v70
	v_sub_f32_e32 v69, v80, v71
	s_delay_alu instid0(VALU_DEP_2) | instskip(NEXT) | instid1(VALU_DEP_2)
	v_add_f32_e32 v65, v66, v65
	v_sub_f32_e32 v66, v68, v69
	s_delay_alu instid0(VALU_DEP_1) | instskip(NEXT) | instid1(VALU_DEP_1)
	v_add_f32_e32 v65, v65, v66
	v_add_f32_e32 v65, v80, v65
	s_delay_alu instid0(VALU_DEP_1) | instskip(NEXT) | instid1(VALU_DEP_1)
	v_cndmask_b32_e64 v65, v65, v67, s25
	v_add_f32_e32 v64, v64, v65
	s_delay_alu instid0(VALU_DEP_1)
	v_cvt_f16_f32_e32 v66, v64
.LBB430_296:
	s_or_b32 exec_lo, exec_lo, s28
	s_delay_alu instid0(VALU_DEP_1)
	v_dual_mov_b32 v64, v66 :: v_dual_and_b32 v65, 0xffff, v66
.LBB430_297:
	s_or_b32 exec_lo, exec_lo, s27
	s_delay_alu instid0(VALU_DEP_1)
	v_mov_b32_dpp v66, v65 row_shr:8 row_mask:0xf bank_mask:0xf
	s_mov_b32 s27, exec_lo
	v_cmpx_lt_u32_e32 7, v55
	s_cbranch_execz .LBB430_301
; %bb.298:
	s_delay_alu instid0(VALU_DEP_2) | instskip(SKIP_2) | instid1(VALU_DEP_2)
	v_cvt_f32_f16_e32 v55, v66
	v_cvt_f32_f16_e32 v65, v64
	v_cmp_u_f16_e64 s25, v66, v66
	v_min_f32_e32 v67, v55, v65
	v_max_f32_e32 v68, v55, v65
	s_delay_alu instid0(VALU_DEP_2) | instskip(NEXT) | instid1(VALU_DEP_2)
	v_cndmask_b32_e64 v67, v67, v55, s25
	v_cndmask_b32_e64 v55, v68, v55, s25
	v_cmp_u_f16_e64 s25, v64, v64
	s_delay_alu instid0(VALU_DEP_1) | instskip(NEXT) | instid1(VALU_DEP_3)
	v_cndmask_b32_e64 v64, v67, v65, s25
	v_cndmask_b32_e64 v55, v55, v65, s25
	s_delay_alu instid0(VALU_DEP_2) | instskip(NEXT) | instid1(VALU_DEP_2)
	v_cmp_class_f32_e64 s28, v64, 0x1f8
	v_cmp_neq_f32_e64 s25, v64, v55
	s_delay_alu instid0(VALU_DEP_1) | instskip(NEXT) | instid1(SALU_CYCLE_1)
	s_or_b32 s25, s25, s28
	s_and_saveexec_b32 s28, s25
	s_cbranch_execz .LBB430_300
; %bb.299:
	v_sub_f32_e32 v64, v64, v55
	s_delay_alu instid0(VALU_DEP_1) | instskip(NEXT) | instid1(VALU_DEP_1)
	v_mul_f32_e32 v65, 0x3fb8aa3b, v64
	v_fma_f32 v66, 0x3fb8aa3b, v64, -v65
	v_rndne_f32_e32 v67, v65
	s_delay_alu instid0(VALU_DEP_1) | instskip(NEXT) | instid1(VALU_DEP_1)
	v_dual_fmamk_f32 v66, v64, 0x32a5705f, v66 :: v_dual_sub_f32 v65, v65, v67
	v_add_f32_e32 v65, v65, v66
	v_cvt_i32_f32_e32 v66, v67
	v_cmp_ngt_f32_e64 s25, 0xc2ce8ed0, v64
	s_delay_alu instid0(VALU_DEP_3) | instskip(SKIP_2) | instid1(VALU_DEP_1)
	v_exp_f32_e32 v65, v65
	s_waitcnt_depctr 0xfff
	v_ldexp_f32 v65, v65, v66
	v_cndmask_b32_e64 v65, 0, v65, s25
	v_cmp_nlt_f32_e64 s25, 0x42b17218, v64
	s_delay_alu instid0(VALU_DEP_1) | instskip(NEXT) | instid1(VALU_DEP_1)
	v_cndmask_b32_e64 v66, 0x7f800000, v65, s25
	v_add_f32_e32 v67, 1.0, v66
	v_cmp_gt_f32_e64 s29, 0x33800000, |v66|
	s_delay_alu instid0(VALU_DEP_2) | instskip(NEXT) | instid1(VALU_DEP_1)
	v_cvt_f64_f32_e32 v[64:65], v67
	v_frexp_exp_i32_f64_e32 v64, v[64:65]
	v_frexp_mant_f32_e32 v65, v67
	s_delay_alu instid0(VALU_DEP_1) | instskip(SKIP_1) | instid1(VALU_DEP_1)
	v_cmp_gt_f32_e64 s25, 0x3f2aaaab, v65
	v_add_f32_e32 v65, -1.0, v67
	v_sub_f32_e32 v69, v65, v67
	s_delay_alu instid0(VALU_DEP_3) | instskip(SKIP_1) | instid1(VALU_DEP_1)
	v_subrev_co_ci_u32_e64 v64, s25, 0, v64, s25
	s_mov_b32 s25, 0x3e9b6dac
	v_sub_nc_u32_e32 v68, 0, v64
	v_cvt_f32_i32_e32 v64, v64
	s_delay_alu instid0(VALU_DEP_2) | instskip(NEXT) | instid1(VALU_DEP_1)
	v_ldexp_f32 v67, v67, v68
	v_dual_sub_f32 v65, v66, v65 :: v_dual_add_f32 v70, 1.0, v67
	v_add_f32_e32 v69, 1.0, v69
	s_delay_alu instid0(VALU_DEP_1) | instskip(NEXT) | instid1(VALU_DEP_3)
	v_add_f32_e32 v65, v65, v69
	v_add_f32_e32 v69, -1.0, v70
	s_delay_alu instid0(VALU_DEP_2) | instskip(NEXT) | instid1(VALU_DEP_2)
	v_ldexp_f32 v65, v65, v68
	v_dual_add_f32 v68, -1.0, v67 :: v_dual_sub_f32 v69, v67, v69
	s_delay_alu instid0(VALU_DEP_1) | instskip(NEXT) | instid1(VALU_DEP_2)
	v_add_f32_e32 v71, 1.0, v68
	v_add_f32_e32 v69, v65, v69
	s_delay_alu instid0(VALU_DEP_2) | instskip(NEXT) | instid1(VALU_DEP_2)
	v_sub_f32_e32 v67, v67, v71
	v_add_f32_e32 v71, v70, v69
	s_delay_alu instid0(VALU_DEP_2) | instskip(NEXT) | instid1(VALU_DEP_2)
	v_add_f32_e32 v65, v65, v67
	v_rcp_f32_e32 v67, v71
	v_sub_f32_e32 v70, v70, v71
	s_delay_alu instid0(VALU_DEP_1) | instskip(NEXT) | instid1(VALU_DEP_1)
	v_dual_add_f32 v80, v68, v65 :: v_dual_add_f32 v69, v69, v70
	v_sub_f32_e32 v68, v68, v80
	s_waitcnt_depctr 0xfff
	v_mul_f32_e32 v81, v80, v67
	s_delay_alu instid0(VALU_DEP_1) | instskip(NEXT) | instid1(VALU_DEP_1)
	v_dual_add_f32 v65, v65, v68 :: v_dual_mul_f32 v82, v71, v81
	v_fma_f32 v70, v81, v71, -v82
	s_delay_alu instid0(VALU_DEP_1) | instskip(NEXT) | instid1(VALU_DEP_1)
	v_fmac_f32_e32 v70, v81, v69
	v_add_f32_e32 v83, v82, v70
	s_delay_alu instid0(VALU_DEP_1) | instskip(SKIP_1) | instid1(VALU_DEP_2)
	v_sub_f32_e32 v84, v80, v83
	v_sub_f32_e32 v68, v83, v82
	;; [unrolled: 1-line block ×3, first 2 shown]
	s_delay_alu instid0(VALU_DEP_2) | instskip(NEXT) | instid1(VALU_DEP_2)
	v_sub_f32_e32 v68, v68, v70
	v_sub_f32_e32 v80, v80, v83
	s_delay_alu instid0(VALU_DEP_1) | instskip(NEXT) | instid1(VALU_DEP_1)
	v_add_f32_e32 v65, v65, v80
	v_add_f32_e32 v65, v68, v65
	s_delay_alu instid0(VALU_DEP_1) | instskip(NEXT) | instid1(VALU_DEP_1)
	v_add_f32_e32 v68, v84, v65
	v_mul_f32_e32 v70, v67, v68
	s_delay_alu instid0(VALU_DEP_1) | instskip(NEXT) | instid1(VALU_DEP_1)
	v_dual_sub_f32 v83, v84, v68 :: v_dual_mul_f32 v80, v71, v70
	v_add_f32_e32 v65, v65, v83
	s_delay_alu instid0(VALU_DEP_2) | instskip(NEXT) | instid1(VALU_DEP_1)
	v_fma_f32 v71, v70, v71, -v80
	v_fmac_f32_e32 v71, v70, v69
	s_delay_alu instid0(VALU_DEP_1) | instskip(NEXT) | instid1(VALU_DEP_1)
	v_add_f32_e32 v69, v80, v71
	v_sub_f32_e32 v82, v68, v69
	v_sub_f32_e32 v80, v69, v80
	s_delay_alu instid0(VALU_DEP_2) | instskip(NEXT) | instid1(VALU_DEP_1)
	v_sub_f32_e32 v68, v68, v82
	v_sub_f32_e32 v68, v68, v69
	s_delay_alu instid0(VALU_DEP_3) | instskip(NEXT) | instid1(VALU_DEP_2)
	v_sub_f32_e32 v69, v80, v71
	v_add_f32_e32 v65, v65, v68
	v_add_f32_e32 v68, v81, v70
	s_delay_alu instid0(VALU_DEP_2) | instskip(NEXT) | instid1(VALU_DEP_2)
	v_add_f32_e32 v65, v69, v65
	v_sub_f32_e32 v69, v68, v81
	s_delay_alu instid0(VALU_DEP_2) | instskip(NEXT) | instid1(VALU_DEP_2)
	v_add_f32_e32 v65, v82, v65
	v_sub_f32_e32 v69, v70, v69
	s_delay_alu instid0(VALU_DEP_2) | instskip(NEXT) | instid1(VALU_DEP_1)
	v_mul_f32_e32 v65, v67, v65
	v_add_f32_e32 v65, v69, v65
	s_delay_alu instid0(VALU_DEP_1) | instskip(NEXT) | instid1(VALU_DEP_1)
	v_add_f32_e32 v67, v68, v65
	v_mul_f32_e32 v69, v67, v67
	s_delay_alu instid0(VALU_DEP_1) | instskip(SKIP_2) | instid1(VALU_DEP_3)
	v_fmaak_f32 v70, s25, v69, 0x3ecc95a3
	v_mul_f32_e32 v71, v67, v69
	v_cmp_eq_f32_e64 s25, 0x7f800000, v66
	v_fmaak_f32 v69, v69, v70, 0x3f2aaada
	v_ldexp_f32 v70, v67, 1
	v_sub_f32_e32 v67, v67, v68
	s_delay_alu instid0(VALU_DEP_4) | instskip(NEXT) | instid1(VALU_DEP_3)
	s_or_b32 s25, s25, s29
	v_mul_f32_e32 v69, v71, v69
	v_mul_f32_e32 v71, 0x3f317218, v64
	s_delay_alu instid0(VALU_DEP_2) | instskip(NEXT) | instid1(VALU_DEP_1)
	v_dual_sub_f32 v65, v65, v67 :: v_dual_add_f32 v68, v70, v69
	v_ldexp_f32 v65, v65, 1
	s_delay_alu instid0(VALU_DEP_2) | instskip(NEXT) | instid1(VALU_DEP_4)
	v_sub_f32_e32 v67, v68, v70
	v_fma_f32 v70, 0x3f317218, v64, -v71
	s_delay_alu instid0(VALU_DEP_1) | instskip(NEXT) | instid1(VALU_DEP_1)
	v_dual_sub_f32 v67, v69, v67 :: v_dual_fmamk_f32 v64, v64, 0xb102e308, v70
	v_add_f32_e32 v65, v65, v67
	s_delay_alu instid0(VALU_DEP_2) | instskip(NEXT) | instid1(VALU_DEP_2)
	v_add_f32_e32 v67, v71, v64
	v_add_f32_e32 v69, v68, v65
	s_delay_alu instid0(VALU_DEP_2) | instskip(NEXT) | instid1(VALU_DEP_2)
	v_sub_f32_e32 v71, v67, v71
	v_add_f32_e32 v70, v67, v69
	v_sub_f32_e32 v68, v69, v68
	s_delay_alu instid0(VALU_DEP_3) | instskip(NEXT) | instid1(VALU_DEP_2)
	v_sub_f32_e32 v64, v64, v71
	v_dual_sub_f32 v80, v70, v67 :: v_dual_sub_f32 v65, v65, v68
	s_delay_alu instid0(VALU_DEP_1) | instskip(NEXT) | instid1(VALU_DEP_2)
	v_sub_f32_e32 v81, v70, v80
	v_dual_sub_f32 v68, v69, v80 :: v_dual_add_f32 v69, v64, v65
	s_delay_alu instid0(VALU_DEP_2) | instskip(NEXT) | instid1(VALU_DEP_1)
	v_sub_f32_e32 v67, v67, v81
	v_dual_add_f32 v67, v68, v67 :: v_dual_sub_f32 v68, v69, v64
	s_delay_alu instid0(VALU_DEP_1) | instskip(NEXT) | instid1(VALU_DEP_2)
	v_add_f32_e32 v67, v69, v67
	v_sub_f32_e32 v69, v69, v68
	v_sub_f32_e32 v65, v65, v68
	s_delay_alu instid0(VALU_DEP_2) | instskip(NEXT) | instid1(VALU_DEP_1)
	v_dual_add_f32 v71, v70, v67 :: v_dual_sub_f32 v64, v64, v69
	v_sub_f32_e32 v68, v71, v70
	s_delay_alu instid0(VALU_DEP_2) | instskip(NEXT) | instid1(VALU_DEP_2)
	v_add_f32_e32 v64, v65, v64
	v_sub_f32_e32 v65, v67, v68
	s_delay_alu instid0(VALU_DEP_1) | instskip(NEXT) | instid1(VALU_DEP_1)
	v_add_f32_e32 v64, v64, v65
	v_add_f32_e32 v64, v71, v64
	s_delay_alu instid0(VALU_DEP_1) | instskip(NEXT) | instid1(VALU_DEP_1)
	v_cndmask_b32_e64 v64, v64, v66, s25
	v_add_f32_e32 v55, v55, v64
	s_delay_alu instid0(VALU_DEP_1)
	v_cvt_f16_f32_e32 v66, v55
.LBB430_300:
	s_or_b32 exec_lo, exec_lo, s28
	s_delay_alu instid0(VALU_DEP_1)
	v_dual_mov_b32 v64, v66 :: v_dual_and_b32 v65, 0xffff, v66
.LBB430_301:
	s_or_b32 exec_lo, exec_lo, s27
	ds_swizzle_b32 v65, v65 offset:swizzle(BROADCAST,32,15)
	v_and_b32_e32 v55, 16, v54
	s_mov_b32 s27, exec_lo
	s_delay_alu instid0(VALU_DEP_1)
	v_cmpx_ne_u32_e32 0, v55
	s_cbranch_execz .LBB430_305
; %bb.302:
	s_waitcnt lgkmcnt(0)
	v_cvt_f32_f16_e32 v55, v65
	v_cvt_f32_f16_e32 v66, v64
	v_cmp_u_f16_e64 s25, v65, v65
	s_delay_alu instid0(VALU_DEP_2) | instskip(SKIP_1) | instid1(VALU_DEP_2)
	v_min_f32_e32 v67, v55, v66
	v_max_f32_e32 v68, v55, v66
	v_cndmask_b32_e64 v67, v67, v55, s25
	s_delay_alu instid0(VALU_DEP_2) | instskip(SKIP_1) | instid1(VALU_DEP_1)
	v_cndmask_b32_e64 v55, v68, v55, s25
	v_cmp_u_f16_e64 s25, v64, v64
	v_cndmask_b32_e64 v64, v67, v66, s25
	s_delay_alu instid0(VALU_DEP_3) | instskip(NEXT) | instid1(VALU_DEP_2)
	v_cndmask_b32_e64 v55, v55, v66, s25
	v_cmp_class_f32_e64 s28, v64, 0x1f8
	s_delay_alu instid0(VALU_DEP_2) | instskip(NEXT) | instid1(VALU_DEP_1)
	v_cmp_neq_f32_e64 s25, v64, v55
	s_or_b32 s25, s25, s28
	s_delay_alu instid0(SALU_CYCLE_1)
	s_and_saveexec_b32 s28, s25
	s_cbranch_execz .LBB430_304
; %bb.303:
	v_sub_f32_e32 v64, v64, v55
	s_delay_alu instid0(VALU_DEP_1) | instskip(NEXT) | instid1(VALU_DEP_1)
	v_mul_f32_e32 v65, 0x3fb8aa3b, v64
	v_fma_f32 v66, 0x3fb8aa3b, v64, -v65
	v_rndne_f32_e32 v67, v65
	s_delay_alu instid0(VALU_DEP_1) | instskip(NEXT) | instid1(VALU_DEP_1)
	v_dual_fmamk_f32 v66, v64, 0x32a5705f, v66 :: v_dual_sub_f32 v65, v65, v67
	v_add_f32_e32 v65, v65, v66
	v_cvt_i32_f32_e32 v66, v67
	v_cmp_ngt_f32_e64 s25, 0xc2ce8ed0, v64
	s_delay_alu instid0(VALU_DEP_3) | instskip(SKIP_2) | instid1(VALU_DEP_1)
	v_exp_f32_e32 v65, v65
	s_waitcnt_depctr 0xfff
	v_ldexp_f32 v65, v65, v66
	v_cndmask_b32_e64 v65, 0, v65, s25
	v_cmp_nlt_f32_e64 s25, 0x42b17218, v64
	s_delay_alu instid0(VALU_DEP_1) | instskip(NEXT) | instid1(VALU_DEP_1)
	v_cndmask_b32_e64 v66, 0x7f800000, v65, s25
	v_add_f32_e32 v67, 1.0, v66
	v_cmp_gt_f32_e64 s29, 0x33800000, |v66|
	s_delay_alu instid0(VALU_DEP_2) | instskip(NEXT) | instid1(VALU_DEP_1)
	v_cvt_f64_f32_e32 v[64:65], v67
	v_frexp_exp_i32_f64_e32 v64, v[64:65]
	v_frexp_mant_f32_e32 v65, v67
	s_delay_alu instid0(VALU_DEP_1) | instskip(SKIP_1) | instid1(VALU_DEP_1)
	v_cmp_gt_f32_e64 s25, 0x3f2aaaab, v65
	v_add_f32_e32 v65, -1.0, v67
	v_sub_f32_e32 v69, v65, v67
	s_delay_alu instid0(VALU_DEP_3) | instskip(SKIP_1) | instid1(VALU_DEP_1)
	v_subrev_co_ci_u32_e64 v64, s25, 0, v64, s25
	s_mov_b32 s25, 0x3e9b6dac
	v_sub_nc_u32_e32 v68, 0, v64
	v_cvt_f32_i32_e32 v64, v64
	s_delay_alu instid0(VALU_DEP_2) | instskip(NEXT) | instid1(VALU_DEP_1)
	v_ldexp_f32 v67, v67, v68
	v_dual_sub_f32 v65, v66, v65 :: v_dual_add_f32 v70, 1.0, v67
	v_add_f32_e32 v69, 1.0, v69
	s_delay_alu instid0(VALU_DEP_1) | instskip(NEXT) | instid1(VALU_DEP_3)
	v_add_f32_e32 v65, v65, v69
	v_add_f32_e32 v69, -1.0, v70
	s_delay_alu instid0(VALU_DEP_2) | instskip(NEXT) | instid1(VALU_DEP_2)
	v_ldexp_f32 v65, v65, v68
	v_dual_add_f32 v68, -1.0, v67 :: v_dual_sub_f32 v69, v67, v69
	s_delay_alu instid0(VALU_DEP_1) | instskip(NEXT) | instid1(VALU_DEP_2)
	v_add_f32_e32 v71, 1.0, v68
	v_add_f32_e32 v69, v65, v69
	s_delay_alu instid0(VALU_DEP_2) | instskip(NEXT) | instid1(VALU_DEP_2)
	v_sub_f32_e32 v67, v67, v71
	v_add_f32_e32 v71, v70, v69
	s_delay_alu instid0(VALU_DEP_2) | instskip(NEXT) | instid1(VALU_DEP_2)
	v_add_f32_e32 v65, v65, v67
	v_rcp_f32_e32 v67, v71
	v_sub_f32_e32 v70, v70, v71
	s_delay_alu instid0(VALU_DEP_1) | instskip(NEXT) | instid1(VALU_DEP_1)
	v_dual_add_f32 v80, v68, v65 :: v_dual_add_f32 v69, v69, v70
	v_sub_f32_e32 v68, v68, v80
	s_waitcnt_depctr 0xfff
	v_mul_f32_e32 v81, v80, v67
	s_delay_alu instid0(VALU_DEP_1) | instskip(NEXT) | instid1(VALU_DEP_1)
	v_dual_add_f32 v65, v65, v68 :: v_dual_mul_f32 v82, v71, v81
	v_fma_f32 v70, v81, v71, -v82
	s_delay_alu instid0(VALU_DEP_1) | instskip(NEXT) | instid1(VALU_DEP_1)
	v_fmac_f32_e32 v70, v81, v69
	v_add_f32_e32 v83, v82, v70
	s_delay_alu instid0(VALU_DEP_1) | instskip(SKIP_1) | instid1(VALU_DEP_2)
	v_sub_f32_e32 v84, v80, v83
	v_sub_f32_e32 v68, v83, v82
	;; [unrolled: 1-line block ×3, first 2 shown]
	s_delay_alu instid0(VALU_DEP_2) | instskip(NEXT) | instid1(VALU_DEP_2)
	v_sub_f32_e32 v68, v68, v70
	v_sub_f32_e32 v80, v80, v83
	s_delay_alu instid0(VALU_DEP_1) | instskip(NEXT) | instid1(VALU_DEP_1)
	v_add_f32_e32 v65, v65, v80
	v_add_f32_e32 v65, v68, v65
	s_delay_alu instid0(VALU_DEP_1) | instskip(NEXT) | instid1(VALU_DEP_1)
	v_add_f32_e32 v68, v84, v65
	v_mul_f32_e32 v70, v67, v68
	s_delay_alu instid0(VALU_DEP_1) | instskip(NEXT) | instid1(VALU_DEP_1)
	v_dual_sub_f32 v83, v84, v68 :: v_dual_mul_f32 v80, v71, v70
	v_add_f32_e32 v65, v65, v83
	s_delay_alu instid0(VALU_DEP_2) | instskip(NEXT) | instid1(VALU_DEP_1)
	v_fma_f32 v71, v70, v71, -v80
	v_fmac_f32_e32 v71, v70, v69
	s_delay_alu instid0(VALU_DEP_1) | instskip(NEXT) | instid1(VALU_DEP_1)
	v_add_f32_e32 v69, v80, v71
	v_sub_f32_e32 v82, v68, v69
	v_sub_f32_e32 v80, v69, v80
	s_delay_alu instid0(VALU_DEP_2) | instskip(NEXT) | instid1(VALU_DEP_1)
	v_sub_f32_e32 v68, v68, v82
	v_sub_f32_e32 v68, v68, v69
	s_delay_alu instid0(VALU_DEP_3) | instskip(NEXT) | instid1(VALU_DEP_2)
	v_sub_f32_e32 v69, v80, v71
	v_add_f32_e32 v65, v65, v68
	v_add_f32_e32 v68, v81, v70
	s_delay_alu instid0(VALU_DEP_2) | instskip(NEXT) | instid1(VALU_DEP_2)
	v_add_f32_e32 v65, v69, v65
	v_sub_f32_e32 v69, v68, v81
	s_delay_alu instid0(VALU_DEP_2) | instskip(NEXT) | instid1(VALU_DEP_2)
	v_add_f32_e32 v65, v82, v65
	v_sub_f32_e32 v69, v70, v69
	s_delay_alu instid0(VALU_DEP_2) | instskip(NEXT) | instid1(VALU_DEP_1)
	v_mul_f32_e32 v65, v67, v65
	v_add_f32_e32 v65, v69, v65
	s_delay_alu instid0(VALU_DEP_1) | instskip(NEXT) | instid1(VALU_DEP_1)
	v_add_f32_e32 v67, v68, v65
	v_mul_f32_e32 v69, v67, v67
	s_delay_alu instid0(VALU_DEP_1) | instskip(SKIP_2) | instid1(VALU_DEP_3)
	v_fmaak_f32 v70, s25, v69, 0x3ecc95a3
	v_mul_f32_e32 v71, v67, v69
	v_cmp_eq_f32_e64 s25, 0x7f800000, v66
	v_fmaak_f32 v69, v69, v70, 0x3f2aaada
	v_ldexp_f32 v70, v67, 1
	v_sub_f32_e32 v67, v67, v68
	s_delay_alu instid0(VALU_DEP_4) | instskip(NEXT) | instid1(VALU_DEP_3)
	s_or_b32 s25, s25, s29
	v_mul_f32_e32 v69, v71, v69
	v_mul_f32_e32 v71, 0x3f317218, v64
	s_delay_alu instid0(VALU_DEP_2) | instskip(NEXT) | instid1(VALU_DEP_1)
	v_dual_sub_f32 v65, v65, v67 :: v_dual_add_f32 v68, v70, v69
	v_ldexp_f32 v65, v65, 1
	s_delay_alu instid0(VALU_DEP_2) | instskip(NEXT) | instid1(VALU_DEP_4)
	v_sub_f32_e32 v67, v68, v70
	v_fma_f32 v70, 0x3f317218, v64, -v71
	s_delay_alu instid0(VALU_DEP_1) | instskip(NEXT) | instid1(VALU_DEP_1)
	v_dual_sub_f32 v67, v69, v67 :: v_dual_fmamk_f32 v64, v64, 0xb102e308, v70
	v_add_f32_e32 v65, v65, v67
	s_delay_alu instid0(VALU_DEP_2) | instskip(NEXT) | instid1(VALU_DEP_2)
	v_add_f32_e32 v67, v71, v64
	v_add_f32_e32 v69, v68, v65
	s_delay_alu instid0(VALU_DEP_2) | instskip(NEXT) | instid1(VALU_DEP_2)
	v_sub_f32_e32 v71, v67, v71
	v_add_f32_e32 v70, v67, v69
	v_sub_f32_e32 v68, v69, v68
	s_delay_alu instid0(VALU_DEP_3) | instskip(NEXT) | instid1(VALU_DEP_2)
	v_sub_f32_e32 v64, v64, v71
	v_dual_sub_f32 v80, v70, v67 :: v_dual_sub_f32 v65, v65, v68
	s_delay_alu instid0(VALU_DEP_1) | instskip(NEXT) | instid1(VALU_DEP_2)
	v_sub_f32_e32 v81, v70, v80
	v_dual_sub_f32 v68, v69, v80 :: v_dual_add_f32 v69, v64, v65
	s_delay_alu instid0(VALU_DEP_2) | instskip(NEXT) | instid1(VALU_DEP_1)
	v_sub_f32_e32 v67, v67, v81
	v_dual_add_f32 v67, v68, v67 :: v_dual_sub_f32 v68, v69, v64
	s_delay_alu instid0(VALU_DEP_1) | instskip(NEXT) | instid1(VALU_DEP_2)
	v_add_f32_e32 v67, v69, v67
	v_sub_f32_e32 v69, v69, v68
	v_sub_f32_e32 v65, v65, v68
	s_delay_alu instid0(VALU_DEP_2) | instskip(NEXT) | instid1(VALU_DEP_1)
	v_dual_add_f32 v71, v70, v67 :: v_dual_sub_f32 v64, v64, v69
	v_sub_f32_e32 v68, v71, v70
	s_delay_alu instid0(VALU_DEP_2) | instskip(NEXT) | instid1(VALU_DEP_2)
	v_add_f32_e32 v64, v65, v64
	v_sub_f32_e32 v65, v67, v68
	s_delay_alu instid0(VALU_DEP_1) | instskip(NEXT) | instid1(VALU_DEP_1)
	v_add_f32_e32 v64, v64, v65
	v_add_f32_e32 v64, v71, v64
	s_delay_alu instid0(VALU_DEP_1) | instskip(NEXT) | instid1(VALU_DEP_1)
	v_cndmask_b32_e64 v64, v64, v66, s25
	v_add_f32_e32 v55, v55, v64
	s_delay_alu instid0(VALU_DEP_1)
	v_cvt_f16_f32_e32 v65, v55
.LBB430_304:
	s_or_b32 exec_lo, exec_lo, s28
	s_delay_alu instid0(VALU_DEP_1)
	v_mov_b32_e32 v64, v65
.LBB430_305:
	s_or_b32 exec_lo, exec_lo, s27
	v_add_nc_u32_e32 v55, -1, v54
	s_delay_alu instid0(VALU_DEP_1) | instskip(NEXT) | instid1(VALU_DEP_1)
	v_cmp_gt_i32_e64 s25, 0, v55
	v_cndmask_b32_e64 v54, v55, v54, s25
	v_and_b32_e32 v55, 0xffff, v64
	s_delay_alu instid0(VALU_DEP_2)
	v_lshlrev_b32_e32 v54, 2, v54
	ds_bpermute_b32 v54, v54, v55
	v_max_f32_e32 v55, v37, v37
	s_waitcnt lgkmcnt(0)
	v_cvt_f32_f16_e32 v64, v54
	v_cmp_u_f16_e64 s25, v54, v54
	s_delay_alu instid0(VALU_DEP_2) | instskip(SKIP_1) | instid1(VALU_DEP_2)
	v_min_f32_e32 v65, v64, v55
	v_max_f32_e32 v55, v64, v55
	v_cndmask_b32_e64 v65, v65, v64, s25
	s_delay_alu instid0(VALU_DEP_2) | instskip(NEXT) | instid1(VALU_DEP_2)
	v_cndmask_b32_e64 v64, v55, v64, s25
	v_cndmask_b32_e64 v55, v65, v37, s24
	s_delay_alu instid0(VALU_DEP_2) | instskip(NEXT) | instid1(VALU_DEP_2)
	v_cndmask_b32_e64 v37, v64, v37, s24
	v_cmp_class_f32_e64 s25, v55, 0x1f8
	s_delay_alu instid0(VALU_DEP_2) | instskip(NEXT) | instid1(VALU_DEP_1)
	v_cmp_neq_f32_e64 s24, v55, v37
	s_or_b32 s24, s24, s25
	s_delay_alu instid0(SALU_CYCLE_1)
	s_and_saveexec_b32 s25, s24
	s_cbranch_execz .LBB430_307
; %bb.306:
	v_sub_f32_e32 v54, v55, v37
	s_delay_alu instid0(VALU_DEP_1) | instskip(SKIP_1) | instid1(VALU_DEP_2)
	v_mul_f32_e32 v55, 0x3fb8aa3b, v54
	v_cmp_ngt_f32_e64 s24, 0xc2ce8ed0, v54
	v_fma_f32 v64, 0x3fb8aa3b, v54, -v55
	v_rndne_f32_e32 v65, v55
	s_delay_alu instid0(VALU_DEP_1) | instskip(NEXT) | instid1(VALU_DEP_1)
	v_dual_fmamk_f32 v64, v54, 0x32a5705f, v64 :: v_dual_sub_f32 v55, v55, v65
	v_add_f32_e32 v55, v55, v64
	v_cvt_i32_f32_e32 v64, v65
	s_delay_alu instid0(VALU_DEP_2) | instskip(SKIP_2) | instid1(VALU_DEP_1)
	v_exp_f32_e32 v55, v55
	s_waitcnt_depctr 0xfff
	v_ldexp_f32 v55, v55, v64
	v_cndmask_b32_e64 v55, 0, v55, s24
	v_cmp_nlt_f32_e64 s24, 0x42b17218, v54
	s_delay_alu instid0(VALU_DEP_1) | instskip(NEXT) | instid1(VALU_DEP_1)
	v_cndmask_b32_e64 v64, 0x7f800000, v55, s24
	v_add_f32_e32 v65, 1.0, v64
	v_cmp_gt_f32_e64 s27, 0x33800000, |v64|
	s_delay_alu instid0(VALU_DEP_2) | instskip(NEXT) | instid1(VALU_DEP_1)
	v_cvt_f64_f32_e32 v[54:55], v65
	v_frexp_exp_i32_f64_e32 v54, v[54:55]
	v_frexp_mant_f32_e32 v55, v65
	s_delay_alu instid0(VALU_DEP_1) | instskip(SKIP_1) | instid1(VALU_DEP_1)
	v_cmp_gt_f32_e64 s24, 0x3f2aaaab, v55
	v_add_f32_e32 v55, -1.0, v65
	v_sub_f32_e32 v67, v55, v65
	v_sub_f32_e32 v55, v64, v55
	s_delay_alu instid0(VALU_DEP_4) | instskip(SKIP_1) | instid1(VALU_DEP_1)
	v_subrev_co_ci_u32_e64 v54, s24, 0, v54, s24
	s_mov_b32 s24, 0x3e9b6dac
	v_sub_nc_u32_e32 v66, 0, v54
	v_cvt_f32_i32_e32 v54, v54
	s_delay_alu instid0(VALU_DEP_2) | instskip(NEXT) | instid1(VALU_DEP_1)
	v_ldexp_f32 v65, v65, v66
	v_dual_add_f32 v68, 1.0, v65 :: v_dual_add_f32 v67, 1.0, v67
	s_delay_alu instid0(VALU_DEP_1) | instskip(NEXT) | instid1(VALU_DEP_2)
	v_add_f32_e32 v55, v55, v67
	v_add_f32_e32 v67, -1.0, v68
	s_delay_alu instid0(VALU_DEP_2) | instskip(NEXT) | instid1(VALU_DEP_2)
	v_ldexp_f32 v55, v55, v66
	v_dual_add_f32 v66, -1.0, v65 :: v_dual_sub_f32 v67, v65, v67
	s_delay_alu instid0(VALU_DEP_1) | instskip(NEXT) | instid1(VALU_DEP_2)
	v_add_f32_e32 v69, 1.0, v66
	v_add_f32_e32 v67, v55, v67
	s_delay_alu instid0(VALU_DEP_2) | instskip(NEXT) | instid1(VALU_DEP_2)
	v_sub_f32_e32 v65, v65, v69
	v_add_f32_e32 v69, v68, v67
	s_delay_alu instid0(VALU_DEP_2) | instskip(NEXT) | instid1(VALU_DEP_2)
	v_add_f32_e32 v55, v55, v65
	v_rcp_f32_e32 v65, v69
	v_sub_f32_e32 v68, v68, v69
	s_delay_alu instid0(VALU_DEP_1) | instskip(NEXT) | instid1(VALU_DEP_1)
	v_dual_add_f32 v70, v66, v55 :: v_dual_add_f32 v67, v67, v68
	v_sub_f32_e32 v66, v66, v70
	s_waitcnt_depctr 0xfff
	v_mul_f32_e32 v71, v70, v65
	s_delay_alu instid0(VALU_DEP_1) | instskip(NEXT) | instid1(VALU_DEP_1)
	v_dual_add_f32 v55, v55, v66 :: v_dual_mul_f32 v80, v69, v71
	v_fma_f32 v68, v71, v69, -v80
	s_delay_alu instid0(VALU_DEP_1) | instskip(NEXT) | instid1(VALU_DEP_1)
	v_fmac_f32_e32 v68, v71, v67
	v_add_f32_e32 v81, v80, v68
	s_delay_alu instid0(VALU_DEP_1) | instskip(SKIP_1) | instid1(VALU_DEP_2)
	v_sub_f32_e32 v82, v70, v81
	v_sub_f32_e32 v66, v81, v80
	;; [unrolled: 1-line block ×3, first 2 shown]
	s_delay_alu instid0(VALU_DEP_2) | instskip(NEXT) | instid1(VALU_DEP_2)
	v_sub_f32_e32 v66, v66, v68
	v_sub_f32_e32 v70, v70, v81
	s_delay_alu instid0(VALU_DEP_1) | instskip(NEXT) | instid1(VALU_DEP_1)
	v_add_f32_e32 v55, v55, v70
	v_add_f32_e32 v55, v66, v55
	s_delay_alu instid0(VALU_DEP_1) | instskip(NEXT) | instid1(VALU_DEP_1)
	v_add_f32_e32 v66, v82, v55
	v_mul_f32_e32 v68, v65, v66
	s_delay_alu instid0(VALU_DEP_1) | instskip(NEXT) | instid1(VALU_DEP_1)
	v_dual_sub_f32 v81, v82, v66 :: v_dual_mul_f32 v70, v69, v68
	v_add_f32_e32 v55, v55, v81
	s_delay_alu instid0(VALU_DEP_2) | instskip(NEXT) | instid1(VALU_DEP_1)
	v_fma_f32 v69, v68, v69, -v70
	v_fmac_f32_e32 v69, v68, v67
	s_delay_alu instid0(VALU_DEP_1) | instskip(NEXT) | instid1(VALU_DEP_1)
	v_add_f32_e32 v67, v70, v69
	v_sub_f32_e32 v80, v66, v67
	v_sub_f32_e32 v70, v67, v70
	s_delay_alu instid0(VALU_DEP_2) | instskip(NEXT) | instid1(VALU_DEP_1)
	v_sub_f32_e32 v66, v66, v80
	v_sub_f32_e32 v66, v66, v67
	s_delay_alu instid0(VALU_DEP_3) | instskip(NEXT) | instid1(VALU_DEP_2)
	v_sub_f32_e32 v67, v70, v69
	v_add_f32_e32 v55, v55, v66
	v_add_f32_e32 v66, v71, v68
	s_delay_alu instid0(VALU_DEP_2) | instskip(NEXT) | instid1(VALU_DEP_2)
	v_add_f32_e32 v55, v67, v55
	v_sub_f32_e32 v67, v66, v71
	s_delay_alu instid0(VALU_DEP_2) | instskip(NEXT) | instid1(VALU_DEP_2)
	v_add_f32_e32 v55, v80, v55
	v_sub_f32_e32 v67, v68, v67
	s_delay_alu instid0(VALU_DEP_2) | instskip(NEXT) | instid1(VALU_DEP_1)
	v_mul_f32_e32 v55, v65, v55
	v_add_f32_e32 v55, v67, v55
	s_delay_alu instid0(VALU_DEP_1) | instskip(NEXT) | instid1(VALU_DEP_1)
	v_add_f32_e32 v65, v66, v55
	v_mul_f32_e32 v67, v65, v65
	s_delay_alu instid0(VALU_DEP_1) | instskip(SKIP_2) | instid1(VALU_DEP_3)
	v_fmaak_f32 v68, s24, v67, 0x3ecc95a3
	v_mul_f32_e32 v69, v65, v67
	v_cmp_eq_f32_e64 s24, 0x7f800000, v64
	v_fmaak_f32 v67, v67, v68, 0x3f2aaada
	v_ldexp_f32 v68, v65, 1
	v_sub_f32_e32 v65, v65, v66
	s_delay_alu instid0(VALU_DEP_4) | instskip(NEXT) | instid1(VALU_DEP_3)
	s_or_b32 s24, s24, s27
	v_mul_f32_e32 v67, v69, v67
	v_mul_f32_e32 v69, 0x3f317218, v54
	s_delay_alu instid0(VALU_DEP_2) | instskip(NEXT) | instid1(VALU_DEP_1)
	v_dual_sub_f32 v55, v55, v65 :: v_dual_add_f32 v66, v68, v67
	v_ldexp_f32 v55, v55, 1
	s_delay_alu instid0(VALU_DEP_2) | instskip(NEXT) | instid1(VALU_DEP_4)
	v_sub_f32_e32 v65, v66, v68
	v_fma_f32 v68, 0x3f317218, v54, -v69
	s_delay_alu instid0(VALU_DEP_1) | instskip(NEXT) | instid1(VALU_DEP_1)
	v_dual_sub_f32 v65, v67, v65 :: v_dual_fmamk_f32 v54, v54, 0xb102e308, v68
	v_add_f32_e32 v55, v55, v65
	s_delay_alu instid0(VALU_DEP_2) | instskip(NEXT) | instid1(VALU_DEP_2)
	v_add_f32_e32 v65, v69, v54
	v_add_f32_e32 v67, v66, v55
	s_delay_alu instid0(VALU_DEP_2) | instskip(NEXT) | instid1(VALU_DEP_2)
	v_sub_f32_e32 v69, v65, v69
	v_add_f32_e32 v68, v65, v67
	v_sub_f32_e32 v66, v67, v66
	s_delay_alu instid0(VALU_DEP_3) | instskip(NEXT) | instid1(VALU_DEP_2)
	v_sub_f32_e32 v54, v54, v69
	v_dual_sub_f32 v70, v68, v65 :: v_dual_sub_f32 v55, v55, v66
	s_delay_alu instid0(VALU_DEP_1) | instskip(NEXT) | instid1(VALU_DEP_2)
	v_sub_f32_e32 v71, v68, v70
	v_dual_sub_f32 v66, v67, v70 :: v_dual_add_f32 v67, v54, v55
	s_delay_alu instid0(VALU_DEP_2) | instskip(NEXT) | instid1(VALU_DEP_1)
	v_sub_f32_e32 v65, v65, v71
	v_dual_add_f32 v65, v66, v65 :: v_dual_sub_f32 v66, v67, v54
	s_delay_alu instid0(VALU_DEP_1) | instskip(NEXT) | instid1(VALU_DEP_2)
	v_add_f32_e32 v65, v67, v65
	v_sub_f32_e32 v67, v67, v66
	v_sub_f32_e32 v55, v55, v66
	s_delay_alu instid0(VALU_DEP_2) | instskip(NEXT) | instid1(VALU_DEP_1)
	v_dual_add_f32 v69, v68, v65 :: v_dual_sub_f32 v54, v54, v67
	v_sub_f32_e32 v66, v69, v68
	s_delay_alu instid0(VALU_DEP_2) | instskip(NEXT) | instid1(VALU_DEP_2)
	v_add_f32_e32 v54, v55, v54
	v_sub_f32_e32 v55, v65, v66
	s_delay_alu instid0(VALU_DEP_1) | instskip(NEXT) | instid1(VALU_DEP_1)
	v_add_f32_e32 v54, v54, v55
	v_add_f32_e32 v54, v69, v54
	s_delay_alu instid0(VALU_DEP_1) | instskip(NEXT) | instid1(VALU_DEP_1)
	v_cndmask_b32_e64 v54, v54, v64, s24
	v_add_f32_e32 v37, v37, v54
	s_delay_alu instid0(VALU_DEP_1)
	v_cvt_f16_f32_e32 v54, v37
.LBB430_307:
	s_or_b32 exec_lo, exec_lo, s25
	s_delay_alu instid0(VALU_DEP_1)
	v_cndmask_b32_e64 v54, v54, v30, s2
	; wave barrier
	ds_store_b16 v31, v54
	; wave barrier
	ds_load_u16 v37, v31 offset:2
	v_cvt_f32_f16_e32 v55, v54
	v_cmp_u_f16_e64 s2, v54, v54
	s_waitcnt lgkmcnt(0)
	v_cvt_f32_f16_e32 v64, v37
	s_delay_alu instid0(VALU_DEP_1) | instskip(SKIP_1) | instid1(VALU_DEP_2)
	v_min_f32_e32 v65, v55, v64
	v_max_f32_e32 v66, v55, v64
	v_cndmask_b32_e64 v65, v65, v55, s2
	s_delay_alu instid0(VALU_DEP_2) | instskip(SKIP_1) | instid1(VALU_DEP_1)
	v_cndmask_b32_e64 v66, v66, v55, s2
	v_cmp_u_f16_e64 s2, v37, v37
	v_cndmask_b32_e64 v55, v65, v64, s2
	s_delay_alu instid0(VALU_DEP_3) | instskip(NEXT) | instid1(VALU_DEP_2)
	v_cndmask_b32_e64 v37, v66, v64, s2
	v_cmp_class_f32_e64 s24, v55, 0x1f8
	s_delay_alu instid0(VALU_DEP_2) | instskip(NEXT) | instid1(VALU_DEP_1)
	v_cmp_neq_f32_e64 s2, v55, v37
	s_or_b32 s2, s2, s24
	s_delay_alu instid0(SALU_CYCLE_1)
	s_and_saveexec_b32 s24, s2
	s_cbranch_execz .LBB430_309
; %bb.308:
	v_sub_f32_e32 v54, v55, v37
	s_delay_alu instid0(VALU_DEP_1) | instskip(SKIP_1) | instid1(VALU_DEP_2)
	v_mul_f32_e32 v55, 0x3fb8aa3b, v54
	v_cmp_ngt_f32_e64 s2, 0xc2ce8ed0, v54
	v_fma_f32 v64, 0x3fb8aa3b, v54, -v55
	v_rndne_f32_e32 v65, v55
	s_delay_alu instid0(VALU_DEP_1) | instskip(NEXT) | instid1(VALU_DEP_1)
	v_dual_fmamk_f32 v64, v54, 0x32a5705f, v64 :: v_dual_sub_f32 v55, v55, v65
	v_add_f32_e32 v55, v55, v64
	v_cvt_i32_f32_e32 v64, v65
	s_delay_alu instid0(VALU_DEP_2) | instskip(SKIP_2) | instid1(VALU_DEP_1)
	v_exp_f32_e32 v55, v55
	s_waitcnt_depctr 0xfff
	v_ldexp_f32 v55, v55, v64
	v_cndmask_b32_e64 v55, 0, v55, s2
	v_cmp_nlt_f32_e64 s2, 0x42b17218, v54
	s_delay_alu instid0(VALU_DEP_1) | instskip(NEXT) | instid1(VALU_DEP_1)
	v_cndmask_b32_e64 v64, 0x7f800000, v55, s2
	v_add_f32_e32 v65, 1.0, v64
	v_cmp_gt_f32_e64 s25, 0x33800000, |v64|
	s_delay_alu instid0(VALU_DEP_2) | instskip(NEXT) | instid1(VALU_DEP_1)
	v_cvt_f64_f32_e32 v[54:55], v65
	v_frexp_exp_i32_f64_e32 v54, v[54:55]
	v_frexp_mant_f32_e32 v55, v65
	s_delay_alu instid0(VALU_DEP_1) | instskip(SKIP_1) | instid1(VALU_DEP_1)
	v_cmp_gt_f32_e64 s2, 0x3f2aaaab, v55
	v_add_f32_e32 v55, -1.0, v65
	v_sub_f32_e32 v67, v55, v65
	v_sub_f32_e32 v55, v64, v55
	s_delay_alu instid0(VALU_DEP_4) | instskip(SKIP_1) | instid1(VALU_DEP_1)
	v_subrev_co_ci_u32_e64 v54, s2, 0, v54, s2
	s_mov_b32 s2, 0x3e9b6dac
	v_sub_nc_u32_e32 v66, 0, v54
	v_cvt_f32_i32_e32 v54, v54
	s_delay_alu instid0(VALU_DEP_2) | instskip(NEXT) | instid1(VALU_DEP_1)
	v_ldexp_f32 v65, v65, v66
	v_dual_add_f32 v68, 1.0, v65 :: v_dual_add_f32 v67, 1.0, v67
	s_delay_alu instid0(VALU_DEP_1) | instskip(NEXT) | instid1(VALU_DEP_2)
	v_add_f32_e32 v55, v55, v67
	v_add_f32_e32 v67, -1.0, v68
	s_delay_alu instid0(VALU_DEP_2) | instskip(NEXT) | instid1(VALU_DEP_2)
	v_ldexp_f32 v55, v55, v66
	v_dual_add_f32 v66, -1.0, v65 :: v_dual_sub_f32 v67, v65, v67
	s_delay_alu instid0(VALU_DEP_1) | instskip(NEXT) | instid1(VALU_DEP_2)
	v_add_f32_e32 v69, 1.0, v66
	v_add_f32_e32 v67, v55, v67
	s_delay_alu instid0(VALU_DEP_2) | instskip(NEXT) | instid1(VALU_DEP_2)
	v_sub_f32_e32 v65, v65, v69
	v_add_f32_e32 v69, v68, v67
	s_delay_alu instid0(VALU_DEP_2) | instskip(NEXT) | instid1(VALU_DEP_2)
	v_add_f32_e32 v55, v55, v65
	v_rcp_f32_e32 v65, v69
	v_sub_f32_e32 v68, v68, v69
	s_delay_alu instid0(VALU_DEP_1) | instskip(NEXT) | instid1(VALU_DEP_1)
	v_dual_add_f32 v70, v66, v55 :: v_dual_add_f32 v67, v67, v68
	v_sub_f32_e32 v66, v66, v70
	s_waitcnt_depctr 0xfff
	v_mul_f32_e32 v71, v70, v65
	s_delay_alu instid0(VALU_DEP_1) | instskip(NEXT) | instid1(VALU_DEP_1)
	v_dual_add_f32 v55, v55, v66 :: v_dual_mul_f32 v80, v69, v71
	v_fma_f32 v68, v71, v69, -v80
	s_delay_alu instid0(VALU_DEP_1) | instskip(NEXT) | instid1(VALU_DEP_1)
	v_fmac_f32_e32 v68, v71, v67
	v_add_f32_e32 v81, v80, v68
	s_delay_alu instid0(VALU_DEP_1) | instskip(SKIP_1) | instid1(VALU_DEP_2)
	v_sub_f32_e32 v82, v70, v81
	v_sub_f32_e32 v66, v81, v80
	;; [unrolled: 1-line block ×3, first 2 shown]
	s_delay_alu instid0(VALU_DEP_2) | instskip(NEXT) | instid1(VALU_DEP_2)
	v_sub_f32_e32 v66, v66, v68
	v_sub_f32_e32 v70, v70, v81
	s_delay_alu instid0(VALU_DEP_1) | instskip(NEXT) | instid1(VALU_DEP_1)
	v_add_f32_e32 v55, v55, v70
	v_add_f32_e32 v55, v66, v55
	s_delay_alu instid0(VALU_DEP_1) | instskip(NEXT) | instid1(VALU_DEP_1)
	v_add_f32_e32 v66, v82, v55
	v_mul_f32_e32 v68, v65, v66
	s_delay_alu instid0(VALU_DEP_1) | instskip(NEXT) | instid1(VALU_DEP_1)
	v_dual_sub_f32 v81, v82, v66 :: v_dual_mul_f32 v70, v69, v68
	v_add_f32_e32 v55, v55, v81
	s_delay_alu instid0(VALU_DEP_2) | instskip(NEXT) | instid1(VALU_DEP_1)
	v_fma_f32 v69, v68, v69, -v70
	v_fmac_f32_e32 v69, v68, v67
	s_delay_alu instid0(VALU_DEP_1) | instskip(NEXT) | instid1(VALU_DEP_1)
	v_add_f32_e32 v67, v70, v69
	v_sub_f32_e32 v80, v66, v67
	v_sub_f32_e32 v70, v67, v70
	s_delay_alu instid0(VALU_DEP_2) | instskip(NEXT) | instid1(VALU_DEP_1)
	v_sub_f32_e32 v66, v66, v80
	v_sub_f32_e32 v66, v66, v67
	s_delay_alu instid0(VALU_DEP_3) | instskip(NEXT) | instid1(VALU_DEP_2)
	v_sub_f32_e32 v67, v70, v69
	v_add_f32_e32 v55, v55, v66
	v_add_f32_e32 v66, v71, v68
	s_delay_alu instid0(VALU_DEP_2) | instskip(NEXT) | instid1(VALU_DEP_2)
	v_add_f32_e32 v55, v67, v55
	v_sub_f32_e32 v67, v66, v71
	s_delay_alu instid0(VALU_DEP_2) | instskip(NEXT) | instid1(VALU_DEP_2)
	v_add_f32_e32 v55, v80, v55
	v_sub_f32_e32 v67, v68, v67
	s_delay_alu instid0(VALU_DEP_2) | instskip(NEXT) | instid1(VALU_DEP_1)
	v_mul_f32_e32 v55, v65, v55
	v_add_f32_e32 v55, v67, v55
	s_delay_alu instid0(VALU_DEP_1) | instskip(NEXT) | instid1(VALU_DEP_1)
	v_add_f32_e32 v65, v66, v55
	v_mul_f32_e32 v67, v65, v65
	s_delay_alu instid0(VALU_DEP_1) | instskip(SKIP_2) | instid1(VALU_DEP_3)
	v_fmaak_f32 v68, s2, v67, 0x3ecc95a3
	v_mul_f32_e32 v69, v65, v67
	v_cmp_eq_f32_e64 s2, 0x7f800000, v64
	v_fmaak_f32 v67, v67, v68, 0x3f2aaada
	v_ldexp_f32 v68, v65, 1
	v_sub_f32_e32 v65, v65, v66
	s_delay_alu instid0(VALU_DEP_4) | instskip(NEXT) | instid1(VALU_DEP_3)
	s_or_b32 s2, s2, s25
	v_mul_f32_e32 v67, v69, v67
	v_mul_f32_e32 v69, 0x3f317218, v54
	s_delay_alu instid0(VALU_DEP_2) | instskip(NEXT) | instid1(VALU_DEP_1)
	v_dual_sub_f32 v55, v55, v65 :: v_dual_add_f32 v66, v68, v67
	v_ldexp_f32 v55, v55, 1
	s_delay_alu instid0(VALU_DEP_2) | instskip(NEXT) | instid1(VALU_DEP_4)
	v_sub_f32_e32 v65, v66, v68
	v_fma_f32 v68, 0x3f317218, v54, -v69
	s_delay_alu instid0(VALU_DEP_1) | instskip(NEXT) | instid1(VALU_DEP_1)
	v_dual_sub_f32 v65, v67, v65 :: v_dual_fmamk_f32 v54, v54, 0xb102e308, v68
	v_add_f32_e32 v55, v55, v65
	s_delay_alu instid0(VALU_DEP_2) | instskip(NEXT) | instid1(VALU_DEP_2)
	v_add_f32_e32 v65, v69, v54
	v_add_f32_e32 v67, v66, v55
	s_delay_alu instid0(VALU_DEP_2) | instskip(NEXT) | instid1(VALU_DEP_2)
	v_sub_f32_e32 v69, v65, v69
	v_add_f32_e32 v68, v65, v67
	v_sub_f32_e32 v66, v67, v66
	s_delay_alu instid0(VALU_DEP_3) | instskip(NEXT) | instid1(VALU_DEP_2)
	v_sub_f32_e32 v54, v54, v69
	v_dual_sub_f32 v70, v68, v65 :: v_dual_sub_f32 v55, v55, v66
	s_delay_alu instid0(VALU_DEP_1) | instskip(NEXT) | instid1(VALU_DEP_2)
	v_sub_f32_e32 v71, v68, v70
	v_dual_sub_f32 v66, v67, v70 :: v_dual_add_f32 v67, v54, v55
	s_delay_alu instid0(VALU_DEP_2) | instskip(NEXT) | instid1(VALU_DEP_1)
	v_sub_f32_e32 v65, v65, v71
	v_dual_add_f32 v65, v66, v65 :: v_dual_sub_f32 v66, v67, v54
	s_delay_alu instid0(VALU_DEP_1) | instskip(NEXT) | instid1(VALU_DEP_2)
	v_add_f32_e32 v65, v67, v65
	v_sub_f32_e32 v67, v67, v66
	v_sub_f32_e32 v55, v55, v66
	s_delay_alu instid0(VALU_DEP_2) | instskip(NEXT) | instid1(VALU_DEP_1)
	v_dual_add_f32 v69, v68, v65 :: v_dual_sub_f32 v54, v54, v67
	v_sub_f32_e32 v66, v69, v68
	s_delay_alu instid0(VALU_DEP_2) | instskip(NEXT) | instid1(VALU_DEP_2)
	v_add_f32_e32 v54, v55, v54
	v_sub_f32_e32 v55, v65, v66
	s_delay_alu instid0(VALU_DEP_1) | instskip(NEXT) | instid1(VALU_DEP_1)
	v_add_f32_e32 v54, v54, v55
	v_add_f32_e32 v54, v69, v54
	s_delay_alu instid0(VALU_DEP_1) | instskip(NEXT) | instid1(VALU_DEP_1)
	v_cndmask_b32_e64 v54, v54, v64, s2
	v_add_f32_e32 v37, v37, v54
	s_delay_alu instid0(VALU_DEP_1)
	v_cvt_f16_f32_e32 v54, v37
.LBB430_309:
	s_or_b32 exec_lo, exec_lo, s24
	ds_store_b16 v31, v54 offset:2
.LBB430_310:
	s_or_b32 exec_lo, exec_lo, s26
	s_waitcnt lgkmcnt(0)
	s_barrier
	buffer_gl0_inv
	s_and_saveexec_b32 s2, s1
	s_cbranch_execz .LBB430_312
; %bb.311:
	v_add_nc_u32_e32 v30, -1, v21
	s_delay_alu instid0(VALU_DEP_1) | instskip(NEXT) | instid1(VALU_DEP_1)
	v_lshrrev_b32_e32 v31, 5, v30
	v_add_lshl_u32 v30, v31, v30, 1
	ds_load_u16 v30, v30
.LBB430_312:
	s_or_b32 exec_lo, exec_lo, s2
	v_mov_b32_e32 v37, v12
	s_and_saveexec_b32 s2, s1
	s_cbranch_execz .LBB430_316
; %bb.313:
	s_waitcnt lgkmcnt(0)
	v_cvt_f32_f16_e32 v31, v30
	v_max_f32_e32 v12, v2, v2
	v_cmp_u_f16_e64 s1, v30, v30
	s_delay_alu instid0(VALU_DEP_2) | instskip(SKIP_1) | instid1(VALU_DEP_2)
	v_min_f32_e32 v28, v31, v12
	v_max_f32_e32 v12, v31, v12
	v_cndmask_b32_e64 v28, v28, v31, s1
	s_delay_alu instid0(VALU_DEP_2) | instskip(NEXT) | instid1(VALU_DEP_2)
	v_cndmask_b32_e64 v29, v12, v31, s1
	v_cndmask_b32_e64 v12, v28, v2, s23
	s_delay_alu instid0(VALU_DEP_2) | instskip(NEXT) | instid1(VALU_DEP_2)
	v_cndmask_b32_e64 v2, v29, v2, s23
	v_cmp_class_f32_e64 s23, v12, 0x1f8
	s_delay_alu instid0(VALU_DEP_2) | instskip(NEXT) | instid1(VALU_DEP_1)
	v_cmp_neq_f32_e64 s1, v12, v2
	s_or_b32 s1, s1, s23
	s_delay_alu instid0(SALU_CYCLE_1)
	s_and_saveexec_b32 s23, s1
	s_cbranch_execz .LBB430_315
; %bb.314:
	v_sub_f32_e32 v12, v12, v2
	s_delay_alu instid0(VALU_DEP_1) | instskip(SKIP_1) | instid1(VALU_DEP_2)
	v_mul_f32_e32 v28, 0x3fb8aa3b, v12
	v_cmp_ngt_f32_e64 s1, 0xc2ce8ed0, v12
	v_fma_f32 v29, 0x3fb8aa3b, v12, -v28
	v_rndne_f32_e32 v30, v28
	s_delay_alu instid0(VALU_DEP_2) | instskip(NEXT) | instid1(VALU_DEP_2)
	v_fmamk_f32 v29, v12, 0x32a5705f, v29
	v_sub_f32_e32 v28, v28, v30
	s_delay_alu instid0(VALU_DEP_1) | instskip(SKIP_1) | instid1(VALU_DEP_2)
	v_add_f32_e32 v28, v28, v29
	v_cvt_i32_f32_e32 v29, v30
	v_exp_f32_e32 v28, v28
	s_waitcnt_depctr 0xfff
	v_ldexp_f32 v28, v28, v29
	s_delay_alu instid0(VALU_DEP_1) | instskip(SKIP_1) | instid1(VALU_DEP_1)
	v_cndmask_b32_e64 v28, 0, v28, s1
	v_cmp_nlt_f32_e64 s1, 0x42b17218, v12
	v_cndmask_b32_e64 v12, 0x7f800000, v28, s1
	s_delay_alu instid0(VALU_DEP_1) | instskip(SKIP_1) | instid1(VALU_DEP_2)
	v_add_f32_e32 v30, 1.0, v12
	v_cmp_gt_f32_e64 s24, 0x33800000, |v12|
	v_cvt_f64_f32_e32 v[28:29], v30
	s_delay_alu instid0(VALU_DEP_1) | instskip(SKIP_1) | instid1(VALU_DEP_1)
	v_frexp_exp_i32_f64_e32 v28, v[28:29]
	v_frexp_mant_f32_e32 v29, v30
	v_cmp_gt_f32_e64 s1, 0x3f2aaaab, v29
	v_add_f32_e32 v29, -1.0, v30
	s_delay_alu instid0(VALU_DEP_1) | instskip(NEXT) | instid1(VALU_DEP_1)
	v_sub_f32_e32 v37, v29, v30
	v_add_f32_e32 v37, 1.0, v37
	s_delay_alu instid0(VALU_DEP_4) | instskip(SKIP_1) | instid1(VALU_DEP_1)
	v_subrev_co_ci_u32_e64 v28, s1, 0, v28, s1
	s_mov_b32 s1, 0x3e9b6dac
	v_sub_nc_u32_e32 v31, 0, v28
	v_cvt_f32_i32_e32 v28, v28
	s_delay_alu instid0(VALU_DEP_2) | instskip(NEXT) | instid1(VALU_DEP_1)
	v_ldexp_f32 v30, v30, v31
	v_dual_sub_f32 v29, v12, v29 :: v_dual_add_f32 v54, 1.0, v30
	s_delay_alu instid0(VALU_DEP_1) | instskip(NEXT) | instid1(VALU_DEP_1)
	v_add_f32_e32 v29, v29, v37
	v_ldexp_f32 v29, v29, v31
	v_add_f32_e32 v31, -1.0, v30
	s_delay_alu instid0(VALU_DEP_1) | instskip(SKIP_1) | instid1(VALU_DEP_1)
	v_add_f32_e32 v55, 1.0, v31
	v_add_f32_e32 v37, -1.0, v54
	v_sub_f32_e32 v37, v30, v37
	s_delay_alu instid0(VALU_DEP_1) | instskip(NEXT) | instid1(VALU_DEP_1)
	v_dual_sub_f32 v30, v30, v55 :: v_dual_add_f32 v37, v29, v37
	v_add_f32_e32 v55, v54, v37
	s_delay_alu instid0(VALU_DEP_2) | instskip(NEXT) | instid1(VALU_DEP_2)
	v_add_f32_e32 v29, v29, v30
	v_rcp_f32_e32 v30, v55
	v_sub_f32_e32 v54, v54, v55
	s_delay_alu instid0(VALU_DEP_1) | instskip(NEXT) | instid1(VALU_DEP_1)
	v_dual_add_f32 v64, v31, v29 :: v_dual_add_f32 v37, v37, v54
	v_sub_f32_e32 v31, v31, v64
	s_waitcnt_depctr 0xfff
	v_mul_f32_e32 v65, v64, v30
	s_delay_alu instid0(VALU_DEP_1) | instskip(NEXT) | instid1(VALU_DEP_1)
	v_dual_mul_f32 v66, v55, v65 :: v_dual_add_f32 v29, v29, v31
	v_fma_f32 v54, v65, v55, -v66
	s_delay_alu instid0(VALU_DEP_1) | instskip(NEXT) | instid1(VALU_DEP_1)
	v_fmac_f32_e32 v54, v65, v37
	v_add_f32_e32 v67, v66, v54
	s_delay_alu instid0(VALU_DEP_1) | instskip(NEXT) | instid1(VALU_DEP_1)
	v_dual_sub_f32 v68, v64, v67 :: v_dual_sub_f32 v31, v67, v66
	v_dual_sub_f32 v64, v64, v68 :: v_dual_sub_f32 v31, v31, v54
	s_delay_alu instid0(VALU_DEP_1) | instskip(NEXT) | instid1(VALU_DEP_1)
	v_sub_f32_e32 v64, v64, v67
	v_add_f32_e32 v29, v29, v64
	s_delay_alu instid0(VALU_DEP_1) | instskip(NEXT) | instid1(VALU_DEP_1)
	v_add_f32_e32 v29, v31, v29
	v_add_f32_e32 v31, v68, v29
	s_delay_alu instid0(VALU_DEP_1) | instskip(NEXT) | instid1(VALU_DEP_1)
	v_mul_f32_e32 v54, v30, v31
	v_dual_sub_f32 v67, v68, v31 :: v_dual_mul_f32 v64, v55, v54
	s_delay_alu instid0(VALU_DEP_1) | instskip(NEXT) | instid1(VALU_DEP_2)
	v_add_f32_e32 v29, v29, v67
	v_fma_f32 v55, v54, v55, -v64
	s_delay_alu instid0(VALU_DEP_1) | instskip(NEXT) | instid1(VALU_DEP_1)
	v_fmac_f32_e32 v55, v54, v37
	v_add_f32_e32 v37, v64, v55
	s_delay_alu instid0(VALU_DEP_1) | instskip(NEXT) | instid1(VALU_DEP_1)
	v_sub_f32_e32 v66, v31, v37
	v_dual_sub_f32 v64, v37, v64 :: v_dual_sub_f32 v31, v31, v66
	s_delay_alu instid0(VALU_DEP_1) | instskip(NEXT) | instid1(VALU_DEP_2)
	v_sub_f32_e32 v31, v31, v37
	v_sub_f32_e32 v37, v64, v55
	s_delay_alu instid0(VALU_DEP_2) | instskip(SKIP_1) | instid1(VALU_DEP_2)
	v_add_f32_e32 v29, v29, v31
	v_add_f32_e32 v31, v65, v54
	;; [unrolled: 1-line block ×3, first 2 shown]
	s_delay_alu instid0(VALU_DEP_2) | instskip(NEXT) | instid1(VALU_DEP_2)
	v_sub_f32_e32 v37, v31, v65
	v_add_f32_e32 v29, v66, v29
	s_delay_alu instid0(VALU_DEP_2) | instskip(NEXT) | instid1(VALU_DEP_2)
	v_sub_f32_e32 v37, v54, v37
	v_mul_f32_e32 v29, v30, v29
	s_delay_alu instid0(VALU_DEP_1) | instskip(NEXT) | instid1(VALU_DEP_1)
	v_add_f32_e32 v29, v37, v29
	v_add_f32_e32 v30, v31, v29
	s_delay_alu instid0(VALU_DEP_1) | instskip(NEXT) | instid1(VALU_DEP_1)
	v_mul_f32_e32 v37, v30, v30
	v_fmaak_f32 v54, s1, v37, 0x3ecc95a3
	v_mul_f32_e32 v55, v30, v37
	v_cmp_eq_f32_e64 s1, 0x7f800000, v12
	s_delay_alu instid0(VALU_DEP_3) | instskip(SKIP_2) | instid1(VALU_DEP_4)
	v_fmaak_f32 v37, v37, v54, 0x3f2aaada
	v_ldexp_f32 v54, v30, 1
	v_sub_f32_e32 v30, v30, v31
	s_or_b32 s1, s1, s24
	s_delay_alu instid0(VALU_DEP_3) | instskip(SKIP_1) | instid1(VALU_DEP_3)
	v_mul_f32_e32 v37, v55, v37
	v_mul_f32_e32 v55, 0x3f317218, v28
	v_sub_f32_e32 v29, v29, v30
	s_delay_alu instid0(VALU_DEP_3) | instskip(NEXT) | instid1(VALU_DEP_2)
	v_add_f32_e32 v31, v54, v37
	v_ldexp_f32 v29, v29, 1
	s_delay_alu instid0(VALU_DEP_2) | instskip(SKIP_1) | instid1(VALU_DEP_2)
	v_sub_f32_e32 v30, v31, v54
	v_fma_f32 v54, 0x3f317218, v28, -v55
	v_sub_f32_e32 v30, v37, v30
	s_delay_alu instid0(VALU_DEP_1) | instskip(NEXT) | instid1(VALU_DEP_1)
	v_dual_fmamk_f32 v28, v28, 0xb102e308, v54 :: v_dual_add_f32 v29, v29, v30
	v_add_f32_e32 v30, v55, v28
	s_delay_alu instid0(VALU_DEP_2) | instskip(NEXT) | instid1(VALU_DEP_2)
	v_add_f32_e32 v37, v31, v29
	v_sub_f32_e32 v55, v30, v55
	s_delay_alu instid0(VALU_DEP_2) | instskip(NEXT) | instid1(VALU_DEP_2)
	v_dual_add_f32 v54, v30, v37 :: v_dual_sub_f32 v31, v37, v31
	v_sub_f32_e32 v28, v28, v55
	s_delay_alu instid0(VALU_DEP_2) | instskip(NEXT) | instid1(VALU_DEP_1)
	v_dual_sub_f32 v64, v54, v30 :: v_dual_sub_f32 v29, v29, v31
	v_sub_f32_e32 v65, v54, v64
	v_sub_f32_e32 v31, v37, v64
	s_delay_alu instid0(VALU_DEP_3) | instskip(NEXT) | instid1(VALU_DEP_3)
	v_add_f32_e32 v37, v28, v29
	v_sub_f32_e32 v30, v30, v65
	s_delay_alu instid0(VALU_DEP_1) | instskip(NEXT) | instid1(VALU_DEP_1)
	v_dual_add_f32 v30, v31, v30 :: v_dual_sub_f32 v31, v37, v28
	v_add_f32_e32 v30, v37, v30
	s_delay_alu instid0(VALU_DEP_2) | instskip(SKIP_1) | instid1(VALU_DEP_2)
	v_sub_f32_e32 v37, v37, v31
	v_sub_f32_e32 v29, v29, v31
	v_dual_add_f32 v55, v54, v30 :: v_dual_sub_f32 v28, v28, v37
	s_delay_alu instid0(VALU_DEP_1) | instskip(NEXT) | instid1(VALU_DEP_1)
	v_dual_sub_f32 v31, v55, v54 :: v_dual_add_f32 v28, v29, v28
	v_sub_f32_e32 v29, v30, v31
	s_delay_alu instid0(VALU_DEP_1) | instskip(NEXT) | instid1(VALU_DEP_1)
	v_add_f32_e32 v28, v28, v29
	v_add_f32_e32 v28, v55, v28
	s_delay_alu instid0(VALU_DEP_1) | instskip(NEXT) | instid1(VALU_DEP_1)
	v_cndmask_b32_e64 v12, v28, v12, s1
	v_add_f32_e32 v2, v2, v12
	s_delay_alu instid0(VALU_DEP_1) | instskip(NEXT) | instid1(VALU_DEP_1)
	v_cvt_f16_f32_e32 v30, v2
	v_cvt_f32_f16_e32 v31, v30
.LBB430_315:
	s_or_b32 exec_lo, exec_lo, s23
	s_delay_alu instid0(VALU_DEP_1) | instskip(SKIP_3) | instid1(VALU_DEP_3)
	v_dual_max_f32 v2, v36, v36 :: v_dual_max_f32 v29, v31, v31
	v_mov_b32_e32 v12, v30
	v_mov_b32_e32 v37, v30
	;;#ASMSTART
	;;#ASMEND
	v_min_f32_e32 v28, v29, v2
	v_dual_max_f32 v29, v29, v2 :: v_dual_mov_b32 v2, v31
.LBB430_316:
	s_or_b32 exec_lo, exec_lo, s2
	s_delay_alu instid0(VALU_DEP_1) | instskip(NEXT) | instid1(VALU_DEP_1)
	v_cmp_u_f16_e64 s1, v37, v37
	v_cndmask_b32_e64 v28, v28, v2, s1
	s_delay_alu instid0(VALU_DEP_3) | instskip(SKIP_1) | instid1(VALU_DEP_2)
	v_cndmask_b32_e64 v29, v29, v2, s1
	s_waitcnt lgkmcnt(0)
	v_cndmask_b32_e32 v30, v28, v36, vcc_lo
	s_delay_alu instid0(VALU_DEP_2) | instskip(NEXT) | instid1(VALU_DEP_2)
	v_dual_cndmask_b32 v29, v29, v36 :: v_dual_mov_b32 v28, v12
	v_cmp_class_f32_e64 s1, v30, 0x1f8
	s_delay_alu instid0(VALU_DEP_2) | instskip(NEXT) | instid1(VALU_DEP_2)
	v_cmp_neq_f32_e32 vcc_lo, v30, v29
	s_or_b32 s2, vcc_lo, s1
	s_delay_alu instid0(SALU_CYCLE_1)
	s_and_saveexec_b32 s1, s2
	s_cbranch_execz .LBB430_318
; %bb.317:
	v_sub_f32_e32 v2, v30, v29
	s_mov_b32 s2, 0x3e9b6dac
	s_delay_alu instid0(VALU_DEP_1) | instskip(SKIP_1) | instid1(VALU_DEP_2)
	v_mul_f32_e32 v28, 0x3fb8aa3b, v2
	v_cmp_ngt_f32_e32 vcc_lo, 0xc2ce8ed0, v2
	v_fma_f32 v30, 0x3fb8aa3b, v2, -v28
	v_rndne_f32_e32 v31, v28
	s_delay_alu instid0(VALU_DEP_2) | instskip(NEXT) | instid1(VALU_DEP_2)
	v_fmamk_f32 v30, v2, 0x32a5705f, v30
	v_sub_f32_e32 v28, v28, v31
	s_delay_alu instid0(VALU_DEP_1) | instskip(SKIP_1) | instid1(VALU_DEP_2)
	v_add_f32_e32 v28, v28, v30
	v_cvt_i32_f32_e32 v30, v31
	v_exp_f32_e32 v28, v28
	s_waitcnt_depctr 0xfff
	v_ldexp_f32 v28, v28, v30
	s_delay_alu instid0(VALU_DEP_1) | instskip(SKIP_1) | instid1(VALU_DEP_2)
	v_cndmask_b32_e32 v28, 0, v28, vcc_lo
	v_cmp_nlt_f32_e32 vcc_lo, 0x42b17218, v2
	v_cndmask_b32_e32 v2, 0x7f800000, v28, vcc_lo
	s_delay_alu instid0(VALU_DEP_1) | instskip(NEXT) | instid1(VALU_DEP_1)
	v_add_f32_e32 v28, 1.0, v2
	v_cvt_f64_f32_e32 v[30:31], v28
	s_delay_alu instid0(VALU_DEP_1) | instskip(SKIP_1) | instid1(VALU_DEP_1)
	v_frexp_exp_i32_f64_e32 v30, v[30:31]
	v_frexp_mant_f32_e32 v31, v28
	v_cmp_gt_f32_e32 vcc_lo, 0x3f2aaaab, v31
	v_add_f32_e32 v31, -1.0, v28
	s_delay_alu instid0(VALU_DEP_1) | instskip(SKIP_1) | instid1(VALU_DEP_2)
	v_sub_f32_e32 v37, v31, v28
	v_sub_f32_e32 v31, v2, v31
	v_add_f32_e32 v37, 1.0, v37
	s_delay_alu instid0(VALU_DEP_1) | instskip(SKIP_1) | instid1(VALU_DEP_1)
	v_add_f32_e32 v31, v31, v37
	v_subrev_co_ci_u32_e32 v30, vcc_lo, 0, v30, vcc_lo
	v_sub_nc_u32_e32 v36, 0, v30
	v_cvt_f32_i32_e32 v30, v30
	s_delay_alu instid0(VALU_DEP_2) | instskip(SKIP_1) | instid1(VALU_DEP_2)
	v_ldexp_f32 v28, v28, v36
	v_ldexp_f32 v31, v31, v36
	v_add_f32_e32 v54, 1.0, v28
	s_delay_alu instid0(VALU_DEP_1) | instskip(NEXT) | instid1(VALU_DEP_1)
	v_add_f32_e32 v37, -1.0, v54
	v_sub_f32_e32 v37, v28, v37
	v_cmp_eq_f32_e32 vcc_lo, 0x7f800000, v2
	s_delay_alu instid0(VALU_DEP_2) | instskip(NEXT) | instid1(VALU_DEP_1)
	v_dual_add_f32 v37, v31, v37 :: v_dual_add_f32 v36, -1.0, v28
	v_add_f32_e32 v55, 1.0, v36
	s_delay_alu instid0(VALU_DEP_1) | instskip(NEXT) | instid1(VALU_DEP_1)
	v_dual_sub_f32 v28, v28, v55 :: v_dual_add_f32 v55, v54, v37
	v_sub_f32_e32 v54, v54, v55
	s_delay_alu instid0(VALU_DEP_1) | instskip(SKIP_1) | instid1(VALU_DEP_1)
	v_dual_add_f32 v37, v37, v54 :: v_dual_add_f32 v28, v31, v28
	v_rcp_f32_e32 v31, v55
	v_add_f32_e32 v64, v36, v28
	s_waitcnt_depctr 0xfff
	v_mul_f32_e32 v65, v64, v31
	s_delay_alu instid0(VALU_DEP_1) | instskip(NEXT) | instid1(VALU_DEP_1)
	v_mul_f32_e32 v66, v55, v65
	v_fma_f32 v54, v65, v55, -v66
	s_delay_alu instid0(VALU_DEP_1) | instskip(NEXT) | instid1(VALU_DEP_1)
	v_fmac_f32_e32 v54, v65, v37
	v_dual_add_f32 v67, v66, v54 :: v_dual_sub_f32 v36, v36, v64
	s_delay_alu instid0(VALU_DEP_1) | instskip(NEXT) | instid1(VALU_DEP_2)
	v_sub_f32_e32 v68, v64, v67
	v_add_f32_e32 v28, v28, v36
	v_sub_f32_e32 v36, v67, v66
	s_delay_alu instid0(VALU_DEP_3) | instskip(NEXT) | instid1(VALU_DEP_2)
	v_sub_f32_e32 v64, v64, v68
	v_sub_f32_e32 v36, v36, v54
	s_delay_alu instid0(VALU_DEP_2) | instskip(NEXT) | instid1(VALU_DEP_1)
	v_sub_f32_e32 v64, v64, v67
	v_add_f32_e32 v28, v28, v64
	s_delay_alu instid0(VALU_DEP_1) | instskip(NEXT) | instid1(VALU_DEP_1)
	v_add_f32_e32 v28, v36, v28
	v_add_f32_e32 v36, v68, v28
	s_delay_alu instid0(VALU_DEP_1) | instskip(NEXT) | instid1(VALU_DEP_1)
	v_mul_f32_e32 v54, v31, v36
	v_mul_f32_e32 v64, v55, v54
	s_delay_alu instid0(VALU_DEP_1) | instskip(NEXT) | instid1(VALU_DEP_1)
	v_fma_f32 v55, v54, v55, -v64
	v_fmac_f32_e32 v55, v54, v37
	v_sub_f32_e32 v67, v68, v36
	s_delay_alu instid0(VALU_DEP_2) | instskip(NEXT) | instid1(VALU_DEP_2)
	v_add_f32_e32 v37, v64, v55
	v_add_f32_e32 v28, v28, v67
	s_delay_alu instid0(VALU_DEP_2) | instskip(SKIP_1) | instid1(VALU_DEP_2)
	v_sub_f32_e32 v66, v36, v37
	v_sub_f32_e32 v64, v37, v64
	;; [unrolled: 1-line block ×3, first 2 shown]
	s_delay_alu instid0(VALU_DEP_1) | instskip(NEXT) | instid1(VALU_DEP_3)
	v_sub_f32_e32 v36, v36, v37
	v_sub_f32_e32 v37, v64, v55
	s_delay_alu instid0(VALU_DEP_2) | instskip(SKIP_1) | instid1(VALU_DEP_1)
	v_add_f32_e32 v28, v28, v36
	v_add_f32_e32 v36, v65, v54
	v_dual_add_f32 v28, v37, v28 :: v_dual_sub_f32 v37, v36, v65
	s_delay_alu instid0(VALU_DEP_1) | instskip(NEXT) | instid1(VALU_DEP_1)
	v_add_f32_e32 v28, v66, v28
	v_dual_sub_f32 v37, v54, v37 :: v_dual_mul_f32 v28, v31, v28
	s_delay_alu instid0(VALU_DEP_1) | instskip(NEXT) | instid1(VALU_DEP_1)
	v_add_f32_e32 v28, v37, v28
	v_add_f32_e32 v31, v36, v28
	s_delay_alu instid0(VALU_DEP_1) | instskip(NEXT) | instid1(VALU_DEP_1)
	v_mul_f32_e32 v37, v31, v31
	v_fmaak_f32 v54, s2, v37, 0x3ecc95a3
	v_mul_f32_e32 v55, v31, v37
	v_cmp_gt_f32_e64 s2, 0x33800000, |v2|
	s_delay_alu instid0(VALU_DEP_3) | instskip(SKIP_2) | instid1(VALU_DEP_4)
	v_fmaak_f32 v37, v37, v54, 0x3f2aaada
	v_ldexp_f32 v54, v31, 1
	v_sub_f32_e32 v31, v31, v36
	s_or_b32 vcc_lo, vcc_lo, s2
	s_delay_alu instid0(VALU_DEP_3) | instskip(NEXT) | instid1(VALU_DEP_2)
	v_mul_f32_e32 v37, v55, v37
	v_dual_mul_f32 v55, 0x3f317218, v30 :: v_dual_sub_f32 v28, v28, v31
	s_delay_alu instid0(VALU_DEP_2) | instskip(NEXT) | instid1(VALU_DEP_2)
	v_add_f32_e32 v36, v54, v37
	v_ldexp_f32 v28, v28, 1
	s_delay_alu instid0(VALU_DEP_2) | instskip(NEXT) | instid1(VALU_DEP_4)
	v_sub_f32_e32 v31, v36, v54
	v_fma_f32 v54, 0x3f317218, v30, -v55
	s_delay_alu instid0(VALU_DEP_1) | instskip(NEXT) | instid1(VALU_DEP_1)
	v_dual_sub_f32 v31, v37, v31 :: v_dual_fmamk_f32 v30, v30, 0xb102e308, v54
	v_dual_add_f32 v28, v28, v31 :: v_dual_add_f32 v31, v55, v30
	s_delay_alu instid0(VALU_DEP_1) | instskip(NEXT) | instid1(VALU_DEP_2)
	v_add_f32_e32 v37, v36, v28
	v_sub_f32_e32 v55, v31, v55
	s_delay_alu instid0(VALU_DEP_2) | instskip(SKIP_1) | instid1(VALU_DEP_3)
	v_add_f32_e32 v54, v31, v37
	v_sub_f32_e32 v36, v37, v36
	v_sub_f32_e32 v30, v30, v55
	s_delay_alu instid0(VALU_DEP_3) | instskip(NEXT) | instid1(VALU_DEP_3)
	v_sub_f32_e32 v64, v54, v31
	v_sub_f32_e32 v28, v28, v36
	s_delay_alu instid0(VALU_DEP_2) | instskip(SKIP_1) | instid1(VALU_DEP_3)
	v_sub_f32_e32 v65, v54, v64
	v_sub_f32_e32 v36, v37, v64
	v_add_f32_e32 v37, v30, v28
	s_delay_alu instid0(VALU_DEP_3) | instskip(NEXT) | instid1(VALU_DEP_1)
	v_sub_f32_e32 v31, v31, v65
	v_dual_add_f32 v31, v36, v31 :: v_dual_sub_f32 v36, v37, v30
	s_delay_alu instid0(VALU_DEP_1) | instskip(NEXT) | instid1(VALU_DEP_2)
	v_add_f32_e32 v31, v37, v31
	v_sub_f32_e32 v37, v37, v36
	s_delay_alu instid0(VALU_DEP_2) | instskip(NEXT) | instid1(VALU_DEP_2)
	v_dual_sub_f32 v28, v28, v36 :: v_dual_add_f32 v55, v54, v31
	v_sub_f32_e32 v30, v30, v37
	s_delay_alu instid0(VALU_DEP_2) | instskip(NEXT) | instid1(VALU_DEP_2)
	v_sub_f32_e32 v36, v55, v54
	v_add_f32_e32 v28, v28, v30
	s_delay_alu instid0(VALU_DEP_2) | instskip(NEXT) | instid1(VALU_DEP_1)
	v_sub_f32_e32 v30, v31, v36
	v_add_f32_e32 v28, v28, v30
	s_delay_alu instid0(VALU_DEP_1) | instskip(NEXT) | instid1(VALU_DEP_1)
	v_add_f32_e32 v28, v55, v28
	v_cndmask_b32_e32 v2, v28, v2, vcc_lo
	s_delay_alu instid0(VALU_DEP_1) | instskip(NEXT) | instid1(VALU_DEP_1)
	v_add_f32_e32 v2, v29, v2
	v_cvt_f16_f32_e32 v37, v2
	s_delay_alu instid0(VALU_DEP_1)
	v_cvt_f32_f16_e32 v2, v37
	v_mov_b32_e32 v28, v37
.LBB430_318:
	s_or_b32 exec_lo, exec_lo, s1
	s_delay_alu instid0(VALU_DEP_2) | instskip(SKIP_1) | instid1(VALU_DEP_2)
	v_dual_max_f32 v29, v3, v3 :: v_dual_max_f32 v30, v2, v2
	v_cmp_u_f16_e32 vcc_lo, v37, v37
	v_min_f32_e32 v31, v30, v29
	s_delay_alu instid0(VALU_DEP_1) | instskip(NEXT) | instid1(VALU_DEP_1)
	v_dual_max_f32 v29, v30, v29 :: v_dual_cndmask_b32 v30, v31, v2
	v_cndmask_b32_e32 v29, v29, v2, vcc_lo
	s_delay_alu instid0(VALU_DEP_2) | instskip(NEXT) | instid1(VALU_DEP_2)
	v_cndmask_b32_e64 v30, v30, v3, s3
	v_cndmask_b32_e64 v3, v29, v3, s3
	v_mov_b32_e32 v29, v28
	s_delay_alu instid0(VALU_DEP_3) | instskip(NEXT) | instid1(VALU_DEP_3)
	v_cmp_class_f32_e64 s1, v30, 0x1f8
	v_cmp_neq_f32_e32 vcc_lo, v30, v3
	s_delay_alu instid0(VALU_DEP_2) | instskip(NEXT) | instid1(SALU_CYCLE_1)
	s_or_b32 s2, vcc_lo, s1
	s_and_saveexec_b32 s1, s2
	s_cbranch_execz .LBB430_320
; %bb.319:
	v_sub_f32_e32 v2, v30, v3
	s_mov_b32 s2, 0x3e9b6dac
	s_delay_alu instid0(VALU_DEP_1) | instskip(NEXT) | instid1(VALU_DEP_1)
	v_mul_f32_e32 v29, 0x3fb8aa3b, v2
	v_fma_f32 v30, 0x3fb8aa3b, v2, -v29
	v_rndne_f32_e32 v31, v29
	s_delay_alu instid0(VALU_DEP_1) | instskip(NEXT) | instid1(VALU_DEP_1)
	v_dual_fmamk_f32 v30, v2, 0x32a5705f, v30 :: v_dual_sub_f32 v29, v29, v31
	v_add_f32_e32 v29, v29, v30
	v_cvt_i32_f32_e32 v30, v31
	v_cmp_ngt_f32_e32 vcc_lo, 0xc2ce8ed0, v2
	s_delay_alu instid0(VALU_DEP_3) | instskip(SKIP_2) | instid1(VALU_DEP_1)
	v_exp_f32_e32 v29, v29
	s_waitcnt_depctr 0xfff
	v_ldexp_f32 v29, v29, v30
	v_cndmask_b32_e32 v29, 0, v29, vcc_lo
	v_cmp_nlt_f32_e32 vcc_lo, 0x42b17218, v2
	s_delay_alu instid0(VALU_DEP_2) | instskip(NEXT) | instid1(VALU_DEP_1)
	v_cndmask_b32_e32 v2, 0x7f800000, v29, vcc_lo
	v_add_f32_e32 v31, 1.0, v2
	s_delay_alu instid0(VALU_DEP_1) | instskip(NEXT) | instid1(VALU_DEP_1)
	v_cvt_f64_f32_e32 v[29:30], v31
	v_frexp_exp_i32_f64_e32 v29, v[29:30]
	v_frexp_mant_f32_e32 v30, v31
	s_delay_alu instid0(VALU_DEP_1) | instskip(SKIP_1) | instid1(VALU_DEP_1)
	v_cmp_gt_f32_e32 vcc_lo, 0x3f2aaaab, v30
	v_add_f32_e32 v30, -1.0, v31
	v_sub_f32_e32 v37, v30, v31
	s_delay_alu instid0(VALU_DEP_1) | instskip(NEXT) | instid1(VALU_DEP_1)
	v_dual_sub_f32 v30, v2, v30 :: v_dual_add_f32 v37, 1.0, v37
	v_add_f32_e32 v30, v30, v37
	v_subrev_co_ci_u32_e32 v29, vcc_lo, 0, v29, vcc_lo
	v_cmp_eq_f32_e32 vcc_lo, 0x7f800000, v2
	s_delay_alu instid0(VALU_DEP_2) | instskip(SKIP_1) | instid1(VALU_DEP_2)
	v_sub_nc_u32_e32 v36, 0, v29
	v_cvt_f32_i32_e32 v29, v29
	v_ldexp_f32 v31, v31, v36
	v_ldexp_f32 v30, v30, v36
	s_delay_alu instid0(VALU_DEP_2) | instskip(NEXT) | instid1(VALU_DEP_1)
	v_add_f32_e32 v54, 1.0, v31
	v_dual_add_f32 v36, -1.0, v31 :: v_dual_add_f32 v37, -1.0, v54
	s_delay_alu instid0(VALU_DEP_1) | instskip(NEXT) | instid1(VALU_DEP_2)
	v_add_f32_e32 v55, 1.0, v36
	v_sub_f32_e32 v37, v31, v37
	s_delay_alu instid0(VALU_DEP_2) | instskip(NEXT) | instid1(VALU_DEP_2)
	v_sub_f32_e32 v31, v31, v55
	v_add_f32_e32 v37, v30, v37
	s_delay_alu instid0(VALU_DEP_2) | instskip(NEXT) | instid1(VALU_DEP_1)
	v_add_f32_e32 v30, v30, v31
	v_dual_add_f32 v64, v36, v30 :: v_dual_add_f32 v55, v54, v37
	s_delay_alu instid0(VALU_DEP_1) | instskip(NEXT) | instid1(VALU_DEP_2)
	v_sub_f32_e32 v36, v36, v64
	v_rcp_f32_e32 v31, v55
	v_sub_f32_e32 v54, v54, v55
	s_delay_alu instid0(VALU_DEP_1) | instskip(SKIP_2) | instid1(VALU_DEP_1)
	v_dual_add_f32 v30, v30, v36 :: v_dual_add_f32 v37, v37, v54
	s_waitcnt_depctr 0xfff
	v_mul_f32_e32 v65, v64, v31
	v_mul_f32_e32 v66, v55, v65
	s_delay_alu instid0(VALU_DEP_1) | instskip(NEXT) | instid1(VALU_DEP_1)
	v_fma_f32 v54, v65, v55, -v66
	v_fmac_f32_e32 v54, v65, v37
	s_delay_alu instid0(VALU_DEP_1) | instskip(NEXT) | instid1(VALU_DEP_1)
	v_add_f32_e32 v67, v66, v54
	v_sub_f32_e32 v68, v64, v67
	s_delay_alu instid0(VALU_DEP_1) | instskip(SKIP_1) | instid1(VALU_DEP_2)
	v_sub_f32_e32 v64, v64, v68
	v_sub_f32_e32 v36, v67, v66
	;; [unrolled: 1-line block ×3, first 2 shown]
	s_delay_alu instid0(VALU_DEP_2) | instskip(NEXT) | instid1(VALU_DEP_2)
	v_sub_f32_e32 v36, v36, v54
	v_add_f32_e32 v30, v30, v64
	s_delay_alu instid0(VALU_DEP_1) | instskip(NEXT) | instid1(VALU_DEP_1)
	v_add_f32_e32 v30, v36, v30
	v_add_f32_e32 v36, v68, v30
	s_delay_alu instid0(VALU_DEP_1) | instskip(NEXT) | instid1(VALU_DEP_1)
	v_mul_f32_e32 v54, v31, v36
	v_dual_sub_f32 v67, v68, v36 :: v_dual_mul_f32 v64, v55, v54
	s_delay_alu instid0(VALU_DEP_1) | instskip(NEXT) | instid1(VALU_DEP_2)
	v_add_f32_e32 v30, v30, v67
	v_fma_f32 v55, v54, v55, -v64
	s_delay_alu instid0(VALU_DEP_1) | instskip(NEXT) | instid1(VALU_DEP_1)
	v_fmac_f32_e32 v55, v54, v37
	v_add_f32_e32 v37, v64, v55
	s_delay_alu instid0(VALU_DEP_1) | instskip(SKIP_1) | instid1(VALU_DEP_2)
	v_sub_f32_e32 v66, v36, v37
	v_sub_f32_e32 v64, v37, v64
	;; [unrolled: 1-line block ×3, first 2 shown]
	s_delay_alu instid0(VALU_DEP_1) | instskip(NEXT) | instid1(VALU_DEP_1)
	v_sub_f32_e32 v36, v36, v37
	v_dual_sub_f32 v37, v64, v55 :: v_dual_add_f32 v30, v30, v36
	v_add_f32_e32 v36, v65, v54
	s_delay_alu instid0(VALU_DEP_1) | instskip(NEXT) | instid1(VALU_DEP_1)
	v_dual_add_f32 v30, v37, v30 :: v_dual_sub_f32 v37, v36, v65
	v_add_f32_e32 v30, v66, v30
	s_delay_alu instid0(VALU_DEP_1) | instskip(NEXT) | instid1(VALU_DEP_1)
	v_dual_sub_f32 v37, v54, v37 :: v_dual_mul_f32 v30, v31, v30
	v_add_f32_e32 v30, v37, v30
	s_delay_alu instid0(VALU_DEP_1) | instskip(NEXT) | instid1(VALU_DEP_1)
	v_add_f32_e32 v31, v36, v30
	v_mul_f32_e32 v37, v31, v31
	s_delay_alu instid0(VALU_DEP_1) | instskip(SKIP_2) | instid1(VALU_DEP_3)
	v_fmaak_f32 v54, s2, v37, 0x3ecc95a3
	v_mul_f32_e32 v55, v31, v37
	v_cmp_gt_f32_e64 s2, 0x33800000, |v2|
	v_fmaak_f32 v37, v37, v54, 0x3f2aaada
	v_ldexp_f32 v54, v31, 1
	v_sub_f32_e32 v31, v31, v36
	s_delay_alu instid0(VALU_DEP_4) | instskip(NEXT) | instid1(VALU_DEP_3)
	s_or_b32 vcc_lo, vcc_lo, s2
	v_mul_f32_e32 v37, v55, v37
	s_delay_alu instid0(VALU_DEP_2) | instskip(NEXT) | instid1(VALU_DEP_2)
	v_dual_mul_f32 v55, 0x3f317218, v29 :: v_dual_sub_f32 v30, v30, v31
	v_add_f32_e32 v36, v54, v37
	s_delay_alu instid0(VALU_DEP_2) | instskip(NEXT) | instid1(VALU_DEP_2)
	v_ldexp_f32 v30, v30, 1
	v_sub_f32_e32 v31, v36, v54
	s_delay_alu instid0(VALU_DEP_4) | instskip(NEXT) | instid1(VALU_DEP_2)
	v_fma_f32 v54, 0x3f317218, v29, -v55
	v_sub_f32_e32 v31, v37, v31
	s_delay_alu instid0(VALU_DEP_1) | instskip(NEXT) | instid1(VALU_DEP_1)
	v_dual_fmamk_f32 v29, v29, 0xb102e308, v54 :: v_dual_add_f32 v30, v30, v31
	v_add_f32_e32 v31, v55, v29
	s_delay_alu instid0(VALU_DEP_1) | instskip(NEXT) | instid1(VALU_DEP_1)
	v_sub_f32_e32 v55, v31, v55
	v_sub_f32_e32 v29, v29, v55
	s_delay_alu instid0(VALU_DEP_4) | instskip(NEXT) | instid1(VALU_DEP_1)
	v_add_f32_e32 v37, v36, v30
	v_sub_f32_e32 v36, v37, v36
	s_delay_alu instid0(VALU_DEP_1) | instskip(SKIP_1) | instid1(VALU_DEP_1)
	v_sub_f32_e32 v30, v30, v36
	v_add_f32_e32 v54, v31, v37
	v_sub_f32_e32 v64, v54, v31
	s_delay_alu instid0(VALU_DEP_1) | instskip(NEXT) | instid1(VALU_DEP_4)
	v_sub_f32_e32 v36, v37, v64
	v_add_f32_e32 v37, v29, v30
	v_sub_f32_e32 v65, v54, v64
	s_delay_alu instid0(VALU_DEP_1) | instskip(NEXT) | instid1(VALU_DEP_1)
	v_sub_f32_e32 v31, v31, v65
	v_dual_add_f32 v31, v36, v31 :: v_dual_sub_f32 v36, v37, v29
	s_delay_alu instid0(VALU_DEP_1) | instskip(SKIP_1) | instid1(VALU_DEP_2)
	v_dual_add_f32 v31, v37, v31 :: v_dual_sub_f32 v30, v30, v36
	v_sub_f32_e32 v37, v37, v36
	v_add_f32_e32 v55, v54, v31
	s_delay_alu instid0(VALU_DEP_1) | instskip(NEXT) | instid1(VALU_DEP_1)
	v_dual_sub_f32 v29, v29, v37 :: v_dual_sub_f32 v36, v55, v54
	v_dual_add_f32 v29, v30, v29 :: v_dual_sub_f32 v30, v31, v36
	s_delay_alu instid0(VALU_DEP_1) | instskip(NEXT) | instid1(VALU_DEP_1)
	v_add_f32_e32 v29, v29, v30
	v_add_f32_e32 v29, v55, v29
	s_delay_alu instid0(VALU_DEP_1) | instskip(NEXT) | instid1(VALU_DEP_1)
	v_cndmask_b32_e32 v2, v29, v2, vcc_lo
	v_add_f32_e32 v2, v3, v2
	s_delay_alu instid0(VALU_DEP_1) | instskip(NEXT) | instid1(VALU_DEP_1)
	v_cvt_f16_f32_e32 v37, v2
	v_mov_b32_e32 v29, v37
	v_cvt_f32_f16_e32 v2, v37
.LBB430_320:
	s_or_b32 exec_lo, exec_lo, s1
	v_max_f32_e32 v3, v6, v6
	s_delay_alu instid0(VALU_DEP_2) | instskip(SKIP_1) | instid1(VALU_DEP_2)
	v_max_f32_e32 v30, v2, v2
	v_cmp_u_f16_e32 vcc_lo, v37, v37
	v_min_f32_e32 v31, v30, v3
	s_delay_alu instid0(VALU_DEP_1) | instskip(NEXT) | instid1(VALU_DEP_1)
	v_dual_max_f32 v3, v30, v3 :: v_dual_cndmask_b32 v30, v31, v2
	v_cndmask_b32_e32 v3, v3, v2, vcc_lo
	s_delay_alu instid0(VALU_DEP_2) | instskip(NEXT) | instid1(VALU_DEP_2)
	v_cndmask_b32_e64 v31, v30, v6, s4
	v_cndmask_b32_e64 v3, v3, v6, s4
	v_mov_b32_e32 v30, v29
	s_delay_alu instid0(VALU_DEP_3) | instskip(NEXT) | instid1(VALU_DEP_3)
	v_cmp_class_f32_e64 s1, v31, 0x1f8
	v_cmp_neq_f32_e32 vcc_lo, v31, v3
	s_delay_alu instid0(VALU_DEP_2) | instskip(NEXT) | instid1(SALU_CYCLE_1)
	s_or_b32 s2, vcc_lo, s1
	s_and_saveexec_b32 s1, s2
	s_cbranch_execz .LBB430_322
; %bb.321:
	v_sub_f32_e32 v2, v31, v3
	s_mov_b32 s2, 0x3e9b6dac
	s_delay_alu instid0(VALU_DEP_1) | instskip(SKIP_1) | instid1(VALU_DEP_2)
	v_mul_f32_e32 v6, 0x3fb8aa3b, v2
	v_cmp_ngt_f32_e32 vcc_lo, 0xc2ce8ed0, v2
	v_fma_f32 v30, 0x3fb8aa3b, v2, -v6
	v_rndne_f32_e32 v31, v6
	s_delay_alu instid0(VALU_DEP_2) | instskip(NEXT) | instid1(VALU_DEP_2)
	v_fmamk_f32 v30, v2, 0x32a5705f, v30
	v_sub_f32_e32 v6, v6, v31
	s_delay_alu instid0(VALU_DEP_1) | instskip(SKIP_1) | instid1(VALU_DEP_2)
	v_add_f32_e32 v6, v6, v30
	v_cvt_i32_f32_e32 v30, v31
	v_exp_f32_e32 v6, v6
	s_waitcnt_depctr 0xfff
	v_ldexp_f32 v6, v6, v30
	s_delay_alu instid0(VALU_DEP_1) | instskip(SKIP_1) | instid1(VALU_DEP_2)
	v_cndmask_b32_e32 v6, 0, v6, vcc_lo
	v_cmp_nlt_f32_e32 vcc_lo, 0x42b17218, v2
	v_cndmask_b32_e32 v2, 0x7f800000, v6, vcc_lo
	s_delay_alu instid0(VALU_DEP_1) | instskip(NEXT) | instid1(VALU_DEP_1)
	v_add_f32_e32 v6, 1.0, v2
	v_cvt_f64_f32_e32 v[30:31], v6
	s_delay_alu instid0(VALU_DEP_1) | instskip(SKIP_1) | instid1(VALU_DEP_1)
	v_frexp_exp_i32_f64_e32 v30, v[30:31]
	v_frexp_mant_f32_e32 v31, v6
	v_cmp_gt_f32_e32 vcc_lo, 0x3f2aaaab, v31
	v_add_f32_e32 v31, -1.0, v6
	s_delay_alu instid0(VALU_DEP_1) | instskip(SKIP_1) | instid1(VALU_DEP_2)
	v_sub_f32_e32 v37, v31, v6
	v_sub_f32_e32 v31, v2, v31
	v_add_f32_e32 v37, 1.0, v37
	s_delay_alu instid0(VALU_DEP_1) | instskip(SKIP_1) | instid1(VALU_DEP_1)
	v_add_f32_e32 v31, v31, v37
	v_subrev_co_ci_u32_e32 v30, vcc_lo, 0, v30, vcc_lo
	v_sub_nc_u32_e32 v36, 0, v30
	v_cvt_f32_i32_e32 v30, v30
	s_delay_alu instid0(VALU_DEP_2) | instskip(SKIP_1) | instid1(VALU_DEP_2)
	v_ldexp_f32 v6, v6, v36
	v_ldexp_f32 v31, v31, v36
	v_add_f32_e32 v54, 1.0, v6
	v_add_f32_e32 v36, -1.0, v6
	s_delay_alu instid0(VALU_DEP_1) | instskip(NEXT) | instid1(VALU_DEP_3)
	v_add_f32_e32 v55, 1.0, v36
	v_add_f32_e32 v37, -1.0, v54
	s_delay_alu instid0(VALU_DEP_1) | instskip(NEXT) | instid1(VALU_DEP_3)
	v_sub_f32_e32 v37, v6, v37
	v_sub_f32_e32 v6, v6, v55
	v_cmp_eq_f32_e32 vcc_lo, 0x7f800000, v2
	s_delay_alu instid0(VALU_DEP_3) | instskip(NEXT) | instid1(VALU_DEP_1)
	v_add_f32_e32 v37, v31, v37
	v_dual_add_f32 v6, v31, v6 :: v_dual_add_f32 v55, v54, v37
	s_delay_alu instid0(VALU_DEP_1) | instskip(NEXT) | instid1(VALU_DEP_2)
	v_add_f32_e32 v64, v36, v6
	v_rcp_f32_e32 v31, v55
	s_delay_alu instid0(VALU_DEP_1) | instskip(SKIP_3) | instid1(VALU_DEP_1)
	v_sub_f32_e32 v36, v36, v64
	s_waitcnt_depctr 0xfff
	v_dual_add_f32 v6, v6, v36 :: v_dual_mul_f32 v65, v64, v31
	v_sub_f32_e32 v54, v54, v55
	v_dual_mul_f32 v66, v55, v65 :: v_dual_add_f32 v37, v37, v54
	s_delay_alu instid0(VALU_DEP_1) | instskip(NEXT) | instid1(VALU_DEP_1)
	v_fma_f32 v54, v65, v55, -v66
	v_fmac_f32_e32 v54, v65, v37
	s_delay_alu instid0(VALU_DEP_1) | instskip(NEXT) | instid1(VALU_DEP_1)
	v_add_f32_e32 v67, v66, v54
	v_sub_f32_e32 v68, v64, v67
	v_sub_f32_e32 v36, v67, v66
	s_delay_alu instid0(VALU_DEP_2) | instskip(NEXT) | instid1(VALU_DEP_2)
	v_sub_f32_e32 v64, v64, v68
	v_sub_f32_e32 v36, v36, v54
	s_delay_alu instid0(VALU_DEP_2) | instskip(NEXT) | instid1(VALU_DEP_1)
	v_sub_f32_e32 v64, v64, v67
	v_add_f32_e32 v6, v6, v64
	s_delay_alu instid0(VALU_DEP_1) | instskip(NEXT) | instid1(VALU_DEP_1)
	v_add_f32_e32 v6, v36, v6
	v_add_f32_e32 v36, v68, v6
	s_delay_alu instid0(VALU_DEP_1) | instskip(NEXT) | instid1(VALU_DEP_1)
	v_mul_f32_e32 v54, v31, v36
	v_dual_sub_f32 v67, v68, v36 :: v_dual_mul_f32 v64, v55, v54
	s_delay_alu instid0(VALU_DEP_1) | instskip(NEXT) | instid1(VALU_DEP_2)
	v_add_f32_e32 v6, v6, v67
	v_fma_f32 v55, v54, v55, -v64
	s_delay_alu instid0(VALU_DEP_1) | instskip(NEXT) | instid1(VALU_DEP_1)
	v_fmac_f32_e32 v55, v54, v37
	v_add_f32_e32 v37, v64, v55
	s_delay_alu instid0(VALU_DEP_1) | instskip(SKIP_1) | instid1(VALU_DEP_2)
	v_sub_f32_e32 v66, v36, v37
	v_sub_f32_e32 v64, v37, v64
	;; [unrolled: 1-line block ×3, first 2 shown]
	s_delay_alu instid0(VALU_DEP_1) | instskip(NEXT) | instid1(VALU_DEP_1)
	v_sub_f32_e32 v36, v36, v37
	v_dual_sub_f32 v37, v64, v55 :: v_dual_add_f32 v6, v6, v36
	v_add_f32_e32 v36, v65, v54
	s_delay_alu instid0(VALU_DEP_1) | instskip(NEXT) | instid1(VALU_DEP_1)
	v_dual_add_f32 v6, v37, v6 :: v_dual_sub_f32 v37, v36, v65
	v_add_f32_e32 v6, v66, v6
	s_delay_alu instid0(VALU_DEP_1) | instskip(NEXT) | instid1(VALU_DEP_1)
	v_dual_sub_f32 v37, v54, v37 :: v_dual_mul_f32 v6, v31, v6
	v_add_f32_e32 v6, v37, v6
	s_delay_alu instid0(VALU_DEP_1) | instskip(NEXT) | instid1(VALU_DEP_1)
	v_add_f32_e32 v31, v36, v6
	v_mul_f32_e32 v37, v31, v31
	s_delay_alu instid0(VALU_DEP_1) | instskip(SKIP_2) | instid1(VALU_DEP_3)
	v_fmaak_f32 v54, s2, v37, 0x3ecc95a3
	v_mul_f32_e32 v55, v31, v37
	v_cmp_gt_f32_e64 s2, 0x33800000, |v2|
	v_fmaak_f32 v37, v37, v54, 0x3f2aaada
	v_ldexp_f32 v54, v31, 1
	v_sub_f32_e32 v31, v31, v36
	s_delay_alu instid0(VALU_DEP_4) | instskip(NEXT) | instid1(VALU_DEP_3)
	s_or_b32 vcc_lo, vcc_lo, s2
	v_mul_f32_e32 v37, v55, v37
	s_delay_alu instid0(VALU_DEP_2) | instskip(NEXT) | instid1(VALU_DEP_2)
	v_dual_mul_f32 v55, 0x3f317218, v30 :: v_dual_sub_f32 v6, v6, v31
	v_add_f32_e32 v36, v54, v37
	s_delay_alu instid0(VALU_DEP_2) | instskip(NEXT) | instid1(VALU_DEP_2)
	v_ldexp_f32 v6, v6, 1
	v_sub_f32_e32 v31, v36, v54
	s_delay_alu instid0(VALU_DEP_4) | instskip(NEXT) | instid1(VALU_DEP_1)
	v_fma_f32 v54, 0x3f317218, v30, -v55
	v_dual_sub_f32 v31, v37, v31 :: v_dual_fmamk_f32 v30, v30, 0xb102e308, v54
	s_delay_alu instid0(VALU_DEP_1) | instskip(NEXT) | instid1(VALU_DEP_1)
	v_dual_add_f32 v6, v6, v31 :: v_dual_add_f32 v31, v55, v30
	v_add_f32_e32 v37, v36, v6
	s_delay_alu instid0(VALU_DEP_2) | instskip(NEXT) | instid1(VALU_DEP_2)
	v_sub_f32_e32 v55, v31, v55
	v_add_f32_e32 v54, v31, v37
	v_sub_f32_e32 v36, v37, v36
	s_delay_alu instid0(VALU_DEP_3) | instskip(NEXT) | instid1(VALU_DEP_3)
	v_sub_f32_e32 v30, v30, v55
	v_sub_f32_e32 v64, v54, v31
	s_delay_alu instid0(VALU_DEP_3) | instskip(NEXT) | instid1(VALU_DEP_2)
	v_sub_f32_e32 v6, v6, v36
	v_sub_f32_e32 v65, v54, v64
	s_delay_alu instid0(VALU_DEP_2) | instskip(NEXT) | instid1(VALU_DEP_2)
	v_dual_sub_f32 v36, v37, v64 :: v_dual_add_f32 v37, v30, v6
	v_sub_f32_e32 v31, v31, v65
	s_delay_alu instid0(VALU_DEP_1) | instskip(NEXT) | instid1(VALU_DEP_1)
	v_dual_add_f32 v31, v36, v31 :: v_dual_sub_f32 v36, v37, v30
	v_add_f32_e32 v31, v37, v31
	s_delay_alu instid0(VALU_DEP_2) | instskip(SKIP_1) | instid1(VALU_DEP_3)
	v_sub_f32_e32 v37, v37, v36
	v_sub_f32_e32 v6, v6, v36
	v_add_f32_e32 v55, v54, v31
	s_delay_alu instid0(VALU_DEP_3) | instskip(NEXT) | instid1(VALU_DEP_2)
	v_sub_f32_e32 v30, v30, v37
	v_sub_f32_e32 v36, v55, v54
	s_delay_alu instid0(VALU_DEP_2) | instskip(NEXT) | instid1(VALU_DEP_2)
	v_add_f32_e32 v6, v6, v30
	v_sub_f32_e32 v30, v31, v36
	s_delay_alu instid0(VALU_DEP_1) | instskip(NEXT) | instid1(VALU_DEP_1)
	v_add_f32_e32 v6, v6, v30
	v_add_f32_e32 v6, v55, v6
	s_delay_alu instid0(VALU_DEP_1) | instskip(NEXT) | instid1(VALU_DEP_1)
	v_cndmask_b32_e32 v2, v6, v2, vcc_lo
	v_add_f32_e32 v2, v3, v2
	s_delay_alu instid0(VALU_DEP_1) | instskip(NEXT) | instid1(VALU_DEP_1)
	v_cvt_f16_f32_e32 v37, v2
	v_cvt_f32_f16_e32 v2, v37
	v_mov_b32_e32 v30, v37
.LBB430_322:
	s_or_b32 exec_lo, exec_lo, s1
	s_delay_alu instid0(VALU_DEP_2) | instskip(SKIP_1) | instid1(VALU_DEP_2)
	v_dual_max_f32 v3, v7, v7 :: v_dual_max_f32 v6, v2, v2
	v_cmp_u_f16_e32 vcc_lo, v37, v37
	v_min_f32_e32 v31, v6, v3
	s_delay_alu instid0(VALU_DEP_1) | instskip(NEXT) | instid1(VALU_DEP_1)
	v_dual_max_f32 v3, v6, v3 :: v_dual_cndmask_b32 v6, v31, v2
	v_cndmask_b32_e32 v3, v3, v2, vcc_lo
	v_mov_b32_e32 v31, v30
	s_delay_alu instid0(VALU_DEP_3) | instskip(NEXT) | instid1(VALU_DEP_3)
	v_cndmask_b32_e64 v6, v6, v7, s5
	v_cndmask_b32_e64 v3, v3, v7, s5
	s_delay_alu instid0(VALU_DEP_2) | instskip(NEXT) | instid1(VALU_DEP_2)
	v_cmp_class_f32_e64 s1, v6, 0x1f8
	v_cmp_neq_f32_e32 vcc_lo, v6, v3
	s_delay_alu instid0(VALU_DEP_2) | instskip(NEXT) | instid1(SALU_CYCLE_1)
	s_or_b32 s2, vcc_lo, s1
	s_and_saveexec_b32 s1, s2
	s_cbranch_execz .LBB430_324
; %bb.323:
	v_sub_f32_e32 v2, v6, v3
	s_mov_b32 s2, 0x3e9b6dac
	s_delay_alu instid0(VALU_DEP_1) | instskip(SKIP_1) | instid1(VALU_DEP_2)
	v_mul_f32_e32 v6, 0x3fb8aa3b, v2
	v_cmp_ngt_f32_e32 vcc_lo, 0xc2ce8ed0, v2
	v_fma_f32 v7, 0x3fb8aa3b, v2, -v6
	v_rndne_f32_e32 v31, v6
	s_delay_alu instid0(VALU_DEP_2) | instskip(NEXT) | instid1(VALU_DEP_2)
	v_fmamk_f32 v7, v2, 0x32a5705f, v7
	v_sub_f32_e32 v6, v6, v31
	s_delay_alu instid0(VALU_DEP_1) | instskip(SKIP_1) | instid1(VALU_DEP_2)
	v_add_f32_e32 v6, v6, v7
	v_cvt_i32_f32_e32 v7, v31
	v_exp_f32_e32 v6, v6
	s_waitcnt_depctr 0xfff
	v_ldexp_f32 v6, v6, v7
	s_delay_alu instid0(VALU_DEP_1) | instskip(SKIP_1) | instid1(VALU_DEP_2)
	v_cndmask_b32_e32 v6, 0, v6, vcc_lo
	v_cmp_nlt_f32_e32 vcc_lo, 0x42b17218, v2
	v_cndmask_b32_e32 v2, 0x7f800000, v6, vcc_lo
	s_delay_alu instid0(VALU_DEP_1) | instskip(NEXT) | instid1(VALU_DEP_1)
	v_add_f32_e32 v31, 1.0, v2
	v_cvt_f64_f32_e32 v[6:7], v31
	s_delay_alu instid0(VALU_DEP_1) | instskip(SKIP_1) | instid1(VALU_DEP_1)
	v_frexp_exp_i32_f64_e32 v6, v[6:7]
	v_frexp_mant_f32_e32 v7, v31
	v_cmp_gt_f32_e32 vcc_lo, 0x3f2aaaab, v7
	v_add_f32_e32 v7, -1.0, v31
	s_delay_alu instid0(VALU_DEP_1) | instskip(SKIP_1) | instid1(VALU_DEP_2)
	v_sub_f32_e32 v37, v7, v31
	v_sub_f32_e32 v7, v2, v7
	v_add_f32_e32 v37, 1.0, v37
	s_delay_alu instid0(VALU_DEP_1) | instskip(SKIP_2) | instid1(VALU_DEP_2)
	v_add_f32_e32 v7, v7, v37
	v_subrev_co_ci_u32_e32 v6, vcc_lo, 0, v6, vcc_lo
	v_cmp_eq_f32_e32 vcc_lo, 0x7f800000, v2
	v_sub_nc_u32_e32 v36, 0, v6
	v_cvt_f32_i32_e32 v6, v6
	s_delay_alu instid0(VALU_DEP_2) | instskip(SKIP_1) | instid1(VALU_DEP_2)
	v_ldexp_f32 v31, v31, v36
	v_ldexp_f32 v7, v7, v36
	v_add_f32_e32 v54, 1.0, v31
	s_delay_alu instid0(VALU_DEP_1) | instskip(NEXT) | instid1(VALU_DEP_1)
	v_dual_add_f32 v36, -1.0, v31 :: v_dual_add_f32 v37, -1.0, v54
	v_add_f32_e32 v55, 1.0, v36
	s_delay_alu instid0(VALU_DEP_2) | instskip(NEXT) | instid1(VALU_DEP_2)
	v_sub_f32_e32 v37, v31, v37
	v_sub_f32_e32 v31, v31, v55
	s_delay_alu instid0(VALU_DEP_2) | instskip(NEXT) | instid1(VALU_DEP_2)
	v_add_f32_e32 v37, v7, v37
	v_add_f32_e32 v7, v7, v31
	s_delay_alu instid0(VALU_DEP_1) | instskip(NEXT) | instid1(VALU_DEP_1)
	v_dual_add_f32 v64, v36, v7 :: v_dual_add_f32 v55, v54, v37
	v_sub_f32_e32 v36, v36, v64
	s_delay_alu instid0(VALU_DEP_2) | instskip(SKIP_1) | instid1(VALU_DEP_1)
	v_rcp_f32_e32 v31, v55
	v_sub_f32_e32 v54, v54, v55
	v_add_f32_e32 v37, v37, v54
	s_waitcnt_depctr 0xfff
	v_mul_f32_e32 v65, v64, v31
	s_delay_alu instid0(VALU_DEP_1) | instskip(NEXT) | instid1(VALU_DEP_1)
	v_mul_f32_e32 v66, v55, v65
	v_fma_f32 v54, v65, v55, -v66
	s_delay_alu instid0(VALU_DEP_1) | instskip(NEXT) | instid1(VALU_DEP_1)
	v_fmac_f32_e32 v54, v65, v37
	v_add_f32_e32 v67, v66, v54
	s_delay_alu instid0(VALU_DEP_1) | instskip(NEXT) | instid1(VALU_DEP_1)
	v_sub_f32_e32 v68, v64, v67
	v_sub_f32_e32 v64, v64, v68
	v_add_f32_e32 v7, v7, v36
	v_sub_f32_e32 v36, v67, v66
	s_delay_alu instid0(VALU_DEP_3) | instskip(NEXT) | instid1(VALU_DEP_1)
	v_sub_f32_e32 v64, v64, v67
	v_dual_sub_f32 v36, v36, v54 :: v_dual_add_f32 v7, v7, v64
	s_delay_alu instid0(VALU_DEP_1) | instskip(NEXT) | instid1(VALU_DEP_1)
	v_add_f32_e32 v7, v36, v7
	v_add_f32_e32 v36, v68, v7
	s_delay_alu instid0(VALU_DEP_1) | instskip(NEXT) | instid1(VALU_DEP_1)
	v_mul_f32_e32 v54, v31, v36
	v_dual_sub_f32 v67, v68, v36 :: v_dual_mul_f32 v64, v55, v54
	s_delay_alu instid0(VALU_DEP_1) | instskip(NEXT) | instid1(VALU_DEP_2)
	v_add_f32_e32 v7, v7, v67
	v_fma_f32 v55, v54, v55, -v64
	s_delay_alu instid0(VALU_DEP_1) | instskip(NEXT) | instid1(VALU_DEP_1)
	v_fmac_f32_e32 v55, v54, v37
	v_add_f32_e32 v37, v64, v55
	s_delay_alu instid0(VALU_DEP_1) | instskip(NEXT) | instid1(VALU_DEP_1)
	v_sub_f32_e32 v66, v36, v37
	v_sub_f32_e32 v36, v36, v66
	s_delay_alu instid0(VALU_DEP_1) | instskip(NEXT) | instid1(VALU_DEP_1)
	v_sub_f32_e32 v36, v36, v37
	v_dual_add_f32 v7, v7, v36 :: v_dual_add_f32 v36, v65, v54
	v_sub_f32_e32 v64, v37, v64
	s_delay_alu instid0(VALU_DEP_1) | instskip(NEXT) | instid1(VALU_DEP_1)
	v_sub_f32_e32 v37, v64, v55
	v_add_f32_e32 v7, v37, v7
	s_delay_alu instid0(VALU_DEP_4) | instskip(NEXT) | instid1(VALU_DEP_2)
	v_sub_f32_e32 v37, v36, v65
	v_add_f32_e32 v7, v66, v7
	s_delay_alu instid0(VALU_DEP_2) | instskip(NEXT) | instid1(VALU_DEP_2)
	v_sub_f32_e32 v37, v54, v37
	v_mul_f32_e32 v7, v31, v7
	s_delay_alu instid0(VALU_DEP_1) | instskip(NEXT) | instid1(VALU_DEP_1)
	v_add_f32_e32 v7, v37, v7
	v_add_f32_e32 v31, v36, v7
	s_delay_alu instid0(VALU_DEP_1) | instskip(NEXT) | instid1(VALU_DEP_1)
	v_mul_f32_e32 v37, v31, v31
	v_fmaak_f32 v54, s2, v37, 0x3ecc95a3
	v_mul_f32_e32 v55, v31, v37
	v_cmp_gt_f32_e64 s2, 0x33800000, |v2|
	s_delay_alu instid0(VALU_DEP_3) | instskip(SKIP_2) | instid1(VALU_DEP_4)
	v_fmaak_f32 v37, v37, v54, 0x3f2aaada
	v_ldexp_f32 v54, v31, 1
	v_sub_f32_e32 v31, v31, v36
	s_or_b32 vcc_lo, vcc_lo, s2
	s_delay_alu instid0(VALU_DEP_3) | instskip(SKIP_1) | instid1(VALU_DEP_2)
	v_mul_f32_e32 v37, v55, v37
	v_mul_f32_e32 v55, 0x3f317218, v6
	v_dual_sub_f32 v7, v7, v31 :: v_dual_add_f32 v36, v54, v37
	s_delay_alu instid0(VALU_DEP_1) | instskip(NEXT) | instid1(VALU_DEP_2)
	v_ldexp_f32 v7, v7, 1
	v_sub_f32_e32 v31, v36, v54
	s_delay_alu instid0(VALU_DEP_4) | instskip(NEXT) | instid1(VALU_DEP_1)
	v_fma_f32 v54, 0x3f317218, v6, -v55
	v_dual_sub_f32 v31, v37, v31 :: v_dual_fmamk_f32 v6, v6, 0xb102e308, v54
	s_delay_alu instid0(VALU_DEP_1) | instskip(NEXT) | instid1(VALU_DEP_2)
	v_add_f32_e32 v7, v7, v31
	v_add_f32_e32 v31, v55, v6
	s_delay_alu instid0(VALU_DEP_2) | instskip(NEXT) | instid1(VALU_DEP_2)
	v_add_f32_e32 v37, v36, v7
	v_sub_f32_e32 v55, v31, v55
	s_delay_alu instid0(VALU_DEP_2) | instskip(SKIP_1) | instid1(VALU_DEP_3)
	v_add_f32_e32 v54, v31, v37
	v_sub_f32_e32 v36, v37, v36
	v_sub_f32_e32 v6, v6, v55
	s_delay_alu instid0(VALU_DEP_2) | instskip(NEXT) | instid1(VALU_DEP_1)
	v_dual_sub_f32 v64, v54, v31 :: v_dual_sub_f32 v7, v7, v36
	v_sub_f32_e32 v65, v54, v64
	s_delay_alu instid0(VALU_DEP_2) | instskip(NEXT) | instid1(VALU_DEP_2)
	v_dual_sub_f32 v36, v37, v64 :: v_dual_add_f32 v37, v6, v7
	v_sub_f32_e32 v31, v31, v65
	s_delay_alu instid0(VALU_DEP_1) | instskip(NEXT) | instid1(VALU_DEP_1)
	v_dual_add_f32 v31, v36, v31 :: v_dual_sub_f32 v36, v37, v6
	v_add_f32_e32 v31, v37, v31
	s_delay_alu instid0(VALU_DEP_2) | instskip(SKIP_1) | instid1(VALU_DEP_3)
	v_sub_f32_e32 v37, v37, v36
	v_sub_f32_e32 v7, v7, v36
	v_add_f32_e32 v55, v54, v31
	s_delay_alu instid0(VALU_DEP_3) | instskip(NEXT) | instid1(VALU_DEP_2)
	v_sub_f32_e32 v6, v6, v37
	v_sub_f32_e32 v36, v55, v54
	s_delay_alu instid0(VALU_DEP_2) | instskip(NEXT) | instid1(VALU_DEP_2)
	v_add_f32_e32 v6, v7, v6
	v_sub_f32_e32 v7, v31, v36
	s_delay_alu instid0(VALU_DEP_1) | instskip(NEXT) | instid1(VALU_DEP_1)
	v_add_f32_e32 v6, v6, v7
	v_add_f32_e32 v6, v55, v6
	s_delay_alu instid0(VALU_DEP_1) | instskip(NEXT) | instid1(VALU_DEP_1)
	v_cndmask_b32_e32 v2, v6, v2, vcc_lo
	v_add_f32_e32 v2, v3, v2
	s_delay_alu instid0(VALU_DEP_1) | instskip(NEXT) | instid1(VALU_DEP_1)
	v_cvt_f16_f32_e32 v37, v2
	v_cvt_f32_f16_e32 v2, v37
	v_mov_b32_e32 v31, v37
.LBB430_324:
	s_or_b32 exec_lo, exec_lo, s1
	s_delay_alu instid0(VALU_DEP_2) | instskip(SKIP_1) | instid1(VALU_DEP_3)
	v_dual_max_f32 v3, v13, v13 :: v_dual_max_f32 v6, v2, v2
	v_cmp_u_f16_e32 vcc_lo, v37, v37
	v_mov_b32_e32 v65, v31
	s_delay_alu instid0(VALU_DEP_3) | instskip(NEXT) | instid1(VALU_DEP_1)
	v_min_f32_e32 v7, v6, v3
	v_dual_max_f32 v3, v6, v3 :: v_dual_cndmask_b32 v6, v7, v2
	s_delay_alu instid0(VALU_DEP_1) | instskip(NEXT) | instid1(VALU_DEP_2)
	v_cndmask_b32_e32 v3, v3, v2, vcc_lo
	v_cndmask_b32_e64 v6, v6, v13, s6
	s_delay_alu instid0(VALU_DEP_2) | instskip(NEXT) | instid1(VALU_DEP_2)
	v_cndmask_b32_e64 v3, v3, v13, s6
	v_cmp_class_f32_e64 s1, v6, 0x1f8
	s_delay_alu instid0(VALU_DEP_2) | instskip(NEXT) | instid1(VALU_DEP_2)
	v_cmp_neq_f32_e32 vcc_lo, v6, v3
	s_or_b32 s2, vcc_lo, s1
	s_delay_alu instid0(SALU_CYCLE_1)
	s_and_saveexec_b32 s1, s2
	s_cbranch_execz .LBB430_326
; %bb.325:
	v_sub_f32_e32 v2, v6, v3
	s_mov_b32 s2, 0x3e9b6dac
	s_delay_alu instid0(VALU_DEP_1) | instskip(SKIP_1) | instid1(VALU_DEP_2)
	v_mul_f32_e32 v6, 0x3fb8aa3b, v2
	v_cmp_ngt_f32_e32 vcc_lo, 0xc2ce8ed0, v2
	v_fma_f32 v7, 0x3fb8aa3b, v2, -v6
	v_rndne_f32_e32 v13, v6
	s_delay_alu instid0(VALU_DEP_2) | instskip(NEXT) | instid1(VALU_DEP_2)
	v_fmamk_f32 v7, v2, 0x32a5705f, v7
	v_sub_f32_e32 v6, v6, v13
	s_delay_alu instid0(VALU_DEP_1) | instskip(SKIP_1) | instid1(VALU_DEP_2)
	v_add_f32_e32 v6, v6, v7
	v_cvt_i32_f32_e32 v7, v13
	v_exp_f32_e32 v6, v6
	s_waitcnt_depctr 0xfff
	v_ldexp_f32 v6, v6, v7
	s_delay_alu instid0(VALU_DEP_1) | instskip(SKIP_1) | instid1(VALU_DEP_2)
	v_cndmask_b32_e32 v6, 0, v6, vcc_lo
	v_cmp_nlt_f32_e32 vcc_lo, 0x42b17218, v2
	v_cndmask_b32_e32 v2, 0x7f800000, v6, vcc_lo
	s_delay_alu instid0(VALU_DEP_1) | instskip(NEXT) | instid1(VALU_DEP_1)
	v_add_f32_e32 v13, 1.0, v2
	v_cvt_f64_f32_e32 v[6:7], v13
	s_delay_alu instid0(VALU_DEP_1) | instskip(SKIP_1) | instid1(VALU_DEP_1)
	v_frexp_exp_i32_f64_e32 v6, v[6:7]
	v_frexp_mant_f32_e32 v7, v13
	v_cmp_gt_f32_e32 vcc_lo, 0x3f2aaaab, v7
	v_add_f32_e32 v7, -1.0, v13
	s_delay_alu instid0(VALU_DEP_1) | instskip(NEXT) | instid1(VALU_DEP_1)
	v_sub_f32_e32 v37, v7, v13
	v_add_f32_e32 v37, 1.0, v37
	v_subrev_co_ci_u32_e32 v6, vcc_lo, 0, v6, vcc_lo
	s_delay_alu instid0(VALU_DEP_1) | instskip(SKIP_1) | instid1(VALU_DEP_2)
	v_sub_nc_u32_e32 v36, 0, v6
	v_cvt_f32_i32_e32 v6, v6
	v_ldexp_f32 v13, v13, v36
	s_delay_alu instid0(VALU_DEP_1) | instskip(NEXT) | instid1(VALU_DEP_1)
	v_dual_sub_f32 v7, v2, v7 :: v_dual_add_f32 v54, 1.0, v13
	v_add_f32_e32 v7, v7, v37
	v_cmp_eq_f32_e32 vcc_lo, 0x7f800000, v2
	s_delay_alu instid0(VALU_DEP_3) | instskip(NEXT) | instid1(VALU_DEP_3)
	v_add_f32_e32 v37, -1.0, v54
	v_ldexp_f32 v7, v7, v36
	v_add_f32_e32 v36, -1.0, v13
	s_delay_alu instid0(VALU_DEP_3) | instskip(NEXT) | instid1(VALU_DEP_2)
	v_sub_f32_e32 v37, v13, v37
	v_add_f32_e32 v55, 1.0, v36
	s_delay_alu instid0(VALU_DEP_2) | instskip(NEXT) | instid1(VALU_DEP_2)
	v_add_f32_e32 v37, v7, v37
	v_sub_f32_e32 v13, v13, v55
	s_delay_alu instid0(VALU_DEP_1) | instskip(NEXT) | instid1(VALU_DEP_1)
	v_add_f32_e32 v7, v7, v13
	v_dual_add_f32 v64, v36, v7 :: v_dual_add_f32 v55, v54, v37
	s_delay_alu instid0(VALU_DEP_1) | instskip(NEXT) | instid1(VALU_DEP_2)
	v_sub_f32_e32 v36, v36, v64
	v_rcp_f32_e32 v13, v55
	v_sub_f32_e32 v54, v54, v55
	s_delay_alu instid0(VALU_DEP_1) | instskip(SKIP_2) | instid1(VALU_DEP_1)
	v_add_f32_e32 v37, v37, v54
	s_waitcnt_depctr 0xfff
	v_mul_f32_e32 v65, v64, v13
	v_mul_f32_e32 v66, v55, v65
	s_delay_alu instid0(VALU_DEP_1) | instskip(NEXT) | instid1(VALU_DEP_1)
	v_fma_f32 v54, v65, v55, -v66
	v_fmac_f32_e32 v54, v65, v37
	s_delay_alu instid0(VALU_DEP_1) | instskip(NEXT) | instid1(VALU_DEP_1)
	v_add_f32_e32 v67, v66, v54
	v_sub_f32_e32 v68, v64, v67
	s_delay_alu instid0(VALU_DEP_1) | instskip(SKIP_2) | instid1(VALU_DEP_3)
	v_sub_f32_e32 v64, v64, v68
	v_add_f32_e32 v7, v7, v36
	v_sub_f32_e32 v36, v67, v66
	v_sub_f32_e32 v64, v64, v67
	s_delay_alu instid0(VALU_DEP_1) | instskip(NEXT) | instid1(VALU_DEP_1)
	v_dual_sub_f32 v36, v36, v54 :: v_dual_add_f32 v7, v7, v64
	v_add_f32_e32 v7, v36, v7
	s_delay_alu instid0(VALU_DEP_1) | instskip(NEXT) | instid1(VALU_DEP_1)
	v_add_f32_e32 v36, v68, v7
	v_mul_f32_e32 v54, v13, v36
	s_delay_alu instid0(VALU_DEP_1) | instskip(NEXT) | instid1(VALU_DEP_1)
	v_dual_sub_f32 v67, v68, v36 :: v_dual_mul_f32 v64, v55, v54
	v_add_f32_e32 v7, v7, v67
	s_delay_alu instid0(VALU_DEP_2) | instskip(NEXT) | instid1(VALU_DEP_1)
	v_fma_f32 v55, v54, v55, -v64
	v_fmac_f32_e32 v55, v54, v37
	s_delay_alu instid0(VALU_DEP_1) | instskip(NEXT) | instid1(VALU_DEP_1)
	v_add_f32_e32 v37, v64, v55
	v_sub_f32_e32 v66, v36, v37
	s_delay_alu instid0(VALU_DEP_1) | instskip(NEXT) | instid1(VALU_DEP_1)
	v_sub_f32_e32 v36, v36, v66
	v_sub_f32_e32 v36, v36, v37
	s_delay_alu instid0(VALU_DEP_1) | instskip(SKIP_1) | instid1(VALU_DEP_1)
	v_dual_add_f32 v7, v7, v36 :: v_dual_add_f32 v36, v65, v54
	v_sub_f32_e32 v64, v37, v64
	v_sub_f32_e32 v37, v64, v55
	s_delay_alu instid0(VALU_DEP_1) | instskip(NEXT) | instid1(VALU_DEP_4)
	v_add_f32_e32 v7, v37, v7
	v_sub_f32_e32 v37, v36, v65
	s_delay_alu instid0(VALU_DEP_2) | instskip(NEXT) | instid1(VALU_DEP_2)
	v_add_f32_e32 v7, v66, v7
	v_sub_f32_e32 v37, v54, v37
	s_delay_alu instid0(VALU_DEP_2) | instskip(NEXT) | instid1(VALU_DEP_1)
	v_mul_f32_e32 v7, v13, v7
	v_add_f32_e32 v7, v37, v7
	s_delay_alu instid0(VALU_DEP_1) | instskip(NEXT) | instid1(VALU_DEP_1)
	v_add_f32_e32 v13, v36, v7
	v_mul_f32_e32 v37, v13, v13
	s_delay_alu instid0(VALU_DEP_1) | instskip(SKIP_2) | instid1(VALU_DEP_3)
	v_fmaak_f32 v54, s2, v37, 0x3ecc95a3
	v_mul_f32_e32 v55, v13, v37
	v_cmp_gt_f32_e64 s2, 0x33800000, |v2|
	v_fmaak_f32 v37, v37, v54, 0x3f2aaada
	v_ldexp_f32 v54, v13, 1
	s_delay_alu instid0(VALU_DEP_3) | instskip(SKIP_1) | instid1(VALU_DEP_3)
	s_or_b32 vcc_lo, vcc_lo, s2
	v_sub_f32_e32 v13, v13, v36
	v_mul_f32_e32 v37, v55, v37
	s_delay_alu instid0(VALU_DEP_2) | instskip(NEXT) | instid1(VALU_DEP_2)
	v_sub_f32_e32 v7, v7, v13
	v_add_f32_e32 v36, v54, v37
	s_delay_alu instid0(VALU_DEP_2) | instskip(NEXT) | instid1(VALU_DEP_2)
	v_ldexp_f32 v7, v7, 1
	v_sub_f32_e32 v13, v36, v54
	s_delay_alu instid0(VALU_DEP_1) | instskip(NEXT) | instid1(VALU_DEP_1)
	v_sub_f32_e32 v13, v37, v13
	v_add_f32_e32 v7, v7, v13
	s_delay_alu instid0(VALU_DEP_1) | instskip(NEXT) | instid1(VALU_DEP_1)
	v_add_f32_e32 v37, v36, v7
	v_dual_mul_f32 v55, 0x3f317218, v6 :: v_dual_sub_f32 v36, v37, v36
	s_delay_alu instid0(VALU_DEP_1) | instskip(NEXT) | instid1(VALU_DEP_1)
	v_fma_f32 v54, 0x3f317218, v6, -v55
	v_dual_sub_f32 v7, v7, v36 :: v_dual_fmamk_f32 v6, v6, 0xb102e308, v54
	s_delay_alu instid0(VALU_DEP_1) | instskip(NEXT) | instid1(VALU_DEP_1)
	v_add_f32_e32 v13, v55, v6
	v_add_f32_e32 v54, v13, v37
	s_delay_alu instid0(VALU_DEP_1) | instskip(NEXT) | instid1(VALU_DEP_1)
	v_dual_sub_f32 v55, v13, v55 :: v_dual_sub_f32 v64, v54, v13
	v_sub_f32_e32 v6, v6, v55
	s_delay_alu instid0(VALU_DEP_2) | instskip(NEXT) | instid1(VALU_DEP_2)
	v_sub_f32_e32 v65, v54, v64
	v_dual_sub_f32 v36, v37, v64 :: v_dual_add_f32 v37, v6, v7
	s_delay_alu instid0(VALU_DEP_2) | instskip(NEXT) | instid1(VALU_DEP_1)
	v_sub_f32_e32 v13, v13, v65
	v_dual_add_f32 v13, v36, v13 :: v_dual_sub_f32 v36, v37, v6
	s_delay_alu instid0(VALU_DEP_1) | instskip(NEXT) | instid1(VALU_DEP_2)
	v_add_f32_e32 v13, v37, v13
	v_sub_f32_e32 v37, v37, v36
	v_sub_f32_e32 v7, v7, v36
	s_delay_alu instid0(VALU_DEP_3) | instskip(NEXT) | instid1(VALU_DEP_3)
	v_add_f32_e32 v55, v54, v13
	v_sub_f32_e32 v6, v6, v37
	s_delay_alu instid0(VALU_DEP_2) | instskip(NEXT) | instid1(VALU_DEP_1)
	v_sub_f32_e32 v36, v55, v54
	v_dual_add_f32 v6, v7, v6 :: v_dual_sub_f32 v7, v13, v36
	s_delay_alu instid0(VALU_DEP_1) | instskip(NEXT) | instid1(VALU_DEP_1)
	v_add_f32_e32 v6, v6, v7
	v_add_f32_e32 v6, v55, v6
	s_delay_alu instid0(VALU_DEP_1) | instskip(NEXT) | instid1(VALU_DEP_1)
	v_cndmask_b32_e32 v2, v6, v2, vcc_lo
	v_add_f32_e32 v2, v3, v2
	s_delay_alu instid0(VALU_DEP_1) | instskip(NEXT) | instid1(VALU_DEP_1)
	v_cvt_f16_f32_e32 v37, v2
	v_cvt_f32_f16_e32 v2, v37
	v_mov_b32_e32 v65, v37
.LBB430_326:
	s_or_b32 exec_lo, exec_lo, s1
	s_delay_alu instid0(VALU_DEP_1) | instskip(NEXT) | instid1(VALU_DEP_3)
	v_dual_max_f32 v3, v26, v26 :: v_dual_mov_b32 v66, v65
	v_max_f32_e32 v6, v2, v2
	v_cmp_u_f16_e32 vcc_lo, v37, v37
	s_delay_alu instid0(VALU_DEP_2) | instskip(NEXT) | instid1(VALU_DEP_1)
	v_min_f32_e32 v7, v6, v3
	v_dual_max_f32 v3, v6, v3 :: v_dual_cndmask_b32 v6, v7, v2
	s_delay_alu instid0(VALU_DEP_1) | instskip(NEXT) | instid1(VALU_DEP_2)
	v_cndmask_b32_e32 v3, v3, v2, vcc_lo
	v_cndmask_b32_e64 v6, v6, v26, s7
	s_delay_alu instid0(VALU_DEP_2) | instskip(NEXT) | instid1(VALU_DEP_2)
	v_cndmask_b32_e64 v3, v3, v26, s7
	v_cmp_class_f32_e64 s1, v6, 0x1f8
	s_delay_alu instid0(VALU_DEP_2) | instskip(NEXT) | instid1(VALU_DEP_2)
	v_cmp_neq_f32_e32 vcc_lo, v6, v3
	s_or_b32 s2, vcc_lo, s1
	s_delay_alu instid0(SALU_CYCLE_1)
	s_and_saveexec_b32 s1, s2
	s_cbranch_execz .LBB430_328
; %bb.327:
	v_sub_f32_e32 v2, v6, v3
	s_mov_b32 s2, 0x3e9b6dac
	s_delay_alu instid0(VALU_DEP_1) | instskip(SKIP_1) | instid1(VALU_DEP_2)
	v_mul_f32_e32 v6, 0x3fb8aa3b, v2
	v_cmp_ngt_f32_e32 vcc_lo, 0xc2ce8ed0, v2
	v_fma_f32 v7, 0x3fb8aa3b, v2, -v6
	v_rndne_f32_e32 v13, v6
	s_delay_alu instid0(VALU_DEP_2) | instskip(NEXT) | instid1(VALU_DEP_2)
	v_fmamk_f32 v7, v2, 0x32a5705f, v7
	v_sub_f32_e32 v6, v6, v13
	s_delay_alu instid0(VALU_DEP_1) | instskip(SKIP_1) | instid1(VALU_DEP_2)
	v_add_f32_e32 v6, v6, v7
	v_cvt_i32_f32_e32 v7, v13
	v_exp_f32_e32 v6, v6
	s_waitcnt_depctr 0xfff
	v_ldexp_f32 v6, v6, v7
	s_delay_alu instid0(VALU_DEP_1) | instskip(SKIP_1) | instid1(VALU_DEP_2)
	v_cndmask_b32_e32 v6, 0, v6, vcc_lo
	v_cmp_nlt_f32_e32 vcc_lo, 0x42b17218, v2
	v_cndmask_b32_e32 v2, 0x7f800000, v6, vcc_lo
	s_delay_alu instid0(VALU_DEP_1) | instskip(NEXT) | instid1(VALU_DEP_1)
	v_add_f32_e32 v13, 1.0, v2
	v_cvt_f64_f32_e32 v[6:7], v13
	s_delay_alu instid0(VALU_DEP_1) | instskip(SKIP_1) | instid1(VALU_DEP_1)
	v_frexp_exp_i32_f64_e32 v6, v[6:7]
	v_frexp_mant_f32_e32 v7, v13
	v_cmp_gt_f32_e32 vcc_lo, 0x3f2aaaab, v7
	v_add_f32_e32 v7, -1.0, v13
	s_delay_alu instid0(VALU_DEP_1) | instskip(NEXT) | instid1(VALU_DEP_1)
	v_dual_sub_f32 v36, v7, v13 :: v_dual_sub_f32 v7, v2, v7
	v_add_f32_e32 v36, 1.0, v36
	s_delay_alu instid0(VALU_DEP_1) | instskip(SKIP_2) | instid1(VALU_DEP_2)
	v_add_f32_e32 v7, v7, v36
	v_subrev_co_ci_u32_e32 v6, vcc_lo, 0, v6, vcc_lo
	v_cmp_eq_f32_e32 vcc_lo, 0x7f800000, v2
	v_sub_nc_u32_e32 v26, 0, v6
	v_cvt_f32_i32_e32 v6, v6
	s_delay_alu instid0(VALU_DEP_2) | instskip(SKIP_1) | instid1(VALU_DEP_2)
	v_ldexp_f32 v13, v13, v26
	v_ldexp_f32 v7, v7, v26
	v_add_f32_e32 v37, 1.0, v13
	v_add_f32_e32 v26, -1.0, v13
	s_delay_alu instid0(VALU_DEP_2) | instskip(NEXT) | instid1(VALU_DEP_2)
	v_add_f32_e32 v36, -1.0, v37
	v_add_f32_e32 v54, 1.0, v26
	s_delay_alu instid0(VALU_DEP_2) | instskip(NEXT) | instid1(VALU_DEP_1)
	v_sub_f32_e32 v36, v13, v36
	v_dual_sub_f32 v13, v13, v54 :: v_dual_add_f32 v36, v7, v36
	s_delay_alu instid0(VALU_DEP_1) | instskip(NEXT) | instid1(VALU_DEP_1)
	v_dual_add_f32 v7, v7, v13 :: v_dual_add_f32 v54, v37, v36
	v_sub_f32_e32 v37, v37, v54
	s_delay_alu instid0(VALU_DEP_1) | instskip(NEXT) | instid1(VALU_DEP_1)
	v_dual_add_f32 v55, v26, v7 :: v_dual_add_f32 v36, v36, v37
	v_sub_f32_e32 v26, v26, v55
	s_delay_alu instid0(VALU_DEP_1) | instskip(SKIP_3) | instid1(VALU_DEP_1)
	v_add_f32_e32 v7, v7, v26
	v_rcp_f32_e32 v13, v54
	s_waitcnt_depctr 0xfff
	v_mul_f32_e32 v64, v55, v13
	v_mul_f32_e32 v66, v54, v64
	s_delay_alu instid0(VALU_DEP_1) | instskip(NEXT) | instid1(VALU_DEP_1)
	v_fma_f32 v37, v64, v54, -v66
	v_fmac_f32_e32 v37, v64, v36
	s_delay_alu instid0(VALU_DEP_1) | instskip(NEXT) | instid1(VALU_DEP_1)
	v_add_f32_e32 v67, v66, v37
	v_sub_f32_e32 v68, v55, v67
	s_delay_alu instid0(VALU_DEP_1) | instskip(NEXT) | instid1(VALU_DEP_1)
	v_sub_f32_e32 v55, v55, v68
	v_sub_f32_e32 v55, v55, v67
	;; [unrolled: 1-line block ×3, first 2 shown]
	s_delay_alu instid0(VALU_DEP_1) | instskip(NEXT) | instid1(VALU_DEP_1)
	v_dual_add_f32 v7, v7, v55 :: v_dual_sub_f32 v26, v26, v37
	v_add_f32_e32 v7, v26, v7
	s_delay_alu instid0(VALU_DEP_1) | instskip(NEXT) | instid1(VALU_DEP_1)
	v_add_f32_e32 v26, v68, v7
	v_mul_f32_e32 v37, v13, v26
	s_delay_alu instid0(VALU_DEP_1) | instskip(SKIP_1) | instid1(VALU_DEP_2)
	v_mul_f32_e32 v55, v54, v37
	v_sub_f32_e32 v67, v68, v26
	v_fma_f32 v54, v37, v54, -v55
	s_delay_alu instid0(VALU_DEP_1) | instskip(NEXT) | instid1(VALU_DEP_1)
	v_dual_add_f32 v7, v7, v67 :: v_dual_fmac_f32 v54, v37, v36
	v_add_f32_e32 v36, v55, v54
	s_delay_alu instid0(VALU_DEP_1) | instskip(NEXT) | instid1(VALU_DEP_1)
	v_dual_sub_f32 v66, v26, v36 :: v_dual_sub_f32 v55, v36, v55
	v_sub_f32_e32 v26, v26, v66
	s_delay_alu instid0(VALU_DEP_1) | instskip(NEXT) | instid1(VALU_DEP_1)
	v_sub_f32_e32 v26, v26, v36
	v_dual_add_f32 v7, v7, v26 :: v_dual_add_f32 v26, v64, v37
	s_delay_alu instid0(VALU_DEP_4) | instskip(NEXT) | instid1(VALU_DEP_1)
	v_sub_f32_e32 v36, v55, v54
	v_dual_add_f32 v7, v36, v7 :: v_dual_sub_f32 v36, v26, v64
	s_delay_alu instid0(VALU_DEP_1) | instskip(NEXT) | instid1(VALU_DEP_1)
	v_dual_add_f32 v7, v66, v7 :: v_dual_sub_f32 v36, v37, v36
	v_mul_f32_e32 v7, v13, v7
	s_delay_alu instid0(VALU_DEP_1) | instskip(NEXT) | instid1(VALU_DEP_1)
	v_add_f32_e32 v7, v36, v7
	v_add_f32_e32 v13, v26, v7
	s_delay_alu instid0(VALU_DEP_1) | instskip(NEXT) | instid1(VALU_DEP_1)
	v_mul_f32_e32 v36, v13, v13
	v_fmaak_f32 v37, s2, v36, 0x3ecc95a3
	v_mul_f32_e32 v54, v13, v36
	v_cmp_gt_f32_e64 s2, 0x33800000, |v2|
	s_delay_alu instid0(VALU_DEP_3) | instskip(SKIP_2) | instid1(VALU_DEP_4)
	v_fmaak_f32 v36, v36, v37, 0x3f2aaada
	v_ldexp_f32 v37, v13, 1
	v_sub_f32_e32 v13, v13, v26
	s_or_b32 vcc_lo, vcc_lo, s2
	s_delay_alu instid0(VALU_DEP_1) | instskip(NEXT) | instid1(VALU_DEP_1)
	v_sub_f32_e32 v7, v7, v13
	v_ldexp_f32 v7, v7, 1
	v_mul_f32_e32 v36, v54, v36
	s_delay_alu instid0(VALU_DEP_1) | instskip(NEXT) | instid1(VALU_DEP_1)
	v_add_f32_e32 v26, v37, v36
	v_sub_f32_e32 v13, v26, v37
	s_delay_alu instid0(VALU_DEP_1) | instskip(NEXT) | instid1(VALU_DEP_1)
	v_sub_f32_e32 v13, v36, v13
	v_add_f32_e32 v7, v7, v13
	s_delay_alu instid0(VALU_DEP_1) | instskip(NEXT) | instid1(VALU_DEP_1)
	v_add_f32_e32 v36, v26, v7
	v_sub_f32_e32 v26, v36, v26
	s_delay_alu instid0(VALU_DEP_1) | instskip(SKIP_1) | instid1(VALU_DEP_1)
	v_sub_f32_e32 v7, v7, v26
	v_mul_f32_e32 v54, 0x3f317218, v6
	v_fma_f32 v37, 0x3f317218, v6, -v54
	s_delay_alu instid0(VALU_DEP_1) | instskip(NEXT) | instid1(VALU_DEP_1)
	v_fmamk_f32 v6, v6, 0xb102e308, v37
	v_add_f32_e32 v13, v54, v6
	s_delay_alu instid0(VALU_DEP_1) | instskip(NEXT) | instid1(VALU_DEP_1)
	v_add_f32_e32 v37, v13, v36
	v_sub_f32_e32 v55, v37, v13
	s_delay_alu instid0(VALU_DEP_1) | instskip(SKIP_2) | instid1(VALU_DEP_3)
	v_sub_f32_e32 v64, v37, v55
	v_sub_f32_e32 v26, v36, v55
	;; [unrolled: 1-line block ×4, first 2 shown]
	s_delay_alu instid0(VALU_DEP_1) | instskip(NEXT) | instid1(VALU_DEP_3)
	v_add_f32_e32 v13, v26, v13
	v_sub_f32_e32 v6, v6, v54
	s_delay_alu instid0(VALU_DEP_1) | instskip(NEXT) | instid1(VALU_DEP_1)
	v_add_f32_e32 v36, v6, v7
	v_sub_f32_e32 v26, v36, v6
	s_delay_alu instid0(VALU_DEP_4) | instskip(NEXT) | instid1(VALU_DEP_2)
	v_add_f32_e32 v13, v36, v13
	v_sub_f32_e32 v36, v36, v26
	s_delay_alu instid0(VALU_DEP_2) | instskip(NEXT) | instid1(VALU_DEP_2)
	v_dual_add_f32 v54, v37, v13 :: v_dual_sub_f32 v7, v7, v26
	v_sub_f32_e32 v6, v6, v36
	s_delay_alu instid0(VALU_DEP_2) | instskip(NEXT) | instid1(VALU_DEP_2)
	v_sub_f32_e32 v26, v54, v37
	v_add_f32_e32 v6, v7, v6
	s_delay_alu instid0(VALU_DEP_2) | instskip(NEXT) | instid1(VALU_DEP_1)
	v_sub_f32_e32 v7, v13, v26
	v_add_f32_e32 v6, v6, v7
	s_delay_alu instid0(VALU_DEP_1) | instskip(NEXT) | instid1(VALU_DEP_1)
	v_add_f32_e32 v6, v54, v6
	v_cndmask_b32_e32 v2, v6, v2, vcc_lo
	s_delay_alu instid0(VALU_DEP_1) | instskip(NEXT) | instid1(VALU_DEP_1)
	v_add_f32_e32 v2, v3, v2
	v_cvt_f16_f32_e32 v37, v2
	s_delay_alu instid0(VALU_DEP_1)
	v_cvt_f32_f16_e32 v2, v37
	v_mov_b32_e32 v66, v37
.LBB430_328:
	s_or_b32 exec_lo, exec_lo, s1
	s_delay_alu instid0(VALU_DEP_2) | instskip(SKIP_1) | instid1(VALU_DEP_3)
	v_dual_max_f32 v3, v27, v27 :: v_dual_max_f32 v6, v2, v2
	v_cmp_u_f16_e32 vcc_lo, v37, v37
	v_mov_b32_e32 v67, v66
	s_delay_alu instid0(VALU_DEP_3) | instskip(NEXT) | instid1(VALU_DEP_1)
	v_min_f32_e32 v7, v6, v3
	v_dual_max_f32 v3, v6, v3 :: v_dual_cndmask_b32 v6, v7, v2
	s_delay_alu instid0(VALU_DEP_1) | instskip(NEXT) | instid1(VALU_DEP_2)
	v_cndmask_b32_e32 v3, v3, v2, vcc_lo
	v_cndmask_b32_e64 v6, v6, v27, s8
	s_delay_alu instid0(VALU_DEP_2) | instskip(NEXT) | instid1(VALU_DEP_2)
	v_cndmask_b32_e64 v3, v3, v27, s8
	v_cmp_class_f32_e64 s1, v6, 0x1f8
	s_delay_alu instid0(VALU_DEP_2) | instskip(NEXT) | instid1(VALU_DEP_2)
	v_cmp_neq_f32_e32 vcc_lo, v6, v3
	s_or_b32 s2, vcc_lo, s1
	s_delay_alu instid0(SALU_CYCLE_1)
	s_and_saveexec_b32 s1, s2
	s_cbranch_execz .LBB430_330
; %bb.329:
	v_sub_f32_e32 v2, v6, v3
	s_mov_b32 s2, 0x3e9b6dac
	s_delay_alu instid0(VALU_DEP_1) | instskip(SKIP_1) | instid1(VALU_DEP_2)
	v_mul_f32_e32 v6, 0x3fb8aa3b, v2
	v_cmp_ngt_f32_e32 vcc_lo, 0xc2ce8ed0, v2
	v_fma_f32 v7, 0x3fb8aa3b, v2, -v6
	v_rndne_f32_e32 v13, v6
	s_delay_alu instid0(VALU_DEP_2) | instskip(NEXT) | instid1(VALU_DEP_2)
	v_fmamk_f32 v7, v2, 0x32a5705f, v7
	v_sub_f32_e32 v6, v6, v13
	s_delay_alu instid0(VALU_DEP_1) | instskip(SKIP_1) | instid1(VALU_DEP_2)
	v_add_f32_e32 v6, v6, v7
	v_cvt_i32_f32_e32 v7, v13
	v_exp_f32_e32 v6, v6
	s_waitcnt_depctr 0xfff
	v_ldexp_f32 v6, v6, v7
	s_delay_alu instid0(VALU_DEP_1) | instskip(SKIP_1) | instid1(VALU_DEP_2)
	v_cndmask_b32_e32 v6, 0, v6, vcc_lo
	v_cmp_nlt_f32_e32 vcc_lo, 0x42b17218, v2
	v_cndmask_b32_e32 v2, 0x7f800000, v6, vcc_lo
	s_delay_alu instid0(VALU_DEP_1) | instskip(NEXT) | instid1(VALU_DEP_1)
	v_add_f32_e32 v13, 1.0, v2
	v_cvt_f64_f32_e32 v[6:7], v13
	s_delay_alu instid0(VALU_DEP_1) | instskip(SKIP_1) | instid1(VALU_DEP_1)
	v_frexp_exp_i32_f64_e32 v6, v[6:7]
	v_frexp_mant_f32_e32 v7, v13
	v_cmp_gt_f32_e32 vcc_lo, 0x3f2aaaab, v7
	v_add_f32_e32 v7, -1.0, v13
	s_delay_alu instid0(VALU_DEP_1) | instskip(NEXT) | instid1(VALU_DEP_1)
	v_sub_f32_e32 v27, v7, v13
	v_add_f32_e32 v27, 1.0, v27
	v_subrev_co_ci_u32_e32 v6, vcc_lo, 0, v6, vcc_lo
	v_cmp_eq_f32_e32 vcc_lo, 0x7f800000, v2
	s_delay_alu instid0(VALU_DEP_2) | instskip(SKIP_1) | instid1(VALU_DEP_2)
	v_sub_nc_u32_e32 v26, 0, v6
	v_cvt_f32_i32_e32 v6, v6
	v_ldexp_f32 v13, v13, v26
	s_delay_alu instid0(VALU_DEP_1) | instskip(NEXT) | instid1(VALU_DEP_1)
	v_dual_sub_f32 v7, v2, v7 :: v_dual_add_f32 v36, 1.0, v13
	v_add_f32_e32 v7, v7, v27
	s_delay_alu instid0(VALU_DEP_2) | instskip(NEXT) | instid1(VALU_DEP_2)
	v_add_f32_e32 v27, -1.0, v36
	v_ldexp_f32 v7, v7, v26
	s_delay_alu instid0(VALU_DEP_2) | instskip(NEXT) | instid1(VALU_DEP_1)
	v_dual_add_f32 v26, -1.0, v13 :: v_dual_sub_f32 v27, v13, v27
	v_add_f32_e32 v37, 1.0, v26
	s_delay_alu instid0(VALU_DEP_2) | instskip(NEXT) | instid1(VALU_DEP_2)
	v_add_f32_e32 v27, v7, v27
	v_sub_f32_e32 v13, v13, v37
	s_delay_alu instid0(VALU_DEP_1) | instskip(NEXT) | instid1(VALU_DEP_1)
	v_add_f32_e32 v7, v7, v13
	v_add_f32_e32 v54, v26, v7
	s_delay_alu instid0(VALU_DEP_1) | instskip(NEXT) | instid1(VALU_DEP_1)
	v_dual_sub_f32 v26, v26, v54 :: v_dual_add_f32 v37, v36, v27
	v_rcp_f32_e32 v13, v37
	v_sub_f32_e32 v36, v36, v37
	s_delay_alu instid0(VALU_DEP_1) | instskip(SKIP_2) | instid1(VALU_DEP_1)
	v_add_f32_e32 v27, v27, v36
	s_waitcnt_depctr 0xfff
	v_mul_f32_e32 v55, v54, v13
	v_mul_f32_e32 v64, v37, v55
	s_delay_alu instid0(VALU_DEP_1) | instskip(NEXT) | instid1(VALU_DEP_1)
	v_fma_f32 v36, v55, v37, -v64
	v_fmac_f32_e32 v36, v55, v27
	s_delay_alu instid0(VALU_DEP_1) | instskip(NEXT) | instid1(VALU_DEP_1)
	v_add_f32_e32 v67, v64, v36
	v_sub_f32_e32 v68, v54, v67
	s_delay_alu instid0(VALU_DEP_1) | instskip(SKIP_1) | instid1(VALU_DEP_2)
	v_dual_sub_f32 v54, v54, v68 :: v_dual_add_f32 v7, v7, v26
	v_sub_f32_e32 v26, v67, v64
	v_sub_f32_e32 v54, v54, v67
	s_delay_alu instid0(VALU_DEP_1) | instskip(NEXT) | instid1(VALU_DEP_1)
	v_dual_sub_f32 v26, v26, v36 :: v_dual_add_f32 v7, v7, v54
	v_add_f32_e32 v7, v26, v7
	s_delay_alu instid0(VALU_DEP_1) | instskip(NEXT) | instid1(VALU_DEP_1)
	v_add_f32_e32 v26, v68, v7
	v_mul_f32_e32 v36, v13, v26
	s_delay_alu instid0(VALU_DEP_1) | instskip(NEXT) | instid1(VALU_DEP_1)
	v_mul_f32_e32 v54, v37, v36
	v_fma_f32 v37, v36, v37, -v54
	s_delay_alu instid0(VALU_DEP_1) | instskip(NEXT) | instid1(VALU_DEP_1)
	v_fmac_f32_e32 v37, v36, v27
	v_add_f32_e32 v27, v54, v37
	s_delay_alu instid0(VALU_DEP_1) | instskip(NEXT) | instid1(VALU_DEP_1)
	v_dual_sub_f32 v67, v68, v26 :: v_dual_sub_f32 v64, v26, v27
	v_dual_add_f32 v7, v7, v67 :: v_dual_sub_f32 v26, v26, v64
	s_delay_alu instid0(VALU_DEP_1) | instskip(NEXT) | instid1(VALU_DEP_1)
	v_sub_f32_e32 v26, v26, v27
	v_add_f32_e32 v7, v7, v26
	v_add_f32_e32 v26, v55, v36
	v_sub_f32_e32 v54, v27, v54
	s_delay_alu instid0(VALU_DEP_1) | instskip(NEXT) | instid1(VALU_DEP_1)
	v_sub_f32_e32 v27, v54, v37
	v_add_f32_e32 v7, v27, v7
	s_delay_alu instid0(VALU_DEP_1) | instskip(SKIP_1) | instid1(VALU_DEP_2)
	v_add_f32_e32 v7, v64, v7
	v_sub_f32_e32 v27, v26, v55
	v_mul_f32_e32 v7, v13, v7
	s_delay_alu instid0(VALU_DEP_2) | instskip(NEXT) | instid1(VALU_DEP_1)
	v_sub_f32_e32 v27, v36, v27
	v_add_f32_e32 v7, v27, v7
	s_delay_alu instid0(VALU_DEP_1) | instskip(NEXT) | instid1(VALU_DEP_1)
	v_add_f32_e32 v13, v26, v7
	v_mul_f32_e32 v27, v13, v13
	s_delay_alu instid0(VALU_DEP_1) | instskip(SKIP_2) | instid1(VALU_DEP_3)
	v_fmaak_f32 v36, s2, v27, 0x3ecc95a3
	v_mul_f32_e32 v37, v13, v27
	v_cmp_gt_f32_e64 s2, 0x33800000, |v2|
	v_fmaak_f32 v27, v27, v36, 0x3f2aaada
	v_ldexp_f32 v36, v13, 1
	s_delay_alu instid0(VALU_DEP_3) | instskip(NEXT) | instid1(VALU_DEP_2)
	s_or_b32 vcc_lo, vcc_lo, s2
	v_mul_f32_e32 v27, v37, v27
	s_delay_alu instid0(VALU_DEP_1) | instskip(NEXT) | instid1(VALU_DEP_1)
	v_dual_sub_f32 v13, v13, v26 :: v_dual_add_f32 v26, v36, v27
	v_sub_f32_e32 v7, v7, v13
	s_delay_alu instid0(VALU_DEP_2) | instskip(NEXT) | instid1(VALU_DEP_2)
	v_sub_f32_e32 v13, v26, v36
	v_ldexp_f32 v7, v7, 1
	s_delay_alu instid0(VALU_DEP_2) | instskip(NEXT) | instid1(VALU_DEP_1)
	v_sub_f32_e32 v13, v27, v13
	v_add_f32_e32 v7, v7, v13
	s_delay_alu instid0(VALU_DEP_1) | instskip(SKIP_1) | instid1(VALU_DEP_2)
	v_add_f32_e32 v27, v26, v7
	v_mul_f32_e32 v37, 0x3f317218, v6
	v_sub_f32_e32 v26, v27, v26
	s_delay_alu instid0(VALU_DEP_2) | instskip(NEXT) | instid1(VALU_DEP_1)
	v_fma_f32 v36, 0x3f317218, v6, -v37
	v_dual_sub_f32 v7, v7, v26 :: v_dual_fmamk_f32 v6, v6, 0xb102e308, v36
	s_delay_alu instid0(VALU_DEP_1) | instskip(NEXT) | instid1(VALU_DEP_1)
	v_add_f32_e32 v13, v37, v6
	v_add_f32_e32 v36, v13, v27
	v_sub_f32_e32 v37, v13, v37
	s_delay_alu instid0(VALU_DEP_2) | instskip(NEXT) | instid1(VALU_DEP_1)
	v_sub_f32_e32 v54, v36, v13
	v_dual_sub_f32 v6, v6, v37 :: v_dual_sub_f32 v55, v36, v54
	s_delay_alu instid0(VALU_DEP_1) | instskip(NEXT) | instid1(VALU_DEP_2)
	v_dual_sub_f32 v26, v27, v54 :: v_dual_add_f32 v27, v6, v7
	v_sub_f32_e32 v13, v13, v55
	s_delay_alu instid0(VALU_DEP_1) | instskip(NEXT) | instid1(VALU_DEP_1)
	v_dual_add_f32 v13, v26, v13 :: v_dual_sub_f32 v26, v27, v6
	v_add_f32_e32 v13, v27, v13
	s_delay_alu instid0(VALU_DEP_2) | instskip(SKIP_1) | instid1(VALU_DEP_2)
	v_sub_f32_e32 v27, v27, v26
	v_sub_f32_e32 v7, v7, v26
	v_dual_add_f32 v37, v36, v13 :: v_dual_sub_f32 v6, v6, v27
	s_delay_alu instid0(VALU_DEP_1) | instskip(NEXT) | instid1(VALU_DEP_2)
	v_sub_f32_e32 v26, v37, v36
	v_add_f32_e32 v6, v7, v6
	s_delay_alu instid0(VALU_DEP_2) | instskip(NEXT) | instid1(VALU_DEP_1)
	v_sub_f32_e32 v7, v13, v26
	v_add_f32_e32 v6, v6, v7
	s_delay_alu instid0(VALU_DEP_1) | instskip(NEXT) | instid1(VALU_DEP_1)
	v_add_f32_e32 v6, v37, v6
	v_cndmask_b32_e32 v2, v6, v2, vcc_lo
	s_delay_alu instid0(VALU_DEP_1) | instskip(NEXT) | instid1(VALU_DEP_1)
	v_add_f32_e32 v2, v3, v2
	v_cvt_f16_f32_e32 v37, v2
	s_delay_alu instid0(VALU_DEP_1)
	v_cvt_f32_f16_e32 v2, v37
	v_mov_b32_e32 v67, v37
.LBB430_330:
	s_or_b32 exec_lo, exec_lo, s1
	s_delay_alu instid0(VALU_DEP_2) | instskip(SKIP_1) | instid1(VALU_DEP_2)
	v_dual_max_f32 v3, v53, v53 :: v_dual_max_f32 v6, v2, v2
	v_cmp_u_f16_e32 vcc_lo, v37, v37
	v_dual_mov_b32 v68, v67 :: v_dual_min_f32 v7, v6, v3
	s_delay_alu instid0(VALU_DEP_1) | instskip(NEXT) | instid1(VALU_DEP_1)
	v_dual_max_f32 v3, v6, v3 :: v_dual_cndmask_b32 v6, v7, v2
	v_cndmask_b32_e32 v3, v3, v2, vcc_lo
	s_delay_alu instid0(VALU_DEP_2) | instskip(NEXT) | instid1(VALU_DEP_2)
	v_cndmask_b32_e64 v6, v6, v53, s9
	v_cndmask_b32_e64 v3, v3, v53, s9
	s_delay_alu instid0(VALU_DEP_2) | instskip(NEXT) | instid1(VALU_DEP_2)
	v_cmp_class_f32_e64 s1, v6, 0x1f8
	v_cmp_neq_f32_e32 vcc_lo, v6, v3
	s_delay_alu instid0(VALU_DEP_2) | instskip(NEXT) | instid1(SALU_CYCLE_1)
	s_or_b32 s2, vcc_lo, s1
	s_and_saveexec_b32 s1, s2
	s_cbranch_execz .LBB430_332
; %bb.331:
	v_sub_f32_e32 v2, v6, v3
	s_mov_b32 s2, 0x3e9b6dac
	s_delay_alu instid0(VALU_DEP_1) | instskip(SKIP_1) | instid1(VALU_DEP_2)
	v_mul_f32_e32 v6, 0x3fb8aa3b, v2
	v_cmp_ngt_f32_e32 vcc_lo, 0xc2ce8ed0, v2
	v_fma_f32 v7, 0x3fb8aa3b, v2, -v6
	v_rndne_f32_e32 v13, v6
	s_delay_alu instid0(VALU_DEP_2) | instskip(NEXT) | instid1(VALU_DEP_2)
	v_fmamk_f32 v7, v2, 0x32a5705f, v7
	v_sub_f32_e32 v6, v6, v13
	s_delay_alu instid0(VALU_DEP_1) | instskip(SKIP_1) | instid1(VALU_DEP_2)
	v_add_f32_e32 v6, v6, v7
	v_cvt_i32_f32_e32 v7, v13
	v_exp_f32_e32 v6, v6
	s_waitcnt_depctr 0xfff
	v_ldexp_f32 v6, v6, v7
	s_delay_alu instid0(VALU_DEP_1) | instskip(SKIP_1) | instid1(VALU_DEP_2)
	v_cndmask_b32_e32 v6, 0, v6, vcc_lo
	v_cmp_nlt_f32_e32 vcc_lo, 0x42b17218, v2
	v_cndmask_b32_e32 v2, 0x7f800000, v6, vcc_lo
	s_delay_alu instid0(VALU_DEP_1) | instskip(NEXT) | instid1(VALU_DEP_1)
	v_add_f32_e32 v13, 1.0, v2
	v_cvt_f64_f32_e32 v[6:7], v13
	s_delay_alu instid0(VALU_DEP_1) | instskip(SKIP_1) | instid1(VALU_DEP_1)
	v_frexp_exp_i32_f64_e32 v6, v[6:7]
	v_frexp_mant_f32_e32 v7, v13
	v_cmp_gt_f32_e32 vcc_lo, 0x3f2aaaab, v7
	v_add_f32_e32 v7, -1.0, v13
	s_delay_alu instid0(VALU_DEP_1) | instskip(NEXT) | instid1(VALU_DEP_1)
	v_sub_f32_e32 v27, v7, v13
	v_add_f32_e32 v27, 1.0, v27
	v_subrev_co_ci_u32_e32 v6, vcc_lo, 0, v6, vcc_lo
	v_cmp_eq_f32_e32 vcc_lo, 0x7f800000, v2
	s_delay_alu instid0(VALU_DEP_2) | instskip(SKIP_1) | instid1(VALU_DEP_2)
	v_sub_nc_u32_e32 v26, 0, v6
	v_cvt_f32_i32_e32 v6, v6
	v_ldexp_f32 v13, v13, v26
	s_delay_alu instid0(VALU_DEP_1) | instskip(NEXT) | instid1(VALU_DEP_1)
	v_dual_sub_f32 v7, v2, v7 :: v_dual_add_f32 v36, 1.0, v13
	v_add_f32_e32 v7, v7, v27
	s_delay_alu instid0(VALU_DEP_2) | instskip(NEXT) | instid1(VALU_DEP_2)
	v_add_f32_e32 v27, -1.0, v36
	v_ldexp_f32 v7, v7, v26
	s_delay_alu instid0(VALU_DEP_2) | instskip(NEXT) | instid1(VALU_DEP_1)
	v_dual_add_f32 v26, -1.0, v13 :: v_dual_sub_f32 v27, v13, v27
	v_add_f32_e32 v37, 1.0, v26
	s_delay_alu instid0(VALU_DEP_2) | instskip(NEXT) | instid1(VALU_DEP_2)
	v_add_f32_e32 v27, v7, v27
	v_sub_f32_e32 v13, v13, v37
	s_delay_alu instid0(VALU_DEP_2) | instskip(NEXT) | instid1(VALU_DEP_2)
	v_add_f32_e32 v37, v36, v27
	v_add_f32_e32 v7, v7, v13
	s_delay_alu instid0(VALU_DEP_2) | instskip(NEXT) | instid1(VALU_DEP_1)
	v_rcp_f32_e32 v13, v37
	v_dual_sub_f32 v36, v36, v37 :: v_dual_add_f32 v53, v26, v7
	s_delay_alu instid0(VALU_DEP_1) | instskip(SKIP_2) | instid1(VALU_DEP_1)
	v_dual_add_f32 v27, v27, v36 :: v_dual_sub_f32 v26, v26, v53
	s_waitcnt_depctr 0xfff
	v_mul_f32_e32 v54, v53, v13
	v_mul_f32_e32 v55, v37, v54
	s_delay_alu instid0(VALU_DEP_1) | instskip(NEXT) | instid1(VALU_DEP_1)
	v_fma_f32 v36, v54, v37, -v55
	v_dual_fmac_f32 v36, v54, v27 :: v_dual_add_f32 v7, v7, v26
	s_delay_alu instid0(VALU_DEP_1) | instskip(NEXT) | instid1(VALU_DEP_1)
	v_add_f32_e32 v64, v55, v36
	v_sub_f32_e32 v68, v53, v64
	s_delay_alu instid0(VALU_DEP_1) | instskip(NEXT) | instid1(VALU_DEP_1)
	v_dual_sub_f32 v26, v64, v55 :: v_dual_sub_f32 v53, v53, v68
	v_sub_f32_e32 v26, v26, v36
	s_delay_alu instid0(VALU_DEP_2) | instskip(NEXT) | instid1(VALU_DEP_1)
	v_sub_f32_e32 v53, v53, v64
	v_add_f32_e32 v7, v7, v53
	s_delay_alu instid0(VALU_DEP_1) | instskip(NEXT) | instid1(VALU_DEP_1)
	v_add_f32_e32 v7, v26, v7
	v_add_f32_e32 v26, v68, v7
	s_delay_alu instid0(VALU_DEP_1) | instskip(NEXT) | instid1(VALU_DEP_1)
	v_mul_f32_e32 v36, v13, v26
	v_dual_sub_f32 v64, v68, v26 :: v_dual_mul_f32 v53, v37, v36
	s_delay_alu instid0(VALU_DEP_1) | instskip(NEXT) | instid1(VALU_DEP_2)
	v_add_f32_e32 v7, v7, v64
	v_fma_f32 v37, v36, v37, -v53
	s_delay_alu instid0(VALU_DEP_1) | instskip(NEXT) | instid1(VALU_DEP_1)
	v_fmac_f32_e32 v37, v36, v27
	v_add_f32_e32 v27, v53, v37
	s_delay_alu instid0(VALU_DEP_1) | instskip(NEXT) | instid1(VALU_DEP_1)
	v_sub_f32_e32 v55, v26, v27
	v_dual_sub_f32 v53, v27, v53 :: v_dual_sub_f32 v26, v26, v55
	s_delay_alu instid0(VALU_DEP_1) | instskip(NEXT) | instid1(VALU_DEP_1)
	v_sub_f32_e32 v26, v26, v27
	v_dual_add_f32 v7, v7, v26 :: v_dual_add_f32 v26, v54, v36
	s_delay_alu instid0(VALU_DEP_3) | instskip(NEXT) | instid1(VALU_DEP_1)
	v_sub_f32_e32 v27, v53, v37
	v_add_f32_e32 v7, v27, v7
	s_delay_alu instid0(VALU_DEP_3) | instskip(NEXT) | instid1(VALU_DEP_2)
	v_sub_f32_e32 v27, v26, v54
	v_add_f32_e32 v7, v55, v7
	s_delay_alu instid0(VALU_DEP_2) | instskip(NEXT) | instid1(VALU_DEP_2)
	v_sub_f32_e32 v27, v36, v27
	v_mul_f32_e32 v7, v13, v7
	s_delay_alu instid0(VALU_DEP_1) | instskip(NEXT) | instid1(VALU_DEP_1)
	v_add_f32_e32 v7, v27, v7
	v_add_f32_e32 v13, v26, v7
	s_delay_alu instid0(VALU_DEP_1) | instskip(NEXT) | instid1(VALU_DEP_1)
	v_mul_f32_e32 v27, v13, v13
	v_fmaak_f32 v36, s2, v27, 0x3ecc95a3
	v_mul_f32_e32 v37, v13, v27
	v_cmp_gt_f32_e64 s2, 0x33800000, |v2|
	s_delay_alu instid0(VALU_DEP_3) | instskip(SKIP_2) | instid1(VALU_DEP_4)
	v_fmaak_f32 v27, v27, v36, 0x3f2aaada
	v_ldexp_f32 v36, v13, 1
	v_sub_f32_e32 v13, v13, v26
	s_or_b32 vcc_lo, vcc_lo, s2
	s_delay_alu instid0(VALU_DEP_3) | instskip(SKIP_1) | instid1(VALU_DEP_2)
	v_mul_f32_e32 v27, v37, v27
	v_mul_f32_e32 v37, 0x3f317218, v6
	v_dual_sub_f32 v7, v7, v13 :: v_dual_add_f32 v26, v36, v27
	s_delay_alu instid0(VALU_DEP_1) | instskip(NEXT) | instid1(VALU_DEP_2)
	v_ldexp_f32 v7, v7, 1
	v_sub_f32_e32 v13, v26, v36
	s_delay_alu instid0(VALU_DEP_4) | instskip(NEXT) | instid1(VALU_DEP_1)
	v_fma_f32 v36, 0x3f317218, v6, -v37
	v_dual_sub_f32 v13, v27, v13 :: v_dual_fmamk_f32 v6, v6, 0xb102e308, v36
	s_delay_alu instid0(VALU_DEP_1) | instskip(NEXT) | instid1(VALU_DEP_2)
	v_add_f32_e32 v7, v7, v13
	v_add_f32_e32 v13, v37, v6
	s_delay_alu instid0(VALU_DEP_2) | instskip(NEXT) | instid1(VALU_DEP_2)
	v_add_f32_e32 v27, v26, v7
	v_sub_f32_e32 v37, v13, v37
	s_delay_alu instid0(VALU_DEP_2) | instskip(SKIP_1) | instid1(VALU_DEP_3)
	v_add_f32_e32 v36, v13, v27
	v_sub_f32_e32 v26, v27, v26
	v_sub_f32_e32 v6, v6, v37
	s_delay_alu instid0(VALU_DEP_3) | instskip(NEXT) | instid1(VALU_DEP_1)
	v_sub_f32_e32 v53, v36, v13
	v_dual_sub_f32 v7, v7, v26 :: v_dual_sub_f32 v54, v36, v53
	s_delay_alu instid0(VALU_DEP_1) | instskip(NEXT) | instid1(VALU_DEP_2)
	v_dual_sub_f32 v26, v27, v53 :: v_dual_add_f32 v27, v6, v7
	v_sub_f32_e32 v13, v13, v54
	s_delay_alu instid0(VALU_DEP_1) | instskip(NEXT) | instid1(VALU_DEP_1)
	v_dual_add_f32 v13, v26, v13 :: v_dual_sub_f32 v26, v27, v6
	v_add_f32_e32 v13, v27, v13
	s_delay_alu instid0(VALU_DEP_2) | instskip(SKIP_1) | instid1(VALU_DEP_2)
	v_sub_f32_e32 v27, v27, v26
	v_sub_f32_e32 v7, v7, v26
	v_dual_add_f32 v37, v36, v13 :: v_dual_sub_f32 v6, v6, v27
	s_delay_alu instid0(VALU_DEP_1) | instskip(NEXT) | instid1(VALU_DEP_2)
	v_sub_f32_e32 v26, v37, v36
	v_add_f32_e32 v6, v7, v6
	s_delay_alu instid0(VALU_DEP_2) | instskip(NEXT) | instid1(VALU_DEP_1)
	v_sub_f32_e32 v7, v13, v26
	v_add_f32_e32 v6, v6, v7
	s_delay_alu instid0(VALU_DEP_1) | instskip(NEXT) | instid1(VALU_DEP_1)
	v_add_f32_e32 v6, v37, v6
	v_cndmask_b32_e32 v2, v6, v2, vcc_lo
	s_delay_alu instid0(VALU_DEP_1) | instskip(NEXT) | instid1(VALU_DEP_1)
	v_add_f32_e32 v2, v3, v2
	v_cvt_f16_f32_e32 v37, v2
	s_delay_alu instid0(VALU_DEP_1)
	v_cvt_f32_f16_e32 v2, v37
	v_mov_b32_e32 v68, v37
.LBB430_332:
	s_or_b32 exec_lo, exec_lo, s1
	s_delay_alu instid0(VALU_DEP_2) | instskip(SKIP_1) | instid1(VALU_DEP_3)
	v_dual_max_f32 v3, v24, v24 :: v_dual_max_f32 v6, v2, v2
	v_cmp_u_f16_e32 vcc_lo, v37, v37
	v_mov_b32_e32 v69, v68
	s_delay_alu instid0(VALU_DEP_3) | instskip(NEXT) | instid1(VALU_DEP_1)
	v_min_f32_e32 v7, v6, v3
	v_dual_max_f32 v3, v6, v3 :: v_dual_cndmask_b32 v6, v7, v2
	s_delay_alu instid0(VALU_DEP_1) | instskip(NEXT) | instid1(VALU_DEP_2)
	v_cndmask_b32_e32 v3, v3, v2, vcc_lo
	v_cndmask_b32_e64 v6, v6, v24, s10
	s_delay_alu instid0(VALU_DEP_2) | instskip(NEXT) | instid1(VALU_DEP_2)
	v_cndmask_b32_e64 v3, v3, v24, s10
	v_cmp_class_f32_e64 s1, v6, 0x1f8
	s_delay_alu instid0(VALU_DEP_2) | instskip(NEXT) | instid1(VALU_DEP_2)
	v_cmp_neq_f32_e32 vcc_lo, v6, v3
	s_or_b32 s2, vcc_lo, s1
	s_delay_alu instid0(SALU_CYCLE_1)
	s_and_saveexec_b32 s1, s2
	s_cbranch_execz .LBB430_334
; %bb.333:
	v_sub_f32_e32 v2, v6, v3
	s_mov_b32 s2, 0x3e9b6dac
	s_delay_alu instid0(VALU_DEP_1) | instskip(SKIP_1) | instid1(VALU_DEP_2)
	v_mul_f32_e32 v6, 0x3fb8aa3b, v2
	v_cmp_ngt_f32_e32 vcc_lo, 0xc2ce8ed0, v2
	v_fma_f32 v7, 0x3fb8aa3b, v2, -v6
	v_rndne_f32_e32 v13, v6
	s_delay_alu instid0(VALU_DEP_2) | instskip(NEXT) | instid1(VALU_DEP_2)
	v_fmamk_f32 v7, v2, 0x32a5705f, v7
	v_sub_f32_e32 v6, v6, v13
	s_delay_alu instid0(VALU_DEP_1) | instskip(SKIP_1) | instid1(VALU_DEP_2)
	v_add_f32_e32 v6, v6, v7
	v_cvt_i32_f32_e32 v7, v13
	v_exp_f32_e32 v6, v6
	s_waitcnt_depctr 0xfff
	v_ldexp_f32 v6, v6, v7
	s_delay_alu instid0(VALU_DEP_1) | instskip(SKIP_1) | instid1(VALU_DEP_2)
	v_cndmask_b32_e32 v6, 0, v6, vcc_lo
	v_cmp_nlt_f32_e32 vcc_lo, 0x42b17218, v2
	v_cndmask_b32_e32 v2, 0x7f800000, v6, vcc_lo
	s_delay_alu instid0(VALU_DEP_1) | instskip(NEXT) | instid1(VALU_DEP_1)
	v_add_f32_e32 v13, 1.0, v2
	v_cvt_f64_f32_e32 v[6:7], v13
	s_delay_alu instid0(VALU_DEP_1) | instskip(SKIP_1) | instid1(VALU_DEP_1)
	v_frexp_exp_i32_f64_e32 v6, v[6:7]
	v_frexp_mant_f32_e32 v7, v13
	v_cmp_gt_f32_e32 vcc_lo, 0x3f2aaaab, v7
	v_add_f32_e32 v7, -1.0, v13
	s_delay_alu instid0(VALU_DEP_1) | instskip(NEXT) | instid1(VALU_DEP_1)
	v_dual_sub_f32 v26, v7, v13 :: v_dual_sub_f32 v7, v2, v7
	v_add_f32_e32 v26, 1.0, v26
	v_subrev_co_ci_u32_e32 v6, vcc_lo, 0, v6, vcc_lo
	s_delay_alu instid0(VALU_DEP_1) | instskip(SKIP_1) | instid1(VALU_DEP_2)
	v_sub_nc_u32_e32 v24, 0, v6
	v_cvt_f32_i32_e32 v6, v6
	v_ldexp_f32 v13, v13, v24
	s_delay_alu instid0(VALU_DEP_1) | instskip(NEXT) | instid1(VALU_DEP_1)
	v_add_f32_e32 v27, 1.0, v13
	v_dual_add_f32 v7, v7, v26 :: v_dual_add_f32 v26, -1.0, v27
	s_delay_alu instid0(VALU_DEP_1) | instskip(SKIP_1) | instid1(VALU_DEP_3)
	v_ldexp_f32 v7, v7, v24
	v_add_f32_e32 v24, -1.0, v13
	v_sub_f32_e32 v26, v13, v26
	s_delay_alu instid0(VALU_DEP_2) | instskip(NEXT) | instid1(VALU_DEP_1)
	v_add_f32_e32 v36, 1.0, v24
	v_dual_add_f32 v26, v7, v26 :: v_dual_sub_f32 v13, v13, v36
	v_cmp_eq_f32_e32 vcc_lo, 0x7f800000, v2
	s_delay_alu instid0(VALU_DEP_2) | instskip(NEXT) | instid1(VALU_DEP_3)
	v_add_f32_e32 v36, v27, v26
	v_add_f32_e32 v7, v7, v13
	s_delay_alu instid0(VALU_DEP_2) | instskip(SKIP_1) | instid1(VALU_DEP_2)
	v_rcp_f32_e32 v13, v36
	v_sub_f32_e32 v27, v27, v36
	v_add_f32_e32 v37, v24, v7
	s_delay_alu instid0(VALU_DEP_1) | instskip(SKIP_2) | instid1(VALU_DEP_1)
	v_sub_f32_e32 v24, v24, v37
	s_waitcnt_depctr 0xfff
	v_dual_add_f32 v26, v26, v27 :: v_dual_mul_f32 v53, v37, v13
	v_dual_add_f32 v7, v7, v24 :: v_dual_mul_f32 v54, v36, v53
	s_delay_alu instid0(VALU_DEP_1) | instskip(NEXT) | instid1(VALU_DEP_1)
	v_fma_f32 v27, v53, v36, -v54
	v_fmac_f32_e32 v27, v53, v26
	s_delay_alu instid0(VALU_DEP_1) | instskip(NEXT) | instid1(VALU_DEP_1)
	v_add_f32_e32 v55, v54, v27
	v_sub_f32_e32 v64, v37, v55
	s_delay_alu instid0(VALU_DEP_1) | instskip(NEXT) | instid1(VALU_DEP_1)
	v_dual_sub_f32 v24, v55, v54 :: v_dual_sub_f32 v37, v37, v64
	v_sub_f32_e32 v24, v24, v27
	s_delay_alu instid0(VALU_DEP_2) | instskip(NEXT) | instid1(VALU_DEP_1)
	v_sub_f32_e32 v37, v37, v55
	v_add_f32_e32 v7, v7, v37
	s_delay_alu instid0(VALU_DEP_1) | instskip(NEXT) | instid1(VALU_DEP_1)
	v_add_f32_e32 v7, v24, v7
	v_add_f32_e32 v24, v64, v7
	s_delay_alu instid0(VALU_DEP_1) | instskip(NEXT) | instid1(VALU_DEP_1)
	v_mul_f32_e32 v27, v13, v24
	v_mul_f32_e32 v37, v36, v27
	s_delay_alu instid0(VALU_DEP_1) | instskip(NEXT) | instid1(VALU_DEP_1)
	v_fma_f32 v36, v27, v36, -v37
	v_fmac_f32_e32 v36, v27, v26
	s_delay_alu instid0(VALU_DEP_1) | instskip(NEXT) | instid1(VALU_DEP_1)
	v_add_f32_e32 v26, v37, v36
	v_sub_f32_e32 v54, v24, v26
	v_sub_f32_e32 v55, v64, v24
	s_delay_alu instid0(VALU_DEP_2) | instskip(NEXT) | instid1(VALU_DEP_1)
	v_dual_sub_f32 v37, v26, v37 :: v_dual_sub_f32 v24, v24, v54
	v_dual_add_f32 v7, v7, v55 :: v_dual_sub_f32 v24, v24, v26
	s_delay_alu instid0(VALU_DEP_1) | instskip(NEXT) | instid1(VALU_DEP_3)
	v_dual_add_f32 v7, v7, v24 :: v_dual_add_f32 v24, v53, v27
	v_sub_f32_e32 v26, v37, v36
	s_delay_alu instid0(VALU_DEP_1) | instskip(NEXT) | instid1(VALU_DEP_1)
	v_dual_add_f32 v7, v26, v7 :: v_dual_sub_f32 v26, v24, v53
	v_dual_add_f32 v7, v54, v7 :: v_dual_sub_f32 v26, v27, v26
	s_delay_alu instid0(VALU_DEP_1) | instskip(NEXT) | instid1(VALU_DEP_1)
	v_mul_f32_e32 v7, v13, v7
	v_add_f32_e32 v7, v26, v7
	s_delay_alu instid0(VALU_DEP_1) | instskip(NEXT) | instid1(VALU_DEP_1)
	v_add_f32_e32 v13, v24, v7
	v_mul_f32_e32 v26, v13, v13
	s_delay_alu instid0(VALU_DEP_1) | instskip(SKIP_2) | instid1(VALU_DEP_3)
	v_fmaak_f32 v27, s2, v26, 0x3ecc95a3
	v_mul_f32_e32 v36, v13, v26
	v_cmp_gt_f32_e64 s2, 0x33800000, |v2|
	v_fmaak_f32 v26, v26, v27, 0x3f2aaada
	v_ldexp_f32 v27, v13, 1
	v_sub_f32_e32 v13, v13, v24
	s_delay_alu instid0(VALU_DEP_4) | instskip(NEXT) | instid1(VALU_DEP_1)
	s_or_b32 vcc_lo, vcc_lo, s2
	v_dual_sub_f32 v7, v7, v13 :: v_dual_mul_f32 v26, v36, v26
	s_delay_alu instid0(VALU_DEP_1) | instskip(NEXT) | instid1(VALU_DEP_2)
	v_ldexp_f32 v7, v7, 1
	v_add_f32_e32 v24, v27, v26
	s_delay_alu instid0(VALU_DEP_1) | instskip(NEXT) | instid1(VALU_DEP_1)
	v_dual_mul_f32 v36, 0x3f317218, v6 :: v_dual_sub_f32 v13, v24, v27
	v_fma_f32 v27, 0x3f317218, v6, -v36
	s_delay_alu instid0(VALU_DEP_2) | instskip(NEXT) | instid1(VALU_DEP_1)
	v_sub_f32_e32 v13, v26, v13
	v_add_f32_e32 v7, v7, v13
	s_delay_alu instid0(VALU_DEP_1) | instskip(NEXT) | instid1(VALU_DEP_4)
	v_add_f32_e32 v26, v24, v7
	v_fmamk_f32 v6, v6, 0xb102e308, v27
	s_delay_alu instid0(VALU_DEP_1) | instskip(NEXT) | instid1(VALU_DEP_1)
	v_dual_sub_f32 v24, v26, v24 :: v_dual_add_f32 v13, v36, v6
	v_add_f32_e32 v27, v13, v26
	s_delay_alu instid0(VALU_DEP_1) | instskip(NEXT) | instid1(VALU_DEP_1)
	v_sub_f32_e32 v37, v27, v13
	v_sub_f32_e32 v53, v27, v37
	s_delay_alu instid0(VALU_DEP_4) | instskip(SKIP_1) | instid1(VALU_DEP_3)
	v_dual_sub_f32 v7, v7, v24 :: v_dual_sub_f32 v24, v26, v37
	v_sub_f32_e32 v36, v13, v36
	v_sub_f32_e32 v13, v13, v53
	s_delay_alu instid0(VALU_DEP_1) | instskip(NEXT) | instid1(VALU_DEP_1)
	v_dual_add_f32 v13, v24, v13 :: v_dual_sub_f32 v6, v6, v36
	v_add_f32_e32 v26, v6, v7
	s_delay_alu instid0(VALU_DEP_1) | instskip(NEXT) | instid1(VALU_DEP_3)
	v_sub_f32_e32 v24, v26, v6
	v_add_f32_e32 v13, v26, v13
	s_delay_alu instid0(VALU_DEP_2) | instskip(NEXT) | instid1(VALU_DEP_2)
	v_sub_f32_e32 v26, v26, v24
	v_add_f32_e32 v36, v27, v13
	s_delay_alu instid0(VALU_DEP_2) | instskip(NEXT) | instid1(VALU_DEP_2)
	v_dual_sub_f32 v7, v7, v24 :: v_dual_sub_f32 v6, v6, v26
	v_sub_f32_e32 v24, v36, v27
	s_delay_alu instid0(VALU_DEP_1) | instskip(NEXT) | instid1(VALU_DEP_1)
	v_dual_add_f32 v6, v7, v6 :: v_dual_sub_f32 v7, v13, v24
	v_add_f32_e32 v6, v6, v7
	s_delay_alu instid0(VALU_DEP_1) | instskip(NEXT) | instid1(VALU_DEP_1)
	v_add_f32_e32 v6, v36, v6
	v_cndmask_b32_e32 v2, v6, v2, vcc_lo
	s_delay_alu instid0(VALU_DEP_1) | instskip(NEXT) | instid1(VALU_DEP_1)
	v_add_f32_e32 v2, v3, v2
	v_cvt_f16_f32_e32 v37, v2
	s_delay_alu instid0(VALU_DEP_1)
	v_cvt_f32_f16_e32 v2, v37
	v_mov_b32_e32 v69, v37
.LBB430_334:
	s_or_b32 exec_lo, exec_lo, s1
	s_delay_alu instid0(VALU_DEP_2) | instskip(SKIP_1) | instid1(VALU_DEP_2)
	v_dual_max_f32 v3, v52, v52 :: v_dual_max_f32 v6, v2, v2
	v_cmp_u_f16_e32 vcc_lo, v37, v37
	v_dual_mov_b32 v70, v69 :: v_dual_min_f32 v7, v6, v3
	s_delay_alu instid0(VALU_DEP_1) | instskip(NEXT) | instid1(VALU_DEP_1)
	v_dual_max_f32 v3, v6, v3 :: v_dual_cndmask_b32 v6, v7, v2
	v_cndmask_b32_e32 v3, v3, v2, vcc_lo
	s_delay_alu instid0(VALU_DEP_2) | instskip(NEXT) | instid1(VALU_DEP_2)
	v_cndmask_b32_e64 v6, v6, v52, s11
	v_cndmask_b32_e64 v3, v3, v52, s11
	s_delay_alu instid0(VALU_DEP_2) | instskip(NEXT) | instid1(VALU_DEP_2)
	v_cmp_class_f32_e64 s1, v6, 0x1f8
	v_cmp_neq_f32_e32 vcc_lo, v6, v3
	s_delay_alu instid0(VALU_DEP_2) | instskip(NEXT) | instid1(SALU_CYCLE_1)
	s_or_b32 s2, vcc_lo, s1
	s_and_saveexec_b32 s1, s2
	s_cbranch_execz .LBB430_336
; %bb.335:
	v_sub_f32_e32 v2, v6, v3
	s_mov_b32 s2, 0x3e9b6dac
	s_delay_alu instid0(VALU_DEP_1) | instskip(SKIP_1) | instid1(VALU_DEP_2)
	v_mul_f32_e32 v6, 0x3fb8aa3b, v2
	v_cmp_ngt_f32_e32 vcc_lo, 0xc2ce8ed0, v2
	v_fma_f32 v7, 0x3fb8aa3b, v2, -v6
	v_rndne_f32_e32 v13, v6
	s_delay_alu instid0(VALU_DEP_2) | instskip(NEXT) | instid1(VALU_DEP_2)
	v_fmamk_f32 v7, v2, 0x32a5705f, v7
	v_sub_f32_e32 v6, v6, v13
	s_delay_alu instid0(VALU_DEP_1) | instskip(SKIP_1) | instid1(VALU_DEP_2)
	v_add_f32_e32 v6, v6, v7
	v_cvt_i32_f32_e32 v7, v13
	v_exp_f32_e32 v6, v6
	s_waitcnt_depctr 0xfff
	v_ldexp_f32 v6, v6, v7
	s_delay_alu instid0(VALU_DEP_1) | instskip(SKIP_1) | instid1(VALU_DEP_2)
	v_cndmask_b32_e32 v6, 0, v6, vcc_lo
	v_cmp_nlt_f32_e32 vcc_lo, 0x42b17218, v2
	v_cndmask_b32_e32 v2, 0x7f800000, v6, vcc_lo
	s_delay_alu instid0(VALU_DEP_1) | instskip(NEXT) | instid1(VALU_DEP_1)
	v_add_f32_e32 v13, 1.0, v2
	v_cvt_f64_f32_e32 v[6:7], v13
	s_delay_alu instid0(VALU_DEP_1) | instskip(SKIP_1) | instid1(VALU_DEP_1)
	v_frexp_exp_i32_f64_e32 v6, v[6:7]
	v_frexp_mant_f32_e32 v7, v13
	v_cmp_gt_f32_e32 vcc_lo, 0x3f2aaaab, v7
	v_add_f32_e32 v7, -1.0, v13
	s_delay_alu instid0(VALU_DEP_1) | instskip(NEXT) | instid1(VALU_DEP_1)
	v_dual_sub_f32 v26, v7, v13 :: v_dual_sub_f32 v7, v2, v7
	v_add_f32_e32 v26, 1.0, v26
	v_subrev_co_ci_u32_e32 v6, vcc_lo, 0, v6, vcc_lo
	s_delay_alu instid0(VALU_DEP_1) | instskip(SKIP_1) | instid1(VALU_DEP_2)
	v_sub_nc_u32_e32 v24, 0, v6
	v_cvt_f32_i32_e32 v6, v6
	v_ldexp_f32 v13, v13, v24
	s_delay_alu instid0(VALU_DEP_1) | instskip(NEXT) | instid1(VALU_DEP_1)
	v_add_f32_e32 v27, 1.0, v13
	v_dual_add_f32 v7, v7, v26 :: v_dual_add_f32 v26, -1.0, v27
	s_delay_alu instid0(VALU_DEP_1) | instskip(SKIP_1) | instid1(VALU_DEP_3)
	v_ldexp_f32 v7, v7, v24
	v_add_f32_e32 v24, -1.0, v13
	v_sub_f32_e32 v26, v13, v26
	s_delay_alu instid0(VALU_DEP_2) | instskip(NEXT) | instid1(VALU_DEP_1)
	v_add_f32_e32 v36, 1.0, v24
	v_dual_add_f32 v26, v7, v26 :: v_dual_sub_f32 v13, v13, v36
	v_cmp_eq_f32_e32 vcc_lo, 0x7f800000, v2
	s_delay_alu instid0(VALU_DEP_2) | instskip(NEXT) | instid1(VALU_DEP_3)
	v_add_f32_e32 v36, v27, v26
	v_add_f32_e32 v7, v7, v13
	s_delay_alu instid0(VALU_DEP_2) | instskip(SKIP_1) | instid1(VALU_DEP_2)
	v_rcp_f32_e32 v13, v36
	v_sub_f32_e32 v27, v27, v36
	v_add_f32_e32 v37, v24, v7
	s_delay_alu instid0(VALU_DEP_2) | instskip(NEXT) | instid1(VALU_DEP_2)
	v_add_f32_e32 v26, v26, v27
	v_sub_f32_e32 v24, v24, v37
	s_waitcnt_depctr 0xfff
	v_dual_mul_f32 v52, v37, v13 :: v_dual_add_f32 v7, v7, v24
	s_delay_alu instid0(VALU_DEP_1) | instskip(NEXT) | instid1(VALU_DEP_1)
	v_mul_f32_e32 v53, v36, v52
	v_fma_f32 v27, v52, v36, -v53
	s_delay_alu instid0(VALU_DEP_1) | instskip(NEXT) | instid1(VALU_DEP_1)
	v_fmac_f32_e32 v27, v52, v26
	v_add_f32_e32 v54, v53, v27
	s_delay_alu instid0(VALU_DEP_1) | instskip(NEXT) | instid1(VALU_DEP_1)
	v_sub_f32_e32 v55, v37, v54
	v_sub_f32_e32 v37, v37, v55
	s_delay_alu instid0(VALU_DEP_1) | instskip(NEXT) | instid1(VALU_DEP_1)
	v_sub_f32_e32 v37, v37, v54
	v_add_f32_e32 v7, v7, v37
	v_sub_f32_e32 v24, v54, v53
	s_delay_alu instid0(VALU_DEP_1) | instskip(NEXT) | instid1(VALU_DEP_1)
	v_sub_f32_e32 v24, v24, v27
	v_add_f32_e32 v7, v24, v7
	s_delay_alu instid0(VALU_DEP_1) | instskip(NEXT) | instid1(VALU_DEP_1)
	v_add_f32_e32 v24, v55, v7
	v_mul_f32_e32 v27, v13, v24
	s_delay_alu instid0(VALU_DEP_1) | instskip(NEXT) | instid1(VALU_DEP_1)
	v_mul_f32_e32 v37, v36, v27
	v_fma_f32 v36, v27, v36, -v37
	s_delay_alu instid0(VALU_DEP_1) | instskip(NEXT) | instid1(VALU_DEP_1)
	v_fmac_f32_e32 v36, v27, v26
	v_add_f32_e32 v26, v37, v36
	s_delay_alu instid0(VALU_DEP_1) | instskip(SKIP_1) | instid1(VALU_DEP_1)
	v_sub_f32_e32 v37, v26, v37
	v_dual_sub_f32 v53, v24, v26 :: v_dual_sub_f32 v54, v55, v24
	v_dual_sub_f32 v24, v24, v53 :: v_dual_add_f32 v7, v7, v54
	s_delay_alu instid0(VALU_DEP_1) | instskip(NEXT) | instid1(VALU_DEP_4)
	v_sub_f32_e32 v24, v24, v26
	v_sub_f32_e32 v26, v37, v36
	s_delay_alu instid0(VALU_DEP_2) | instskip(NEXT) | instid1(VALU_DEP_1)
	v_dual_add_f32 v7, v7, v24 :: v_dual_add_f32 v24, v52, v27
	v_add_f32_e32 v7, v26, v7
	s_delay_alu instid0(VALU_DEP_1) | instskip(NEXT) | instid1(VALU_DEP_1)
	v_dual_add_f32 v7, v53, v7 :: v_dual_sub_f32 v26, v24, v52
	v_dual_mul_f32 v7, v13, v7 :: v_dual_sub_f32 v26, v27, v26
	s_delay_alu instid0(VALU_DEP_1) | instskip(NEXT) | instid1(VALU_DEP_1)
	v_add_f32_e32 v7, v26, v7
	v_add_f32_e32 v13, v24, v7
	s_delay_alu instid0(VALU_DEP_1) | instskip(NEXT) | instid1(VALU_DEP_1)
	v_mul_f32_e32 v26, v13, v13
	v_fmaak_f32 v27, s2, v26, 0x3ecc95a3
	v_mul_f32_e32 v36, v13, v26
	v_cmp_gt_f32_e64 s2, 0x33800000, |v2|
	s_delay_alu instid0(VALU_DEP_3) | instskip(SKIP_2) | instid1(VALU_DEP_4)
	v_fmaak_f32 v26, v26, v27, 0x3f2aaada
	v_ldexp_f32 v27, v13, 1
	v_sub_f32_e32 v13, v13, v24
	s_or_b32 vcc_lo, vcc_lo, s2
	s_delay_alu instid0(VALU_DEP_1) | instskip(NEXT) | instid1(VALU_DEP_1)
	v_dual_mul_f32 v26, v36, v26 :: v_dual_sub_f32 v7, v7, v13
	v_add_f32_e32 v24, v27, v26
	s_delay_alu instid0(VALU_DEP_2) | instskip(NEXT) | instid1(VALU_DEP_2)
	v_ldexp_f32 v7, v7, 1
	v_sub_f32_e32 v13, v24, v27
	s_delay_alu instid0(VALU_DEP_1) | instskip(NEXT) | instid1(VALU_DEP_1)
	v_sub_f32_e32 v13, v26, v13
	v_add_f32_e32 v7, v7, v13
	s_delay_alu instid0(VALU_DEP_1) | instskip(NEXT) | instid1(VALU_DEP_1)
	v_add_f32_e32 v26, v24, v7
	v_sub_f32_e32 v24, v26, v24
	s_delay_alu instid0(VALU_DEP_1) | instskip(NEXT) | instid1(VALU_DEP_1)
	v_dual_mul_f32 v36, 0x3f317218, v6 :: v_dual_sub_f32 v7, v7, v24
	v_fma_f32 v27, 0x3f317218, v6, -v36
	s_delay_alu instid0(VALU_DEP_1) | instskip(NEXT) | instid1(VALU_DEP_1)
	v_fmamk_f32 v6, v6, 0xb102e308, v27
	v_add_f32_e32 v13, v36, v6
	s_delay_alu instid0(VALU_DEP_1) | instskip(NEXT) | instid1(VALU_DEP_1)
	v_add_f32_e32 v27, v13, v26
	v_sub_f32_e32 v37, v27, v13
	s_delay_alu instid0(VALU_DEP_1) | instskip(SKIP_2) | instid1(VALU_DEP_3)
	v_sub_f32_e32 v52, v27, v37
	v_sub_f32_e32 v24, v26, v37
	;; [unrolled: 1-line block ×4, first 2 shown]
	s_delay_alu instid0(VALU_DEP_1) | instskip(NEXT) | instid1(VALU_DEP_1)
	v_dual_add_f32 v13, v24, v13 :: v_dual_sub_f32 v6, v6, v36
	v_add_f32_e32 v26, v6, v7
	s_delay_alu instid0(VALU_DEP_1) | instskip(NEXT) | instid1(VALU_DEP_1)
	v_sub_f32_e32 v24, v26, v6
	v_sub_f32_e32 v7, v7, v24
	s_delay_alu instid0(VALU_DEP_4) | instskip(SKIP_1) | instid1(VALU_DEP_2)
	v_add_f32_e32 v13, v26, v13
	v_sub_f32_e32 v26, v26, v24
	v_add_f32_e32 v36, v27, v13
	s_delay_alu instid0(VALU_DEP_2) | instskip(NEXT) | instid1(VALU_DEP_2)
	v_sub_f32_e32 v6, v6, v26
	v_sub_f32_e32 v24, v36, v27
	s_delay_alu instid0(VALU_DEP_1) | instskip(NEXT) | instid1(VALU_DEP_1)
	v_dual_add_f32 v6, v7, v6 :: v_dual_sub_f32 v7, v13, v24
	v_add_f32_e32 v6, v6, v7
	s_delay_alu instid0(VALU_DEP_1) | instskip(NEXT) | instid1(VALU_DEP_1)
	v_add_f32_e32 v6, v36, v6
	v_cndmask_b32_e32 v2, v6, v2, vcc_lo
	s_delay_alu instid0(VALU_DEP_1) | instskip(NEXT) | instid1(VALU_DEP_1)
	v_add_f32_e32 v2, v3, v2
	v_cvt_f16_f32_e32 v37, v2
	s_delay_alu instid0(VALU_DEP_1)
	v_cvt_f32_f16_e32 v2, v37
	v_mov_b32_e32 v70, v37
.LBB430_336:
	s_or_b32 exec_lo, exec_lo, s1
	s_delay_alu instid0(VALU_DEP_2) | instskip(SKIP_1) | instid1(VALU_DEP_3)
	v_dual_max_f32 v3, v25, v25 :: v_dual_max_f32 v6, v2, v2
	v_cmp_u_f16_e32 vcc_lo, v37, v37
	v_mov_b32_e32 v71, v70
	s_delay_alu instid0(VALU_DEP_3) | instskip(NEXT) | instid1(VALU_DEP_1)
	v_min_f32_e32 v7, v6, v3
	v_dual_max_f32 v3, v6, v3 :: v_dual_cndmask_b32 v6, v7, v2
	s_delay_alu instid0(VALU_DEP_1) | instskip(NEXT) | instid1(VALU_DEP_2)
	v_cndmask_b32_e32 v3, v3, v2, vcc_lo
	v_cndmask_b32_e64 v6, v6, v25, s12
	s_delay_alu instid0(VALU_DEP_2) | instskip(NEXT) | instid1(VALU_DEP_2)
	v_cndmask_b32_e64 v3, v3, v25, s12
	v_cmp_class_f32_e64 s1, v6, 0x1f8
	s_delay_alu instid0(VALU_DEP_2) | instskip(NEXT) | instid1(VALU_DEP_2)
	v_cmp_neq_f32_e32 vcc_lo, v6, v3
	s_or_b32 s2, vcc_lo, s1
	s_delay_alu instid0(SALU_CYCLE_1)
	s_and_saveexec_b32 s1, s2
	s_cbranch_execz .LBB430_338
; %bb.337:
	v_sub_f32_e32 v2, v6, v3
	s_mov_b32 s2, 0x3e9b6dac
	s_delay_alu instid0(VALU_DEP_1) | instskip(SKIP_1) | instid1(VALU_DEP_2)
	v_mul_f32_e32 v6, 0x3fb8aa3b, v2
	v_cmp_ngt_f32_e32 vcc_lo, 0xc2ce8ed0, v2
	v_fma_f32 v7, 0x3fb8aa3b, v2, -v6
	v_rndne_f32_e32 v13, v6
	s_delay_alu instid0(VALU_DEP_2) | instskip(NEXT) | instid1(VALU_DEP_2)
	v_fmamk_f32 v7, v2, 0x32a5705f, v7
	v_sub_f32_e32 v6, v6, v13
	s_delay_alu instid0(VALU_DEP_1) | instskip(SKIP_1) | instid1(VALU_DEP_2)
	v_add_f32_e32 v6, v6, v7
	v_cvt_i32_f32_e32 v7, v13
	v_exp_f32_e32 v6, v6
	s_waitcnt_depctr 0xfff
	v_ldexp_f32 v6, v6, v7
	s_delay_alu instid0(VALU_DEP_1) | instskip(SKIP_1) | instid1(VALU_DEP_2)
	v_cndmask_b32_e32 v6, 0, v6, vcc_lo
	v_cmp_nlt_f32_e32 vcc_lo, 0x42b17218, v2
	v_cndmask_b32_e32 v2, 0x7f800000, v6, vcc_lo
	s_delay_alu instid0(VALU_DEP_1) | instskip(NEXT) | instid1(VALU_DEP_1)
	v_add_f32_e32 v13, 1.0, v2
	v_cvt_f64_f32_e32 v[6:7], v13
	s_delay_alu instid0(VALU_DEP_1) | instskip(SKIP_1) | instid1(VALU_DEP_1)
	v_frexp_exp_i32_f64_e32 v6, v[6:7]
	v_frexp_mant_f32_e32 v7, v13
	v_cmp_gt_f32_e32 vcc_lo, 0x3f2aaaab, v7
	v_add_f32_e32 v7, -1.0, v13
	s_delay_alu instid0(VALU_DEP_1) | instskip(NEXT) | instid1(VALU_DEP_1)
	v_sub_f32_e32 v25, v7, v13
	v_add_f32_e32 v25, 1.0, v25
	v_subrev_co_ci_u32_e32 v6, vcc_lo, 0, v6, vcc_lo
	s_delay_alu instid0(VALU_DEP_1) | instskip(SKIP_1) | instid1(VALU_DEP_2)
	v_sub_nc_u32_e32 v24, 0, v6
	v_cvt_f32_i32_e32 v6, v6
	v_ldexp_f32 v13, v13, v24
	s_delay_alu instid0(VALU_DEP_1) | instskip(NEXT) | instid1(VALU_DEP_1)
	v_dual_sub_f32 v7, v2, v7 :: v_dual_add_f32 v26, 1.0, v13
	v_add_f32_e32 v7, v7, v25
	v_cmp_eq_f32_e32 vcc_lo, 0x7f800000, v2
	s_delay_alu instid0(VALU_DEP_3) | instskip(NEXT) | instid1(VALU_DEP_3)
	v_add_f32_e32 v25, -1.0, v26
	v_ldexp_f32 v7, v7, v24
	v_add_f32_e32 v24, -1.0, v13
	s_delay_alu instid0(VALU_DEP_3) | instskip(NEXT) | instid1(VALU_DEP_2)
	v_sub_f32_e32 v25, v13, v25
	v_add_f32_e32 v27, 1.0, v24
	s_delay_alu instid0(VALU_DEP_2) | instskip(NEXT) | instid1(VALU_DEP_2)
	v_add_f32_e32 v25, v7, v25
	v_sub_f32_e32 v13, v13, v27
	s_delay_alu instid0(VALU_DEP_1) | instskip(NEXT) | instid1(VALU_DEP_1)
	v_add_f32_e32 v7, v7, v13
	v_dual_add_f32 v36, v24, v7 :: v_dual_add_f32 v27, v26, v25
	s_delay_alu instid0(VALU_DEP_1) | instskip(NEXT) | instid1(VALU_DEP_2)
	v_sub_f32_e32 v24, v24, v36
	v_rcp_f32_e32 v13, v27
	v_sub_f32_e32 v26, v26, v27
	s_delay_alu instid0(VALU_DEP_1) | instskip(SKIP_2) | instid1(VALU_DEP_1)
	v_add_f32_e32 v25, v25, v26
	s_waitcnt_depctr 0xfff
	v_mul_f32_e32 v37, v36, v13
	v_mul_f32_e32 v52, v27, v37
	s_delay_alu instid0(VALU_DEP_1) | instskip(NEXT) | instid1(VALU_DEP_1)
	v_fma_f32 v26, v37, v27, -v52
	v_fmac_f32_e32 v26, v37, v25
	s_delay_alu instid0(VALU_DEP_1) | instskip(NEXT) | instid1(VALU_DEP_1)
	v_add_f32_e32 v53, v52, v26
	v_sub_f32_e32 v54, v36, v53
	s_delay_alu instid0(VALU_DEP_1) | instskip(SKIP_1) | instid1(VALU_DEP_2)
	v_dual_sub_f32 v36, v36, v54 :: v_dual_add_f32 v7, v7, v24
	v_sub_f32_e32 v24, v53, v52
	v_sub_f32_e32 v36, v36, v53
	s_delay_alu instid0(VALU_DEP_1) | instskip(NEXT) | instid1(VALU_DEP_1)
	v_dual_sub_f32 v24, v24, v26 :: v_dual_add_f32 v7, v7, v36
	v_add_f32_e32 v7, v24, v7
	s_delay_alu instid0(VALU_DEP_1) | instskip(NEXT) | instid1(VALU_DEP_1)
	v_add_f32_e32 v24, v54, v7
	v_mul_f32_e32 v26, v13, v24
	s_delay_alu instid0(VALU_DEP_1) | instskip(NEXT) | instid1(VALU_DEP_1)
	v_dual_sub_f32 v53, v54, v24 :: v_dual_mul_f32 v36, v27, v26
	v_add_f32_e32 v7, v7, v53
	s_delay_alu instid0(VALU_DEP_2) | instskip(NEXT) | instid1(VALU_DEP_1)
	v_fma_f32 v27, v26, v27, -v36
	v_fmac_f32_e32 v27, v26, v25
	s_delay_alu instid0(VALU_DEP_1) | instskip(NEXT) | instid1(VALU_DEP_1)
	v_add_f32_e32 v25, v36, v27
	v_sub_f32_e32 v52, v24, v25
	s_delay_alu instid0(VALU_DEP_1) | instskip(NEXT) | instid1(VALU_DEP_1)
	v_sub_f32_e32 v24, v24, v52
	v_sub_f32_e32 v24, v24, v25
	s_delay_alu instid0(VALU_DEP_1) | instskip(SKIP_1) | instid1(VALU_DEP_1)
	v_dual_add_f32 v7, v7, v24 :: v_dual_add_f32 v24, v37, v26
	v_sub_f32_e32 v36, v25, v36
	v_sub_f32_e32 v25, v36, v27
	s_delay_alu instid0(VALU_DEP_1) | instskip(NEXT) | instid1(VALU_DEP_4)
	v_add_f32_e32 v7, v25, v7
	v_sub_f32_e32 v25, v24, v37
	s_delay_alu instid0(VALU_DEP_2) | instskip(NEXT) | instid1(VALU_DEP_2)
	v_add_f32_e32 v7, v52, v7
	v_sub_f32_e32 v25, v26, v25
	s_delay_alu instid0(VALU_DEP_2) | instskip(NEXT) | instid1(VALU_DEP_1)
	v_mul_f32_e32 v7, v13, v7
	v_add_f32_e32 v7, v25, v7
	s_delay_alu instid0(VALU_DEP_1) | instskip(NEXT) | instid1(VALU_DEP_1)
	v_add_f32_e32 v13, v24, v7
	v_mul_f32_e32 v25, v13, v13
	s_delay_alu instid0(VALU_DEP_1) | instskip(SKIP_2) | instid1(VALU_DEP_3)
	v_fmaak_f32 v26, s2, v25, 0x3ecc95a3
	v_mul_f32_e32 v27, v13, v25
	v_cmp_gt_f32_e64 s2, 0x33800000, |v2|
	v_fmaak_f32 v25, v25, v26, 0x3f2aaada
	v_ldexp_f32 v26, v13, 1
	s_delay_alu instid0(VALU_DEP_3) | instskip(SKIP_1) | instid1(VALU_DEP_3)
	s_or_b32 vcc_lo, vcc_lo, s2
	v_sub_f32_e32 v13, v13, v24
	v_mul_f32_e32 v25, v27, v25
	s_delay_alu instid0(VALU_DEP_2) | instskip(NEXT) | instid1(VALU_DEP_2)
	v_sub_f32_e32 v7, v7, v13
	v_add_f32_e32 v24, v26, v25
	s_delay_alu instid0(VALU_DEP_2) | instskip(NEXT) | instid1(VALU_DEP_2)
	v_ldexp_f32 v7, v7, 1
	v_sub_f32_e32 v13, v24, v26
	s_delay_alu instid0(VALU_DEP_1) | instskip(NEXT) | instid1(VALU_DEP_1)
	v_sub_f32_e32 v13, v25, v13
	v_add_f32_e32 v7, v7, v13
	s_delay_alu instid0(VALU_DEP_1) | instskip(NEXT) | instid1(VALU_DEP_1)
	v_add_f32_e32 v25, v24, v7
	v_dual_mul_f32 v27, 0x3f317218, v6 :: v_dual_sub_f32 v24, v25, v24
	s_delay_alu instid0(VALU_DEP_1) | instskip(NEXT) | instid1(VALU_DEP_1)
	v_fma_f32 v26, 0x3f317218, v6, -v27
	v_dual_sub_f32 v7, v7, v24 :: v_dual_fmamk_f32 v6, v6, 0xb102e308, v26
	s_delay_alu instid0(VALU_DEP_1) | instskip(NEXT) | instid1(VALU_DEP_1)
	v_add_f32_e32 v13, v27, v6
	v_add_f32_e32 v26, v13, v25
	s_delay_alu instid0(VALU_DEP_1) | instskip(NEXT) | instid1(VALU_DEP_1)
	v_dual_sub_f32 v27, v13, v27 :: v_dual_sub_f32 v36, v26, v13
	v_sub_f32_e32 v6, v6, v27
	s_delay_alu instid0(VALU_DEP_2) | instskip(NEXT) | instid1(VALU_DEP_2)
	v_sub_f32_e32 v37, v26, v36
	v_dual_sub_f32 v24, v25, v36 :: v_dual_add_f32 v25, v6, v7
	s_delay_alu instid0(VALU_DEP_2) | instskip(NEXT) | instid1(VALU_DEP_1)
	v_sub_f32_e32 v13, v13, v37
	v_dual_add_f32 v13, v24, v13 :: v_dual_sub_f32 v24, v25, v6
	s_delay_alu instid0(VALU_DEP_1) | instskip(NEXT) | instid1(VALU_DEP_2)
	v_add_f32_e32 v13, v25, v13
	v_sub_f32_e32 v25, v25, v24
	v_sub_f32_e32 v7, v7, v24
	s_delay_alu instid0(VALU_DEP_3) | instskip(NEXT) | instid1(VALU_DEP_3)
	v_add_f32_e32 v27, v26, v13
	v_sub_f32_e32 v6, v6, v25
	s_delay_alu instid0(VALU_DEP_2) | instskip(NEXT) | instid1(VALU_DEP_1)
	v_sub_f32_e32 v24, v27, v26
	v_dual_add_f32 v6, v7, v6 :: v_dual_sub_f32 v7, v13, v24
	s_delay_alu instid0(VALU_DEP_1) | instskip(NEXT) | instid1(VALU_DEP_1)
	v_add_f32_e32 v6, v6, v7
	v_add_f32_e32 v6, v27, v6
	s_delay_alu instid0(VALU_DEP_1) | instskip(NEXT) | instid1(VALU_DEP_1)
	v_cndmask_b32_e32 v2, v6, v2, vcc_lo
	v_add_f32_e32 v2, v3, v2
	s_delay_alu instid0(VALU_DEP_1) | instskip(NEXT) | instid1(VALU_DEP_1)
	v_cvt_f16_f32_e32 v37, v2
	v_cvt_f32_f16_e32 v2, v37
	v_mov_b32_e32 v71, v37
.LBB430_338:
	s_or_b32 exec_lo, exec_lo, s1
	s_delay_alu instid0(VALU_DEP_2) | instskip(SKIP_1) | instid1(VALU_DEP_2)
	v_dual_max_f32 v3, v51, v51 :: v_dual_max_f32 v6, v2, v2
	v_cmp_u_f16_e32 vcc_lo, v37, v37
	v_dual_mov_b32 v80, v71 :: v_dual_min_f32 v7, v6, v3
	s_delay_alu instid0(VALU_DEP_1) | instskip(NEXT) | instid1(VALU_DEP_1)
	v_dual_max_f32 v3, v6, v3 :: v_dual_cndmask_b32 v6, v7, v2
	v_cndmask_b32_e32 v3, v3, v2, vcc_lo
	s_delay_alu instid0(VALU_DEP_2) | instskip(NEXT) | instid1(VALU_DEP_2)
	v_cndmask_b32_e64 v6, v6, v51, s13
	v_cndmask_b32_e64 v3, v3, v51, s13
	s_delay_alu instid0(VALU_DEP_2) | instskip(NEXT) | instid1(VALU_DEP_2)
	v_cmp_class_f32_e64 s1, v6, 0x1f8
	v_cmp_neq_f32_e32 vcc_lo, v6, v3
	s_delay_alu instid0(VALU_DEP_2) | instskip(NEXT) | instid1(SALU_CYCLE_1)
	s_or_b32 s2, vcc_lo, s1
	s_and_saveexec_b32 s1, s2
	s_cbranch_execz .LBB430_340
; %bb.339:
	v_sub_f32_e32 v2, v6, v3
	s_mov_b32 s2, 0x3e9b6dac
	s_delay_alu instid0(VALU_DEP_1) | instskip(SKIP_1) | instid1(VALU_DEP_2)
	v_mul_f32_e32 v6, 0x3fb8aa3b, v2
	v_cmp_ngt_f32_e32 vcc_lo, 0xc2ce8ed0, v2
	v_fma_f32 v7, 0x3fb8aa3b, v2, -v6
	v_rndne_f32_e32 v13, v6
	s_delay_alu instid0(VALU_DEP_2) | instskip(NEXT) | instid1(VALU_DEP_2)
	v_fmamk_f32 v7, v2, 0x32a5705f, v7
	v_sub_f32_e32 v6, v6, v13
	s_delay_alu instid0(VALU_DEP_1) | instskip(SKIP_1) | instid1(VALU_DEP_2)
	v_add_f32_e32 v6, v6, v7
	v_cvt_i32_f32_e32 v7, v13
	v_exp_f32_e32 v6, v6
	s_waitcnt_depctr 0xfff
	v_ldexp_f32 v6, v6, v7
	s_delay_alu instid0(VALU_DEP_1) | instskip(SKIP_1) | instid1(VALU_DEP_2)
	v_cndmask_b32_e32 v6, 0, v6, vcc_lo
	v_cmp_nlt_f32_e32 vcc_lo, 0x42b17218, v2
	v_cndmask_b32_e32 v2, 0x7f800000, v6, vcc_lo
	s_delay_alu instid0(VALU_DEP_1) | instskip(NEXT) | instid1(VALU_DEP_1)
	v_add_f32_e32 v13, 1.0, v2
	v_cvt_f64_f32_e32 v[6:7], v13
	s_delay_alu instid0(VALU_DEP_1) | instskip(SKIP_1) | instid1(VALU_DEP_1)
	v_frexp_exp_i32_f64_e32 v6, v[6:7]
	v_frexp_mant_f32_e32 v7, v13
	v_cmp_gt_f32_e32 vcc_lo, 0x3f2aaaab, v7
	v_add_f32_e32 v7, -1.0, v13
	s_delay_alu instid0(VALU_DEP_1) | instskip(NEXT) | instid1(VALU_DEP_1)
	v_sub_f32_e32 v25, v7, v13
	v_add_f32_e32 v25, 1.0, v25
	v_subrev_co_ci_u32_e32 v6, vcc_lo, 0, v6, vcc_lo
	s_delay_alu instid0(VALU_DEP_1) | instskip(SKIP_1) | instid1(VALU_DEP_2)
	v_sub_nc_u32_e32 v24, 0, v6
	v_cvt_f32_i32_e32 v6, v6
	v_ldexp_f32 v13, v13, v24
	s_delay_alu instid0(VALU_DEP_1) | instskip(NEXT) | instid1(VALU_DEP_1)
	v_dual_sub_f32 v7, v2, v7 :: v_dual_add_f32 v26, 1.0, v13
	v_add_f32_e32 v7, v7, v25
	v_cmp_eq_f32_e32 vcc_lo, 0x7f800000, v2
	s_delay_alu instid0(VALU_DEP_3) | instskip(NEXT) | instid1(VALU_DEP_3)
	v_add_f32_e32 v25, -1.0, v26
	v_ldexp_f32 v7, v7, v24
	v_add_f32_e32 v24, -1.0, v13
	s_delay_alu instid0(VALU_DEP_3) | instskip(NEXT) | instid1(VALU_DEP_2)
	v_sub_f32_e32 v25, v13, v25
	v_add_f32_e32 v27, 1.0, v24
	s_delay_alu instid0(VALU_DEP_2) | instskip(NEXT) | instid1(VALU_DEP_2)
	v_add_f32_e32 v25, v7, v25
	v_sub_f32_e32 v13, v13, v27
	s_delay_alu instid0(VALU_DEP_1) | instskip(NEXT) | instid1(VALU_DEP_1)
	v_add_f32_e32 v7, v7, v13
	v_dual_add_f32 v36, v24, v7 :: v_dual_add_f32 v27, v26, v25
	s_delay_alu instid0(VALU_DEP_1) | instskip(NEXT) | instid1(VALU_DEP_2)
	v_sub_f32_e32 v24, v24, v36
	v_rcp_f32_e32 v13, v27
	v_sub_f32_e32 v26, v26, v27
	s_delay_alu instid0(VALU_DEP_1) | instskip(SKIP_2) | instid1(VALU_DEP_1)
	v_add_f32_e32 v25, v25, v26
	s_waitcnt_depctr 0xfff
	v_mul_f32_e32 v37, v36, v13
	v_mul_f32_e32 v51, v27, v37
	s_delay_alu instid0(VALU_DEP_1) | instskip(NEXT) | instid1(VALU_DEP_1)
	v_fma_f32 v26, v37, v27, -v51
	v_dual_fmac_f32 v26, v37, v25 :: v_dual_add_f32 v7, v7, v24
	s_delay_alu instid0(VALU_DEP_1) | instskip(NEXT) | instid1(VALU_DEP_1)
	v_add_f32_e32 v52, v51, v26
	v_sub_f32_e32 v53, v36, v52
	s_delay_alu instid0(VALU_DEP_1) | instskip(NEXT) | instid1(VALU_DEP_1)
	v_sub_f32_e32 v36, v36, v53
	v_sub_f32_e32 v36, v36, v52
	;; [unrolled: 1-line block ×3, first 2 shown]
	s_delay_alu instid0(VALU_DEP_1) | instskip(NEXT) | instid1(VALU_DEP_1)
	v_dual_sub_f32 v24, v24, v26 :: v_dual_add_f32 v7, v7, v36
	v_add_f32_e32 v7, v24, v7
	s_delay_alu instid0(VALU_DEP_1) | instskip(NEXT) | instid1(VALU_DEP_1)
	v_add_f32_e32 v24, v53, v7
	v_mul_f32_e32 v26, v13, v24
	s_delay_alu instid0(VALU_DEP_1) | instskip(SKIP_1) | instid1(VALU_DEP_2)
	v_mul_f32_e32 v36, v27, v26
	v_sub_f32_e32 v52, v53, v24
	v_fma_f32 v27, v26, v27, -v36
	s_delay_alu instid0(VALU_DEP_1) | instskip(NEXT) | instid1(VALU_DEP_1)
	v_fmac_f32_e32 v27, v26, v25
	v_add_f32_e32 v25, v36, v27
	s_delay_alu instid0(VALU_DEP_1) | instskip(NEXT) | instid1(VALU_DEP_1)
	v_sub_f32_e32 v51, v24, v25
	v_dual_sub_f32 v24, v24, v51 :: v_dual_add_f32 v7, v7, v52
	s_delay_alu instid0(VALU_DEP_1) | instskip(NEXT) | instid1(VALU_DEP_1)
	v_sub_f32_e32 v24, v24, v25
	v_dual_add_f32 v7, v7, v24 :: v_dual_add_f32 v24, v37, v26
	v_sub_f32_e32 v36, v25, v36
	s_delay_alu instid0(VALU_DEP_1) | instskip(NEXT) | instid1(VALU_DEP_1)
	v_sub_f32_e32 v25, v36, v27
	v_add_f32_e32 v7, v25, v7
	s_delay_alu instid0(VALU_DEP_4) | instskip(NEXT) | instid1(VALU_DEP_2)
	v_sub_f32_e32 v25, v24, v37
	v_add_f32_e32 v7, v51, v7
	s_delay_alu instid0(VALU_DEP_2) | instskip(NEXT) | instid1(VALU_DEP_2)
	v_sub_f32_e32 v25, v26, v25
	v_mul_f32_e32 v7, v13, v7
	s_delay_alu instid0(VALU_DEP_1) | instskip(NEXT) | instid1(VALU_DEP_1)
	v_add_f32_e32 v7, v25, v7
	v_add_f32_e32 v13, v24, v7
	s_delay_alu instid0(VALU_DEP_1) | instskip(NEXT) | instid1(VALU_DEP_1)
	v_mul_f32_e32 v25, v13, v13
	v_fmaak_f32 v26, s2, v25, 0x3ecc95a3
	v_mul_f32_e32 v27, v13, v25
	v_cmp_gt_f32_e64 s2, 0x33800000, |v2|
	s_delay_alu instid0(VALU_DEP_3) | instskip(SKIP_1) | instid1(VALU_DEP_3)
	v_fmaak_f32 v25, v25, v26, 0x3f2aaada
	v_ldexp_f32 v26, v13, 1
	s_or_b32 vcc_lo, vcc_lo, s2
	v_sub_f32_e32 v13, v13, v24
	s_delay_alu instid0(VALU_DEP_3) | instskip(NEXT) | instid1(VALU_DEP_2)
	v_mul_f32_e32 v25, v27, v25
	v_sub_f32_e32 v7, v7, v13
	s_delay_alu instid0(VALU_DEP_2) | instskip(NEXT) | instid1(VALU_DEP_2)
	v_add_f32_e32 v24, v26, v25
	v_ldexp_f32 v7, v7, 1
	s_delay_alu instid0(VALU_DEP_2) | instskip(NEXT) | instid1(VALU_DEP_1)
	v_sub_f32_e32 v13, v24, v26
	v_sub_f32_e32 v13, v25, v13
	s_delay_alu instid0(VALU_DEP_1) | instskip(NEXT) | instid1(VALU_DEP_1)
	v_add_f32_e32 v7, v7, v13
	v_add_f32_e32 v25, v24, v7
	s_delay_alu instid0(VALU_DEP_1) | instskip(NEXT) | instid1(VALU_DEP_1)
	v_dual_mul_f32 v27, 0x3f317218, v6 :: v_dual_sub_f32 v24, v25, v24
	v_fma_f32 v26, 0x3f317218, v6, -v27
	s_delay_alu instid0(VALU_DEP_1) | instskip(NEXT) | instid1(VALU_DEP_1)
	v_dual_sub_f32 v7, v7, v24 :: v_dual_fmamk_f32 v6, v6, 0xb102e308, v26
	v_add_f32_e32 v13, v27, v6
	s_delay_alu instid0(VALU_DEP_1) | instskip(NEXT) | instid1(VALU_DEP_1)
	v_add_f32_e32 v26, v13, v25
	v_sub_f32_e32 v36, v26, v13
	s_delay_alu instid0(VALU_DEP_1) | instskip(SKIP_2) | instid1(VALU_DEP_1)
	v_sub_f32_e32 v24, v25, v36
	v_sub_f32_e32 v27, v13, v27
	;; [unrolled: 1-line block ×3, first 2 shown]
	v_dual_sub_f32 v6, v6, v27 :: v_dual_sub_f32 v13, v13, v37
	s_delay_alu instid0(VALU_DEP_1) | instskip(NEXT) | instid1(VALU_DEP_1)
	v_add_f32_e32 v25, v6, v7
	v_dual_add_f32 v13, v24, v13 :: v_dual_sub_f32 v24, v25, v6
	s_delay_alu instid0(VALU_DEP_1) | instskip(NEXT) | instid1(VALU_DEP_2)
	v_add_f32_e32 v13, v25, v13
	v_sub_f32_e32 v25, v25, v24
	s_delay_alu instid0(VALU_DEP_2) | instskip(NEXT) | instid1(VALU_DEP_2)
	v_add_f32_e32 v27, v26, v13
	v_dual_sub_f32 v7, v7, v24 :: v_dual_sub_f32 v6, v6, v25
	s_delay_alu instid0(VALU_DEP_2) | instskip(NEXT) | instid1(VALU_DEP_1)
	v_sub_f32_e32 v24, v27, v26
	v_dual_add_f32 v6, v7, v6 :: v_dual_sub_f32 v7, v13, v24
	s_delay_alu instid0(VALU_DEP_1) | instskip(NEXT) | instid1(VALU_DEP_1)
	v_add_f32_e32 v6, v6, v7
	v_add_f32_e32 v6, v27, v6
	s_delay_alu instid0(VALU_DEP_1) | instskip(NEXT) | instid1(VALU_DEP_1)
	v_cndmask_b32_e32 v2, v6, v2, vcc_lo
	v_add_f32_e32 v2, v3, v2
	s_delay_alu instid0(VALU_DEP_1) | instskip(NEXT) | instid1(VALU_DEP_1)
	v_cvt_f16_f32_e32 v37, v2
	v_cvt_f32_f16_e32 v2, v37
	v_mov_b32_e32 v80, v37
.LBB430_340:
	s_or_b32 exec_lo, exec_lo, s1
	v_max_f32_e32 v3, v22, v22
	s_delay_alu instid0(VALU_DEP_2) | instskip(SKIP_1) | instid1(VALU_DEP_2)
	v_dual_max_f32 v6, v2, v2 :: v_dual_mov_b32 v81, v80
	v_cmp_u_f16_e32 vcc_lo, v37, v37
	v_min_f32_e32 v7, v6, v3
	s_delay_alu instid0(VALU_DEP_1) | instskip(NEXT) | instid1(VALU_DEP_1)
	v_dual_max_f32 v3, v6, v3 :: v_dual_cndmask_b32 v6, v7, v2
	v_cndmask_b32_e32 v3, v3, v2, vcc_lo
	s_delay_alu instid0(VALU_DEP_2) | instskip(NEXT) | instid1(VALU_DEP_2)
	v_cndmask_b32_e64 v6, v6, v22, s14
	v_cndmask_b32_e64 v3, v3, v22, s14
	s_delay_alu instid0(VALU_DEP_2) | instskip(NEXT) | instid1(VALU_DEP_2)
	v_cmp_class_f32_e64 s1, v6, 0x1f8
	v_cmp_neq_f32_e32 vcc_lo, v6, v3
	s_delay_alu instid0(VALU_DEP_2) | instskip(NEXT) | instid1(SALU_CYCLE_1)
	s_or_b32 s2, vcc_lo, s1
	s_and_saveexec_b32 s1, s2
	s_cbranch_execz .LBB430_342
; %bb.341:
	v_sub_f32_e32 v2, v6, v3
	s_mov_b32 s2, 0x3e9b6dac
	s_delay_alu instid0(VALU_DEP_1) | instskip(SKIP_1) | instid1(VALU_DEP_2)
	v_mul_f32_e32 v6, 0x3fb8aa3b, v2
	v_cmp_ngt_f32_e32 vcc_lo, 0xc2ce8ed0, v2
	v_fma_f32 v7, 0x3fb8aa3b, v2, -v6
	v_rndne_f32_e32 v13, v6
	s_delay_alu instid0(VALU_DEP_2) | instskip(NEXT) | instid1(VALU_DEP_2)
	v_fmamk_f32 v7, v2, 0x32a5705f, v7
	v_sub_f32_e32 v6, v6, v13
	s_delay_alu instid0(VALU_DEP_1) | instskip(SKIP_1) | instid1(VALU_DEP_2)
	v_add_f32_e32 v6, v6, v7
	v_cvt_i32_f32_e32 v7, v13
	v_exp_f32_e32 v6, v6
	s_waitcnt_depctr 0xfff
	v_ldexp_f32 v6, v6, v7
	s_delay_alu instid0(VALU_DEP_1) | instskip(SKIP_1) | instid1(VALU_DEP_2)
	v_cndmask_b32_e32 v6, 0, v6, vcc_lo
	v_cmp_nlt_f32_e32 vcc_lo, 0x42b17218, v2
	v_cndmask_b32_e32 v2, 0x7f800000, v6, vcc_lo
	s_delay_alu instid0(VALU_DEP_1) | instskip(NEXT) | instid1(VALU_DEP_1)
	v_add_f32_e32 v13, 1.0, v2
	v_cvt_f64_f32_e32 v[6:7], v13
	s_delay_alu instid0(VALU_DEP_1) | instskip(SKIP_1) | instid1(VALU_DEP_1)
	v_frexp_exp_i32_f64_e32 v6, v[6:7]
	v_frexp_mant_f32_e32 v7, v13
	v_cmp_gt_f32_e32 vcc_lo, 0x3f2aaaab, v7
	v_add_f32_e32 v7, -1.0, v13
	s_delay_alu instid0(VALU_DEP_1) | instskip(NEXT) | instid1(VALU_DEP_1)
	v_dual_sub_f32 v24, v7, v13 :: v_dual_sub_f32 v7, v2, v7
	v_add_f32_e32 v24, 1.0, v24
	s_delay_alu instid0(VALU_DEP_1) | instskip(SKIP_2) | instid1(VALU_DEP_2)
	v_add_f32_e32 v7, v7, v24
	v_subrev_co_ci_u32_e32 v6, vcc_lo, 0, v6, vcc_lo
	v_cmp_eq_f32_e32 vcc_lo, 0x7f800000, v2
	v_sub_nc_u32_e32 v22, 0, v6
	v_cvt_f32_i32_e32 v6, v6
	s_delay_alu instid0(VALU_DEP_2) | instskip(SKIP_1) | instid1(VALU_DEP_2)
	v_ldexp_f32 v13, v13, v22
	v_ldexp_f32 v7, v7, v22
	v_add_f32_e32 v25, 1.0, v13
	v_add_f32_e32 v22, -1.0, v13
	s_delay_alu instid0(VALU_DEP_2) | instskip(NEXT) | instid1(VALU_DEP_2)
	v_add_f32_e32 v24, -1.0, v25
	v_add_f32_e32 v26, 1.0, v22
	s_delay_alu instid0(VALU_DEP_2) | instskip(NEXT) | instid1(VALU_DEP_1)
	v_sub_f32_e32 v24, v13, v24
	v_dual_sub_f32 v13, v13, v26 :: v_dual_add_f32 v24, v7, v24
	s_delay_alu instid0(VALU_DEP_1) | instskip(NEXT) | instid1(VALU_DEP_1)
	v_dual_add_f32 v7, v7, v13 :: v_dual_add_f32 v26, v25, v24
	v_rcp_f32_e32 v13, v26
	v_sub_f32_e32 v25, v25, v26
	s_delay_alu instid0(VALU_DEP_1) | instskip(SKIP_2) | instid1(VALU_DEP_1)
	v_dual_add_f32 v27, v22, v7 :: v_dual_add_f32 v24, v24, v25
	s_waitcnt_depctr 0xfff
	v_mul_f32_e32 v36, v27, v13
	v_mul_f32_e32 v37, v26, v36
	s_delay_alu instid0(VALU_DEP_1) | instskip(NEXT) | instid1(VALU_DEP_1)
	v_fma_f32 v25, v36, v26, -v37
	v_fmac_f32_e32 v25, v36, v24
	s_delay_alu instid0(VALU_DEP_1) | instskip(NEXT) | instid1(VALU_DEP_1)
	v_add_f32_e32 v51, v37, v25
	v_sub_f32_e32 v52, v27, v51
	s_delay_alu instid0(VALU_DEP_1) | instskip(NEXT) | instid1(VALU_DEP_1)
	v_dual_sub_f32 v22, v22, v27 :: v_dual_sub_f32 v27, v27, v52
	v_add_f32_e32 v7, v7, v22
	v_sub_f32_e32 v22, v51, v37
	s_delay_alu instid0(VALU_DEP_1) | instskip(NEXT) | instid1(VALU_DEP_1)
	v_dual_sub_f32 v27, v27, v51 :: v_dual_sub_f32 v22, v22, v25
	v_add_f32_e32 v7, v7, v27
	s_delay_alu instid0(VALU_DEP_1) | instskip(NEXT) | instid1(VALU_DEP_1)
	v_add_f32_e32 v7, v22, v7
	v_add_f32_e32 v22, v52, v7
	s_delay_alu instid0(VALU_DEP_1) | instskip(NEXT) | instid1(VALU_DEP_1)
	v_mul_f32_e32 v25, v13, v22
	v_mul_f32_e32 v27, v26, v25
	v_sub_f32_e32 v51, v52, v22
	s_delay_alu instid0(VALU_DEP_2) | instskip(NEXT) | instid1(VALU_DEP_1)
	v_fma_f32 v26, v25, v26, -v27
	v_dual_add_f32 v7, v7, v51 :: v_dual_fmac_f32 v26, v25, v24
	s_delay_alu instid0(VALU_DEP_1) | instskip(NEXT) | instid1(VALU_DEP_1)
	v_add_f32_e32 v24, v27, v26
	v_sub_f32_e32 v27, v24, v27
	v_sub_f32_e32 v37, v22, v24
	s_delay_alu instid0(VALU_DEP_1) | instskip(NEXT) | instid1(VALU_DEP_1)
	v_sub_f32_e32 v22, v22, v37
	v_sub_f32_e32 v22, v22, v24
	s_delay_alu instid0(VALU_DEP_4) | instskip(NEXT) | instid1(VALU_DEP_2)
	v_sub_f32_e32 v24, v27, v26
	v_dual_add_f32 v7, v7, v22 :: v_dual_add_f32 v22, v36, v25
	s_delay_alu instid0(VALU_DEP_1) | instskip(NEXT) | instid1(VALU_DEP_1)
	v_add_f32_e32 v7, v24, v7
	v_dual_add_f32 v7, v37, v7 :: v_dual_sub_f32 v24, v22, v36
	s_delay_alu instid0(VALU_DEP_1) | instskip(NEXT) | instid1(VALU_DEP_2)
	v_mul_f32_e32 v7, v13, v7
	v_sub_f32_e32 v24, v25, v24
	s_delay_alu instid0(VALU_DEP_1) | instskip(NEXT) | instid1(VALU_DEP_1)
	v_add_f32_e32 v7, v24, v7
	v_add_f32_e32 v13, v22, v7
	s_delay_alu instid0(VALU_DEP_1) | instskip(NEXT) | instid1(VALU_DEP_1)
	v_mul_f32_e32 v24, v13, v13
	v_fmaak_f32 v25, s2, v24, 0x3ecc95a3
	v_mul_f32_e32 v26, v13, v24
	v_cmp_gt_f32_e64 s2, 0x33800000, |v2|
	s_delay_alu instid0(VALU_DEP_3) | instskip(SKIP_2) | instid1(VALU_DEP_4)
	v_fmaak_f32 v24, v24, v25, 0x3f2aaada
	v_ldexp_f32 v25, v13, 1
	v_sub_f32_e32 v13, v13, v22
	s_or_b32 vcc_lo, vcc_lo, s2
	s_delay_alu instid0(VALU_DEP_1) | instskip(NEXT) | instid1(VALU_DEP_1)
	v_sub_f32_e32 v7, v7, v13
	v_ldexp_f32 v7, v7, 1
	v_mul_f32_e32 v24, v26, v24
	s_delay_alu instid0(VALU_DEP_1) | instskip(NEXT) | instid1(VALU_DEP_1)
	v_add_f32_e32 v22, v25, v24
	v_dual_mul_f32 v26, 0x3f317218, v6 :: v_dual_sub_f32 v13, v22, v25
	s_delay_alu instid0(VALU_DEP_1) | instskip(NEXT) | instid1(VALU_DEP_2)
	v_fma_f32 v25, 0x3f317218, v6, -v26
	v_sub_f32_e32 v13, v24, v13
	s_delay_alu instid0(VALU_DEP_1) | instskip(NEXT) | instid1(VALU_DEP_1)
	v_add_f32_e32 v7, v7, v13
	v_add_f32_e32 v24, v22, v7
	s_delay_alu instid0(VALU_DEP_4) | instskip(NEXT) | instid1(VALU_DEP_2)
	v_fmamk_f32 v6, v6, 0xb102e308, v25
	v_sub_f32_e32 v22, v24, v22
	s_delay_alu instid0(VALU_DEP_2) | instskip(NEXT) | instid1(VALU_DEP_1)
	v_add_f32_e32 v13, v26, v6
	v_add_f32_e32 v25, v13, v24
	s_delay_alu instid0(VALU_DEP_1) | instskip(NEXT) | instid1(VALU_DEP_1)
	v_sub_f32_e32 v27, v25, v13
	v_dual_sub_f32 v7, v7, v22 :: v_dual_sub_f32 v22, v24, v27
	v_sub_f32_e32 v36, v25, v27
	v_sub_f32_e32 v26, v13, v26
	s_delay_alu instid0(VALU_DEP_2) | instskip(NEXT) | instid1(VALU_DEP_1)
	v_sub_f32_e32 v13, v13, v36
	v_add_f32_e32 v13, v22, v13
	s_delay_alu instid0(VALU_DEP_3) | instskip(NEXT) | instid1(VALU_DEP_1)
	v_sub_f32_e32 v6, v6, v26
	v_add_f32_e32 v24, v6, v7
	s_delay_alu instid0(VALU_DEP_1) | instskip(SKIP_1) | instid1(VALU_DEP_1)
	v_add_f32_e32 v13, v24, v13
	v_sub_f32_e32 v22, v24, v6
	v_dual_add_f32 v26, v25, v13 :: v_dual_sub_f32 v7, v7, v22
	v_sub_f32_e32 v24, v24, v22
	s_delay_alu instid0(VALU_DEP_2) | instskip(NEXT) | instid1(VALU_DEP_2)
	v_sub_f32_e32 v22, v26, v25
	v_sub_f32_e32 v6, v6, v24
	s_delay_alu instid0(VALU_DEP_1) | instskip(NEXT) | instid1(VALU_DEP_3)
	v_add_f32_e32 v6, v7, v6
	v_sub_f32_e32 v7, v13, v22
	s_delay_alu instid0(VALU_DEP_1) | instskip(NEXT) | instid1(VALU_DEP_1)
	v_add_f32_e32 v6, v6, v7
	v_add_f32_e32 v6, v26, v6
	s_delay_alu instid0(VALU_DEP_1) | instskip(NEXT) | instid1(VALU_DEP_1)
	v_cndmask_b32_e32 v2, v6, v2, vcc_lo
	v_add_f32_e32 v2, v3, v2
	s_delay_alu instid0(VALU_DEP_1) | instskip(NEXT) | instid1(VALU_DEP_1)
	v_cvt_f16_f32_e32 v37, v2
	v_cvt_f32_f16_e32 v2, v37
	v_mov_b32_e32 v81, v37
.LBB430_342:
	s_or_b32 exec_lo, exec_lo, s1
	s_delay_alu instid0(VALU_DEP_1) | instskip(NEXT) | instid1(VALU_DEP_3)
	v_dual_max_f32 v3, v50, v50 :: v_dual_mov_b32 v82, v81
	v_max_f32_e32 v6, v2, v2
	v_cmp_u_f16_e32 vcc_lo, v37, v37
	s_delay_alu instid0(VALU_DEP_2) | instskip(NEXT) | instid1(VALU_DEP_1)
	v_min_f32_e32 v7, v6, v3
	v_dual_max_f32 v3, v6, v3 :: v_dual_cndmask_b32 v6, v7, v2
	s_delay_alu instid0(VALU_DEP_1) | instskip(NEXT) | instid1(VALU_DEP_2)
	v_cndmask_b32_e32 v3, v3, v2, vcc_lo
	v_cndmask_b32_e64 v6, v6, v50, s15
	s_delay_alu instid0(VALU_DEP_2) | instskip(NEXT) | instid1(VALU_DEP_2)
	v_cndmask_b32_e64 v3, v3, v50, s15
	v_cmp_class_f32_e64 s1, v6, 0x1f8
	s_delay_alu instid0(VALU_DEP_2) | instskip(NEXT) | instid1(VALU_DEP_2)
	v_cmp_neq_f32_e32 vcc_lo, v6, v3
	s_or_b32 s2, vcc_lo, s1
	s_delay_alu instid0(SALU_CYCLE_1)
	s_and_saveexec_b32 s1, s2
	s_cbranch_execz .LBB430_344
; %bb.343:
	v_sub_f32_e32 v2, v6, v3
	s_mov_b32 s2, 0x3e9b6dac
	s_delay_alu instid0(VALU_DEP_1) | instskip(SKIP_1) | instid1(VALU_DEP_2)
	v_mul_f32_e32 v6, 0x3fb8aa3b, v2
	v_cmp_ngt_f32_e32 vcc_lo, 0xc2ce8ed0, v2
	v_fma_f32 v7, 0x3fb8aa3b, v2, -v6
	v_rndne_f32_e32 v13, v6
	s_delay_alu instid0(VALU_DEP_2) | instskip(NEXT) | instid1(VALU_DEP_2)
	v_fmamk_f32 v7, v2, 0x32a5705f, v7
	v_sub_f32_e32 v6, v6, v13
	s_delay_alu instid0(VALU_DEP_1) | instskip(SKIP_1) | instid1(VALU_DEP_2)
	v_add_f32_e32 v6, v6, v7
	v_cvt_i32_f32_e32 v7, v13
	v_exp_f32_e32 v6, v6
	s_waitcnt_depctr 0xfff
	v_ldexp_f32 v6, v6, v7
	s_delay_alu instid0(VALU_DEP_1) | instskip(SKIP_1) | instid1(VALU_DEP_2)
	v_cndmask_b32_e32 v6, 0, v6, vcc_lo
	v_cmp_nlt_f32_e32 vcc_lo, 0x42b17218, v2
	v_cndmask_b32_e32 v2, 0x7f800000, v6, vcc_lo
	s_delay_alu instid0(VALU_DEP_1) | instskip(NEXT) | instid1(VALU_DEP_1)
	v_add_f32_e32 v13, 1.0, v2
	v_cvt_f64_f32_e32 v[6:7], v13
	s_delay_alu instid0(VALU_DEP_1) | instskip(SKIP_1) | instid1(VALU_DEP_1)
	v_frexp_exp_i32_f64_e32 v6, v[6:7]
	v_frexp_mant_f32_e32 v7, v13
	v_cmp_gt_f32_e32 vcc_lo, 0x3f2aaaab, v7
	v_add_f32_e32 v7, -1.0, v13
	s_delay_alu instid0(VALU_DEP_1) | instskip(NEXT) | instid1(VALU_DEP_1)
	v_dual_sub_f32 v24, v7, v13 :: v_dual_sub_f32 v7, v2, v7
	v_add_f32_e32 v24, 1.0, v24
	s_delay_alu instid0(VALU_DEP_1) | instskip(SKIP_2) | instid1(VALU_DEP_2)
	v_add_f32_e32 v7, v7, v24
	v_subrev_co_ci_u32_e32 v6, vcc_lo, 0, v6, vcc_lo
	v_cmp_eq_f32_e32 vcc_lo, 0x7f800000, v2
	v_sub_nc_u32_e32 v22, 0, v6
	v_cvt_f32_i32_e32 v6, v6
	s_delay_alu instid0(VALU_DEP_2) | instskip(SKIP_1) | instid1(VALU_DEP_2)
	v_ldexp_f32 v13, v13, v22
	v_ldexp_f32 v7, v7, v22
	v_add_f32_e32 v25, 1.0, v13
	v_add_f32_e32 v22, -1.0, v13
	s_delay_alu instid0(VALU_DEP_2) | instskip(NEXT) | instid1(VALU_DEP_2)
	v_add_f32_e32 v24, -1.0, v25
	v_add_f32_e32 v26, 1.0, v22
	s_delay_alu instid0(VALU_DEP_2) | instskip(NEXT) | instid1(VALU_DEP_1)
	v_sub_f32_e32 v24, v13, v24
	v_dual_sub_f32 v13, v13, v26 :: v_dual_add_f32 v24, v7, v24
	s_delay_alu instid0(VALU_DEP_1) | instskip(NEXT) | instid1(VALU_DEP_1)
	v_dual_add_f32 v7, v7, v13 :: v_dual_add_f32 v26, v25, v24
	v_rcp_f32_e32 v13, v26
	v_sub_f32_e32 v25, v25, v26
	s_delay_alu instid0(VALU_DEP_1) | instskip(NEXT) | instid1(VALU_DEP_1)
	v_dual_add_f32 v27, v22, v7 :: v_dual_add_f32 v24, v24, v25
	v_sub_f32_e32 v22, v22, v27
	s_waitcnt_depctr 0xfff
	v_mul_f32_e32 v36, v27, v13
	v_add_f32_e32 v7, v7, v22
	s_delay_alu instid0(VALU_DEP_2) | instskip(NEXT) | instid1(VALU_DEP_1)
	v_mul_f32_e32 v37, v26, v36
	v_fma_f32 v25, v36, v26, -v37
	s_delay_alu instid0(VALU_DEP_1) | instskip(NEXT) | instid1(VALU_DEP_1)
	v_fmac_f32_e32 v25, v36, v24
	v_add_f32_e32 v50, v37, v25
	s_delay_alu instid0(VALU_DEP_1) | instskip(NEXT) | instid1(VALU_DEP_1)
	v_sub_f32_e32 v51, v27, v50
	v_sub_f32_e32 v27, v27, v51
	s_delay_alu instid0(VALU_DEP_1) | instskip(NEXT) | instid1(VALU_DEP_1)
	v_dual_sub_f32 v27, v27, v50 :: v_dual_sub_f32 v22, v50, v37
	v_dual_add_f32 v7, v7, v27 :: v_dual_sub_f32 v22, v22, v25
	s_delay_alu instid0(VALU_DEP_1) | instskip(NEXT) | instid1(VALU_DEP_1)
	v_add_f32_e32 v7, v22, v7
	v_add_f32_e32 v22, v51, v7
	s_delay_alu instid0(VALU_DEP_1) | instskip(NEXT) | instid1(VALU_DEP_1)
	v_mul_f32_e32 v25, v13, v22
	v_dual_mul_f32 v27, v26, v25 :: v_dual_sub_f32 v50, v51, v22
	s_delay_alu instid0(VALU_DEP_1) | instskip(NEXT) | instid1(VALU_DEP_1)
	v_fma_f32 v26, v25, v26, -v27
	v_dual_add_f32 v7, v7, v50 :: v_dual_fmac_f32 v26, v25, v24
	s_delay_alu instid0(VALU_DEP_1) | instskip(NEXT) | instid1(VALU_DEP_1)
	v_add_f32_e32 v24, v27, v26
	v_sub_f32_e32 v37, v22, v24
	s_delay_alu instid0(VALU_DEP_1) | instskip(NEXT) | instid1(VALU_DEP_1)
	v_dual_sub_f32 v27, v24, v27 :: v_dual_sub_f32 v22, v22, v37
	v_sub_f32_e32 v22, v22, v24
	s_delay_alu instid0(VALU_DEP_1) | instskip(NEXT) | instid1(VALU_DEP_3)
	v_dual_add_f32 v7, v7, v22 :: v_dual_add_f32 v22, v36, v25
	v_sub_f32_e32 v24, v27, v26
	s_delay_alu instid0(VALU_DEP_1) | instskip(NEXT) | instid1(VALU_DEP_1)
	v_dual_add_f32 v7, v24, v7 :: v_dual_sub_f32 v24, v22, v36
	v_add_f32_e32 v7, v37, v7
	s_delay_alu instid0(VALU_DEP_2) | instskip(NEXT) | instid1(VALU_DEP_2)
	v_sub_f32_e32 v24, v25, v24
	v_mul_f32_e32 v7, v13, v7
	s_delay_alu instid0(VALU_DEP_1) | instskip(NEXT) | instid1(VALU_DEP_1)
	v_add_f32_e32 v7, v24, v7
	v_add_f32_e32 v13, v22, v7
	s_delay_alu instid0(VALU_DEP_1) | instskip(NEXT) | instid1(VALU_DEP_1)
	v_mul_f32_e32 v24, v13, v13
	v_fmaak_f32 v25, s2, v24, 0x3ecc95a3
	v_mul_f32_e32 v26, v13, v24
	v_cmp_gt_f32_e64 s2, 0x33800000, |v2|
	s_delay_alu instid0(VALU_DEP_3) | instskip(SKIP_2) | instid1(VALU_DEP_4)
	v_fmaak_f32 v24, v24, v25, 0x3f2aaada
	v_ldexp_f32 v25, v13, 1
	v_sub_f32_e32 v13, v13, v22
	s_or_b32 vcc_lo, vcc_lo, s2
	s_delay_alu instid0(VALU_DEP_1) | instskip(NEXT) | instid1(VALU_DEP_1)
	v_sub_f32_e32 v7, v7, v13
	v_ldexp_f32 v7, v7, 1
	v_mul_f32_e32 v24, v26, v24
	s_delay_alu instid0(VALU_DEP_1) | instskip(NEXT) | instid1(VALU_DEP_1)
	v_add_f32_e32 v22, v25, v24
	v_sub_f32_e32 v13, v22, v25
	s_delay_alu instid0(VALU_DEP_1) | instskip(NEXT) | instid1(VALU_DEP_1)
	v_sub_f32_e32 v13, v24, v13
	v_add_f32_e32 v7, v7, v13
	s_delay_alu instid0(VALU_DEP_1) | instskip(SKIP_1) | instid1(VALU_DEP_1)
	v_add_f32_e32 v24, v22, v7
	v_mul_f32_e32 v26, 0x3f317218, v6
	v_fma_f32 v25, 0x3f317218, v6, -v26
	s_delay_alu instid0(VALU_DEP_1) | instskip(NEXT) | instid1(VALU_DEP_1)
	v_fmamk_f32 v6, v6, 0xb102e308, v25
	v_add_f32_e32 v13, v26, v6
	s_delay_alu instid0(VALU_DEP_1) | instskip(NEXT) | instid1(VALU_DEP_1)
	v_add_f32_e32 v25, v13, v24
	v_sub_f32_e32 v27, v25, v13
	s_delay_alu instid0(VALU_DEP_1) | instskip(SKIP_1) | instid1(VALU_DEP_1)
	v_sub_f32_e32 v36, v25, v27
	v_sub_f32_e32 v22, v24, v22
	v_dual_sub_f32 v7, v7, v22 :: v_dual_sub_f32 v22, v24, v27
	v_sub_f32_e32 v26, v13, v26
	s_delay_alu instid0(VALU_DEP_4) | instskip(NEXT) | instid1(VALU_DEP_1)
	v_sub_f32_e32 v13, v13, v36
	v_add_f32_e32 v13, v22, v13
	s_delay_alu instid0(VALU_DEP_3) | instskip(NEXT) | instid1(VALU_DEP_1)
	v_sub_f32_e32 v6, v6, v26
	v_add_f32_e32 v24, v6, v7
	s_delay_alu instid0(VALU_DEP_1) | instskip(SKIP_1) | instid1(VALU_DEP_1)
	v_add_f32_e32 v13, v24, v13
	v_sub_f32_e32 v22, v24, v6
	v_dual_add_f32 v26, v25, v13 :: v_dual_sub_f32 v7, v7, v22
	v_sub_f32_e32 v24, v24, v22
	s_delay_alu instid0(VALU_DEP_2) | instskip(NEXT) | instid1(VALU_DEP_2)
	v_sub_f32_e32 v22, v26, v25
	v_sub_f32_e32 v6, v6, v24
	s_delay_alu instid0(VALU_DEP_1) | instskip(NEXT) | instid1(VALU_DEP_3)
	v_add_f32_e32 v6, v7, v6
	v_sub_f32_e32 v7, v13, v22
	s_delay_alu instid0(VALU_DEP_1) | instskip(NEXT) | instid1(VALU_DEP_1)
	v_add_f32_e32 v6, v6, v7
	v_add_f32_e32 v6, v26, v6
	s_delay_alu instid0(VALU_DEP_1) | instskip(NEXT) | instid1(VALU_DEP_1)
	v_cndmask_b32_e32 v2, v6, v2, vcc_lo
	v_add_f32_e32 v2, v3, v2
	s_delay_alu instid0(VALU_DEP_1) | instskip(NEXT) | instid1(VALU_DEP_1)
	v_cvt_f16_f32_e32 v37, v2
	v_cvt_f32_f16_e32 v2, v37
	v_mov_b32_e32 v82, v37
.LBB430_344:
	s_or_b32 exec_lo, exec_lo, s1
	s_delay_alu instid0(VALU_DEP_2) | instskip(SKIP_1) | instid1(VALU_DEP_3)
	v_dual_max_f32 v3, v23, v23 :: v_dual_max_f32 v6, v2, v2
	v_cmp_u_f16_e32 vcc_lo, v37, v37
	v_mov_b32_e32 v83, v82
	s_delay_alu instid0(VALU_DEP_3) | instskip(NEXT) | instid1(VALU_DEP_1)
	v_min_f32_e32 v7, v6, v3
	v_dual_max_f32 v3, v6, v3 :: v_dual_cndmask_b32 v6, v7, v2
	s_delay_alu instid0(VALU_DEP_1) | instskip(NEXT) | instid1(VALU_DEP_2)
	v_cndmask_b32_e32 v3, v3, v2, vcc_lo
	v_cndmask_b32_e64 v6, v6, v23, s16
	s_delay_alu instid0(VALU_DEP_2) | instskip(NEXT) | instid1(VALU_DEP_2)
	v_cndmask_b32_e64 v3, v3, v23, s16
	v_cmp_class_f32_e64 s1, v6, 0x1f8
	s_delay_alu instid0(VALU_DEP_2) | instskip(NEXT) | instid1(VALU_DEP_2)
	v_cmp_neq_f32_e32 vcc_lo, v6, v3
	s_or_b32 s2, vcc_lo, s1
	s_delay_alu instid0(SALU_CYCLE_1)
	s_and_saveexec_b32 s1, s2
	s_cbranch_execz .LBB430_346
; %bb.345:
	v_sub_f32_e32 v2, v6, v3
	s_mov_b32 s2, 0x3e9b6dac
	s_delay_alu instid0(VALU_DEP_1) | instskip(SKIP_1) | instid1(VALU_DEP_2)
	v_mul_f32_e32 v6, 0x3fb8aa3b, v2
	v_cmp_ngt_f32_e32 vcc_lo, 0xc2ce8ed0, v2
	v_fma_f32 v7, 0x3fb8aa3b, v2, -v6
	v_rndne_f32_e32 v13, v6
	s_delay_alu instid0(VALU_DEP_2) | instskip(NEXT) | instid1(VALU_DEP_2)
	v_fmamk_f32 v7, v2, 0x32a5705f, v7
	v_sub_f32_e32 v6, v6, v13
	s_delay_alu instid0(VALU_DEP_1) | instskip(SKIP_1) | instid1(VALU_DEP_2)
	v_add_f32_e32 v6, v6, v7
	v_cvt_i32_f32_e32 v7, v13
	v_exp_f32_e32 v6, v6
	s_waitcnt_depctr 0xfff
	v_ldexp_f32 v6, v6, v7
	s_delay_alu instid0(VALU_DEP_1) | instskip(SKIP_1) | instid1(VALU_DEP_2)
	v_cndmask_b32_e32 v6, 0, v6, vcc_lo
	v_cmp_nlt_f32_e32 vcc_lo, 0x42b17218, v2
	v_cndmask_b32_e32 v2, 0x7f800000, v6, vcc_lo
	s_delay_alu instid0(VALU_DEP_1) | instskip(NEXT) | instid1(VALU_DEP_1)
	v_add_f32_e32 v13, 1.0, v2
	v_cvt_f64_f32_e32 v[6:7], v13
	s_delay_alu instid0(VALU_DEP_1) | instskip(SKIP_1) | instid1(VALU_DEP_1)
	v_frexp_exp_i32_f64_e32 v6, v[6:7]
	v_frexp_mant_f32_e32 v7, v13
	v_cmp_gt_f32_e32 vcc_lo, 0x3f2aaaab, v7
	v_add_f32_e32 v7, -1.0, v13
	s_delay_alu instid0(VALU_DEP_1) | instskip(NEXT) | instid1(VALU_DEP_1)
	v_sub_f32_e32 v23, v7, v13
	v_add_f32_e32 v23, 1.0, v23
	v_subrev_co_ci_u32_e32 v6, vcc_lo, 0, v6, vcc_lo
	v_cmp_eq_f32_e32 vcc_lo, 0x7f800000, v2
	s_delay_alu instid0(VALU_DEP_2) | instskip(SKIP_1) | instid1(VALU_DEP_2)
	v_sub_nc_u32_e32 v22, 0, v6
	v_cvt_f32_i32_e32 v6, v6
	v_ldexp_f32 v13, v13, v22
	s_delay_alu instid0(VALU_DEP_1) | instskip(NEXT) | instid1(VALU_DEP_1)
	v_dual_sub_f32 v7, v2, v7 :: v_dual_add_f32 v24, 1.0, v13
	v_add_f32_e32 v7, v7, v23
	s_delay_alu instid0(VALU_DEP_2) | instskip(NEXT) | instid1(VALU_DEP_2)
	v_add_f32_e32 v23, -1.0, v24
	v_ldexp_f32 v7, v7, v22
	s_delay_alu instid0(VALU_DEP_2) | instskip(NEXT) | instid1(VALU_DEP_1)
	v_dual_add_f32 v22, -1.0, v13 :: v_dual_sub_f32 v23, v13, v23
	v_add_f32_e32 v25, 1.0, v22
	s_delay_alu instid0(VALU_DEP_2) | instskip(NEXT) | instid1(VALU_DEP_2)
	v_add_f32_e32 v23, v7, v23
	v_sub_f32_e32 v13, v13, v25
	s_delay_alu instid0(VALU_DEP_1) | instskip(NEXT) | instid1(VALU_DEP_1)
	v_add_f32_e32 v7, v7, v13
	v_add_f32_e32 v26, v22, v7
	s_delay_alu instid0(VALU_DEP_1) | instskip(NEXT) | instid1(VALU_DEP_1)
	v_dual_add_f32 v25, v24, v23 :: v_dual_sub_f32 v22, v22, v26
	v_rcp_f32_e32 v13, v25
	v_sub_f32_e32 v24, v24, v25
	s_delay_alu instid0(VALU_DEP_1) | instskip(SKIP_2) | instid1(VALU_DEP_1)
	v_add_f32_e32 v23, v23, v24
	s_waitcnt_depctr 0xfff
	v_mul_f32_e32 v27, v26, v13
	v_mul_f32_e32 v36, v25, v27
	s_delay_alu instid0(VALU_DEP_1) | instskip(NEXT) | instid1(VALU_DEP_1)
	v_fma_f32 v24, v27, v25, -v36
	v_fmac_f32_e32 v24, v27, v23
	s_delay_alu instid0(VALU_DEP_1) | instskip(NEXT) | instid1(VALU_DEP_1)
	v_add_f32_e32 v37, v36, v24
	v_sub_f32_e32 v50, v26, v37
	s_delay_alu instid0(VALU_DEP_1) | instskip(SKIP_1) | instid1(VALU_DEP_2)
	v_sub_f32_e32 v26, v26, v50
	v_dual_add_f32 v7, v7, v22 :: v_dual_sub_f32 v22, v37, v36
	v_sub_f32_e32 v26, v26, v37
	s_delay_alu instid0(VALU_DEP_1) | instskip(NEXT) | instid1(VALU_DEP_1)
	v_dual_sub_f32 v22, v22, v24 :: v_dual_add_f32 v7, v7, v26
	v_add_f32_e32 v7, v22, v7
	s_delay_alu instid0(VALU_DEP_1) | instskip(NEXT) | instid1(VALU_DEP_1)
	v_add_f32_e32 v22, v50, v7
	v_mul_f32_e32 v24, v13, v22
	s_delay_alu instid0(VALU_DEP_1) | instskip(NEXT) | instid1(VALU_DEP_1)
	v_dual_sub_f32 v37, v50, v22 :: v_dual_mul_f32 v26, v25, v24
	v_add_f32_e32 v7, v7, v37
	s_delay_alu instid0(VALU_DEP_2) | instskip(NEXT) | instid1(VALU_DEP_1)
	v_fma_f32 v25, v24, v25, -v26
	v_fmac_f32_e32 v25, v24, v23
	s_delay_alu instid0(VALU_DEP_1) | instskip(NEXT) | instid1(VALU_DEP_1)
	v_add_f32_e32 v23, v26, v25
	v_sub_f32_e32 v36, v22, v23
	s_delay_alu instid0(VALU_DEP_1) | instskip(NEXT) | instid1(VALU_DEP_1)
	v_sub_f32_e32 v22, v22, v36
	v_sub_f32_e32 v22, v22, v23
	s_delay_alu instid0(VALU_DEP_1) | instskip(SKIP_2) | instid1(VALU_DEP_1)
	v_add_f32_e32 v7, v7, v22
	v_add_f32_e32 v22, v27, v24
	v_sub_f32_e32 v26, v23, v26
	v_sub_f32_e32 v23, v26, v25
	s_delay_alu instid0(VALU_DEP_1) | instskip(NEXT) | instid1(VALU_DEP_4)
	v_add_f32_e32 v7, v23, v7
	v_sub_f32_e32 v23, v22, v27
	s_delay_alu instid0(VALU_DEP_2) | instskip(NEXT) | instid1(VALU_DEP_2)
	v_add_f32_e32 v7, v36, v7
	v_sub_f32_e32 v23, v24, v23
	s_delay_alu instid0(VALU_DEP_2) | instskip(NEXT) | instid1(VALU_DEP_1)
	v_mul_f32_e32 v7, v13, v7
	v_add_f32_e32 v7, v23, v7
	s_delay_alu instid0(VALU_DEP_1) | instskip(NEXT) | instid1(VALU_DEP_1)
	v_add_f32_e32 v13, v22, v7
	v_mul_f32_e32 v23, v13, v13
	s_delay_alu instid0(VALU_DEP_1) | instskip(SKIP_2) | instid1(VALU_DEP_3)
	v_fmaak_f32 v24, s2, v23, 0x3ecc95a3
	v_mul_f32_e32 v25, v13, v23
	v_cmp_gt_f32_e64 s2, 0x33800000, |v2|
	v_fmaak_f32 v23, v23, v24, 0x3f2aaada
	v_ldexp_f32 v24, v13, 1
	v_sub_f32_e32 v13, v13, v22
	s_delay_alu instid0(VALU_DEP_4) | instskip(NEXT) | instid1(VALU_DEP_3)
	s_or_b32 vcc_lo, vcc_lo, s2
	v_mul_f32_e32 v23, v25, v23
	s_delay_alu instid0(VALU_DEP_1) | instskip(NEXT) | instid1(VALU_DEP_1)
	v_dual_sub_f32 v7, v7, v13 :: v_dual_add_f32 v22, v24, v23
	v_ldexp_f32 v7, v7, 1
	s_delay_alu instid0(VALU_DEP_2) | instskip(NEXT) | instid1(VALU_DEP_1)
	v_sub_f32_e32 v13, v22, v24
	v_sub_f32_e32 v13, v23, v13
	s_delay_alu instid0(VALU_DEP_1) | instskip(NEXT) | instid1(VALU_DEP_1)
	v_add_f32_e32 v7, v7, v13
	v_add_f32_e32 v23, v22, v7
	v_mul_f32_e32 v25, 0x3f317218, v6
	s_delay_alu instid0(VALU_DEP_2) | instskip(NEXT) | instid1(VALU_DEP_2)
	v_sub_f32_e32 v22, v23, v22
	v_fma_f32 v24, 0x3f317218, v6, -v25
	s_delay_alu instid0(VALU_DEP_1) | instskip(NEXT) | instid1(VALU_DEP_1)
	v_dual_sub_f32 v7, v7, v22 :: v_dual_fmamk_f32 v6, v6, 0xb102e308, v24
	v_add_f32_e32 v13, v25, v6
	s_delay_alu instid0(VALU_DEP_1) | instskip(SKIP_1) | instid1(VALU_DEP_2)
	v_add_f32_e32 v24, v13, v23
	v_sub_f32_e32 v25, v13, v25
	v_sub_f32_e32 v26, v24, v13
	s_delay_alu instid0(VALU_DEP_1) | instskip(NEXT) | instid1(VALU_DEP_1)
	v_dual_sub_f32 v6, v6, v25 :: v_dual_sub_f32 v27, v24, v26
	v_dual_sub_f32 v22, v23, v26 :: v_dual_add_f32 v23, v6, v7
	s_delay_alu instid0(VALU_DEP_2) | instskip(NEXT) | instid1(VALU_DEP_1)
	v_sub_f32_e32 v13, v13, v27
	v_dual_add_f32 v13, v22, v13 :: v_dual_sub_f32 v22, v23, v6
	s_delay_alu instid0(VALU_DEP_1) | instskip(NEXT) | instid1(VALU_DEP_2)
	v_add_f32_e32 v13, v23, v13
	v_sub_f32_e32 v23, v23, v22
	v_sub_f32_e32 v7, v7, v22
	s_delay_alu instid0(VALU_DEP_2) | instskip(NEXT) | instid1(VALU_DEP_1)
	v_dual_add_f32 v25, v24, v13 :: v_dual_sub_f32 v6, v6, v23
	v_sub_f32_e32 v22, v25, v24
	s_delay_alu instid0(VALU_DEP_2) | instskip(NEXT) | instid1(VALU_DEP_2)
	v_add_f32_e32 v6, v7, v6
	v_sub_f32_e32 v7, v13, v22
	s_delay_alu instid0(VALU_DEP_1) | instskip(NEXT) | instid1(VALU_DEP_1)
	v_add_f32_e32 v6, v6, v7
	v_add_f32_e32 v6, v25, v6
	s_delay_alu instid0(VALU_DEP_1) | instskip(NEXT) | instid1(VALU_DEP_1)
	v_cndmask_b32_e32 v2, v6, v2, vcc_lo
	v_add_f32_e32 v2, v3, v2
	s_delay_alu instid0(VALU_DEP_1) | instskip(NEXT) | instid1(VALU_DEP_1)
	v_cvt_f16_f32_e32 v37, v2
	v_cvt_f32_f16_e32 v2, v37
	v_mov_b32_e32 v83, v37
.LBB430_346:
	s_or_b32 exec_lo, exec_lo, s1
	s_delay_alu instid0(VALU_DEP_2) | instskip(SKIP_1) | instid1(VALU_DEP_2)
	v_dual_max_f32 v3, v49, v49 :: v_dual_max_f32 v6, v2, v2
	v_cmp_u_f16_e32 vcc_lo, v37, v37
	v_dual_mov_b32 v84, v83 :: v_dual_min_f32 v7, v6, v3
	s_delay_alu instid0(VALU_DEP_1) | instskip(NEXT) | instid1(VALU_DEP_1)
	v_dual_max_f32 v3, v6, v3 :: v_dual_cndmask_b32 v6, v7, v2
	v_cndmask_b32_e32 v3, v3, v2, vcc_lo
	s_delay_alu instid0(VALU_DEP_2) | instskip(NEXT) | instid1(VALU_DEP_2)
	v_cndmask_b32_e64 v6, v6, v49, s17
	v_cndmask_b32_e64 v3, v3, v49, s17
	s_delay_alu instid0(VALU_DEP_2) | instskip(NEXT) | instid1(VALU_DEP_2)
	v_cmp_class_f32_e64 s1, v6, 0x1f8
	v_cmp_neq_f32_e32 vcc_lo, v6, v3
	s_delay_alu instid0(VALU_DEP_2) | instskip(NEXT) | instid1(SALU_CYCLE_1)
	s_or_b32 s2, vcc_lo, s1
	s_and_saveexec_b32 s1, s2
	s_cbranch_execz .LBB430_348
; %bb.347:
	v_sub_f32_e32 v2, v6, v3
	s_mov_b32 s2, 0x3e9b6dac
	s_delay_alu instid0(VALU_DEP_1) | instskip(SKIP_1) | instid1(VALU_DEP_2)
	v_mul_f32_e32 v6, 0x3fb8aa3b, v2
	v_cmp_ngt_f32_e32 vcc_lo, 0xc2ce8ed0, v2
	v_fma_f32 v7, 0x3fb8aa3b, v2, -v6
	v_rndne_f32_e32 v13, v6
	s_delay_alu instid0(VALU_DEP_2) | instskip(NEXT) | instid1(VALU_DEP_2)
	v_fmamk_f32 v7, v2, 0x32a5705f, v7
	v_sub_f32_e32 v6, v6, v13
	s_delay_alu instid0(VALU_DEP_1) | instskip(SKIP_1) | instid1(VALU_DEP_2)
	v_add_f32_e32 v6, v6, v7
	v_cvt_i32_f32_e32 v7, v13
	v_exp_f32_e32 v6, v6
	s_waitcnt_depctr 0xfff
	v_ldexp_f32 v6, v6, v7
	s_delay_alu instid0(VALU_DEP_1) | instskip(SKIP_1) | instid1(VALU_DEP_2)
	v_cndmask_b32_e32 v6, 0, v6, vcc_lo
	v_cmp_nlt_f32_e32 vcc_lo, 0x42b17218, v2
	v_cndmask_b32_e32 v2, 0x7f800000, v6, vcc_lo
	s_delay_alu instid0(VALU_DEP_1) | instskip(NEXT) | instid1(VALU_DEP_1)
	v_add_f32_e32 v13, 1.0, v2
	v_cvt_f64_f32_e32 v[6:7], v13
	s_delay_alu instid0(VALU_DEP_1) | instskip(SKIP_1) | instid1(VALU_DEP_1)
	v_frexp_exp_i32_f64_e32 v6, v[6:7]
	v_frexp_mant_f32_e32 v7, v13
	v_cmp_gt_f32_e32 vcc_lo, 0x3f2aaaab, v7
	v_add_f32_e32 v7, -1.0, v13
	s_delay_alu instid0(VALU_DEP_1) | instskip(NEXT) | instid1(VALU_DEP_1)
	v_sub_f32_e32 v23, v7, v13
	v_add_f32_e32 v23, 1.0, v23
	v_subrev_co_ci_u32_e32 v6, vcc_lo, 0, v6, vcc_lo
	v_cmp_eq_f32_e32 vcc_lo, 0x7f800000, v2
	s_delay_alu instid0(VALU_DEP_2) | instskip(SKIP_1) | instid1(VALU_DEP_2)
	v_sub_nc_u32_e32 v22, 0, v6
	v_cvt_f32_i32_e32 v6, v6
	v_ldexp_f32 v13, v13, v22
	s_delay_alu instid0(VALU_DEP_1) | instskip(NEXT) | instid1(VALU_DEP_1)
	v_dual_sub_f32 v7, v2, v7 :: v_dual_add_f32 v24, 1.0, v13
	v_add_f32_e32 v7, v7, v23
	s_delay_alu instid0(VALU_DEP_2) | instskip(NEXT) | instid1(VALU_DEP_2)
	v_add_f32_e32 v23, -1.0, v24
	v_ldexp_f32 v7, v7, v22
	s_delay_alu instid0(VALU_DEP_2) | instskip(NEXT) | instid1(VALU_DEP_1)
	v_dual_add_f32 v22, -1.0, v13 :: v_dual_sub_f32 v23, v13, v23
	v_add_f32_e32 v25, 1.0, v22
	s_delay_alu instid0(VALU_DEP_2) | instskip(NEXT) | instid1(VALU_DEP_2)
	v_add_f32_e32 v23, v7, v23
	v_sub_f32_e32 v13, v13, v25
	s_delay_alu instid0(VALU_DEP_1) | instskip(NEXT) | instid1(VALU_DEP_1)
	v_add_f32_e32 v7, v7, v13
	v_add_f32_e32 v26, v22, v7
	s_delay_alu instid0(VALU_DEP_1) | instskip(NEXT) | instid1(VALU_DEP_1)
	v_dual_sub_f32 v22, v22, v26 :: v_dual_add_f32 v25, v24, v23
	v_rcp_f32_e32 v13, v25
	v_sub_f32_e32 v24, v24, v25
	s_delay_alu instid0(VALU_DEP_1) | instskip(SKIP_2) | instid1(VALU_DEP_1)
	v_add_f32_e32 v23, v23, v24
	s_waitcnt_depctr 0xfff
	v_mul_f32_e32 v27, v26, v13
	v_mul_f32_e32 v36, v25, v27
	s_delay_alu instid0(VALU_DEP_1) | instskip(NEXT) | instid1(VALU_DEP_1)
	v_fma_f32 v24, v27, v25, -v36
	v_fmac_f32_e32 v24, v27, v23
	v_add_f32_e32 v7, v7, v22
	s_delay_alu instid0(VALU_DEP_2) | instskip(NEXT) | instid1(VALU_DEP_1)
	v_add_f32_e32 v37, v36, v24
	v_dual_sub_f32 v49, v26, v37 :: v_dual_sub_f32 v22, v37, v36
	s_delay_alu instid0(VALU_DEP_1) | instskip(NEXT) | instid1(VALU_DEP_2)
	v_sub_f32_e32 v26, v26, v49
	v_sub_f32_e32 v22, v22, v24
	s_delay_alu instid0(VALU_DEP_2) | instskip(NEXT) | instid1(VALU_DEP_1)
	v_sub_f32_e32 v26, v26, v37
	v_add_f32_e32 v7, v7, v26
	s_delay_alu instid0(VALU_DEP_1) | instskip(NEXT) | instid1(VALU_DEP_1)
	v_add_f32_e32 v7, v22, v7
	v_add_f32_e32 v22, v49, v7
	s_delay_alu instid0(VALU_DEP_1) | instskip(SKIP_1) | instid1(VALU_DEP_2)
	v_mul_f32_e32 v24, v13, v22
	v_sub_f32_e32 v37, v49, v22
	v_mul_f32_e32 v26, v25, v24
	s_delay_alu instid0(VALU_DEP_1) | instskip(NEXT) | instid1(VALU_DEP_1)
	v_fma_f32 v25, v24, v25, -v26
	v_fmac_f32_e32 v25, v24, v23
	s_delay_alu instid0(VALU_DEP_1) | instskip(NEXT) | instid1(VALU_DEP_1)
	v_add_f32_e32 v23, v26, v25
	v_sub_f32_e32 v36, v22, v23
	v_sub_f32_e32 v26, v23, v26
	s_delay_alu instid0(VALU_DEP_2) | instskip(NEXT) | instid1(VALU_DEP_1)
	v_dual_sub_f32 v22, v22, v36 :: v_dual_add_f32 v7, v7, v37
	v_sub_f32_e32 v22, v22, v23
	s_delay_alu instid0(VALU_DEP_3) | instskip(NEXT) | instid1(VALU_DEP_2)
	v_sub_f32_e32 v23, v26, v25
	v_add_f32_e32 v7, v7, v22
	v_add_f32_e32 v22, v27, v24
	s_delay_alu instid0(VALU_DEP_2) | instskip(NEXT) | instid1(VALU_DEP_2)
	v_add_f32_e32 v7, v23, v7
	v_sub_f32_e32 v23, v22, v27
	s_delay_alu instid0(VALU_DEP_2) | instskip(NEXT) | instid1(VALU_DEP_2)
	v_add_f32_e32 v7, v36, v7
	v_sub_f32_e32 v23, v24, v23
	s_delay_alu instid0(VALU_DEP_2) | instskip(NEXT) | instid1(VALU_DEP_1)
	v_mul_f32_e32 v7, v13, v7
	v_add_f32_e32 v7, v23, v7
	s_delay_alu instid0(VALU_DEP_1) | instskip(NEXT) | instid1(VALU_DEP_1)
	v_add_f32_e32 v13, v22, v7
	v_mul_f32_e32 v23, v13, v13
	s_delay_alu instid0(VALU_DEP_1) | instskip(SKIP_1) | instid1(VALU_DEP_1)
	v_fmaak_f32 v24, s2, v23, 0x3ecc95a3
	v_cmp_gt_f32_e64 s2, 0x33800000, |v2|
	s_or_b32 vcc_lo, vcc_lo, s2
	v_mul_f32_e32 v25, v13, v23
	s_delay_alu instid0(VALU_DEP_3) | instskip(SKIP_1) | instid1(VALU_DEP_2)
	v_fmaak_f32 v23, v23, v24, 0x3f2aaada
	v_ldexp_f32 v24, v13, 1
	v_mul_f32_e32 v23, v25, v23
	s_delay_alu instid0(VALU_DEP_1) | instskip(NEXT) | instid1(VALU_DEP_1)
	v_dual_sub_f32 v13, v13, v22 :: v_dual_add_f32 v22, v24, v23
	v_sub_f32_e32 v7, v7, v13
	s_delay_alu instid0(VALU_DEP_2) | instskip(NEXT) | instid1(VALU_DEP_2)
	v_sub_f32_e32 v13, v22, v24
	v_ldexp_f32 v7, v7, 1
	s_delay_alu instid0(VALU_DEP_2) | instskip(NEXT) | instid1(VALU_DEP_1)
	v_sub_f32_e32 v13, v23, v13
	v_add_f32_e32 v7, v7, v13
	s_delay_alu instid0(VALU_DEP_1) | instskip(SKIP_1) | instid1(VALU_DEP_2)
	v_add_f32_e32 v23, v22, v7
	v_mul_f32_e32 v25, 0x3f317218, v6
	v_sub_f32_e32 v22, v23, v22
	s_delay_alu instid0(VALU_DEP_2) | instskip(NEXT) | instid1(VALU_DEP_1)
	v_fma_f32 v24, 0x3f317218, v6, -v25
	v_dual_sub_f32 v7, v7, v22 :: v_dual_fmamk_f32 v6, v6, 0xb102e308, v24
	s_delay_alu instid0(VALU_DEP_1) | instskip(NEXT) | instid1(VALU_DEP_1)
	v_add_f32_e32 v13, v25, v6
	v_add_f32_e32 v24, v13, v23
	v_sub_f32_e32 v25, v13, v25
	s_delay_alu instid0(VALU_DEP_2) | instskip(NEXT) | instid1(VALU_DEP_1)
	v_sub_f32_e32 v26, v24, v13
	v_dual_sub_f32 v6, v6, v25 :: v_dual_sub_f32 v27, v24, v26
	s_delay_alu instid0(VALU_DEP_1) | instskip(NEXT) | instid1(VALU_DEP_2)
	v_dual_sub_f32 v22, v23, v26 :: v_dual_add_f32 v23, v6, v7
	v_sub_f32_e32 v13, v13, v27
	s_delay_alu instid0(VALU_DEP_1) | instskip(NEXT) | instid1(VALU_DEP_1)
	v_dual_add_f32 v13, v22, v13 :: v_dual_sub_f32 v22, v23, v6
	v_add_f32_e32 v13, v23, v13
	s_delay_alu instid0(VALU_DEP_2) | instskip(SKIP_1) | instid1(VALU_DEP_2)
	v_sub_f32_e32 v23, v23, v22
	v_sub_f32_e32 v7, v7, v22
	v_dual_add_f32 v25, v24, v13 :: v_dual_sub_f32 v6, v6, v23
	s_delay_alu instid0(VALU_DEP_1) | instskip(NEXT) | instid1(VALU_DEP_2)
	v_sub_f32_e32 v22, v25, v24
	v_add_f32_e32 v6, v7, v6
	s_delay_alu instid0(VALU_DEP_2) | instskip(NEXT) | instid1(VALU_DEP_1)
	v_sub_f32_e32 v7, v13, v22
	v_add_f32_e32 v6, v6, v7
	s_delay_alu instid0(VALU_DEP_1) | instskip(NEXT) | instid1(VALU_DEP_1)
	v_add_f32_e32 v6, v25, v6
	v_cndmask_b32_e32 v2, v6, v2, vcc_lo
	s_delay_alu instid0(VALU_DEP_1) | instskip(NEXT) | instid1(VALU_DEP_1)
	v_add_f32_e32 v2, v3, v2
	v_cvt_f16_f32_e32 v37, v2
	s_delay_alu instid0(VALU_DEP_1)
	v_cvt_f32_f16_e32 v2, v37
	v_mov_b32_e32 v84, v37
.LBB430_348:
	s_or_b32 exec_lo, exec_lo, s1
	s_delay_alu instid0(VALU_DEP_2) | instskip(SKIP_1) | instid1(VALU_DEP_3)
	v_dual_max_f32 v3, v16, v16 :: v_dual_max_f32 v6, v2, v2
	v_cmp_u_f16_e32 vcc_lo, v37, v37
	v_mov_b32_e32 v85, v84
	s_delay_alu instid0(VALU_DEP_3) | instskip(NEXT) | instid1(VALU_DEP_1)
	v_min_f32_e32 v7, v6, v3
	v_dual_max_f32 v3, v6, v3 :: v_dual_cndmask_b32 v6, v7, v2
	s_delay_alu instid0(VALU_DEP_1) | instskip(NEXT) | instid1(VALU_DEP_2)
	v_cndmask_b32_e32 v3, v3, v2, vcc_lo
	v_cndmask_b32_e64 v6, v6, v16, s18
	s_delay_alu instid0(VALU_DEP_2) | instskip(NEXT) | instid1(VALU_DEP_2)
	v_cndmask_b32_e64 v3, v3, v16, s18
	v_cmp_class_f32_e64 s1, v6, 0x1f8
	s_delay_alu instid0(VALU_DEP_2) | instskip(NEXT) | instid1(VALU_DEP_2)
	v_cmp_neq_f32_e32 vcc_lo, v6, v3
	s_or_b32 s2, vcc_lo, s1
	s_delay_alu instid0(SALU_CYCLE_1)
	s_and_saveexec_b32 s1, s2
	s_cbranch_execz .LBB430_350
; %bb.349:
	v_sub_f32_e32 v2, v6, v3
	s_mov_b32 s2, 0x3e9b6dac
	s_delay_alu instid0(VALU_DEP_1) | instskip(SKIP_1) | instid1(VALU_DEP_2)
	v_mul_f32_e32 v6, 0x3fb8aa3b, v2
	v_cmp_ngt_f32_e32 vcc_lo, 0xc2ce8ed0, v2
	v_fma_f32 v7, 0x3fb8aa3b, v2, -v6
	v_rndne_f32_e32 v13, v6
	s_delay_alu instid0(VALU_DEP_2) | instskip(NEXT) | instid1(VALU_DEP_2)
	v_fmamk_f32 v7, v2, 0x32a5705f, v7
	v_sub_f32_e32 v6, v6, v13
	s_delay_alu instid0(VALU_DEP_1) | instskip(SKIP_1) | instid1(VALU_DEP_2)
	v_add_f32_e32 v6, v6, v7
	v_cvt_i32_f32_e32 v7, v13
	v_exp_f32_e32 v6, v6
	s_waitcnt_depctr 0xfff
	v_ldexp_f32 v6, v6, v7
	s_delay_alu instid0(VALU_DEP_1) | instskip(SKIP_1) | instid1(VALU_DEP_2)
	v_cndmask_b32_e32 v6, 0, v6, vcc_lo
	v_cmp_nlt_f32_e32 vcc_lo, 0x42b17218, v2
	v_cndmask_b32_e32 v2, 0x7f800000, v6, vcc_lo
	s_delay_alu instid0(VALU_DEP_1) | instskip(NEXT) | instid1(VALU_DEP_1)
	v_add_f32_e32 v13, 1.0, v2
	v_cvt_f64_f32_e32 v[6:7], v13
	s_delay_alu instid0(VALU_DEP_1) | instskip(SKIP_1) | instid1(VALU_DEP_1)
	v_frexp_exp_i32_f64_e32 v6, v[6:7]
	v_frexp_mant_f32_e32 v7, v13
	v_cmp_gt_f32_e32 vcc_lo, 0x3f2aaaab, v7
	v_add_f32_e32 v7, -1.0, v13
	s_delay_alu instid0(VALU_DEP_1) | instskip(NEXT) | instid1(VALU_DEP_1)
	v_dual_sub_f32 v22, v7, v13 :: v_dual_sub_f32 v7, v2, v7
	v_add_f32_e32 v22, 1.0, v22
	v_subrev_co_ci_u32_e32 v6, vcc_lo, 0, v6, vcc_lo
	s_delay_alu instid0(VALU_DEP_1) | instskip(SKIP_1) | instid1(VALU_DEP_2)
	v_sub_nc_u32_e32 v16, 0, v6
	v_cvt_f32_i32_e32 v6, v6
	v_ldexp_f32 v13, v13, v16
	s_delay_alu instid0(VALU_DEP_1) | instskip(NEXT) | instid1(VALU_DEP_1)
	v_add_f32_e32 v23, 1.0, v13
	v_dual_add_f32 v7, v7, v22 :: v_dual_add_f32 v22, -1.0, v23
	s_delay_alu instid0(VALU_DEP_1) | instskip(SKIP_1) | instid1(VALU_DEP_3)
	v_ldexp_f32 v7, v7, v16
	v_add_f32_e32 v16, -1.0, v13
	v_sub_f32_e32 v22, v13, v22
	s_delay_alu instid0(VALU_DEP_2) | instskip(NEXT) | instid1(VALU_DEP_1)
	v_add_f32_e32 v24, 1.0, v16
	v_dual_add_f32 v22, v7, v22 :: v_dual_sub_f32 v13, v13, v24
	v_cmp_eq_f32_e32 vcc_lo, 0x7f800000, v2
	s_delay_alu instid0(VALU_DEP_2) | instskip(NEXT) | instid1(VALU_DEP_3)
	v_add_f32_e32 v24, v23, v22
	v_add_f32_e32 v7, v7, v13
	s_delay_alu instid0(VALU_DEP_2) | instskip(SKIP_1) | instid1(VALU_DEP_2)
	v_rcp_f32_e32 v13, v24
	v_sub_f32_e32 v23, v23, v24
	v_add_f32_e32 v25, v16, v7
	s_delay_alu instid0(VALU_DEP_2) | instskip(SKIP_2) | instid1(VALU_DEP_1)
	v_add_f32_e32 v22, v22, v23
	s_waitcnt_depctr 0xfff
	v_mul_f32_e32 v26, v25, v13
	v_mul_f32_e32 v27, v24, v26
	s_delay_alu instid0(VALU_DEP_1) | instskip(NEXT) | instid1(VALU_DEP_1)
	v_fma_f32 v23, v26, v24, -v27
	v_fmac_f32_e32 v23, v26, v22
	s_delay_alu instid0(VALU_DEP_1) | instskip(NEXT) | instid1(VALU_DEP_1)
	v_add_f32_e32 v36, v27, v23
	v_dual_sub_f32 v16, v16, v25 :: v_dual_sub_f32 v37, v25, v36
	s_delay_alu instid0(VALU_DEP_1) | instskip(NEXT) | instid1(VALU_DEP_1)
	v_sub_f32_e32 v25, v25, v37
	v_sub_f32_e32 v25, v25, v36
	s_delay_alu instid0(VALU_DEP_3) | instskip(NEXT) | instid1(VALU_DEP_1)
	v_dual_add_f32 v7, v7, v16 :: v_dual_sub_f32 v16, v36, v27
	v_dual_add_f32 v7, v7, v25 :: v_dual_sub_f32 v16, v16, v23
	s_delay_alu instid0(VALU_DEP_1) | instskip(NEXT) | instid1(VALU_DEP_1)
	v_add_f32_e32 v7, v16, v7
	v_add_f32_e32 v16, v37, v7
	s_delay_alu instid0(VALU_DEP_1) | instskip(NEXT) | instid1(VALU_DEP_1)
	v_mul_f32_e32 v23, v13, v16
	v_mul_f32_e32 v25, v24, v23
	s_delay_alu instid0(VALU_DEP_1) | instskip(NEXT) | instid1(VALU_DEP_1)
	v_fma_f32 v24, v23, v24, -v25
	v_fmac_f32_e32 v24, v23, v22
	s_delay_alu instid0(VALU_DEP_1) | instskip(NEXT) | instid1(VALU_DEP_1)
	v_add_f32_e32 v22, v25, v24
	v_sub_f32_e32 v25, v22, v25
	v_dual_sub_f32 v27, v16, v22 :: v_dual_sub_f32 v36, v37, v16
	s_delay_alu instid0(VALU_DEP_1) | instskip(NEXT) | instid1(VALU_DEP_1)
	v_dual_sub_f32 v16, v16, v27 :: v_dual_add_f32 v7, v7, v36
	v_sub_f32_e32 v16, v16, v22
	s_delay_alu instid0(VALU_DEP_1) | instskip(SKIP_1) | instid1(VALU_DEP_1)
	v_dual_add_f32 v7, v7, v16 :: v_dual_add_f32 v16, v26, v23
	v_sub_f32_e32 v22, v25, v24
	v_add_f32_e32 v7, v22, v7
	s_delay_alu instid0(VALU_DEP_1) | instskip(NEXT) | instid1(VALU_DEP_1)
	v_dual_add_f32 v7, v27, v7 :: v_dual_sub_f32 v22, v16, v26
	v_dual_mul_f32 v7, v13, v7 :: v_dual_sub_f32 v22, v23, v22
	s_delay_alu instid0(VALU_DEP_1) | instskip(NEXT) | instid1(VALU_DEP_1)
	v_add_f32_e32 v7, v22, v7
	v_add_f32_e32 v13, v16, v7
	s_delay_alu instid0(VALU_DEP_1) | instskip(NEXT) | instid1(VALU_DEP_1)
	v_mul_f32_e32 v22, v13, v13
	v_fmaak_f32 v23, s2, v22, 0x3ecc95a3
	v_mul_f32_e32 v24, v13, v22
	v_cmp_gt_f32_e64 s2, 0x33800000, |v2|
	s_delay_alu instid0(VALU_DEP_3) | instskip(SKIP_2) | instid1(VALU_DEP_4)
	v_fmaak_f32 v22, v22, v23, 0x3f2aaada
	v_ldexp_f32 v23, v13, 1
	v_sub_f32_e32 v13, v13, v16
	s_or_b32 vcc_lo, vcc_lo, s2
	s_delay_alu instid0(VALU_DEP_1) | instskip(NEXT) | instid1(VALU_DEP_1)
	v_dual_sub_f32 v7, v7, v13 :: v_dual_mul_f32 v22, v24, v22
	v_ldexp_f32 v7, v7, 1
	s_delay_alu instid0(VALU_DEP_2) | instskip(NEXT) | instid1(VALU_DEP_1)
	v_add_f32_e32 v16, v23, v22
	v_dual_mul_f32 v24, 0x3f317218, v6 :: v_dual_sub_f32 v13, v16, v23
	s_delay_alu instid0(VALU_DEP_1) | instskip(NEXT) | instid1(VALU_DEP_2)
	v_fma_f32 v23, 0x3f317218, v6, -v24
	v_sub_f32_e32 v13, v22, v13
	s_delay_alu instid0(VALU_DEP_1) | instskip(NEXT) | instid1(VALU_DEP_1)
	v_add_f32_e32 v7, v7, v13
	v_add_f32_e32 v22, v16, v7
	s_delay_alu instid0(VALU_DEP_4) | instskip(NEXT) | instid1(VALU_DEP_1)
	v_fmamk_f32 v6, v6, 0xb102e308, v23
	v_dual_sub_f32 v16, v22, v16 :: v_dual_add_f32 v13, v24, v6
	s_delay_alu instid0(VALU_DEP_1) | instskip(NEXT) | instid1(VALU_DEP_2)
	v_sub_f32_e32 v7, v7, v16
	v_add_f32_e32 v23, v13, v22
	s_delay_alu instid0(VALU_DEP_1) | instskip(NEXT) | instid1(VALU_DEP_1)
	v_sub_f32_e32 v25, v23, v13
	v_sub_f32_e32 v26, v23, v25
	;; [unrolled: 1-line block ×4, first 2 shown]
	s_delay_alu instid0(VALU_DEP_3) | instskip(NEXT) | instid1(VALU_DEP_1)
	v_sub_f32_e32 v13, v13, v26
	v_dual_add_f32 v13, v16, v13 :: v_dual_sub_f32 v6, v6, v24
	s_delay_alu instid0(VALU_DEP_1) | instskip(NEXT) | instid1(VALU_DEP_1)
	v_add_f32_e32 v22, v6, v7
	v_sub_f32_e32 v16, v22, v6
	s_delay_alu instid0(VALU_DEP_1) | instskip(NEXT) | instid1(VALU_DEP_4)
	v_sub_f32_e32 v7, v7, v16
	v_add_f32_e32 v13, v22, v13
	v_sub_f32_e32 v22, v22, v16
	s_delay_alu instid0(VALU_DEP_2) | instskip(NEXT) | instid1(VALU_DEP_2)
	v_add_f32_e32 v24, v23, v13
	v_sub_f32_e32 v6, v6, v22
	s_delay_alu instid0(VALU_DEP_2) | instskip(NEXT) | instid1(VALU_DEP_1)
	v_sub_f32_e32 v16, v24, v23
	v_dual_add_f32 v6, v7, v6 :: v_dual_sub_f32 v7, v13, v16
	s_delay_alu instid0(VALU_DEP_1) | instskip(NEXT) | instid1(VALU_DEP_1)
	v_add_f32_e32 v6, v6, v7
	v_add_f32_e32 v6, v24, v6
	s_delay_alu instid0(VALU_DEP_1) | instskip(NEXT) | instid1(VALU_DEP_1)
	v_cndmask_b32_e32 v2, v6, v2, vcc_lo
	v_add_f32_e32 v2, v3, v2
	s_delay_alu instid0(VALU_DEP_1) | instskip(NEXT) | instid1(VALU_DEP_1)
	v_cvt_f16_f32_e32 v37, v2
	v_cvt_f32_f16_e32 v2, v37
	v_mov_b32_e32 v85, v37
.LBB430_350:
	s_or_b32 exec_lo, exec_lo, s1
	s_delay_alu instid0(VALU_DEP_2) | instskip(SKIP_1) | instid1(VALU_DEP_2)
	v_dual_max_f32 v3, v48, v48 :: v_dual_max_f32 v6, v2, v2
	v_cmp_u_f16_e32 vcc_lo, v37, v37
	v_dual_mov_b32 v86, v85 :: v_dual_min_f32 v7, v6, v3
	s_delay_alu instid0(VALU_DEP_1) | instskip(NEXT) | instid1(VALU_DEP_1)
	v_dual_max_f32 v3, v6, v3 :: v_dual_cndmask_b32 v6, v7, v2
	v_cndmask_b32_e32 v3, v3, v2, vcc_lo
	s_delay_alu instid0(VALU_DEP_2) | instskip(NEXT) | instid1(VALU_DEP_2)
	v_cndmask_b32_e64 v6, v6, v48, s19
	v_cndmask_b32_e64 v3, v3, v48, s19
	s_delay_alu instid0(VALU_DEP_2) | instskip(NEXT) | instid1(VALU_DEP_2)
	v_cmp_class_f32_e64 s1, v6, 0x1f8
	v_cmp_neq_f32_e32 vcc_lo, v6, v3
	s_delay_alu instid0(VALU_DEP_2) | instskip(NEXT) | instid1(SALU_CYCLE_1)
	s_or_b32 s2, vcc_lo, s1
	s_and_saveexec_b32 s1, s2
	s_cbranch_execz .LBB430_352
; %bb.351:
	v_sub_f32_e32 v2, v6, v3
	s_mov_b32 s2, 0x3e9b6dac
	s_delay_alu instid0(VALU_DEP_1) | instskip(SKIP_1) | instid1(VALU_DEP_2)
	v_mul_f32_e32 v6, 0x3fb8aa3b, v2
	v_cmp_ngt_f32_e32 vcc_lo, 0xc2ce8ed0, v2
	v_fma_f32 v7, 0x3fb8aa3b, v2, -v6
	v_rndne_f32_e32 v13, v6
	s_delay_alu instid0(VALU_DEP_2) | instskip(NEXT) | instid1(VALU_DEP_2)
	v_fmamk_f32 v7, v2, 0x32a5705f, v7
	v_sub_f32_e32 v6, v6, v13
	s_delay_alu instid0(VALU_DEP_1) | instskip(SKIP_1) | instid1(VALU_DEP_2)
	v_add_f32_e32 v6, v6, v7
	v_cvt_i32_f32_e32 v7, v13
	v_exp_f32_e32 v6, v6
	s_waitcnt_depctr 0xfff
	v_ldexp_f32 v6, v6, v7
	s_delay_alu instid0(VALU_DEP_1) | instskip(SKIP_1) | instid1(VALU_DEP_2)
	v_cndmask_b32_e32 v6, 0, v6, vcc_lo
	v_cmp_nlt_f32_e32 vcc_lo, 0x42b17218, v2
	v_cndmask_b32_e32 v2, 0x7f800000, v6, vcc_lo
	s_delay_alu instid0(VALU_DEP_1) | instskip(NEXT) | instid1(VALU_DEP_1)
	v_add_f32_e32 v13, 1.0, v2
	v_cvt_f64_f32_e32 v[6:7], v13
	s_delay_alu instid0(VALU_DEP_1) | instskip(SKIP_1) | instid1(VALU_DEP_1)
	v_frexp_exp_i32_f64_e32 v6, v[6:7]
	v_frexp_mant_f32_e32 v7, v13
	v_cmp_gt_f32_e32 vcc_lo, 0x3f2aaaab, v7
	v_add_f32_e32 v7, -1.0, v13
	s_delay_alu instid0(VALU_DEP_1) | instskip(NEXT) | instid1(VALU_DEP_1)
	v_dual_sub_f32 v22, v7, v13 :: v_dual_sub_f32 v7, v2, v7
	v_add_f32_e32 v22, 1.0, v22
	v_subrev_co_ci_u32_e32 v6, vcc_lo, 0, v6, vcc_lo
	s_delay_alu instid0(VALU_DEP_1) | instskip(SKIP_1) | instid1(VALU_DEP_2)
	v_sub_nc_u32_e32 v16, 0, v6
	v_cvt_f32_i32_e32 v6, v6
	v_ldexp_f32 v13, v13, v16
	s_delay_alu instid0(VALU_DEP_1) | instskip(NEXT) | instid1(VALU_DEP_1)
	v_add_f32_e32 v23, 1.0, v13
	v_dual_add_f32 v7, v7, v22 :: v_dual_add_f32 v22, -1.0, v23
	s_delay_alu instid0(VALU_DEP_1) | instskip(SKIP_1) | instid1(VALU_DEP_3)
	v_ldexp_f32 v7, v7, v16
	v_add_f32_e32 v16, -1.0, v13
	v_sub_f32_e32 v22, v13, v22
	s_delay_alu instid0(VALU_DEP_2) | instskip(NEXT) | instid1(VALU_DEP_1)
	v_add_f32_e32 v24, 1.0, v16
	v_dual_add_f32 v22, v7, v22 :: v_dual_sub_f32 v13, v13, v24
	v_cmp_eq_f32_e32 vcc_lo, 0x7f800000, v2
	s_delay_alu instid0(VALU_DEP_2) | instskip(NEXT) | instid1(VALU_DEP_3)
	v_add_f32_e32 v24, v23, v22
	v_add_f32_e32 v7, v7, v13
	s_delay_alu instid0(VALU_DEP_2) | instskip(SKIP_1) | instid1(VALU_DEP_2)
	v_rcp_f32_e32 v13, v24
	v_sub_f32_e32 v23, v23, v24
	v_add_f32_e32 v25, v16, v7
	s_delay_alu instid0(VALU_DEP_2) | instskip(SKIP_2) | instid1(VALU_DEP_1)
	v_add_f32_e32 v22, v22, v23
	s_waitcnt_depctr 0xfff
	v_mul_f32_e32 v26, v25, v13
	v_mul_f32_e32 v27, v24, v26
	s_delay_alu instid0(VALU_DEP_1) | instskip(NEXT) | instid1(VALU_DEP_1)
	v_fma_f32 v23, v26, v24, -v27
	v_fmac_f32_e32 v23, v26, v22
	s_delay_alu instid0(VALU_DEP_1) | instskip(NEXT) | instid1(VALU_DEP_1)
	v_add_f32_e32 v36, v27, v23
	v_dual_sub_f32 v16, v16, v25 :: v_dual_sub_f32 v37, v25, v36
	s_delay_alu instid0(VALU_DEP_1) | instskip(NEXT) | instid1(VALU_DEP_1)
	v_sub_f32_e32 v25, v25, v37
	v_sub_f32_e32 v25, v25, v36
	s_delay_alu instid0(VALU_DEP_3) | instskip(NEXT) | instid1(VALU_DEP_1)
	v_dual_add_f32 v7, v7, v16 :: v_dual_sub_f32 v16, v36, v27
	v_dual_add_f32 v7, v7, v25 :: v_dual_sub_f32 v16, v16, v23
	s_delay_alu instid0(VALU_DEP_1) | instskip(NEXT) | instid1(VALU_DEP_1)
	v_add_f32_e32 v7, v16, v7
	v_add_f32_e32 v16, v37, v7
	s_delay_alu instid0(VALU_DEP_1) | instskip(NEXT) | instid1(VALU_DEP_1)
	v_mul_f32_e32 v23, v13, v16
	v_mul_f32_e32 v25, v24, v23
	s_delay_alu instid0(VALU_DEP_1) | instskip(NEXT) | instid1(VALU_DEP_1)
	v_fma_f32 v24, v23, v24, -v25
	v_fmac_f32_e32 v24, v23, v22
	s_delay_alu instid0(VALU_DEP_1) | instskip(NEXT) | instid1(VALU_DEP_1)
	v_add_f32_e32 v22, v25, v24
	v_sub_f32_e32 v25, v22, v25
	v_dual_sub_f32 v27, v16, v22 :: v_dual_sub_f32 v36, v37, v16
	s_delay_alu instid0(VALU_DEP_1) | instskip(NEXT) | instid1(VALU_DEP_1)
	v_dual_sub_f32 v16, v16, v27 :: v_dual_add_f32 v7, v7, v36
	v_sub_f32_e32 v16, v16, v22
	s_delay_alu instid0(VALU_DEP_1) | instskip(SKIP_1) | instid1(VALU_DEP_1)
	v_dual_add_f32 v7, v7, v16 :: v_dual_add_f32 v16, v26, v23
	v_sub_f32_e32 v22, v25, v24
	v_add_f32_e32 v7, v22, v7
	s_delay_alu instid0(VALU_DEP_1) | instskip(NEXT) | instid1(VALU_DEP_1)
	v_dual_add_f32 v7, v27, v7 :: v_dual_sub_f32 v22, v16, v26
	v_dual_mul_f32 v7, v13, v7 :: v_dual_sub_f32 v22, v23, v22
	s_delay_alu instid0(VALU_DEP_1) | instskip(NEXT) | instid1(VALU_DEP_1)
	v_add_f32_e32 v7, v22, v7
	v_add_f32_e32 v13, v16, v7
	s_delay_alu instid0(VALU_DEP_1) | instskip(NEXT) | instid1(VALU_DEP_1)
	v_mul_f32_e32 v22, v13, v13
	v_fmaak_f32 v23, s2, v22, 0x3ecc95a3
	v_mul_f32_e32 v24, v13, v22
	v_cmp_gt_f32_e64 s2, 0x33800000, |v2|
	s_delay_alu instid0(VALU_DEP_3) | instskip(SKIP_2) | instid1(VALU_DEP_4)
	v_fmaak_f32 v22, v22, v23, 0x3f2aaada
	v_ldexp_f32 v23, v13, 1
	v_sub_f32_e32 v13, v13, v16
	s_or_b32 vcc_lo, vcc_lo, s2
	s_delay_alu instid0(VALU_DEP_1) | instskip(NEXT) | instid1(VALU_DEP_1)
	v_dual_sub_f32 v7, v7, v13 :: v_dual_mul_f32 v22, v24, v22
	v_ldexp_f32 v7, v7, 1
	s_delay_alu instid0(VALU_DEP_2) | instskip(NEXT) | instid1(VALU_DEP_1)
	v_add_f32_e32 v16, v23, v22
	v_dual_mul_f32 v24, 0x3f317218, v6 :: v_dual_sub_f32 v13, v16, v23
	s_delay_alu instid0(VALU_DEP_1) | instskip(NEXT) | instid1(VALU_DEP_2)
	v_fma_f32 v23, 0x3f317218, v6, -v24
	v_sub_f32_e32 v13, v22, v13
	s_delay_alu instid0(VALU_DEP_1) | instskip(NEXT) | instid1(VALU_DEP_1)
	v_add_f32_e32 v7, v7, v13
	v_add_f32_e32 v22, v16, v7
	s_delay_alu instid0(VALU_DEP_4) | instskip(NEXT) | instid1(VALU_DEP_1)
	v_fmamk_f32 v6, v6, 0xb102e308, v23
	v_dual_sub_f32 v16, v22, v16 :: v_dual_add_f32 v13, v24, v6
	s_delay_alu instid0(VALU_DEP_1) | instskip(NEXT) | instid1(VALU_DEP_2)
	v_sub_f32_e32 v7, v7, v16
	v_add_f32_e32 v23, v13, v22
	s_delay_alu instid0(VALU_DEP_1) | instskip(NEXT) | instid1(VALU_DEP_1)
	v_sub_f32_e32 v25, v23, v13
	v_sub_f32_e32 v26, v23, v25
	;; [unrolled: 1-line block ×4, first 2 shown]
	s_delay_alu instid0(VALU_DEP_3) | instskip(NEXT) | instid1(VALU_DEP_1)
	v_sub_f32_e32 v13, v13, v26
	v_dual_add_f32 v13, v16, v13 :: v_dual_sub_f32 v6, v6, v24
	s_delay_alu instid0(VALU_DEP_1) | instskip(NEXT) | instid1(VALU_DEP_1)
	v_add_f32_e32 v22, v6, v7
	v_sub_f32_e32 v16, v22, v6
	s_delay_alu instid0(VALU_DEP_1) | instskip(NEXT) | instid1(VALU_DEP_4)
	v_sub_f32_e32 v7, v7, v16
	v_add_f32_e32 v13, v22, v13
	v_sub_f32_e32 v22, v22, v16
	s_delay_alu instid0(VALU_DEP_2) | instskip(NEXT) | instid1(VALU_DEP_2)
	v_add_f32_e32 v24, v23, v13
	v_sub_f32_e32 v6, v6, v22
	s_delay_alu instid0(VALU_DEP_2) | instskip(NEXT) | instid1(VALU_DEP_1)
	v_sub_f32_e32 v16, v24, v23
	v_dual_add_f32 v6, v7, v6 :: v_dual_sub_f32 v7, v13, v16
	s_delay_alu instid0(VALU_DEP_1) | instskip(NEXT) | instid1(VALU_DEP_1)
	v_add_f32_e32 v6, v6, v7
	v_add_f32_e32 v6, v24, v6
	s_delay_alu instid0(VALU_DEP_1) | instskip(NEXT) | instid1(VALU_DEP_1)
	v_cndmask_b32_e32 v2, v6, v2, vcc_lo
	v_add_f32_e32 v2, v3, v2
	s_delay_alu instid0(VALU_DEP_1) | instskip(NEXT) | instid1(VALU_DEP_1)
	v_cvt_f16_f32_e32 v37, v2
	v_cvt_f32_f16_e32 v2, v37
	v_mov_b32_e32 v86, v37
.LBB430_352:
	s_or_b32 exec_lo, exec_lo, s1
	s_delay_alu instid0(VALU_DEP_2) | instskip(SKIP_1) | instid1(VALU_DEP_3)
	v_dual_max_f32 v3, v17, v17 :: v_dual_max_f32 v6, v2, v2
	v_cmp_u_f16_e32 vcc_lo, v37, v37
	v_mov_b32_e32 v87, v86
	s_delay_alu instid0(VALU_DEP_3) | instskip(NEXT) | instid1(VALU_DEP_1)
	v_min_f32_e32 v7, v6, v3
	v_dual_max_f32 v3, v6, v3 :: v_dual_cndmask_b32 v6, v7, v2
	s_delay_alu instid0(VALU_DEP_1) | instskip(NEXT) | instid1(VALU_DEP_2)
	v_cndmask_b32_e32 v3, v3, v2, vcc_lo
	v_cndmask_b32_e64 v6, v6, v17, s20
	s_delay_alu instid0(VALU_DEP_2) | instskip(NEXT) | instid1(VALU_DEP_2)
	v_cndmask_b32_e64 v3, v3, v17, s20
	v_cmp_class_f32_e64 s1, v6, 0x1f8
	s_delay_alu instid0(VALU_DEP_2) | instskip(NEXT) | instid1(VALU_DEP_2)
	v_cmp_neq_f32_e32 vcc_lo, v6, v3
	s_or_b32 s2, vcc_lo, s1
	s_delay_alu instid0(SALU_CYCLE_1)
	s_and_saveexec_b32 s1, s2
	s_cbranch_execz .LBB430_354
; %bb.353:
	v_sub_f32_e32 v2, v6, v3
	s_mov_b32 s2, 0x3e9b6dac
	s_delay_alu instid0(VALU_DEP_1) | instskip(SKIP_1) | instid1(VALU_DEP_2)
	v_mul_f32_e32 v6, 0x3fb8aa3b, v2
	v_cmp_ngt_f32_e32 vcc_lo, 0xc2ce8ed0, v2
	v_fma_f32 v7, 0x3fb8aa3b, v2, -v6
	v_rndne_f32_e32 v13, v6
	s_delay_alu instid0(VALU_DEP_2) | instskip(NEXT) | instid1(VALU_DEP_2)
	v_fmamk_f32 v7, v2, 0x32a5705f, v7
	v_sub_f32_e32 v6, v6, v13
	s_delay_alu instid0(VALU_DEP_1) | instskip(SKIP_1) | instid1(VALU_DEP_2)
	v_add_f32_e32 v6, v6, v7
	v_cvt_i32_f32_e32 v7, v13
	v_exp_f32_e32 v6, v6
	s_waitcnt_depctr 0xfff
	v_ldexp_f32 v6, v6, v7
	s_delay_alu instid0(VALU_DEP_1) | instskip(SKIP_1) | instid1(VALU_DEP_2)
	v_cndmask_b32_e32 v6, 0, v6, vcc_lo
	v_cmp_nlt_f32_e32 vcc_lo, 0x42b17218, v2
	v_cndmask_b32_e32 v2, 0x7f800000, v6, vcc_lo
	s_delay_alu instid0(VALU_DEP_1) | instskip(NEXT) | instid1(VALU_DEP_1)
	v_add_f32_e32 v13, 1.0, v2
	v_cvt_f64_f32_e32 v[6:7], v13
	s_delay_alu instid0(VALU_DEP_1) | instskip(SKIP_1) | instid1(VALU_DEP_1)
	v_frexp_exp_i32_f64_e32 v6, v[6:7]
	v_frexp_mant_f32_e32 v7, v13
	v_cmp_gt_f32_e32 vcc_lo, 0x3f2aaaab, v7
	v_add_f32_e32 v7, -1.0, v13
	s_delay_alu instid0(VALU_DEP_1) | instskip(NEXT) | instid1(VALU_DEP_1)
	v_sub_f32_e32 v17, v7, v13
	v_add_f32_e32 v17, 1.0, v17
	v_subrev_co_ci_u32_e32 v6, vcc_lo, 0, v6, vcc_lo
	s_delay_alu instid0(VALU_DEP_1) | instskip(SKIP_1) | instid1(VALU_DEP_2)
	v_sub_nc_u32_e32 v16, 0, v6
	v_cvt_f32_i32_e32 v6, v6
	v_ldexp_f32 v13, v13, v16
	s_delay_alu instid0(VALU_DEP_1) | instskip(NEXT) | instid1(VALU_DEP_1)
	v_dual_sub_f32 v7, v2, v7 :: v_dual_add_f32 v22, 1.0, v13
	v_add_f32_e32 v7, v7, v17
	v_cmp_eq_f32_e32 vcc_lo, 0x7f800000, v2
	s_delay_alu instid0(VALU_DEP_3) | instskip(NEXT) | instid1(VALU_DEP_3)
	v_add_f32_e32 v17, -1.0, v22
	v_ldexp_f32 v7, v7, v16
	v_add_f32_e32 v16, -1.0, v13
	s_delay_alu instid0(VALU_DEP_3) | instskip(NEXT) | instid1(VALU_DEP_2)
	v_sub_f32_e32 v17, v13, v17
	v_add_f32_e32 v23, 1.0, v16
	s_delay_alu instid0(VALU_DEP_2) | instskip(NEXT) | instid1(VALU_DEP_2)
	v_add_f32_e32 v17, v7, v17
	v_sub_f32_e32 v13, v13, v23
	s_delay_alu instid0(VALU_DEP_1) | instskip(NEXT) | instid1(VALU_DEP_1)
	v_add_f32_e32 v7, v7, v13
	v_dual_add_f32 v24, v16, v7 :: v_dual_add_f32 v23, v22, v17
	s_delay_alu instid0(VALU_DEP_1) | instskip(NEXT) | instid1(VALU_DEP_2)
	v_sub_f32_e32 v16, v16, v24
	v_rcp_f32_e32 v13, v23
	v_sub_f32_e32 v22, v22, v23
	s_delay_alu instid0(VALU_DEP_1) | instskip(SKIP_2) | instid1(VALU_DEP_1)
	v_add_f32_e32 v17, v17, v22
	s_waitcnt_depctr 0xfff
	v_mul_f32_e32 v25, v24, v13
	v_mul_f32_e32 v26, v23, v25
	s_delay_alu instid0(VALU_DEP_1) | instskip(NEXT) | instid1(VALU_DEP_1)
	v_fma_f32 v22, v25, v23, -v26
	v_fmac_f32_e32 v22, v25, v17
	s_delay_alu instid0(VALU_DEP_1) | instskip(NEXT) | instid1(VALU_DEP_1)
	v_add_f32_e32 v27, v26, v22
	v_sub_f32_e32 v36, v24, v27
	s_delay_alu instid0(VALU_DEP_1) | instskip(SKIP_2) | instid1(VALU_DEP_3)
	v_sub_f32_e32 v24, v24, v36
	v_add_f32_e32 v7, v7, v16
	v_sub_f32_e32 v16, v27, v26
	v_sub_f32_e32 v24, v24, v27
	s_delay_alu instid0(VALU_DEP_1) | instskip(NEXT) | instid1(VALU_DEP_1)
	v_dual_sub_f32 v16, v16, v22 :: v_dual_add_f32 v7, v7, v24
	v_add_f32_e32 v7, v16, v7
	s_delay_alu instid0(VALU_DEP_1) | instskip(NEXT) | instid1(VALU_DEP_1)
	v_add_f32_e32 v16, v36, v7
	v_mul_f32_e32 v22, v13, v16
	s_delay_alu instid0(VALU_DEP_1) | instskip(NEXT) | instid1(VALU_DEP_1)
	v_dual_sub_f32 v27, v36, v16 :: v_dual_mul_f32 v24, v23, v22
	v_add_f32_e32 v7, v7, v27
	s_delay_alu instid0(VALU_DEP_2) | instskip(NEXT) | instid1(VALU_DEP_1)
	v_fma_f32 v23, v22, v23, -v24
	v_fmac_f32_e32 v23, v22, v17
	s_delay_alu instid0(VALU_DEP_1) | instskip(NEXT) | instid1(VALU_DEP_1)
	v_add_f32_e32 v17, v24, v23
	v_sub_f32_e32 v26, v16, v17
	s_delay_alu instid0(VALU_DEP_1) | instskip(NEXT) | instid1(VALU_DEP_1)
	v_sub_f32_e32 v16, v16, v26
	v_sub_f32_e32 v16, v16, v17
	s_delay_alu instid0(VALU_DEP_1) | instskip(SKIP_1) | instid1(VALU_DEP_1)
	v_dual_add_f32 v7, v7, v16 :: v_dual_add_f32 v16, v25, v22
	v_sub_f32_e32 v24, v17, v24
	v_sub_f32_e32 v17, v24, v23
	s_delay_alu instid0(VALU_DEP_1) | instskip(NEXT) | instid1(VALU_DEP_4)
	v_add_f32_e32 v7, v17, v7
	v_sub_f32_e32 v17, v16, v25
	s_delay_alu instid0(VALU_DEP_2) | instskip(NEXT) | instid1(VALU_DEP_2)
	v_add_f32_e32 v7, v26, v7
	v_sub_f32_e32 v17, v22, v17
	s_delay_alu instid0(VALU_DEP_2) | instskip(NEXT) | instid1(VALU_DEP_1)
	v_mul_f32_e32 v7, v13, v7
	v_add_f32_e32 v7, v17, v7
	s_delay_alu instid0(VALU_DEP_1) | instskip(NEXT) | instid1(VALU_DEP_1)
	v_add_f32_e32 v13, v16, v7
	v_mul_f32_e32 v17, v13, v13
	s_delay_alu instid0(VALU_DEP_1) | instskip(SKIP_2) | instid1(VALU_DEP_3)
	v_fmaak_f32 v22, s2, v17, 0x3ecc95a3
	v_mul_f32_e32 v23, v13, v17
	v_cmp_gt_f32_e64 s2, 0x33800000, |v2|
	v_fmaak_f32 v17, v17, v22, 0x3f2aaada
	v_ldexp_f32 v22, v13, 1
	s_delay_alu instid0(VALU_DEP_3) | instskip(SKIP_1) | instid1(VALU_DEP_3)
	s_or_b32 vcc_lo, vcc_lo, s2
	v_sub_f32_e32 v13, v13, v16
	v_mul_f32_e32 v17, v23, v17
	s_delay_alu instid0(VALU_DEP_2) | instskip(NEXT) | instid1(VALU_DEP_2)
	v_sub_f32_e32 v7, v7, v13
	v_add_f32_e32 v16, v22, v17
	s_delay_alu instid0(VALU_DEP_2) | instskip(NEXT) | instid1(VALU_DEP_2)
	v_ldexp_f32 v7, v7, 1
	v_sub_f32_e32 v13, v16, v22
	s_delay_alu instid0(VALU_DEP_1) | instskip(NEXT) | instid1(VALU_DEP_1)
	v_sub_f32_e32 v13, v17, v13
	v_add_f32_e32 v7, v7, v13
	s_delay_alu instid0(VALU_DEP_1) | instskip(NEXT) | instid1(VALU_DEP_1)
	v_add_f32_e32 v17, v16, v7
	v_dual_mul_f32 v23, 0x3f317218, v6 :: v_dual_sub_f32 v16, v17, v16
	s_delay_alu instid0(VALU_DEP_1) | instskip(NEXT) | instid1(VALU_DEP_1)
	v_fma_f32 v22, 0x3f317218, v6, -v23
	v_dual_sub_f32 v7, v7, v16 :: v_dual_fmamk_f32 v6, v6, 0xb102e308, v22
	s_delay_alu instid0(VALU_DEP_1) | instskip(NEXT) | instid1(VALU_DEP_1)
	v_add_f32_e32 v13, v23, v6
	v_add_f32_e32 v22, v13, v17
	s_delay_alu instid0(VALU_DEP_1) | instskip(NEXT) | instid1(VALU_DEP_1)
	v_dual_sub_f32 v23, v13, v23 :: v_dual_sub_f32 v24, v22, v13
	v_sub_f32_e32 v6, v6, v23
	s_delay_alu instid0(VALU_DEP_2) | instskip(NEXT) | instid1(VALU_DEP_2)
	v_sub_f32_e32 v25, v22, v24
	v_dual_sub_f32 v16, v17, v24 :: v_dual_add_f32 v17, v6, v7
	s_delay_alu instid0(VALU_DEP_2) | instskip(NEXT) | instid1(VALU_DEP_1)
	v_sub_f32_e32 v13, v13, v25
	v_dual_add_f32 v13, v16, v13 :: v_dual_sub_f32 v16, v17, v6
	s_delay_alu instid0(VALU_DEP_1) | instskip(NEXT) | instid1(VALU_DEP_2)
	v_add_f32_e32 v13, v17, v13
	v_sub_f32_e32 v17, v17, v16
	v_sub_f32_e32 v7, v7, v16
	s_delay_alu instid0(VALU_DEP_3) | instskip(NEXT) | instid1(VALU_DEP_3)
	v_add_f32_e32 v23, v22, v13
	v_sub_f32_e32 v6, v6, v17
	s_delay_alu instid0(VALU_DEP_2) | instskip(NEXT) | instid1(VALU_DEP_1)
	v_sub_f32_e32 v16, v23, v22
	v_dual_add_f32 v6, v7, v6 :: v_dual_sub_f32 v7, v13, v16
	s_delay_alu instid0(VALU_DEP_1) | instskip(NEXT) | instid1(VALU_DEP_1)
	v_add_f32_e32 v6, v6, v7
	v_add_f32_e32 v6, v23, v6
	s_delay_alu instid0(VALU_DEP_1) | instskip(NEXT) | instid1(VALU_DEP_1)
	v_cndmask_b32_e32 v2, v6, v2, vcc_lo
	v_add_f32_e32 v2, v3, v2
	s_delay_alu instid0(VALU_DEP_1) | instskip(NEXT) | instid1(VALU_DEP_1)
	v_cvt_f16_f32_e32 v37, v2
	v_cvt_f32_f16_e32 v2, v37
	v_mov_b32_e32 v87, v37
.LBB430_354:
	s_or_b32 exec_lo, exec_lo, s1
	s_delay_alu instid0(VALU_DEP_2) | instskip(SKIP_1) | instid1(VALU_DEP_2)
	v_dual_max_f32 v3, v39, v39 :: v_dual_max_f32 v6, v2, v2
	v_cmp_u_f16_e32 vcc_lo, v37, v37
	v_dual_mov_b32 v96, v87 :: v_dual_min_f32 v7, v6, v3
	s_delay_alu instid0(VALU_DEP_1) | instskip(NEXT) | instid1(VALU_DEP_1)
	v_dual_max_f32 v3, v6, v3 :: v_dual_cndmask_b32 v6, v7, v2
	v_cndmask_b32_e32 v3, v3, v2, vcc_lo
	s_delay_alu instid0(VALU_DEP_2) | instskip(NEXT) | instid1(VALU_DEP_2)
	v_cndmask_b32_e64 v6, v6, v39, s21
	v_cndmask_b32_e64 v3, v3, v39, s21
	s_delay_alu instid0(VALU_DEP_2) | instskip(NEXT) | instid1(VALU_DEP_2)
	v_cmp_class_f32_e64 s1, v6, 0x1f8
	v_cmp_neq_f32_e32 vcc_lo, v6, v3
	s_delay_alu instid0(VALU_DEP_2) | instskip(NEXT) | instid1(SALU_CYCLE_1)
	s_or_b32 s2, vcc_lo, s1
	s_and_saveexec_b32 s1, s2
	s_cbranch_execz .LBB430_356
; %bb.355:
	v_sub_f32_e32 v2, v6, v3
	s_mov_b32 s2, 0x3e9b6dac
	s_delay_alu instid0(VALU_DEP_1) | instskip(SKIP_1) | instid1(VALU_DEP_2)
	v_mul_f32_e32 v6, 0x3fb8aa3b, v2
	v_cmp_ngt_f32_e32 vcc_lo, 0xc2ce8ed0, v2
	v_fma_f32 v7, 0x3fb8aa3b, v2, -v6
	v_rndne_f32_e32 v13, v6
	s_delay_alu instid0(VALU_DEP_2) | instskip(NEXT) | instid1(VALU_DEP_2)
	v_fmamk_f32 v7, v2, 0x32a5705f, v7
	v_sub_f32_e32 v6, v6, v13
	s_delay_alu instid0(VALU_DEP_1) | instskip(SKIP_1) | instid1(VALU_DEP_2)
	v_add_f32_e32 v6, v6, v7
	v_cvt_i32_f32_e32 v7, v13
	v_exp_f32_e32 v6, v6
	s_waitcnt_depctr 0xfff
	v_ldexp_f32 v6, v6, v7
	s_delay_alu instid0(VALU_DEP_1) | instskip(SKIP_1) | instid1(VALU_DEP_2)
	v_cndmask_b32_e32 v6, 0, v6, vcc_lo
	v_cmp_nlt_f32_e32 vcc_lo, 0x42b17218, v2
	v_cndmask_b32_e32 v2, 0x7f800000, v6, vcc_lo
	s_delay_alu instid0(VALU_DEP_1) | instskip(NEXT) | instid1(VALU_DEP_1)
	v_add_f32_e32 v13, 1.0, v2
	v_cvt_f64_f32_e32 v[6:7], v13
	s_delay_alu instid0(VALU_DEP_1) | instskip(SKIP_1) | instid1(VALU_DEP_1)
	v_frexp_exp_i32_f64_e32 v6, v[6:7]
	v_frexp_mant_f32_e32 v7, v13
	v_cmp_gt_f32_e32 vcc_lo, 0x3f2aaaab, v7
	v_add_f32_e32 v7, -1.0, v13
	s_delay_alu instid0(VALU_DEP_1) | instskip(NEXT) | instid1(VALU_DEP_1)
	v_sub_f32_e32 v17, v7, v13
	v_add_f32_e32 v17, 1.0, v17
	v_subrev_co_ci_u32_e32 v6, vcc_lo, 0, v6, vcc_lo
	s_delay_alu instid0(VALU_DEP_1) | instskip(SKIP_1) | instid1(VALU_DEP_2)
	v_sub_nc_u32_e32 v16, 0, v6
	v_cvt_f32_i32_e32 v6, v6
	v_ldexp_f32 v13, v13, v16
	s_delay_alu instid0(VALU_DEP_1) | instskip(NEXT) | instid1(VALU_DEP_1)
	v_dual_sub_f32 v7, v2, v7 :: v_dual_add_f32 v22, 1.0, v13
	v_add_f32_e32 v7, v7, v17
	v_cmp_eq_f32_e32 vcc_lo, 0x7f800000, v2
	s_delay_alu instid0(VALU_DEP_3) | instskip(NEXT) | instid1(VALU_DEP_3)
	v_add_f32_e32 v17, -1.0, v22
	v_ldexp_f32 v7, v7, v16
	v_add_f32_e32 v16, -1.0, v13
	s_delay_alu instid0(VALU_DEP_3) | instskip(NEXT) | instid1(VALU_DEP_2)
	v_sub_f32_e32 v17, v13, v17
	v_add_f32_e32 v23, 1.0, v16
	s_delay_alu instid0(VALU_DEP_2) | instskip(NEXT) | instid1(VALU_DEP_2)
	v_add_f32_e32 v17, v7, v17
	v_sub_f32_e32 v13, v13, v23
	s_delay_alu instid0(VALU_DEP_1) | instskip(NEXT) | instid1(VALU_DEP_1)
	v_add_f32_e32 v7, v7, v13
	v_dual_add_f32 v24, v16, v7 :: v_dual_add_f32 v23, v22, v17
	s_delay_alu instid0(VALU_DEP_1) | instskip(NEXT) | instid1(VALU_DEP_2)
	v_sub_f32_e32 v16, v16, v24
	v_rcp_f32_e32 v13, v23
	v_sub_f32_e32 v22, v22, v23
	s_delay_alu instid0(VALU_DEP_1) | instskip(SKIP_2) | instid1(VALU_DEP_1)
	v_add_f32_e32 v17, v17, v22
	s_waitcnt_depctr 0xfff
	v_mul_f32_e32 v25, v24, v13
	v_mul_f32_e32 v26, v23, v25
	s_delay_alu instid0(VALU_DEP_1) | instskip(NEXT) | instid1(VALU_DEP_1)
	v_fma_f32 v22, v25, v23, -v26
	v_fmac_f32_e32 v22, v25, v17
	s_delay_alu instid0(VALU_DEP_1) | instskip(NEXT) | instid1(VALU_DEP_1)
	v_add_f32_e32 v27, v26, v22
	v_sub_f32_e32 v36, v24, v27
	s_delay_alu instid0(VALU_DEP_1) | instskip(SKIP_2) | instid1(VALU_DEP_3)
	v_sub_f32_e32 v24, v24, v36
	v_add_f32_e32 v7, v7, v16
	v_sub_f32_e32 v16, v27, v26
	v_sub_f32_e32 v24, v24, v27
	s_delay_alu instid0(VALU_DEP_1) | instskip(NEXT) | instid1(VALU_DEP_1)
	v_dual_sub_f32 v16, v16, v22 :: v_dual_add_f32 v7, v7, v24
	v_add_f32_e32 v7, v16, v7
	s_delay_alu instid0(VALU_DEP_1) | instskip(NEXT) | instid1(VALU_DEP_1)
	v_add_f32_e32 v16, v36, v7
	v_mul_f32_e32 v22, v13, v16
	s_delay_alu instid0(VALU_DEP_1) | instskip(NEXT) | instid1(VALU_DEP_1)
	v_dual_sub_f32 v27, v36, v16 :: v_dual_mul_f32 v24, v23, v22
	v_add_f32_e32 v7, v7, v27
	s_delay_alu instid0(VALU_DEP_2) | instskip(NEXT) | instid1(VALU_DEP_1)
	v_fma_f32 v23, v22, v23, -v24
	v_fmac_f32_e32 v23, v22, v17
	s_delay_alu instid0(VALU_DEP_1) | instskip(NEXT) | instid1(VALU_DEP_1)
	v_add_f32_e32 v17, v24, v23
	v_sub_f32_e32 v26, v16, v17
	s_delay_alu instid0(VALU_DEP_1) | instskip(NEXT) | instid1(VALU_DEP_1)
	v_sub_f32_e32 v16, v16, v26
	v_sub_f32_e32 v16, v16, v17
	s_delay_alu instid0(VALU_DEP_1) | instskip(SKIP_1) | instid1(VALU_DEP_1)
	v_dual_add_f32 v7, v7, v16 :: v_dual_add_f32 v16, v25, v22
	v_sub_f32_e32 v24, v17, v24
	v_sub_f32_e32 v17, v24, v23
	s_delay_alu instid0(VALU_DEP_1) | instskip(NEXT) | instid1(VALU_DEP_4)
	v_add_f32_e32 v7, v17, v7
	v_sub_f32_e32 v17, v16, v25
	s_delay_alu instid0(VALU_DEP_2) | instskip(NEXT) | instid1(VALU_DEP_2)
	v_add_f32_e32 v7, v26, v7
	v_sub_f32_e32 v17, v22, v17
	s_delay_alu instid0(VALU_DEP_2) | instskip(NEXT) | instid1(VALU_DEP_1)
	v_mul_f32_e32 v7, v13, v7
	v_add_f32_e32 v7, v17, v7
	s_delay_alu instid0(VALU_DEP_1) | instskip(NEXT) | instid1(VALU_DEP_1)
	v_add_f32_e32 v13, v16, v7
	v_mul_f32_e32 v17, v13, v13
	s_delay_alu instid0(VALU_DEP_1) | instskip(SKIP_2) | instid1(VALU_DEP_3)
	v_fmaak_f32 v22, s2, v17, 0x3ecc95a3
	v_mul_f32_e32 v23, v13, v17
	v_cmp_gt_f32_e64 s2, 0x33800000, |v2|
	v_fmaak_f32 v17, v17, v22, 0x3f2aaada
	v_ldexp_f32 v22, v13, 1
	s_delay_alu instid0(VALU_DEP_3) | instskip(SKIP_1) | instid1(VALU_DEP_3)
	s_or_b32 vcc_lo, vcc_lo, s2
	v_sub_f32_e32 v13, v13, v16
	v_mul_f32_e32 v17, v23, v17
	s_delay_alu instid0(VALU_DEP_2) | instskip(NEXT) | instid1(VALU_DEP_2)
	v_sub_f32_e32 v7, v7, v13
	v_add_f32_e32 v16, v22, v17
	s_delay_alu instid0(VALU_DEP_2) | instskip(NEXT) | instid1(VALU_DEP_2)
	v_ldexp_f32 v7, v7, 1
	v_sub_f32_e32 v13, v16, v22
	s_delay_alu instid0(VALU_DEP_1) | instskip(NEXT) | instid1(VALU_DEP_1)
	v_sub_f32_e32 v13, v17, v13
	v_add_f32_e32 v7, v7, v13
	s_delay_alu instid0(VALU_DEP_1) | instskip(NEXT) | instid1(VALU_DEP_1)
	v_add_f32_e32 v17, v16, v7
	v_dual_mul_f32 v23, 0x3f317218, v6 :: v_dual_sub_f32 v16, v17, v16
	s_delay_alu instid0(VALU_DEP_1) | instskip(NEXT) | instid1(VALU_DEP_1)
	v_fma_f32 v22, 0x3f317218, v6, -v23
	v_dual_sub_f32 v7, v7, v16 :: v_dual_fmamk_f32 v6, v6, 0xb102e308, v22
	s_delay_alu instid0(VALU_DEP_1) | instskip(NEXT) | instid1(VALU_DEP_1)
	v_add_f32_e32 v13, v23, v6
	v_add_f32_e32 v22, v13, v17
	s_delay_alu instid0(VALU_DEP_1) | instskip(NEXT) | instid1(VALU_DEP_1)
	v_dual_sub_f32 v23, v13, v23 :: v_dual_sub_f32 v24, v22, v13
	v_sub_f32_e32 v6, v6, v23
	s_delay_alu instid0(VALU_DEP_2) | instskip(NEXT) | instid1(VALU_DEP_2)
	v_sub_f32_e32 v25, v22, v24
	v_dual_sub_f32 v16, v17, v24 :: v_dual_add_f32 v17, v6, v7
	s_delay_alu instid0(VALU_DEP_2) | instskip(NEXT) | instid1(VALU_DEP_1)
	v_sub_f32_e32 v13, v13, v25
	v_dual_add_f32 v13, v16, v13 :: v_dual_sub_f32 v16, v17, v6
	s_delay_alu instid0(VALU_DEP_1) | instskip(NEXT) | instid1(VALU_DEP_2)
	v_add_f32_e32 v13, v17, v13
	v_sub_f32_e32 v17, v17, v16
	v_sub_f32_e32 v7, v7, v16
	s_delay_alu instid0(VALU_DEP_3) | instskip(NEXT) | instid1(VALU_DEP_3)
	v_add_f32_e32 v23, v22, v13
	v_sub_f32_e32 v6, v6, v17
	s_delay_alu instid0(VALU_DEP_2) | instskip(NEXT) | instid1(VALU_DEP_1)
	v_sub_f32_e32 v16, v23, v22
	v_dual_add_f32 v6, v7, v6 :: v_dual_sub_f32 v7, v13, v16
	s_delay_alu instid0(VALU_DEP_1) | instskip(NEXT) | instid1(VALU_DEP_1)
	v_add_f32_e32 v6, v6, v7
	v_add_f32_e32 v6, v23, v6
	s_delay_alu instid0(VALU_DEP_1) | instskip(NEXT) | instid1(VALU_DEP_1)
	v_cndmask_b32_e32 v2, v6, v2, vcc_lo
	v_add_f32_e32 v2, v3, v2
	s_delay_alu instid0(VALU_DEP_1) | instskip(NEXT) | instid1(VALU_DEP_1)
	v_cvt_f16_f32_e32 v37, v2
	v_cvt_f32_f16_e32 v2, v37
	v_mov_b32_e32 v96, v37
.LBB430_356:
	s_or_b32 exec_lo, exec_lo, s1
	s_delay_alu instid0(VALU_DEP_1) | instskip(NEXT) | instid1(VALU_DEP_3)
	v_dual_max_f32 v3, v38, v38 :: v_dual_mov_b32 v98, v96
	v_max_f32_e32 v6, v2, v2
	v_cmp_u_f16_e32 vcc_lo, v37, v37
	s_delay_alu instid0(VALU_DEP_2) | instskip(NEXT) | instid1(VALU_DEP_1)
	v_min_f32_e32 v7, v6, v3
	v_dual_max_f32 v3, v6, v3 :: v_dual_cndmask_b32 v6, v7, v2
	s_delay_alu instid0(VALU_DEP_1) | instskip(NEXT) | instid1(VALU_DEP_2)
	v_cndmask_b32_e32 v2, v3, v2, vcc_lo
	v_cndmask_b32_e64 v3, v6, v38, s22
	s_delay_alu instid0(VALU_DEP_2) | instskip(NEXT) | instid1(VALU_DEP_2)
	v_cndmask_b32_e64 v2, v2, v38, s22
	v_cmp_class_f32_e64 s1, v3, 0x1f8
	s_delay_alu instid0(VALU_DEP_2) | instskip(NEXT) | instid1(VALU_DEP_2)
	v_cmp_neq_f32_e32 vcc_lo, v3, v2
	s_or_b32 s2, vcc_lo, s1
	s_delay_alu instid0(SALU_CYCLE_1)
	s_and_saveexec_b32 s1, s2
	s_cbranch_execz .LBB430_358
; %bb.357:
	v_sub_f32_e32 v3, v3, v2
	s_mov_b32 s2, 0x3e9b6dac
	s_delay_alu instid0(VALU_DEP_1) | instskip(NEXT) | instid1(VALU_DEP_1)
	v_mul_f32_e32 v6, 0x3fb8aa3b, v3
	v_fma_f32 v7, 0x3fb8aa3b, v3, -v6
	v_rndne_f32_e32 v13, v6
	s_delay_alu instid0(VALU_DEP_1) | instskip(SKIP_1) | instid1(VALU_DEP_4)
	v_sub_f32_e32 v6, v6, v13
	v_cmp_ngt_f32_e32 vcc_lo, 0xc2ce8ed0, v3
	v_fmamk_f32 v7, v3, 0x32a5705f, v7
	s_delay_alu instid0(VALU_DEP_1) | instskip(SKIP_1) | instid1(VALU_DEP_2)
	v_add_f32_e32 v6, v6, v7
	v_cvt_i32_f32_e32 v7, v13
	v_exp_f32_e32 v6, v6
	s_waitcnt_depctr 0xfff
	v_ldexp_f32 v6, v6, v7
	s_delay_alu instid0(VALU_DEP_1) | instskip(SKIP_1) | instid1(VALU_DEP_2)
	v_cndmask_b32_e32 v6, 0, v6, vcc_lo
	v_cmp_nlt_f32_e32 vcc_lo, 0x42b17218, v3
	v_cndmask_b32_e32 v3, 0x7f800000, v6, vcc_lo
	s_delay_alu instid0(VALU_DEP_1) | instskip(NEXT) | instid1(VALU_DEP_1)
	v_add_f32_e32 v13, 1.0, v3
	v_cvt_f64_f32_e32 v[6:7], v13
	s_delay_alu instid0(VALU_DEP_1) | instskip(SKIP_1) | instid1(VALU_DEP_1)
	v_frexp_exp_i32_f64_e32 v6, v[6:7]
	v_frexp_mant_f32_e32 v7, v13
	v_cmp_gt_f32_e32 vcc_lo, 0x3f2aaaab, v7
	v_add_f32_e32 v7, -1.0, v13
	s_delay_alu instid0(VALU_DEP_1) | instskip(NEXT) | instid1(VALU_DEP_1)
	v_sub_f32_e32 v17, v7, v13
	v_add_f32_e32 v17, 1.0, v17
	v_subrev_co_ci_u32_e32 v6, vcc_lo, 0, v6, vcc_lo
	s_delay_alu instid0(VALU_DEP_1) | instskip(SKIP_1) | instid1(VALU_DEP_2)
	v_sub_nc_u32_e32 v16, 0, v6
	v_cvt_f32_i32_e32 v6, v6
	v_ldexp_f32 v13, v13, v16
	s_delay_alu instid0(VALU_DEP_1) | instskip(SKIP_1) | instid1(VALU_DEP_2)
	v_dual_add_f32 v22, 1.0, v13 :: v_dual_sub_f32 v7, v3, v7
	v_cmp_eq_f32_e32 vcc_lo, 0x7f800000, v3
	v_add_f32_e32 v7, v7, v17
	s_delay_alu instid0(VALU_DEP_3) | instskip(NEXT) | instid1(VALU_DEP_2)
	v_add_f32_e32 v17, -1.0, v22
	v_ldexp_f32 v7, v7, v16
	v_add_f32_e32 v16, -1.0, v13
	s_delay_alu instid0(VALU_DEP_3) | instskip(NEXT) | instid1(VALU_DEP_2)
	v_sub_f32_e32 v17, v13, v17
	v_add_f32_e32 v23, 1.0, v16
	s_delay_alu instid0(VALU_DEP_2) | instskip(NEXT) | instid1(VALU_DEP_2)
	v_add_f32_e32 v17, v7, v17
	v_sub_f32_e32 v13, v13, v23
	s_delay_alu instid0(VALU_DEP_2) | instskip(NEXT) | instid1(VALU_DEP_2)
	v_add_f32_e32 v23, v22, v17
	v_add_f32_e32 v7, v7, v13
	s_delay_alu instid0(VALU_DEP_2) | instskip(SKIP_1) | instid1(VALU_DEP_1)
	v_rcp_f32_e32 v13, v23
	v_sub_f32_e32 v22, v22, v23
	v_dual_add_f32 v24, v16, v7 :: v_dual_add_f32 v17, v17, v22
	s_delay_alu instid0(VALU_DEP_1) | instskip(SKIP_3) | instid1(VALU_DEP_2)
	v_sub_f32_e32 v16, v16, v24
	s_waitcnt_depctr 0xfff
	v_mul_f32_e32 v25, v24, v13
	v_add_f32_e32 v7, v7, v16
	v_mul_f32_e32 v26, v23, v25
	s_delay_alu instid0(VALU_DEP_1) | instskip(NEXT) | instid1(VALU_DEP_1)
	v_fma_f32 v22, v25, v23, -v26
	v_fmac_f32_e32 v22, v25, v17
	s_delay_alu instid0(VALU_DEP_1) | instskip(NEXT) | instid1(VALU_DEP_1)
	v_add_f32_e32 v27, v26, v22
	v_sub_f32_e32 v36, v24, v27
	v_sub_f32_e32 v16, v27, v26
	s_delay_alu instid0(VALU_DEP_2) | instskip(NEXT) | instid1(VALU_DEP_2)
	v_sub_f32_e32 v24, v24, v36
	v_sub_f32_e32 v16, v16, v22
	s_delay_alu instid0(VALU_DEP_2) | instskip(NEXT) | instid1(VALU_DEP_1)
	v_sub_f32_e32 v24, v24, v27
	v_add_f32_e32 v7, v7, v24
	s_delay_alu instid0(VALU_DEP_1) | instskip(NEXT) | instid1(VALU_DEP_1)
	v_add_f32_e32 v7, v16, v7
	v_add_f32_e32 v16, v36, v7
	s_delay_alu instid0(VALU_DEP_1) | instskip(NEXT) | instid1(VALU_DEP_1)
	v_mul_f32_e32 v22, v13, v16
	v_dual_sub_f32 v27, v36, v16 :: v_dual_mul_f32 v24, v23, v22
	s_delay_alu instid0(VALU_DEP_1) | instskip(NEXT) | instid1(VALU_DEP_2)
	v_add_f32_e32 v7, v7, v27
	v_fma_f32 v23, v22, v23, -v24
	s_delay_alu instid0(VALU_DEP_1) | instskip(NEXT) | instid1(VALU_DEP_1)
	v_fmac_f32_e32 v23, v22, v17
	v_add_f32_e32 v17, v24, v23
	s_delay_alu instid0(VALU_DEP_1) | instskip(NEXT) | instid1(VALU_DEP_1)
	v_sub_f32_e32 v26, v16, v17
	v_sub_f32_e32 v16, v16, v26
	s_delay_alu instid0(VALU_DEP_1) | instskip(NEXT) | instid1(VALU_DEP_1)
	v_sub_f32_e32 v16, v16, v17
	v_dual_add_f32 v7, v7, v16 :: v_dual_add_f32 v16, v25, v22
	v_sub_f32_e32 v24, v17, v24
	s_delay_alu instid0(VALU_DEP_1) | instskip(NEXT) | instid1(VALU_DEP_1)
	v_sub_f32_e32 v17, v24, v23
	v_add_f32_e32 v7, v17, v7
	s_delay_alu instid0(VALU_DEP_4) | instskip(NEXT) | instid1(VALU_DEP_2)
	v_sub_f32_e32 v17, v16, v25
	v_add_f32_e32 v7, v26, v7
	s_delay_alu instid0(VALU_DEP_2) | instskip(NEXT) | instid1(VALU_DEP_2)
	v_sub_f32_e32 v17, v22, v17
	v_mul_f32_e32 v7, v13, v7
	s_delay_alu instid0(VALU_DEP_1) | instskip(NEXT) | instid1(VALU_DEP_1)
	v_add_f32_e32 v7, v17, v7
	v_add_f32_e32 v13, v16, v7
	s_delay_alu instid0(VALU_DEP_1) | instskip(NEXT) | instid1(VALU_DEP_1)
	v_mul_f32_e32 v17, v13, v13
	v_fmaak_f32 v22, s2, v17, 0x3ecc95a3
	v_mul_f32_e32 v23, v13, v17
	v_cmp_gt_f32_e64 s2, 0x33800000, |v3|
	s_delay_alu instid0(VALU_DEP_3) | instskip(SKIP_2) | instid1(VALU_DEP_4)
	v_fmaak_f32 v17, v17, v22, 0x3f2aaada
	v_ldexp_f32 v22, v13, 1
	v_sub_f32_e32 v13, v13, v16
	s_or_b32 vcc_lo, vcc_lo, s2
	s_delay_alu instid0(VALU_DEP_3) | instskip(SKIP_1) | instid1(VALU_DEP_3)
	v_mul_f32_e32 v17, v23, v17
	v_mul_f32_e32 v23, 0x3f317218, v6
	v_sub_f32_e32 v7, v7, v13
	s_delay_alu instid0(VALU_DEP_3) | instskip(NEXT) | instid1(VALU_DEP_2)
	v_add_f32_e32 v16, v22, v17
	v_ldexp_f32 v7, v7, 1
	s_delay_alu instid0(VALU_DEP_2) | instskip(SKIP_1) | instid1(VALU_DEP_1)
	v_sub_f32_e32 v13, v16, v22
	v_fma_f32 v22, 0x3f317218, v6, -v23
	v_dual_sub_f32 v13, v17, v13 :: v_dual_fmamk_f32 v6, v6, 0xb102e308, v22
	s_delay_alu instid0(VALU_DEP_1) | instskip(NEXT) | instid1(VALU_DEP_2)
	v_add_f32_e32 v7, v7, v13
	v_add_f32_e32 v13, v23, v6
	s_delay_alu instid0(VALU_DEP_2) | instskip(NEXT) | instid1(VALU_DEP_2)
	v_add_f32_e32 v17, v16, v7
	v_sub_f32_e32 v23, v13, v23
	s_delay_alu instid0(VALU_DEP_2) | instskip(SKIP_1) | instid1(VALU_DEP_3)
	v_add_f32_e32 v22, v13, v17
	v_sub_f32_e32 v16, v17, v16
	v_sub_f32_e32 v6, v6, v23
	s_delay_alu instid0(VALU_DEP_2) | instskip(NEXT) | instid1(VALU_DEP_1)
	v_dual_sub_f32 v24, v22, v13 :: v_dual_sub_f32 v7, v7, v16
	v_sub_f32_e32 v25, v22, v24
	s_delay_alu instid0(VALU_DEP_2) | instskip(NEXT) | instid1(VALU_DEP_2)
	v_dual_sub_f32 v16, v17, v24 :: v_dual_add_f32 v17, v6, v7
	v_sub_f32_e32 v13, v13, v25
	s_delay_alu instid0(VALU_DEP_1) | instskip(NEXT) | instid1(VALU_DEP_1)
	v_dual_add_f32 v13, v16, v13 :: v_dual_sub_f32 v16, v17, v6
	v_add_f32_e32 v13, v17, v13
	s_delay_alu instid0(VALU_DEP_2) | instskip(SKIP_1) | instid1(VALU_DEP_3)
	v_sub_f32_e32 v17, v17, v16
	v_sub_f32_e32 v7, v7, v16
	v_add_f32_e32 v23, v22, v13
	s_delay_alu instid0(VALU_DEP_3) | instskip(NEXT) | instid1(VALU_DEP_2)
	v_sub_f32_e32 v6, v6, v17
	v_sub_f32_e32 v16, v23, v22
	s_delay_alu instid0(VALU_DEP_1) | instskip(NEXT) | instid1(VALU_DEP_1)
	v_dual_add_f32 v6, v7, v6 :: v_dual_sub_f32 v7, v13, v16
	v_add_f32_e32 v6, v6, v7
	s_delay_alu instid0(VALU_DEP_1) | instskip(NEXT) | instid1(VALU_DEP_1)
	v_add_f32_e32 v6, v23, v6
	v_cndmask_b32_e32 v3, v6, v3, vcc_lo
	s_delay_alu instid0(VALU_DEP_1) | instskip(NEXT) | instid1(VALU_DEP_1)
	v_add_f32_e32 v2, v2, v3
	v_cvt_f16_f32_e32 v98, v2
.LBB430_358:
	s_or_b32 exec_lo, exec_lo, s1
	s_delay_alu instid0(SALU_CYCLE_1)
	s_mov_b32 s1, exec_lo
	v_cmpx_eq_u32_e32 63, v21
	s_cbranch_execz .LBB430_360
; %bb.359:
	v_and_b32_e32 v2, 0xffff, v98
	s_delay_alu instid0(VALU_DEP_1)
	v_or_b32_e32 v2, 0x20000, v2
	flat_store_b32 v[18:19], v2 offset:128
.LBB430_360:
	s_or_b32 exec_lo, exec_lo, s1
	v_mov_b32_e32 v103, v12
.LBB430_361:
	v_add_co_u32 v0, vcc_lo, v10, v0
	v_add_co_ci_u32_e32 v1, vcc_lo, v11, v1, vcc_lo
	v_perm_b32 v2, v30, v29, 0x5040100
	s_delay_alu instid0(VALU_DEP_3) | instskip(NEXT) | instid1(VALU_DEP_3)
	v_add_co_u32 v0, vcc_lo, v0, v14
	v_add_co_ci_u32_e32 v1, vcc_lo, v1, v15, vcc_lo
	v_perm_b32 v3, v28, v103, 0x5040100
	v_perm_b32 v6, v67, v66, 0x5040100
	;; [unrolled: 1-line block ×10, first 2 shown]
	s_waitcnt lgkmcnt(0)
	s_waitcnt_vscnt null, 0x0
	s_barrier
	buffer_gl0_inv
	s_and_saveexec_b32 s1, s0
	s_delay_alu instid0(SALU_CYCLE_1)
	s_xor_b32 s0, exec_lo, s1
	s_cbranch_execz .LBB430_363
; %bb.362:
	ds_store_2addr_b32 v35, v3, v2 offset1:1
	ds_store_2addr_b32 v35, v7, v6 offset0:2 offset1:3
	ds_store_2addr_b32 v35, v11, v10 offset0:4 offset1:5
	;; [unrolled: 1-line block ×4, first 2 shown]
	ds_store_b32 v35, v16 offset:40
	s_waitcnt lgkmcnt(0)
	s_barrier
	buffer_gl0_inv
	ds_load_u16 v2, v33
	ds_load_u16 v3, v33 offset:128
	ds_load_u16 v4, v33 offset:256
	;; [unrolled: 1-line block ×21, first 2 shown]
	v_add_co_u32 v0, vcc_lo, v0, v33
	v_add_co_ci_u32_e32 v1, vcc_lo, 0, v1, vcc_lo
                                        ; implicit-def: $vgpr35
                                        ; implicit-def: $vgpr34
                                        ; implicit-def: $vgpr32
                                        ; implicit-def: $vgpr33
	s_waitcnt lgkmcnt(21)
	flat_store_b16 v[0:1], v2
	s_waitcnt lgkmcnt(21)
	flat_store_b16 v[0:1], v3 offset:128
	s_waitcnt lgkmcnt(21)
	flat_store_b16 v[0:1], v4 offset:256
	;; [unrolled: 2-line block ×21, first 2 shown]
                                        ; implicit-def: $vgpr2_vgpr3_vgpr4_vgpr5
                                        ; implicit-def: $vgpr6_vgpr7_vgpr8_vgpr9
                                        ; implicit-def: $vgpr21
                                        ; implicit-def: $vgpr20
                                        ; implicit-def: $vgpr0
                                        ; implicit-def: $vgpr1
                                        ; implicit-def: $vgpr2
                                        ; implicit-def: $vgpr3
                                        ; implicit-def: $vgpr6
                                        ; implicit-def: $vgpr7
                                        ; implicit-def: $vgpr10
                                        ; implicit-def: $vgpr11
                                        ; implicit-def: $vgpr12
                                        ; implicit-def: $vgpr13
                                        ; implicit-def: $vgpr14
                                        ; implicit-def: $vgpr15
                                        ; implicit-def: $vgpr16
.LBB430_363:
	s_and_not1_saveexec_b32 s1, s0
	s_cbranch_execz .LBB430_491
; %bb.364:
	ds_store_2addr_b32 v35, v3, v2 offset1:1
	ds_store_2addr_b32 v35, v7, v6 offset0:2 offset1:3
	ds_store_2addr_b32 v35, v11, v10 offset0:4 offset1:5
	;; [unrolled: 1-line block ×4, first 2 shown]
	ds_store_b32 v35, v16 offset:40
	s_waitcnt lgkmcnt(0)
	s_waitcnt_vscnt null, 0x0
	s_barrier
	buffer_gl0_inv
	ds_load_u16 v3, v33
	ds_load_u16 v2, v33 offset:128
	ds_load_u16 v7, v33 offset:256
	;; [unrolled: 1-line block ×21, first 2 shown]
	v_add_co_u32 v0, vcc_lo, v0, v33
	v_mov_b32_e32 v22, 0
	v_add_co_ci_u32_e32 v1, vcc_lo, 0, v1, vcc_lo
	s_mov_b32 s0, exec_lo
	v_cmpx_lt_u32_e64 v21, v20
	s_cbranch_execz .LBB430_366
; %bb.365:
	s_waitcnt lgkmcnt(21)
	flat_store_b16 v[0:1], v3
.LBB430_366:
	s_or_b32 exec_lo, exec_lo, s0
	v_add_nc_u32_e32 v31, 64, v21
	s_mov_b32 s0, exec_lo
	s_delay_alu instid0(VALU_DEP_1)
	v_cmpx_lt_u32_e64 v31, v20
	s_cbranch_execz .LBB430_368
; %bb.367:
	s_waitcnt lgkmcnt(20)
	flat_store_b16 v[0:1], v2 offset:128
.LBB430_368:
	s_or_b32 exec_lo, exec_lo, s0
	v_add_nc_u32_e32 v31, 0x80, v21
	s_mov_b32 s0, exec_lo
	s_delay_alu instid0(VALU_DEP_1)
	v_cmpx_lt_u32_e64 v31, v20
	s_cbranch_execz .LBB430_370
; %bb.369:
	s_waitcnt lgkmcnt(19)
	flat_store_b16 v[0:1], v7 offset:256
.LBB430_370:
	;; [unrolled: 10-line block ×15, first 2 shown]
	s_or_b32 exec_lo, exec_lo, s0
	v_or_b32_e32 v31, 0x400, v21
	s_mov_b32 s0, exec_lo
	s_delay_alu instid0(VALU_DEP_1)
	v_cmpx_lt_u32_e64 v31, v20
	s_cbranch_execz .LBB430_398
; %bb.397:
	s_waitcnt lgkmcnt(5)
	flat_store_b16 v[0:1], v26 offset:2048
.LBB430_398:
	s_or_b32 exec_lo, exec_lo, s0
	v_add_nc_u32_e32 v31, 0x440, v21
	s_mov_b32 s0, exec_lo
	s_delay_alu instid0(VALU_DEP_1)
	v_cmpx_lt_u32_e64 v31, v20
	s_cbranch_execz .LBB430_400
; %bb.399:
	s_waitcnt lgkmcnt(4)
	flat_store_b16 v[0:1], v24 offset:2176
.LBB430_400:
	s_or_b32 exec_lo, exec_lo, s0
	v_add_nc_u32_e32 v31, 0x480, v21
	;; [unrolled: 10-line block ×5, first 2 shown]
	s_mov_b32 s0, exec_lo
	s_delay_alu instid0(VALU_DEP_1)
	v_cmpx_lt_u32_e64 v31, v20
	s_cbranch_execz .LBB430_408
; %bb.407:
	s_waitcnt lgkmcnt(0)
	flat_store_b16 v[0:1], v30 offset:2688
.LBB430_408:
	s_or_b32 exec_lo, exec_lo, s0
	s_delay_alu instid0(SALU_CYCLE_1)
	s_mov_b32 s2, exec_lo
	v_cmpx_lt_u64_e32 1, v[8:9]
	s_cbranch_execz .LBB430_490
; %bb.409:
	s_add_u32 s0, 0, 0x2e8b0a00
	s_addc_u32 s3, 0, 42
	s_mul_hi_u32 s5, s0, 0xffffffea
	s_add_i32 s3, s3, 0xba2e890
	s_sub_i32 s5, s5, s0
	s_mul_i32 s6, s3, 0xffffffea
	s_mul_i32 s4, s0, 0xffffffea
	s_add_i32 s5, s5, s6
	s_mul_hi_u32 s7, s3, s4
	s_mul_i32 s6, s3, s4
	s_mul_i32 s8, s0, s5
	s_mul_hi_u32 s4, s0, s4
	s_mul_hi_u32 s9, s0, s5
	s_add_u32 s4, s4, s8
	s_addc_u32 s8, 0, s9
	s_mul_hi_u32 s9, s3, s5
	s_add_u32 s4, s4, s6
	s_addc_u32 s4, s8, s7
	s_mul_i32 s5, s3, s5
	s_addc_u32 s6, s9, 0
	s_add_u32 s4, s4, s5
	v_add_co_u32 v0, vcc_lo, v20, -1
	v_add_co_u32 v33, s0, s0, s4
	s_addc_u32 s4, 0, s6
	s_cmp_lg_u32 s0, 0
	v_add_co_ci_u32_e32 v1, vcc_lo, -1, v32, vcc_lo
	s_addc_u32 s0, s3, s4
	v_mul_hi_u32 v20, v0, v33
	v_mad_u64_u32 v[8:9], null, v0, s0, 0
	s_delay_alu instid0(VALU_DEP_3) | instskip(NEXT) | instid1(VALU_DEP_2)
	v_mad_u64_u32 v[31:32], null, v1, v33, 0
	v_add_co_u32 v20, vcc_lo, v20, v8
	s_delay_alu instid0(VALU_DEP_3) | instskip(SKIP_1) | instid1(VALU_DEP_3)
	v_add_co_ci_u32_e32 v33, vcc_lo, 0, v9, vcc_lo
	v_mad_u64_u32 v[8:9], null, v1, s0, 0
	v_add_co_u32 v20, vcc_lo, v20, v31
	s_delay_alu instid0(VALU_DEP_3) | instskip(NEXT) | instid1(VALU_DEP_3)
	v_add_co_ci_u32_e32 v20, vcc_lo, v33, v32, vcc_lo
	v_add_co_ci_u32_e32 v9, vcc_lo, 0, v9, vcc_lo
	s_delay_alu instid0(VALU_DEP_2) | instskip(NEXT) | instid1(VALU_DEP_2)
	v_add_co_u32 v20, vcc_lo, v20, v8
	v_add_co_ci_u32_e32 v33, vcc_lo, 0, v9, vcc_lo
	s_delay_alu instid0(VALU_DEP_2) | instskip(SKIP_1) | instid1(VALU_DEP_1)
	v_mad_u64_u32 v[8:9], null, v20, 22, 0
	s_waitcnt lgkmcnt(18)
	v_mad_u64_u32 v[31:32], null, v33, 22, v[9:10]
	s_delay_alu instid0(VALU_DEP_2) | instskip(NEXT) | instid1(VALU_DEP_2)
	v_sub_co_u32 v8, vcc_lo, v0, v8
	v_sub_co_ci_u32_e32 v9, vcc_lo, v1, v31, vcc_lo
	s_delay_alu instid0(VALU_DEP_2) | instskip(NEXT) | instid1(VALU_DEP_2)
	v_sub_co_u32 v31, vcc_lo, v8, 22
	v_subrev_co_ci_u32_e32 v32, vcc_lo, 0, v9, vcc_lo
	s_delay_alu instid0(VALU_DEP_2)
	v_cmp_lt_u32_e32 vcc_lo, 21, v31
	v_cmp_eq_u32_e64 s0, 0, v9
	v_cndmask_b32_e64 v31, 0, -1, vcc_lo
	v_add_co_u32 v35, vcc_lo, v20, 2
	v_add_co_ci_u32_e32 v36, vcc_lo, 0, v33, vcc_lo
	v_cmp_lt_u32_e32 vcc_lo, 21, v8
	v_cndmask_b32_e64 v8, 0, -1, vcc_lo
	v_cmp_eq_u32_e32 vcc_lo, 0, v32
	s_delay_alu instid0(VALU_DEP_2) | instskip(SKIP_3) | instid1(VALU_DEP_3)
	v_cndmask_b32_e64 v8, -1, v8, s0
	v_cndmask_b32_e32 v31, -1, v31, vcc_lo
	v_add_co_u32 v32, vcc_lo, v20, 1
	v_add_co_ci_u32_e32 v37, vcc_lo, 0, v33, vcc_lo
	v_cmp_ne_u32_e32 vcc_lo, 0, v31
	s_delay_alu instid0(VALU_DEP_3) | instskip(NEXT) | instid1(VALU_DEP_3)
	v_cndmask_b32_e32 v31, v32, v35, vcc_lo
	v_cndmask_b32_e32 v9, v37, v36, vcc_lo
	v_cmp_ne_u32_e32 vcc_lo, 0, v8
	s_delay_alu instid0(VALU_DEP_2) | instskip(NEXT) | instid1(VALU_DEP_1)
	v_dual_cndmask_b32 v8, v20, v31 :: v_dual_cndmask_b32 v9, v33, v9
	v_cmp_eq_u64_e32 vcc_lo, v[8:9], v[21:22]
	s_and_b32 exec_lo, exec_lo, vcc_lo
	s_cbranch_execz .LBB430_490
; %bb.410:
	v_mul_hi_u32_u24_e32 v8, 22, v21
	v_sub_co_u32 v0, vcc_lo, v0, v34
	s_mov_b32 s0, 0
	s_mov_b32 s4, 0
	s_delay_alu instid0(VALU_DEP_2) | instskip(SKIP_1) | instid1(VALU_DEP_1)
	v_sub_co_ci_u32_e32 v1, vcc_lo, v1, v8, vcc_lo
	s_mov_b32 s3, exec_lo
	v_cmpx_lt_i64_e32 10, v[0:1]
	s_xor_b32 s3, exec_lo, s3
	s_cbranch_execnz .LBB430_414
; %bb.411:
	s_or_saveexec_b32 s3, s3
	s_mov_b32 s5, 0
	s_xor_b32 exec_lo, exec_lo, s3
	s_cbranch_execnz .LBB430_455
.LBB430_412:
	s_or_b32 exec_lo, exec_lo, s3
	s_and_saveexec_b32 s3, s4
	s_cbranch_execnz .LBB430_466
.LBB430_413:
	s_or_b32 exec_lo, exec_lo, s3
	s_and_saveexec_b32 s3, s0
	s_cbranch_execnz .LBB430_467
	s_branch .LBB430_471
.LBB430_414:
	s_mov_b32 s5, 0
	s_mov_b32 s4, exec_lo
	v_cmpx_lt_i64_e32 15, v[0:1]
	s_xor_b32 s4, exec_lo, s4
	s_cbranch_execz .LBB430_436
; %bb.415:
	s_mov_b32 s6, exec_lo
                                        ; implicit-def: $vgpr14
	v_cmpx_lt_i64_e32 18, v[0:1]
	s_xor_b32 s6, exec_lo, s6
	s_cbranch_execz .LBB430_425
; %bb.416:
	s_mov_b32 s7, 0
	s_mov_b32 s5, exec_lo
                                        ; implicit-def: $vgpr14
	v_cmpx_lt_i64_e32 19, v[0:1]
	s_xor_b32 s5, exec_lo, s5
	s_cbranch_execz .LBB430_422
; %bb.417:
	s_mov_b32 s7, exec_lo
	v_cmpx_lt_i64_e32 20, v[0:1]
	s_xor_b32 s7, exec_lo, s7
	s_cbranch_execz .LBB430_419
; %bb.418:
	s_waitcnt lgkmcnt(0)
	flat_store_b16 v[4:5], v30
                                        ; implicit-def: $vgpr19
.LBB430_419:
	s_or_saveexec_b32 s7, s7
	s_mov_b32 s8, 0
	s_xor_b32 exec_lo, exec_lo, s7
; %bb.420:
	s_delay_alu instid0(SALU_CYCLE_1)
	s_mov_b32 s8, exec_lo
; %bb.421:
	s_or_b32 exec_lo, exec_lo, s7
	s_waitcnt lgkmcnt(1)
	v_mov_b32_e32 v14, v19
	s_and_b32 s7, s8, exec_lo
                                        ; implicit-def: $vgpr29
.LBB430_422:
	s_and_not1_saveexec_b32 s5, s5
	s_cbranch_execz .LBB430_424
; %bb.423:
	s_waitcnt lgkmcnt(2)
	flat_store_b16 v[4:5], v29
                                        ; implicit-def: $vgpr14
.LBB430_424:
	s_or_b32 exec_lo, exec_lo, s5
	s_delay_alu instid0(SALU_CYCLE_1)
	s_and_b32 s5, s7, exec_lo
                                        ; implicit-def: $vgpr26
                                        ; implicit-def: $vgpr24
                                        ; implicit-def: $vgpr28
.LBB430_425:
	s_and_not1_saveexec_b32 s6, s6
	s_cbranch_execz .LBB430_435
; %bb.426:
	s_mov_b32 s7, exec_lo
	v_cmpx_lt_i64_e32 16, v[0:1]
	s_xor_b32 s7, exec_lo, s7
	s_cbranch_execz .LBB430_432
; %bb.427:
	s_mov_b32 s8, exec_lo
	v_cmpx_lt_i64_e32 17, v[0:1]
	s_xor_b32 s8, exec_lo, s8
	s_cbranch_execz .LBB430_429
; %bb.428:
	s_waitcnt lgkmcnt(3)
	flat_store_b16 v[4:5], v28
                                        ; implicit-def: $vgpr24
.LBB430_429:
	s_and_not1_saveexec_b32 s8, s8
	s_cbranch_execz .LBB430_431
; %bb.430:
	s_waitcnt lgkmcnt(4)
	flat_store_b16 v[4:5], v24
.LBB430_431:
	s_or_b32 exec_lo, exec_lo, s8
                                        ; implicit-def: $vgpr26
.LBB430_432:
	s_and_not1_saveexec_b32 s7, s7
	s_cbranch_execz .LBB430_434
; %bb.433:
	s_waitcnt lgkmcnt(5)
	flat_store_b16 v[4:5], v26
.LBB430_434:
	s_or_b32 exec_lo, exec_lo, s7
                                        ; implicit-def: $vgpr14
.LBB430_435:
	s_delay_alu instid0(SALU_CYCLE_1) | instskip(NEXT) | instid1(SALU_CYCLE_1)
	s_or_b32 exec_lo, exec_lo, s6
	s_and_b32 s5, s5, exec_lo
                                        ; implicit-def: $vgpr25
                                        ; implicit-def: $vgpr23
                                        ; implicit-def: $vgpr18
                                        ; implicit-def: $vgpr27
.LBB430_436:
	s_and_not1_saveexec_b32 s4, s4
	s_cbranch_execz .LBB430_454
; %bb.437:
	s_mov_b32 s6, exec_lo
	v_cmpx_lt_i64_e32 12, v[0:1]
	s_xor_b32 s6, exec_lo, s6
	s_cbranch_execz .LBB430_447
; %bb.438:
	s_mov_b32 s7, exec_lo
	v_cmpx_lt_i64_e32 13, v[0:1]
	s_xor_b32 s7, exec_lo, s7
	;; [unrolled: 5-line block ×3, first 2 shown]
	s_cbranch_execz .LBB430_441
; %bb.440:
	s_waitcnt lgkmcnt(6)
	flat_store_b16 v[4:5], v27
                                        ; implicit-def: $vgpr18
.LBB430_441:
	s_and_not1_saveexec_b32 s8, s8
	s_cbranch_execz .LBB430_443
; %bb.442:
	s_waitcnt lgkmcnt(7)
	flat_store_b16 v[4:5], v18
.LBB430_443:
	s_or_b32 exec_lo, exec_lo, s8
                                        ; implicit-def: $vgpr25
.LBB430_444:
	s_and_not1_saveexec_b32 s7, s7
	s_cbranch_execz .LBB430_446
; %bb.445:
	s_waitcnt lgkmcnt(8)
	flat_store_b16 v[4:5], v25
.LBB430_446:
	s_or_b32 exec_lo, exec_lo, s7
                                        ; implicit-def: $vgpr14
                                        ; implicit-def: $vgpr23
.LBB430_447:
	s_or_saveexec_b32 s6, s6
	s_mov_b32 s7, s5
	s_xor_b32 exec_lo, exec_lo, s6
	s_cbranch_execz .LBB430_453
; %bb.448:
	s_mov_b32 s7, exec_lo
	v_cmpx_lt_i64_e32 11, v[0:1]
	s_xor_b32 s7, exec_lo, s7
	s_cbranch_execz .LBB430_450
; %bb.449:
	s_waitcnt lgkmcnt(9)
	flat_store_b16 v[4:5], v23
                                        ; implicit-def: $vgpr14
.LBB430_450:
	s_or_saveexec_b32 s7, s7
	s_mov_b32 s8, s5
	s_xor_b32 exec_lo, exec_lo, s7
; %bb.451:
	s_delay_alu instid0(SALU_CYCLE_1)
	s_or_b32 s8, s5, exec_lo
; %bb.452:
	s_or_b32 exec_lo, exec_lo, s7
	s_delay_alu instid0(SALU_CYCLE_1) | instskip(SKIP_1) | instid1(SALU_CYCLE_1)
	s_and_not1_b32 s7, s5, exec_lo
	s_and_b32 s8, s8, exec_lo
	s_or_b32 s7, s7, s8
.LBB430_453:
	s_or_b32 exec_lo, exec_lo, s6
	s_delay_alu instid0(SALU_CYCLE_1) | instskip(SKIP_1) | instid1(SALU_CYCLE_1)
	s_and_not1_b32 s5, s5, exec_lo
	s_and_b32 s6, s7, exec_lo
	s_or_b32 s5, s5, s6
.LBB430_454:
	s_or_b32 exec_lo, exec_lo, s4
	s_delay_alu instid0(SALU_CYCLE_1)
	s_and_b32 s4, s5, exec_lo
                                        ; implicit-def: $vgpr16
                                        ; implicit-def: $vgpr17
                                        ; implicit-def: $vgpr15
	s_or_saveexec_b32 s3, s3
	s_mov_b32 s5, 0
	s_xor_b32 exec_lo, exec_lo, s3
	s_cbranch_execz .LBB430_412
.LBB430_455:
	s_mov_b32 s6, 0
	s_mov_b32 s5, -1
	s_mov_b32 s7, s4
	s_mov_b32 s0, exec_lo
                                        ; implicit-def: $vgpr14
	v_cmpx_lt_i64_e32 5, v[0:1]
	s_cbranch_execz .LBB430_465
; %bb.456:
	s_mov_b32 s6, -1
	s_mov_b32 s7, s4
	s_mov_b32 s5, exec_lo
	v_cmpx_lt_i64_e32 7, v[0:1]
	s_cbranch_execz .LBB430_464
; %bb.457:
	s_mov_b32 s6, exec_lo
	v_cmpx_lt_i64_e32 8, v[0:1]
	s_cbranch_execz .LBB430_463
; %bb.458:
	s_mov_b32 s7, exec_lo
	v_cmpx_lt_i64_e32 9, v[0:1]
	s_xor_b32 s7, exec_lo, s7
; %bb.459:
                                        ; implicit-def: $vgpr17
; %bb.460:
	s_delay_alu instid0(SALU_CYCLE_1)
	s_and_not1_saveexec_b32 s7, s7
	s_cbranch_execz .LBB430_462
; %bb.461:
	s_waitcnt lgkmcnt(11)
	v_mov_b32_e32 v15, v17
.LBB430_462:
	s_or_b32 exec_lo, exec_lo, s7
	s_waitcnt lgkmcnt(11)
	s_delay_alu instid0(VALU_DEP_1)
	v_mov_b32_e32 v16, v15
.LBB430_463:
	s_or_b32 exec_lo, exec_lo, s6
	s_delay_alu instid0(SALU_CYCLE_1)
	s_xor_b32 s6, exec_lo, -1
	s_or_b32 s7, s4, exec_lo
.LBB430_464:
	s_or_b32 exec_lo, exec_lo, s5
	s_waitcnt lgkmcnt(10)
	v_mov_b32_e32 v14, v16
	s_and_not1_b32 s8, s4, exec_lo
	s_and_b32 s7, s7, exec_lo
	s_xor_b32 s5, exec_lo, -1
	s_and_b32 s6, s6, exec_lo
	s_or_b32 s7, s8, s7
.LBB430_465:
	s_or_b32 exec_lo, exec_lo, s0
	s_delay_alu instid0(SALU_CYCLE_1)
	s_and_not1_b32 s4, s4, exec_lo
	s_and_b32 s7, s7, exec_lo
	s_and_b32 s5, s5, exec_lo
	s_and_b32 s0, s6, exec_lo
	s_or_b32 s4, s4, s7
	s_or_b32 exec_lo, exec_lo, s3
	s_and_saveexec_b32 s3, s4
	s_cbranch_execz .LBB430_413
.LBB430_466:
	s_waitcnt lgkmcnt(10)
	flat_store_b16 v[4:5], v14
	s_or_b32 exec_lo, exec_lo, s3
	s_and_saveexec_b32 s3, s0
	s_cbranch_execz .LBB430_471
.LBB430_467:
	s_mov_b32 s0, exec_lo
	v_cmpx_lt_i64_e32 6, v[0:1]
	s_xor_b32 s0, exec_lo, s0
	s_cbranch_execz .LBB430_469
; %bb.468:
	s_waitcnt lgkmcnt(14)
	flat_store_b16 v[4:5], v13
                                        ; implicit-def: $vgpr12
.LBB430_469:
	s_and_not1_saveexec_b32 s0, s0
	s_cbranch_execz .LBB430_471
; %bb.470:
	s_waitcnt lgkmcnt(15)
	flat_store_b16 v[4:5], v12
.LBB430_471:
	s_or_b32 exec_lo, exec_lo, s3
	s_delay_alu instid0(SALU_CYCLE_1)
	s_and_b32 exec_lo, exec_lo, s5
	s_cbranch_execz .LBB430_490
; %bb.472:
	s_mov_b32 s0, exec_lo
	v_cmpx_lt_i64_e32 2, v[0:1]
	s_xor_b32 s0, exec_lo, s0
	s_cbranch_execz .LBB430_482
; %bb.473:
	s_mov_b32 s3, exec_lo
	v_cmpx_lt_i64_e32 3, v[0:1]
	s_xor_b32 s3, exec_lo, s3
	;; [unrolled: 5-line block ×3, first 2 shown]
	s_cbranch_execz .LBB430_476
; %bb.475:
	s_waitcnt lgkmcnt(16)
	flat_store_b16 v[4:5], v11
                                        ; implicit-def: $vgpr4_vgpr5
                                        ; implicit-def: $vgpr6
.LBB430_476:
	s_and_not1_saveexec_b32 s4, s4
	s_cbranch_execz .LBB430_478
; %bb.477:
	s_waitcnt lgkmcnt(17)
	flat_store_b16 v[4:5], v6
.LBB430_478:
	s_or_b32 exec_lo, exec_lo, s4
                                        ; implicit-def: $vgpr4_vgpr5
                                        ; implicit-def: $vgpr10
.LBB430_479:
	s_and_not1_saveexec_b32 s3, s3
	s_cbranch_execz .LBB430_481
; %bb.480:
	flat_store_b16 v[4:5], v10
.LBB430_481:
	s_or_b32 exec_lo, exec_lo, s3
                                        ; implicit-def: $vgpr0_vgpr1
                                        ; implicit-def: $vgpr4_vgpr5
                                        ; implicit-def: $vgpr7
                                        ; implicit-def: $vgpr2
                                        ; implicit-def: $vgpr3
.LBB430_482:
	s_and_not1_saveexec_b32 s0, s0
	s_cbranch_execz .LBB430_490
; %bb.483:
	s_mov_b32 s0, exec_lo
	v_cmpx_lt_i64_e32 1, v[0:1]
	s_xor_b32 s0, exec_lo, s0
	s_cbranch_execz .LBB430_485
; %bb.484:
	flat_store_b16 v[4:5], v7
                                        ; implicit-def: $vgpr4_vgpr5
                                        ; implicit-def: $vgpr2
                                        ; implicit-def: $vgpr0_vgpr1
                                        ; implicit-def: $vgpr3
.LBB430_485:
	s_and_not1_saveexec_b32 s0, s0
	s_cbranch_execz .LBB430_490
; %bb.486:
	s_mov_b32 s0, exec_lo
	v_cmpx_ne_u64_e32 1, v[0:1]
	s_xor_b32 s0, exec_lo, s0
	s_cbranch_execz .LBB430_488
; %bb.487:
	flat_store_b16 v[4:5], v3
                                        ; implicit-def: $vgpr4_vgpr5
                                        ; implicit-def: $vgpr2
.LBB430_488:
	s_and_not1_saveexec_b32 s0, s0
	s_cbranch_execz .LBB430_490
; %bb.489:
	flat_store_b16 v[4:5], v2
.LBB430_490:
	s_or_b32 exec_lo, exec_lo, s2
.LBB430_491:
	s_delay_alu instid0(SALU_CYCLE_1)
	s_or_b32 exec_lo, exec_lo, s1
	v_readlane_b32 s30, v40, 0
	v_readlane_b32 s31, v40, 1
	s_or_saveexec_b32 s0, -1
	scratch_load_b32 v40, off, s32          ; 4-byte Folded Reload
	s_mov_b32 exec_lo, s0
	s_waitcnt vmcnt(0) lgkmcnt(0)
	s_setpc_b64 s[30:31]
.Lfunc_end430:
	.size	_ZZZN7rocprim17ROCPRIM_400000_NS6detail9scan_implILNS1_25lookback_scan_determinismE0ELb0ELb0ENS0_14default_configEPKN3c104HalfEPS6_S6_ZZZN2at6native31launch_logcumsumexp_cuda_kernelERKNSA_10TensorBaseESE_lENKUlvE_clEvENKUlvE3_clEvEUlS6_S6_E_S6_EEDaPvRmT3_T4_T5_mT6_P12ihipStream_tbENKUlT_T0_E_clISt17integral_constantIbLb0EESU_IbLb1EEEEDaSQ_SR_ENKUlSQ_E_clINS1_13target_configIS4_NS1_20scan_config_selectorIS6_EENS1_11comp_targetILNS1_3genE9ELNS1_11target_archE1100ELNS1_3gpuE3ELNS1_3repE0EEELNS0_4arch9wavefront6targetE0EEEEEDaSQ_, .Lfunc_end430-_ZZZN7rocprim17ROCPRIM_400000_NS6detail9scan_implILNS1_25lookback_scan_determinismE0ELb0ELb0ENS0_14default_configEPKN3c104HalfEPS6_S6_ZZZN2at6native31launch_logcumsumexp_cuda_kernelERKNSA_10TensorBaseESE_lENKUlvE_clEvENKUlvE3_clEvEUlS6_S6_E_S6_EEDaPvRmT3_T4_T5_mT6_P12ihipStream_tbENKUlT_T0_E_clISt17integral_constantIbLb0EESU_IbLb1EEEEDaSQ_SR_ENKUlSQ_E_clINS1_13target_configIS4_NS1_20scan_config_selectorIS6_EENS1_11comp_targetILNS1_3genE9ELNS1_11target_archE1100ELNS1_3gpuE3ELNS1_3repE0EEELNS0_4arch9wavefront6targetE0EEEEEDaSQ_
                                        ; -- End function
	.section	.AMDGPU.csdata,"",@progbits
; Function info:
; codeLenInByte = 113764
; NumSgprs: 35
; NumVgprs: 162
; ScratchSize: 8
; MemoryBound: 0
	.section	.text._ZN7rocprim17ROCPRIM_400000_NS6detail17trampoline_kernelINS0_14default_configENS1_20scan_config_selectorIN3c104HalfEEEZZNS1_9scan_implILNS1_25lookback_scan_determinismE0ELb0ELb0ES3_PKS6_PS6_S6_ZZZN2at6native31launch_logcumsumexp_cuda_kernelERKNSD_10TensorBaseESH_lENKUlvE_clEvENKUlvE3_clEvEUlS6_S6_E_S6_EEDaPvRmT3_T4_T5_mT6_P12ihipStream_tbENKUlT_T0_E_clISt17integral_constantIbLb0EESX_IbLb1EEEEDaST_SU_EUlST_E_NS1_11comp_targetILNS1_3genE9ELNS1_11target_archE1100ELNS1_3gpuE3ELNS1_3repE0EEENS1_30default_config_static_selectorELNS0_4arch9wavefront6targetE0EEEvT1_,"axG",@progbits,_ZN7rocprim17ROCPRIM_400000_NS6detail17trampoline_kernelINS0_14default_configENS1_20scan_config_selectorIN3c104HalfEEEZZNS1_9scan_implILNS1_25lookback_scan_determinismE0ELb0ELb0ES3_PKS6_PS6_S6_ZZZN2at6native31launch_logcumsumexp_cuda_kernelERKNSD_10TensorBaseESH_lENKUlvE_clEvENKUlvE3_clEvEUlS6_S6_E_S6_EEDaPvRmT3_T4_T5_mT6_P12ihipStream_tbENKUlT_T0_E_clISt17integral_constantIbLb0EESX_IbLb1EEEEDaST_SU_EUlST_E_NS1_11comp_targetILNS1_3genE9ELNS1_11target_archE1100ELNS1_3gpuE3ELNS1_3repE0EEENS1_30default_config_static_selectorELNS0_4arch9wavefront6targetE0EEEvT1_,comdat
	.globl	_ZN7rocprim17ROCPRIM_400000_NS6detail17trampoline_kernelINS0_14default_configENS1_20scan_config_selectorIN3c104HalfEEEZZNS1_9scan_implILNS1_25lookback_scan_determinismE0ELb0ELb0ES3_PKS6_PS6_S6_ZZZN2at6native31launch_logcumsumexp_cuda_kernelERKNSD_10TensorBaseESH_lENKUlvE_clEvENKUlvE3_clEvEUlS6_S6_E_S6_EEDaPvRmT3_T4_T5_mT6_P12ihipStream_tbENKUlT_T0_E_clISt17integral_constantIbLb0EESX_IbLb1EEEEDaST_SU_EUlST_E_NS1_11comp_targetILNS1_3genE9ELNS1_11target_archE1100ELNS1_3gpuE3ELNS1_3repE0EEENS1_30default_config_static_selectorELNS0_4arch9wavefront6targetE0EEEvT1_ ; -- Begin function _ZN7rocprim17ROCPRIM_400000_NS6detail17trampoline_kernelINS0_14default_configENS1_20scan_config_selectorIN3c104HalfEEEZZNS1_9scan_implILNS1_25lookback_scan_determinismE0ELb0ELb0ES3_PKS6_PS6_S6_ZZZN2at6native31launch_logcumsumexp_cuda_kernelERKNSD_10TensorBaseESH_lENKUlvE_clEvENKUlvE3_clEvEUlS6_S6_E_S6_EEDaPvRmT3_T4_T5_mT6_P12ihipStream_tbENKUlT_T0_E_clISt17integral_constantIbLb0EESX_IbLb1EEEEDaST_SU_EUlST_E_NS1_11comp_targetILNS1_3genE9ELNS1_11target_archE1100ELNS1_3gpuE3ELNS1_3repE0EEENS1_30default_config_static_selectorELNS0_4arch9wavefront6targetE0EEEvT1_
	.p2align	8
	.type	_ZN7rocprim17ROCPRIM_400000_NS6detail17trampoline_kernelINS0_14default_configENS1_20scan_config_selectorIN3c104HalfEEEZZNS1_9scan_implILNS1_25lookback_scan_determinismE0ELb0ELb0ES3_PKS6_PS6_S6_ZZZN2at6native31launch_logcumsumexp_cuda_kernelERKNSD_10TensorBaseESH_lENKUlvE_clEvENKUlvE3_clEvEUlS6_S6_E_S6_EEDaPvRmT3_T4_T5_mT6_P12ihipStream_tbENKUlT_T0_E_clISt17integral_constantIbLb0EESX_IbLb1EEEEDaST_SU_EUlST_E_NS1_11comp_targetILNS1_3genE9ELNS1_11target_archE1100ELNS1_3gpuE3ELNS1_3repE0EEENS1_30default_config_static_selectorELNS0_4arch9wavefront6targetE0EEEvT1_,@function
_ZN7rocprim17ROCPRIM_400000_NS6detail17trampoline_kernelINS0_14default_configENS1_20scan_config_selectorIN3c104HalfEEEZZNS1_9scan_implILNS1_25lookback_scan_determinismE0ELb0ELb0ES3_PKS6_PS6_S6_ZZZN2at6native31launch_logcumsumexp_cuda_kernelERKNSD_10TensorBaseESH_lENKUlvE_clEvENKUlvE3_clEvEUlS6_S6_E_S6_EEDaPvRmT3_T4_T5_mT6_P12ihipStream_tbENKUlT_T0_E_clISt17integral_constantIbLb0EESX_IbLb1EEEEDaST_SU_EUlST_E_NS1_11comp_targetILNS1_3genE9ELNS1_11target_archE1100ELNS1_3gpuE3ELNS1_3repE0EEENS1_30default_config_static_selectorELNS0_4arch9wavefront6targetE0EEEvT1_: ; @_ZN7rocprim17ROCPRIM_400000_NS6detail17trampoline_kernelINS0_14default_configENS1_20scan_config_selectorIN3c104HalfEEEZZNS1_9scan_implILNS1_25lookback_scan_determinismE0ELb0ELb0ES3_PKS6_PS6_S6_ZZZN2at6native31launch_logcumsumexp_cuda_kernelERKNSD_10TensorBaseESH_lENKUlvE_clEvENKUlvE3_clEvEUlS6_S6_E_S6_EEDaPvRmT3_T4_T5_mT6_P12ihipStream_tbENKUlT_T0_E_clISt17integral_constantIbLb0EESX_IbLb1EEEEDaST_SU_EUlST_E_NS1_11comp_targetILNS1_3genE9ELNS1_11target_archE1100ELNS1_3gpuE3ELNS1_3repE0EEENS1_30default_config_static_selectorELNS0_4arch9wavefront6targetE0EEEvT1_
; %bb.0:
	s_clause 0x2
	s_load_b256 s[12:19], s[0:1], 0x0
	s_load_b256 s[20:27], s[0:1], 0x20
	;; [unrolled: 1-line block ×3, first 2 shown]
	v_mov_b32_e32 v31, v0
	s_mov_b64 s[2:3], src_private_base
	s_add_u32 s8, s0, 0x60
	s_addc_u32 s9, s1, 0
	s_movk_i32 s32, 0x70
	s_getpc_b64 s[0:1]
	s_add_u32 s0, s0, _ZZZN7rocprim17ROCPRIM_400000_NS6detail9scan_implILNS1_25lookback_scan_determinismE0ELb0ELb0ENS0_14default_configEPKN3c104HalfEPS6_S6_ZZZN2at6native31launch_logcumsumexp_cuda_kernelERKNSA_10TensorBaseESE_lENKUlvE_clEvENKUlvE3_clEvEUlS6_S6_E_S6_EEDaPvRmT3_T4_T5_mT6_P12ihipStream_tbENKUlT_T0_E_clISt17integral_constantIbLb0EESU_IbLb1EEEEDaSQ_SR_ENKUlSQ_E_clINS1_13target_configIS4_NS1_20scan_config_selectorIS6_EENS1_11comp_targetILNS1_3genE9ELNS1_11target_archE1100ELNS1_3gpuE3ELNS1_3repE0EEELNS0_4arch9wavefront6targetE0EEEEEDaSQ_@rel32@lo+4
	s_addc_u32 s1, s1, _ZZZN7rocprim17ROCPRIM_400000_NS6detail9scan_implILNS1_25lookback_scan_determinismE0ELb0ELb0ENS0_14default_configEPKN3c104HalfEPS6_S6_ZZZN2at6native31launch_logcumsumexp_cuda_kernelERKNSA_10TensorBaseESE_lENKUlvE_clEvENKUlvE3_clEvEUlS6_S6_E_S6_EEDaPvRmT3_T4_T5_mT6_P12ihipStream_tbENKUlT_T0_E_clISt17integral_constantIbLb0EESU_IbLb1EEEEDaSQ_SR_ENKUlSQ_E_clINS1_13target_configIS4_NS1_20scan_config_selectorIS6_EENS1_11comp_targetILNS1_3genE9ELNS1_11target_archE1100ELNS1_3gpuE3ELNS1_3repE0EEELNS0_4arch9wavefront6targetE0EEEEEDaSQ_@rel32@hi+12
	s_waitcnt lgkmcnt(0)
	v_dual_mov_b32 v0, s12 :: v_dual_mov_b32 v1, s13
	v_dual_mov_b32 v2, s14 :: v_dual_mov_b32 v3, s15
	;; [unrolled: 1-line block ×12, first 2 shown]
	s_clause 0x5
	scratch_store_b128 off, v[0:3], off
	scratch_store_b128 off, v[4:7], off offset:16
	scratch_store_b128 off, v[8:11], off offset:32
	scratch_store_b128 off, v[12:15], off offset:48
	scratch_store_b128 off, v[16:19], off offset:64
	scratch_store_b128 off, v[20:23], off offset:80
	v_dual_mov_b32 v0, 0 :: v_dual_mov_b32 v1, s3
	s_swappc_b64 s[30:31], s[0:1]
	s_endpgm
	.section	.rodata,"a",@progbits
	.p2align	6, 0x0
	.amdhsa_kernel _ZN7rocprim17ROCPRIM_400000_NS6detail17trampoline_kernelINS0_14default_configENS1_20scan_config_selectorIN3c104HalfEEEZZNS1_9scan_implILNS1_25lookback_scan_determinismE0ELb0ELb0ES3_PKS6_PS6_S6_ZZZN2at6native31launch_logcumsumexp_cuda_kernelERKNSD_10TensorBaseESH_lENKUlvE_clEvENKUlvE3_clEvEUlS6_S6_E_S6_EEDaPvRmT3_T4_T5_mT6_P12ihipStream_tbENKUlT_T0_E_clISt17integral_constantIbLb0EESX_IbLb1EEEEDaST_SU_EUlST_E_NS1_11comp_targetILNS1_3genE9ELNS1_11target_archE1100ELNS1_3gpuE3ELNS1_3repE0EEENS1_30default_config_static_selectorELNS0_4arch9wavefront6targetE0EEEvT1_
		.amdhsa_group_segment_fixed_size 2816
		.amdhsa_private_segment_fixed_size 120
		.amdhsa_kernarg_size 352
		.amdhsa_user_sgpr_count 15
		.amdhsa_user_sgpr_dispatch_ptr 0
		.amdhsa_user_sgpr_queue_ptr 0
		.amdhsa_user_sgpr_kernarg_segment_ptr 1
		.amdhsa_user_sgpr_dispatch_id 0
		.amdhsa_user_sgpr_private_segment_size 0
		.amdhsa_wavefront_size32 1
		.amdhsa_uses_dynamic_stack 0
		.amdhsa_enable_private_segment 1
		.amdhsa_system_sgpr_workgroup_id_x 1
		.amdhsa_system_sgpr_workgroup_id_y 0
		.amdhsa_system_sgpr_workgroup_id_z 0
		.amdhsa_system_sgpr_workgroup_info 0
		.amdhsa_system_vgpr_workitem_id 0
		.amdhsa_next_free_vgpr 162
		.amdhsa_next_free_sgpr 44
		.amdhsa_reserve_vcc 1
		.amdhsa_float_round_mode_32 0
		.amdhsa_float_round_mode_16_64 0
		.amdhsa_float_denorm_mode_32 3
		.amdhsa_float_denorm_mode_16_64 3
		.amdhsa_dx10_clamp 1
		.amdhsa_ieee_mode 1
		.amdhsa_fp16_overflow 0
		.amdhsa_workgroup_processor_mode 1
		.amdhsa_memory_ordered 1
		.amdhsa_forward_progress 0
		.amdhsa_shared_vgpr_count 0
		.amdhsa_exception_fp_ieee_invalid_op 0
		.amdhsa_exception_fp_denorm_src 0
		.amdhsa_exception_fp_ieee_div_zero 0
		.amdhsa_exception_fp_ieee_overflow 0
		.amdhsa_exception_fp_ieee_underflow 0
		.amdhsa_exception_fp_ieee_inexact 0
		.amdhsa_exception_int_div_zero 0
	.end_amdhsa_kernel
	.section	.text._ZN7rocprim17ROCPRIM_400000_NS6detail17trampoline_kernelINS0_14default_configENS1_20scan_config_selectorIN3c104HalfEEEZZNS1_9scan_implILNS1_25lookback_scan_determinismE0ELb0ELb0ES3_PKS6_PS6_S6_ZZZN2at6native31launch_logcumsumexp_cuda_kernelERKNSD_10TensorBaseESH_lENKUlvE_clEvENKUlvE3_clEvEUlS6_S6_E_S6_EEDaPvRmT3_T4_T5_mT6_P12ihipStream_tbENKUlT_T0_E_clISt17integral_constantIbLb0EESX_IbLb1EEEEDaST_SU_EUlST_E_NS1_11comp_targetILNS1_3genE9ELNS1_11target_archE1100ELNS1_3gpuE3ELNS1_3repE0EEENS1_30default_config_static_selectorELNS0_4arch9wavefront6targetE0EEEvT1_,"axG",@progbits,_ZN7rocprim17ROCPRIM_400000_NS6detail17trampoline_kernelINS0_14default_configENS1_20scan_config_selectorIN3c104HalfEEEZZNS1_9scan_implILNS1_25lookback_scan_determinismE0ELb0ELb0ES3_PKS6_PS6_S6_ZZZN2at6native31launch_logcumsumexp_cuda_kernelERKNSD_10TensorBaseESH_lENKUlvE_clEvENKUlvE3_clEvEUlS6_S6_E_S6_EEDaPvRmT3_T4_T5_mT6_P12ihipStream_tbENKUlT_T0_E_clISt17integral_constantIbLb0EESX_IbLb1EEEEDaST_SU_EUlST_E_NS1_11comp_targetILNS1_3genE9ELNS1_11target_archE1100ELNS1_3gpuE3ELNS1_3repE0EEENS1_30default_config_static_selectorELNS0_4arch9wavefront6targetE0EEEvT1_,comdat
.Lfunc_end431:
	.size	_ZN7rocprim17ROCPRIM_400000_NS6detail17trampoline_kernelINS0_14default_configENS1_20scan_config_selectorIN3c104HalfEEEZZNS1_9scan_implILNS1_25lookback_scan_determinismE0ELb0ELb0ES3_PKS6_PS6_S6_ZZZN2at6native31launch_logcumsumexp_cuda_kernelERKNSD_10TensorBaseESH_lENKUlvE_clEvENKUlvE3_clEvEUlS6_S6_E_S6_EEDaPvRmT3_T4_T5_mT6_P12ihipStream_tbENKUlT_T0_E_clISt17integral_constantIbLb0EESX_IbLb1EEEEDaST_SU_EUlST_E_NS1_11comp_targetILNS1_3genE9ELNS1_11target_archE1100ELNS1_3gpuE3ELNS1_3repE0EEENS1_30default_config_static_selectorELNS0_4arch9wavefront6targetE0EEEvT1_, .Lfunc_end431-_ZN7rocprim17ROCPRIM_400000_NS6detail17trampoline_kernelINS0_14default_configENS1_20scan_config_selectorIN3c104HalfEEEZZNS1_9scan_implILNS1_25lookback_scan_determinismE0ELb0ELb0ES3_PKS6_PS6_S6_ZZZN2at6native31launch_logcumsumexp_cuda_kernelERKNSD_10TensorBaseESH_lENKUlvE_clEvENKUlvE3_clEvEUlS6_S6_E_S6_EEDaPvRmT3_T4_T5_mT6_P12ihipStream_tbENKUlT_T0_E_clISt17integral_constantIbLb0EESX_IbLb1EEEEDaST_SU_EUlST_E_NS1_11comp_targetILNS1_3genE9ELNS1_11target_archE1100ELNS1_3gpuE3ELNS1_3repE0EEENS1_30default_config_static_selectorELNS0_4arch9wavefront6targetE0EEEvT1_
                                        ; -- End function
	.section	.AMDGPU.csdata,"",@progbits
; Kernel info:
; codeLenInByte = 240
; NumSgprs: 46
; NumVgprs: 162
; ScratchSize: 120
; MemoryBound: 0
; FloatMode: 240
; IeeeMode: 1
; LDSByteSize: 2816 bytes/workgroup (compile time only)
; SGPRBlocks: 5
; VGPRBlocks: 20
; NumSGPRsForWavesPerEU: 46
; NumVGPRsForWavesPerEU: 162
; Occupancy: 9
; WaveLimiterHint : 1
; COMPUTE_PGM_RSRC2:SCRATCH_EN: 1
; COMPUTE_PGM_RSRC2:USER_SGPR: 15
; COMPUTE_PGM_RSRC2:TRAP_HANDLER: 0
; COMPUTE_PGM_RSRC2:TGID_X_EN: 1
; COMPUTE_PGM_RSRC2:TGID_Y_EN: 0
; COMPUTE_PGM_RSRC2:TGID_Z_EN: 0
; COMPUTE_PGM_RSRC2:TIDIG_COMP_CNT: 0
	.section	.text._ZN7rocprim17ROCPRIM_400000_NS6detail17trampoline_kernelINS0_14default_configENS1_20scan_config_selectorIN3c104HalfEEEZZNS1_9scan_implILNS1_25lookback_scan_determinismE0ELb0ELb0ES3_PKS6_PS6_S6_ZZZN2at6native31launch_logcumsumexp_cuda_kernelERKNSD_10TensorBaseESH_lENKUlvE_clEvENKUlvE3_clEvEUlS6_S6_E_S6_EEDaPvRmT3_T4_T5_mT6_P12ihipStream_tbENKUlT_T0_E_clISt17integral_constantIbLb0EESX_IbLb1EEEEDaST_SU_EUlST_E_NS1_11comp_targetILNS1_3genE8ELNS1_11target_archE1030ELNS1_3gpuE2ELNS1_3repE0EEENS1_30default_config_static_selectorELNS0_4arch9wavefront6targetE0EEEvT1_,"axG",@progbits,_ZN7rocprim17ROCPRIM_400000_NS6detail17trampoline_kernelINS0_14default_configENS1_20scan_config_selectorIN3c104HalfEEEZZNS1_9scan_implILNS1_25lookback_scan_determinismE0ELb0ELb0ES3_PKS6_PS6_S6_ZZZN2at6native31launch_logcumsumexp_cuda_kernelERKNSD_10TensorBaseESH_lENKUlvE_clEvENKUlvE3_clEvEUlS6_S6_E_S6_EEDaPvRmT3_T4_T5_mT6_P12ihipStream_tbENKUlT_T0_E_clISt17integral_constantIbLb0EESX_IbLb1EEEEDaST_SU_EUlST_E_NS1_11comp_targetILNS1_3genE8ELNS1_11target_archE1030ELNS1_3gpuE2ELNS1_3repE0EEENS1_30default_config_static_selectorELNS0_4arch9wavefront6targetE0EEEvT1_,comdat
	.globl	_ZN7rocprim17ROCPRIM_400000_NS6detail17trampoline_kernelINS0_14default_configENS1_20scan_config_selectorIN3c104HalfEEEZZNS1_9scan_implILNS1_25lookback_scan_determinismE0ELb0ELb0ES3_PKS6_PS6_S6_ZZZN2at6native31launch_logcumsumexp_cuda_kernelERKNSD_10TensorBaseESH_lENKUlvE_clEvENKUlvE3_clEvEUlS6_S6_E_S6_EEDaPvRmT3_T4_T5_mT6_P12ihipStream_tbENKUlT_T0_E_clISt17integral_constantIbLb0EESX_IbLb1EEEEDaST_SU_EUlST_E_NS1_11comp_targetILNS1_3genE8ELNS1_11target_archE1030ELNS1_3gpuE2ELNS1_3repE0EEENS1_30default_config_static_selectorELNS0_4arch9wavefront6targetE0EEEvT1_ ; -- Begin function _ZN7rocprim17ROCPRIM_400000_NS6detail17trampoline_kernelINS0_14default_configENS1_20scan_config_selectorIN3c104HalfEEEZZNS1_9scan_implILNS1_25lookback_scan_determinismE0ELb0ELb0ES3_PKS6_PS6_S6_ZZZN2at6native31launch_logcumsumexp_cuda_kernelERKNSD_10TensorBaseESH_lENKUlvE_clEvENKUlvE3_clEvEUlS6_S6_E_S6_EEDaPvRmT3_T4_T5_mT6_P12ihipStream_tbENKUlT_T0_E_clISt17integral_constantIbLb0EESX_IbLb1EEEEDaST_SU_EUlST_E_NS1_11comp_targetILNS1_3genE8ELNS1_11target_archE1030ELNS1_3gpuE2ELNS1_3repE0EEENS1_30default_config_static_selectorELNS0_4arch9wavefront6targetE0EEEvT1_
	.p2align	8
	.type	_ZN7rocprim17ROCPRIM_400000_NS6detail17trampoline_kernelINS0_14default_configENS1_20scan_config_selectorIN3c104HalfEEEZZNS1_9scan_implILNS1_25lookback_scan_determinismE0ELb0ELb0ES3_PKS6_PS6_S6_ZZZN2at6native31launch_logcumsumexp_cuda_kernelERKNSD_10TensorBaseESH_lENKUlvE_clEvENKUlvE3_clEvEUlS6_S6_E_S6_EEDaPvRmT3_T4_T5_mT6_P12ihipStream_tbENKUlT_T0_E_clISt17integral_constantIbLb0EESX_IbLb1EEEEDaST_SU_EUlST_E_NS1_11comp_targetILNS1_3genE8ELNS1_11target_archE1030ELNS1_3gpuE2ELNS1_3repE0EEENS1_30default_config_static_selectorELNS0_4arch9wavefront6targetE0EEEvT1_,@function
_ZN7rocprim17ROCPRIM_400000_NS6detail17trampoline_kernelINS0_14default_configENS1_20scan_config_selectorIN3c104HalfEEEZZNS1_9scan_implILNS1_25lookback_scan_determinismE0ELb0ELb0ES3_PKS6_PS6_S6_ZZZN2at6native31launch_logcumsumexp_cuda_kernelERKNSD_10TensorBaseESH_lENKUlvE_clEvENKUlvE3_clEvEUlS6_S6_E_S6_EEDaPvRmT3_T4_T5_mT6_P12ihipStream_tbENKUlT_T0_E_clISt17integral_constantIbLb0EESX_IbLb1EEEEDaST_SU_EUlST_E_NS1_11comp_targetILNS1_3genE8ELNS1_11target_archE1030ELNS1_3gpuE2ELNS1_3repE0EEENS1_30default_config_static_selectorELNS0_4arch9wavefront6targetE0EEEvT1_: ; @_ZN7rocprim17ROCPRIM_400000_NS6detail17trampoline_kernelINS0_14default_configENS1_20scan_config_selectorIN3c104HalfEEEZZNS1_9scan_implILNS1_25lookback_scan_determinismE0ELb0ELb0ES3_PKS6_PS6_S6_ZZZN2at6native31launch_logcumsumexp_cuda_kernelERKNSD_10TensorBaseESH_lENKUlvE_clEvENKUlvE3_clEvEUlS6_S6_E_S6_EEDaPvRmT3_T4_T5_mT6_P12ihipStream_tbENKUlT_T0_E_clISt17integral_constantIbLb0EESX_IbLb1EEEEDaST_SU_EUlST_E_NS1_11comp_targetILNS1_3genE8ELNS1_11target_archE1030ELNS1_3gpuE2ELNS1_3repE0EEENS1_30default_config_static_selectorELNS0_4arch9wavefront6targetE0EEEvT1_
; %bb.0:
	.section	.rodata,"a",@progbits
	.p2align	6, 0x0
	.amdhsa_kernel _ZN7rocprim17ROCPRIM_400000_NS6detail17trampoline_kernelINS0_14default_configENS1_20scan_config_selectorIN3c104HalfEEEZZNS1_9scan_implILNS1_25lookback_scan_determinismE0ELb0ELb0ES3_PKS6_PS6_S6_ZZZN2at6native31launch_logcumsumexp_cuda_kernelERKNSD_10TensorBaseESH_lENKUlvE_clEvENKUlvE3_clEvEUlS6_S6_E_S6_EEDaPvRmT3_T4_T5_mT6_P12ihipStream_tbENKUlT_T0_E_clISt17integral_constantIbLb0EESX_IbLb1EEEEDaST_SU_EUlST_E_NS1_11comp_targetILNS1_3genE8ELNS1_11target_archE1030ELNS1_3gpuE2ELNS1_3repE0EEENS1_30default_config_static_selectorELNS0_4arch9wavefront6targetE0EEEvT1_
		.amdhsa_group_segment_fixed_size 0
		.amdhsa_private_segment_fixed_size 0
		.amdhsa_kernarg_size 96
		.amdhsa_user_sgpr_count 15
		.amdhsa_user_sgpr_dispatch_ptr 0
		.amdhsa_user_sgpr_queue_ptr 0
		.amdhsa_user_sgpr_kernarg_segment_ptr 1
		.amdhsa_user_sgpr_dispatch_id 0
		.amdhsa_user_sgpr_private_segment_size 0
		.amdhsa_wavefront_size32 1
		.amdhsa_uses_dynamic_stack 0
		.amdhsa_enable_private_segment 0
		.amdhsa_system_sgpr_workgroup_id_x 1
		.amdhsa_system_sgpr_workgroup_id_y 0
		.amdhsa_system_sgpr_workgroup_id_z 0
		.amdhsa_system_sgpr_workgroup_info 0
		.amdhsa_system_vgpr_workitem_id 0
		.amdhsa_next_free_vgpr 1
		.amdhsa_next_free_sgpr 1
		.amdhsa_reserve_vcc 0
		.amdhsa_float_round_mode_32 0
		.amdhsa_float_round_mode_16_64 0
		.amdhsa_float_denorm_mode_32 3
		.amdhsa_float_denorm_mode_16_64 3
		.amdhsa_dx10_clamp 1
		.amdhsa_ieee_mode 1
		.amdhsa_fp16_overflow 0
		.amdhsa_workgroup_processor_mode 1
		.amdhsa_memory_ordered 1
		.amdhsa_forward_progress 0
		.amdhsa_shared_vgpr_count 0
		.amdhsa_exception_fp_ieee_invalid_op 0
		.amdhsa_exception_fp_denorm_src 0
		.amdhsa_exception_fp_ieee_div_zero 0
		.amdhsa_exception_fp_ieee_overflow 0
		.amdhsa_exception_fp_ieee_underflow 0
		.amdhsa_exception_fp_ieee_inexact 0
		.amdhsa_exception_int_div_zero 0
	.end_amdhsa_kernel
	.section	.text._ZN7rocprim17ROCPRIM_400000_NS6detail17trampoline_kernelINS0_14default_configENS1_20scan_config_selectorIN3c104HalfEEEZZNS1_9scan_implILNS1_25lookback_scan_determinismE0ELb0ELb0ES3_PKS6_PS6_S6_ZZZN2at6native31launch_logcumsumexp_cuda_kernelERKNSD_10TensorBaseESH_lENKUlvE_clEvENKUlvE3_clEvEUlS6_S6_E_S6_EEDaPvRmT3_T4_T5_mT6_P12ihipStream_tbENKUlT_T0_E_clISt17integral_constantIbLb0EESX_IbLb1EEEEDaST_SU_EUlST_E_NS1_11comp_targetILNS1_3genE8ELNS1_11target_archE1030ELNS1_3gpuE2ELNS1_3repE0EEENS1_30default_config_static_selectorELNS0_4arch9wavefront6targetE0EEEvT1_,"axG",@progbits,_ZN7rocprim17ROCPRIM_400000_NS6detail17trampoline_kernelINS0_14default_configENS1_20scan_config_selectorIN3c104HalfEEEZZNS1_9scan_implILNS1_25lookback_scan_determinismE0ELb0ELb0ES3_PKS6_PS6_S6_ZZZN2at6native31launch_logcumsumexp_cuda_kernelERKNSD_10TensorBaseESH_lENKUlvE_clEvENKUlvE3_clEvEUlS6_S6_E_S6_EEDaPvRmT3_T4_T5_mT6_P12ihipStream_tbENKUlT_T0_E_clISt17integral_constantIbLb0EESX_IbLb1EEEEDaST_SU_EUlST_E_NS1_11comp_targetILNS1_3genE8ELNS1_11target_archE1030ELNS1_3gpuE2ELNS1_3repE0EEENS1_30default_config_static_selectorELNS0_4arch9wavefront6targetE0EEEvT1_,comdat
.Lfunc_end432:
	.size	_ZN7rocprim17ROCPRIM_400000_NS6detail17trampoline_kernelINS0_14default_configENS1_20scan_config_selectorIN3c104HalfEEEZZNS1_9scan_implILNS1_25lookback_scan_determinismE0ELb0ELb0ES3_PKS6_PS6_S6_ZZZN2at6native31launch_logcumsumexp_cuda_kernelERKNSD_10TensorBaseESH_lENKUlvE_clEvENKUlvE3_clEvEUlS6_S6_E_S6_EEDaPvRmT3_T4_T5_mT6_P12ihipStream_tbENKUlT_T0_E_clISt17integral_constantIbLb0EESX_IbLb1EEEEDaST_SU_EUlST_E_NS1_11comp_targetILNS1_3genE8ELNS1_11target_archE1030ELNS1_3gpuE2ELNS1_3repE0EEENS1_30default_config_static_selectorELNS0_4arch9wavefront6targetE0EEEvT1_, .Lfunc_end432-_ZN7rocprim17ROCPRIM_400000_NS6detail17trampoline_kernelINS0_14default_configENS1_20scan_config_selectorIN3c104HalfEEEZZNS1_9scan_implILNS1_25lookback_scan_determinismE0ELb0ELb0ES3_PKS6_PS6_S6_ZZZN2at6native31launch_logcumsumexp_cuda_kernelERKNSD_10TensorBaseESH_lENKUlvE_clEvENKUlvE3_clEvEUlS6_S6_E_S6_EEDaPvRmT3_T4_T5_mT6_P12ihipStream_tbENKUlT_T0_E_clISt17integral_constantIbLb0EESX_IbLb1EEEEDaST_SU_EUlST_E_NS1_11comp_targetILNS1_3genE8ELNS1_11target_archE1030ELNS1_3gpuE2ELNS1_3repE0EEENS1_30default_config_static_selectorELNS0_4arch9wavefront6targetE0EEEvT1_
                                        ; -- End function
	.section	.AMDGPU.csdata,"",@progbits
; Kernel info:
; codeLenInByte = 0
; NumSgprs: 0
; NumVgprs: 0
; ScratchSize: 0
; MemoryBound: 0
; FloatMode: 240
; IeeeMode: 1
; LDSByteSize: 0 bytes/workgroup (compile time only)
; SGPRBlocks: 0
; VGPRBlocks: 0
; NumSGPRsForWavesPerEU: 1
; NumVGPRsForWavesPerEU: 1
; Occupancy: 16
; WaveLimiterHint : 0
; COMPUTE_PGM_RSRC2:SCRATCH_EN: 0
; COMPUTE_PGM_RSRC2:USER_SGPR: 15
; COMPUTE_PGM_RSRC2:TRAP_HANDLER: 0
; COMPUTE_PGM_RSRC2:TGID_X_EN: 1
; COMPUTE_PGM_RSRC2:TGID_Y_EN: 0
; COMPUTE_PGM_RSRC2:TGID_Z_EN: 0
; COMPUTE_PGM_RSRC2:TIDIG_COMP_CNT: 0
	.section	.text._ZN7rocprim17ROCPRIM_400000_NS6detail17trampoline_kernelINS0_14default_configENS1_20scan_config_selectorIN3c104HalfEEEZZNS1_9scan_implILNS1_25lookback_scan_determinismE0ELb0ELb0ES3_PKS6_PS6_S6_ZZZN2at6native31launch_logcumsumexp_cuda_kernelERKNSD_10TensorBaseESH_lENKUlvE_clEvENKUlvE3_clEvEUlS6_S6_E_S6_EEDaPvRmT3_T4_T5_mT6_P12ihipStream_tbENKUlT_T0_E_clISt17integral_constantIbLb0EESX_IbLb1EEEEDaST_SU_EUlST_E0_NS1_11comp_targetILNS1_3genE0ELNS1_11target_archE4294967295ELNS1_3gpuE0ELNS1_3repE0EEENS1_30default_config_static_selectorELNS0_4arch9wavefront6targetE0EEEvT1_,"axG",@progbits,_ZN7rocprim17ROCPRIM_400000_NS6detail17trampoline_kernelINS0_14default_configENS1_20scan_config_selectorIN3c104HalfEEEZZNS1_9scan_implILNS1_25lookback_scan_determinismE0ELb0ELb0ES3_PKS6_PS6_S6_ZZZN2at6native31launch_logcumsumexp_cuda_kernelERKNSD_10TensorBaseESH_lENKUlvE_clEvENKUlvE3_clEvEUlS6_S6_E_S6_EEDaPvRmT3_T4_T5_mT6_P12ihipStream_tbENKUlT_T0_E_clISt17integral_constantIbLb0EESX_IbLb1EEEEDaST_SU_EUlST_E0_NS1_11comp_targetILNS1_3genE0ELNS1_11target_archE4294967295ELNS1_3gpuE0ELNS1_3repE0EEENS1_30default_config_static_selectorELNS0_4arch9wavefront6targetE0EEEvT1_,comdat
	.globl	_ZN7rocprim17ROCPRIM_400000_NS6detail17trampoline_kernelINS0_14default_configENS1_20scan_config_selectorIN3c104HalfEEEZZNS1_9scan_implILNS1_25lookback_scan_determinismE0ELb0ELb0ES3_PKS6_PS6_S6_ZZZN2at6native31launch_logcumsumexp_cuda_kernelERKNSD_10TensorBaseESH_lENKUlvE_clEvENKUlvE3_clEvEUlS6_S6_E_S6_EEDaPvRmT3_T4_T5_mT6_P12ihipStream_tbENKUlT_T0_E_clISt17integral_constantIbLb0EESX_IbLb1EEEEDaST_SU_EUlST_E0_NS1_11comp_targetILNS1_3genE0ELNS1_11target_archE4294967295ELNS1_3gpuE0ELNS1_3repE0EEENS1_30default_config_static_selectorELNS0_4arch9wavefront6targetE0EEEvT1_ ; -- Begin function _ZN7rocprim17ROCPRIM_400000_NS6detail17trampoline_kernelINS0_14default_configENS1_20scan_config_selectorIN3c104HalfEEEZZNS1_9scan_implILNS1_25lookback_scan_determinismE0ELb0ELb0ES3_PKS6_PS6_S6_ZZZN2at6native31launch_logcumsumexp_cuda_kernelERKNSD_10TensorBaseESH_lENKUlvE_clEvENKUlvE3_clEvEUlS6_S6_E_S6_EEDaPvRmT3_T4_T5_mT6_P12ihipStream_tbENKUlT_T0_E_clISt17integral_constantIbLb0EESX_IbLb1EEEEDaST_SU_EUlST_E0_NS1_11comp_targetILNS1_3genE0ELNS1_11target_archE4294967295ELNS1_3gpuE0ELNS1_3repE0EEENS1_30default_config_static_selectorELNS0_4arch9wavefront6targetE0EEEvT1_
	.p2align	8
	.type	_ZN7rocprim17ROCPRIM_400000_NS6detail17trampoline_kernelINS0_14default_configENS1_20scan_config_selectorIN3c104HalfEEEZZNS1_9scan_implILNS1_25lookback_scan_determinismE0ELb0ELb0ES3_PKS6_PS6_S6_ZZZN2at6native31launch_logcumsumexp_cuda_kernelERKNSD_10TensorBaseESH_lENKUlvE_clEvENKUlvE3_clEvEUlS6_S6_E_S6_EEDaPvRmT3_T4_T5_mT6_P12ihipStream_tbENKUlT_T0_E_clISt17integral_constantIbLb0EESX_IbLb1EEEEDaST_SU_EUlST_E0_NS1_11comp_targetILNS1_3genE0ELNS1_11target_archE4294967295ELNS1_3gpuE0ELNS1_3repE0EEENS1_30default_config_static_selectorELNS0_4arch9wavefront6targetE0EEEvT1_,@function
_ZN7rocprim17ROCPRIM_400000_NS6detail17trampoline_kernelINS0_14default_configENS1_20scan_config_selectorIN3c104HalfEEEZZNS1_9scan_implILNS1_25lookback_scan_determinismE0ELb0ELb0ES3_PKS6_PS6_S6_ZZZN2at6native31launch_logcumsumexp_cuda_kernelERKNSD_10TensorBaseESH_lENKUlvE_clEvENKUlvE3_clEvEUlS6_S6_E_S6_EEDaPvRmT3_T4_T5_mT6_P12ihipStream_tbENKUlT_T0_E_clISt17integral_constantIbLb0EESX_IbLb1EEEEDaST_SU_EUlST_E0_NS1_11comp_targetILNS1_3genE0ELNS1_11target_archE4294967295ELNS1_3gpuE0ELNS1_3repE0EEENS1_30default_config_static_selectorELNS0_4arch9wavefront6targetE0EEEvT1_: ; @_ZN7rocprim17ROCPRIM_400000_NS6detail17trampoline_kernelINS0_14default_configENS1_20scan_config_selectorIN3c104HalfEEEZZNS1_9scan_implILNS1_25lookback_scan_determinismE0ELb0ELb0ES3_PKS6_PS6_S6_ZZZN2at6native31launch_logcumsumexp_cuda_kernelERKNSD_10TensorBaseESH_lENKUlvE_clEvENKUlvE3_clEvEUlS6_S6_E_S6_EEDaPvRmT3_T4_T5_mT6_P12ihipStream_tbENKUlT_T0_E_clISt17integral_constantIbLb0EESX_IbLb1EEEEDaST_SU_EUlST_E0_NS1_11comp_targetILNS1_3genE0ELNS1_11target_archE4294967295ELNS1_3gpuE0ELNS1_3repE0EEENS1_30default_config_static_selectorELNS0_4arch9wavefront6targetE0EEEvT1_
; %bb.0:
	.section	.rodata,"a",@progbits
	.p2align	6, 0x0
	.amdhsa_kernel _ZN7rocprim17ROCPRIM_400000_NS6detail17trampoline_kernelINS0_14default_configENS1_20scan_config_selectorIN3c104HalfEEEZZNS1_9scan_implILNS1_25lookback_scan_determinismE0ELb0ELb0ES3_PKS6_PS6_S6_ZZZN2at6native31launch_logcumsumexp_cuda_kernelERKNSD_10TensorBaseESH_lENKUlvE_clEvENKUlvE3_clEvEUlS6_S6_E_S6_EEDaPvRmT3_T4_T5_mT6_P12ihipStream_tbENKUlT_T0_E_clISt17integral_constantIbLb0EESX_IbLb1EEEEDaST_SU_EUlST_E0_NS1_11comp_targetILNS1_3genE0ELNS1_11target_archE4294967295ELNS1_3gpuE0ELNS1_3repE0EEENS1_30default_config_static_selectorELNS0_4arch9wavefront6targetE0EEEvT1_
		.amdhsa_group_segment_fixed_size 0
		.amdhsa_private_segment_fixed_size 0
		.amdhsa_kernarg_size 32
		.amdhsa_user_sgpr_count 15
		.amdhsa_user_sgpr_dispatch_ptr 0
		.amdhsa_user_sgpr_queue_ptr 0
		.amdhsa_user_sgpr_kernarg_segment_ptr 1
		.amdhsa_user_sgpr_dispatch_id 0
		.amdhsa_user_sgpr_private_segment_size 0
		.amdhsa_wavefront_size32 1
		.amdhsa_uses_dynamic_stack 0
		.amdhsa_enable_private_segment 0
		.amdhsa_system_sgpr_workgroup_id_x 1
		.amdhsa_system_sgpr_workgroup_id_y 0
		.amdhsa_system_sgpr_workgroup_id_z 0
		.amdhsa_system_sgpr_workgroup_info 0
		.amdhsa_system_vgpr_workitem_id 0
		.amdhsa_next_free_vgpr 1
		.amdhsa_next_free_sgpr 1
		.amdhsa_reserve_vcc 0
		.amdhsa_float_round_mode_32 0
		.amdhsa_float_round_mode_16_64 0
		.amdhsa_float_denorm_mode_32 3
		.amdhsa_float_denorm_mode_16_64 3
		.amdhsa_dx10_clamp 1
		.amdhsa_ieee_mode 1
		.amdhsa_fp16_overflow 0
		.amdhsa_workgroup_processor_mode 1
		.amdhsa_memory_ordered 1
		.amdhsa_forward_progress 0
		.amdhsa_shared_vgpr_count 0
		.amdhsa_exception_fp_ieee_invalid_op 0
		.amdhsa_exception_fp_denorm_src 0
		.amdhsa_exception_fp_ieee_div_zero 0
		.amdhsa_exception_fp_ieee_overflow 0
		.amdhsa_exception_fp_ieee_underflow 0
		.amdhsa_exception_fp_ieee_inexact 0
		.amdhsa_exception_int_div_zero 0
	.end_amdhsa_kernel
	.section	.text._ZN7rocprim17ROCPRIM_400000_NS6detail17trampoline_kernelINS0_14default_configENS1_20scan_config_selectorIN3c104HalfEEEZZNS1_9scan_implILNS1_25lookback_scan_determinismE0ELb0ELb0ES3_PKS6_PS6_S6_ZZZN2at6native31launch_logcumsumexp_cuda_kernelERKNSD_10TensorBaseESH_lENKUlvE_clEvENKUlvE3_clEvEUlS6_S6_E_S6_EEDaPvRmT3_T4_T5_mT6_P12ihipStream_tbENKUlT_T0_E_clISt17integral_constantIbLb0EESX_IbLb1EEEEDaST_SU_EUlST_E0_NS1_11comp_targetILNS1_3genE0ELNS1_11target_archE4294967295ELNS1_3gpuE0ELNS1_3repE0EEENS1_30default_config_static_selectorELNS0_4arch9wavefront6targetE0EEEvT1_,"axG",@progbits,_ZN7rocprim17ROCPRIM_400000_NS6detail17trampoline_kernelINS0_14default_configENS1_20scan_config_selectorIN3c104HalfEEEZZNS1_9scan_implILNS1_25lookback_scan_determinismE0ELb0ELb0ES3_PKS6_PS6_S6_ZZZN2at6native31launch_logcumsumexp_cuda_kernelERKNSD_10TensorBaseESH_lENKUlvE_clEvENKUlvE3_clEvEUlS6_S6_E_S6_EEDaPvRmT3_T4_T5_mT6_P12ihipStream_tbENKUlT_T0_E_clISt17integral_constantIbLb0EESX_IbLb1EEEEDaST_SU_EUlST_E0_NS1_11comp_targetILNS1_3genE0ELNS1_11target_archE4294967295ELNS1_3gpuE0ELNS1_3repE0EEENS1_30default_config_static_selectorELNS0_4arch9wavefront6targetE0EEEvT1_,comdat
.Lfunc_end433:
	.size	_ZN7rocprim17ROCPRIM_400000_NS6detail17trampoline_kernelINS0_14default_configENS1_20scan_config_selectorIN3c104HalfEEEZZNS1_9scan_implILNS1_25lookback_scan_determinismE0ELb0ELb0ES3_PKS6_PS6_S6_ZZZN2at6native31launch_logcumsumexp_cuda_kernelERKNSD_10TensorBaseESH_lENKUlvE_clEvENKUlvE3_clEvEUlS6_S6_E_S6_EEDaPvRmT3_T4_T5_mT6_P12ihipStream_tbENKUlT_T0_E_clISt17integral_constantIbLb0EESX_IbLb1EEEEDaST_SU_EUlST_E0_NS1_11comp_targetILNS1_3genE0ELNS1_11target_archE4294967295ELNS1_3gpuE0ELNS1_3repE0EEENS1_30default_config_static_selectorELNS0_4arch9wavefront6targetE0EEEvT1_, .Lfunc_end433-_ZN7rocprim17ROCPRIM_400000_NS6detail17trampoline_kernelINS0_14default_configENS1_20scan_config_selectorIN3c104HalfEEEZZNS1_9scan_implILNS1_25lookback_scan_determinismE0ELb0ELb0ES3_PKS6_PS6_S6_ZZZN2at6native31launch_logcumsumexp_cuda_kernelERKNSD_10TensorBaseESH_lENKUlvE_clEvENKUlvE3_clEvEUlS6_S6_E_S6_EEDaPvRmT3_T4_T5_mT6_P12ihipStream_tbENKUlT_T0_E_clISt17integral_constantIbLb0EESX_IbLb1EEEEDaST_SU_EUlST_E0_NS1_11comp_targetILNS1_3genE0ELNS1_11target_archE4294967295ELNS1_3gpuE0ELNS1_3repE0EEENS1_30default_config_static_selectorELNS0_4arch9wavefront6targetE0EEEvT1_
                                        ; -- End function
	.section	.AMDGPU.csdata,"",@progbits
; Kernel info:
; codeLenInByte = 0
; NumSgprs: 0
; NumVgprs: 0
; ScratchSize: 0
; MemoryBound: 0
; FloatMode: 240
; IeeeMode: 1
; LDSByteSize: 0 bytes/workgroup (compile time only)
; SGPRBlocks: 0
; VGPRBlocks: 0
; NumSGPRsForWavesPerEU: 1
; NumVGPRsForWavesPerEU: 1
; Occupancy: 16
; WaveLimiterHint : 0
; COMPUTE_PGM_RSRC2:SCRATCH_EN: 0
; COMPUTE_PGM_RSRC2:USER_SGPR: 15
; COMPUTE_PGM_RSRC2:TRAP_HANDLER: 0
; COMPUTE_PGM_RSRC2:TGID_X_EN: 1
; COMPUTE_PGM_RSRC2:TGID_Y_EN: 0
; COMPUTE_PGM_RSRC2:TGID_Z_EN: 0
; COMPUTE_PGM_RSRC2:TIDIG_COMP_CNT: 0
	.section	.text._ZN7rocprim17ROCPRIM_400000_NS6detail17trampoline_kernelINS0_14default_configENS1_20scan_config_selectorIN3c104HalfEEEZZNS1_9scan_implILNS1_25lookback_scan_determinismE0ELb0ELb0ES3_PKS6_PS6_S6_ZZZN2at6native31launch_logcumsumexp_cuda_kernelERKNSD_10TensorBaseESH_lENKUlvE_clEvENKUlvE3_clEvEUlS6_S6_E_S6_EEDaPvRmT3_T4_T5_mT6_P12ihipStream_tbENKUlT_T0_E_clISt17integral_constantIbLb0EESX_IbLb1EEEEDaST_SU_EUlST_E0_NS1_11comp_targetILNS1_3genE5ELNS1_11target_archE942ELNS1_3gpuE9ELNS1_3repE0EEENS1_30default_config_static_selectorELNS0_4arch9wavefront6targetE0EEEvT1_,"axG",@progbits,_ZN7rocprim17ROCPRIM_400000_NS6detail17trampoline_kernelINS0_14default_configENS1_20scan_config_selectorIN3c104HalfEEEZZNS1_9scan_implILNS1_25lookback_scan_determinismE0ELb0ELb0ES3_PKS6_PS6_S6_ZZZN2at6native31launch_logcumsumexp_cuda_kernelERKNSD_10TensorBaseESH_lENKUlvE_clEvENKUlvE3_clEvEUlS6_S6_E_S6_EEDaPvRmT3_T4_T5_mT6_P12ihipStream_tbENKUlT_T0_E_clISt17integral_constantIbLb0EESX_IbLb1EEEEDaST_SU_EUlST_E0_NS1_11comp_targetILNS1_3genE5ELNS1_11target_archE942ELNS1_3gpuE9ELNS1_3repE0EEENS1_30default_config_static_selectorELNS0_4arch9wavefront6targetE0EEEvT1_,comdat
	.globl	_ZN7rocprim17ROCPRIM_400000_NS6detail17trampoline_kernelINS0_14default_configENS1_20scan_config_selectorIN3c104HalfEEEZZNS1_9scan_implILNS1_25lookback_scan_determinismE0ELb0ELb0ES3_PKS6_PS6_S6_ZZZN2at6native31launch_logcumsumexp_cuda_kernelERKNSD_10TensorBaseESH_lENKUlvE_clEvENKUlvE3_clEvEUlS6_S6_E_S6_EEDaPvRmT3_T4_T5_mT6_P12ihipStream_tbENKUlT_T0_E_clISt17integral_constantIbLb0EESX_IbLb1EEEEDaST_SU_EUlST_E0_NS1_11comp_targetILNS1_3genE5ELNS1_11target_archE942ELNS1_3gpuE9ELNS1_3repE0EEENS1_30default_config_static_selectorELNS0_4arch9wavefront6targetE0EEEvT1_ ; -- Begin function _ZN7rocprim17ROCPRIM_400000_NS6detail17trampoline_kernelINS0_14default_configENS1_20scan_config_selectorIN3c104HalfEEEZZNS1_9scan_implILNS1_25lookback_scan_determinismE0ELb0ELb0ES3_PKS6_PS6_S6_ZZZN2at6native31launch_logcumsumexp_cuda_kernelERKNSD_10TensorBaseESH_lENKUlvE_clEvENKUlvE3_clEvEUlS6_S6_E_S6_EEDaPvRmT3_T4_T5_mT6_P12ihipStream_tbENKUlT_T0_E_clISt17integral_constantIbLb0EESX_IbLb1EEEEDaST_SU_EUlST_E0_NS1_11comp_targetILNS1_3genE5ELNS1_11target_archE942ELNS1_3gpuE9ELNS1_3repE0EEENS1_30default_config_static_selectorELNS0_4arch9wavefront6targetE0EEEvT1_
	.p2align	8
	.type	_ZN7rocprim17ROCPRIM_400000_NS6detail17trampoline_kernelINS0_14default_configENS1_20scan_config_selectorIN3c104HalfEEEZZNS1_9scan_implILNS1_25lookback_scan_determinismE0ELb0ELb0ES3_PKS6_PS6_S6_ZZZN2at6native31launch_logcumsumexp_cuda_kernelERKNSD_10TensorBaseESH_lENKUlvE_clEvENKUlvE3_clEvEUlS6_S6_E_S6_EEDaPvRmT3_T4_T5_mT6_P12ihipStream_tbENKUlT_T0_E_clISt17integral_constantIbLb0EESX_IbLb1EEEEDaST_SU_EUlST_E0_NS1_11comp_targetILNS1_3genE5ELNS1_11target_archE942ELNS1_3gpuE9ELNS1_3repE0EEENS1_30default_config_static_selectorELNS0_4arch9wavefront6targetE0EEEvT1_,@function
_ZN7rocprim17ROCPRIM_400000_NS6detail17trampoline_kernelINS0_14default_configENS1_20scan_config_selectorIN3c104HalfEEEZZNS1_9scan_implILNS1_25lookback_scan_determinismE0ELb0ELb0ES3_PKS6_PS6_S6_ZZZN2at6native31launch_logcumsumexp_cuda_kernelERKNSD_10TensorBaseESH_lENKUlvE_clEvENKUlvE3_clEvEUlS6_S6_E_S6_EEDaPvRmT3_T4_T5_mT6_P12ihipStream_tbENKUlT_T0_E_clISt17integral_constantIbLb0EESX_IbLb1EEEEDaST_SU_EUlST_E0_NS1_11comp_targetILNS1_3genE5ELNS1_11target_archE942ELNS1_3gpuE9ELNS1_3repE0EEENS1_30default_config_static_selectorELNS0_4arch9wavefront6targetE0EEEvT1_: ; @_ZN7rocprim17ROCPRIM_400000_NS6detail17trampoline_kernelINS0_14default_configENS1_20scan_config_selectorIN3c104HalfEEEZZNS1_9scan_implILNS1_25lookback_scan_determinismE0ELb0ELb0ES3_PKS6_PS6_S6_ZZZN2at6native31launch_logcumsumexp_cuda_kernelERKNSD_10TensorBaseESH_lENKUlvE_clEvENKUlvE3_clEvEUlS6_S6_E_S6_EEDaPvRmT3_T4_T5_mT6_P12ihipStream_tbENKUlT_T0_E_clISt17integral_constantIbLb0EESX_IbLb1EEEEDaST_SU_EUlST_E0_NS1_11comp_targetILNS1_3genE5ELNS1_11target_archE942ELNS1_3gpuE9ELNS1_3repE0EEENS1_30default_config_static_selectorELNS0_4arch9wavefront6targetE0EEEvT1_
; %bb.0:
	.section	.rodata,"a",@progbits
	.p2align	6, 0x0
	.amdhsa_kernel _ZN7rocprim17ROCPRIM_400000_NS6detail17trampoline_kernelINS0_14default_configENS1_20scan_config_selectorIN3c104HalfEEEZZNS1_9scan_implILNS1_25lookback_scan_determinismE0ELb0ELb0ES3_PKS6_PS6_S6_ZZZN2at6native31launch_logcumsumexp_cuda_kernelERKNSD_10TensorBaseESH_lENKUlvE_clEvENKUlvE3_clEvEUlS6_S6_E_S6_EEDaPvRmT3_T4_T5_mT6_P12ihipStream_tbENKUlT_T0_E_clISt17integral_constantIbLb0EESX_IbLb1EEEEDaST_SU_EUlST_E0_NS1_11comp_targetILNS1_3genE5ELNS1_11target_archE942ELNS1_3gpuE9ELNS1_3repE0EEENS1_30default_config_static_selectorELNS0_4arch9wavefront6targetE0EEEvT1_
		.amdhsa_group_segment_fixed_size 0
		.amdhsa_private_segment_fixed_size 0
		.amdhsa_kernarg_size 32
		.amdhsa_user_sgpr_count 15
		.amdhsa_user_sgpr_dispatch_ptr 0
		.amdhsa_user_sgpr_queue_ptr 0
		.amdhsa_user_sgpr_kernarg_segment_ptr 1
		.amdhsa_user_sgpr_dispatch_id 0
		.amdhsa_user_sgpr_private_segment_size 0
		.amdhsa_wavefront_size32 1
		.amdhsa_uses_dynamic_stack 0
		.amdhsa_enable_private_segment 0
		.amdhsa_system_sgpr_workgroup_id_x 1
		.amdhsa_system_sgpr_workgroup_id_y 0
		.amdhsa_system_sgpr_workgroup_id_z 0
		.amdhsa_system_sgpr_workgroup_info 0
		.amdhsa_system_vgpr_workitem_id 0
		.amdhsa_next_free_vgpr 1
		.amdhsa_next_free_sgpr 1
		.amdhsa_reserve_vcc 0
		.amdhsa_float_round_mode_32 0
		.amdhsa_float_round_mode_16_64 0
		.amdhsa_float_denorm_mode_32 3
		.amdhsa_float_denorm_mode_16_64 3
		.amdhsa_dx10_clamp 1
		.amdhsa_ieee_mode 1
		.amdhsa_fp16_overflow 0
		.amdhsa_workgroup_processor_mode 1
		.amdhsa_memory_ordered 1
		.amdhsa_forward_progress 0
		.amdhsa_shared_vgpr_count 0
		.amdhsa_exception_fp_ieee_invalid_op 0
		.amdhsa_exception_fp_denorm_src 0
		.amdhsa_exception_fp_ieee_div_zero 0
		.amdhsa_exception_fp_ieee_overflow 0
		.amdhsa_exception_fp_ieee_underflow 0
		.amdhsa_exception_fp_ieee_inexact 0
		.amdhsa_exception_int_div_zero 0
	.end_amdhsa_kernel
	.section	.text._ZN7rocprim17ROCPRIM_400000_NS6detail17trampoline_kernelINS0_14default_configENS1_20scan_config_selectorIN3c104HalfEEEZZNS1_9scan_implILNS1_25lookback_scan_determinismE0ELb0ELb0ES3_PKS6_PS6_S6_ZZZN2at6native31launch_logcumsumexp_cuda_kernelERKNSD_10TensorBaseESH_lENKUlvE_clEvENKUlvE3_clEvEUlS6_S6_E_S6_EEDaPvRmT3_T4_T5_mT6_P12ihipStream_tbENKUlT_T0_E_clISt17integral_constantIbLb0EESX_IbLb1EEEEDaST_SU_EUlST_E0_NS1_11comp_targetILNS1_3genE5ELNS1_11target_archE942ELNS1_3gpuE9ELNS1_3repE0EEENS1_30default_config_static_selectorELNS0_4arch9wavefront6targetE0EEEvT1_,"axG",@progbits,_ZN7rocprim17ROCPRIM_400000_NS6detail17trampoline_kernelINS0_14default_configENS1_20scan_config_selectorIN3c104HalfEEEZZNS1_9scan_implILNS1_25lookback_scan_determinismE0ELb0ELb0ES3_PKS6_PS6_S6_ZZZN2at6native31launch_logcumsumexp_cuda_kernelERKNSD_10TensorBaseESH_lENKUlvE_clEvENKUlvE3_clEvEUlS6_S6_E_S6_EEDaPvRmT3_T4_T5_mT6_P12ihipStream_tbENKUlT_T0_E_clISt17integral_constantIbLb0EESX_IbLb1EEEEDaST_SU_EUlST_E0_NS1_11comp_targetILNS1_3genE5ELNS1_11target_archE942ELNS1_3gpuE9ELNS1_3repE0EEENS1_30default_config_static_selectorELNS0_4arch9wavefront6targetE0EEEvT1_,comdat
.Lfunc_end434:
	.size	_ZN7rocprim17ROCPRIM_400000_NS6detail17trampoline_kernelINS0_14default_configENS1_20scan_config_selectorIN3c104HalfEEEZZNS1_9scan_implILNS1_25lookback_scan_determinismE0ELb0ELb0ES3_PKS6_PS6_S6_ZZZN2at6native31launch_logcumsumexp_cuda_kernelERKNSD_10TensorBaseESH_lENKUlvE_clEvENKUlvE3_clEvEUlS6_S6_E_S6_EEDaPvRmT3_T4_T5_mT6_P12ihipStream_tbENKUlT_T0_E_clISt17integral_constantIbLb0EESX_IbLb1EEEEDaST_SU_EUlST_E0_NS1_11comp_targetILNS1_3genE5ELNS1_11target_archE942ELNS1_3gpuE9ELNS1_3repE0EEENS1_30default_config_static_selectorELNS0_4arch9wavefront6targetE0EEEvT1_, .Lfunc_end434-_ZN7rocprim17ROCPRIM_400000_NS6detail17trampoline_kernelINS0_14default_configENS1_20scan_config_selectorIN3c104HalfEEEZZNS1_9scan_implILNS1_25lookback_scan_determinismE0ELb0ELb0ES3_PKS6_PS6_S6_ZZZN2at6native31launch_logcumsumexp_cuda_kernelERKNSD_10TensorBaseESH_lENKUlvE_clEvENKUlvE3_clEvEUlS6_S6_E_S6_EEDaPvRmT3_T4_T5_mT6_P12ihipStream_tbENKUlT_T0_E_clISt17integral_constantIbLb0EESX_IbLb1EEEEDaST_SU_EUlST_E0_NS1_11comp_targetILNS1_3genE5ELNS1_11target_archE942ELNS1_3gpuE9ELNS1_3repE0EEENS1_30default_config_static_selectorELNS0_4arch9wavefront6targetE0EEEvT1_
                                        ; -- End function
	.section	.AMDGPU.csdata,"",@progbits
; Kernel info:
; codeLenInByte = 0
; NumSgprs: 0
; NumVgprs: 0
; ScratchSize: 0
; MemoryBound: 0
; FloatMode: 240
; IeeeMode: 1
; LDSByteSize: 0 bytes/workgroup (compile time only)
; SGPRBlocks: 0
; VGPRBlocks: 0
; NumSGPRsForWavesPerEU: 1
; NumVGPRsForWavesPerEU: 1
; Occupancy: 16
; WaveLimiterHint : 0
; COMPUTE_PGM_RSRC2:SCRATCH_EN: 0
; COMPUTE_PGM_RSRC2:USER_SGPR: 15
; COMPUTE_PGM_RSRC2:TRAP_HANDLER: 0
; COMPUTE_PGM_RSRC2:TGID_X_EN: 1
; COMPUTE_PGM_RSRC2:TGID_Y_EN: 0
; COMPUTE_PGM_RSRC2:TGID_Z_EN: 0
; COMPUTE_PGM_RSRC2:TIDIG_COMP_CNT: 0
	.section	.text._ZN7rocprim17ROCPRIM_400000_NS6detail17trampoline_kernelINS0_14default_configENS1_20scan_config_selectorIN3c104HalfEEEZZNS1_9scan_implILNS1_25lookback_scan_determinismE0ELb0ELb0ES3_PKS6_PS6_S6_ZZZN2at6native31launch_logcumsumexp_cuda_kernelERKNSD_10TensorBaseESH_lENKUlvE_clEvENKUlvE3_clEvEUlS6_S6_E_S6_EEDaPvRmT3_T4_T5_mT6_P12ihipStream_tbENKUlT_T0_E_clISt17integral_constantIbLb0EESX_IbLb1EEEEDaST_SU_EUlST_E0_NS1_11comp_targetILNS1_3genE4ELNS1_11target_archE910ELNS1_3gpuE8ELNS1_3repE0EEENS1_30default_config_static_selectorELNS0_4arch9wavefront6targetE0EEEvT1_,"axG",@progbits,_ZN7rocprim17ROCPRIM_400000_NS6detail17trampoline_kernelINS0_14default_configENS1_20scan_config_selectorIN3c104HalfEEEZZNS1_9scan_implILNS1_25lookback_scan_determinismE0ELb0ELb0ES3_PKS6_PS6_S6_ZZZN2at6native31launch_logcumsumexp_cuda_kernelERKNSD_10TensorBaseESH_lENKUlvE_clEvENKUlvE3_clEvEUlS6_S6_E_S6_EEDaPvRmT3_T4_T5_mT6_P12ihipStream_tbENKUlT_T0_E_clISt17integral_constantIbLb0EESX_IbLb1EEEEDaST_SU_EUlST_E0_NS1_11comp_targetILNS1_3genE4ELNS1_11target_archE910ELNS1_3gpuE8ELNS1_3repE0EEENS1_30default_config_static_selectorELNS0_4arch9wavefront6targetE0EEEvT1_,comdat
	.globl	_ZN7rocprim17ROCPRIM_400000_NS6detail17trampoline_kernelINS0_14default_configENS1_20scan_config_selectorIN3c104HalfEEEZZNS1_9scan_implILNS1_25lookback_scan_determinismE0ELb0ELb0ES3_PKS6_PS6_S6_ZZZN2at6native31launch_logcumsumexp_cuda_kernelERKNSD_10TensorBaseESH_lENKUlvE_clEvENKUlvE3_clEvEUlS6_S6_E_S6_EEDaPvRmT3_T4_T5_mT6_P12ihipStream_tbENKUlT_T0_E_clISt17integral_constantIbLb0EESX_IbLb1EEEEDaST_SU_EUlST_E0_NS1_11comp_targetILNS1_3genE4ELNS1_11target_archE910ELNS1_3gpuE8ELNS1_3repE0EEENS1_30default_config_static_selectorELNS0_4arch9wavefront6targetE0EEEvT1_ ; -- Begin function _ZN7rocprim17ROCPRIM_400000_NS6detail17trampoline_kernelINS0_14default_configENS1_20scan_config_selectorIN3c104HalfEEEZZNS1_9scan_implILNS1_25lookback_scan_determinismE0ELb0ELb0ES3_PKS6_PS6_S6_ZZZN2at6native31launch_logcumsumexp_cuda_kernelERKNSD_10TensorBaseESH_lENKUlvE_clEvENKUlvE3_clEvEUlS6_S6_E_S6_EEDaPvRmT3_T4_T5_mT6_P12ihipStream_tbENKUlT_T0_E_clISt17integral_constantIbLb0EESX_IbLb1EEEEDaST_SU_EUlST_E0_NS1_11comp_targetILNS1_3genE4ELNS1_11target_archE910ELNS1_3gpuE8ELNS1_3repE0EEENS1_30default_config_static_selectorELNS0_4arch9wavefront6targetE0EEEvT1_
	.p2align	8
	.type	_ZN7rocprim17ROCPRIM_400000_NS6detail17trampoline_kernelINS0_14default_configENS1_20scan_config_selectorIN3c104HalfEEEZZNS1_9scan_implILNS1_25lookback_scan_determinismE0ELb0ELb0ES3_PKS6_PS6_S6_ZZZN2at6native31launch_logcumsumexp_cuda_kernelERKNSD_10TensorBaseESH_lENKUlvE_clEvENKUlvE3_clEvEUlS6_S6_E_S6_EEDaPvRmT3_T4_T5_mT6_P12ihipStream_tbENKUlT_T0_E_clISt17integral_constantIbLb0EESX_IbLb1EEEEDaST_SU_EUlST_E0_NS1_11comp_targetILNS1_3genE4ELNS1_11target_archE910ELNS1_3gpuE8ELNS1_3repE0EEENS1_30default_config_static_selectorELNS0_4arch9wavefront6targetE0EEEvT1_,@function
_ZN7rocprim17ROCPRIM_400000_NS6detail17trampoline_kernelINS0_14default_configENS1_20scan_config_selectorIN3c104HalfEEEZZNS1_9scan_implILNS1_25lookback_scan_determinismE0ELb0ELb0ES3_PKS6_PS6_S6_ZZZN2at6native31launch_logcumsumexp_cuda_kernelERKNSD_10TensorBaseESH_lENKUlvE_clEvENKUlvE3_clEvEUlS6_S6_E_S6_EEDaPvRmT3_T4_T5_mT6_P12ihipStream_tbENKUlT_T0_E_clISt17integral_constantIbLb0EESX_IbLb1EEEEDaST_SU_EUlST_E0_NS1_11comp_targetILNS1_3genE4ELNS1_11target_archE910ELNS1_3gpuE8ELNS1_3repE0EEENS1_30default_config_static_selectorELNS0_4arch9wavefront6targetE0EEEvT1_: ; @_ZN7rocprim17ROCPRIM_400000_NS6detail17trampoline_kernelINS0_14default_configENS1_20scan_config_selectorIN3c104HalfEEEZZNS1_9scan_implILNS1_25lookback_scan_determinismE0ELb0ELb0ES3_PKS6_PS6_S6_ZZZN2at6native31launch_logcumsumexp_cuda_kernelERKNSD_10TensorBaseESH_lENKUlvE_clEvENKUlvE3_clEvEUlS6_S6_E_S6_EEDaPvRmT3_T4_T5_mT6_P12ihipStream_tbENKUlT_T0_E_clISt17integral_constantIbLb0EESX_IbLb1EEEEDaST_SU_EUlST_E0_NS1_11comp_targetILNS1_3genE4ELNS1_11target_archE910ELNS1_3gpuE8ELNS1_3repE0EEENS1_30default_config_static_selectorELNS0_4arch9wavefront6targetE0EEEvT1_
; %bb.0:
	.section	.rodata,"a",@progbits
	.p2align	6, 0x0
	.amdhsa_kernel _ZN7rocprim17ROCPRIM_400000_NS6detail17trampoline_kernelINS0_14default_configENS1_20scan_config_selectorIN3c104HalfEEEZZNS1_9scan_implILNS1_25lookback_scan_determinismE0ELb0ELb0ES3_PKS6_PS6_S6_ZZZN2at6native31launch_logcumsumexp_cuda_kernelERKNSD_10TensorBaseESH_lENKUlvE_clEvENKUlvE3_clEvEUlS6_S6_E_S6_EEDaPvRmT3_T4_T5_mT6_P12ihipStream_tbENKUlT_T0_E_clISt17integral_constantIbLb0EESX_IbLb1EEEEDaST_SU_EUlST_E0_NS1_11comp_targetILNS1_3genE4ELNS1_11target_archE910ELNS1_3gpuE8ELNS1_3repE0EEENS1_30default_config_static_selectorELNS0_4arch9wavefront6targetE0EEEvT1_
		.amdhsa_group_segment_fixed_size 0
		.amdhsa_private_segment_fixed_size 0
		.amdhsa_kernarg_size 32
		.amdhsa_user_sgpr_count 15
		.amdhsa_user_sgpr_dispatch_ptr 0
		.amdhsa_user_sgpr_queue_ptr 0
		.amdhsa_user_sgpr_kernarg_segment_ptr 1
		.amdhsa_user_sgpr_dispatch_id 0
		.amdhsa_user_sgpr_private_segment_size 0
		.amdhsa_wavefront_size32 1
		.amdhsa_uses_dynamic_stack 0
		.amdhsa_enable_private_segment 0
		.amdhsa_system_sgpr_workgroup_id_x 1
		.amdhsa_system_sgpr_workgroup_id_y 0
		.amdhsa_system_sgpr_workgroup_id_z 0
		.amdhsa_system_sgpr_workgroup_info 0
		.amdhsa_system_vgpr_workitem_id 0
		.amdhsa_next_free_vgpr 1
		.amdhsa_next_free_sgpr 1
		.amdhsa_reserve_vcc 0
		.amdhsa_float_round_mode_32 0
		.amdhsa_float_round_mode_16_64 0
		.amdhsa_float_denorm_mode_32 3
		.amdhsa_float_denorm_mode_16_64 3
		.amdhsa_dx10_clamp 1
		.amdhsa_ieee_mode 1
		.amdhsa_fp16_overflow 0
		.amdhsa_workgroup_processor_mode 1
		.amdhsa_memory_ordered 1
		.amdhsa_forward_progress 0
		.amdhsa_shared_vgpr_count 0
		.amdhsa_exception_fp_ieee_invalid_op 0
		.amdhsa_exception_fp_denorm_src 0
		.amdhsa_exception_fp_ieee_div_zero 0
		.amdhsa_exception_fp_ieee_overflow 0
		.amdhsa_exception_fp_ieee_underflow 0
		.amdhsa_exception_fp_ieee_inexact 0
		.amdhsa_exception_int_div_zero 0
	.end_amdhsa_kernel
	.section	.text._ZN7rocprim17ROCPRIM_400000_NS6detail17trampoline_kernelINS0_14default_configENS1_20scan_config_selectorIN3c104HalfEEEZZNS1_9scan_implILNS1_25lookback_scan_determinismE0ELb0ELb0ES3_PKS6_PS6_S6_ZZZN2at6native31launch_logcumsumexp_cuda_kernelERKNSD_10TensorBaseESH_lENKUlvE_clEvENKUlvE3_clEvEUlS6_S6_E_S6_EEDaPvRmT3_T4_T5_mT6_P12ihipStream_tbENKUlT_T0_E_clISt17integral_constantIbLb0EESX_IbLb1EEEEDaST_SU_EUlST_E0_NS1_11comp_targetILNS1_3genE4ELNS1_11target_archE910ELNS1_3gpuE8ELNS1_3repE0EEENS1_30default_config_static_selectorELNS0_4arch9wavefront6targetE0EEEvT1_,"axG",@progbits,_ZN7rocprim17ROCPRIM_400000_NS6detail17trampoline_kernelINS0_14default_configENS1_20scan_config_selectorIN3c104HalfEEEZZNS1_9scan_implILNS1_25lookback_scan_determinismE0ELb0ELb0ES3_PKS6_PS6_S6_ZZZN2at6native31launch_logcumsumexp_cuda_kernelERKNSD_10TensorBaseESH_lENKUlvE_clEvENKUlvE3_clEvEUlS6_S6_E_S6_EEDaPvRmT3_T4_T5_mT6_P12ihipStream_tbENKUlT_T0_E_clISt17integral_constantIbLb0EESX_IbLb1EEEEDaST_SU_EUlST_E0_NS1_11comp_targetILNS1_3genE4ELNS1_11target_archE910ELNS1_3gpuE8ELNS1_3repE0EEENS1_30default_config_static_selectorELNS0_4arch9wavefront6targetE0EEEvT1_,comdat
.Lfunc_end435:
	.size	_ZN7rocprim17ROCPRIM_400000_NS6detail17trampoline_kernelINS0_14default_configENS1_20scan_config_selectorIN3c104HalfEEEZZNS1_9scan_implILNS1_25lookback_scan_determinismE0ELb0ELb0ES3_PKS6_PS6_S6_ZZZN2at6native31launch_logcumsumexp_cuda_kernelERKNSD_10TensorBaseESH_lENKUlvE_clEvENKUlvE3_clEvEUlS6_S6_E_S6_EEDaPvRmT3_T4_T5_mT6_P12ihipStream_tbENKUlT_T0_E_clISt17integral_constantIbLb0EESX_IbLb1EEEEDaST_SU_EUlST_E0_NS1_11comp_targetILNS1_3genE4ELNS1_11target_archE910ELNS1_3gpuE8ELNS1_3repE0EEENS1_30default_config_static_selectorELNS0_4arch9wavefront6targetE0EEEvT1_, .Lfunc_end435-_ZN7rocprim17ROCPRIM_400000_NS6detail17trampoline_kernelINS0_14default_configENS1_20scan_config_selectorIN3c104HalfEEEZZNS1_9scan_implILNS1_25lookback_scan_determinismE0ELb0ELb0ES3_PKS6_PS6_S6_ZZZN2at6native31launch_logcumsumexp_cuda_kernelERKNSD_10TensorBaseESH_lENKUlvE_clEvENKUlvE3_clEvEUlS6_S6_E_S6_EEDaPvRmT3_T4_T5_mT6_P12ihipStream_tbENKUlT_T0_E_clISt17integral_constantIbLb0EESX_IbLb1EEEEDaST_SU_EUlST_E0_NS1_11comp_targetILNS1_3genE4ELNS1_11target_archE910ELNS1_3gpuE8ELNS1_3repE0EEENS1_30default_config_static_selectorELNS0_4arch9wavefront6targetE0EEEvT1_
                                        ; -- End function
	.section	.AMDGPU.csdata,"",@progbits
; Kernel info:
; codeLenInByte = 0
; NumSgprs: 0
; NumVgprs: 0
; ScratchSize: 0
; MemoryBound: 0
; FloatMode: 240
; IeeeMode: 1
; LDSByteSize: 0 bytes/workgroup (compile time only)
; SGPRBlocks: 0
; VGPRBlocks: 0
; NumSGPRsForWavesPerEU: 1
; NumVGPRsForWavesPerEU: 1
; Occupancy: 16
; WaveLimiterHint : 0
; COMPUTE_PGM_RSRC2:SCRATCH_EN: 0
; COMPUTE_PGM_RSRC2:USER_SGPR: 15
; COMPUTE_PGM_RSRC2:TRAP_HANDLER: 0
; COMPUTE_PGM_RSRC2:TGID_X_EN: 1
; COMPUTE_PGM_RSRC2:TGID_Y_EN: 0
; COMPUTE_PGM_RSRC2:TGID_Z_EN: 0
; COMPUTE_PGM_RSRC2:TIDIG_COMP_CNT: 0
	.section	.text._ZN7rocprim17ROCPRIM_400000_NS6detail17trampoline_kernelINS0_14default_configENS1_20scan_config_selectorIN3c104HalfEEEZZNS1_9scan_implILNS1_25lookback_scan_determinismE0ELb0ELb0ES3_PKS6_PS6_S6_ZZZN2at6native31launch_logcumsumexp_cuda_kernelERKNSD_10TensorBaseESH_lENKUlvE_clEvENKUlvE3_clEvEUlS6_S6_E_S6_EEDaPvRmT3_T4_T5_mT6_P12ihipStream_tbENKUlT_T0_E_clISt17integral_constantIbLb0EESX_IbLb1EEEEDaST_SU_EUlST_E0_NS1_11comp_targetILNS1_3genE3ELNS1_11target_archE908ELNS1_3gpuE7ELNS1_3repE0EEENS1_30default_config_static_selectorELNS0_4arch9wavefront6targetE0EEEvT1_,"axG",@progbits,_ZN7rocprim17ROCPRIM_400000_NS6detail17trampoline_kernelINS0_14default_configENS1_20scan_config_selectorIN3c104HalfEEEZZNS1_9scan_implILNS1_25lookback_scan_determinismE0ELb0ELb0ES3_PKS6_PS6_S6_ZZZN2at6native31launch_logcumsumexp_cuda_kernelERKNSD_10TensorBaseESH_lENKUlvE_clEvENKUlvE3_clEvEUlS6_S6_E_S6_EEDaPvRmT3_T4_T5_mT6_P12ihipStream_tbENKUlT_T0_E_clISt17integral_constantIbLb0EESX_IbLb1EEEEDaST_SU_EUlST_E0_NS1_11comp_targetILNS1_3genE3ELNS1_11target_archE908ELNS1_3gpuE7ELNS1_3repE0EEENS1_30default_config_static_selectorELNS0_4arch9wavefront6targetE0EEEvT1_,comdat
	.globl	_ZN7rocprim17ROCPRIM_400000_NS6detail17trampoline_kernelINS0_14default_configENS1_20scan_config_selectorIN3c104HalfEEEZZNS1_9scan_implILNS1_25lookback_scan_determinismE0ELb0ELb0ES3_PKS6_PS6_S6_ZZZN2at6native31launch_logcumsumexp_cuda_kernelERKNSD_10TensorBaseESH_lENKUlvE_clEvENKUlvE3_clEvEUlS6_S6_E_S6_EEDaPvRmT3_T4_T5_mT6_P12ihipStream_tbENKUlT_T0_E_clISt17integral_constantIbLb0EESX_IbLb1EEEEDaST_SU_EUlST_E0_NS1_11comp_targetILNS1_3genE3ELNS1_11target_archE908ELNS1_3gpuE7ELNS1_3repE0EEENS1_30default_config_static_selectorELNS0_4arch9wavefront6targetE0EEEvT1_ ; -- Begin function _ZN7rocprim17ROCPRIM_400000_NS6detail17trampoline_kernelINS0_14default_configENS1_20scan_config_selectorIN3c104HalfEEEZZNS1_9scan_implILNS1_25lookback_scan_determinismE0ELb0ELb0ES3_PKS6_PS6_S6_ZZZN2at6native31launch_logcumsumexp_cuda_kernelERKNSD_10TensorBaseESH_lENKUlvE_clEvENKUlvE3_clEvEUlS6_S6_E_S6_EEDaPvRmT3_T4_T5_mT6_P12ihipStream_tbENKUlT_T0_E_clISt17integral_constantIbLb0EESX_IbLb1EEEEDaST_SU_EUlST_E0_NS1_11comp_targetILNS1_3genE3ELNS1_11target_archE908ELNS1_3gpuE7ELNS1_3repE0EEENS1_30default_config_static_selectorELNS0_4arch9wavefront6targetE0EEEvT1_
	.p2align	8
	.type	_ZN7rocprim17ROCPRIM_400000_NS6detail17trampoline_kernelINS0_14default_configENS1_20scan_config_selectorIN3c104HalfEEEZZNS1_9scan_implILNS1_25lookback_scan_determinismE0ELb0ELb0ES3_PKS6_PS6_S6_ZZZN2at6native31launch_logcumsumexp_cuda_kernelERKNSD_10TensorBaseESH_lENKUlvE_clEvENKUlvE3_clEvEUlS6_S6_E_S6_EEDaPvRmT3_T4_T5_mT6_P12ihipStream_tbENKUlT_T0_E_clISt17integral_constantIbLb0EESX_IbLb1EEEEDaST_SU_EUlST_E0_NS1_11comp_targetILNS1_3genE3ELNS1_11target_archE908ELNS1_3gpuE7ELNS1_3repE0EEENS1_30default_config_static_selectorELNS0_4arch9wavefront6targetE0EEEvT1_,@function
_ZN7rocprim17ROCPRIM_400000_NS6detail17trampoline_kernelINS0_14default_configENS1_20scan_config_selectorIN3c104HalfEEEZZNS1_9scan_implILNS1_25lookback_scan_determinismE0ELb0ELb0ES3_PKS6_PS6_S6_ZZZN2at6native31launch_logcumsumexp_cuda_kernelERKNSD_10TensorBaseESH_lENKUlvE_clEvENKUlvE3_clEvEUlS6_S6_E_S6_EEDaPvRmT3_T4_T5_mT6_P12ihipStream_tbENKUlT_T0_E_clISt17integral_constantIbLb0EESX_IbLb1EEEEDaST_SU_EUlST_E0_NS1_11comp_targetILNS1_3genE3ELNS1_11target_archE908ELNS1_3gpuE7ELNS1_3repE0EEENS1_30default_config_static_selectorELNS0_4arch9wavefront6targetE0EEEvT1_: ; @_ZN7rocprim17ROCPRIM_400000_NS6detail17trampoline_kernelINS0_14default_configENS1_20scan_config_selectorIN3c104HalfEEEZZNS1_9scan_implILNS1_25lookback_scan_determinismE0ELb0ELb0ES3_PKS6_PS6_S6_ZZZN2at6native31launch_logcumsumexp_cuda_kernelERKNSD_10TensorBaseESH_lENKUlvE_clEvENKUlvE3_clEvEUlS6_S6_E_S6_EEDaPvRmT3_T4_T5_mT6_P12ihipStream_tbENKUlT_T0_E_clISt17integral_constantIbLb0EESX_IbLb1EEEEDaST_SU_EUlST_E0_NS1_11comp_targetILNS1_3genE3ELNS1_11target_archE908ELNS1_3gpuE7ELNS1_3repE0EEENS1_30default_config_static_selectorELNS0_4arch9wavefront6targetE0EEEvT1_
; %bb.0:
	.section	.rodata,"a",@progbits
	.p2align	6, 0x0
	.amdhsa_kernel _ZN7rocprim17ROCPRIM_400000_NS6detail17trampoline_kernelINS0_14default_configENS1_20scan_config_selectorIN3c104HalfEEEZZNS1_9scan_implILNS1_25lookback_scan_determinismE0ELb0ELb0ES3_PKS6_PS6_S6_ZZZN2at6native31launch_logcumsumexp_cuda_kernelERKNSD_10TensorBaseESH_lENKUlvE_clEvENKUlvE3_clEvEUlS6_S6_E_S6_EEDaPvRmT3_T4_T5_mT6_P12ihipStream_tbENKUlT_T0_E_clISt17integral_constantIbLb0EESX_IbLb1EEEEDaST_SU_EUlST_E0_NS1_11comp_targetILNS1_3genE3ELNS1_11target_archE908ELNS1_3gpuE7ELNS1_3repE0EEENS1_30default_config_static_selectorELNS0_4arch9wavefront6targetE0EEEvT1_
		.amdhsa_group_segment_fixed_size 0
		.amdhsa_private_segment_fixed_size 0
		.amdhsa_kernarg_size 32
		.amdhsa_user_sgpr_count 15
		.amdhsa_user_sgpr_dispatch_ptr 0
		.amdhsa_user_sgpr_queue_ptr 0
		.amdhsa_user_sgpr_kernarg_segment_ptr 1
		.amdhsa_user_sgpr_dispatch_id 0
		.amdhsa_user_sgpr_private_segment_size 0
		.amdhsa_wavefront_size32 1
		.amdhsa_uses_dynamic_stack 0
		.amdhsa_enable_private_segment 0
		.amdhsa_system_sgpr_workgroup_id_x 1
		.amdhsa_system_sgpr_workgroup_id_y 0
		.amdhsa_system_sgpr_workgroup_id_z 0
		.amdhsa_system_sgpr_workgroup_info 0
		.amdhsa_system_vgpr_workitem_id 0
		.amdhsa_next_free_vgpr 1
		.amdhsa_next_free_sgpr 1
		.amdhsa_reserve_vcc 0
		.amdhsa_float_round_mode_32 0
		.amdhsa_float_round_mode_16_64 0
		.amdhsa_float_denorm_mode_32 3
		.amdhsa_float_denorm_mode_16_64 3
		.amdhsa_dx10_clamp 1
		.amdhsa_ieee_mode 1
		.amdhsa_fp16_overflow 0
		.amdhsa_workgroup_processor_mode 1
		.amdhsa_memory_ordered 1
		.amdhsa_forward_progress 0
		.amdhsa_shared_vgpr_count 0
		.amdhsa_exception_fp_ieee_invalid_op 0
		.amdhsa_exception_fp_denorm_src 0
		.amdhsa_exception_fp_ieee_div_zero 0
		.amdhsa_exception_fp_ieee_overflow 0
		.amdhsa_exception_fp_ieee_underflow 0
		.amdhsa_exception_fp_ieee_inexact 0
		.amdhsa_exception_int_div_zero 0
	.end_amdhsa_kernel
	.section	.text._ZN7rocprim17ROCPRIM_400000_NS6detail17trampoline_kernelINS0_14default_configENS1_20scan_config_selectorIN3c104HalfEEEZZNS1_9scan_implILNS1_25lookback_scan_determinismE0ELb0ELb0ES3_PKS6_PS6_S6_ZZZN2at6native31launch_logcumsumexp_cuda_kernelERKNSD_10TensorBaseESH_lENKUlvE_clEvENKUlvE3_clEvEUlS6_S6_E_S6_EEDaPvRmT3_T4_T5_mT6_P12ihipStream_tbENKUlT_T0_E_clISt17integral_constantIbLb0EESX_IbLb1EEEEDaST_SU_EUlST_E0_NS1_11comp_targetILNS1_3genE3ELNS1_11target_archE908ELNS1_3gpuE7ELNS1_3repE0EEENS1_30default_config_static_selectorELNS0_4arch9wavefront6targetE0EEEvT1_,"axG",@progbits,_ZN7rocprim17ROCPRIM_400000_NS6detail17trampoline_kernelINS0_14default_configENS1_20scan_config_selectorIN3c104HalfEEEZZNS1_9scan_implILNS1_25lookback_scan_determinismE0ELb0ELb0ES3_PKS6_PS6_S6_ZZZN2at6native31launch_logcumsumexp_cuda_kernelERKNSD_10TensorBaseESH_lENKUlvE_clEvENKUlvE3_clEvEUlS6_S6_E_S6_EEDaPvRmT3_T4_T5_mT6_P12ihipStream_tbENKUlT_T0_E_clISt17integral_constantIbLb0EESX_IbLb1EEEEDaST_SU_EUlST_E0_NS1_11comp_targetILNS1_3genE3ELNS1_11target_archE908ELNS1_3gpuE7ELNS1_3repE0EEENS1_30default_config_static_selectorELNS0_4arch9wavefront6targetE0EEEvT1_,comdat
.Lfunc_end436:
	.size	_ZN7rocprim17ROCPRIM_400000_NS6detail17trampoline_kernelINS0_14default_configENS1_20scan_config_selectorIN3c104HalfEEEZZNS1_9scan_implILNS1_25lookback_scan_determinismE0ELb0ELb0ES3_PKS6_PS6_S6_ZZZN2at6native31launch_logcumsumexp_cuda_kernelERKNSD_10TensorBaseESH_lENKUlvE_clEvENKUlvE3_clEvEUlS6_S6_E_S6_EEDaPvRmT3_T4_T5_mT6_P12ihipStream_tbENKUlT_T0_E_clISt17integral_constantIbLb0EESX_IbLb1EEEEDaST_SU_EUlST_E0_NS1_11comp_targetILNS1_3genE3ELNS1_11target_archE908ELNS1_3gpuE7ELNS1_3repE0EEENS1_30default_config_static_selectorELNS0_4arch9wavefront6targetE0EEEvT1_, .Lfunc_end436-_ZN7rocprim17ROCPRIM_400000_NS6detail17trampoline_kernelINS0_14default_configENS1_20scan_config_selectorIN3c104HalfEEEZZNS1_9scan_implILNS1_25lookback_scan_determinismE0ELb0ELb0ES3_PKS6_PS6_S6_ZZZN2at6native31launch_logcumsumexp_cuda_kernelERKNSD_10TensorBaseESH_lENKUlvE_clEvENKUlvE3_clEvEUlS6_S6_E_S6_EEDaPvRmT3_T4_T5_mT6_P12ihipStream_tbENKUlT_T0_E_clISt17integral_constantIbLb0EESX_IbLb1EEEEDaST_SU_EUlST_E0_NS1_11comp_targetILNS1_3genE3ELNS1_11target_archE908ELNS1_3gpuE7ELNS1_3repE0EEENS1_30default_config_static_selectorELNS0_4arch9wavefront6targetE0EEEvT1_
                                        ; -- End function
	.section	.AMDGPU.csdata,"",@progbits
; Kernel info:
; codeLenInByte = 0
; NumSgprs: 0
; NumVgprs: 0
; ScratchSize: 0
; MemoryBound: 0
; FloatMode: 240
; IeeeMode: 1
; LDSByteSize: 0 bytes/workgroup (compile time only)
; SGPRBlocks: 0
; VGPRBlocks: 0
; NumSGPRsForWavesPerEU: 1
; NumVGPRsForWavesPerEU: 1
; Occupancy: 16
; WaveLimiterHint : 0
; COMPUTE_PGM_RSRC2:SCRATCH_EN: 0
; COMPUTE_PGM_RSRC2:USER_SGPR: 15
; COMPUTE_PGM_RSRC2:TRAP_HANDLER: 0
; COMPUTE_PGM_RSRC2:TGID_X_EN: 1
; COMPUTE_PGM_RSRC2:TGID_Y_EN: 0
; COMPUTE_PGM_RSRC2:TGID_Z_EN: 0
; COMPUTE_PGM_RSRC2:TIDIG_COMP_CNT: 0
	.section	.text._ZN7rocprim17ROCPRIM_400000_NS6detail17trampoline_kernelINS0_14default_configENS1_20scan_config_selectorIN3c104HalfEEEZZNS1_9scan_implILNS1_25lookback_scan_determinismE0ELb0ELb0ES3_PKS6_PS6_S6_ZZZN2at6native31launch_logcumsumexp_cuda_kernelERKNSD_10TensorBaseESH_lENKUlvE_clEvENKUlvE3_clEvEUlS6_S6_E_S6_EEDaPvRmT3_T4_T5_mT6_P12ihipStream_tbENKUlT_T0_E_clISt17integral_constantIbLb0EESX_IbLb1EEEEDaST_SU_EUlST_E0_NS1_11comp_targetILNS1_3genE2ELNS1_11target_archE906ELNS1_3gpuE6ELNS1_3repE0EEENS1_30default_config_static_selectorELNS0_4arch9wavefront6targetE0EEEvT1_,"axG",@progbits,_ZN7rocprim17ROCPRIM_400000_NS6detail17trampoline_kernelINS0_14default_configENS1_20scan_config_selectorIN3c104HalfEEEZZNS1_9scan_implILNS1_25lookback_scan_determinismE0ELb0ELb0ES3_PKS6_PS6_S6_ZZZN2at6native31launch_logcumsumexp_cuda_kernelERKNSD_10TensorBaseESH_lENKUlvE_clEvENKUlvE3_clEvEUlS6_S6_E_S6_EEDaPvRmT3_T4_T5_mT6_P12ihipStream_tbENKUlT_T0_E_clISt17integral_constantIbLb0EESX_IbLb1EEEEDaST_SU_EUlST_E0_NS1_11comp_targetILNS1_3genE2ELNS1_11target_archE906ELNS1_3gpuE6ELNS1_3repE0EEENS1_30default_config_static_selectorELNS0_4arch9wavefront6targetE0EEEvT1_,comdat
	.globl	_ZN7rocprim17ROCPRIM_400000_NS6detail17trampoline_kernelINS0_14default_configENS1_20scan_config_selectorIN3c104HalfEEEZZNS1_9scan_implILNS1_25lookback_scan_determinismE0ELb0ELb0ES3_PKS6_PS6_S6_ZZZN2at6native31launch_logcumsumexp_cuda_kernelERKNSD_10TensorBaseESH_lENKUlvE_clEvENKUlvE3_clEvEUlS6_S6_E_S6_EEDaPvRmT3_T4_T5_mT6_P12ihipStream_tbENKUlT_T0_E_clISt17integral_constantIbLb0EESX_IbLb1EEEEDaST_SU_EUlST_E0_NS1_11comp_targetILNS1_3genE2ELNS1_11target_archE906ELNS1_3gpuE6ELNS1_3repE0EEENS1_30default_config_static_selectorELNS0_4arch9wavefront6targetE0EEEvT1_ ; -- Begin function _ZN7rocprim17ROCPRIM_400000_NS6detail17trampoline_kernelINS0_14default_configENS1_20scan_config_selectorIN3c104HalfEEEZZNS1_9scan_implILNS1_25lookback_scan_determinismE0ELb0ELb0ES3_PKS6_PS6_S6_ZZZN2at6native31launch_logcumsumexp_cuda_kernelERKNSD_10TensorBaseESH_lENKUlvE_clEvENKUlvE3_clEvEUlS6_S6_E_S6_EEDaPvRmT3_T4_T5_mT6_P12ihipStream_tbENKUlT_T0_E_clISt17integral_constantIbLb0EESX_IbLb1EEEEDaST_SU_EUlST_E0_NS1_11comp_targetILNS1_3genE2ELNS1_11target_archE906ELNS1_3gpuE6ELNS1_3repE0EEENS1_30default_config_static_selectorELNS0_4arch9wavefront6targetE0EEEvT1_
	.p2align	8
	.type	_ZN7rocprim17ROCPRIM_400000_NS6detail17trampoline_kernelINS0_14default_configENS1_20scan_config_selectorIN3c104HalfEEEZZNS1_9scan_implILNS1_25lookback_scan_determinismE0ELb0ELb0ES3_PKS6_PS6_S6_ZZZN2at6native31launch_logcumsumexp_cuda_kernelERKNSD_10TensorBaseESH_lENKUlvE_clEvENKUlvE3_clEvEUlS6_S6_E_S6_EEDaPvRmT3_T4_T5_mT6_P12ihipStream_tbENKUlT_T0_E_clISt17integral_constantIbLb0EESX_IbLb1EEEEDaST_SU_EUlST_E0_NS1_11comp_targetILNS1_3genE2ELNS1_11target_archE906ELNS1_3gpuE6ELNS1_3repE0EEENS1_30default_config_static_selectorELNS0_4arch9wavefront6targetE0EEEvT1_,@function
_ZN7rocprim17ROCPRIM_400000_NS6detail17trampoline_kernelINS0_14default_configENS1_20scan_config_selectorIN3c104HalfEEEZZNS1_9scan_implILNS1_25lookback_scan_determinismE0ELb0ELb0ES3_PKS6_PS6_S6_ZZZN2at6native31launch_logcumsumexp_cuda_kernelERKNSD_10TensorBaseESH_lENKUlvE_clEvENKUlvE3_clEvEUlS6_S6_E_S6_EEDaPvRmT3_T4_T5_mT6_P12ihipStream_tbENKUlT_T0_E_clISt17integral_constantIbLb0EESX_IbLb1EEEEDaST_SU_EUlST_E0_NS1_11comp_targetILNS1_3genE2ELNS1_11target_archE906ELNS1_3gpuE6ELNS1_3repE0EEENS1_30default_config_static_selectorELNS0_4arch9wavefront6targetE0EEEvT1_: ; @_ZN7rocprim17ROCPRIM_400000_NS6detail17trampoline_kernelINS0_14default_configENS1_20scan_config_selectorIN3c104HalfEEEZZNS1_9scan_implILNS1_25lookback_scan_determinismE0ELb0ELb0ES3_PKS6_PS6_S6_ZZZN2at6native31launch_logcumsumexp_cuda_kernelERKNSD_10TensorBaseESH_lENKUlvE_clEvENKUlvE3_clEvEUlS6_S6_E_S6_EEDaPvRmT3_T4_T5_mT6_P12ihipStream_tbENKUlT_T0_E_clISt17integral_constantIbLb0EESX_IbLb1EEEEDaST_SU_EUlST_E0_NS1_11comp_targetILNS1_3genE2ELNS1_11target_archE906ELNS1_3gpuE6ELNS1_3repE0EEENS1_30default_config_static_selectorELNS0_4arch9wavefront6targetE0EEEvT1_
; %bb.0:
	.section	.rodata,"a",@progbits
	.p2align	6, 0x0
	.amdhsa_kernel _ZN7rocprim17ROCPRIM_400000_NS6detail17trampoline_kernelINS0_14default_configENS1_20scan_config_selectorIN3c104HalfEEEZZNS1_9scan_implILNS1_25lookback_scan_determinismE0ELb0ELb0ES3_PKS6_PS6_S6_ZZZN2at6native31launch_logcumsumexp_cuda_kernelERKNSD_10TensorBaseESH_lENKUlvE_clEvENKUlvE3_clEvEUlS6_S6_E_S6_EEDaPvRmT3_T4_T5_mT6_P12ihipStream_tbENKUlT_T0_E_clISt17integral_constantIbLb0EESX_IbLb1EEEEDaST_SU_EUlST_E0_NS1_11comp_targetILNS1_3genE2ELNS1_11target_archE906ELNS1_3gpuE6ELNS1_3repE0EEENS1_30default_config_static_selectorELNS0_4arch9wavefront6targetE0EEEvT1_
		.amdhsa_group_segment_fixed_size 0
		.amdhsa_private_segment_fixed_size 0
		.amdhsa_kernarg_size 32
		.amdhsa_user_sgpr_count 15
		.amdhsa_user_sgpr_dispatch_ptr 0
		.amdhsa_user_sgpr_queue_ptr 0
		.amdhsa_user_sgpr_kernarg_segment_ptr 1
		.amdhsa_user_sgpr_dispatch_id 0
		.amdhsa_user_sgpr_private_segment_size 0
		.amdhsa_wavefront_size32 1
		.amdhsa_uses_dynamic_stack 0
		.amdhsa_enable_private_segment 0
		.amdhsa_system_sgpr_workgroup_id_x 1
		.amdhsa_system_sgpr_workgroup_id_y 0
		.amdhsa_system_sgpr_workgroup_id_z 0
		.amdhsa_system_sgpr_workgroup_info 0
		.amdhsa_system_vgpr_workitem_id 0
		.amdhsa_next_free_vgpr 1
		.amdhsa_next_free_sgpr 1
		.amdhsa_reserve_vcc 0
		.amdhsa_float_round_mode_32 0
		.amdhsa_float_round_mode_16_64 0
		.amdhsa_float_denorm_mode_32 3
		.amdhsa_float_denorm_mode_16_64 3
		.amdhsa_dx10_clamp 1
		.amdhsa_ieee_mode 1
		.amdhsa_fp16_overflow 0
		.amdhsa_workgroup_processor_mode 1
		.amdhsa_memory_ordered 1
		.amdhsa_forward_progress 0
		.amdhsa_shared_vgpr_count 0
		.amdhsa_exception_fp_ieee_invalid_op 0
		.amdhsa_exception_fp_denorm_src 0
		.amdhsa_exception_fp_ieee_div_zero 0
		.amdhsa_exception_fp_ieee_overflow 0
		.amdhsa_exception_fp_ieee_underflow 0
		.amdhsa_exception_fp_ieee_inexact 0
		.amdhsa_exception_int_div_zero 0
	.end_amdhsa_kernel
	.section	.text._ZN7rocprim17ROCPRIM_400000_NS6detail17trampoline_kernelINS0_14default_configENS1_20scan_config_selectorIN3c104HalfEEEZZNS1_9scan_implILNS1_25lookback_scan_determinismE0ELb0ELb0ES3_PKS6_PS6_S6_ZZZN2at6native31launch_logcumsumexp_cuda_kernelERKNSD_10TensorBaseESH_lENKUlvE_clEvENKUlvE3_clEvEUlS6_S6_E_S6_EEDaPvRmT3_T4_T5_mT6_P12ihipStream_tbENKUlT_T0_E_clISt17integral_constantIbLb0EESX_IbLb1EEEEDaST_SU_EUlST_E0_NS1_11comp_targetILNS1_3genE2ELNS1_11target_archE906ELNS1_3gpuE6ELNS1_3repE0EEENS1_30default_config_static_selectorELNS0_4arch9wavefront6targetE0EEEvT1_,"axG",@progbits,_ZN7rocprim17ROCPRIM_400000_NS6detail17trampoline_kernelINS0_14default_configENS1_20scan_config_selectorIN3c104HalfEEEZZNS1_9scan_implILNS1_25lookback_scan_determinismE0ELb0ELb0ES3_PKS6_PS6_S6_ZZZN2at6native31launch_logcumsumexp_cuda_kernelERKNSD_10TensorBaseESH_lENKUlvE_clEvENKUlvE3_clEvEUlS6_S6_E_S6_EEDaPvRmT3_T4_T5_mT6_P12ihipStream_tbENKUlT_T0_E_clISt17integral_constantIbLb0EESX_IbLb1EEEEDaST_SU_EUlST_E0_NS1_11comp_targetILNS1_3genE2ELNS1_11target_archE906ELNS1_3gpuE6ELNS1_3repE0EEENS1_30default_config_static_selectorELNS0_4arch9wavefront6targetE0EEEvT1_,comdat
.Lfunc_end437:
	.size	_ZN7rocprim17ROCPRIM_400000_NS6detail17trampoline_kernelINS0_14default_configENS1_20scan_config_selectorIN3c104HalfEEEZZNS1_9scan_implILNS1_25lookback_scan_determinismE0ELb0ELb0ES3_PKS6_PS6_S6_ZZZN2at6native31launch_logcumsumexp_cuda_kernelERKNSD_10TensorBaseESH_lENKUlvE_clEvENKUlvE3_clEvEUlS6_S6_E_S6_EEDaPvRmT3_T4_T5_mT6_P12ihipStream_tbENKUlT_T0_E_clISt17integral_constantIbLb0EESX_IbLb1EEEEDaST_SU_EUlST_E0_NS1_11comp_targetILNS1_3genE2ELNS1_11target_archE906ELNS1_3gpuE6ELNS1_3repE0EEENS1_30default_config_static_selectorELNS0_4arch9wavefront6targetE0EEEvT1_, .Lfunc_end437-_ZN7rocprim17ROCPRIM_400000_NS6detail17trampoline_kernelINS0_14default_configENS1_20scan_config_selectorIN3c104HalfEEEZZNS1_9scan_implILNS1_25lookback_scan_determinismE0ELb0ELb0ES3_PKS6_PS6_S6_ZZZN2at6native31launch_logcumsumexp_cuda_kernelERKNSD_10TensorBaseESH_lENKUlvE_clEvENKUlvE3_clEvEUlS6_S6_E_S6_EEDaPvRmT3_T4_T5_mT6_P12ihipStream_tbENKUlT_T0_E_clISt17integral_constantIbLb0EESX_IbLb1EEEEDaST_SU_EUlST_E0_NS1_11comp_targetILNS1_3genE2ELNS1_11target_archE906ELNS1_3gpuE6ELNS1_3repE0EEENS1_30default_config_static_selectorELNS0_4arch9wavefront6targetE0EEEvT1_
                                        ; -- End function
	.section	.AMDGPU.csdata,"",@progbits
; Kernel info:
; codeLenInByte = 0
; NumSgprs: 0
; NumVgprs: 0
; ScratchSize: 0
; MemoryBound: 0
; FloatMode: 240
; IeeeMode: 1
; LDSByteSize: 0 bytes/workgroup (compile time only)
; SGPRBlocks: 0
; VGPRBlocks: 0
; NumSGPRsForWavesPerEU: 1
; NumVGPRsForWavesPerEU: 1
; Occupancy: 16
; WaveLimiterHint : 0
; COMPUTE_PGM_RSRC2:SCRATCH_EN: 0
; COMPUTE_PGM_RSRC2:USER_SGPR: 15
; COMPUTE_PGM_RSRC2:TRAP_HANDLER: 0
; COMPUTE_PGM_RSRC2:TGID_X_EN: 1
; COMPUTE_PGM_RSRC2:TGID_Y_EN: 0
; COMPUTE_PGM_RSRC2:TGID_Z_EN: 0
; COMPUTE_PGM_RSRC2:TIDIG_COMP_CNT: 0
	.section	.text._ZN7rocprim17ROCPRIM_400000_NS6detail17trampoline_kernelINS0_14default_configENS1_20scan_config_selectorIN3c104HalfEEEZZNS1_9scan_implILNS1_25lookback_scan_determinismE0ELb0ELb0ES3_PKS6_PS6_S6_ZZZN2at6native31launch_logcumsumexp_cuda_kernelERKNSD_10TensorBaseESH_lENKUlvE_clEvENKUlvE3_clEvEUlS6_S6_E_S6_EEDaPvRmT3_T4_T5_mT6_P12ihipStream_tbENKUlT_T0_E_clISt17integral_constantIbLb0EESX_IbLb1EEEEDaST_SU_EUlST_E0_NS1_11comp_targetILNS1_3genE10ELNS1_11target_archE1201ELNS1_3gpuE5ELNS1_3repE0EEENS1_30default_config_static_selectorELNS0_4arch9wavefront6targetE0EEEvT1_,"axG",@progbits,_ZN7rocprim17ROCPRIM_400000_NS6detail17trampoline_kernelINS0_14default_configENS1_20scan_config_selectorIN3c104HalfEEEZZNS1_9scan_implILNS1_25lookback_scan_determinismE0ELb0ELb0ES3_PKS6_PS6_S6_ZZZN2at6native31launch_logcumsumexp_cuda_kernelERKNSD_10TensorBaseESH_lENKUlvE_clEvENKUlvE3_clEvEUlS6_S6_E_S6_EEDaPvRmT3_T4_T5_mT6_P12ihipStream_tbENKUlT_T0_E_clISt17integral_constantIbLb0EESX_IbLb1EEEEDaST_SU_EUlST_E0_NS1_11comp_targetILNS1_3genE10ELNS1_11target_archE1201ELNS1_3gpuE5ELNS1_3repE0EEENS1_30default_config_static_selectorELNS0_4arch9wavefront6targetE0EEEvT1_,comdat
	.globl	_ZN7rocprim17ROCPRIM_400000_NS6detail17trampoline_kernelINS0_14default_configENS1_20scan_config_selectorIN3c104HalfEEEZZNS1_9scan_implILNS1_25lookback_scan_determinismE0ELb0ELb0ES3_PKS6_PS6_S6_ZZZN2at6native31launch_logcumsumexp_cuda_kernelERKNSD_10TensorBaseESH_lENKUlvE_clEvENKUlvE3_clEvEUlS6_S6_E_S6_EEDaPvRmT3_T4_T5_mT6_P12ihipStream_tbENKUlT_T0_E_clISt17integral_constantIbLb0EESX_IbLb1EEEEDaST_SU_EUlST_E0_NS1_11comp_targetILNS1_3genE10ELNS1_11target_archE1201ELNS1_3gpuE5ELNS1_3repE0EEENS1_30default_config_static_selectorELNS0_4arch9wavefront6targetE0EEEvT1_ ; -- Begin function _ZN7rocprim17ROCPRIM_400000_NS6detail17trampoline_kernelINS0_14default_configENS1_20scan_config_selectorIN3c104HalfEEEZZNS1_9scan_implILNS1_25lookback_scan_determinismE0ELb0ELb0ES3_PKS6_PS6_S6_ZZZN2at6native31launch_logcumsumexp_cuda_kernelERKNSD_10TensorBaseESH_lENKUlvE_clEvENKUlvE3_clEvEUlS6_S6_E_S6_EEDaPvRmT3_T4_T5_mT6_P12ihipStream_tbENKUlT_T0_E_clISt17integral_constantIbLb0EESX_IbLb1EEEEDaST_SU_EUlST_E0_NS1_11comp_targetILNS1_3genE10ELNS1_11target_archE1201ELNS1_3gpuE5ELNS1_3repE0EEENS1_30default_config_static_selectorELNS0_4arch9wavefront6targetE0EEEvT1_
	.p2align	8
	.type	_ZN7rocprim17ROCPRIM_400000_NS6detail17trampoline_kernelINS0_14default_configENS1_20scan_config_selectorIN3c104HalfEEEZZNS1_9scan_implILNS1_25lookback_scan_determinismE0ELb0ELb0ES3_PKS6_PS6_S6_ZZZN2at6native31launch_logcumsumexp_cuda_kernelERKNSD_10TensorBaseESH_lENKUlvE_clEvENKUlvE3_clEvEUlS6_S6_E_S6_EEDaPvRmT3_T4_T5_mT6_P12ihipStream_tbENKUlT_T0_E_clISt17integral_constantIbLb0EESX_IbLb1EEEEDaST_SU_EUlST_E0_NS1_11comp_targetILNS1_3genE10ELNS1_11target_archE1201ELNS1_3gpuE5ELNS1_3repE0EEENS1_30default_config_static_selectorELNS0_4arch9wavefront6targetE0EEEvT1_,@function
_ZN7rocprim17ROCPRIM_400000_NS6detail17trampoline_kernelINS0_14default_configENS1_20scan_config_selectorIN3c104HalfEEEZZNS1_9scan_implILNS1_25lookback_scan_determinismE0ELb0ELb0ES3_PKS6_PS6_S6_ZZZN2at6native31launch_logcumsumexp_cuda_kernelERKNSD_10TensorBaseESH_lENKUlvE_clEvENKUlvE3_clEvEUlS6_S6_E_S6_EEDaPvRmT3_T4_T5_mT6_P12ihipStream_tbENKUlT_T0_E_clISt17integral_constantIbLb0EESX_IbLb1EEEEDaST_SU_EUlST_E0_NS1_11comp_targetILNS1_3genE10ELNS1_11target_archE1201ELNS1_3gpuE5ELNS1_3repE0EEENS1_30default_config_static_selectorELNS0_4arch9wavefront6targetE0EEEvT1_: ; @_ZN7rocprim17ROCPRIM_400000_NS6detail17trampoline_kernelINS0_14default_configENS1_20scan_config_selectorIN3c104HalfEEEZZNS1_9scan_implILNS1_25lookback_scan_determinismE0ELb0ELb0ES3_PKS6_PS6_S6_ZZZN2at6native31launch_logcumsumexp_cuda_kernelERKNSD_10TensorBaseESH_lENKUlvE_clEvENKUlvE3_clEvEUlS6_S6_E_S6_EEDaPvRmT3_T4_T5_mT6_P12ihipStream_tbENKUlT_T0_E_clISt17integral_constantIbLb0EESX_IbLb1EEEEDaST_SU_EUlST_E0_NS1_11comp_targetILNS1_3genE10ELNS1_11target_archE1201ELNS1_3gpuE5ELNS1_3repE0EEENS1_30default_config_static_selectorELNS0_4arch9wavefront6targetE0EEEvT1_
; %bb.0:
	.section	.rodata,"a",@progbits
	.p2align	6, 0x0
	.amdhsa_kernel _ZN7rocprim17ROCPRIM_400000_NS6detail17trampoline_kernelINS0_14default_configENS1_20scan_config_selectorIN3c104HalfEEEZZNS1_9scan_implILNS1_25lookback_scan_determinismE0ELb0ELb0ES3_PKS6_PS6_S6_ZZZN2at6native31launch_logcumsumexp_cuda_kernelERKNSD_10TensorBaseESH_lENKUlvE_clEvENKUlvE3_clEvEUlS6_S6_E_S6_EEDaPvRmT3_T4_T5_mT6_P12ihipStream_tbENKUlT_T0_E_clISt17integral_constantIbLb0EESX_IbLb1EEEEDaST_SU_EUlST_E0_NS1_11comp_targetILNS1_3genE10ELNS1_11target_archE1201ELNS1_3gpuE5ELNS1_3repE0EEENS1_30default_config_static_selectorELNS0_4arch9wavefront6targetE0EEEvT1_
		.amdhsa_group_segment_fixed_size 0
		.amdhsa_private_segment_fixed_size 0
		.amdhsa_kernarg_size 32
		.amdhsa_user_sgpr_count 15
		.amdhsa_user_sgpr_dispatch_ptr 0
		.amdhsa_user_sgpr_queue_ptr 0
		.amdhsa_user_sgpr_kernarg_segment_ptr 1
		.amdhsa_user_sgpr_dispatch_id 0
		.amdhsa_user_sgpr_private_segment_size 0
		.amdhsa_wavefront_size32 1
		.amdhsa_uses_dynamic_stack 0
		.amdhsa_enable_private_segment 0
		.amdhsa_system_sgpr_workgroup_id_x 1
		.amdhsa_system_sgpr_workgroup_id_y 0
		.amdhsa_system_sgpr_workgroup_id_z 0
		.amdhsa_system_sgpr_workgroup_info 0
		.amdhsa_system_vgpr_workitem_id 0
		.amdhsa_next_free_vgpr 1
		.amdhsa_next_free_sgpr 1
		.amdhsa_reserve_vcc 0
		.amdhsa_float_round_mode_32 0
		.amdhsa_float_round_mode_16_64 0
		.amdhsa_float_denorm_mode_32 3
		.amdhsa_float_denorm_mode_16_64 3
		.amdhsa_dx10_clamp 1
		.amdhsa_ieee_mode 1
		.amdhsa_fp16_overflow 0
		.amdhsa_workgroup_processor_mode 1
		.amdhsa_memory_ordered 1
		.amdhsa_forward_progress 0
		.amdhsa_shared_vgpr_count 0
		.amdhsa_exception_fp_ieee_invalid_op 0
		.amdhsa_exception_fp_denorm_src 0
		.amdhsa_exception_fp_ieee_div_zero 0
		.amdhsa_exception_fp_ieee_overflow 0
		.amdhsa_exception_fp_ieee_underflow 0
		.amdhsa_exception_fp_ieee_inexact 0
		.amdhsa_exception_int_div_zero 0
	.end_amdhsa_kernel
	.section	.text._ZN7rocprim17ROCPRIM_400000_NS6detail17trampoline_kernelINS0_14default_configENS1_20scan_config_selectorIN3c104HalfEEEZZNS1_9scan_implILNS1_25lookback_scan_determinismE0ELb0ELb0ES3_PKS6_PS6_S6_ZZZN2at6native31launch_logcumsumexp_cuda_kernelERKNSD_10TensorBaseESH_lENKUlvE_clEvENKUlvE3_clEvEUlS6_S6_E_S6_EEDaPvRmT3_T4_T5_mT6_P12ihipStream_tbENKUlT_T0_E_clISt17integral_constantIbLb0EESX_IbLb1EEEEDaST_SU_EUlST_E0_NS1_11comp_targetILNS1_3genE10ELNS1_11target_archE1201ELNS1_3gpuE5ELNS1_3repE0EEENS1_30default_config_static_selectorELNS0_4arch9wavefront6targetE0EEEvT1_,"axG",@progbits,_ZN7rocprim17ROCPRIM_400000_NS6detail17trampoline_kernelINS0_14default_configENS1_20scan_config_selectorIN3c104HalfEEEZZNS1_9scan_implILNS1_25lookback_scan_determinismE0ELb0ELb0ES3_PKS6_PS6_S6_ZZZN2at6native31launch_logcumsumexp_cuda_kernelERKNSD_10TensorBaseESH_lENKUlvE_clEvENKUlvE3_clEvEUlS6_S6_E_S6_EEDaPvRmT3_T4_T5_mT6_P12ihipStream_tbENKUlT_T0_E_clISt17integral_constantIbLb0EESX_IbLb1EEEEDaST_SU_EUlST_E0_NS1_11comp_targetILNS1_3genE10ELNS1_11target_archE1201ELNS1_3gpuE5ELNS1_3repE0EEENS1_30default_config_static_selectorELNS0_4arch9wavefront6targetE0EEEvT1_,comdat
.Lfunc_end438:
	.size	_ZN7rocprim17ROCPRIM_400000_NS6detail17trampoline_kernelINS0_14default_configENS1_20scan_config_selectorIN3c104HalfEEEZZNS1_9scan_implILNS1_25lookback_scan_determinismE0ELb0ELb0ES3_PKS6_PS6_S6_ZZZN2at6native31launch_logcumsumexp_cuda_kernelERKNSD_10TensorBaseESH_lENKUlvE_clEvENKUlvE3_clEvEUlS6_S6_E_S6_EEDaPvRmT3_T4_T5_mT6_P12ihipStream_tbENKUlT_T0_E_clISt17integral_constantIbLb0EESX_IbLb1EEEEDaST_SU_EUlST_E0_NS1_11comp_targetILNS1_3genE10ELNS1_11target_archE1201ELNS1_3gpuE5ELNS1_3repE0EEENS1_30default_config_static_selectorELNS0_4arch9wavefront6targetE0EEEvT1_, .Lfunc_end438-_ZN7rocprim17ROCPRIM_400000_NS6detail17trampoline_kernelINS0_14default_configENS1_20scan_config_selectorIN3c104HalfEEEZZNS1_9scan_implILNS1_25lookback_scan_determinismE0ELb0ELb0ES3_PKS6_PS6_S6_ZZZN2at6native31launch_logcumsumexp_cuda_kernelERKNSD_10TensorBaseESH_lENKUlvE_clEvENKUlvE3_clEvEUlS6_S6_E_S6_EEDaPvRmT3_T4_T5_mT6_P12ihipStream_tbENKUlT_T0_E_clISt17integral_constantIbLb0EESX_IbLb1EEEEDaST_SU_EUlST_E0_NS1_11comp_targetILNS1_3genE10ELNS1_11target_archE1201ELNS1_3gpuE5ELNS1_3repE0EEENS1_30default_config_static_selectorELNS0_4arch9wavefront6targetE0EEEvT1_
                                        ; -- End function
	.section	.AMDGPU.csdata,"",@progbits
; Kernel info:
; codeLenInByte = 0
; NumSgprs: 0
; NumVgprs: 0
; ScratchSize: 0
; MemoryBound: 0
; FloatMode: 240
; IeeeMode: 1
; LDSByteSize: 0 bytes/workgroup (compile time only)
; SGPRBlocks: 0
; VGPRBlocks: 0
; NumSGPRsForWavesPerEU: 1
; NumVGPRsForWavesPerEU: 1
; Occupancy: 16
; WaveLimiterHint : 0
; COMPUTE_PGM_RSRC2:SCRATCH_EN: 0
; COMPUTE_PGM_RSRC2:USER_SGPR: 15
; COMPUTE_PGM_RSRC2:TRAP_HANDLER: 0
; COMPUTE_PGM_RSRC2:TGID_X_EN: 1
; COMPUTE_PGM_RSRC2:TGID_Y_EN: 0
; COMPUTE_PGM_RSRC2:TGID_Z_EN: 0
; COMPUTE_PGM_RSRC2:TIDIG_COMP_CNT: 0
	.section	.text._ZN7rocprim17ROCPRIM_400000_NS6detail17trampoline_kernelINS0_14default_configENS1_20scan_config_selectorIN3c104HalfEEEZZNS1_9scan_implILNS1_25lookback_scan_determinismE0ELb0ELb0ES3_PKS6_PS6_S6_ZZZN2at6native31launch_logcumsumexp_cuda_kernelERKNSD_10TensorBaseESH_lENKUlvE_clEvENKUlvE3_clEvEUlS6_S6_E_S6_EEDaPvRmT3_T4_T5_mT6_P12ihipStream_tbENKUlT_T0_E_clISt17integral_constantIbLb0EESX_IbLb1EEEEDaST_SU_EUlST_E0_NS1_11comp_targetILNS1_3genE10ELNS1_11target_archE1200ELNS1_3gpuE4ELNS1_3repE0EEENS1_30default_config_static_selectorELNS0_4arch9wavefront6targetE0EEEvT1_,"axG",@progbits,_ZN7rocprim17ROCPRIM_400000_NS6detail17trampoline_kernelINS0_14default_configENS1_20scan_config_selectorIN3c104HalfEEEZZNS1_9scan_implILNS1_25lookback_scan_determinismE0ELb0ELb0ES3_PKS6_PS6_S6_ZZZN2at6native31launch_logcumsumexp_cuda_kernelERKNSD_10TensorBaseESH_lENKUlvE_clEvENKUlvE3_clEvEUlS6_S6_E_S6_EEDaPvRmT3_T4_T5_mT6_P12ihipStream_tbENKUlT_T0_E_clISt17integral_constantIbLb0EESX_IbLb1EEEEDaST_SU_EUlST_E0_NS1_11comp_targetILNS1_3genE10ELNS1_11target_archE1200ELNS1_3gpuE4ELNS1_3repE0EEENS1_30default_config_static_selectorELNS0_4arch9wavefront6targetE0EEEvT1_,comdat
	.globl	_ZN7rocprim17ROCPRIM_400000_NS6detail17trampoline_kernelINS0_14default_configENS1_20scan_config_selectorIN3c104HalfEEEZZNS1_9scan_implILNS1_25lookback_scan_determinismE0ELb0ELb0ES3_PKS6_PS6_S6_ZZZN2at6native31launch_logcumsumexp_cuda_kernelERKNSD_10TensorBaseESH_lENKUlvE_clEvENKUlvE3_clEvEUlS6_S6_E_S6_EEDaPvRmT3_T4_T5_mT6_P12ihipStream_tbENKUlT_T0_E_clISt17integral_constantIbLb0EESX_IbLb1EEEEDaST_SU_EUlST_E0_NS1_11comp_targetILNS1_3genE10ELNS1_11target_archE1200ELNS1_3gpuE4ELNS1_3repE0EEENS1_30default_config_static_selectorELNS0_4arch9wavefront6targetE0EEEvT1_ ; -- Begin function _ZN7rocprim17ROCPRIM_400000_NS6detail17trampoline_kernelINS0_14default_configENS1_20scan_config_selectorIN3c104HalfEEEZZNS1_9scan_implILNS1_25lookback_scan_determinismE0ELb0ELb0ES3_PKS6_PS6_S6_ZZZN2at6native31launch_logcumsumexp_cuda_kernelERKNSD_10TensorBaseESH_lENKUlvE_clEvENKUlvE3_clEvEUlS6_S6_E_S6_EEDaPvRmT3_T4_T5_mT6_P12ihipStream_tbENKUlT_T0_E_clISt17integral_constantIbLb0EESX_IbLb1EEEEDaST_SU_EUlST_E0_NS1_11comp_targetILNS1_3genE10ELNS1_11target_archE1200ELNS1_3gpuE4ELNS1_3repE0EEENS1_30default_config_static_selectorELNS0_4arch9wavefront6targetE0EEEvT1_
	.p2align	8
	.type	_ZN7rocprim17ROCPRIM_400000_NS6detail17trampoline_kernelINS0_14default_configENS1_20scan_config_selectorIN3c104HalfEEEZZNS1_9scan_implILNS1_25lookback_scan_determinismE0ELb0ELb0ES3_PKS6_PS6_S6_ZZZN2at6native31launch_logcumsumexp_cuda_kernelERKNSD_10TensorBaseESH_lENKUlvE_clEvENKUlvE3_clEvEUlS6_S6_E_S6_EEDaPvRmT3_T4_T5_mT6_P12ihipStream_tbENKUlT_T0_E_clISt17integral_constantIbLb0EESX_IbLb1EEEEDaST_SU_EUlST_E0_NS1_11comp_targetILNS1_3genE10ELNS1_11target_archE1200ELNS1_3gpuE4ELNS1_3repE0EEENS1_30default_config_static_selectorELNS0_4arch9wavefront6targetE0EEEvT1_,@function
_ZN7rocprim17ROCPRIM_400000_NS6detail17trampoline_kernelINS0_14default_configENS1_20scan_config_selectorIN3c104HalfEEEZZNS1_9scan_implILNS1_25lookback_scan_determinismE0ELb0ELb0ES3_PKS6_PS6_S6_ZZZN2at6native31launch_logcumsumexp_cuda_kernelERKNSD_10TensorBaseESH_lENKUlvE_clEvENKUlvE3_clEvEUlS6_S6_E_S6_EEDaPvRmT3_T4_T5_mT6_P12ihipStream_tbENKUlT_T0_E_clISt17integral_constantIbLb0EESX_IbLb1EEEEDaST_SU_EUlST_E0_NS1_11comp_targetILNS1_3genE10ELNS1_11target_archE1200ELNS1_3gpuE4ELNS1_3repE0EEENS1_30default_config_static_selectorELNS0_4arch9wavefront6targetE0EEEvT1_: ; @_ZN7rocprim17ROCPRIM_400000_NS6detail17trampoline_kernelINS0_14default_configENS1_20scan_config_selectorIN3c104HalfEEEZZNS1_9scan_implILNS1_25lookback_scan_determinismE0ELb0ELb0ES3_PKS6_PS6_S6_ZZZN2at6native31launch_logcumsumexp_cuda_kernelERKNSD_10TensorBaseESH_lENKUlvE_clEvENKUlvE3_clEvEUlS6_S6_E_S6_EEDaPvRmT3_T4_T5_mT6_P12ihipStream_tbENKUlT_T0_E_clISt17integral_constantIbLb0EESX_IbLb1EEEEDaST_SU_EUlST_E0_NS1_11comp_targetILNS1_3genE10ELNS1_11target_archE1200ELNS1_3gpuE4ELNS1_3repE0EEENS1_30default_config_static_selectorELNS0_4arch9wavefront6targetE0EEEvT1_
; %bb.0:
	.section	.rodata,"a",@progbits
	.p2align	6, 0x0
	.amdhsa_kernel _ZN7rocprim17ROCPRIM_400000_NS6detail17trampoline_kernelINS0_14default_configENS1_20scan_config_selectorIN3c104HalfEEEZZNS1_9scan_implILNS1_25lookback_scan_determinismE0ELb0ELb0ES3_PKS6_PS6_S6_ZZZN2at6native31launch_logcumsumexp_cuda_kernelERKNSD_10TensorBaseESH_lENKUlvE_clEvENKUlvE3_clEvEUlS6_S6_E_S6_EEDaPvRmT3_T4_T5_mT6_P12ihipStream_tbENKUlT_T0_E_clISt17integral_constantIbLb0EESX_IbLb1EEEEDaST_SU_EUlST_E0_NS1_11comp_targetILNS1_3genE10ELNS1_11target_archE1200ELNS1_3gpuE4ELNS1_3repE0EEENS1_30default_config_static_selectorELNS0_4arch9wavefront6targetE0EEEvT1_
		.amdhsa_group_segment_fixed_size 0
		.amdhsa_private_segment_fixed_size 0
		.amdhsa_kernarg_size 32
		.amdhsa_user_sgpr_count 15
		.amdhsa_user_sgpr_dispatch_ptr 0
		.amdhsa_user_sgpr_queue_ptr 0
		.amdhsa_user_sgpr_kernarg_segment_ptr 1
		.amdhsa_user_sgpr_dispatch_id 0
		.amdhsa_user_sgpr_private_segment_size 0
		.amdhsa_wavefront_size32 1
		.amdhsa_uses_dynamic_stack 0
		.amdhsa_enable_private_segment 0
		.amdhsa_system_sgpr_workgroup_id_x 1
		.amdhsa_system_sgpr_workgroup_id_y 0
		.amdhsa_system_sgpr_workgroup_id_z 0
		.amdhsa_system_sgpr_workgroup_info 0
		.amdhsa_system_vgpr_workitem_id 0
		.amdhsa_next_free_vgpr 1
		.amdhsa_next_free_sgpr 1
		.amdhsa_reserve_vcc 0
		.amdhsa_float_round_mode_32 0
		.amdhsa_float_round_mode_16_64 0
		.amdhsa_float_denorm_mode_32 3
		.amdhsa_float_denorm_mode_16_64 3
		.amdhsa_dx10_clamp 1
		.amdhsa_ieee_mode 1
		.amdhsa_fp16_overflow 0
		.amdhsa_workgroup_processor_mode 1
		.amdhsa_memory_ordered 1
		.amdhsa_forward_progress 0
		.amdhsa_shared_vgpr_count 0
		.amdhsa_exception_fp_ieee_invalid_op 0
		.amdhsa_exception_fp_denorm_src 0
		.amdhsa_exception_fp_ieee_div_zero 0
		.amdhsa_exception_fp_ieee_overflow 0
		.amdhsa_exception_fp_ieee_underflow 0
		.amdhsa_exception_fp_ieee_inexact 0
		.amdhsa_exception_int_div_zero 0
	.end_amdhsa_kernel
	.section	.text._ZN7rocprim17ROCPRIM_400000_NS6detail17trampoline_kernelINS0_14default_configENS1_20scan_config_selectorIN3c104HalfEEEZZNS1_9scan_implILNS1_25lookback_scan_determinismE0ELb0ELb0ES3_PKS6_PS6_S6_ZZZN2at6native31launch_logcumsumexp_cuda_kernelERKNSD_10TensorBaseESH_lENKUlvE_clEvENKUlvE3_clEvEUlS6_S6_E_S6_EEDaPvRmT3_T4_T5_mT6_P12ihipStream_tbENKUlT_T0_E_clISt17integral_constantIbLb0EESX_IbLb1EEEEDaST_SU_EUlST_E0_NS1_11comp_targetILNS1_3genE10ELNS1_11target_archE1200ELNS1_3gpuE4ELNS1_3repE0EEENS1_30default_config_static_selectorELNS0_4arch9wavefront6targetE0EEEvT1_,"axG",@progbits,_ZN7rocprim17ROCPRIM_400000_NS6detail17trampoline_kernelINS0_14default_configENS1_20scan_config_selectorIN3c104HalfEEEZZNS1_9scan_implILNS1_25lookback_scan_determinismE0ELb0ELb0ES3_PKS6_PS6_S6_ZZZN2at6native31launch_logcumsumexp_cuda_kernelERKNSD_10TensorBaseESH_lENKUlvE_clEvENKUlvE3_clEvEUlS6_S6_E_S6_EEDaPvRmT3_T4_T5_mT6_P12ihipStream_tbENKUlT_T0_E_clISt17integral_constantIbLb0EESX_IbLb1EEEEDaST_SU_EUlST_E0_NS1_11comp_targetILNS1_3genE10ELNS1_11target_archE1200ELNS1_3gpuE4ELNS1_3repE0EEENS1_30default_config_static_selectorELNS0_4arch9wavefront6targetE0EEEvT1_,comdat
.Lfunc_end439:
	.size	_ZN7rocprim17ROCPRIM_400000_NS6detail17trampoline_kernelINS0_14default_configENS1_20scan_config_selectorIN3c104HalfEEEZZNS1_9scan_implILNS1_25lookback_scan_determinismE0ELb0ELb0ES3_PKS6_PS6_S6_ZZZN2at6native31launch_logcumsumexp_cuda_kernelERKNSD_10TensorBaseESH_lENKUlvE_clEvENKUlvE3_clEvEUlS6_S6_E_S6_EEDaPvRmT3_T4_T5_mT6_P12ihipStream_tbENKUlT_T0_E_clISt17integral_constantIbLb0EESX_IbLb1EEEEDaST_SU_EUlST_E0_NS1_11comp_targetILNS1_3genE10ELNS1_11target_archE1200ELNS1_3gpuE4ELNS1_3repE0EEENS1_30default_config_static_selectorELNS0_4arch9wavefront6targetE0EEEvT1_, .Lfunc_end439-_ZN7rocprim17ROCPRIM_400000_NS6detail17trampoline_kernelINS0_14default_configENS1_20scan_config_selectorIN3c104HalfEEEZZNS1_9scan_implILNS1_25lookback_scan_determinismE0ELb0ELb0ES3_PKS6_PS6_S6_ZZZN2at6native31launch_logcumsumexp_cuda_kernelERKNSD_10TensorBaseESH_lENKUlvE_clEvENKUlvE3_clEvEUlS6_S6_E_S6_EEDaPvRmT3_T4_T5_mT6_P12ihipStream_tbENKUlT_T0_E_clISt17integral_constantIbLb0EESX_IbLb1EEEEDaST_SU_EUlST_E0_NS1_11comp_targetILNS1_3genE10ELNS1_11target_archE1200ELNS1_3gpuE4ELNS1_3repE0EEENS1_30default_config_static_selectorELNS0_4arch9wavefront6targetE0EEEvT1_
                                        ; -- End function
	.section	.AMDGPU.csdata,"",@progbits
; Kernel info:
; codeLenInByte = 0
; NumSgprs: 0
; NumVgprs: 0
; ScratchSize: 0
; MemoryBound: 0
; FloatMode: 240
; IeeeMode: 1
; LDSByteSize: 0 bytes/workgroup (compile time only)
; SGPRBlocks: 0
; VGPRBlocks: 0
; NumSGPRsForWavesPerEU: 1
; NumVGPRsForWavesPerEU: 1
; Occupancy: 16
; WaveLimiterHint : 0
; COMPUTE_PGM_RSRC2:SCRATCH_EN: 0
; COMPUTE_PGM_RSRC2:USER_SGPR: 15
; COMPUTE_PGM_RSRC2:TRAP_HANDLER: 0
; COMPUTE_PGM_RSRC2:TGID_X_EN: 1
; COMPUTE_PGM_RSRC2:TGID_Y_EN: 0
; COMPUTE_PGM_RSRC2:TGID_Z_EN: 0
; COMPUTE_PGM_RSRC2:TIDIG_COMP_CNT: 0
	.section	.text._ZN7rocprim17ROCPRIM_400000_NS6detail17trampoline_kernelINS0_14default_configENS1_20scan_config_selectorIN3c104HalfEEEZZNS1_9scan_implILNS1_25lookback_scan_determinismE0ELb0ELb0ES3_PKS6_PS6_S6_ZZZN2at6native31launch_logcumsumexp_cuda_kernelERKNSD_10TensorBaseESH_lENKUlvE_clEvENKUlvE3_clEvEUlS6_S6_E_S6_EEDaPvRmT3_T4_T5_mT6_P12ihipStream_tbENKUlT_T0_E_clISt17integral_constantIbLb0EESX_IbLb1EEEEDaST_SU_EUlST_E0_NS1_11comp_targetILNS1_3genE9ELNS1_11target_archE1100ELNS1_3gpuE3ELNS1_3repE0EEENS1_30default_config_static_selectorELNS0_4arch9wavefront6targetE0EEEvT1_,"axG",@progbits,_ZN7rocprim17ROCPRIM_400000_NS6detail17trampoline_kernelINS0_14default_configENS1_20scan_config_selectorIN3c104HalfEEEZZNS1_9scan_implILNS1_25lookback_scan_determinismE0ELb0ELb0ES3_PKS6_PS6_S6_ZZZN2at6native31launch_logcumsumexp_cuda_kernelERKNSD_10TensorBaseESH_lENKUlvE_clEvENKUlvE3_clEvEUlS6_S6_E_S6_EEDaPvRmT3_T4_T5_mT6_P12ihipStream_tbENKUlT_T0_E_clISt17integral_constantIbLb0EESX_IbLb1EEEEDaST_SU_EUlST_E0_NS1_11comp_targetILNS1_3genE9ELNS1_11target_archE1100ELNS1_3gpuE3ELNS1_3repE0EEENS1_30default_config_static_selectorELNS0_4arch9wavefront6targetE0EEEvT1_,comdat
	.globl	_ZN7rocprim17ROCPRIM_400000_NS6detail17trampoline_kernelINS0_14default_configENS1_20scan_config_selectorIN3c104HalfEEEZZNS1_9scan_implILNS1_25lookback_scan_determinismE0ELb0ELb0ES3_PKS6_PS6_S6_ZZZN2at6native31launch_logcumsumexp_cuda_kernelERKNSD_10TensorBaseESH_lENKUlvE_clEvENKUlvE3_clEvEUlS6_S6_E_S6_EEDaPvRmT3_T4_T5_mT6_P12ihipStream_tbENKUlT_T0_E_clISt17integral_constantIbLb0EESX_IbLb1EEEEDaST_SU_EUlST_E0_NS1_11comp_targetILNS1_3genE9ELNS1_11target_archE1100ELNS1_3gpuE3ELNS1_3repE0EEENS1_30default_config_static_selectorELNS0_4arch9wavefront6targetE0EEEvT1_ ; -- Begin function _ZN7rocprim17ROCPRIM_400000_NS6detail17trampoline_kernelINS0_14default_configENS1_20scan_config_selectorIN3c104HalfEEEZZNS1_9scan_implILNS1_25lookback_scan_determinismE0ELb0ELb0ES3_PKS6_PS6_S6_ZZZN2at6native31launch_logcumsumexp_cuda_kernelERKNSD_10TensorBaseESH_lENKUlvE_clEvENKUlvE3_clEvEUlS6_S6_E_S6_EEDaPvRmT3_T4_T5_mT6_P12ihipStream_tbENKUlT_T0_E_clISt17integral_constantIbLb0EESX_IbLb1EEEEDaST_SU_EUlST_E0_NS1_11comp_targetILNS1_3genE9ELNS1_11target_archE1100ELNS1_3gpuE3ELNS1_3repE0EEENS1_30default_config_static_selectorELNS0_4arch9wavefront6targetE0EEEvT1_
	.p2align	8
	.type	_ZN7rocprim17ROCPRIM_400000_NS6detail17trampoline_kernelINS0_14default_configENS1_20scan_config_selectorIN3c104HalfEEEZZNS1_9scan_implILNS1_25lookback_scan_determinismE0ELb0ELb0ES3_PKS6_PS6_S6_ZZZN2at6native31launch_logcumsumexp_cuda_kernelERKNSD_10TensorBaseESH_lENKUlvE_clEvENKUlvE3_clEvEUlS6_S6_E_S6_EEDaPvRmT3_T4_T5_mT6_P12ihipStream_tbENKUlT_T0_E_clISt17integral_constantIbLb0EESX_IbLb1EEEEDaST_SU_EUlST_E0_NS1_11comp_targetILNS1_3genE9ELNS1_11target_archE1100ELNS1_3gpuE3ELNS1_3repE0EEENS1_30default_config_static_selectorELNS0_4arch9wavefront6targetE0EEEvT1_,@function
_ZN7rocprim17ROCPRIM_400000_NS6detail17trampoline_kernelINS0_14default_configENS1_20scan_config_selectorIN3c104HalfEEEZZNS1_9scan_implILNS1_25lookback_scan_determinismE0ELb0ELb0ES3_PKS6_PS6_S6_ZZZN2at6native31launch_logcumsumexp_cuda_kernelERKNSD_10TensorBaseESH_lENKUlvE_clEvENKUlvE3_clEvEUlS6_S6_E_S6_EEDaPvRmT3_T4_T5_mT6_P12ihipStream_tbENKUlT_T0_E_clISt17integral_constantIbLb0EESX_IbLb1EEEEDaST_SU_EUlST_E0_NS1_11comp_targetILNS1_3genE9ELNS1_11target_archE1100ELNS1_3gpuE3ELNS1_3repE0EEENS1_30default_config_static_selectorELNS0_4arch9wavefront6targetE0EEEvT1_: ; @_ZN7rocprim17ROCPRIM_400000_NS6detail17trampoline_kernelINS0_14default_configENS1_20scan_config_selectorIN3c104HalfEEEZZNS1_9scan_implILNS1_25lookback_scan_determinismE0ELb0ELb0ES3_PKS6_PS6_S6_ZZZN2at6native31launch_logcumsumexp_cuda_kernelERKNSD_10TensorBaseESH_lENKUlvE_clEvENKUlvE3_clEvEUlS6_S6_E_S6_EEDaPvRmT3_T4_T5_mT6_P12ihipStream_tbENKUlT_T0_E_clISt17integral_constantIbLb0EESX_IbLb1EEEEDaST_SU_EUlST_E0_NS1_11comp_targetILNS1_3genE9ELNS1_11target_archE1100ELNS1_3gpuE3ELNS1_3repE0EEENS1_30default_config_static_selectorELNS0_4arch9wavefront6targetE0EEEvT1_
; %bb.0:
	s_load_b128 s[24:27], s[0:1], 0x0
	v_dual_mov_b32 v1, 0 :: v_dual_lshlrev_b32 v12, 1, v0
	s_waitcnt lgkmcnt(0)
	global_load_u16 v2, v1, s[24:25]
	v_cmp_gt_u32_e32 vcc_lo, s26, v0
	s_waitcnt vmcnt(0)
	v_mov_b32_e32 v3, v2
	s_and_saveexec_b32 s2, vcc_lo
	s_cbranch_execz .LBB440_2
; %bb.1:
	global_load_u16 v3, v12, s[24:25]
.LBB440_2:
	s_or_b32 exec_lo, exec_lo, s2
	v_or_b32_e32 v1, 64, v0
	v_mov_b32_e32 v4, v2
	s_delay_alu instid0(VALU_DEP_2) | instskip(NEXT) | instid1(VALU_DEP_1)
	v_cmp_gt_u32_e64 s2, s26, v1
	s_and_saveexec_b32 s3, s2
	s_cbranch_execz .LBB440_4
; %bb.3:
	global_load_u16 v4, v12, s[24:25] offset:128
.LBB440_4:
	s_or_b32 exec_lo, exec_lo, s3
	v_or_b32_e32 v1, 0x80, v0
	v_mov_b32_e32 v5, v2
	s_delay_alu instid0(VALU_DEP_2) | instskip(NEXT) | instid1(VALU_DEP_1)
	v_cmp_gt_u32_e64 s3, s26, v1
	s_and_saveexec_b32 s4, s3
	s_cbranch_execz .LBB440_6
; %bb.5:
	global_load_u16 v5, v12, s[24:25] offset:256
.LBB440_6:
	;; [unrolled: 10-line block ×20, first 2 shown]
	s_or_b32 exec_lo, exec_lo, s22
	v_or_b32_e32 v1, 0x540, v0
	s_delay_alu instid0(VALU_DEP_1) | instskip(SKIP_1) | instid1(VALU_DEP_1)
	v_cmp_gt_u32_e64 s22, s26, v1
	v_cmp_le_u32_e64 s23, s26, v1
	s_and_saveexec_b32 s26, s23
	s_delay_alu instid0(SALU_CYCLE_1)
	s_xor_b32 s23, exec_lo, s26
; %bb.43:
	v_mov_b32_e32 v1, 0
; %bb.44:
	s_and_not1_saveexec_b32 s23, s23
	s_cbranch_execz .LBB440_46
; %bb.45:
	global_load_u16 v2, v12, s[24:25] offset:2688
	v_mov_b32_e32 v1, 0
.LBB440_46:
	s_or_b32 exec_lo, exec_lo, s23
	s_waitcnt vmcnt(0)
	ds_store_b16 v12, v3
	ds_store_b16 v12, v4 offset:128
	ds_store_b16 v12, v5 offset:256
	;; [unrolled: 1-line block ×15, first 2 shown]
	v_mad_u32_u24 v15, v0, 42, v12
	ds_store_b16 v12, v20 offset:2048
	ds_store_b16 v12, v21 offset:2176
	;; [unrolled: 1-line block ×6, first 2 shown]
	s_waitcnt lgkmcnt(0)
	s_barrier
	buffer_gl0_inv
	ds_load_2addr_b32 v[2:3], v15 offset1:1
	ds_load_2addr_b32 v[10:11], v15 offset0:2 offset1:3
	ds_load_2addr_b32 v[8:9], v15 offset0:4 offset1:5
	ds_load_2addr_b32 v[6:7], v15 offset0:6 offset1:7
	ds_load_2addr_b32 v[4:5], v15 offset0:8 offset1:9
	ds_load_b32 v25, v15 offset:40
	s_waitcnt lgkmcnt(0)
	s_barrier
	buffer_gl0_inv
	v_lshrrev_b32_e32 v16, 16, v2
	v_cvt_f32_f16_e32 v13, v2
	v_cmp_u_f16_e64 s45, v2, v2
	v_mov_b32_e32 v28, v2
	v_mov_b32_e32 v29, v2
	v_cvt_f32_f16_e32 v14, v16
	v_cmp_u_f16_e64 s23, v16, v16
	v_mov_b32_e32 v30, v13
	s_delay_alu instid0(VALU_DEP_3) | instskip(SKIP_1) | instid1(VALU_DEP_2)
	v_min_f32_e32 v26, v13, v14
	v_max_f32_e32 v27, v13, v14
	v_cndmask_b32_e64 v15, v26, v13, s45
	s_delay_alu instid0(VALU_DEP_2) | instskip(NEXT) | instid1(VALU_DEP_2)
	v_cndmask_b32_e64 v17, v27, v13, s45
	v_cndmask_b32_e64 v16, v15, v14, s23
	s_delay_alu instid0(VALU_DEP_2) | instskip(NEXT) | instid1(VALU_DEP_2)
	v_cndmask_b32_e64 v15, v17, v14, s23
	v_cmp_class_f32_e64 s25, v16, 0x1f8
	s_delay_alu instid0(VALU_DEP_2) | instskip(NEXT) | instid1(VALU_DEP_1)
	v_cmp_neq_f32_e64 s24, v16, v15
	s_or_b32 s24, s24, s25
	s_delay_alu instid0(SALU_CYCLE_1)
	s_and_saveexec_b32 s25, s24
	s_cbranch_execz .LBB440_48
; %bb.47:
	v_sub_f32_e32 v16, v16, v15
	s_delay_alu instid0(VALU_DEP_1) | instskip(NEXT) | instid1(VALU_DEP_1)
	v_mul_f32_e32 v17, 0x3fb8aa3b, v16
	v_fma_f32 v18, 0x3fb8aa3b, v16, -v17
	v_rndne_f32_e32 v19, v17
	s_delay_alu instid0(VALU_DEP_1) | instskip(NEXT) | instid1(VALU_DEP_1)
	v_dual_fmamk_f32 v18, v16, 0x32a5705f, v18 :: v_dual_sub_f32 v17, v17, v19
	v_add_f32_e32 v17, v17, v18
	v_cvt_i32_f32_e32 v18, v19
	v_cmp_ngt_f32_e64 s24, 0xc2ce8ed0, v16
	s_delay_alu instid0(VALU_DEP_3) | instskip(SKIP_2) | instid1(VALU_DEP_1)
	v_exp_f32_e32 v17, v17
	s_waitcnt_depctr 0xfff
	v_ldexp_f32 v17, v17, v18
	v_cndmask_b32_e64 v17, 0, v17, s24
	v_cmp_nlt_f32_e64 s24, 0x42b17218, v16
	s_delay_alu instid0(VALU_DEP_1) | instskip(NEXT) | instid1(VALU_DEP_1)
	v_cndmask_b32_e64 v18, 0x7f800000, v17, s24
	v_add_f32_e32 v19, 1.0, v18
	v_cmp_gt_f32_e64 s26, 0x33800000, |v18|
	s_delay_alu instid0(VALU_DEP_2) | instskip(NEXT) | instid1(VALU_DEP_1)
	v_cvt_f64_f32_e32 v[16:17], v19
	v_frexp_exp_i32_f64_e32 v16, v[16:17]
	v_frexp_mant_f32_e32 v17, v19
	s_delay_alu instid0(VALU_DEP_1) | instskip(SKIP_1) | instid1(VALU_DEP_1)
	v_cmp_gt_f32_e64 s24, 0x3f2aaaab, v17
	v_add_f32_e32 v17, -1.0, v19
	v_sub_f32_e32 v21, v17, v19
	s_delay_alu instid0(VALU_DEP_1) | instskip(NEXT) | instid1(VALU_DEP_4)
	v_add_f32_e32 v21, 1.0, v21
	v_subrev_co_ci_u32_e64 v16, s24, 0, v16, s24
	s_mov_b32 s24, 0x3e9b6dac
	s_delay_alu instid0(VALU_DEP_1) | instskip(SKIP_1) | instid1(VALU_DEP_2)
	v_sub_nc_u32_e32 v20, 0, v16
	v_cvt_f32_i32_e32 v16, v16
	v_ldexp_f32 v19, v19, v20
	s_delay_alu instid0(VALU_DEP_1) | instskip(NEXT) | instid1(VALU_DEP_1)
	v_dual_sub_f32 v17, v18, v17 :: v_dual_add_f32 v22, 1.0, v19
	v_add_f32_e32 v17, v17, v21
	s_delay_alu instid0(VALU_DEP_2) | instskip(NEXT) | instid1(VALU_DEP_2)
	v_add_f32_e32 v21, -1.0, v22
	v_ldexp_f32 v17, v17, v20
	s_delay_alu instid0(VALU_DEP_2) | instskip(NEXT) | instid1(VALU_DEP_1)
	v_dual_add_f32 v20, -1.0, v19 :: v_dual_sub_f32 v21, v19, v21
	v_add_f32_e32 v23, 1.0, v20
	s_delay_alu instid0(VALU_DEP_2) | instskip(NEXT) | instid1(VALU_DEP_2)
	v_add_f32_e32 v21, v17, v21
	v_sub_f32_e32 v19, v19, v23
	s_delay_alu instid0(VALU_DEP_2) | instskip(NEXT) | instid1(VALU_DEP_2)
	v_add_f32_e32 v23, v22, v21
	v_add_f32_e32 v17, v17, v19
	s_delay_alu instid0(VALU_DEP_2) | instskip(SKIP_1) | instid1(VALU_DEP_1)
	v_rcp_f32_e32 v19, v23
	v_sub_f32_e32 v22, v22, v23
	v_dual_add_f32 v24, v20, v17 :: v_dual_add_f32 v21, v21, v22
	s_delay_alu instid0(VALU_DEP_1) | instskip(SKIP_2) | instid1(VALU_DEP_1)
	v_sub_f32_e32 v20, v20, v24
	s_waitcnt_depctr 0xfff
	v_dual_mul_f32 v28, v24, v19 :: v_dual_add_f32 v17, v17, v20
	v_mul_f32_e32 v29, v23, v28
	s_delay_alu instid0(VALU_DEP_1) | instskip(NEXT) | instid1(VALU_DEP_1)
	v_fma_f32 v22, v28, v23, -v29
	v_fmac_f32_e32 v22, v28, v21
	s_delay_alu instid0(VALU_DEP_1) | instskip(NEXT) | instid1(VALU_DEP_1)
	v_add_f32_e32 v30, v29, v22
	v_dual_sub_f32 v31, v24, v30 :: v_dual_sub_f32 v20, v30, v29
	s_delay_alu instid0(VALU_DEP_1) | instskip(NEXT) | instid1(VALU_DEP_2)
	v_sub_f32_e32 v24, v24, v31
	v_sub_f32_e32 v20, v20, v22
	s_delay_alu instid0(VALU_DEP_2) | instskip(NEXT) | instid1(VALU_DEP_1)
	v_sub_f32_e32 v24, v24, v30
	v_add_f32_e32 v17, v17, v24
	s_delay_alu instid0(VALU_DEP_1) | instskip(NEXT) | instid1(VALU_DEP_1)
	v_add_f32_e32 v17, v20, v17
	v_add_f32_e32 v20, v31, v17
	s_delay_alu instid0(VALU_DEP_1) | instskip(NEXT) | instid1(VALU_DEP_1)
	v_mul_f32_e32 v22, v19, v20
	v_mul_f32_e32 v24, v23, v22
	s_delay_alu instid0(VALU_DEP_1) | instskip(NEXT) | instid1(VALU_DEP_1)
	v_fma_f32 v23, v22, v23, -v24
	v_fmac_f32_e32 v23, v22, v21
	s_delay_alu instid0(VALU_DEP_1) | instskip(NEXT) | instid1(VALU_DEP_1)
	v_add_f32_e32 v21, v24, v23
	v_dual_sub_f32 v29, v20, v21 :: v_dual_sub_f32 v24, v21, v24
	v_sub_f32_e32 v30, v31, v20
	s_delay_alu instid0(VALU_DEP_1) | instskip(NEXT) | instid1(VALU_DEP_1)
	v_dual_sub_f32 v20, v20, v29 :: v_dual_add_f32 v17, v17, v30
	v_sub_f32_e32 v20, v20, v21
	s_delay_alu instid0(VALU_DEP_4) | instskip(NEXT) | instid1(VALU_DEP_2)
	v_sub_f32_e32 v21, v24, v23
	v_dual_add_f32 v17, v17, v20 :: v_dual_add_f32 v20, v28, v22
	s_delay_alu instid0(VALU_DEP_1) | instskip(NEXT) | instid1(VALU_DEP_2)
	v_add_f32_e32 v17, v21, v17
	v_sub_f32_e32 v21, v20, v28
	s_delay_alu instid0(VALU_DEP_2) | instskip(NEXT) | instid1(VALU_DEP_2)
	v_add_f32_e32 v17, v29, v17
	v_sub_f32_e32 v21, v22, v21
	s_delay_alu instid0(VALU_DEP_2) | instskip(NEXT) | instid1(VALU_DEP_1)
	v_mul_f32_e32 v17, v19, v17
	v_add_f32_e32 v17, v21, v17
	s_delay_alu instid0(VALU_DEP_1) | instskip(NEXT) | instid1(VALU_DEP_1)
	v_add_f32_e32 v19, v20, v17
	v_mul_f32_e32 v21, v19, v19
	s_delay_alu instid0(VALU_DEP_1) | instskip(SKIP_2) | instid1(VALU_DEP_3)
	v_fmaak_f32 v22, s24, v21, 0x3ecc95a3
	v_mul_f32_e32 v23, v19, v21
	v_cmp_eq_f32_e64 s24, 0x7f800000, v18
	v_fmaak_f32 v21, v21, v22, 0x3f2aaada
	v_ldexp_f32 v22, v19, 1
	v_sub_f32_e32 v19, v19, v20
	s_delay_alu instid0(VALU_DEP_4) | instskip(NEXT) | instid1(VALU_DEP_3)
	s_or_b32 s24, s24, s26
	v_mul_f32_e32 v21, v23, v21
	s_delay_alu instid0(VALU_DEP_1) | instskip(NEXT) | instid1(VALU_DEP_1)
	v_dual_sub_f32 v17, v17, v19 :: v_dual_add_f32 v20, v22, v21
	v_ldexp_f32 v17, v17, 1
	s_delay_alu instid0(VALU_DEP_2) | instskip(NEXT) | instid1(VALU_DEP_1)
	v_sub_f32_e32 v19, v20, v22
	v_sub_f32_e32 v19, v21, v19
	s_delay_alu instid0(VALU_DEP_1) | instskip(NEXT) | instid1(VALU_DEP_1)
	v_add_f32_e32 v17, v17, v19
	v_add_f32_e32 v21, v20, v17
	v_mul_f32_e32 v23, 0x3f317218, v16
	s_delay_alu instid0(VALU_DEP_2) | instskip(NEXT) | instid1(VALU_DEP_2)
	v_sub_f32_e32 v20, v21, v20
	v_fma_f32 v22, 0x3f317218, v16, -v23
	s_delay_alu instid0(VALU_DEP_1) | instskip(NEXT) | instid1(VALU_DEP_1)
	v_dual_sub_f32 v17, v17, v20 :: v_dual_fmamk_f32 v16, v16, 0xb102e308, v22
	v_add_f32_e32 v19, v23, v16
	s_delay_alu instid0(VALU_DEP_1) | instskip(SKIP_1) | instid1(VALU_DEP_2)
	v_add_f32_e32 v22, v19, v21
	v_sub_f32_e32 v23, v19, v23
	v_sub_f32_e32 v24, v22, v19
	s_delay_alu instid0(VALU_DEP_2) | instskip(NEXT) | instid1(VALU_DEP_2)
	v_sub_f32_e32 v16, v16, v23
	v_sub_f32_e32 v28, v22, v24
	s_delay_alu instid0(VALU_DEP_2) | instskip(NEXT) | instid1(VALU_DEP_2)
	v_dual_sub_f32 v20, v21, v24 :: v_dual_add_f32 v21, v16, v17
	v_sub_f32_e32 v19, v19, v28
	s_delay_alu instid0(VALU_DEP_1) | instskip(NEXT) | instid1(VALU_DEP_1)
	v_dual_add_f32 v19, v20, v19 :: v_dual_sub_f32 v20, v21, v16
	v_add_f32_e32 v19, v21, v19
	s_delay_alu instid0(VALU_DEP_2) | instskip(SKIP_1) | instid1(VALU_DEP_2)
	v_sub_f32_e32 v21, v21, v20
	v_sub_f32_e32 v17, v17, v20
	v_dual_add_f32 v23, v22, v19 :: v_dual_sub_f32 v16, v16, v21
	s_delay_alu instid0(VALU_DEP_1) | instskip(NEXT) | instid1(VALU_DEP_2)
	v_sub_f32_e32 v20, v23, v22
	v_add_f32_e32 v16, v17, v16
	s_delay_alu instid0(VALU_DEP_2) | instskip(NEXT) | instid1(VALU_DEP_1)
	v_sub_f32_e32 v17, v19, v20
	v_add_f32_e32 v16, v16, v17
	s_delay_alu instid0(VALU_DEP_1) | instskip(NEXT) | instid1(VALU_DEP_1)
	v_add_f32_e32 v16, v23, v16
	v_cndmask_b32_e64 v16, v16, v18, s24
	s_delay_alu instid0(VALU_DEP_1) | instskip(NEXT) | instid1(VALU_DEP_1)
	v_add_f32_e32 v15, v15, v16
	v_cvt_f16_f32_e32 v28, v15
	s_delay_alu instid0(VALU_DEP_1)
	v_cvt_f32_f16_e32 v30, v28
	v_mov_b32_e32 v29, v28
.LBB440_48:
	s_or_b32 exec_lo, exec_lo, s25
	v_cvt_f32_f16_e32 v15, v3
	s_delay_alu instid0(VALU_DEP_3) | instskip(SKIP_1) | instid1(VALU_DEP_2)
	v_max_f32_e32 v16, v30, v30
	v_cmp_u_f16_e64 s24, v28, v28
	v_min_f32_e32 v17, v16, v15
	v_max_f32_e32 v16, v16, v15
	s_delay_alu instid0(VALU_DEP_2) | instskip(NEXT) | instid1(VALU_DEP_2)
	v_cndmask_b32_e64 v17, v17, v30, s24
	v_cndmask_b32_e64 v16, v16, v30, s24
	v_cmp_u_f16_e64 s24, v3, v3
	s_delay_alu instid0(VALU_DEP_1) | instskip(NEXT) | instid1(VALU_DEP_3)
	v_cndmask_b32_e64 v17, v17, v15, s24
	v_cndmask_b32_e64 v16, v16, v15, s24
	s_delay_alu instid0(VALU_DEP_2) | instskip(NEXT) | instid1(VALU_DEP_2)
	v_cmp_class_f32_e64 s26, v17, 0x1f8
	v_cmp_neq_f32_e64 s25, v17, v16
	s_delay_alu instid0(VALU_DEP_1) | instskip(NEXT) | instid1(SALU_CYCLE_1)
	s_or_b32 s25, s25, s26
	s_and_saveexec_b32 s26, s25
	s_cbranch_execz .LBB440_50
; %bb.49:
	v_sub_f32_e32 v17, v17, v16
	s_delay_alu instid0(VALU_DEP_1) | instskip(NEXT) | instid1(VALU_DEP_1)
	v_mul_f32_e32 v18, 0x3fb8aa3b, v17
	v_fma_f32 v19, 0x3fb8aa3b, v17, -v18
	v_rndne_f32_e32 v20, v18
	s_delay_alu instid0(VALU_DEP_1) | instskip(NEXT) | instid1(VALU_DEP_1)
	v_dual_fmamk_f32 v19, v17, 0x32a5705f, v19 :: v_dual_sub_f32 v18, v18, v20
	v_add_f32_e32 v18, v18, v19
	v_cvt_i32_f32_e32 v19, v20
	v_cmp_ngt_f32_e64 s25, 0xc2ce8ed0, v17
	s_delay_alu instid0(VALU_DEP_3) | instskip(SKIP_2) | instid1(VALU_DEP_1)
	v_exp_f32_e32 v18, v18
	s_waitcnt_depctr 0xfff
	v_ldexp_f32 v18, v18, v19
	v_cndmask_b32_e64 v18, 0, v18, s25
	v_cmp_nlt_f32_e64 s25, 0x42b17218, v17
	s_delay_alu instid0(VALU_DEP_1) | instskip(NEXT) | instid1(VALU_DEP_1)
	v_cndmask_b32_e64 v19, 0x7f800000, v18, s25
	v_add_f32_e32 v20, 1.0, v19
	v_cmp_gt_f32_e64 s27, 0x33800000, |v19|
	s_delay_alu instid0(VALU_DEP_2) | instskip(NEXT) | instid1(VALU_DEP_1)
	v_cvt_f64_f32_e32 v[17:18], v20
	v_frexp_exp_i32_f64_e32 v17, v[17:18]
	v_frexp_mant_f32_e32 v18, v20
	s_delay_alu instid0(VALU_DEP_1) | instskip(SKIP_1) | instid1(VALU_DEP_1)
	v_cmp_gt_f32_e64 s25, 0x3f2aaaab, v18
	v_add_f32_e32 v18, -1.0, v20
	v_sub_f32_e32 v22, v18, v20
	s_delay_alu instid0(VALU_DEP_1) | instskip(NEXT) | instid1(VALU_DEP_4)
	v_add_f32_e32 v22, 1.0, v22
	v_subrev_co_ci_u32_e64 v17, s25, 0, v17, s25
	s_mov_b32 s25, 0x3e9b6dac
	s_delay_alu instid0(VALU_DEP_1) | instskip(SKIP_1) | instid1(VALU_DEP_2)
	v_sub_nc_u32_e32 v21, 0, v17
	v_cvt_f32_i32_e32 v17, v17
	v_ldexp_f32 v20, v20, v21
	s_delay_alu instid0(VALU_DEP_1) | instskip(NEXT) | instid1(VALU_DEP_1)
	v_dual_sub_f32 v18, v19, v18 :: v_dual_add_f32 v23, 1.0, v20
	v_add_f32_e32 v18, v18, v22
	s_delay_alu instid0(VALU_DEP_2) | instskip(NEXT) | instid1(VALU_DEP_2)
	v_add_f32_e32 v22, -1.0, v23
	v_ldexp_f32 v18, v18, v21
	s_delay_alu instid0(VALU_DEP_2) | instskip(NEXT) | instid1(VALU_DEP_1)
	v_dual_add_f32 v21, -1.0, v20 :: v_dual_sub_f32 v22, v20, v22
	v_add_f32_e32 v24, 1.0, v21
	s_delay_alu instid0(VALU_DEP_2) | instskip(NEXT) | instid1(VALU_DEP_2)
	v_add_f32_e32 v22, v18, v22
	v_sub_f32_e32 v20, v20, v24
	s_delay_alu instid0(VALU_DEP_2) | instskip(NEXT) | instid1(VALU_DEP_2)
	v_add_f32_e32 v24, v23, v22
	v_add_f32_e32 v18, v18, v20
	s_delay_alu instid0(VALU_DEP_2) | instskip(NEXT) | instid1(VALU_DEP_1)
	v_rcp_f32_e32 v20, v24
	v_dual_sub_f32 v23, v23, v24 :: v_dual_add_f32 v28, v21, v18
	s_delay_alu instid0(VALU_DEP_1) | instskip(SKIP_2) | instid1(VALU_DEP_1)
	v_dual_add_f32 v22, v22, v23 :: v_dual_sub_f32 v21, v21, v28
	s_waitcnt_depctr 0xfff
	v_dual_mul_f32 v29, v28, v20 :: v_dual_add_f32 v18, v18, v21
	v_mul_f32_e32 v30, v24, v29
	s_delay_alu instid0(VALU_DEP_1) | instskip(NEXT) | instid1(VALU_DEP_1)
	v_fma_f32 v23, v29, v24, -v30
	v_fmac_f32_e32 v23, v29, v22
	s_delay_alu instid0(VALU_DEP_1) | instskip(NEXT) | instid1(VALU_DEP_1)
	v_add_f32_e32 v31, v30, v23
	v_dual_sub_f32 v32, v28, v31 :: v_dual_sub_f32 v21, v31, v30
	s_delay_alu instid0(VALU_DEP_1) | instskip(NEXT) | instid1(VALU_DEP_1)
	v_dual_sub_f32 v28, v28, v32 :: v_dual_sub_f32 v21, v21, v23
	v_sub_f32_e32 v28, v28, v31
	s_delay_alu instid0(VALU_DEP_1) | instskip(NEXT) | instid1(VALU_DEP_1)
	v_add_f32_e32 v18, v18, v28
	v_add_f32_e32 v18, v21, v18
	s_delay_alu instid0(VALU_DEP_1) | instskip(NEXT) | instid1(VALU_DEP_1)
	v_add_f32_e32 v21, v32, v18
	v_mul_f32_e32 v23, v20, v21
	v_sub_f32_e32 v31, v32, v21
	s_delay_alu instid0(VALU_DEP_2) | instskip(NEXT) | instid1(VALU_DEP_2)
	v_mul_f32_e32 v28, v24, v23
	v_add_f32_e32 v18, v18, v31
	s_delay_alu instid0(VALU_DEP_2) | instskip(NEXT) | instid1(VALU_DEP_1)
	v_fma_f32 v24, v23, v24, -v28
	v_fmac_f32_e32 v24, v23, v22
	s_delay_alu instid0(VALU_DEP_1) | instskip(NEXT) | instid1(VALU_DEP_1)
	v_add_f32_e32 v22, v28, v24
	v_sub_f32_e32 v30, v21, v22
	s_delay_alu instid0(VALU_DEP_1) | instskip(NEXT) | instid1(VALU_DEP_1)
	v_dual_sub_f32 v28, v22, v28 :: v_dual_sub_f32 v21, v21, v30
	v_dual_sub_f32 v21, v21, v22 :: v_dual_sub_f32 v22, v28, v24
	s_delay_alu instid0(VALU_DEP_1) | instskip(NEXT) | instid1(VALU_DEP_1)
	v_dual_add_f32 v18, v18, v21 :: v_dual_add_f32 v21, v29, v23
	v_add_f32_e32 v18, v22, v18
	s_delay_alu instid0(VALU_DEP_2) | instskip(NEXT) | instid1(VALU_DEP_2)
	v_sub_f32_e32 v22, v21, v29
	v_add_f32_e32 v18, v30, v18
	s_delay_alu instid0(VALU_DEP_2) | instskip(NEXT) | instid1(VALU_DEP_2)
	v_sub_f32_e32 v22, v23, v22
	v_mul_f32_e32 v18, v20, v18
	s_delay_alu instid0(VALU_DEP_1) | instskip(NEXT) | instid1(VALU_DEP_1)
	v_add_f32_e32 v18, v22, v18
	v_add_f32_e32 v20, v21, v18
	s_delay_alu instid0(VALU_DEP_1) | instskip(NEXT) | instid1(VALU_DEP_1)
	v_mul_f32_e32 v22, v20, v20
	v_fmaak_f32 v23, s25, v22, 0x3ecc95a3
	v_mul_f32_e32 v24, v20, v22
	v_cmp_eq_f32_e64 s25, 0x7f800000, v19
	s_delay_alu instid0(VALU_DEP_3) | instskip(SKIP_2) | instid1(VALU_DEP_4)
	v_fmaak_f32 v22, v22, v23, 0x3f2aaada
	v_ldexp_f32 v23, v20, 1
	v_sub_f32_e32 v20, v20, v21
	s_or_b32 s25, s25, s27
	s_delay_alu instid0(VALU_DEP_3) | instskip(SKIP_1) | instid1(VALU_DEP_2)
	v_mul_f32_e32 v22, v24, v22
	v_mul_f32_e32 v24, 0x3f317218, v17
	v_dual_sub_f32 v18, v18, v20 :: v_dual_add_f32 v21, v23, v22
	s_delay_alu instid0(VALU_DEP_1) | instskip(NEXT) | instid1(VALU_DEP_2)
	v_ldexp_f32 v18, v18, 1
	v_sub_f32_e32 v20, v21, v23
	s_delay_alu instid0(VALU_DEP_4) | instskip(NEXT) | instid1(VALU_DEP_1)
	v_fma_f32 v23, 0x3f317218, v17, -v24
	v_dual_sub_f32 v20, v22, v20 :: v_dual_fmamk_f32 v17, v17, 0xb102e308, v23
	s_delay_alu instid0(VALU_DEP_1) | instskip(NEXT) | instid1(VALU_DEP_2)
	v_add_f32_e32 v18, v18, v20
	v_add_f32_e32 v20, v24, v17
	s_delay_alu instid0(VALU_DEP_2) | instskip(NEXT) | instid1(VALU_DEP_2)
	v_add_f32_e32 v22, v21, v18
	v_sub_f32_e32 v24, v20, v24
	s_delay_alu instid0(VALU_DEP_2) | instskip(SKIP_1) | instid1(VALU_DEP_3)
	v_add_f32_e32 v23, v20, v22
	v_sub_f32_e32 v21, v22, v21
	v_sub_f32_e32 v17, v17, v24
	s_delay_alu instid0(VALU_DEP_3) | instskip(NEXT) | instid1(VALU_DEP_1)
	v_sub_f32_e32 v28, v23, v20
	v_dual_sub_f32 v18, v18, v21 :: v_dual_sub_f32 v29, v23, v28
	s_delay_alu instid0(VALU_DEP_1) | instskip(NEXT) | instid1(VALU_DEP_2)
	v_dual_sub_f32 v21, v22, v28 :: v_dual_add_f32 v22, v17, v18
	v_sub_f32_e32 v20, v20, v29
	s_delay_alu instid0(VALU_DEP_1) | instskip(NEXT) | instid1(VALU_DEP_1)
	v_dual_add_f32 v20, v21, v20 :: v_dual_sub_f32 v21, v22, v17
	v_add_f32_e32 v20, v22, v20
	s_delay_alu instid0(VALU_DEP_2) | instskip(SKIP_1) | instid1(VALU_DEP_2)
	v_sub_f32_e32 v22, v22, v21
	v_sub_f32_e32 v18, v18, v21
	v_dual_add_f32 v24, v23, v20 :: v_dual_sub_f32 v17, v17, v22
	s_delay_alu instid0(VALU_DEP_1) | instskip(NEXT) | instid1(VALU_DEP_2)
	v_sub_f32_e32 v21, v24, v23
	v_add_f32_e32 v17, v18, v17
	s_delay_alu instid0(VALU_DEP_2) | instskip(NEXT) | instid1(VALU_DEP_1)
	v_sub_f32_e32 v18, v20, v21
	v_add_f32_e32 v17, v17, v18
	s_delay_alu instid0(VALU_DEP_1) | instskip(NEXT) | instid1(VALU_DEP_1)
	v_add_f32_e32 v17, v24, v17
	v_cndmask_b32_e64 v17, v17, v19, s25
	s_delay_alu instid0(VALU_DEP_1) | instskip(NEXT) | instid1(VALU_DEP_1)
	v_add_f32_e32 v16, v16, v17
	v_cvt_f16_f32_e32 v28, v16
	s_delay_alu instid0(VALU_DEP_1)
	v_mov_b32_e32 v29, v28
	v_cvt_f32_f16_e32 v30, v28
.LBB440_50:
	s_or_b32 exec_lo, exec_lo, s26
	v_lshrrev_b32_e32 v3, 16, v3
	s_delay_alu instid0(VALU_DEP_2) | instskip(SKIP_1) | instid1(VALU_DEP_3)
	v_max_f32_e32 v17, v30, v30
	v_cmp_u_f16_e64 s25, v28, v28
	v_cvt_f32_f16_e32 v16, v3
	s_delay_alu instid0(VALU_DEP_1) | instskip(SKIP_1) | instid1(VALU_DEP_2)
	v_min_f32_e32 v18, v17, v16
	v_max_f32_e32 v17, v17, v16
	v_cndmask_b32_e64 v18, v18, v30, s25
	s_delay_alu instid0(VALU_DEP_2) | instskip(SKIP_1) | instid1(VALU_DEP_1)
	v_cndmask_b32_e64 v19, v17, v30, s25
	v_cmp_u_f16_e64 s25, v3, v3
	v_cndmask_b32_e64 v17, v18, v16, s25
	s_delay_alu instid0(VALU_DEP_3) | instskip(NEXT) | instid1(VALU_DEP_2)
	v_cndmask_b32_e64 v3, v19, v16, s25
	v_cmp_class_f32_e64 s27, v17, 0x1f8
	s_delay_alu instid0(VALU_DEP_2) | instskip(NEXT) | instid1(VALU_DEP_1)
	v_cmp_neq_f32_e64 s26, v17, v3
	s_or_b32 s26, s26, s27
	s_delay_alu instid0(SALU_CYCLE_1)
	s_and_saveexec_b32 s27, s26
	s_cbranch_execz .LBB440_52
; %bb.51:
	v_sub_f32_e32 v17, v17, v3
	s_delay_alu instid0(VALU_DEP_1) | instskip(NEXT) | instid1(VALU_DEP_1)
	v_mul_f32_e32 v18, 0x3fb8aa3b, v17
	v_fma_f32 v19, 0x3fb8aa3b, v17, -v18
	v_rndne_f32_e32 v20, v18
	s_delay_alu instid0(VALU_DEP_1) | instskip(SKIP_1) | instid1(VALU_DEP_2)
	v_dual_sub_f32 v18, v18, v20 :: v_dual_fmamk_f32 v19, v17, 0x32a5705f, v19
	v_cmp_ngt_f32_e64 s26, 0xc2ce8ed0, v17
	v_add_f32_e32 v18, v18, v19
	v_cvt_i32_f32_e32 v19, v20
	s_delay_alu instid0(VALU_DEP_2) | instskip(SKIP_2) | instid1(VALU_DEP_1)
	v_exp_f32_e32 v18, v18
	s_waitcnt_depctr 0xfff
	v_ldexp_f32 v18, v18, v19
	v_cndmask_b32_e64 v18, 0, v18, s26
	v_cmp_nlt_f32_e64 s26, 0x42b17218, v17
	s_delay_alu instid0(VALU_DEP_1) | instskip(NEXT) | instid1(VALU_DEP_1)
	v_cndmask_b32_e64 v19, 0x7f800000, v18, s26
	v_add_f32_e32 v20, 1.0, v19
	v_cmp_gt_f32_e64 s28, 0x33800000, |v19|
	s_delay_alu instid0(VALU_DEP_2) | instskip(NEXT) | instid1(VALU_DEP_1)
	v_cvt_f64_f32_e32 v[17:18], v20
	v_frexp_exp_i32_f64_e32 v17, v[17:18]
	v_frexp_mant_f32_e32 v18, v20
	s_delay_alu instid0(VALU_DEP_1) | instskip(SKIP_1) | instid1(VALU_DEP_1)
	v_cmp_gt_f32_e64 s26, 0x3f2aaaab, v18
	v_add_f32_e32 v18, -1.0, v20
	v_sub_f32_e32 v22, v18, v20
	v_sub_f32_e32 v18, v19, v18
	s_delay_alu instid0(VALU_DEP_2) | instskip(NEXT) | instid1(VALU_DEP_1)
	v_add_f32_e32 v22, 1.0, v22
	v_add_f32_e32 v18, v18, v22
	v_subrev_co_ci_u32_e64 v17, s26, 0, v17, s26
	s_mov_b32 s26, 0x3e9b6dac
	s_delay_alu instid0(VALU_DEP_1) | instskip(SKIP_1) | instid1(VALU_DEP_2)
	v_sub_nc_u32_e32 v21, 0, v17
	v_cvt_f32_i32_e32 v17, v17
	v_ldexp_f32 v20, v20, v21
	v_ldexp_f32 v18, v18, v21
	s_delay_alu instid0(VALU_DEP_2) | instskip(NEXT) | instid1(VALU_DEP_1)
	v_add_f32_e32 v23, 1.0, v20
	v_dual_add_f32 v21, -1.0, v20 :: v_dual_add_f32 v22, -1.0, v23
	s_delay_alu instid0(VALU_DEP_1) | instskip(NEXT) | instid1(VALU_DEP_2)
	v_add_f32_e32 v24, 1.0, v21
	v_sub_f32_e32 v22, v20, v22
	s_delay_alu instid0(VALU_DEP_2) | instskip(NEXT) | instid1(VALU_DEP_2)
	v_sub_f32_e32 v20, v20, v24
	v_add_f32_e32 v22, v18, v22
	s_delay_alu instid0(VALU_DEP_2) | instskip(NEXT) | instid1(VALU_DEP_2)
	v_add_f32_e32 v18, v18, v20
	v_add_f32_e32 v24, v23, v22
	s_delay_alu instid0(VALU_DEP_2) | instskip(NEXT) | instid1(VALU_DEP_2)
	v_add_f32_e32 v28, v21, v18
	v_rcp_f32_e32 v20, v24
	v_sub_f32_e32 v23, v23, v24
	s_delay_alu instid0(VALU_DEP_1) | instskip(SKIP_2) | instid1(VALU_DEP_1)
	v_dual_sub_f32 v21, v21, v28 :: v_dual_add_f32 v22, v22, v23
	s_waitcnt_depctr 0xfff
	v_dual_add_f32 v18, v18, v21 :: v_dual_mul_f32 v29, v28, v20
	v_mul_f32_e32 v30, v24, v29
	s_delay_alu instid0(VALU_DEP_1) | instskip(NEXT) | instid1(VALU_DEP_1)
	v_fma_f32 v23, v29, v24, -v30
	v_fmac_f32_e32 v23, v29, v22
	s_delay_alu instid0(VALU_DEP_1) | instskip(NEXT) | instid1(VALU_DEP_1)
	v_add_f32_e32 v31, v30, v23
	v_dual_sub_f32 v32, v28, v31 :: v_dual_sub_f32 v21, v31, v30
	s_delay_alu instid0(VALU_DEP_1) | instskip(NEXT) | instid1(VALU_DEP_1)
	v_dual_sub_f32 v28, v28, v32 :: v_dual_sub_f32 v21, v21, v23
	v_sub_f32_e32 v28, v28, v31
	s_delay_alu instid0(VALU_DEP_1) | instskip(NEXT) | instid1(VALU_DEP_1)
	v_add_f32_e32 v18, v18, v28
	v_add_f32_e32 v18, v21, v18
	s_delay_alu instid0(VALU_DEP_1) | instskip(NEXT) | instid1(VALU_DEP_1)
	v_add_f32_e32 v21, v32, v18
	v_mul_f32_e32 v23, v20, v21
	v_sub_f32_e32 v31, v32, v21
	s_delay_alu instid0(VALU_DEP_2) | instskip(NEXT) | instid1(VALU_DEP_2)
	v_mul_f32_e32 v28, v24, v23
	v_add_f32_e32 v18, v18, v31
	s_delay_alu instid0(VALU_DEP_2) | instskip(NEXT) | instid1(VALU_DEP_1)
	v_fma_f32 v24, v23, v24, -v28
	v_fmac_f32_e32 v24, v23, v22
	s_delay_alu instid0(VALU_DEP_1) | instskip(NEXT) | instid1(VALU_DEP_1)
	v_add_f32_e32 v22, v28, v24
	v_sub_f32_e32 v30, v21, v22
	s_delay_alu instid0(VALU_DEP_1) | instskip(NEXT) | instid1(VALU_DEP_1)
	v_dual_sub_f32 v28, v22, v28 :: v_dual_sub_f32 v21, v21, v30
	v_dual_sub_f32 v21, v21, v22 :: v_dual_sub_f32 v22, v28, v24
	s_delay_alu instid0(VALU_DEP_1) | instskip(NEXT) | instid1(VALU_DEP_1)
	v_dual_add_f32 v18, v18, v21 :: v_dual_add_f32 v21, v29, v23
	v_add_f32_e32 v18, v22, v18
	s_delay_alu instid0(VALU_DEP_2) | instskip(NEXT) | instid1(VALU_DEP_2)
	v_sub_f32_e32 v22, v21, v29
	v_add_f32_e32 v18, v30, v18
	s_delay_alu instid0(VALU_DEP_2) | instskip(NEXT) | instid1(VALU_DEP_2)
	v_sub_f32_e32 v22, v23, v22
	v_mul_f32_e32 v18, v20, v18
	s_delay_alu instid0(VALU_DEP_1) | instskip(NEXT) | instid1(VALU_DEP_1)
	v_add_f32_e32 v18, v22, v18
	v_add_f32_e32 v20, v21, v18
	s_delay_alu instid0(VALU_DEP_1) | instskip(NEXT) | instid1(VALU_DEP_1)
	v_mul_f32_e32 v22, v20, v20
	v_fmaak_f32 v23, s26, v22, 0x3ecc95a3
	v_mul_f32_e32 v24, v20, v22
	v_cmp_eq_f32_e64 s26, 0x7f800000, v19
	s_delay_alu instid0(VALU_DEP_3) | instskip(SKIP_2) | instid1(VALU_DEP_4)
	v_fmaak_f32 v22, v22, v23, 0x3f2aaada
	v_ldexp_f32 v23, v20, 1
	v_sub_f32_e32 v20, v20, v21
	s_or_b32 s26, s26, s28
	s_delay_alu instid0(VALU_DEP_3) | instskip(SKIP_1) | instid1(VALU_DEP_2)
	v_mul_f32_e32 v22, v24, v22
	v_mul_f32_e32 v24, 0x3f317218, v17
	v_dual_sub_f32 v18, v18, v20 :: v_dual_add_f32 v21, v23, v22
	s_delay_alu instid0(VALU_DEP_1) | instskip(NEXT) | instid1(VALU_DEP_2)
	v_ldexp_f32 v18, v18, 1
	v_sub_f32_e32 v20, v21, v23
	s_delay_alu instid0(VALU_DEP_4) | instskip(NEXT) | instid1(VALU_DEP_1)
	v_fma_f32 v23, 0x3f317218, v17, -v24
	v_dual_sub_f32 v20, v22, v20 :: v_dual_fmamk_f32 v17, v17, 0xb102e308, v23
	s_delay_alu instid0(VALU_DEP_1) | instskip(NEXT) | instid1(VALU_DEP_2)
	v_add_f32_e32 v18, v18, v20
	v_add_f32_e32 v20, v24, v17
	s_delay_alu instid0(VALU_DEP_2) | instskip(NEXT) | instid1(VALU_DEP_2)
	v_add_f32_e32 v22, v21, v18
	v_sub_f32_e32 v24, v20, v24
	s_delay_alu instid0(VALU_DEP_2) | instskip(SKIP_1) | instid1(VALU_DEP_3)
	v_add_f32_e32 v23, v20, v22
	v_sub_f32_e32 v21, v22, v21
	v_sub_f32_e32 v17, v17, v24
	s_delay_alu instid0(VALU_DEP_3) | instskip(NEXT) | instid1(VALU_DEP_1)
	v_sub_f32_e32 v28, v23, v20
	v_dual_sub_f32 v18, v18, v21 :: v_dual_sub_f32 v29, v23, v28
	s_delay_alu instid0(VALU_DEP_1) | instskip(NEXT) | instid1(VALU_DEP_2)
	v_dual_sub_f32 v21, v22, v28 :: v_dual_add_f32 v22, v17, v18
	v_sub_f32_e32 v20, v20, v29
	s_delay_alu instid0(VALU_DEP_1) | instskip(NEXT) | instid1(VALU_DEP_1)
	v_dual_add_f32 v20, v21, v20 :: v_dual_sub_f32 v21, v22, v17
	v_add_f32_e32 v20, v22, v20
	s_delay_alu instid0(VALU_DEP_2) | instskip(SKIP_1) | instid1(VALU_DEP_2)
	v_sub_f32_e32 v22, v22, v21
	v_sub_f32_e32 v18, v18, v21
	v_dual_add_f32 v24, v23, v20 :: v_dual_sub_f32 v17, v17, v22
	s_delay_alu instid0(VALU_DEP_1) | instskip(NEXT) | instid1(VALU_DEP_2)
	v_sub_f32_e32 v21, v24, v23
	v_add_f32_e32 v17, v18, v17
	s_delay_alu instid0(VALU_DEP_2) | instskip(NEXT) | instid1(VALU_DEP_1)
	v_sub_f32_e32 v18, v20, v21
	v_add_f32_e32 v17, v17, v18
	s_delay_alu instid0(VALU_DEP_1) | instskip(NEXT) | instid1(VALU_DEP_1)
	v_add_f32_e32 v17, v24, v17
	v_cndmask_b32_e64 v17, v17, v19, s26
	s_delay_alu instid0(VALU_DEP_1) | instskip(NEXT) | instid1(VALU_DEP_1)
	v_add_f32_e32 v3, v3, v17
	v_cvt_f16_f32_e32 v28, v3
	s_delay_alu instid0(VALU_DEP_1)
	v_mov_b32_e32 v29, v28
	v_cvt_f32_f16_e32 v30, v28
.LBB440_52:
	s_or_b32 exec_lo, exec_lo, s27
	v_cvt_f32_f16_e32 v3, v10
	s_delay_alu instid0(VALU_DEP_2) | instskip(SKIP_1) | instid1(VALU_DEP_2)
	v_max_f32_e32 v17, v30, v30
	v_cmp_u_f16_e64 s26, v28, v28
	v_min_f32_e32 v18, v17, v3
	v_max_f32_e32 v17, v17, v3
	s_delay_alu instid0(VALU_DEP_2) | instskip(NEXT) | instid1(VALU_DEP_2)
	v_cndmask_b32_e64 v18, v18, v30, s26
	v_cndmask_b32_e64 v17, v17, v30, s26
	v_cmp_u_f16_e64 s26, v10, v10
	s_delay_alu instid0(VALU_DEP_1) | instskip(NEXT) | instid1(VALU_DEP_3)
	v_cndmask_b32_e64 v18, v18, v3, s26
	v_cndmask_b32_e64 v17, v17, v3, s26
	s_delay_alu instid0(VALU_DEP_2) | instskip(NEXT) | instid1(VALU_DEP_2)
	v_cmp_class_f32_e64 s28, v18, 0x1f8
	v_cmp_neq_f32_e64 s27, v18, v17
	s_delay_alu instid0(VALU_DEP_1) | instskip(NEXT) | instid1(SALU_CYCLE_1)
	s_or_b32 s27, s27, s28
	s_and_saveexec_b32 s28, s27
	s_cbranch_execz .LBB440_54
; %bb.53:
	v_sub_f32_e32 v18, v18, v17
	s_delay_alu instid0(VALU_DEP_1) | instskip(NEXT) | instid1(VALU_DEP_1)
	v_mul_f32_e32 v19, 0x3fb8aa3b, v18
	v_fma_f32 v20, 0x3fb8aa3b, v18, -v19
	v_rndne_f32_e32 v21, v19
	s_delay_alu instid0(VALU_DEP_1) | instskip(NEXT) | instid1(VALU_DEP_1)
	v_dual_fmamk_f32 v20, v18, 0x32a5705f, v20 :: v_dual_sub_f32 v19, v19, v21
	v_add_f32_e32 v19, v19, v20
	v_cvt_i32_f32_e32 v20, v21
	v_cmp_ngt_f32_e64 s27, 0xc2ce8ed0, v18
	s_delay_alu instid0(VALU_DEP_3) | instskip(SKIP_2) | instid1(VALU_DEP_1)
	v_exp_f32_e32 v19, v19
	s_waitcnt_depctr 0xfff
	v_ldexp_f32 v19, v19, v20
	v_cndmask_b32_e64 v19, 0, v19, s27
	v_cmp_nlt_f32_e64 s27, 0x42b17218, v18
	s_delay_alu instid0(VALU_DEP_1) | instskip(NEXT) | instid1(VALU_DEP_1)
	v_cndmask_b32_e64 v20, 0x7f800000, v19, s27
	v_add_f32_e32 v21, 1.0, v20
	v_cmp_gt_f32_e64 s29, 0x33800000, |v20|
	s_delay_alu instid0(VALU_DEP_2) | instskip(NEXT) | instid1(VALU_DEP_1)
	v_cvt_f64_f32_e32 v[18:19], v21
	v_frexp_exp_i32_f64_e32 v18, v[18:19]
	v_frexp_mant_f32_e32 v19, v21
	s_delay_alu instid0(VALU_DEP_1) | instskip(SKIP_1) | instid1(VALU_DEP_1)
	v_cmp_gt_f32_e64 s27, 0x3f2aaaab, v19
	v_add_f32_e32 v19, -1.0, v21
	v_sub_f32_e32 v23, v19, v21
	s_delay_alu instid0(VALU_DEP_1) | instskip(NEXT) | instid1(VALU_DEP_4)
	v_add_f32_e32 v23, 1.0, v23
	v_subrev_co_ci_u32_e64 v18, s27, 0, v18, s27
	s_mov_b32 s27, 0x3e9b6dac
	s_delay_alu instid0(VALU_DEP_1) | instskip(SKIP_1) | instid1(VALU_DEP_2)
	v_sub_nc_u32_e32 v22, 0, v18
	v_cvt_f32_i32_e32 v18, v18
	v_ldexp_f32 v21, v21, v22
	s_delay_alu instid0(VALU_DEP_1) | instskip(NEXT) | instid1(VALU_DEP_1)
	v_dual_sub_f32 v19, v20, v19 :: v_dual_add_f32 v24, 1.0, v21
	v_add_f32_e32 v19, v19, v23
	s_delay_alu instid0(VALU_DEP_2) | instskip(NEXT) | instid1(VALU_DEP_2)
	v_add_f32_e32 v23, -1.0, v24
	v_ldexp_f32 v19, v19, v22
	s_delay_alu instid0(VALU_DEP_2) | instskip(NEXT) | instid1(VALU_DEP_1)
	v_dual_add_f32 v22, -1.0, v21 :: v_dual_sub_f32 v23, v21, v23
	v_dual_add_f32 v28, 1.0, v22 :: v_dual_add_f32 v23, v19, v23
	s_delay_alu instid0(VALU_DEP_1) | instskip(NEXT) | instid1(VALU_DEP_1)
	v_dual_sub_f32 v21, v21, v28 :: v_dual_add_f32 v28, v24, v23
	v_add_f32_e32 v19, v19, v21
	s_delay_alu instid0(VALU_DEP_2) | instskip(NEXT) | instid1(VALU_DEP_1)
	v_rcp_f32_e32 v21, v28
	v_dual_sub_f32 v24, v24, v28 :: v_dual_add_f32 v29, v22, v19
	s_delay_alu instid0(VALU_DEP_1) | instskip(SKIP_2) | instid1(VALU_DEP_1)
	v_dual_add_f32 v23, v23, v24 :: v_dual_sub_f32 v22, v22, v29
	s_waitcnt_depctr 0xfff
	v_dual_mul_f32 v30, v29, v21 :: v_dual_add_f32 v19, v19, v22
	v_mul_f32_e32 v31, v28, v30
	s_delay_alu instid0(VALU_DEP_1) | instskip(NEXT) | instid1(VALU_DEP_1)
	v_fma_f32 v24, v30, v28, -v31
	v_fmac_f32_e32 v24, v30, v23
	s_delay_alu instid0(VALU_DEP_1) | instskip(NEXT) | instid1(VALU_DEP_1)
	v_add_f32_e32 v32, v31, v24
	v_dual_sub_f32 v33, v29, v32 :: v_dual_sub_f32 v22, v32, v31
	s_delay_alu instid0(VALU_DEP_1) | instskip(NEXT) | instid1(VALU_DEP_1)
	v_dual_sub_f32 v29, v29, v33 :: v_dual_sub_f32 v22, v22, v24
	v_sub_f32_e32 v29, v29, v32
	s_delay_alu instid0(VALU_DEP_1) | instskip(NEXT) | instid1(VALU_DEP_1)
	v_add_f32_e32 v19, v19, v29
	v_add_f32_e32 v19, v22, v19
	s_delay_alu instid0(VALU_DEP_1) | instskip(NEXT) | instid1(VALU_DEP_1)
	v_add_f32_e32 v22, v33, v19
	v_mul_f32_e32 v24, v21, v22
	s_delay_alu instid0(VALU_DEP_1) | instskip(NEXT) | instid1(VALU_DEP_1)
	v_mul_f32_e32 v29, v28, v24
	v_fma_f32 v28, v24, v28, -v29
	s_delay_alu instid0(VALU_DEP_1) | instskip(SKIP_1) | instid1(VALU_DEP_2)
	v_fmac_f32_e32 v28, v24, v23
	v_sub_f32_e32 v32, v33, v22
	v_add_f32_e32 v23, v29, v28
	s_delay_alu instid0(VALU_DEP_2) | instskip(NEXT) | instid1(VALU_DEP_2)
	v_add_f32_e32 v19, v19, v32
	v_sub_f32_e32 v31, v22, v23
	s_delay_alu instid0(VALU_DEP_1) | instskip(NEXT) | instid1(VALU_DEP_1)
	v_dual_sub_f32 v29, v23, v29 :: v_dual_sub_f32 v22, v22, v31
	v_dual_sub_f32 v22, v22, v23 :: v_dual_sub_f32 v23, v29, v28
	s_delay_alu instid0(VALU_DEP_1) | instskip(NEXT) | instid1(VALU_DEP_1)
	v_dual_add_f32 v19, v19, v22 :: v_dual_add_f32 v22, v30, v24
	v_add_f32_e32 v19, v23, v19
	s_delay_alu instid0(VALU_DEP_2) | instskip(NEXT) | instid1(VALU_DEP_2)
	v_sub_f32_e32 v23, v22, v30
	v_add_f32_e32 v19, v31, v19
	s_delay_alu instid0(VALU_DEP_2) | instskip(NEXT) | instid1(VALU_DEP_2)
	v_sub_f32_e32 v23, v24, v23
	v_mul_f32_e32 v19, v21, v19
	s_delay_alu instid0(VALU_DEP_1) | instskip(NEXT) | instid1(VALU_DEP_1)
	v_add_f32_e32 v19, v23, v19
	v_add_f32_e32 v21, v22, v19
	s_delay_alu instid0(VALU_DEP_1) | instskip(NEXT) | instid1(VALU_DEP_1)
	v_mul_f32_e32 v23, v21, v21
	v_fmaak_f32 v24, s27, v23, 0x3ecc95a3
	v_mul_f32_e32 v28, v21, v23
	v_cmp_eq_f32_e64 s27, 0x7f800000, v20
	s_delay_alu instid0(VALU_DEP_3) | instskip(SKIP_2) | instid1(VALU_DEP_4)
	v_fmaak_f32 v23, v23, v24, 0x3f2aaada
	v_ldexp_f32 v24, v21, 1
	v_sub_f32_e32 v21, v21, v22
	s_or_b32 s27, s27, s29
	s_delay_alu instid0(VALU_DEP_3) | instskip(NEXT) | instid1(VALU_DEP_1)
	v_dual_mul_f32 v23, v28, v23 :: v_dual_mul_f32 v28, 0x3f317218, v18
	v_dual_sub_f32 v19, v19, v21 :: v_dual_add_f32 v22, v24, v23
	s_delay_alu instid0(VALU_DEP_1) | instskip(NEXT) | instid1(VALU_DEP_2)
	v_ldexp_f32 v19, v19, 1
	v_sub_f32_e32 v21, v22, v24
	s_delay_alu instid0(VALU_DEP_4) | instskip(NEXT) | instid1(VALU_DEP_1)
	v_fma_f32 v24, 0x3f317218, v18, -v28
	v_dual_sub_f32 v21, v23, v21 :: v_dual_fmamk_f32 v18, v18, 0xb102e308, v24
	s_delay_alu instid0(VALU_DEP_1) | instskip(NEXT) | instid1(VALU_DEP_2)
	v_add_f32_e32 v19, v19, v21
	v_add_f32_e32 v21, v28, v18
	s_delay_alu instid0(VALU_DEP_1) | instskip(NEXT) | instid1(VALU_DEP_1)
	v_dual_add_f32 v23, v22, v19 :: v_dual_sub_f32 v28, v21, v28
	v_add_f32_e32 v24, v21, v23
	v_sub_f32_e32 v22, v23, v22
	s_delay_alu instid0(VALU_DEP_2) | instskip(NEXT) | instid1(VALU_DEP_1)
	v_dual_sub_f32 v18, v18, v28 :: v_dual_sub_f32 v29, v24, v21
	v_dual_sub_f32 v19, v19, v22 :: v_dual_sub_f32 v30, v24, v29
	s_delay_alu instid0(VALU_DEP_1) | instskip(NEXT) | instid1(VALU_DEP_2)
	v_dual_sub_f32 v22, v23, v29 :: v_dual_add_f32 v23, v18, v19
	v_sub_f32_e32 v21, v21, v30
	s_delay_alu instid0(VALU_DEP_1) | instskip(NEXT) | instid1(VALU_DEP_1)
	v_dual_add_f32 v21, v22, v21 :: v_dual_sub_f32 v22, v23, v18
	v_add_f32_e32 v21, v23, v21
	s_delay_alu instid0(VALU_DEP_2) | instskip(NEXT) | instid1(VALU_DEP_2)
	v_sub_f32_e32 v23, v23, v22
	v_dual_sub_f32 v19, v19, v22 :: v_dual_add_f32 v28, v24, v21
	s_delay_alu instid0(VALU_DEP_2) | instskip(NEXT) | instid1(VALU_DEP_2)
	v_sub_f32_e32 v18, v18, v23
	v_sub_f32_e32 v22, v28, v24
	s_delay_alu instid0(VALU_DEP_2) | instskip(NEXT) | instid1(VALU_DEP_2)
	v_add_f32_e32 v18, v19, v18
	v_sub_f32_e32 v19, v21, v22
	s_delay_alu instid0(VALU_DEP_1) | instskip(NEXT) | instid1(VALU_DEP_1)
	v_add_f32_e32 v18, v18, v19
	v_add_f32_e32 v18, v28, v18
	s_delay_alu instid0(VALU_DEP_1) | instskip(NEXT) | instid1(VALU_DEP_1)
	v_cndmask_b32_e64 v18, v18, v20, s27
	v_add_f32_e32 v17, v17, v18
	s_delay_alu instid0(VALU_DEP_1) | instskip(NEXT) | instid1(VALU_DEP_1)
	v_cvt_f16_f32_e32 v28, v17
	v_cvt_f32_f16_e32 v30, v28
	v_mov_b32_e32 v29, v28
.LBB440_54:
	s_or_b32 exec_lo, exec_lo, s28
	v_lshrrev_b32_e32 v10, 16, v10
	s_delay_alu instid0(VALU_DEP_3) | instskip(SKIP_1) | instid1(VALU_DEP_3)
	v_max_f32_e32 v18, v30, v30
	v_cmp_u_f16_e64 s27, v28, v28
	v_cvt_f32_f16_e32 v17, v10
	s_delay_alu instid0(VALU_DEP_1) | instskip(SKIP_1) | instid1(VALU_DEP_2)
	v_min_f32_e32 v19, v18, v17
	v_max_f32_e32 v18, v18, v17
	v_cndmask_b32_e64 v19, v19, v30, s27
	s_delay_alu instid0(VALU_DEP_2) | instskip(SKIP_1) | instid1(VALU_DEP_1)
	v_cndmask_b32_e64 v20, v18, v30, s27
	v_cmp_u_f16_e64 s27, v10, v10
	v_cndmask_b32_e64 v18, v19, v17, s27
	s_delay_alu instid0(VALU_DEP_3) | instskip(NEXT) | instid1(VALU_DEP_2)
	v_cndmask_b32_e64 v10, v20, v17, s27
	v_cmp_class_f32_e64 s29, v18, 0x1f8
	s_delay_alu instid0(VALU_DEP_2) | instskip(NEXT) | instid1(VALU_DEP_1)
	v_cmp_neq_f32_e64 s28, v18, v10
	s_or_b32 s28, s28, s29
	s_delay_alu instid0(SALU_CYCLE_1)
	s_and_saveexec_b32 s29, s28
	s_cbranch_execz .LBB440_56
; %bb.55:
	v_sub_f32_e32 v18, v18, v10
	s_delay_alu instid0(VALU_DEP_1) | instskip(NEXT) | instid1(VALU_DEP_1)
	v_mul_f32_e32 v19, 0x3fb8aa3b, v18
	v_fma_f32 v20, 0x3fb8aa3b, v18, -v19
	v_rndne_f32_e32 v21, v19
	s_delay_alu instid0(VALU_DEP_1) | instskip(SKIP_1) | instid1(VALU_DEP_2)
	v_dual_sub_f32 v19, v19, v21 :: v_dual_fmamk_f32 v20, v18, 0x32a5705f, v20
	v_cmp_ngt_f32_e64 s28, 0xc2ce8ed0, v18
	v_add_f32_e32 v19, v19, v20
	v_cvt_i32_f32_e32 v20, v21
	s_delay_alu instid0(VALU_DEP_2) | instskip(SKIP_2) | instid1(VALU_DEP_1)
	v_exp_f32_e32 v19, v19
	s_waitcnt_depctr 0xfff
	v_ldexp_f32 v19, v19, v20
	v_cndmask_b32_e64 v19, 0, v19, s28
	v_cmp_nlt_f32_e64 s28, 0x42b17218, v18
	s_delay_alu instid0(VALU_DEP_1) | instskip(NEXT) | instid1(VALU_DEP_1)
	v_cndmask_b32_e64 v20, 0x7f800000, v19, s28
	v_add_f32_e32 v21, 1.0, v20
	v_cmp_gt_f32_e64 s30, 0x33800000, |v20|
	s_delay_alu instid0(VALU_DEP_2) | instskip(NEXT) | instid1(VALU_DEP_1)
	v_cvt_f64_f32_e32 v[18:19], v21
	v_frexp_exp_i32_f64_e32 v18, v[18:19]
	v_frexp_mant_f32_e32 v19, v21
	s_delay_alu instid0(VALU_DEP_1) | instskip(SKIP_1) | instid1(VALU_DEP_1)
	v_cmp_gt_f32_e64 s28, 0x3f2aaaab, v19
	v_add_f32_e32 v19, -1.0, v21
	v_sub_f32_e32 v23, v19, v21
	v_sub_f32_e32 v19, v20, v19
	s_delay_alu instid0(VALU_DEP_2) | instskip(NEXT) | instid1(VALU_DEP_1)
	v_add_f32_e32 v23, 1.0, v23
	v_add_f32_e32 v19, v19, v23
	v_subrev_co_ci_u32_e64 v18, s28, 0, v18, s28
	s_mov_b32 s28, 0x3e9b6dac
	s_delay_alu instid0(VALU_DEP_1) | instskip(SKIP_1) | instid1(VALU_DEP_2)
	v_sub_nc_u32_e32 v22, 0, v18
	v_cvt_f32_i32_e32 v18, v18
	v_ldexp_f32 v21, v21, v22
	v_ldexp_f32 v19, v19, v22
	s_delay_alu instid0(VALU_DEP_2) | instskip(NEXT) | instid1(VALU_DEP_1)
	v_add_f32_e32 v24, 1.0, v21
	v_dual_add_f32 v22, -1.0, v21 :: v_dual_add_f32 v23, -1.0, v24
	s_delay_alu instid0(VALU_DEP_1) | instskip(NEXT) | instid1(VALU_DEP_1)
	v_dual_add_f32 v28, 1.0, v22 :: v_dual_sub_f32 v23, v21, v23
	v_add_f32_e32 v23, v19, v23
	s_delay_alu instid0(VALU_DEP_1) | instskip(NEXT) | instid1(VALU_DEP_1)
	v_dual_sub_f32 v21, v21, v28 :: v_dual_add_f32 v28, v24, v23
	v_sub_f32_e32 v24, v24, v28
	s_delay_alu instid0(VALU_DEP_1) | instskip(NEXT) | instid1(VALU_DEP_3)
	v_add_f32_e32 v23, v23, v24
	v_add_f32_e32 v19, v19, v21
	v_rcp_f32_e32 v21, v28
	s_delay_alu instid0(VALU_DEP_1) | instskip(NEXT) | instid1(VALU_DEP_1)
	v_add_f32_e32 v29, v22, v19
	v_sub_f32_e32 v22, v22, v29
	s_waitcnt_depctr 0xfff
	v_mul_f32_e32 v30, v29, v21
	s_delay_alu instid0(VALU_DEP_1) | instskip(NEXT) | instid1(VALU_DEP_1)
	v_mul_f32_e32 v31, v28, v30
	v_fma_f32 v24, v30, v28, -v31
	s_delay_alu instid0(VALU_DEP_1) | instskip(NEXT) | instid1(VALU_DEP_1)
	v_dual_fmac_f32 v24, v30, v23 :: v_dual_add_f32 v19, v19, v22
	v_add_f32_e32 v32, v31, v24
	s_delay_alu instid0(VALU_DEP_1) | instskip(NEXT) | instid1(VALU_DEP_1)
	v_dual_sub_f32 v33, v29, v32 :: v_dual_sub_f32 v22, v32, v31
	v_dual_sub_f32 v29, v29, v33 :: v_dual_sub_f32 v22, v22, v24
	s_delay_alu instid0(VALU_DEP_1) | instskip(NEXT) | instid1(VALU_DEP_1)
	v_sub_f32_e32 v29, v29, v32
	v_add_f32_e32 v19, v19, v29
	s_delay_alu instid0(VALU_DEP_1) | instskip(NEXT) | instid1(VALU_DEP_1)
	v_add_f32_e32 v19, v22, v19
	v_add_f32_e32 v22, v33, v19
	s_delay_alu instid0(VALU_DEP_1) | instskip(NEXT) | instid1(VALU_DEP_1)
	v_mul_f32_e32 v24, v21, v22
	v_mul_f32_e32 v29, v28, v24
	s_delay_alu instid0(VALU_DEP_1) | instskip(NEXT) | instid1(VALU_DEP_1)
	v_fma_f32 v28, v24, v28, -v29
	v_fmac_f32_e32 v28, v24, v23
	v_sub_f32_e32 v32, v33, v22
	s_delay_alu instid0(VALU_DEP_2) | instskip(NEXT) | instid1(VALU_DEP_2)
	v_add_f32_e32 v23, v29, v28
	v_add_f32_e32 v19, v19, v32
	s_delay_alu instid0(VALU_DEP_2) | instskip(NEXT) | instid1(VALU_DEP_1)
	v_sub_f32_e32 v31, v22, v23
	v_dual_sub_f32 v29, v23, v29 :: v_dual_sub_f32 v22, v22, v31
	s_delay_alu instid0(VALU_DEP_1) | instskip(NEXT) | instid1(VALU_DEP_1)
	v_dual_sub_f32 v22, v22, v23 :: v_dual_sub_f32 v23, v29, v28
	v_dual_add_f32 v19, v19, v22 :: v_dual_add_f32 v22, v30, v24
	s_delay_alu instid0(VALU_DEP_1) | instskip(NEXT) | instid1(VALU_DEP_2)
	v_add_f32_e32 v19, v23, v19
	v_sub_f32_e32 v23, v22, v30
	s_delay_alu instid0(VALU_DEP_2) | instskip(NEXT) | instid1(VALU_DEP_2)
	v_add_f32_e32 v19, v31, v19
	v_sub_f32_e32 v23, v24, v23
	s_delay_alu instid0(VALU_DEP_2) | instskip(NEXT) | instid1(VALU_DEP_1)
	v_mul_f32_e32 v19, v21, v19
	v_add_f32_e32 v19, v23, v19
	s_delay_alu instid0(VALU_DEP_1) | instskip(NEXT) | instid1(VALU_DEP_1)
	v_add_f32_e32 v21, v22, v19
	v_mul_f32_e32 v23, v21, v21
	s_delay_alu instid0(VALU_DEP_1) | instskip(SKIP_2) | instid1(VALU_DEP_3)
	v_fmaak_f32 v24, s28, v23, 0x3ecc95a3
	v_mul_f32_e32 v28, v21, v23
	v_cmp_eq_f32_e64 s28, 0x7f800000, v20
	v_fmaak_f32 v23, v23, v24, 0x3f2aaada
	v_ldexp_f32 v24, v21, 1
	v_sub_f32_e32 v21, v21, v22
	s_delay_alu instid0(VALU_DEP_4) | instskip(NEXT) | instid1(VALU_DEP_3)
	s_or_b32 s28, s28, s30
	v_dual_mul_f32 v23, v28, v23 :: v_dual_mul_f32 v28, 0x3f317218, v18
	s_delay_alu instid0(VALU_DEP_1) | instskip(NEXT) | instid1(VALU_DEP_1)
	v_dual_sub_f32 v19, v19, v21 :: v_dual_add_f32 v22, v24, v23
	v_ldexp_f32 v19, v19, 1
	s_delay_alu instid0(VALU_DEP_2) | instskip(NEXT) | instid1(VALU_DEP_4)
	v_sub_f32_e32 v21, v22, v24
	v_fma_f32 v24, 0x3f317218, v18, -v28
	s_delay_alu instid0(VALU_DEP_1) | instskip(NEXT) | instid1(VALU_DEP_1)
	v_dual_sub_f32 v21, v23, v21 :: v_dual_fmamk_f32 v18, v18, 0xb102e308, v24
	v_add_f32_e32 v19, v19, v21
	s_delay_alu instid0(VALU_DEP_2) | instskip(NEXT) | instid1(VALU_DEP_1)
	v_add_f32_e32 v21, v28, v18
	v_dual_add_f32 v23, v22, v19 :: v_dual_sub_f32 v28, v21, v28
	s_delay_alu instid0(VALU_DEP_1) | instskip(SKIP_1) | instid1(VALU_DEP_2)
	v_add_f32_e32 v24, v21, v23
	v_sub_f32_e32 v22, v23, v22
	v_dual_sub_f32 v18, v18, v28 :: v_dual_sub_f32 v29, v24, v21
	s_delay_alu instid0(VALU_DEP_1) | instskip(NEXT) | instid1(VALU_DEP_1)
	v_dual_sub_f32 v19, v19, v22 :: v_dual_sub_f32 v30, v24, v29
	v_dual_sub_f32 v22, v23, v29 :: v_dual_add_f32 v23, v18, v19
	s_delay_alu instid0(VALU_DEP_2) | instskip(NEXT) | instid1(VALU_DEP_1)
	v_sub_f32_e32 v21, v21, v30
	v_dual_add_f32 v21, v22, v21 :: v_dual_sub_f32 v22, v23, v18
	s_delay_alu instid0(VALU_DEP_1) | instskip(NEXT) | instid1(VALU_DEP_2)
	v_add_f32_e32 v21, v23, v21
	v_sub_f32_e32 v23, v23, v22
	s_delay_alu instid0(VALU_DEP_2) | instskip(NEXT) | instid1(VALU_DEP_2)
	v_dual_sub_f32 v19, v19, v22 :: v_dual_add_f32 v28, v24, v21
	v_sub_f32_e32 v18, v18, v23
	s_delay_alu instid0(VALU_DEP_2) | instskip(NEXT) | instid1(VALU_DEP_2)
	v_sub_f32_e32 v22, v28, v24
	v_add_f32_e32 v18, v19, v18
	s_delay_alu instid0(VALU_DEP_2) | instskip(NEXT) | instid1(VALU_DEP_1)
	v_sub_f32_e32 v19, v21, v22
	v_add_f32_e32 v18, v18, v19
	s_delay_alu instid0(VALU_DEP_1) | instskip(NEXT) | instid1(VALU_DEP_1)
	v_add_f32_e32 v18, v28, v18
	v_cndmask_b32_e64 v18, v18, v20, s28
	s_delay_alu instid0(VALU_DEP_1) | instskip(NEXT) | instid1(VALU_DEP_1)
	v_add_f32_e32 v10, v10, v18
	v_cvt_f16_f32_e32 v28, v10
	s_delay_alu instid0(VALU_DEP_1)
	v_cvt_f32_f16_e32 v30, v28
	v_mov_b32_e32 v29, v28
.LBB440_56:
	s_or_b32 exec_lo, exec_lo, s29
	v_cvt_f32_f16_e32 v10, v11
	s_delay_alu instid0(VALU_DEP_3) | instskip(SKIP_1) | instid1(VALU_DEP_2)
	v_max_f32_e32 v18, v30, v30
	v_cmp_u_f16_e64 s28, v28, v28
	v_min_f32_e32 v19, v18, v10
	v_max_f32_e32 v18, v18, v10
	s_delay_alu instid0(VALU_DEP_2) | instskip(NEXT) | instid1(VALU_DEP_2)
	v_cndmask_b32_e64 v19, v19, v30, s28
	v_cndmask_b32_e64 v18, v18, v30, s28
	v_cmp_u_f16_e64 s28, v11, v11
	s_delay_alu instid0(VALU_DEP_1) | instskip(NEXT) | instid1(VALU_DEP_3)
	v_cndmask_b32_e64 v19, v19, v10, s28
	v_cndmask_b32_e64 v18, v18, v10, s28
	s_delay_alu instid0(VALU_DEP_2) | instskip(NEXT) | instid1(VALU_DEP_2)
	v_cmp_class_f32_e64 s30, v19, 0x1f8
	v_cmp_neq_f32_e64 s29, v19, v18
	s_delay_alu instid0(VALU_DEP_1) | instskip(NEXT) | instid1(SALU_CYCLE_1)
	s_or_b32 s29, s29, s30
	s_and_saveexec_b32 s30, s29
	s_cbranch_execz .LBB440_58
; %bb.57:
	v_sub_f32_e32 v19, v19, v18
	s_delay_alu instid0(VALU_DEP_1) | instskip(NEXT) | instid1(VALU_DEP_1)
	v_mul_f32_e32 v20, 0x3fb8aa3b, v19
	v_fma_f32 v21, 0x3fb8aa3b, v19, -v20
	v_rndne_f32_e32 v22, v20
	s_delay_alu instid0(VALU_DEP_1) | instskip(NEXT) | instid1(VALU_DEP_1)
	v_dual_fmamk_f32 v21, v19, 0x32a5705f, v21 :: v_dual_sub_f32 v20, v20, v22
	v_add_f32_e32 v20, v20, v21
	v_cvt_i32_f32_e32 v21, v22
	v_cmp_ngt_f32_e64 s29, 0xc2ce8ed0, v19
	s_delay_alu instid0(VALU_DEP_3) | instskip(SKIP_2) | instid1(VALU_DEP_1)
	v_exp_f32_e32 v20, v20
	s_waitcnt_depctr 0xfff
	v_ldexp_f32 v20, v20, v21
	v_cndmask_b32_e64 v20, 0, v20, s29
	v_cmp_nlt_f32_e64 s29, 0x42b17218, v19
	s_delay_alu instid0(VALU_DEP_1) | instskip(NEXT) | instid1(VALU_DEP_1)
	v_cndmask_b32_e64 v21, 0x7f800000, v20, s29
	v_add_f32_e32 v22, 1.0, v21
	v_cmp_gt_f32_e64 s31, 0x33800000, |v21|
	s_delay_alu instid0(VALU_DEP_2) | instskip(NEXT) | instid1(VALU_DEP_1)
	v_cvt_f64_f32_e32 v[19:20], v22
	v_frexp_exp_i32_f64_e32 v19, v[19:20]
	v_frexp_mant_f32_e32 v20, v22
	s_delay_alu instid0(VALU_DEP_1) | instskip(SKIP_1) | instid1(VALU_DEP_1)
	v_cmp_gt_f32_e64 s29, 0x3f2aaaab, v20
	v_add_f32_e32 v20, -1.0, v22
	v_sub_f32_e32 v24, v20, v22
	v_sub_f32_e32 v20, v21, v20
	s_delay_alu instid0(VALU_DEP_2) | instskip(NEXT) | instid1(VALU_DEP_1)
	v_add_f32_e32 v24, 1.0, v24
	v_add_f32_e32 v20, v20, v24
	v_subrev_co_ci_u32_e64 v19, s29, 0, v19, s29
	s_mov_b32 s29, 0x3e9b6dac
	s_delay_alu instid0(VALU_DEP_1) | instskip(SKIP_1) | instid1(VALU_DEP_2)
	v_sub_nc_u32_e32 v23, 0, v19
	v_cvt_f32_i32_e32 v19, v19
	v_ldexp_f32 v22, v22, v23
	v_ldexp_f32 v20, v20, v23
	s_delay_alu instid0(VALU_DEP_2) | instskip(NEXT) | instid1(VALU_DEP_1)
	v_add_f32_e32 v28, 1.0, v22
	v_dual_add_f32 v23, -1.0, v22 :: v_dual_add_f32 v24, -1.0, v28
	s_delay_alu instid0(VALU_DEP_1) | instskip(NEXT) | instid1(VALU_DEP_1)
	v_dual_add_f32 v29, 1.0, v23 :: v_dual_sub_f32 v24, v22, v24
	v_sub_f32_e32 v22, v22, v29
	s_delay_alu instid0(VALU_DEP_2) | instskip(NEXT) | instid1(VALU_DEP_2)
	v_add_f32_e32 v24, v20, v24
	v_add_f32_e32 v20, v20, v22
	s_delay_alu instid0(VALU_DEP_2) | instskip(NEXT) | instid1(VALU_DEP_2)
	v_add_f32_e32 v29, v28, v24
	v_add_f32_e32 v30, v23, v20
	s_delay_alu instid0(VALU_DEP_2) | instskip(NEXT) | instid1(VALU_DEP_1)
	v_rcp_f32_e32 v22, v29
	v_dual_sub_f32 v28, v28, v29 :: v_dual_sub_f32 v23, v23, v30
	s_delay_alu instid0(VALU_DEP_1) | instskip(SKIP_2) | instid1(VALU_DEP_1)
	v_add_f32_e32 v24, v24, v28
	s_waitcnt_depctr 0xfff
	v_dual_add_f32 v20, v20, v23 :: v_dual_mul_f32 v31, v30, v22
	v_mul_f32_e32 v32, v29, v31
	s_delay_alu instid0(VALU_DEP_1) | instskip(NEXT) | instid1(VALU_DEP_1)
	v_fma_f32 v28, v31, v29, -v32
	v_fmac_f32_e32 v28, v31, v24
	s_delay_alu instid0(VALU_DEP_1) | instskip(NEXT) | instid1(VALU_DEP_1)
	v_add_f32_e32 v33, v32, v28
	v_dual_sub_f32 v34, v30, v33 :: v_dual_sub_f32 v23, v33, v32
	s_delay_alu instid0(VALU_DEP_1) | instskip(NEXT) | instid1(VALU_DEP_1)
	v_dual_sub_f32 v30, v30, v34 :: v_dual_sub_f32 v23, v23, v28
	v_sub_f32_e32 v30, v30, v33
	s_delay_alu instid0(VALU_DEP_1) | instskip(NEXT) | instid1(VALU_DEP_1)
	v_add_f32_e32 v20, v20, v30
	v_add_f32_e32 v20, v23, v20
	s_delay_alu instid0(VALU_DEP_1) | instskip(NEXT) | instid1(VALU_DEP_1)
	v_add_f32_e32 v23, v34, v20
	v_mul_f32_e32 v28, v22, v23
	s_delay_alu instid0(VALU_DEP_1) | instskip(NEXT) | instid1(VALU_DEP_1)
	v_dual_sub_f32 v33, v34, v23 :: v_dual_mul_f32 v30, v29, v28
	v_add_f32_e32 v20, v20, v33
	s_delay_alu instid0(VALU_DEP_2) | instskip(NEXT) | instid1(VALU_DEP_1)
	v_fma_f32 v29, v28, v29, -v30
	v_fmac_f32_e32 v29, v28, v24
	s_delay_alu instid0(VALU_DEP_1) | instskip(NEXT) | instid1(VALU_DEP_1)
	v_add_f32_e32 v24, v30, v29
	v_sub_f32_e32 v32, v23, v24
	s_delay_alu instid0(VALU_DEP_1) | instskip(NEXT) | instid1(VALU_DEP_1)
	v_dual_sub_f32 v30, v24, v30 :: v_dual_sub_f32 v23, v23, v32
	v_dual_sub_f32 v23, v23, v24 :: v_dual_sub_f32 v24, v30, v29
	s_delay_alu instid0(VALU_DEP_1) | instskip(NEXT) | instid1(VALU_DEP_1)
	v_dual_add_f32 v20, v20, v23 :: v_dual_add_f32 v23, v31, v28
	v_add_f32_e32 v20, v24, v20
	s_delay_alu instid0(VALU_DEP_2) | instskip(NEXT) | instid1(VALU_DEP_2)
	v_sub_f32_e32 v24, v23, v31
	v_add_f32_e32 v20, v32, v20
	s_delay_alu instid0(VALU_DEP_2) | instskip(NEXT) | instid1(VALU_DEP_2)
	v_sub_f32_e32 v24, v28, v24
	v_mul_f32_e32 v20, v22, v20
	s_delay_alu instid0(VALU_DEP_1) | instskip(NEXT) | instid1(VALU_DEP_1)
	v_add_f32_e32 v20, v24, v20
	v_add_f32_e32 v22, v23, v20
	s_delay_alu instid0(VALU_DEP_1) | instskip(NEXT) | instid1(VALU_DEP_1)
	v_mul_f32_e32 v24, v22, v22
	v_fmaak_f32 v28, s29, v24, 0x3ecc95a3
	v_mul_f32_e32 v29, v22, v24
	v_cmp_eq_f32_e64 s29, 0x7f800000, v21
	s_delay_alu instid0(VALU_DEP_3) | instskip(SKIP_2) | instid1(VALU_DEP_4)
	v_fmaak_f32 v24, v24, v28, 0x3f2aaada
	v_ldexp_f32 v28, v22, 1
	v_sub_f32_e32 v22, v22, v23
	s_or_b32 s29, s29, s31
	s_delay_alu instid0(VALU_DEP_3) | instskip(NEXT) | instid1(VALU_DEP_2)
	v_dual_mul_f32 v24, v29, v24 :: v_dual_mul_f32 v29, 0x3f317218, v19
	v_sub_f32_e32 v20, v20, v22
	s_delay_alu instid0(VALU_DEP_2) | instskip(NEXT) | instid1(VALU_DEP_2)
	v_add_f32_e32 v23, v28, v24
	v_ldexp_f32 v20, v20, 1
	s_delay_alu instid0(VALU_DEP_2) | instskip(SKIP_1) | instid1(VALU_DEP_1)
	v_sub_f32_e32 v22, v23, v28
	v_fma_f32 v28, 0x3f317218, v19, -v29
	v_dual_sub_f32 v22, v24, v22 :: v_dual_fmamk_f32 v19, v19, 0xb102e308, v28
	s_delay_alu instid0(VALU_DEP_1) | instskip(NEXT) | instid1(VALU_DEP_2)
	v_add_f32_e32 v20, v20, v22
	v_add_f32_e32 v22, v29, v19
	s_delay_alu instid0(VALU_DEP_1) | instskip(NEXT) | instid1(VALU_DEP_1)
	v_dual_add_f32 v24, v23, v20 :: v_dual_sub_f32 v29, v22, v29
	v_dual_add_f32 v28, v22, v24 :: v_dual_sub_f32 v23, v24, v23
	s_delay_alu instid0(VALU_DEP_1) | instskip(NEXT) | instid1(VALU_DEP_2)
	v_dual_sub_f32 v19, v19, v29 :: v_dual_sub_f32 v30, v28, v22
	v_sub_f32_e32 v20, v20, v23
	s_delay_alu instid0(VALU_DEP_2) | instskip(NEXT) | instid1(VALU_DEP_2)
	v_sub_f32_e32 v31, v28, v30
	v_dual_sub_f32 v23, v24, v30 :: v_dual_add_f32 v24, v19, v20
	s_delay_alu instid0(VALU_DEP_2) | instskip(NEXT) | instid1(VALU_DEP_1)
	v_sub_f32_e32 v22, v22, v31
	v_dual_add_f32 v22, v23, v22 :: v_dual_sub_f32 v23, v24, v19
	s_delay_alu instid0(VALU_DEP_1) | instskip(NEXT) | instid1(VALU_DEP_2)
	v_add_f32_e32 v22, v24, v22
	v_sub_f32_e32 v24, v24, v23
	v_sub_f32_e32 v20, v20, v23
	s_delay_alu instid0(VALU_DEP_3) | instskip(NEXT) | instid1(VALU_DEP_3)
	v_add_f32_e32 v29, v28, v22
	v_sub_f32_e32 v19, v19, v24
	s_delay_alu instid0(VALU_DEP_2) | instskip(NEXT) | instid1(VALU_DEP_2)
	v_sub_f32_e32 v23, v29, v28
	v_add_f32_e32 v19, v20, v19
	s_delay_alu instid0(VALU_DEP_2) | instskip(NEXT) | instid1(VALU_DEP_1)
	v_sub_f32_e32 v20, v22, v23
	v_add_f32_e32 v19, v19, v20
	s_delay_alu instid0(VALU_DEP_1) | instskip(NEXT) | instid1(VALU_DEP_1)
	v_add_f32_e32 v19, v29, v19
	v_cndmask_b32_e64 v19, v19, v21, s29
	s_delay_alu instid0(VALU_DEP_1) | instskip(NEXT) | instid1(VALU_DEP_1)
	v_add_f32_e32 v18, v18, v19
	v_cvt_f16_f32_e32 v28, v18
	s_delay_alu instid0(VALU_DEP_1)
	v_mov_b32_e32 v29, v28
	v_cvt_f32_f16_e32 v30, v28
.LBB440_58:
	s_or_b32 exec_lo, exec_lo, s30
	v_lshrrev_b32_e32 v11, 16, v11
	s_delay_alu instid0(VALU_DEP_2) | instskip(SKIP_1) | instid1(VALU_DEP_3)
	v_max_f32_e32 v19, v30, v30
	v_cmp_u_f16_e64 s29, v28, v28
	v_cvt_f32_f16_e32 v18, v11
	s_delay_alu instid0(VALU_DEP_1) | instskip(SKIP_1) | instid1(VALU_DEP_2)
	v_min_f32_e32 v20, v19, v18
	v_max_f32_e32 v19, v19, v18
	v_cndmask_b32_e64 v20, v20, v30, s29
	s_delay_alu instid0(VALU_DEP_2) | instskip(SKIP_1) | instid1(VALU_DEP_1)
	v_cndmask_b32_e64 v21, v19, v30, s29
	v_cmp_u_f16_e64 s29, v11, v11
	v_cndmask_b32_e64 v19, v20, v18, s29
	s_delay_alu instid0(VALU_DEP_3) | instskip(NEXT) | instid1(VALU_DEP_2)
	v_cndmask_b32_e64 v11, v21, v18, s29
	v_cmp_class_f32_e64 s31, v19, 0x1f8
	s_delay_alu instid0(VALU_DEP_2) | instskip(NEXT) | instid1(VALU_DEP_1)
	v_cmp_neq_f32_e64 s30, v19, v11
	s_or_b32 s30, s30, s31
	s_delay_alu instid0(SALU_CYCLE_1)
	s_and_saveexec_b32 s31, s30
	s_cbranch_execz .LBB440_60
; %bb.59:
	v_sub_f32_e32 v19, v19, v11
	s_delay_alu instid0(VALU_DEP_1) | instskip(NEXT) | instid1(VALU_DEP_1)
	v_mul_f32_e32 v20, 0x3fb8aa3b, v19
	v_fma_f32 v21, 0x3fb8aa3b, v19, -v20
	v_rndne_f32_e32 v22, v20
	s_delay_alu instid0(VALU_DEP_1) | instskip(SKIP_1) | instid1(VALU_DEP_2)
	v_dual_sub_f32 v20, v20, v22 :: v_dual_fmamk_f32 v21, v19, 0x32a5705f, v21
	v_cmp_ngt_f32_e64 s30, 0xc2ce8ed0, v19
	v_add_f32_e32 v20, v20, v21
	v_cvt_i32_f32_e32 v21, v22
	s_delay_alu instid0(VALU_DEP_2) | instskip(SKIP_2) | instid1(VALU_DEP_1)
	v_exp_f32_e32 v20, v20
	s_waitcnt_depctr 0xfff
	v_ldexp_f32 v20, v20, v21
	v_cndmask_b32_e64 v20, 0, v20, s30
	v_cmp_nlt_f32_e64 s30, 0x42b17218, v19
	s_delay_alu instid0(VALU_DEP_1) | instskip(NEXT) | instid1(VALU_DEP_1)
	v_cndmask_b32_e64 v21, 0x7f800000, v20, s30
	v_add_f32_e32 v22, 1.0, v21
	v_cmp_gt_f32_e64 s33, 0x33800000, |v21|
	s_delay_alu instid0(VALU_DEP_2) | instskip(NEXT) | instid1(VALU_DEP_1)
	v_cvt_f64_f32_e32 v[19:20], v22
	v_frexp_exp_i32_f64_e32 v19, v[19:20]
	v_frexp_mant_f32_e32 v20, v22
	s_delay_alu instid0(VALU_DEP_1) | instskip(SKIP_1) | instid1(VALU_DEP_1)
	v_cmp_gt_f32_e64 s30, 0x3f2aaaab, v20
	v_add_f32_e32 v20, -1.0, v22
	v_sub_f32_e32 v24, v20, v22
	v_sub_f32_e32 v20, v21, v20
	s_delay_alu instid0(VALU_DEP_2) | instskip(NEXT) | instid1(VALU_DEP_1)
	v_add_f32_e32 v24, 1.0, v24
	v_add_f32_e32 v20, v20, v24
	v_subrev_co_ci_u32_e64 v19, s30, 0, v19, s30
	s_mov_b32 s30, 0x3e9b6dac
	s_delay_alu instid0(VALU_DEP_1) | instskip(SKIP_1) | instid1(VALU_DEP_2)
	v_sub_nc_u32_e32 v23, 0, v19
	v_cvt_f32_i32_e32 v19, v19
	v_ldexp_f32 v22, v22, v23
	v_ldexp_f32 v20, v20, v23
	s_delay_alu instid0(VALU_DEP_2) | instskip(NEXT) | instid1(VALU_DEP_1)
	v_add_f32_e32 v28, 1.0, v22
	v_dual_add_f32 v23, -1.0, v22 :: v_dual_add_f32 v24, -1.0, v28
	s_delay_alu instid0(VALU_DEP_1) | instskip(NEXT) | instid1(VALU_DEP_1)
	v_dual_add_f32 v29, 1.0, v23 :: v_dual_sub_f32 v24, v22, v24
	v_sub_f32_e32 v22, v22, v29
	s_delay_alu instid0(VALU_DEP_2) | instskip(NEXT) | instid1(VALU_DEP_2)
	v_add_f32_e32 v24, v20, v24
	v_add_f32_e32 v20, v20, v22
	s_delay_alu instid0(VALU_DEP_2) | instskip(NEXT) | instid1(VALU_DEP_2)
	v_add_f32_e32 v29, v28, v24
	v_add_f32_e32 v30, v23, v20
	s_delay_alu instid0(VALU_DEP_2) | instskip(NEXT) | instid1(VALU_DEP_1)
	v_rcp_f32_e32 v22, v29
	v_dual_sub_f32 v28, v28, v29 :: v_dual_sub_f32 v23, v23, v30
	s_delay_alu instid0(VALU_DEP_1) | instskip(SKIP_2) | instid1(VALU_DEP_1)
	v_add_f32_e32 v24, v24, v28
	s_waitcnt_depctr 0xfff
	v_dual_add_f32 v20, v20, v23 :: v_dual_mul_f32 v31, v30, v22
	v_mul_f32_e32 v32, v29, v31
	s_delay_alu instid0(VALU_DEP_1) | instskip(NEXT) | instid1(VALU_DEP_1)
	v_fma_f32 v28, v31, v29, -v32
	v_fmac_f32_e32 v28, v31, v24
	s_delay_alu instid0(VALU_DEP_1) | instskip(NEXT) | instid1(VALU_DEP_1)
	v_add_f32_e32 v33, v32, v28
	v_dual_sub_f32 v34, v30, v33 :: v_dual_sub_f32 v23, v33, v32
	s_delay_alu instid0(VALU_DEP_1) | instskip(NEXT) | instid1(VALU_DEP_1)
	v_dual_sub_f32 v30, v30, v34 :: v_dual_sub_f32 v23, v23, v28
	v_sub_f32_e32 v30, v30, v33
	s_delay_alu instid0(VALU_DEP_1) | instskip(NEXT) | instid1(VALU_DEP_1)
	v_add_f32_e32 v20, v20, v30
	v_add_f32_e32 v20, v23, v20
	s_delay_alu instid0(VALU_DEP_1) | instskip(NEXT) | instid1(VALU_DEP_1)
	v_add_f32_e32 v23, v34, v20
	v_mul_f32_e32 v28, v22, v23
	s_delay_alu instid0(VALU_DEP_1) | instskip(NEXT) | instid1(VALU_DEP_1)
	v_dual_sub_f32 v33, v34, v23 :: v_dual_mul_f32 v30, v29, v28
	v_add_f32_e32 v20, v20, v33
	s_delay_alu instid0(VALU_DEP_2) | instskip(NEXT) | instid1(VALU_DEP_1)
	v_fma_f32 v29, v28, v29, -v30
	v_fmac_f32_e32 v29, v28, v24
	s_delay_alu instid0(VALU_DEP_1) | instskip(NEXT) | instid1(VALU_DEP_1)
	v_add_f32_e32 v24, v30, v29
	v_sub_f32_e32 v32, v23, v24
	s_delay_alu instid0(VALU_DEP_1) | instskip(NEXT) | instid1(VALU_DEP_1)
	v_dual_sub_f32 v30, v24, v30 :: v_dual_sub_f32 v23, v23, v32
	v_dual_sub_f32 v23, v23, v24 :: v_dual_sub_f32 v24, v30, v29
	s_delay_alu instid0(VALU_DEP_1) | instskip(NEXT) | instid1(VALU_DEP_1)
	v_dual_add_f32 v20, v20, v23 :: v_dual_add_f32 v23, v31, v28
	v_add_f32_e32 v20, v24, v20
	s_delay_alu instid0(VALU_DEP_2) | instskip(NEXT) | instid1(VALU_DEP_2)
	v_sub_f32_e32 v24, v23, v31
	v_add_f32_e32 v20, v32, v20
	s_delay_alu instid0(VALU_DEP_2) | instskip(NEXT) | instid1(VALU_DEP_2)
	v_sub_f32_e32 v24, v28, v24
	v_mul_f32_e32 v20, v22, v20
	s_delay_alu instid0(VALU_DEP_1) | instskip(NEXT) | instid1(VALU_DEP_1)
	v_add_f32_e32 v20, v24, v20
	v_add_f32_e32 v22, v23, v20
	s_delay_alu instid0(VALU_DEP_1) | instskip(NEXT) | instid1(VALU_DEP_1)
	v_mul_f32_e32 v24, v22, v22
	v_fmaak_f32 v28, s30, v24, 0x3ecc95a3
	v_mul_f32_e32 v29, v22, v24
	v_cmp_eq_f32_e64 s30, 0x7f800000, v21
	s_delay_alu instid0(VALU_DEP_3) | instskip(SKIP_2) | instid1(VALU_DEP_4)
	v_fmaak_f32 v24, v24, v28, 0x3f2aaada
	v_ldexp_f32 v28, v22, 1
	v_sub_f32_e32 v22, v22, v23
	s_or_b32 s30, s30, s33
	s_delay_alu instid0(VALU_DEP_3) | instskip(NEXT) | instid1(VALU_DEP_2)
	v_dual_mul_f32 v24, v29, v24 :: v_dual_mul_f32 v29, 0x3f317218, v19
	v_sub_f32_e32 v20, v20, v22
	s_delay_alu instid0(VALU_DEP_2) | instskip(NEXT) | instid1(VALU_DEP_2)
	v_add_f32_e32 v23, v28, v24
	v_ldexp_f32 v20, v20, 1
	s_delay_alu instid0(VALU_DEP_2) | instskip(SKIP_1) | instid1(VALU_DEP_1)
	v_sub_f32_e32 v22, v23, v28
	v_fma_f32 v28, 0x3f317218, v19, -v29
	v_dual_sub_f32 v22, v24, v22 :: v_dual_fmamk_f32 v19, v19, 0xb102e308, v28
	s_delay_alu instid0(VALU_DEP_1) | instskip(NEXT) | instid1(VALU_DEP_2)
	v_add_f32_e32 v20, v20, v22
	v_add_f32_e32 v22, v29, v19
	s_delay_alu instid0(VALU_DEP_1) | instskip(NEXT) | instid1(VALU_DEP_1)
	v_dual_add_f32 v24, v23, v20 :: v_dual_sub_f32 v29, v22, v29
	v_dual_add_f32 v28, v22, v24 :: v_dual_sub_f32 v23, v24, v23
	s_delay_alu instid0(VALU_DEP_1) | instskip(NEXT) | instid1(VALU_DEP_2)
	v_dual_sub_f32 v19, v19, v29 :: v_dual_sub_f32 v30, v28, v22
	v_sub_f32_e32 v20, v20, v23
	s_delay_alu instid0(VALU_DEP_2) | instskip(NEXT) | instid1(VALU_DEP_2)
	v_sub_f32_e32 v31, v28, v30
	v_dual_sub_f32 v23, v24, v30 :: v_dual_add_f32 v24, v19, v20
	s_delay_alu instid0(VALU_DEP_2) | instskip(NEXT) | instid1(VALU_DEP_1)
	v_sub_f32_e32 v22, v22, v31
	v_dual_add_f32 v22, v23, v22 :: v_dual_sub_f32 v23, v24, v19
	s_delay_alu instid0(VALU_DEP_1) | instskip(NEXT) | instid1(VALU_DEP_2)
	v_add_f32_e32 v22, v24, v22
	v_sub_f32_e32 v24, v24, v23
	v_sub_f32_e32 v20, v20, v23
	s_delay_alu instid0(VALU_DEP_3) | instskip(NEXT) | instid1(VALU_DEP_3)
	v_add_f32_e32 v29, v28, v22
	v_sub_f32_e32 v19, v19, v24
	s_delay_alu instid0(VALU_DEP_2) | instskip(NEXT) | instid1(VALU_DEP_2)
	v_sub_f32_e32 v23, v29, v28
	v_add_f32_e32 v19, v20, v19
	s_delay_alu instid0(VALU_DEP_2) | instskip(NEXT) | instid1(VALU_DEP_1)
	v_sub_f32_e32 v20, v22, v23
	v_add_f32_e32 v19, v19, v20
	s_delay_alu instid0(VALU_DEP_1) | instskip(NEXT) | instid1(VALU_DEP_1)
	v_add_f32_e32 v19, v29, v19
	v_cndmask_b32_e64 v19, v19, v21, s30
	s_delay_alu instid0(VALU_DEP_1) | instskip(NEXT) | instid1(VALU_DEP_1)
	v_add_f32_e32 v11, v11, v19
	v_cvt_f16_f32_e32 v28, v11
	s_delay_alu instid0(VALU_DEP_1)
	v_mov_b32_e32 v29, v28
	v_cvt_f32_f16_e32 v30, v28
.LBB440_60:
	s_or_b32 exec_lo, exec_lo, s31
	v_cvt_f32_f16_e32 v11, v8
	s_delay_alu instid0(VALU_DEP_2) | instskip(SKIP_1) | instid1(VALU_DEP_2)
	v_max_f32_e32 v19, v30, v30
	v_cmp_u_f16_e64 s30, v28, v28
	v_min_f32_e32 v20, v19, v11
	v_max_f32_e32 v19, v19, v11
	s_delay_alu instid0(VALU_DEP_2) | instskip(NEXT) | instid1(VALU_DEP_2)
	v_cndmask_b32_e64 v20, v20, v30, s30
	v_cndmask_b32_e64 v19, v19, v30, s30
	v_cmp_u_f16_e64 s30, v8, v8
	s_delay_alu instid0(VALU_DEP_1) | instskip(NEXT) | instid1(VALU_DEP_3)
	v_cndmask_b32_e64 v20, v20, v11, s30
	v_cndmask_b32_e64 v19, v19, v11, s30
	s_delay_alu instid0(VALU_DEP_2) | instskip(NEXT) | instid1(VALU_DEP_2)
	v_cmp_class_f32_e64 s33, v20, 0x1f8
	v_cmp_neq_f32_e64 s31, v20, v19
	s_delay_alu instid0(VALU_DEP_1) | instskip(NEXT) | instid1(SALU_CYCLE_1)
	s_or_b32 s31, s31, s33
	s_and_saveexec_b32 s33, s31
	s_cbranch_execz .LBB440_62
; %bb.61:
	v_sub_f32_e32 v20, v20, v19
	s_delay_alu instid0(VALU_DEP_1) | instskip(NEXT) | instid1(VALU_DEP_1)
	v_mul_f32_e32 v21, 0x3fb8aa3b, v20
	v_fma_f32 v22, 0x3fb8aa3b, v20, -v21
	v_rndne_f32_e32 v23, v21
	s_delay_alu instid0(VALU_DEP_1) | instskip(NEXT) | instid1(VALU_DEP_1)
	v_dual_fmamk_f32 v22, v20, 0x32a5705f, v22 :: v_dual_sub_f32 v21, v21, v23
	v_add_f32_e32 v21, v21, v22
	v_cvt_i32_f32_e32 v22, v23
	v_cmp_ngt_f32_e64 s31, 0xc2ce8ed0, v20
	s_delay_alu instid0(VALU_DEP_3) | instskip(SKIP_2) | instid1(VALU_DEP_1)
	v_exp_f32_e32 v21, v21
	s_waitcnt_depctr 0xfff
	v_ldexp_f32 v21, v21, v22
	v_cndmask_b32_e64 v21, 0, v21, s31
	v_cmp_nlt_f32_e64 s31, 0x42b17218, v20
	s_delay_alu instid0(VALU_DEP_1) | instskip(NEXT) | instid1(VALU_DEP_1)
	v_cndmask_b32_e64 v22, 0x7f800000, v21, s31
	v_add_f32_e32 v23, 1.0, v22
	v_cmp_gt_f32_e64 s34, 0x33800000, |v22|
	s_delay_alu instid0(VALU_DEP_2) | instskip(NEXT) | instid1(VALU_DEP_1)
	v_cvt_f64_f32_e32 v[20:21], v23
	v_frexp_exp_i32_f64_e32 v20, v[20:21]
	v_frexp_mant_f32_e32 v21, v23
	s_delay_alu instid0(VALU_DEP_1) | instskip(SKIP_1) | instid1(VALU_DEP_1)
	v_cmp_gt_f32_e64 s31, 0x3f2aaaab, v21
	v_add_f32_e32 v21, -1.0, v23
	v_dual_sub_f32 v28, v21, v23 :: v_dual_sub_f32 v21, v22, v21
	s_delay_alu instid0(VALU_DEP_1) | instskip(NEXT) | instid1(VALU_DEP_4)
	v_add_f32_e32 v28, 1.0, v28
	v_subrev_co_ci_u32_e64 v20, s31, 0, v20, s31
	s_mov_b32 s31, 0x3e9b6dac
	s_delay_alu instid0(VALU_DEP_1) | instskip(SKIP_1) | instid1(VALU_DEP_2)
	v_sub_nc_u32_e32 v24, 0, v20
	v_cvt_f32_i32_e32 v20, v20
	v_ldexp_f32 v23, v23, v24
	v_add_f32_e32 v21, v21, v28
	s_delay_alu instid0(VALU_DEP_1) | instskip(NEXT) | instid1(VALU_DEP_3)
	v_ldexp_f32 v21, v21, v24
	v_add_f32_e32 v24, -1.0, v23
	s_delay_alu instid0(VALU_DEP_1) | instskip(NEXT) | instid1(VALU_DEP_1)
	v_dual_add_f32 v29, 1.0, v23 :: v_dual_add_f32 v30, 1.0, v24
	v_add_f32_e32 v28, -1.0, v29
	s_delay_alu instid0(VALU_DEP_1) | instskip(NEXT) | instid1(VALU_DEP_1)
	v_sub_f32_e32 v28, v23, v28
	v_dual_sub_f32 v23, v23, v30 :: v_dual_add_f32 v28, v21, v28
	s_delay_alu instid0(VALU_DEP_1) | instskip(NEXT) | instid1(VALU_DEP_1)
	v_add_f32_e32 v21, v21, v23
	v_dual_add_f32 v30, v29, v28 :: v_dual_add_f32 v31, v24, v21
	s_delay_alu instid0(VALU_DEP_1) | instskip(NEXT) | instid1(VALU_DEP_1)
	v_rcp_f32_e32 v23, v30
	v_dual_sub_f32 v29, v29, v30 :: v_dual_sub_f32 v24, v24, v31
	s_delay_alu instid0(VALU_DEP_1) | instskip(SKIP_2) | instid1(VALU_DEP_1)
	v_dual_add_f32 v28, v28, v29 :: v_dual_add_f32 v21, v21, v24
	s_waitcnt_depctr 0xfff
	v_mul_f32_e32 v32, v31, v23
	v_mul_f32_e32 v33, v30, v32
	s_delay_alu instid0(VALU_DEP_1) | instskip(NEXT) | instid1(VALU_DEP_1)
	v_fma_f32 v29, v32, v30, -v33
	v_fmac_f32_e32 v29, v32, v28
	s_delay_alu instid0(VALU_DEP_1) | instskip(NEXT) | instid1(VALU_DEP_1)
	v_add_f32_e32 v34, v33, v29
	v_sub_f32_e32 v35, v31, v34
	s_delay_alu instid0(VALU_DEP_1) | instskip(NEXT) | instid1(VALU_DEP_1)
	v_dual_sub_f32 v31, v31, v35 :: v_dual_sub_f32 v24, v34, v33
	v_dual_sub_f32 v31, v31, v34 :: v_dual_sub_f32 v24, v24, v29
	s_delay_alu instid0(VALU_DEP_1) | instskip(NEXT) | instid1(VALU_DEP_1)
	v_add_f32_e32 v21, v21, v31
	v_add_f32_e32 v21, v24, v21
	s_delay_alu instid0(VALU_DEP_1) | instskip(NEXT) | instid1(VALU_DEP_1)
	v_add_f32_e32 v24, v35, v21
	v_mul_f32_e32 v29, v23, v24
	s_delay_alu instid0(VALU_DEP_1) | instskip(NEXT) | instid1(VALU_DEP_1)
	v_dual_sub_f32 v34, v35, v24 :: v_dual_mul_f32 v31, v30, v29
	v_fma_f32 v30, v29, v30, -v31
	s_delay_alu instid0(VALU_DEP_1) | instskip(NEXT) | instid1(VALU_DEP_1)
	v_fmac_f32_e32 v30, v29, v28
	v_add_f32_e32 v28, v31, v30
	s_delay_alu instid0(VALU_DEP_1) | instskip(NEXT) | instid1(VALU_DEP_1)
	v_sub_f32_e32 v33, v24, v28
	v_sub_f32_e32 v24, v24, v33
	s_delay_alu instid0(VALU_DEP_1) | instskip(SKIP_1) | instid1(VALU_DEP_1)
	v_sub_f32_e32 v24, v24, v28
	v_sub_f32_e32 v31, v28, v31
	;; [unrolled: 1-line block ×3, first 2 shown]
	v_add_f32_e32 v21, v21, v34
	s_delay_alu instid0(VALU_DEP_1) | instskip(NEXT) | instid1(VALU_DEP_1)
	v_dual_add_f32 v21, v21, v24 :: v_dual_add_f32 v24, v32, v29
	v_add_f32_e32 v21, v28, v21
	s_delay_alu instid0(VALU_DEP_1) | instskip(NEXT) | instid1(VALU_DEP_1)
	v_dual_sub_f32 v28, v24, v32 :: v_dual_add_f32 v21, v33, v21
	v_dual_sub_f32 v28, v29, v28 :: v_dual_mul_f32 v21, v23, v21
	s_delay_alu instid0(VALU_DEP_1) | instskip(NEXT) | instid1(VALU_DEP_1)
	v_add_f32_e32 v21, v28, v21
	v_add_f32_e32 v23, v24, v21
	s_delay_alu instid0(VALU_DEP_1) | instskip(NEXT) | instid1(VALU_DEP_1)
	v_mul_f32_e32 v28, v23, v23
	v_fmaak_f32 v29, s31, v28, 0x3ecc95a3
	v_mul_f32_e32 v30, v23, v28
	v_cmp_eq_f32_e64 s31, 0x7f800000, v22
	s_delay_alu instid0(VALU_DEP_3) | instskip(NEXT) | instid1(VALU_DEP_2)
	v_fmaak_f32 v28, v28, v29, 0x3f2aaada
	s_or_b32 s31, s31, s34
	s_delay_alu instid0(VALU_DEP_1) | instskip(SKIP_3) | instid1(VALU_DEP_2)
	v_mul_f32_e32 v28, v30, v28
	v_mul_f32_e32 v30, 0x3f317218, v20
	v_ldexp_f32 v29, v23, 1
	v_sub_f32_e32 v23, v23, v24
	v_add_f32_e32 v24, v29, v28
	s_delay_alu instid0(VALU_DEP_2) | instskip(NEXT) | instid1(VALU_DEP_2)
	v_sub_f32_e32 v21, v21, v23
	v_sub_f32_e32 v23, v24, v29
	v_fma_f32 v29, 0x3f317218, v20, -v30
	s_delay_alu instid0(VALU_DEP_2) | instskip(NEXT) | instid1(VALU_DEP_2)
	v_sub_f32_e32 v23, v28, v23
	v_fmamk_f32 v20, v20, 0xb102e308, v29
	v_ldexp_f32 v21, v21, 1
	s_delay_alu instid0(VALU_DEP_1) | instskip(NEXT) | instid1(VALU_DEP_3)
	v_add_f32_e32 v21, v21, v23
	v_add_f32_e32 v23, v30, v20
	s_delay_alu instid0(VALU_DEP_1) | instskip(NEXT) | instid1(VALU_DEP_3)
	v_sub_f32_e32 v30, v23, v30
	v_add_f32_e32 v28, v24, v21
	s_delay_alu instid0(VALU_DEP_1) | instskip(NEXT) | instid1(VALU_DEP_1)
	v_dual_sub_f32 v20, v20, v30 :: v_dual_add_f32 v29, v23, v28
	v_dual_sub_f32 v24, v28, v24 :: v_dual_sub_f32 v31, v29, v23
	s_delay_alu instid0(VALU_DEP_1) | instskip(SKIP_1) | instid1(VALU_DEP_1)
	v_dual_sub_f32 v21, v21, v24 :: v_dual_sub_f32 v24, v28, v31
	v_sub_f32_e32 v32, v29, v31
	v_dual_add_f32 v28, v20, v21 :: v_dual_sub_f32 v23, v23, v32
	s_delay_alu instid0(VALU_DEP_1) | instskip(NEXT) | instid1(VALU_DEP_2)
	v_add_f32_e32 v23, v24, v23
	v_sub_f32_e32 v24, v28, v20
	s_delay_alu instid0(VALU_DEP_2) | instskip(NEXT) | instid1(VALU_DEP_2)
	v_add_f32_e32 v23, v28, v23
	v_sub_f32_e32 v28, v28, v24
	v_sub_f32_e32 v21, v21, v24
	s_delay_alu instid0(VALU_DEP_3) | instskip(NEXT) | instid1(VALU_DEP_3)
	v_add_f32_e32 v30, v29, v23
	v_sub_f32_e32 v20, v20, v28
	s_delay_alu instid0(VALU_DEP_2) | instskip(NEXT) | instid1(VALU_DEP_2)
	v_sub_f32_e32 v24, v30, v29
	v_add_f32_e32 v20, v21, v20
	s_delay_alu instid0(VALU_DEP_2) | instskip(NEXT) | instid1(VALU_DEP_1)
	v_sub_f32_e32 v21, v23, v24
	v_add_f32_e32 v20, v20, v21
	s_delay_alu instid0(VALU_DEP_1) | instskip(NEXT) | instid1(VALU_DEP_1)
	v_add_f32_e32 v20, v30, v20
	v_cndmask_b32_e64 v20, v20, v22, s31
	s_delay_alu instid0(VALU_DEP_1) | instskip(NEXT) | instid1(VALU_DEP_1)
	v_add_f32_e32 v19, v19, v20
	v_cvt_f16_f32_e32 v28, v19
	s_delay_alu instid0(VALU_DEP_1)
	v_cvt_f32_f16_e32 v30, v28
	v_mov_b32_e32 v29, v28
.LBB440_62:
	s_or_b32 exec_lo, exec_lo, s33
	v_lshrrev_b32_e32 v8, 16, v8
	s_delay_alu instid0(VALU_DEP_3) | instskip(SKIP_1) | instid1(VALU_DEP_3)
	v_max_f32_e32 v20, v30, v30
	v_cmp_u_f16_e64 s31, v28, v28
	v_cvt_f32_f16_e32 v19, v8
	s_delay_alu instid0(VALU_DEP_1) | instskip(SKIP_1) | instid1(VALU_DEP_2)
	v_min_f32_e32 v21, v20, v19
	v_max_f32_e32 v20, v20, v19
	v_cndmask_b32_e64 v21, v21, v30, s31
	s_delay_alu instid0(VALU_DEP_2) | instskip(SKIP_1) | instid1(VALU_DEP_1)
	v_cndmask_b32_e64 v22, v20, v30, s31
	v_cmp_u_f16_e64 s31, v8, v8
	v_cndmask_b32_e64 v20, v21, v19, s31
	s_delay_alu instid0(VALU_DEP_3) | instskip(NEXT) | instid1(VALU_DEP_2)
	v_cndmask_b32_e64 v8, v22, v19, s31
	v_cmp_class_f32_e64 s34, v20, 0x1f8
	s_delay_alu instid0(VALU_DEP_2) | instskip(NEXT) | instid1(VALU_DEP_1)
	v_cmp_neq_f32_e64 s33, v20, v8
	s_or_b32 s33, s33, s34
	s_delay_alu instid0(SALU_CYCLE_1)
	s_and_saveexec_b32 s34, s33
	s_cbranch_execz .LBB440_64
; %bb.63:
	v_sub_f32_e32 v20, v20, v8
	s_delay_alu instid0(VALU_DEP_1) | instskip(NEXT) | instid1(VALU_DEP_1)
	v_mul_f32_e32 v21, 0x3fb8aa3b, v20
	v_fma_f32 v22, 0x3fb8aa3b, v20, -v21
	v_rndne_f32_e32 v23, v21
	s_delay_alu instid0(VALU_DEP_1) | instskip(SKIP_1) | instid1(VALU_DEP_2)
	v_dual_sub_f32 v21, v21, v23 :: v_dual_fmamk_f32 v22, v20, 0x32a5705f, v22
	v_cmp_ngt_f32_e64 s33, 0xc2ce8ed0, v20
	v_add_f32_e32 v21, v21, v22
	v_cvt_i32_f32_e32 v22, v23
	s_delay_alu instid0(VALU_DEP_2) | instskip(SKIP_2) | instid1(VALU_DEP_1)
	v_exp_f32_e32 v21, v21
	s_waitcnt_depctr 0xfff
	v_ldexp_f32 v21, v21, v22
	v_cndmask_b32_e64 v21, 0, v21, s33
	v_cmp_nlt_f32_e64 s33, 0x42b17218, v20
	s_delay_alu instid0(VALU_DEP_1) | instskip(NEXT) | instid1(VALU_DEP_1)
	v_cndmask_b32_e64 v22, 0x7f800000, v21, s33
	v_add_f32_e32 v23, 1.0, v22
	v_cmp_gt_f32_e64 s35, 0x33800000, |v22|
	s_delay_alu instid0(VALU_DEP_2) | instskip(NEXT) | instid1(VALU_DEP_1)
	v_cvt_f64_f32_e32 v[20:21], v23
	v_frexp_exp_i32_f64_e32 v20, v[20:21]
	v_frexp_mant_f32_e32 v21, v23
	s_delay_alu instid0(VALU_DEP_1) | instskip(SKIP_1) | instid1(VALU_DEP_1)
	v_cmp_gt_f32_e64 s33, 0x3f2aaaab, v21
	v_add_f32_e32 v21, -1.0, v23
	v_dual_sub_f32 v28, v21, v23 :: v_dual_sub_f32 v21, v22, v21
	s_delay_alu instid0(VALU_DEP_1) | instskip(NEXT) | instid1(VALU_DEP_4)
	v_add_f32_e32 v28, 1.0, v28
	v_subrev_co_ci_u32_e64 v20, s33, 0, v20, s33
	s_mov_b32 s33, 0x3e9b6dac
	s_delay_alu instid0(VALU_DEP_1) | instskip(SKIP_1) | instid1(VALU_DEP_2)
	v_sub_nc_u32_e32 v24, 0, v20
	v_cvt_f32_i32_e32 v20, v20
	v_ldexp_f32 v23, v23, v24
	v_add_f32_e32 v21, v21, v28
	s_delay_alu instid0(VALU_DEP_2) | instskip(NEXT) | instid1(VALU_DEP_2)
	v_add_f32_e32 v29, 1.0, v23
	v_ldexp_f32 v21, v21, v24
	v_add_f32_e32 v24, -1.0, v23
	s_delay_alu instid0(VALU_DEP_3) | instskip(NEXT) | instid1(VALU_DEP_2)
	v_add_f32_e32 v28, -1.0, v29
	v_add_f32_e32 v30, 1.0, v24
	s_delay_alu instid0(VALU_DEP_2) | instskip(NEXT) | instid1(VALU_DEP_1)
	v_sub_f32_e32 v28, v23, v28
	v_dual_sub_f32 v23, v23, v30 :: v_dual_add_f32 v28, v21, v28
	s_delay_alu instid0(VALU_DEP_1) | instskip(NEXT) | instid1(VALU_DEP_1)
	v_add_f32_e32 v21, v21, v23
	v_dual_add_f32 v30, v29, v28 :: v_dual_add_f32 v31, v24, v21
	s_delay_alu instid0(VALU_DEP_1) | instskip(NEXT) | instid1(VALU_DEP_1)
	v_rcp_f32_e32 v23, v30
	v_dual_sub_f32 v29, v29, v30 :: v_dual_sub_f32 v24, v24, v31
	s_delay_alu instid0(VALU_DEP_1) | instskip(SKIP_2) | instid1(VALU_DEP_1)
	v_dual_add_f32 v28, v28, v29 :: v_dual_add_f32 v21, v21, v24
	s_waitcnt_depctr 0xfff
	v_mul_f32_e32 v32, v31, v23
	v_mul_f32_e32 v33, v30, v32
	s_delay_alu instid0(VALU_DEP_1) | instskip(NEXT) | instid1(VALU_DEP_1)
	v_fma_f32 v29, v32, v30, -v33
	v_fmac_f32_e32 v29, v32, v28
	s_delay_alu instid0(VALU_DEP_1) | instskip(NEXT) | instid1(VALU_DEP_1)
	v_add_f32_e32 v34, v33, v29
	v_sub_f32_e32 v35, v31, v34
	s_delay_alu instid0(VALU_DEP_1) | instskip(NEXT) | instid1(VALU_DEP_1)
	v_dual_sub_f32 v31, v31, v35 :: v_dual_sub_f32 v24, v34, v33
	v_dual_sub_f32 v31, v31, v34 :: v_dual_sub_f32 v24, v24, v29
	s_delay_alu instid0(VALU_DEP_1) | instskip(NEXT) | instid1(VALU_DEP_1)
	v_add_f32_e32 v21, v21, v31
	v_add_f32_e32 v21, v24, v21
	s_delay_alu instid0(VALU_DEP_1) | instskip(NEXT) | instid1(VALU_DEP_1)
	v_add_f32_e32 v24, v35, v21
	v_mul_f32_e32 v29, v23, v24
	s_delay_alu instid0(VALU_DEP_1) | instskip(NEXT) | instid1(VALU_DEP_1)
	v_dual_sub_f32 v34, v35, v24 :: v_dual_mul_f32 v31, v30, v29
	v_fma_f32 v30, v29, v30, -v31
	s_delay_alu instid0(VALU_DEP_1) | instskip(NEXT) | instid1(VALU_DEP_1)
	v_fmac_f32_e32 v30, v29, v28
	v_add_f32_e32 v28, v31, v30
	s_delay_alu instid0(VALU_DEP_1) | instskip(NEXT) | instid1(VALU_DEP_1)
	v_sub_f32_e32 v33, v24, v28
	v_sub_f32_e32 v24, v24, v33
	s_delay_alu instid0(VALU_DEP_1) | instskip(SKIP_1) | instid1(VALU_DEP_1)
	v_sub_f32_e32 v24, v24, v28
	v_sub_f32_e32 v31, v28, v31
	;; [unrolled: 1-line block ×3, first 2 shown]
	v_add_f32_e32 v21, v21, v34
	s_delay_alu instid0(VALU_DEP_1) | instskip(NEXT) | instid1(VALU_DEP_1)
	v_dual_add_f32 v21, v21, v24 :: v_dual_add_f32 v24, v32, v29
	v_add_f32_e32 v21, v28, v21
	s_delay_alu instid0(VALU_DEP_1) | instskip(NEXT) | instid1(VALU_DEP_1)
	v_dual_sub_f32 v28, v24, v32 :: v_dual_add_f32 v21, v33, v21
	v_dual_sub_f32 v28, v29, v28 :: v_dual_mul_f32 v21, v23, v21
	s_delay_alu instid0(VALU_DEP_1) | instskip(NEXT) | instid1(VALU_DEP_1)
	v_add_f32_e32 v21, v28, v21
	v_add_f32_e32 v23, v24, v21
	s_delay_alu instid0(VALU_DEP_1) | instskip(NEXT) | instid1(VALU_DEP_1)
	v_mul_f32_e32 v28, v23, v23
	v_fmaak_f32 v29, s33, v28, 0x3ecc95a3
	v_mul_f32_e32 v30, v23, v28
	v_cmp_eq_f32_e64 s33, 0x7f800000, v22
	s_delay_alu instid0(VALU_DEP_3) | instskip(NEXT) | instid1(VALU_DEP_2)
	v_fmaak_f32 v28, v28, v29, 0x3f2aaada
	s_or_b32 s33, s33, s35
	s_delay_alu instid0(VALU_DEP_1) | instskip(SKIP_3) | instid1(VALU_DEP_2)
	v_mul_f32_e32 v28, v30, v28
	v_mul_f32_e32 v30, 0x3f317218, v20
	v_ldexp_f32 v29, v23, 1
	v_sub_f32_e32 v23, v23, v24
	v_add_f32_e32 v24, v29, v28
	s_delay_alu instid0(VALU_DEP_2) | instskip(NEXT) | instid1(VALU_DEP_2)
	v_sub_f32_e32 v21, v21, v23
	v_sub_f32_e32 v23, v24, v29
	v_fma_f32 v29, 0x3f317218, v20, -v30
	s_delay_alu instid0(VALU_DEP_2) | instskip(NEXT) | instid1(VALU_DEP_2)
	v_sub_f32_e32 v23, v28, v23
	v_fmamk_f32 v20, v20, 0xb102e308, v29
	v_ldexp_f32 v21, v21, 1
	s_delay_alu instid0(VALU_DEP_1) | instskip(NEXT) | instid1(VALU_DEP_3)
	v_add_f32_e32 v21, v21, v23
	v_add_f32_e32 v23, v30, v20
	s_delay_alu instid0(VALU_DEP_1) | instskip(NEXT) | instid1(VALU_DEP_3)
	v_sub_f32_e32 v30, v23, v30
	v_add_f32_e32 v28, v24, v21
	s_delay_alu instid0(VALU_DEP_1) | instskip(NEXT) | instid1(VALU_DEP_1)
	v_dual_sub_f32 v20, v20, v30 :: v_dual_add_f32 v29, v23, v28
	v_dual_sub_f32 v24, v28, v24 :: v_dual_sub_f32 v31, v29, v23
	s_delay_alu instid0(VALU_DEP_1) | instskip(SKIP_1) | instid1(VALU_DEP_1)
	v_dual_sub_f32 v21, v21, v24 :: v_dual_sub_f32 v24, v28, v31
	v_sub_f32_e32 v32, v29, v31
	v_dual_add_f32 v28, v20, v21 :: v_dual_sub_f32 v23, v23, v32
	s_delay_alu instid0(VALU_DEP_1) | instskip(NEXT) | instid1(VALU_DEP_2)
	v_add_f32_e32 v23, v24, v23
	v_sub_f32_e32 v24, v28, v20
	s_delay_alu instid0(VALU_DEP_2) | instskip(NEXT) | instid1(VALU_DEP_2)
	v_add_f32_e32 v23, v28, v23
	v_sub_f32_e32 v28, v28, v24
	v_sub_f32_e32 v21, v21, v24
	s_delay_alu instid0(VALU_DEP_3) | instskip(NEXT) | instid1(VALU_DEP_3)
	v_add_f32_e32 v30, v29, v23
	v_sub_f32_e32 v20, v20, v28
	s_delay_alu instid0(VALU_DEP_2) | instskip(NEXT) | instid1(VALU_DEP_2)
	v_sub_f32_e32 v24, v30, v29
	v_add_f32_e32 v20, v21, v20
	s_delay_alu instid0(VALU_DEP_2) | instskip(NEXT) | instid1(VALU_DEP_1)
	v_sub_f32_e32 v21, v23, v24
	v_add_f32_e32 v20, v20, v21
	s_delay_alu instid0(VALU_DEP_1) | instskip(NEXT) | instid1(VALU_DEP_1)
	v_add_f32_e32 v20, v30, v20
	v_cndmask_b32_e64 v20, v20, v22, s33
	s_delay_alu instid0(VALU_DEP_1) | instskip(NEXT) | instid1(VALU_DEP_1)
	v_add_f32_e32 v8, v8, v20
	v_cvt_f16_f32_e32 v28, v8
	s_delay_alu instid0(VALU_DEP_1)
	v_cvt_f32_f16_e32 v30, v28
	v_mov_b32_e32 v29, v28
.LBB440_64:
	s_or_b32 exec_lo, exec_lo, s34
	v_cvt_f32_f16_e32 v8, v9
	s_delay_alu instid0(VALU_DEP_3) | instskip(SKIP_1) | instid1(VALU_DEP_2)
	v_max_f32_e32 v20, v30, v30
	v_cmp_u_f16_e64 s33, v28, v28
	v_min_f32_e32 v21, v20, v8
	v_max_f32_e32 v20, v20, v8
	s_delay_alu instid0(VALU_DEP_2) | instskip(NEXT) | instid1(VALU_DEP_2)
	v_cndmask_b32_e64 v21, v21, v30, s33
	v_cndmask_b32_e64 v20, v20, v30, s33
	v_cmp_u_f16_e64 s33, v9, v9
	s_delay_alu instid0(VALU_DEP_1) | instskip(NEXT) | instid1(VALU_DEP_3)
	v_cndmask_b32_e64 v21, v21, v8, s33
	v_cndmask_b32_e64 v20, v20, v8, s33
	s_delay_alu instid0(VALU_DEP_2) | instskip(NEXT) | instid1(VALU_DEP_2)
	v_cmp_class_f32_e64 s35, v21, 0x1f8
	v_cmp_neq_f32_e64 s34, v21, v20
	s_delay_alu instid0(VALU_DEP_1) | instskip(NEXT) | instid1(SALU_CYCLE_1)
	s_or_b32 s34, s34, s35
	s_and_saveexec_b32 s35, s34
	s_cbranch_execz .LBB440_66
; %bb.65:
	v_sub_f32_e32 v21, v21, v20
	s_delay_alu instid0(VALU_DEP_1) | instskip(NEXT) | instid1(VALU_DEP_1)
	v_mul_f32_e32 v22, 0x3fb8aa3b, v21
	v_fma_f32 v23, 0x3fb8aa3b, v21, -v22
	v_rndne_f32_e32 v24, v22
	s_delay_alu instid0(VALU_DEP_1) | instskip(NEXT) | instid1(VALU_DEP_1)
	v_dual_fmamk_f32 v23, v21, 0x32a5705f, v23 :: v_dual_sub_f32 v22, v22, v24
	v_add_f32_e32 v22, v22, v23
	v_cvt_i32_f32_e32 v23, v24
	v_cmp_ngt_f32_e64 s34, 0xc2ce8ed0, v21
	s_delay_alu instid0(VALU_DEP_3) | instskip(SKIP_2) | instid1(VALU_DEP_1)
	v_exp_f32_e32 v22, v22
	s_waitcnt_depctr 0xfff
	v_ldexp_f32 v22, v22, v23
	v_cndmask_b32_e64 v22, 0, v22, s34
	v_cmp_nlt_f32_e64 s34, 0x42b17218, v21
	s_delay_alu instid0(VALU_DEP_1) | instskip(NEXT) | instid1(VALU_DEP_1)
	v_cndmask_b32_e64 v23, 0x7f800000, v22, s34
	v_add_f32_e32 v24, 1.0, v23
	v_cmp_gt_f32_e64 s36, 0x33800000, |v23|
	s_delay_alu instid0(VALU_DEP_2) | instskip(NEXT) | instid1(VALU_DEP_1)
	v_cvt_f64_f32_e32 v[21:22], v24
	v_frexp_exp_i32_f64_e32 v21, v[21:22]
	v_frexp_mant_f32_e32 v22, v24
	s_delay_alu instid0(VALU_DEP_1) | instskip(SKIP_1) | instid1(VALU_DEP_1)
	v_cmp_gt_f32_e64 s34, 0x3f2aaaab, v22
	v_add_f32_e32 v22, -1.0, v24
	v_dual_sub_f32 v29, v22, v24 :: v_dual_sub_f32 v22, v23, v22
	s_delay_alu instid0(VALU_DEP_1) | instskip(NEXT) | instid1(VALU_DEP_1)
	v_add_f32_e32 v29, 1.0, v29
	v_add_f32_e32 v22, v22, v29
	v_subrev_co_ci_u32_e64 v21, s34, 0, v21, s34
	s_mov_b32 s34, 0x3e9b6dac
	s_delay_alu instid0(VALU_DEP_1) | instskip(SKIP_1) | instid1(VALU_DEP_2)
	v_sub_nc_u32_e32 v28, 0, v21
	v_cvt_f32_i32_e32 v21, v21
	v_ldexp_f32 v24, v24, v28
	v_ldexp_f32 v22, v22, v28
	s_delay_alu instid0(VALU_DEP_2) | instskip(NEXT) | instid1(VALU_DEP_1)
	v_add_f32_e32 v30, 1.0, v24
	v_add_f32_e32 v29, -1.0, v30
	s_delay_alu instid0(VALU_DEP_1) | instskip(NEXT) | instid1(VALU_DEP_1)
	v_sub_f32_e32 v29, v24, v29
	v_dual_add_f32 v29, v22, v29 :: v_dual_add_f32 v28, -1.0, v24
	s_delay_alu instid0(VALU_DEP_1) | instskip(NEXT) | instid1(VALU_DEP_1)
	v_add_f32_e32 v31, 1.0, v28
	v_dual_sub_f32 v24, v24, v31 :: v_dual_add_f32 v31, v30, v29
	s_delay_alu instid0(VALU_DEP_1) | instskip(NEXT) | instid1(VALU_DEP_1)
	v_sub_f32_e32 v30, v30, v31
	v_dual_add_f32 v29, v29, v30 :: v_dual_add_f32 v22, v22, v24
	v_rcp_f32_e32 v24, v31
	s_delay_alu instid0(VALU_DEP_1) | instskip(NEXT) | instid1(VALU_DEP_1)
	v_add_f32_e32 v32, v28, v22
	v_sub_f32_e32 v28, v28, v32
	s_waitcnt_depctr 0xfff
	v_mul_f32_e32 v33, v32, v24
	v_add_f32_e32 v22, v22, v28
	s_delay_alu instid0(VALU_DEP_2) | instskip(NEXT) | instid1(VALU_DEP_1)
	v_mul_f32_e32 v34, v31, v33
	v_fma_f32 v30, v33, v31, -v34
	s_delay_alu instid0(VALU_DEP_1) | instskip(NEXT) | instid1(VALU_DEP_1)
	v_fmac_f32_e32 v30, v33, v29
	v_add_f32_e32 v35, v34, v30
	s_delay_alu instid0(VALU_DEP_1) | instskip(SKIP_1) | instid1(VALU_DEP_2)
	v_sub_f32_e32 v36, v32, v35
	v_sub_f32_e32 v28, v35, v34
	v_sub_f32_e32 v32, v32, v36
	s_delay_alu instid0(VALU_DEP_2) | instskip(NEXT) | instid1(VALU_DEP_2)
	v_sub_f32_e32 v28, v28, v30
	v_sub_f32_e32 v32, v32, v35
	s_delay_alu instid0(VALU_DEP_1) | instskip(NEXT) | instid1(VALU_DEP_1)
	v_add_f32_e32 v22, v22, v32
	v_add_f32_e32 v22, v28, v22
	s_delay_alu instid0(VALU_DEP_1) | instskip(NEXT) | instid1(VALU_DEP_1)
	v_add_f32_e32 v28, v36, v22
	v_mul_f32_e32 v30, v24, v28
	s_delay_alu instid0(VALU_DEP_1) | instskip(NEXT) | instid1(VALU_DEP_1)
	v_dual_sub_f32 v35, v36, v28 :: v_dual_mul_f32 v32, v31, v30
	v_add_f32_e32 v22, v22, v35
	s_delay_alu instid0(VALU_DEP_2) | instskip(NEXT) | instid1(VALU_DEP_1)
	v_fma_f32 v31, v30, v31, -v32
	v_fmac_f32_e32 v31, v30, v29
	s_delay_alu instid0(VALU_DEP_1) | instskip(NEXT) | instid1(VALU_DEP_1)
	v_add_f32_e32 v29, v32, v31
	v_sub_f32_e32 v34, v28, v29
	v_sub_f32_e32 v32, v29, v32
	s_delay_alu instid0(VALU_DEP_2) | instskip(NEXT) | instid1(VALU_DEP_1)
	v_sub_f32_e32 v28, v28, v34
	v_sub_f32_e32 v28, v28, v29
	s_delay_alu instid0(VALU_DEP_1) | instskip(SKIP_1) | instid1(VALU_DEP_1)
	v_dual_sub_f32 v29, v32, v31 :: v_dual_add_f32 v22, v22, v28
	v_add_f32_e32 v28, v33, v30
	v_dual_add_f32 v22, v29, v22 :: v_dual_sub_f32 v29, v28, v33
	s_delay_alu instid0(VALU_DEP_1) | instskip(NEXT) | instid1(VALU_DEP_1)
	v_add_f32_e32 v22, v34, v22
	v_dual_sub_f32 v29, v30, v29 :: v_dual_mul_f32 v22, v24, v22
	s_delay_alu instid0(VALU_DEP_1) | instskip(NEXT) | instid1(VALU_DEP_1)
	v_add_f32_e32 v22, v29, v22
	v_add_f32_e32 v24, v28, v22
	s_delay_alu instid0(VALU_DEP_1) | instskip(NEXT) | instid1(VALU_DEP_1)
	v_mul_f32_e32 v29, v24, v24
	v_fmaak_f32 v30, s34, v29, 0x3ecc95a3
	v_mul_f32_e32 v31, v24, v29
	v_cmp_eq_f32_e64 s34, 0x7f800000, v23
	s_delay_alu instid0(VALU_DEP_3) | instskip(SKIP_2) | instid1(VALU_DEP_4)
	v_fmaak_f32 v29, v29, v30, 0x3f2aaada
	v_ldexp_f32 v30, v24, 1
	v_sub_f32_e32 v24, v24, v28
	s_or_b32 s34, s34, s36
	s_delay_alu instid0(VALU_DEP_3) | instskip(NEXT) | instid1(VALU_DEP_2)
	v_mul_f32_e32 v29, v31, v29
	v_dual_mul_f32 v31, 0x3f317218, v21 :: v_dual_sub_f32 v22, v22, v24
	s_delay_alu instid0(VALU_DEP_2) | instskip(NEXT) | instid1(VALU_DEP_2)
	v_add_f32_e32 v28, v30, v29
	v_ldexp_f32 v22, v22, 1
	s_delay_alu instid0(VALU_DEP_2) | instskip(NEXT) | instid1(VALU_DEP_4)
	v_sub_f32_e32 v24, v28, v30
	v_fma_f32 v30, 0x3f317218, v21, -v31
	s_delay_alu instid0(VALU_DEP_2) | instskip(NEXT) | instid1(VALU_DEP_1)
	v_sub_f32_e32 v24, v29, v24
	v_dual_fmamk_f32 v21, v21, 0xb102e308, v30 :: v_dual_add_f32 v22, v22, v24
	s_delay_alu instid0(VALU_DEP_1) | instskip(NEXT) | instid1(VALU_DEP_1)
	v_dual_add_f32 v24, v31, v21 :: v_dual_add_f32 v29, v28, v22
	v_sub_f32_e32 v31, v24, v31
	s_delay_alu instid0(VALU_DEP_2) | instskip(SKIP_1) | instid1(VALU_DEP_2)
	v_add_f32_e32 v30, v24, v29
	v_sub_f32_e32 v28, v29, v28
	v_dual_sub_f32 v21, v21, v31 :: v_dual_sub_f32 v32, v30, v24
	s_delay_alu instid0(VALU_DEP_2) | instskip(NEXT) | instid1(VALU_DEP_2)
	v_sub_f32_e32 v22, v22, v28
	v_sub_f32_e32 v33, v30, v32
	;; [unrolled: 1-line block ×3, first 2 shown]
	s_delay_alu instid0(VALU_DEP_2) | instskip(NEXT) | instid1(VALU_DEP_1)
	v_dual_add_f32 v29, v21, v22 :: v_dual_sub_f32 v24, v24, v33
	v_add_f32_e32 v24, v28, v24
	s_delay_alu instid0(VALU_DEP_2) | instskip(NEXT) | instid1(VALU_DEP_2)
	v_sub_f32_e32 v28, v29, v21
	v_add_f32_e32 v24, v29, v24
	s_delay_alu instid0(VALU_DEP_2) | instskip(SKIP_1) | instid1(VALU_DEP_3)
	v_sub_f32_e32 v29, v29, v28
	v_sub_f32_e32 v22, v22, v28
	v_add_f32_e32 v31, v30, v24
	s_delay_alu instid0(VALU_DEP_1) | instskip(NEXT) | instid1(VALU_DEP_1)
	v_dual_sub_f32 v21, v21, v29 :: v_dual_sub_f32 v28, v31, v30
	v_dual_add_f32 v21, v22, v21 :: v_dual_sub_f32 v22, v24, v28
	s_delay_alu instid0(VALU_DEP_1) | instskip(NEXT) | instid1(VALU_DEP_1)
	v_add_f32_e32 v21, v21, v22
	v_add_f32_e32 v21, v31, v21
	s_delay_alu instid0(VALU_DEP_1) | instskip(NEXT) | instid1(VALU_DEP_1)
	v_cndmask_b32_e64 v21, v21, v23, s34
	v_add_f32_e32 v20, v20, v21
	s_delay_alu instid0(VALU_DEP_1) | instskip(NEXT) | instid1(VALU_DEP_1)
	v_cvt_f16_f32_e32 v28, v20
	v_mov_b32_e32 v29, v28
	v_cvt_f32_f16_e32 v30, v28
.LBB440_66:
	s_or_b32 exec_lo, exec_lo, s35
	v_lshrrev_b32_e32 v9, 16, v9
	s_delay_alu instid0(VALU_DEP_2) | instskip(SKIP_1) | instid1(VALU_DEP_3)
	v_max_f32_e32 v21, v30, v30
	v_cmp_u_f16_e64 s34, v28, v28
	v_cvt_f32_f16_e32 v20, v9
	s_delay_alu instid0(VALU_DEP_1) | instskip(SKIP_1) | instid1(VALU_DEP_2)
	v_min_f32_e32 v22, v21, v20
	v_max_f32_e32 v21, v21, v20
	v_cndmask_b32_e64 v22, v22, v30, s34
	s_delay_alu instid0(VALU_DEP_2) | instskip(SKIP_1) | instid1(VALU_DEP_1)
	v_cndmask_b32_e64 v23, v21, v30, s34
	v_cmp_u_f16_e64 s34, v9, v9
	v_cndmask_b32_e64 v21, v22, v20, s34
	s_delay_alu instid0(VALU_DEP_3) | instskip(NEXT) | instid1(VALU_DEP_2)
	v_cndmask_b32_e64 v9, v23, v20, s34
	v_cmp_class_f32_e64 s36, v21, 0x1f8
	s_delay_alu instid0(VALU_DEP_2) | instskip(NEXT) | instid1(VALU_DEP_1)
	v_cmp_neq_f32_e64 s35, v21, v9
	s_or_b32 s35, s35, s36
	s_delay_alu instid0(SALU_CYCLE_1)
	s_and_saveexec_b32 s36, s35
	s_cbranch_execz .LBB440_68
; %bb.67:
	v_sub_f32_e32 v21, v21, v9
	s_delay_alu instid0(VALU_DEP_1) | instskip(NEXT) | instid1(VALU_DEP_1)
	v_mul_f32_e32 v22, 0x3fb8aa3b, v21
	v_fma_f32 v23, 0x3fb8aa3b, v21, -v22
	v_rndne_f32_e32 v24, v22
	s_delay_alu instid0(VALU_DEP_1) | instskip(SKIP_1) | instid1(VALU_DEP_2)
	v_dual_sub_f32 v22, v22, v24 :: v_dual_fmamk_f32 v23, v21, 0x32a5705f, v23
	v_cmp_ngt_f32_e64 s35, 0xc2ce8ed0, v21
	v_add_f32_e32 v22, v22, v23
	v_cvt_i32_f32_e32 v23, v24
	s_delay_alu instid0(VALU_DEP_2) | instskip(SKIP_2) | instid1(VALU_DEP_1)
	v_exp_f32_e32 v22, v22
	s_waitcnt_depctr 0xfff
	v_ldexp_f32 v22, v22, v23
	v_cndmask_b32_e64 v22, 0, v22, s35
	v_cmp_nlt_f32_e64 s35, 0x42b17218, v21
	s_delay_alu instid0(VALU_DEP_1) | instskip(NEXT) | instid1(VALU_DEP_1)
	v_cndmask_b32_e64 v23, 0x7f800000, v22, s35
	v_add_f32_e32 v24, 1.0, v23
	v_cmp_gt_f32_e64 s37, 0x33800000, |v23|
	s_delay_alu instid0(VALU_DEP_2) | instskip(NEXT) | instid1(VALU_DEP_1)
	v_cvt_f64_f32_e32 v[21:22], v24
	v_frexp_exp_i32_f64_e32 v21, v[21:22]
	v_frexp_mant_f32_e32 v22, v24
	s_delay_alu instid0(VALU_DEP_1) | instskip(SKIP_1) | instid1(VALU_DEP_1)
	v_cmp_gt_f32_e64 s35, 0x3f2aaaab, v22
	v_add_f32_e32 v22, -1.0, v24
	v_dual_sub_f32 v29, v22, v24 :: v_dual_sub_f32 v22, v23, v22
	s_delay_alu instid0(VALU_DEP_1) | instskip(NEXT) | instid1(VALU_DEP_1)
	v_add_f32_e32 v29, 1.0, v29
	v_add_f32_e32 v22, v22, v29
	v_subrev_co_ci_u32_e64 v21, s35, 0, v21, s35
	s_mov_b32 s35, 0x3e9b6dac
	s_delay_alu instid0(VALU_DEP_1) | instskip(SKIP_1) | instid1(VALU_DEP_2)
	v_sub_nc_u32_e32 v28, 0, v21
	v_cvt_f32_i32_e32 v21, v21
	v_ldexp_f32 v24, v24, v28
	v_ldexp_f32 v22, v22, v28
	s_delay_alu instid0(VALU_DEP_2) | instskip(NEXT) | instid1(VALU_DEP_1)
	v_add_f32_e32 v30, 1.0, v24
	v_add_f32_e32 v29, -1.0, v30
	s_delay_alu instid0(VALU_DEP_1) | instskip(NEXT) | instid1(VALU_DEP_1)
	v_dual_sub_f32 v29, v24, v29 :: v_dual_add_f32 v28, -1.0, v24
	v_add_f32_e32 v29, v22, v29
	s_delay_alu instid0(VALU_DEP_2) | instskip(NEXT) | instid1(VALU_DEP_1)
	v_add_f32_e32 v31, 1.0, v28
	v_dual_sub_f32 v24, v24, v31 :: v_dual_add_f32 v31, v30, v29
	s_delay_alu instid0(VALU_DEP_1) | instskip(NEXT) | instid1(VALU_DEP_2)
	v_sub_f32_e32 v30, v30, v31
	v_add_f32_e32 v22, v22, v24
	v_rcp_f32_e32 v24, v31
	s_delay_alu instid0(VALU_DEP_2) | instskip(NEXT) | instid1(VALU_DEP_2)
	v_add_f32_e32 v29, v29, v30
	v_add_f32_e32 v32, v28, v22
	s_delay_alu instid0(VALU_DEP_1) | instskip(SKIP_3) | instid1(VALU_DEP_2)
	v_sub_f32_e32 v28, v28, v32
	s_waitcnt_depctr 0xfff
	v_mul_f32_e32 v33, v32, v24
	v_add_f32_e32 v22, v22, v28
	v_mul_f32_e32 v34, v31, v33
	s_delay_alu instid0(VALU_DEP_1) | instskip(NEXT) | instid1(VALU_DEP_1)
	v_fma_f32 v30, v33, v31, -v34
	v_fmac_f32_e32 v30, v33, v29
	s_delay_alu instid0(VALU_DEP_1) | instskip(NEXT) | instid1(VALU_DEP_1)
	v_add_f32_e32 v35, v34, v30
	v_sub_f32_e32 v36, v32, v35
	v_sub_f32_e32 v28, v35, v34
	s_delay_alu instid0(VALU_DEP_2) | instskip(NEXT) | instid1(VALU_DEP_2)
	v_sub_f32_e32 v32, v32, v36
	v_sub_f32_e32 v28, v28, v30
	s_delay_alu instid0(VALU_DEP_2) | instskip(NEXT) | instid1(VALU_DEP_1)
	v_sub_f32_e32 v32, v32, v35
	v_add_f32_e32 v22, v22, v32
	s_delay_alu instid0(VALU_DEP_1) | instskip(NEXT) | instid1(VALU_DEP_1)
	v_add_f32_e32 v22, v28, v22
	v_add_f32_e32 v28, v36, v22
	s_delay_alu instid0(VALU_DEP_1) | instskip(NEXT) | instid1(VALU_DEP_1)
	v_mul_f32_e32 v30, v24, v28
	v_dual_sub_f32 v35, v36, v28 :: v_dual_mul_f32 v32, v31, v30
	s_delay_alu instid0(VALU_DEP_1) | instskip(NEXT) | instid1(VALU_DEP_2)
	v_add_f32_e32 v22, v22, v35
	v_fma_f32 v31, v30, v31, -v32
	s_delay_alu instid0(VALU_DEP_1) | instskip(NEXT) | instid1(VALU_DEP_1)
	v_fmac_f32_e32 v31, v30, v29
	v_add_f32_e32 v29, v32, v31
	s_delay_alu instid0(VALU_DEP_1) | instskip(SKIP_1) | instid1(VALU_DEP_2)
	v_sub_f32_e32 v34, v28, v29
	v_sub_f32_e32 v32, v29, v32
	v_sub_f32_e32 v28, v28, v34
	s_delay_alu instid0(VALU_DEP_1) | instskip(NEXT) | instid1(VALU_DEP_1)
	v_sub_f32_e32 v28, v28, v29
	v_dual_sub_f32 v29, v32, v31 :: v_dual_add_f32 v22, v22, v28
	v_add_f32_e32 v28, v33, v30
	s_delay_alu instid0(VALU_DEP_1) | instskip(NEXT) | instid1(VALU_DEP_1)
	v_dual_add_f32 v22, v29, v22 :: v_dual_sub_f32 v29, v28, v33
	v_add_f32_e32 v22, v34, v22
	s_delay_alu instid0(VALU_DEP_1) | instskip(NEXT) | instid1(VALU_DEP_1)
	v_dual_sub_f32 v29, v30, v29 :: v_dual_mul_f32 v22, v24, v22
	v_add_f32_e32 v22, v29, v22
	s_delay_alu instid0(VALU_DEP_1) | instskip(NEXT) | instid1(VALU_DEP_1)
	v_add_f32_e32 v24, v28, v22
	v_mul_f32_e32 v29, v24, v24
	s_delay_alu instid0(VALU_DEP_1) | instskip(SKIP_2) | instid1(VALU_DEP_3)
	v_fmaak_f32 v30, s35, v29, 0x3ecc95a3
	v_mul_f32_e32 v31, v24, v29
	v_cmp_eq_f32_e64 s35, 0x7f800000, v23
	v_fmaak_f32 v29, v29, v30, 0x3f2aaada
	v_ldexp_f32 v30, v24, 1
	v_sub_f32_e32 v24, v24, v28
	s_delay_alu instid0(VALU_DEP_4) | instskip(NEXT) | instid1(VALU_DEP_3)
	s_or_b32 s35, s35, s37
	v_mul_f32_e32 v29, v31, v29
	s_delay_alu instid0(VALU_DEP_2) | instskip(NEXT) | instid1(VALU_DEP_2)
	v_dual_mul_f32 v31, 0x3f317218, v21 :: v_dual_sub_f32 v22, v22, v24
	v_add_f32_e32 v28, v30, v29
	s_delay_alu instid0(VALU_DEP_2) | instskip(NEXT) | instid1(VALU_DEP_2)
	v_ldexp_f32 v22, v22, 1
	v_sub_f32_e32 v24, v28, v30
	s_delay_alu instid0(VALU_DEP_4) | instskip(NEXT) | instid1(VALU_DEP_2)
	v_fma_f32 v30, 0x3f317218, v21, -v31
	v_sub_f32_e32 v24, v29, v24
	s_delay_alu instid0(VALU_DEP_1) | instskip(NEXT) | instid1(VALU_DEP_1)
	v_dual_fmamk_f32 v21, v21, 0xb102e308, v30 :: v_dual_add_f32 v22, v22, v24
	v_dual_add_f32 v24, v31, v21 :: v_dual_add_f32 v29, v28, v22
	s_delay_alu instid0(VALU_DEP_1) | instskip(NEXT) | instid1(VALU_DEP_2)
	v_sub_f32_e32 v31, v24, v31
	v_add_f32_e32 v30, v24, v29
	v_sub_f32_e32 v28, v29, v28
	s_delay_alu instid0(VALU_DEP_2) | instskip(NEXT) | instid1(VALU_DEP_2)
	v_dual_sub_f32 v21, v21, v31 :: v_dual_sub_f32 v32, v30, v24
	v_sub_f32_e32 v22, v22, v28
	s_delay_alu instid0(VALU_DEP_2) | instskip(SKIP_1) | instid1(VALU_DEP_2)
	v_sub_f32_e32 v33, v30, v32
	v_sub_f32_e32 v28, v29, v32
	v_dual_add_f32 v29, v21, v22 :: v_dual_sub_f32 v24, v24, v33
	s_delay_alu instid0(VALU_DEP_1) | instskip(NEXT) | instid1(VALU_DEP_2)
	v_add_f32_e32 v24, v28, v24
	v_sub_f32_e32 v28, v29, v21
	s_delay_alu instid0(VALU_DEP_2) | instskip(NEXT) | instid1(VALU_DEP_2)
	v_add_f32_e32 v24, v29, v24
	v_sub_f32_e32 v29, v29, v28
	v_sub_f32_e32 v22, v22, v28
	s_delay_alu instid0(VALU_DEP_3) | instskip(NEXT) | instid1(VALU_DEP_1)
	v_add_f32_e32 v31, v30, v24
	v_dual_sub_f32 v21, v21, v29 :: v_dual_sub_f32 v28, v31, v30
	s_delay_alu instid0(VALU_DEP_1) | instskip(NEXT) | instid1(VALU_DEP_1)
	v_dual_add_f32 v21, v22, v21 :: v_dual_sub_f32 v22, v24, v28
	v_add_f32_e32 v21, v21, v22
	s_delay_alu instid0(VALU_DEP_1) | instskip(NEXT) | instid1(VALU_DEP_1)
	v_add_f32_e32 v21, v31, v21
	v_cndmask_b32_e64 v21, v21, v23, s35
	s_delay_alu instid0(VALU_DEP_1) | instskip(NEXT) | instid1(VALU_DEP_1)
	v_add_f32_e32 v9, v9, v21
	v_cvt_f16_f32_e32 v28, v9
	s_delay_alu instid0(VALU_DEP_1)
	v_mov_b32_e32 v29, v28
	v_cvt_f32_f16_e32 v30, v28
.LBB440_68:
	s_or_b32 exec_lo, exec_lo, s36
	v_cvt_f32_f16_e32 v9, v6
	s_delay_alu instid0(VALU_DEP_2) | instskip(SKIP_1) | instid1(VALU_DEP_2)
	v_max_f32_e32 v21, v30, v30
	v_cmp_u_f16_e64 s35, v28, v28
	v_min_f32_e32 v22, v21, v9
	v_max_f32_e32 v21, v21, v9
	s_delay_alu instid0(VALU_DEP_2) | instskip(NEXT) | instid1(VALU_DEP_2)
	v_cndmask_b32_e64 v22, v22, v30, s35
	v_cndmask_b32_e64 v21, v21, v30, s35
	v_cmp_u_f16_e64 s35, v6, v6
	s_delay_alu instid0(VALU_DEP_1) | instskip(NEXT) | instid1(VALU_DEP_3)
	v_cndmask_b32_e64 v22, v22, v9, s35
	v_cndmask_b32_e64 v21, v21, v9, s35
	s_delay_alu instid0(VALU_DEP_2) | instskip(NEXT) | instid1(VALU_DEP_2)
	v_cmp_class_f32_e64 s37, v22, 0x1f8
	v_cmp_neq_f32_e64 s36, v22, v21
	s_delay_alu instid0(VALU_DEP_1) | instskip(NEXT) | instid1(SALU_CYCLE_1)
	s_or_b32 s36, s36, s37
	s_and_saveexec_b32 s37, s36
	s_cbranch_execz .LBB440_70
; %bb.69:
	v_sub_f32_e32 v22, v22, v21
	s_delay_alu instid0(VALU_DEP_1) | instskip(NEXT) | instid1(VALU_DEP_1)
	v_mul_f32_e32 v23, 0x3fb8aa3b, v22
	v_fma_f32 v24, 0x3fb8aa3b, v22, -v23
	v_rndne_f32_e32 v28, v23
	s_delay_alu instid0(VALU_DEP_1) | instskip(SKIP_1) | instid1(VALU_DEP_2)
	v_dual_sub_f32 v23, v23, v28 :: v_dual_fmamk_f32 v24, v22, 0x32a5705f, v24
	v_cmp_ngt_f32_e64 s36, 0xc2ce8ed0, v22
	v_add_f32_e32 v23, v23, v24
	v_cvt_i32_f32_e32 v24, v28
	s_delay_alu instid0(VALU_DEP_2) | instskip(SKIP_2) | instid1(VALU_DEP_1)
	v_exp_f32_e32 v23, v23
	s_waitcnt_depctr 0xfff
	v_ldexp_f32 v23, v23, v24
	v_cndmask_b32_e64 v23, 0, v23, s36
	v_cmp_nlt_f32_e64 s36, 0x42b17218, v22
	s_delay_alu instid0(VALU_DEP_1) | instskip(NEXT) | instid1(VALU_DEP_1)
	v_cndmask_b32_e64 v24, 0x7f800000, v23, s36
	v_add_f32_e32 v28, 1.0, v24
	v_cmp_gt_f32_e64 s38, 0x33800000, |v24|
	s_delay_alu instid0(VALU_DEP_2) | instskip(NEXT) | instid1(VALU_DEP_1)
	v_cvt_f64_f32_e32 v[22:23], v28
	v_frexp_exp_i32_f64_e32 v22, v[22:23]
	v_frexp_mant_f32_e32 v23, v28
	s_delay_alu instid0(VALU_DEP_1) | instskip(SKIP_1) | instid1(VALU_DEP_1)
	v_cmp_gt_f32_e64 s36, 0x3f2aaaab, v23
	v_add_f32_e32 v23, -1.0, v28
	v_dual_sub_f32 v30, v23, v28 :: v_dual_sub_f32 v23, v24, v23
	s_delay_alu instid0(VALU_DEP_1) | instskip(NEXT) | instid1(VALU_DEP_4)
	v_add_f32_e32 v30, 1.0, v30
	v_subrev_co_ci_u32_e64 v22, s36, 0, v22, s36
	s_mov_b32 s36, 0x3e9b6dac
	s_delay_alu instid0(VALU_DEP_1) | instskip(SKIP_1) | instid1(VALU_DEP_2)
	v_sub_nc_u32_e32 v29, 0, v22
	v_cvt_f32_i32_e32 v22, v22
	v_ldexp_f32 v28, v28, v29
	s_delay_alu instid0(VALU_DEP_1) | instskip(NEXT) | instid1(VALU_DEP_1)
	v_add_f32_e32 v31, 1.0, v28
	v_dual_add_f32 v23, v23, v30 :: v_dual_add_f32 v30, -1.0, v31
	s_delay_alu instid0(VALU_DEP_1) | instskip(NEXT) | instid1(VALU_DEP_2)
	v_ldexp_f32 v23, v23, v29
	v_dual_sub_f32 v30, v28, v30 :: v_dual_add_f32 v29, -1.0, v28
	s_delay_alu instid0(VALU_DEP_1) | instskip(NEXT) | instid1(VALU_DEP_2)
	v_add_f32_e32 v30, v23, v30
	v_add_f32_e32 v32, 1.0, v29
	s_delay_alu instid0(VALU_DEP_1) | instskip(NEXT) | instid1(VALU_DEP_1)
	v_sub_f32_e32 v28, v28, v32
	v_add_f32_e32 v23, v23, v28
	s_delay_alu instid0(VALU_DEP_1) | instskip(NEXT) | instid1(VALU_DEP_1)
	v_dual_add_f32 v33, v29, v23 :: v_dual_add_f32 v32, v31, v30
	v_sub_f32_e32 v29, v29, v33
	s_delay_alu instid0(VALU_DEP_2) | instskip(SKIP_1) | instid1(VALU_DEP_1)
	v_rcp_f32_e32 v28, v32
	v_sub_f32_e32 v31, v31, v32
	v_dual_add_f32 v23, v23, v29 :: v_dual_add_f32 v30, v30, v31
	s_waitcnt_depctr 0xfff
	v_mul_f32_e32 v34, v33, v28
	s_delay_alu instid0(VALU_DEP_1) | instskip(NEXT) | instid1(VALU_DEP_1)
	v_mul_f32_e32 v35, v32, v34
	v_fma_f32 v31, v34, v32, -v35
	s_delay_alu instid0(VALU_DEP_1) | instskip(NEXT) | instid1(VALU_DEP_1)
	v_fmac_f32_e32 v31, v34, v30
	v_add_f32_e32 v36, v35, v31
	s_delay_alu instid0(VALU_DEP_1) | instskip(NEXT) | instid1(VALU_DEP_1)
	v_sub_f32_e32 v37, v33, v36
	v_sub_f32_e32 v33, v33, v37
	;; [unrolled: 1-line block ×3, first 2 shown]
	s_delay_alu instid0(VALU_DEP_2) | instskip(NEXT) | instid1(VALU_DEP_2)
	v_sub_f32_e32 v33, v33, v36
	v_sub_f32_e32 v29, v29, v31
	s_delay_alu instid0(VALU_DEP_2) | instskip(NEXT) | instid1(VALU_DEP_1)
	v_add_f32_e32 v23, v23, v33
	v_add_f32_e32 v23, v29, v23
	s_delay_alu instid0(VALU_DEP_1) | instskip(NEXT) | instid1(VALU_DEP_1)
	v_add_f32_e32 v29, v37, v23
	v_mul_f32_e32 v31, v28, v29
	s_delay_alu instid0(VALU_DEP_1) | instskip(NEXT) | instid1(VALU_DEP_1)
	v_dual_sub_f32 v36, v37, v29 :: v_dual_mul_f32 v33, v32, v31
	v_add_f32_e32 v23, v23, v36
	s_delay_alu instid0(VALU_DEP_2) | instskip(NEXT) | instid1(VALU_DEP_1)
	v_fma_f32 v32, v31, v32, -v33
	v_fmac_f32_e32 v32, v31, v30
	s_delay_alu instid0(VALU_DEP_1) | instskip(NEXT) | instid1(VALU_DEP_1)
	v_add_f32_e32 v30, v33, v32
	v_sub_f32_e32 v35, v29, v30
	v_sub_f32_e32 v33, v30, v33
	s_delay_alu instid0(VALU_DEP_2) | instskip(NEXT) | instid1(VALU_DEP_1)
	v_sub_f32_e32 v29, v29, v35
	v_sub_f32_e32 v29, v29, v30
	s_delay_alu instid0(VALU_DEP_1) | instskip(SKIP_1) | instid1(VALU_DEP_1)
	v_dual_sub_f32 v30, v33, v32 :: v_dual_add_f32 v23, v23, v29
	v_add_f32_e32 v29, v34, v31
	v_dual_add_f32 v23, v30, v23 :: v_dual_sub_f32 v30, v29, v34
	s_delay_alu instid0(VALU_DEP_1) | instskip(NEXT) | instid1(VALU_DEP_1)
	v_add_f32_e32 v23, v35, v23
	v_dual_sub_f32 v30, v31, v30 :: v_dual_mul_f32 v23, v28, v23
	s_delay_alu instid0(VALU_DEP_1) | instskip(NEXT) | instid1(VALU_DEP_1)
	v_add_f32_e32 v23, v30, v23
	v_add_f32_e32 v28, v29, v23
	s_delay_alu instid0(VALU_DEP_1) | instskip(NEXT) | instid1(VALU_DEP_1)
	v_mul_f32_e32 v30, v28, v28
	v_fmaak_f32 v31, s36, v30, 0x3ecc95a3
	v_mul_f32_e32 v32, v28, v30
	v_cmp_eq_f32_e64 s36, 0x7f800000, v24
	s_delay_alu instid0(VALU_DEP_3) | instskip(SKIP_2) | instid1(VALU_DEP_4)
	v_fmaak_f32 v30, v30, v31, 0x3f2aaada
	v_ldexp_f32 v31, v28, 1
	v_sub_f32_e32 v28, v28, v29
	s_or_b32 s36, s36, s38
	s_delay_alu instid0(VALU_DEP_3) | instskip(NEXT) | instid1(VALU_DEP_2)
	v_mul_f32_e32 v30, v32, v30
	v_dual_mul_f32 v32, 0x3f317218, v22 :: v_dual_sub_f32 v23, v23, v28
	s_delay_alu instid0(VALU_DEP_2) | instskip(NEXT) | instid1(VALU_DEP_2)
	v_add_f32_e32 v29, v31, v30
	v_ldexp_f32 v23, v23, 1
	s_delay_alu instid0(VALU_DEP_2) | instskip(NEXT) | instid1(VALU_DEP_4)
	v_sub_f32_e32 v28, v29, v31
	v_fma_f32 v31, 0x3f317218, v22, -v32
	s_delay_alu instid0(VALU_DEP_2) | instskip(NEXT) | instid1(VALU_DEP_1)
	v_sub_f32_e32 v28, v30, v28
	v_dual_fmamk_f32 v22, v22, 0xb102e308, v31 :: v_dual_add_f32 v23, v23, v28
	s_delay_alu instid0(VALU_DEP_1) | instskip(NEXT) | instid1(VALU_DEP_2)
	v_add_f32_e32 v28, v32, v22
	v_add_f32_e32 v30, v29, v23
	s_delay_alu instid0(VALU_DEP_2) | instskip(NEXT) | instid1(VALU_DEP_2)
	v_sub_f32_e32 v32, v28, v32
	v_add_f32_e32 v31, v28, v30
	v_sub_f32_e32 v29, v30, v29
	s_delay_alu instid0(VALU_DEP_3) | instskip(NEXT) | instid1(VALU_DEP_3)
	v_sub_f32_e32 v22, v22, v32
	v_sub_f32_e32 v33, v31, v28
	s_delay_alu instid0(VALU_DEP_3) | instskip(NEXT) | instid1(VALU_DEP_2)
	v_sub_f32_e32 v23, v23, v29
	v_sub_f32_e32 v34, v31, v33
	;; [unrolled: 1-line block ×3, first 2 shown]
	s_delay_alu instid0(VALU_DEP_3) | instskip(NEXT) | instid1(VALU_DEP_3)
	v_add_f32_e32 v30, v22, v23
	v_sub_f32_e32 v28, v28, v34
	s_delay_alu instid0(VALU_DEP_1) | instskip(NEXT) | instid1(VALU_DEP_1)
	v_dual_add_f32 v28, v29, v28 :: v_dual_sub_f32 v29, v30, v22
	v_add_f32_e32 v28, v30, v28
	s_delay_alu instid0(VALU_DEP_2) | instskip(SKIP_1) | instid1(VALU_DEP_3)
	v_sub_f32_e32 v30, v30, v29
	v_sub_f32_e32 v23, v23, v29
	v_add_f32_e32 v32, v31, v28
	s_delay_alu instid0(VALU_DEP_1) | instskip(NEXT) | instid1(VALU_DEP_1)
	v_dual_sub_f32 v22, v22, v30 :: v_dual_sub_f32 v29, v32, v31
	v_dual_add_f32 v22, v23, v22 :: v_dual_sub_f32 v23, v28, v29
	s_delay_alu instid0(VALU_DEP_1) | instskip(NEXT) | instid1(VALU_DEP_1)
	v_add_f32_e32 v22, v22, v23
	v_add_f32_e32 v22, v32, v22
	s_delay_alu instid0(VALU_DEP_1) | instskip(NEXT) | instid1(VALU_DEP_1)
	v_cndmask_b32_e64 v22, v22, v24, s36
	v_add_f32_e32 v21, v21, v22
	s_delay_alu instid0(VALU_DEP_1) | instskip(NEXT) | instid1(VALU_DEP_1)
	v_cvt_f16_f32_e32 v28, v21
	v_cvt_f32_f16_e32 v30, v28
	v_mov_b32_e32 v29, v28
.LBB440_70:
	s_or_b32 exec_lo, exec_lo, s37
	v_lshrrev_b32_e32 v6, 16, v6
	s_delay_alu instid0(VALU_DEP_3) | instskip(SKIP_1) | instid1(VALU_DEP_3)
	v_max_f32_e32 v22, v30, v30
	v_cmp_u_f16_e64 s36, v28, v28
	v_cvt_f32_f16_e32 v21, v6
	s_delay_alu instid0(VALU_DEP_1) | instskip(SKIP_1) | instid1(VALU_DEP_2)
	v_min_f32_e32 v23, v22, v21
	v_max_f32_e32 v22, v22, v21
	v_cndmask_b32_e64 v23, v23, v30, s36
	s_delay_alu instid0(VALU_DEP_2) | instskip(SKIP_1) | instid1(VALU_DEP_1)
	v_cndmask_b32_e64 v24, v22, v30, s36
	v_cmp_u_f16_e64 s36, v6, v6
	v_cndmask_b32_e64 v22, v23, v21, s36
	s_delay_alu instid0(VALU_DEP_3) | instskip(NEXT) | instid1(VALU_DEP_2)
	v_cndmask_b32_e64 v6, v24, v21, s36
	v_cmp_class_f32_e64 s38, v22, 0x1f8
	s_delay_alu instid0(VALU_DEP_2) | instskip(NEXT) | instid1(VALU_DEP_1)
	v_cmp_neq_f32_e64 s37, v22, v6
	s_or_b32 s37, s37, s38
	s_delay_alu instid0(SALU_CYCLE_1)
	s_and_saveexec_b32 s38, s37
	s_cbranch_execz .LBB440_72
; %bb.71:
	v_sub_f32_e32 v22, v22, v6
	s_delay_alu instid0(VALU_DEP_1) | instskip(NEXT) | instid1(VALU_DEP_1)
	v_mul_f32_e32 v23, 0x3fb8aa3b, v22
	v_fma_f32 v24, 0x3fb8aa3b, v22, -v23
	v_rndne_f32_e32 v28, v23
	s_delay_alu instid0(VALU_DEP_1) | instskip(SKIP_1) | instid1(VALU_DEP_2)
	v_dual_sub_f32 v23, v23, v28 :: v_dual_fmamk_f32 v24, v22, 0x32a5705f, v24
	v_cmp_ngt_f32_e64 s37, 0xc2ce8ed0, v22
	v_add_f32_e32 v23, v23, v24
	v_cvt_i32_f32_e32 v24, v28
	s_delay_alu instid0(VALU_DEP_2) | instskip(SKIP_2) | instid1(VALU_DEP_1)
	v_exp_f32_e32 v23, v23
	s_waitcnt_depctr 0xfff
	v_ldexp_f32 v23, v23, v24
	v_cndmask_b32_e64 v23, 0, v23, s37
	v_cmp_nlt_f32_e64 s37, 0x42b17218, v22
	s_delay_alu instid0(VALU_DEP_1) | instskip(NEXT) | instid1(VALU_DEP_1)
	v_cndmask_b32_e64 v24, 0x7f800000, v23, s37
	v_add_f32_e32 v28, 1.0, v24
	v_cmp_gt_f32_e64 s39, 0x33800000, |v24|
	s_delay_alu instid0(VALU_DEP_2) | instskip(NEXT) | instid1(VALU_DEP_1)
	v_cvt_f64_f32_e32 v[22:23], v28
	v_frexp_exp_i32_f64_e32 v22, v[22:23]
	v_frexp_mant_f32_e32 v23, v28
	s_delay_alu instid0(VALU_DEP_1) | instskip(SKIP_1) | instid1(VALU_DEP_1)
	v_cmp_gt_f32_e64 s37, 0x3f2aaaab, v23
	v_add_f32_e32 v23, -1.0, v28
	v_dual_sub_f32 v30, v23, v28 :: v_dual_sub_f32 v23, v24, v23
	s_delay_alu instid0(VALU_DEP_1) | instskip(NEXT) | instid1(VALU_DEP_4)
	v_add_f32_e32 v30, 1.0, v30
	v_subrev_co_ci_u32_e64 v22, s37, 0, v22, s37
	s_mov_b32 s37, 0x3e9b6dac
	s_delay_alu instid0(VALU_DEP_1) | instskip(SKIP_1) | instid1(VALU_DEP_2)
	v_sub_nc_u32_e32 v29, 0, v22
	v_cvt_f32_i32_e32 v22, v22
	v_ldexp_f32 v28, v28, v29
	s_delay_alu instid0(VALU_DEP_1) | instskip(NEXT) | instid1(VALU_DEP_1)
	v_add_f32_e32 v31, 1.0, v28
	v_dual_add_f32 v23, v23, v30 :: v_dual_add_f32 v30, -1.0, v31
	s_delay_alu instid0(VALU_DEP_1) | instskip(NEXT) | instid1(VALU_DEP_2)
	v_ldexp_f32 v23, v23, v29
	v_dual_sub_f32 v30, v28, v30 :: v_dual_add_f32 v29, -1.0, v28
	s_delay_alu instid0(VALU_DEP_1) | instskip(NEXT) | instid1(VALU_DEP_2)
	v_add_f32_e32 v30, v23, v30
	v_add_f32_e32 v32, 1.0, v29
	s_delay_alu instid0(VALU_DEP_1) | instskip(NEXT) | instid1(VALU_DEP_1)
	v_sub_f32_e32 v28, v28, v32
	v_add_f32_e32 v23, v23, v28
	s_delay_alu instid0(VALU_DEP_1) | instskip(NEXT) | instid1(VALU_DEP_1)
	v_dual_add_f32 v33, v29, v23 :: v_dual_add_f32 v32, v31, v30
	v_sub_f32_e32 v29, v29, v33
	s_delay_alu instid0(VALU_DEP_2) | instskip(SKIP_1) | instid1(VALU_DEP_1)
	v_rcp_f32_e32 v28, v32
	v_sub_f32_e32 v31, v31, v32
	v_dual_add_f32 v23, v23, v29 :: v_dual_add_f32 v30, v30, v31
	s_waitcnt_depctr 0xfff
	v_mul_f32_e32 v34, v33, v28
	s_delay_alu instid0(VALU_DEP_1) | instskip(NEXT) | instid1(VALU_DEP_1)
	v_mul_f32_e32 v35, v32, v34
	v_fma_f32 v31, v34, v32, -v35
	s_delay_alu instid0(VALU_DEP_1) | instskip(NEXT) | instid1(VALU_DEP_1)
	v_fmac_f32_e32 v31, v34, v30
	v_add_f32_e32 v36, v35, v31
	s_delay_alu instid0(VALU_DEP_1) | instskip(NEXT) | instid1(VALU_DEP_1)
	v_sub_f32_e32 v37, v33, v36
	v_sub_f32_e32 v33, v33, v37
	;; [unrolled: 1-line block ×3, first 2 shown]
	s_delay_alu instid0(VALU_DEP_2) | instskip(NEXT) | instid1(VALU_DEP_2)
	v_sub_f32_e32 v33, v33, v36
	v_sub_f32_e32 v29, v29, v31
	s_delay_alu instid0(VALU_DEP_2) | instskip(NEXT) | instid1(VALU_DEP_1)
	v_add_f32_e32 v23, v23, v33
	v_add_f32_e32 v23, v29, v23
	s_delay_alu instid0(VALU_DEP_1) | instskip(NEXT) | instid1(VALU_DEP_1)
	v_add_f32_e32 v29, v37, v23
	v_mul_f32_e32 v31, v28, v29
	s_delay_alu instid0(VALU_DEP_1) | instskip(NEXT) | instid1(VALU_DEP_1)
	v_dual_sub_f32 v36, v37, v29 :: v_dual_mul_f32 v33, v32, v31
	v_add_f32_e32 v23, v23, v36
	s_delay_alu instid0(VALU_DEP_2) | instskip(NEXT) | instid1(VALU_DEP_1)
	v_fma_f32 v32, v31, v32, -v33
	v_fmac_f32_e32 v32, v31, v30
	s_delay_alu instid0(VALU_DEP_1) | instskip(NEXT) | instid1(VALU_DEP_1)
	v_add_f32_e32 v30, v33, v32
	v_sub_f32_e32 v35, v29, v30
	v_sub_f32_e32 v33, v30, v33
	s_delay_alu instid0(VALU_DEP_2) | instskip(NEXT) | instid1(VALU_DEP_1)
	v_sub_f32_e32 v29, v29, v35
	v_sub_f32_e32 v29, v29, v30
	s_delay_alu instid0(VALU_DEP_1) | instskip(SKIP_1) | instid1(VALU_DEP_1)
	v_dual_sub_f32 v30, v33, v32 :: v_dual_add_f32 v23, v23, v29
	v_add_f32_e32 v29, v34, v31
	v_dual_add_f32 v23, v30, v23 :: v_dual_sub_f32 v30, v29, v34
	s_delay_alu instid0(VALU_DEP_1) | instskip(NEXT) | instid1(VALU_DEP_1)
	v_add_f32_e32 v23, v35, v23
	v_dual_sub_f32 v30, v31, v30 :: v_dual_mul_f32 v23, v28, v23
	s_delay_alu instid0(VALU_DEP_1) | instskip(NEXT) | instid1(VALU_DEP_1)
	v_add_f32_e32 v23, v30, v23
	v_add_f32_e32 v28, v29, v23
	s_delay_alu instid0(VALU_DEP_1) | instskip(NEXT) | instid1(VALU_DEP_1)
	v_mul_f32_e32 v30, v28, v28
	v_fmaak_f32 v31, s37, v30, 0x3ecc95a3
	v_mul_f32_e32 v32, v28, v30
	v_cmp_eq_f32_e64 s37, 0x7f800000, v24
	s_delay_alu instid0(VALU_DEP_3) | instskip(SKIP_2) | instid1(VALU_DEP_4)
	v_fmaak_f32 v30, v30, v31, 0x3f2aaada
	v_ldexp_f32 v31, v28, 1
	v_sub_f32_e32 v28, v28, v29
	s_or_b32 s37, s37, s39
	s_delay_alu instid0(VALU_DEP_3) | instskip(NEXT) | instid1(VALU_DEP_2)
	v_mul_f32_e32 v30, v32, v30
	v_dual_mul_f32 v32, 0x3f317218, v22 :: v_dual_sub_f32 v23, v23, v28
	s_delay_alu instid0(VALU_DEP_2) | instskip(NEXT) | instid1(VALU_DEP_2)
	v_add_f32_e32 v29, v31, v30
	v_ldexp_f32 v23, v23, 1
	s_delay_alu instid0(VALU_DEP_2) | instskip(NEXT) | instid1(VALU_DEP_4)
	v_sub_f32_e32 v28, v29, v31
	v_fma_f32 v31, 0x3f317218, v22, -v32
	s_delay_alu instid0(VALU_DEP_2) | instskip(NEXT) | instid1(VALU_DEP_1)
	v_sub_f32_e32 v28, v30, v28
	v_dual_fmamk_f32 v22, v22, 0xb102e308, v31 :: v_dual_add_f32 v23, v23, v28
	s_delay_alu instid0(VALU_DEP_1) | instskip(NEXT) | instid1(VALU_DEP_2)
	v_add_f32_e32 v28, v32, v22
	v_add_f32_e32 v30, v29, v23
	s_delay_alu instid0(VALU_DEP_2) | instskip(NEXT) | instid1(VALU_DEP_2)
	v_sub_f32_e32 v32, v28, v32
	v_add_f32_e32 v31, v28, v30
	v_sub_f32_e32 v29, v30, v29
	s_delay_alu instid0(VALU_DEP_3) | instskip(NEXT) | instid1(VALU_DEP_3)
	v_sub_f32_e32 v22, v22, v32
	v_sub_f32_e32 v33, v31, v28
	s_delay_alu instid0(VALU_DEP_3) | instskip(NEXT) | instid1(VALU_DEP_2)
	v_sub_f32_e32 v23, v23, v29
	v_sub_f32_e32 v34, v31, v33
	;; [unrolled: 1-line block ×3, first 2 shown]
	s_delay_alu instid0(VALU_DEP_3) | instskip(NEXT) | instid1(VALU_DEP_3)
	v_add_f32_e32 v30, v22, v23
	v_sub_f32_e32 v28, v28, v34
	s_delay_alu instid0(VALU_DEP_1) | instskip(NEXT) | instid1(VALU_DEP_1)
	v_dual_add_f32 v28, v29, v28 :: v_dual_sub_f32 v29, v30, v22
	v_add_f32_e32 v28, v30, v28
	s_delay_alu instid0(VALU_DEP_2) | instskip(SKIP_1) | instid1(VALU_DEP_3)
	v_sub_f32_e32 v30, v30, v29
	v_sub_f32_e32 v23, v23, v29
	v_add_f32_e32 v32, v31, v28
	s_delay_alu instid0(VALU_DEP_1) | instskip(NEXT) | instid1(VALU_DEP_1)
	v_dual_sub_f32 v22, v22, v30 :: v_dual_sub_f32 v29, v32, v31
	v_dual_add_f32 v22, v23, v22 :: v_dual_sub_f32 v23, v28, v29
	s_delay_alu instid0(VALU_DEP_1) | instskip(NEXT) | instid1(VALU_DEP_1)
	v_add_f32_e32 v22, v22, v23
	v_add_f32_e32 v22, v32, v22
	s_delay_alu instid0(VALU_DEP_1) | instskip(NEXT) | instid1(VALU_DEP_1)
	v_cndmask_b32_e64 v22, v22, v24, s37
	v_add_f32_e32 v6, v6, v22
	s_delay_alu instid0(VALU_DEP_1) | instskip(NEXT) | instid1(VALU_DEP_1)
	v_cvt_f16_f32_e32 v28, v6
	v_cvt_f32_f16_e32 v30, v28
	v_mov_b32_e32 v29, v28
.LBB440_72:
	s_or_b32 exec_lo, exec_lo, s38
	v_cvt_f32_f16_e32 v6, v7
	s_delay_alu instid0(VALU_DEP_3) | instskip(SKIP_1) | instid1(VALU_DEP_2)
	v_max_f32_e32 v22, v30, v30
	v_cmp_u_f16_e64 s37, v28, v28
	v_min_f32_e32 v23, v22, v6
	v_max_f32_e32 v22, v22, v6
	s_delay_alu instid0(VALU_DEP_2) | instskip(NEXT) | instid1(VALU_DEP_2)
	v_cndmask_b32_e64 v23, v23, v30, s37
	v_cndmask_b32_e64 v22, v22, v30, s37
	v_cmp_u_f16_e64 s37, v7, v7
	s_delay_alu instid0(VALU_DEP_1) | instskip(NEXT) | instid1(VALU_DEP_3)
	v_cndmask_b32_e64 v23, v23, v6, s37
	v_cndmask_b32_e64 v22, v22, v6, s37
	s_delay_alu instid0(VALU_DEP_2) | instskip(NEXT) | instid1(VALU_DEP_2)
	v_cmp_class_f32_e64 s39, v23, 0x1f8
	v_cmp_neq_f32_e64 s38, v23, v22
	s_delay_alu instid0(VALU_DEP_1) | instskip(NEXT) | instid1(SALU_CYCLE_1)
	s_or_b32 s38, s38, s39
	s_and_saveexec_b32 s39, s38
	s_cbranch_execz .LBB440_74
; %bb.73:
	v_sub_f32_e32 v23, v23, v22
	s_delay_alu instid0(VALU_DEP_1) | instskip(NEXT) | instid1(VALU_DEP_1)
	v_mul_f32_e32 v24, 0x3fb8aa3b, v23
	v_fma_f32 v28, 0x3fb8aa3b, v23, -v24
	v_rndne_f32_e32 v29, v24
	s_delay_alu instid0(VALU_DEP_1) | instskip(NEXT) | instid1(VALU_DEP_3)
	v_sub_f32_e32 v24, v24, v29
	v_fmamk_f32 v28, v23, 0x32a5705f, v28
	v_cmp_ngt_f32_e64 s38, 0xc2ce8ed0, v23
	s_delay_alu instid0(VALU_DEP_2) | instskip(SKIP_1) | instid1(VALU_DEP_2)
	v_add_f32_e32 v24, v24, v28
	v_cvt_i32_f32_e32 v28, v29
	v_exp_f32_e32 v24, v24
	s_waitcnt_depctr 0xfff
	v_ldexp_f32 v24, v24, v28
	s_delay_alu instid0(VALU_DEP_1) | instskip(SKIP_1) | instid1(VALU_DEP_1)
	v_cndmask_b32_e64 v24, 0, v24, s38
	v_cmp_nlt_f32_e64 s38, 0x42b17218, v23
	v_cndmask_b32_e64 v28, 0x7f800000, v24, s38
	s_delay_alu instid0(VALU_DEP_1) | instskip(SKIP_1) | instid1(VALU_DEP_2)
	v_add_f32_e32 v29, 1.0, v28
	v_cmp_gt_f32_e64 s40, 0x33800000, |v28|
	v_cvt_f64_f32_e32 v[23:24], v29
	s_delay_alu instid0(VALU_DEP_1) | instskip(SKIP_1) | instid1(VALU_DEP_1)
	v_frexp_exp_i32_f64_e32 v23, v[23:24]
	v_frexp_mant_f32_e32 v24, v29
	v_cmp_gt_f32_e64 s38, 0x3f2aaaab, v24
	v_add_f32_e32 v24, -1.0, v29
	s_delay_alu instid0(VALU_DEP_1) | instskip(NEXT) | instid1(VALU_DEP_1)
	v_sub_f32_e32 v31, v24, v29
	v_add_f32_e32 v31, 1.0, v31
	s_delay_alu instid0(VALU_DEP_4) | instskip(SKIP_1) | instid1(VALU_DEP_1)
	v_subrev_co_ci_u32_e64 v23, s38, 0, v23, s38
	s_mov_b32 s38, 0x3e9b6dac
	v_sub_nc_u32_e32 v30, 0, v23
	v_cvt_f32_i32_e32 v23, v23
	s_delay_alu instid0(VALU_DEP_2) | instskip(SKIP_1) | instid1(VALU_DEP_1)
	v_ldexp_f32 v29, v29, v30
	v_sub_f32_e32 v24, v28, v24
	v_add_f32_e32 v24, v24, v31
	s_delay_alu instid0(VALU_DEP_1) | instskip(NEXT) | instid1(VALU_DEP_4)
	v_ldexp_f32 v24, v24, v30
	v_add_f32_e32 v30, -1.0, v29
	s_delay_alu instid0(VALU_DEP_1) | instskip(NEXT) | instid1(VALU_DEP_1)
	v_dual_add_f32 v32, 1.0, v29 :: v_dual_add_f32 v33, 1.0, v30
	v_add_f32_e32 v31, -1.0, v32
	s_delay_alu instid0(VALU_DEP_1) | instskip(NEXT) | instid1(VALU_DEP_3)
	v_sub_f32_e32 v31, v29, v31
	v_sub_f32_e32 v29, v29, v33
	s_delay_alu instid0(VALU_DEP_2) | instskip(NEXT) | instid1(VALU_DEP_2)
	v_add_f32_e32 v31, v24, v31
	v_add_f32_e32 v24, v24, v29
	s_delay_alu instid0(VALU_DEP_1) | instskip(NEXT) | instid1(VALU_DEP_1)
	v_dual_add_f32 v33, v32, v31 :: v_dual_add_f32 v34, v30, v24
	v_rcp_f32_e32 v29, v33
	v_sub_f32_e32 v32, v32, v33
	s_delay_alu instid0(VALU_DEP_1) | instskip(SKIP_2) | instid1(VALU_DEP_1)
	v_dual_sub_f32 v30, v30, v34 :: v_dual_add_f32 v31, v31, v32
	s_waitcnt_depctr 0xfff
	v_dual_add_f32 v24, v24, v30 :: v_dual_mul_f32 v35, v34, v29
	v_mul_f32_e32 v36, v33, v35
	s_delay_alu instid0(VALU_DEP_1) | instskip(NEXT) | instid1(VALU_DEP_1)
	v_fma_f32 v32, v35, v33, -v36
	v_fmac_f32_e32 v32, v35, v31
	s_delay_alu instid0(VALU_DEP_1) | instskip(NEXT) | instid1(VALU_DEP_1)
	v_add_f32_e32 v37, v36, v32
	v_sub_f32_e32 v38, v34, v37
	s_delay_alu instid0(VALU_DEP_1) | instskip(SKIP_1) | instid1(VALU_DEP_2)
	v_sub_f32_e32 v34, v34, v38
	v_sub_f32_e32 v30, v37, v36
	;; [unrolled: 1-line block ×3, first 2 shown]
	s_delay_alu instid0(VALU_DEP_2) | instskip(NEXT) | instid1(VALU_DEP_2)
	v_sub_f32_e32 v30, v30, v32
	v_add_f32_e32 v24, v24, v34
	s_delay_alu instid0(VALU_DEP_1) | instskip(NEXT) | instid1(VALU_DEP_1)
	v_add_f32_e32 v24, v30, v24
	v_add_f32_e32 v30, v38, v24
	s_delay_alu instid0(VALU_DEP_1) | instskip(NEXT) | instid1(VALU_DEP_1)
	v_mul_f32_e32 v32, v29, v30
	v_mul_f32_e32 v34, v33, v32
	s_delay_alu instid0(VALU_DEP_1) | instskip(NEXT) | instid1(VALU_DEP_1)
	v_fma_f32 v33, v32, v33, -v34
	v_fmac_f32_e32 v33, v32, v31
	v_sub_f32_e32 v37, v38, v30
	s_delay_alu instid0(VALU_DEP_2) | instskip(NEXT) | instid1(VALU_DEP_2)
	v_add_f32_e32 v31, v34, v33
	v_add_f32_e32 v24, v24, v37
	s_delay_alu instid0(VALU_DEP_2) | instskip(SKIP_1) | instid1(VALU_DEP_2)
	v_sub_f32_e32 v36, v30, v31
	v_sub_f32_e32 v34, v31, v34
	;; [unrolled: 1-line block ×3, first 2 shown]
	s_delay_alu instid0(VALU_DEP_1) | instskip(NEXT) | instid1(VALU_DEP_1)
	v_sub_f32_e32 v30, v30, v31
	v_dual_sub_f32 v31, v34, v33 :: v_dual_add_f32 v24, v24, v30
	v_add_f32_e32 v30, v35, v32
	s_delay_alu instid0(VALU_DEP_1) | instskip(NEXT) | instid1(VALU_DEP_1)
	v_dual_add_f32 v24, v31, v24 :: v_dual_sub_f32 v31, v30, v35
	v_add_f32_e32 v24, v36, v24
	s_delay_alu instid0(VALU_DEP_1) | instskip(NEXT) | instid1(VALU_DEP_1)
	v_dual_sub_f32 v31, v32, v31 :: v_dual_mul_f32 v24, v29, v24
	v_add_f32_e32 v24, v31, v24
	s_delay_alu instid0(VALU_DEP_1) | instskip(NEXT) | instid1(VALU_DEP_1)
	v_add_f32_e32 v29, v30, v24
	v_mul_f32_e32 v31, v29, v29
	s_delay_alu instid0(VALU_DEP_1) | instskip(SKIP_2) | instid1(VALU_DEP_3)
	v_fmaak_f32 v32, s38, v31, 0x3ecc95a3
	v_mul_f32_e32 v33, v29, v31
	v_cmp_eq_f32_e64 s38, 0x7f800000, v28
	v_fmaak_f32 v31, v31, v32, 0x3f2aaada
	v_ldexp_f32 v32, v29, 1
	v_sub_f32_e32 v29, v29, v30
	s_delay_alu instid0(VALU_DEP_4) | instskip(NEXT) | instid1(VALU_DEP_3)
	s_or_b32 s38, s38, s40
	v_mul_f32_e32 v31, v33, v31
	s_delay_alu instid0(VALU_DEP_2) | instskip(NEXT) | instid1(VALU_DEP_2)
	v_dual_mul_f32 v33, 0x3f317218, v23 :: v_dual_sub_f32 v24, v24, v29
	v_add_f32_e32 v30, v32, v31
	s_delay_alu instid0(VALU_DEP_2) | instskip(NEXT) | instid1(VALU_DEP_2)
	v_ldexp_f32 v24, v24, 1
	v_sub_f32_e32 v29, v30, v32
	s_delay_alu instid0(VALU_DEP_4) | instskip(NEXT) | instid1(VALU_DEP_2)
	v_fma_f32 v32, 0x3f317218, v23, -v33
	v_sub_f32_e32 v29, v31, v29
	s_delay_alu instid0(VALU_DEP_1) | instskip(NEXT) | instid1(VALU_DEP_1)
	v_dual_fmamk_f32 v23, v23, 0xb102e308, v32 :: v_dual_add_f32 v24, v24, v29
	v_add_f32_e32 v29, v33, v23
	s_delay_alu instid0(VALU_DEP_2) | instskip(NEXT) | instid1(VALU_DEP_2)
	v_add_f32_e32 v31, v30, v24
	v_sub_f32_e32 v33, v29, v33
	s_delay_alu instid0(VALU_DEP_2) | instskip(SKIP_1) | instid1(VALU_DEP_3)
	v_add_f32_e32 v32, v29, v31
	v_sub_f32_e32 v30, v31, v30
	v_sub_f32_e32 v23, v23, v33
	s_delay_alu instid0(VALU_DEP_3) | instskip(NEXT) | instid1(VALU_DEP_3)
	v_sub_f32_e32 v34, v32, v29
	v_sub_f32_e32 v24, v24, v30
	s_delay_alu instid0(VALU_DEP_2) | instskip(SKIP_1) | instid1(VALU_DEP_3)
	v_sub_f32_e32 v35, v32, v34
	v_sub_f32_e32 v30, v31, v34
	v_add_f32_e32 v31, v23, v24
	s_delay_alu instid0(VALU_DEP_3) | instskip(NEXT) | instid1(VALU_DEP_1)
	v_sub_f32_e32 v29, v29, v35
	v_dual_add_f32 v29, v30, v29 :: v_dual_sub_f32 v30, v31, v23
	s_delay_alu instid0(VALU_DEP_1) | instskip(NEXT) | instid1(VALU_DEP_2)
	v_add_f32_e32 v29, v31, v29
	v_sub_f32_e32 v31, v31, v30
	v_sub_f32_e32 v24, v24, v30
	s_delay_alu instid0(VALU_DEP_3) | instskip(NEXT) | instid1(VALU_DEP_1)
	v_add_f32_e32 v33, v32, v29
	v_dual_sub_f32 v23, v23, v31 :: v_dual_sub_f32 v30, v33, v32
	s_delay_alu instid0(VALU_DEP_1) | instskip(NEXT) | instid1(VALU_DEP_1)
	v_dual_add_f32 v23, v24, v23 :: v_dual_sub_f32 v24, v29, v30
	v_add_f32_e32 v23, v23, v24
	s_delay_alu instid0(VALU_DEP_1) | instskip(NEXT) | instid1(VALU_DEP_1)
	v_add_f32_e32 v23, v33, v23
	v_cndmask_b32_e64 v23, v23, v28, s38
	s_delay_alu instid0(VALU_DEP_1) | instskip(NEXT) | instid1(VALU_DEP_1)
	v_add_f32_e32 v22, v22, v23
	v_cvt_f16_f32_e32 v28, v22
	s_delay_alu instid0(VALU_DEP_1)
	v_mov_b32_e32 v29, v28
	v_cvt_f32_f16_e32 v30, v28
.LBB440_74:
	s_or_b32 exec_lo, exec_lo, s39
	v_lshrrev_b32_e32 v7, 16, v7
	s_delay_alu instid0(VALU_DEP_2) | instskip(SKIP_1) | instid1(VALU_DEP_3)
	v_max_f32_e32 v23, v30, v30
	v_cmp_u_f16_e64 s38, v28, v28
	v_cvt_f32_f16_e32 v22, v7
	s_delay_alu instid0(VALU_DEP_1) | instskip(SKIP_1) | instid1(VALU_DEP_2)
	v_min_f32_e32 v24, v23, v22
	v_max_f32_e32 v23, v23, v22
	v_cndmask_b32_e64 v24, v24, v30, s38
	s_delay_alu instid0(VALU_DEP_2) | instskip(SKIP_1) | instid1(VALU_DEP_1)
	v_cndmask_b32_e64 v31, v23, v30, s38
	v_cmp_u_f16_e64 s38, v7, v7
	v_cndmask_b32_e64 v23, v24, v22, s38
	s_delay_alu instid0(VALU_DEP_3) | instskip(NEXT) | instid1(VALU_DEP_2)
	v_cndmask_b32_e64 v7, v31, v22, s38
	v_cmp_class_f32_e64 s40, v23, 0x1f8
	s_delay_alu instid0(VALU_DEP_2) | instskip(NEXT) | instid1(VALU_DEP_1)
	v_cmp_neq_f32_e64 s39, v23, v7
	s_or_b32 s39, s39, s40
	s_delay_alu instid0(SALU_CYCLE_1)
	s_and_saveexec_b32 s40, s39
	s_cbranch_execz .LBB440_76
; %bb.75:
	v_sub_f32_e32 v23, v23, v7
	s_delay_alu instid0(VALU_DEP_1) | instskip(NEXT) | instid1(VALU_DEP_1)
	v_mul_f32_e32 v24, 0x3fb8aa3b, v23
	v_fma_f32 v28, 0x3fb8aa3b, v23, -v24
	v_rndne_f32_e32 v29, v24
	s_delay_alu instid0(VALU_DEP_1) | instskip(NEXT) | instid1(VALU_DEP_3)
	v_sub_f32_e32 v24, v24, v29
	v_fmamk_f32 v28, v23, 0x32a5705f, v28
	v_cmp_ngt_f32_e64 s39, 0xc2ce8ed0, v23
	s_delay_alu instid0(VALU_DEP_2) | instskip(SKIP_1) | instid1(VALU_DEP_2)
	v_add_f32_e32 v24, v24, v28
	v_cvt_i32_f32_e32 v28, v29
	v_exp_f32_e32 v24, v24
	s_waitcnt_depctr 0xfff
	v_ldexp_f32 v24, v24, v28
	s_delay_alu instid0(VALU_DEP_1) | instskip(SKIP_1) | instid1(VALU_DEP_1)
	v_cndmask_b32_e64 v24, 0, v24, s39
	v_cmp_nlt_f32_e64 s39, 0x42b17218, v23
	v_cndmask_b32_e64 v28, 0x7f800000, v24, s39
	s_delay_alu instid0(VALU_DEP_1) | instskip(SKIP_1) | instid1(VALU_DEP_2)
	v_add_f32_e32 v29, 1.0, v28
	v_cmp_gt_f32_e64 s41, 0x33800000, |v28|
	v_cvt_f64_f32_e32 v[23:24], v29
	s_delay_alu instid0(VALU_DEP_1) | instskip(SKIP_1) | instid1(VALU_DEP_1)
	v_frexp_exp_i32_f64_e32 v23, v[23:24]
	v_frexp_mant_f32_e32 v24, v29
	v_cmp_gt_f32_e64 s39, 0x3f2aaaab, v24
	v_add_f32_e32 v24, -1.0, v29
	s_delay_alu instid0(VALU_DEP_1) | instskip(NEXT) | instid1(VALU_DEP_1)
	v_sub_f32_e32 v31, v24, v29
	v_add_f32_e32 v31, 1.0, v31
	s_delay_alu instid0(VALU_DEP_4) | instskip(SKIP_1) | instid1(VALU_DEP_1)
	v_subrev_co_ci_u32_e64 v23, s39, 0, v23, s39
	s_mov_b32 s39, 0x3e9b6dac
	v_sub_nc_u32_e32 v30, 0, v23
	v_cvt_f32_i32_e32 v23, v23
	s_delay_alu instid0(VALU_DEP_2) | instskip(SKIP_1) | instid1(VALU_DEP_1)
	v_ldexp_f32 v29, v29, v30
	v_sub_f32_e32 v24, v28, v24
	v_add_f32_e32 v24, v24, v31
	s_delay_alu instid0(VALU_DEP_1) | instskip(NEXT) | instid1(VALU_DEP_4)
	v_ldexp_f32 v24, v24, v30
	v_add_f32_e32 v30, -1.0, v29
	s_delay_alu instid0(VALU_DEP_1) | instskip(NEXT) | instid1(VALU_DEP_1)
	v_dual_add_f32 v32, 1.0, v29 :: v_dual_add_f32 v33, 1.0, v30
	v_add_f32_e32 v31, -1.0, v32
	s_delay_alu instid0(VALU_DEP_1) | instskip(NEXT) | instid1(VALU_DEP_3)
	v_sub_f32_e32 v31, v29, v31
	v_sub_f32_e32 v29, v29, v33
	s_delay_alu instid0(VALU_DEP_2) | instskip(NEXT) | instid1(VALU_DEP_2)
	v_add_f32_e32 v31, v24, v31
	v_add_f32_e32 v24, v24, v29
	s_delay_alu instid0(VALU_DEP_1) | instskip(NEXT) | instid1(VALU_DEP_1)
	v_dual_add_f32 v33, v32, v31 :: v_dual_add_f32 v34, v30, v24
	v_rcp_f32_e32 v29, v33
	v_sub_f32_e32 v32, v32, v33
	s_delay_alu instid0(VALU_DEP_1) | instskip(SKIP_2) | instid1(VALU_DEP_1)
	v_dual_sub_f32 v30, v30, v34 :: v_dual_add_f32 v31, v31, v32
	s_waitcnt_depctr 0xfff
	v_dual_add_f32 v24, v24, v30 :: v_dual_mul_f32 v35, v34, v29
	v_mul_f32_e32 v36, v33, v35
	s_delay_alu instid0(VALU_DEP_1) | instskip(NEXT) | instid1(VALU_DEP_1)
	v_fma_f32 v32, v35, v33, -v36
	v_fmac_f32_e32 v32, v35, v31
	s_delay_alu instid0(VALU_DEP_1) | instskip(NEXT) | instid1(VALU_DEP_1)
	v_add_f32_e32 v37, v36, v32
	v_sub_f32_e32 v38, v34, v37
	s_delay_alu instid0(VALU_DEP_1) | instskip(SKIP_1) | instid1(VALU_DEP_2)
	v_sub_f32_e32 v34, v34, v38
	v_sub_f32_e32 v30, v37, v36
	;; [unrolled: 1-line block ×3, first 2 shown]
	s_delay_alu instid0(VALU_DEP_2) | instskip(NEXT) | instid1(VALU_DEP_2)
	v_sub_f32_e32 v30, v30, v32
	v_add_f32_e32 v24, v24, v34
	s_delay_alu instid0(VALU_DEP_1) | instskip(NEXT) | instid1(VALU_DEP_1)
	v_add_f32_e32 v24, v30, v24
	v_add_f32_e32 v30, v38, v24
	s_delay_alu instid0(VALU_DEP_1) | instskip(NEXT) | instid1(VALU_DEP_1)
	v_mul_f32_e32 v32, v29, v30
	v_mul_f32_e32 v34, v33, v32
	s_delay_alu instid0(VALU_DEP_1) | instskip(NEXT) | instid1(VALU_DEP_1)
	v_fma_f32 v33, v32, v33, -v34
	v_fmac_f32_e32 v33, v32, v31
	v_sub_f32_e32 v37, v38, v30
	s_delay_alu instid0(VALU_DEP_2) | instskip(NEXT) | instid1(VALU_DEP_2)
	v_add_f32_e32 v31, v34, v33
	v_add_f32_e32 v24, v24, v37
	s_delay_alu instid0(VALU_DEP_2) | instskip(SKIP_1) | instid1(VALU_DEP_2)
	v_sub_f32_e32 v36, v30, v31
	v_sub_f32_e32 v34, v31, v34
	;; [unrolled: 1-line block ×3, first 2 shown]
	s_delay_alu instid0(VALU_DEP_1) | instskip(NEXT) | instid1(VALU_DEP_1)
	v_sub_f32_e32 v30, v30, v31
	v_dual_sub_f32 v31, v34, v33 :: v_dual_add_f32 v24, v24, v30
	v_add_f32_e32 v30, v35, v32
	s_delay_alu instid0(VALU_DEP_1) | instskip(NEXT) | instid1(VALU_DEP_1)
	v_dual_add_f32 v24, v31, v24 :: v_dual_sub_f32 v31, v30, v35
	v_add_f32_e32 v24, v36, v24
	s_delay_alu instid0(VALU_DEP_1) | instskip(NEXT) | instid1(VALU_DEP_1)
	v_dual_sub_f32 v31, v32, v31 :: v_dual_mul_f32 v24, v29, v24
	v_add_f32_e32 v24, v31, v24
	s_delay_alu instid0(VALU_DEP_1) | instskip(NEXT) | instid1(VALU_DEP_1)
	v_add_f32_e32 v29, v30, v24
	v_mul_f32_e32 v31, v29, v29
	s_delay_alu instid0(VALU_DEP_1) | instskip(SKIP_2) | instid1(VALU_DEP_3)
	v_fmaak_f32 v32, s39, v31, 0x3ecc95a3
	v_mul_f32_e32 v33, v29, v31
	v_cmp_eq_f32_e64 s39, 0x7f800000, v28
	v_fmaak_f32 v31, v31, v32, 0x3f2aaada
	v_ldexp_f32 v32, v29, 1
	v_sub_f32_e32 v29, v29, v30
	s_delay_alu instid0(VALU_DEP_4) | instskip(NEXT) | instid1(VALU_DEP_3)
	s_or_b32 s39, s39, s41
	v_mul_f32_e32 v31, v33, v31
	s_delay_alu instid0(VALU_DEP_2) | instskip(NEXT) | instid1(VALU_DEP_2)
	v_dual_mul_f32 v33, 0x3f317218, v23 :: v_dual_sub_f32 v24, v24, v29
	v_add_f32_e32 v30, v32, v31
	s_delay_alu instid0(VALU_DEP_2) | instskip(NEXT) | instid1(VALU_DEP_2)
	v_ldexp_f32 v24, v24, 1
	v_sub_f32_e32 v29, v30, v32
	s_delay_alu instid0(VALU_DEP_4) | instskip(NEXT) | instid1(VALU_DEP_2)
	v_fma_f32 v32, 0x3f317218, v23, -v33
	v_sub_f32_e32 v29, v31, v29
	s_delay_alu instid0(VALU_DEP_1) | instskip(NEXT) | instid1(VALU_DEP_1)
	v_dual_fmamk_f32 v23, v23, 0xb102e308, v32 :: v_dual_add_f32 v24, v24, v29
	v_add_f32_e32 v29, v33, v23
	s_delay_alu instid0(VALU_DEP_2) | instskip(NEXT) | instid1(VALU_DEP_2)
	v_add_f32_e32 v31, v30, v24
	v_sub_f32_e32 v33, v29, v33
	s_delay_alu instid0(VALU_DEP_2) | instskip(SKIP_1) | instid1(VALU_DEP_3)
	v_add_f32_e32 v32, v29, v31
	v_sub_f32_e32 v30, v31, v30
	v_sub_f32_e32 v23, v23, v33
	s_delay_alu instid0(VALU_DEP_3) | instskip(NEXT) | instid1(VALU_DEP_3)
	v_sub_f32_e32 v34, v32, v29
	v_sub_f32_e32 v24, v24, v30
	s_delay_alu instid0(VALU_DEP_2) | instskip(SKIP_1) | instid1(VALU_DEP_3)
	v_sub_f32_e32 v35, v32, v34
	v_sub_f32_e32 v30, v31, v34
	v_add_f32_e32 v31, v23, v24
	s_delay_alu instid0(VALU_DEP_3) | instskip(NEXT) | instid1(VALU_DEP_1)
	v_sub_f32_e32 v29, v29, v35
	v_dual_add_f32 v29, v30, v29 :: v_dual_sub_f32 v30, v31, v23
	s_delay_alu instid0(VALU_DEP_1) | instskip(NEXT) | instid1(VALU_DEP_2)
	v_add_f32_e32 v29, v31, v29
	v_sub_f32_e32 v31, v31, v30
	v_sub_f32_e32 v24, v24, v30
	s_delay_alu instid0(VALU_DEP_3) | instskip(NEXT) | instid1(VALU_DEP_1)
	v_add_f32_e32 v33, v32, v29
	v_dual_sub_f32 v23, v23, v31 :: v_dual_sub_f32 v30, v33, v32
	s_delay_alu instid0(VALU_DEP_1) | instskip(NEXT) | instid1(VALU_DEP_1)
	v_dual_add_f32 v23, v24, v23 :: v_dual_sub_f32 v24, v29, v30
	v_add_f32_e32 v23, v23, v24
	s_delay_alu instid0(VALU_DEP_1) | instskip(NEXT) | instid1(VALU_DEP_1)
	v_add_f32_e32 v23, v33, v23
	v_cndmask_b32_e64 v23, v23, v28, s39
	s_delay_alu instid0(VALU_DEP_1) | instskip(NEXT) | instid1(VALU_DEP_1)
	v_add_f32_e32 v7, v7, v23
	v_cvt_f16_f32_e32 v28, v7
	s_delay_alu instid0(VALU_DEP_1)
	v_mov_b32_e32 v29, v28
	v_cvt_f32_f16_e32 v30, v28
.LBB440_76:
	s_or_b32 exec_lo, exec_lo, s40
	v_cvt_f32_f16_e32 v7, v4
	s_delay_alu instid0(VALU_DEP_2) | instskip(SKIP_1) | instid1(VALU_DEP_2)
	v_max_f32_e32 v23, v30, v30
	v_cmp_u_f16_e64 s39, v28, v28
	v_min_f32_e32 v24, v23, v7
	v_max_f32_e32 v23, v23, v7
	s_delay_alu instid0(VALU_DEP_2) | instskip(NEXT) | instid1(VALU_DEP_2)
	v_cndmask_b32_e64 v24, v24, v30, s39
	v_cndmask_b32_e64 v23, v23, v30, s39
	v_cmp_u_f16_e64 s39, v4, v4
	s_delay_alu instid0(VALU_DEP_1) | instskip(NEXT) | instid1(VALU_DEP_3)
	v_cndmask_b32_e64 v24, v24, v7, s39
	v_cndmask_b32_e64 v23, v23, v7, s39
	s_delay_alu instid0(VALU_DEP_2) | instskip(NEXT) | instid1(VALU_DEP_2)
	v_cmp_class_f32_e64 s41, v24, 0x1f8
	v_cmp_neq_f32_e64 s40, v24, v23
	s_delay_alu instid0(VALU_DEP_1) | instskip(NEXT) | instid1(SALU_CYCLE_1)
	s_or_b32 s40, s40, s41
	s_and_saveexec_b32 s41, s40
	s_cbranch_execz .LBB440_78
; %bb.77:
	v_sub_f32_e32 v24, v24, v23
	s_delay_alu instid0(VALU_DEP_1) | instskip(SKIP_1) | instid1(VALU_DEP_2)
	v_mul_f32_e32 v28, 0x3fb8aa3b, v24
	v_cmp_ngt_f32_e64 s40, 0xc2ce8ed0, v24
	v_fma_f32 v29, 0x3fb8aa3b, v24, -v28
	v_rndne_f32_e32 v30, v28
	s_delay_alu instid0(VALU_DEP_2) | instskip(NEXT) | instid1(VALU_DEP_2)
	v_fmamk_f32 v29, v24, 0x32a5705f, v29
	v_sub_f32_e32 v28, v28, v30
	s_delay_alu instid0(VALU_DEP_1) | instskip(SKIP_1) | instid1(VALU_DEP_2)
	v_add_f32_e32 v28, v28, v29
	v_cvt_i32_f32_e32 v29, v30
	v_exp_f32_e32 v28, v28
	s_waitcnt_depctr 0xfff
	v_ldexp_f32 v28, v28, v29
	s_delay_alu instid0(VALU_DEP_1) | instskip(SKIP_1) | instid1(VALU_DEP_1)
	v_cndmask_b32_e64 v28, 0, v28, s40
	v_cmp_nlt_f32_e64 s40, 0x42b17218, v24
	v_cndmask_b32_e64 v24, 0x7f800000, v28, s40
	s_delay_alu instid0(VALU_DEP_1) | instskip(SKIP_1) | instid1(VALU_DEP_2)
	v_add_f32_e32 v30, 1.0, v24
	v_cmp_gt_f32_e64 s42, 0x33800000, |v24|
	v_cvt_f64_f32_e32 v[28:29], v30
	s_delay_alu instid0(VALU_DEP_1) | instskip(SKIP_1) | instid1(VALU_DEP_1)
	v_frexp_exp_i32_f64_e32 v28, v[28:29]
	v_frexp_mant_f32_e32 v29, v30
	v_cmp_gt_f32_e64 s40, 0x3f2aaaab, v29
	v_add_f32_e32 v29, -1.0, v30
	s_delay_alu instid0(VALU_DEP_1) | instskip(NEXT) | instid1(VALU_DEP_3)
	v_dual_sub_f32 v32, v29, v30 :: v_dual_sub_f32 v29, v24, v29
	v_subrev_co_ci_u32_e64 v28, s40, 0, v28, s40
	s_mov_b32 s40, 0x3e9b6dac
	s_delay_alu instid0(VALU_DEP_1) | instskip(SKIP_1) | instid1(VALU_DEP_2)
	v_sub_nc_u32_e32 v31, 0, v28
	v_cvt_f32_i32_e32 v28, v28
	v_ldexp_f32 v30, v30, v31
	s_delay_alu instid0(VALU_DEP_1) | instskip(NEXT) | instid1(VALU_DEP_1)
	v_dual_add_f32 v32, 1.0, v32 :: v_dual_add_f32 v33, 1.0, v30
	v_add_f32_e32 v29, v29, v32
	s_delay_alu instid0(VALU_DEP_1) | instskip(NEXT) | instid1(VALU_DEP_3)
	v_ldexp_f32 v29, v29, v31
	v_dual_add_f32 v31, -1.0, v30 :: v_dual_add_f32 v32, -1.0, v33
	s_delay_alu instid0(VALU_DEP_1) | instskip(NEXT) | instid1(VALU_DEP_2)
	v_add_f32_e32 v34, 1.0, v31
	v_sub_f32_e32 v32, v30, v32
	s_delay_alu instid0(VALU_DEP_2) | instskip(NEXT) | instid1(VALU_DEP_2)
	v_sub_f32_e32 v30, v30, v34
	v_add_f32_e32 v32, v29, v32
	s_delay_alu instid0(VALU_DEP_2) | instskip(NEXT) | instid1(VALU_DEP_1)
	v_add_f32_e32 v29, v29, v30
	v_dual_add_f32 v35, v31, v29 :: v_dual_add_f32 v34, v33, v32
	s_delay_alu instid0(VALU_DEP_1) | instskip(NEXT) | instid1(VALU_DEP_2)
	v_sub_f32_e32 v31, v31, v35
	v_rcp_f32_e32 v30, v34
	v_sub_f32_e32 v33, v33, v34
	s_delay_alu instid0(VALU_DEP_1) | instskip(SKIP_2) | instid1(VALU_DEP_1)
	v_dual_add_f32 v29, v29, v31 :: v_dual_add_f32 v32, v32, v33
	s_waitcnt_depctr 0xfff
	v_mul_f32_e32 v36, v35, v30
	v_mul_f32_e32 v37, v34, v36
	s_delay_alu instid0(VALU_DEP_1) | instskip(NEXT) | instid1(VALU_DEP_1)
	v_fma_f32 v33, v36, v34, -v37
	v_fmac_f32_e32 v33, v36, v32
	s_delay_alu instid0(VALU_DEP_1) | instskip(NEXT) | instid1(VALU_DEP_1)
	v_add_f32_e32 v38, v37, v33
	v_sub_f32_e32 v39, v35, v38
	v_sub_f32_e32 v31, v38, v37
	s_delay_alu instid0(VALU_DEP_2) | instskip(NEXT) | instid1(VALU_DEP_2)
	v_sub_f32_e32 v35, v35, v39
	v_sub_f32_e32 v31, v31, v33
	s_delay_alu instid0(VALU_DEP_2) | instskip(NEXT) | instid1(VALU_DEP_1)
	v_sub_f32_e32 v35, v35, v38
	v_add_f32_e32 v29, v29, v35
	s_delay_alu instid0(VALU_DEP_1) | instskip(NEXT) | instid1(VALU_DEP_1)
	v_add_f32_e32 v29, v31, v29
	v_add_f32_e32 v31, v39, v29
	s_delay_alu instid0(VALU_DEP_1) | instskip(NEXT) | instid1(VALU_DEP_1)
	v_mul_f32_e32 v33, v30, v31
	v_dual_sub_f32 v38, v39, v31 :: v_dual_mul_f32 v35, v34, v33
	s_delay_alu instid0(VALU_DEP_1) | instskip(NEXT) | instid1(VALU_DEP_2)
	v_add_f32_e32 v29, v29, v38
	v_fma_f32 v34, v33, v34, -v35
	s_delay_alu instid0(VALU_DEP_1) | instskip(NEXT) | instid1(VALU_DEP_1)
	v_fmac_f32_e32 v34, v33, v32
	v_add_f32_e32 v32, v35, v34
	s_delay_alu instid0(VALU_DEP_1) | instskip(NEXT) | instid1(VALU_DEP_1)
	v_sub_f32_e32 v37, v31, v32
	v_sub_f32_e32 v31, v31, v37
	s_delay_alu instid0(VALU_DEP_1) | instskip(NEXT) | instid1(VALU_DEP_1)
	v_sub_f32_e32 v31, v31, v32
	v_add_f32_e32 v29, v29, v31
	v_add_f32_e32 v31, v36, v33
	v_sub_f32_e32 v35, v32, v35
	s_delay_alu instid0(VALU_DEP_1) | instskip(NEXT) | instid1(VALU_DEP_1)
	v_sub_f32_e32 v32, v35, v34
	v_dual_add_f32 v29, v32, v29 :: v_dual_sub_f32 v32, v31, v36
	s_delay_alu instid0(VALU_DEP_1) | instskip(NEXT) | instid1(VALU_DEP_1)
	v_add_f32_e32 v29, v37, v29
	v_dual_sub_f32 v32, v33, v32 :: v_dual_mul_f32 v29, v30, v29
	s_delay_alu instid0(VALU_DEP_1) | instskip(NEXT) | instid1(VALU_DEP_1)
	v_add_f32_e32 v29, v32, v29
	v_add_f32_e32 v30, v31, v29
	s_delay_alu instid0(VALU_DEP_1) | instskip(NEXT) | instid1(VALU_DEP_1)
	v_mul_f32_e32 v32, v30, v30
	v_fmaak_f32 v33, s40, v32, 0x3ecc95a3
	v_mul_f32_e32 v34, v30, v32
	v_cmp_eq_f32_e64 s40, 0x7f800000, v24
	s_delay_alu instid0(VALU_DEP_3) | instskip(SKIP_2) | instid1(VALU_DEP_4)
	v_fmaak_f32 v32, v32, v33, 0x3f2aaada
	v_ldexp_f32 v33, v30, 1
	v_sub_f32_e32 v30, v30, v31
	s_or_b32 s40, s40, s42
	s_delay_alu instid0(VALU_DEP_3) | instskip(NEXT) | instid1(VALU_DEP_2)
	v_mul_f32_e32 v32, v34, v32
	v_dual_mul_f32 v34, 0x3f317218, v28 :: v_dual_sub_f32 v29, v29, v30
	s_delay_alu instid0(VALU_DEP_2) | instskip(NEXT) | instid1(VALU_DEP_2)
	v_add_f32_e32 v31, v33, v32
	v_ldexp_f32 v29, v29, 1
	s_delay_alu instid0(VALU_DEP_2) | instskip(NEXT) | instid1(VALU_DEP_4)
	v_sub_f32_e32 v30, v31, v33
	v_fma_f32 v33, 0x3f317218, v28, -v34
	s_delay_alu instid0(VALU_DEP_2) | instskip(NEXT) | instid1(VALU_DEP_1)
	v_sub_f32_e32 v30, v32, v30
	v_dual_fmamk_f32 v28, v28, 0xb102e308, v33 :: v_dual_add_f32 v29, v29, v30
	s_delay_alu instid0(VALU_DEP_1) | instskip(NEXT) | instid1(VALU_DEP_1)
	v_add_f32_e32 v30, v34, v28
	v_sub_f32_e32 v34, v30, v34
	s_delay_alu instid0(VALU_DEP_1) | instskip(NEXT) | instid1(VALU_DEP_4)
	v_sub_f32_e32 v28, v28, v34
	v_add_f32_e32 v32, v31, v29
	s_delay_alu instid0(VALU_DEP_1) | instskip(NEXT) | instid1(VALU_DEP_1)
	v_sub_f32_e32 v31, v32, v31
	v_sub_f32_e32 v29, v29, v31
	v_add_f32_e32 v33, v30, v32
	s_delay_alu instid0(VALU_DEP_1) | instskip(NEXT) | instid1(VALU_DEP_1)
	v_sub_f32_e32 v35, v33, v30
	v_sub_f32_e32 v31, v32, v35
	s_delay_alu instid0(VALU_DEP_4) | instskip(SKIP_1) | instid1(VALU_DEP_1)
	v_add_f32_e32 v32, v28, v29
	v_sub_f32_e32 v36, v33, v35
	v_sub_f32_e32 v30, v30, v36
	s_delay_alu instid0(VALU_DEP_1) | instskip(NEXT) | instid1(VALU_DEP_1)
	v_dual_add_f32 v30, v31, v30 :: v_dual_sub_f32 v31, v32, v28
	v_dual_add_f32 v30, v32, v30 :: v_dual_sub_f32 v29, v29, v31
	v_sub_f32_e32 v32, v32, v31
	s_delay_alu instid0(VALU_DEP_2) | instskip(NEXT) | instid1(VALU_DEP_1)
	v_add_f32_e32 v34, v33, v30
	v_dual_sub_f32 v28, v28, v32 :: v_dual_sub_f32 v31, v34, v33
	s_delay_alu instid0(VALU_DEP_1) | instskip(NEXT) | instid1(VALU_DEP_1)
	v_dual_add_f32 v28, v29, v28 :: v_dual_sub_f32 v29, v30, v31
	v_add_f32_e32 v28, v28, v29
	s_delay_alu instid0(VALU_DEP_1) | instskip(NEXT) | instid1(VALU_DEP_1)
	v_add_f32_e32 v28, v34, v28
	v_cndmask_b32_e64 v24, v28, v24, s40
	s_delay_alu instid0(VALU_DEP_1) | instskip(NEXT) | instid1(VALU_DEP_1)
	v_add_f32_e32 v23, v23, v24
	v_cvt_f16_f32_e32 v28, v23
	s_delay_alu instid0(VALU_DEP_1)
	v_cvt_f32_f16_e32 v30, v28
	v_mov_b32_e32 v29, v28
.LBB440_78:
	s_or_b32 exec_lo, exec_lo, s41
	v_lshrrev_b32_e32 v4, 16, v4
	s_delay_alu instid0(VALU_DEP_3) | instskip(SKIP_1) | instid1(VALU_DEP_3)
	v_max_f32_e32 v24, v30, v30
	v_cmp_u_f16_e64 s40, v28, v28
	v_cvt_f32_f16_e32 v23, v4
	s_delay_alu instid0(VALU_DEP_1) | instskip(SKIP_1) | instid1(VALU_DEP_2)
	v_min_f32_e32 v31, v24, v23
	v_max_f32_e32 v24, v24, v23
	v_cndmask_b32_e64 v31, v31, v30, s40
	s_delay_alu instid0(VALU_DEP_2) | instskip(SKIP_1) | instid1(VALU_DEP_1)
	v_cndmask_b32_e64 v32, v24, v30, s40
	v_cmp_u_f16_e64 s40, v4, v4
	v_cndmask_b32_e64 v24, v31, v23, s40
	s_delay_alu instid0(VALU_DEP_3) | instskip(NEXT) | instid1(VALU_DEP_2)
	v_cndmask_b32_e64 v4, v32, v23, s40
	v_cmp_class_f32_e64 s42, v24, 0x1f8
	s_delay_alu instid0(VALU_DEP_2) | instskip(NEXT) | instid1(VALU_DEP_1)
	v_cmp_neq_f32_e64 s41, v24, v4
	s_or_b32 s41, s41, s42
	s_delay_alu instid0(SALU_CYCLE_1)
	s_and_saveexec_b32 s42, s41
	s_cbranch_execz .LBB440_80
; %bb.79:
	v_sub_f32_e32 v24, v24, v4
	s_delay_alu instid0(VALU_DEP_1) | instskip(SKIP_1) | instid1(VALU_DEP_2)
	v_mul_f32_e32 v28, 0x3fb8aa3b, v24
	v_cmp_ngt_f32_e64 s41, 0xc2ce8ed0, v24
	v_fma_f32 v29, 0x3fb8aa3b, v24, -v28
	v_rndne_f32_e32 v30, v28
	s_delay_alu instid0(VALU_DEP_2) | instskip(NEXT) | instid1(VALU_DEP_2)
	v_fmamk_f32 v29, v24, 0x32a5705f, v29
	v_sub_f32_e32 v28, v28, v30
	s_delay_alu instid0(VALU_DEP_1) | instskip(SKIP_1) | instid1(VALU_DEP_2)
	v_add_f32_e32 v28, v28, v29
	v_cvt_i32_f32_e32 v29, v30
	v_exp_f32_e32 v28, v28
	s_waitcnt_depctr 0xfff
	v_ldexp_f32 v28, v28, v29
	s_delay_alu instid0(VALU_DEP_1) | instskip(SKIP_1) | instid1(VALU_DEP_1)
	v_cndmask_b32_e64 v28, 0, v28, s41
	v_cmp_nlt_f32_e64 s41, 0x42b17218, v24
	v_cndmask_b32_e64 v24, 0x7f800000, v28, s41
	s_delay_alu instid0(VALU_DEP_1) | instskip(SKIP_1) | instid1(VALU_DEP_2)
	v_add_f32_e32 v30, 1.0, v24
	v_cmp_gt_f32_e64 s43, 0x33800000, |v24|
	v_cvt_f64_f32_e32 v[28:29], v30
	s_delay_alu instid0(VALU_DEP_1) | instskip(SKIP_1) | instid1(VALU_DEP_1)
	v_frexp_exp_i32_f64_e32 v28, v[28:29]
	v_frexp_mant_f32_e32 v29, v30
	v_cmp_gt_f32_e64 s41, 0x3f2aaaab, v29
	v_add_f32_e32 v29, -1.0, v30
	s_delay_alu instid0(VALU_DEP_1) | instskip(NEXT) | instid1(VALU_DEP_3)
	v_dual_sub_f32 v32, v29, v30 :: v_dual_sub_f32 v29, v24, v29
	v_subrev_co_ci_u32_e64 v28, s41, 0, v28, s41
	s_mov_b32 s41, 0x3e9b6dac
	s_delay_alu instid0(VALU_DEP_1) | instskip(SKIP_1) | instid1(VALU_DEP_2)
	v_sub_nc_u32_e32 v31, 0, v28
	v_cvt_f32_i32_e32 v28, v28
	v_ldexp_f32 v30, v30, v31
	s_delay_alu instid0(VALU_DEP_1) | instskip(NEXT) | instid1(VALU_DEP_1)
	v_dual_add_f32 v32, 1.0, v32 :: v_dual_add_f32 v33, 1.0, v30
	v_add_f32_e32 v29, v29, v32
	s_delay_alu instid0(VALU_DEP_1) | instskip(NEXT) | instid1(VALU_DEP_3)
	v_ldexp_f32 v29, v29, v31
	v_dual_add_f32 v31, -1.0, v30 :: v_dual_add_f32 v32, -1.0, v33
	s_delay_alu instid0(VALU_DEP_1) | instskip(NEXT) | instid1(VALU_DEP_2)
	v_add_f32_e32 v34, 1.0, v31
	v_sub_f32_e32 v32, v30, v32
	s_delay_alu instid0(VALU_DEP_2) | instskip(NEXT) | instid1(VALU_DEP_2)
	v_sub_f32_e32 v30, v30, v34
	v_add_f32_e32 v32, v29, v32
	s_delay_alu instid0(VALU_DEP_2) | instskip(NEXT) | instid1(VALU_DEP_1)
	v_add_f32_e32 v29, v29, v30
	v_dual_add_f32 v35, v31, v29 :: v_dual_add_f32 v34, v33, v32
	s_delay_alu instid0(VALU_DEP_1) | instskip(NEXT) | instid1(VALU_DEP_2)
	v_sub_f32_e32 v31, v31, v35
	v_rcp_f32_e32 v30, v34
	v_sub_f32_e32 v33, v33, v34
	s_delay_alu instid0(VALU_DEP_1) | instskip(SKIP_2) | instid1(VALU_DEP_1)
	v_dual_add_f32 v29, v29, v31 :: v_dual_add_f32 v32, v32, v33
	s_waitcnt_depctr 0xfff
	v_mul_f32_e32 v36, v35, v30
	v_mul_f32_e32 v37, v34, v36
	s_delay_alu instid0(VALU_DEP_1) | instskip(NEXT) | instid1(VALU_DEP_1)
	v_fma_f32 v33, v36, v34, -v37
	v_fmac_f32_e32 v33, v36, v32
	s_delay_alu instid0(VALU_DEP_1) | instskip(NEXT) | instid1(VALU_DEP_1)
	v_add_f32_e32 v38, v37, v33
	v_sub_f32_e32 v39, v35, v38
	v_sub_f32_e32 v31, v38, v37
	s_delay_alu instid0(VALU_DEP_2) | instskip(NEXT) | instid1(VALU_DEP_2)
	v_sub_f32_e32 v35, v35, v39
	v_sub_f32_e32 v31, v31, v33
	s_delay_alu instid0(VALU_DEP_2) | instskip(NEXT) | instid1(VALU_DEP_1)
	v_sub_f32_e32 v35, v35, v38
	v_add_f32_e32 v29, v29, v35
	s_delay_alu instid0(VALU_DEP_1) | instskip(NEXT) | instid1(VALU_DEP_1)
	v_add_f32_e32 v29, v31, v29
	v_add_f32_e32 v31, v39, v29
	s_delay_alu instid0(VALU_DEP_1) | instskip(NEXT) | instid1(VALU_DEP_1)
	v_mul_f32_e32 v33, v30, v31
	v_dual_sub_f32 v38, v39, v31 :: v_dual_mul_f32 v35, v34, v33
	s_delay_alu instid0(VALU_DEP_1) | instskip(NEXT) | instid1(VALU_DEP_2)
	v_add_f32_e32 v29, v29, v38
	v_fma_f32 v34, v33, v34, -v35
	s_delay_alu instid0(VALU_DEP_1) | instskip(NEXT) | instid1(VALU_DEP_1)
	v_fmac_f32_e32 v34, v33, v32
	v_add_f32_e32 v32, v35, v34
	s_delay_alu instid0(VALU_DEP_1) | instskip(NEXT) | instid1(VALU_DEP_1)
	v_sub_f32_e32 v37, v31, v32
	v_sub_f32_e32 v31, v31, v37
	s_delay_alu instid0(VALU_DEP_1) | instskip(NEXT) | instid1(VALU_DEP_1)
	v_sub_f32_e32 v31, v31, v32
	v_add_f32_e32 v29, v29, v31
	v_add_f32_e32 v31, v36, v33
	v_sub_f32_e32 v35, v32, v35
	s_delay_alu instid0(VALU_DEP_1) | instskip(NEXT) | instid1(VALU_DEP_1)
	v_sub_f32_e32 v32, v35, v34
	v_dual_add_f32 v29, v32, v29 :: v_dual_sub_f32 v32, v31, v36
	s_delay_alu instid0(VALU_DEP_1) | instskip(NEXT) | instid1(VALU_DEP_1)
	v_add_f32_e32 v29, v37, v29
	v_dual_sub_f32 v32, v33, v32 :: v_dual_mul_f32 v29, v30, v29
	s_delay_alu instid0(VALU_DEP_1) | instskip(NEXT) | instid1(VALU_DEP_1)
	v_add_f32_e32 v29, v32, v29
	v_add_f32_e32 v30, v31, v29
	s_delay_alu instid0(VALU_DEP_1) | instskip(NEXT) | instid1(VALU_DEP_1)
	v_mul_f32_e32 v32, v30, v30
	v_fmaak_f32 v33, s41, v32, 0x3ecc95a3
	v_mul_f32_e32 v34, v30, v32
	v_cmp_eq_f32_e64 s41, 0x7f800000, v24
	s_delay_alu instid0(VALU_DEP_3) | instskip(SKIP_2) | instid1(VALU_DEP_4)
	v_fmaak_f32 v32, v32, v33, 0x3f2aaada
	v_ldexp_f32 v33, v30, 1
	v_sub_f32_e32 v30, v30, v31
	s_or_b32 s41, s41, s43
	s_delay_alu instid0(VALU_DEP_3) | instskip(NEXT) | instid1(VALU_DEP_2)
	v_mul_f32_e32 v32, v34, v32
	v_dual_mul_f32 v34, 0x3f317218, v28 :: v_dual_sub_f32 v29, v29, v30
	s_delay_alu instid0(VALU_DEP_2) | instskip(NEXT) | instid1(VALU_DEP_2)
	v_add_f32_e32 v31, v33, v32
	v_ldexp_f32 v29, v29, 1
	s_delay_alu instid0(VALU_DEP_2) | instskip(NEXT) | instid1(VALU_DEP_4)
	v_sub_f32_e32 v30, v31, v33
	v_fma_f32 v33, 0x3f317218, v28, -v34
	s_delay_alu instid0(VALU_DEP_2) | instskip(NEXT) | instid1(VALU_DEP_1)
	v_sub_f32_e32 v30, v32, v30
	v_dual_fmamk_f32 v28, v28, 0xb102e308, v33 :: v_dual_add_f32 v29, v29, v30
	s_delay_alu instid0(VALU_DEP_1) | instskip(NEXT) | instid1(VALU_DEP_1)
	v_add_f32_e32 v30, v34, v28
	v_sub_f32_e32 v34, v30, v34
	s_delay_alu instid0(VALU_DEP_1) | instskip(NEXT) | instid1(VALU_DEP_4)
	v_sub_f32_e32 v28, v28, v34
	v_add_f32_e32 v32, v31, v29
	s_delay_alu instid0(VALU_DEP_1) | instskip(NEXT) | instid1(VALU_DEP_1)
	v_sub_f32_e32 v31, v32, v31
	v_sub_f32_e32 v29, v29, v31
	v_add_f32_e32 v33, v30, v32
	s_delay_alu instid0(VALU_DEP_1) | instskip(NEXT) | instid1(VALU_DEP_1)
	v_sub_f32_e32 v35, v33, v30
	v_sub_f32_e32 v31, v32, v35
	s_delay_alu instid0(VALU_DEP_4) | instskip(SKIP_1) | instid1(VALU_DEP_1)
	v_add_f32_e32 v32, v28, v29
	v_sub_f32_e32 v36, v33, v35
	v_sub_f32_e32 v30, v30, v36
	s_delay_alu instid0(VALU_DEP_1) | instskip(NEXT) | instid1(VALU_DEP_1)
	v_dual_add_f32 v30, v31, v30 :: v_dual_sub_f32 v31, v32, v28
	v_dual_add_f32 v30, v32, v30 :: v_dual_sub_f32 v29, v29, v31
	v_sub_f32_e32 v32, v32, v31
	s_delay_alu instid0(VALU_DEP_2) | instskip(NEXT) | instid1(VALU_DEP_1)
	v_add_f32_e32 v34, v33, v30
	v_dual_sub_f32 v28, v28, v32 :: v_dual_sub_f32 v31, v34, v33
	s_delay_alu instid0(VALU_DEP_1) | instskip(NEXT) | instid1(VALU_DEP_1)
	v_dual_add_f32 v28, v29, v28 :: v_dual_sub_f32 v29, v30, v31
	v_add_f32_e32 v28, v28, v29
	s_delay_alu instid0(VALU_DEP_1) | instskip(NEXT) | instid1(VALU_DEP_1)
	v_add_f32_e32 v28, v34, v28
	v_cndmask_b32_e64 v24, v28, v24, s41
	s_delay_alu instid0(VALU_DEP_1) | instskip(NEXT) | instid1(VALU_DEP_1)
	v_add_f32_e32 v4, v4, v24
	v_cvt_f16_f32_e32 v28, v4
	s_delay_alu instid0(VALU_DEP_1)
	v_cvt_f32_f16_e32 v30, v28
	v_mov_b32_e32 v29, v28
.LBB440_80:
	s_or_b32 exec_lo, exec_lo, s42
	v_cvt_f32_f16_e32 v4, v5
	s_delay_alu instid0(VALU_DEP_3) | instskip(SKIP_1) | instid1(VALU_DEP_2)
	v_max_f32_e32 v24, v30, v30
	v_cmp_u_f16_e64 s41, v28, v28
	v_min_f32_e32 v31, v24, v4
	v_max_f32_e32 v24, v24, v4
	s_delay_alu instid0(VALU_DEP_2) | instskip(NEXT) | instid1(VALU_DEP_2)
	v_cndmask_b32_e64 v31, v31, v30, s41
	v_cndmask_b32_e64 v24, v24, v30, s41
	v_cmp_u_f16_e64 s41, v5, v5
	s_delay_alu instid0(VALU_DEP_1) | instskip(NEXT) | instid1(VALU_DEP_3)
	v_cndmask_b32_e64 v31, v31, v4, s41
	v_cndmask_b32_e64 v24, v24, v4, s41
	s_delay_alu instid0(VALU_DEP_2) | instskip(NEXT) | instid1(VALU_DEP_2)
	v_cmp_class_f32_e64 s43, v31, 0x1f8
	v_cmp_neq_f32_e64 s42, v31, v24
	s_delay_alu instid0(VALU_DEP_1) | instskip(NEXT) | instid1(SALU_CYCLE_1)
	s_or_b32 s42, s42, s43
	s_and_saveexec_b32 s43, s42
	s_cbranch_execz .LBB440_82
; %bb.81:
	v_sub_f32_e32 v28, v31, v24
	s_delay_alu instid0(VALU_DEP_1) | instskip(NEXT) | instid1(VALU_DEP_1)
	v_mul_f32_e32 v29, 0x3fb8aa3b, v28
	v_fma_f32 v30, 0x3fb8aa3b, v28, -v29
	v_rndne_f32_e32 v31, v29
	s_delay_alu instid0(VALU_DEP_1) | instskip(SKIP_1) | instid1(VALU_DEP_2)
	v_dual_sub_f32 v29, v29, v31 :: v_dual_fmamk_f32 v30, v28, 0x32a5705f, v30
	v_cmp_ngt_f32_e64 s42, 0xc2ce8ed0, v28
	v_add_f32_e32 v29, v29, v30
	v_cvt_i32_f32_e32 v30, v31
	s_delay_alu instid0(VALU_DEP_2) | instskip(SKIP_2) | instid1(VALU_DEP_1)
	v_exp_f32_e32 v29, v29
	s_waitcnt_depctr 0xfff
	v_ldexp_f32 v29, v29, v30
	v_cndmask_b32_e64 v29, 0, v29, s42
	v_cmp_nlt_f32_e64 s42, 0x42b17218, v28
	s_delay_alu instid0(VALU_DEP_1) | instskip(NEXT) | instid1(VALU_DEP_1)
	v_cndmask_b32_e64 v30, 0x7f800000, v29, s42
	v_add_f32_e32 v31, 1.0, v30
	v_cmp_gt_f32_e64 s44, 0x33800000, |v30|
	s_delay_alu instid0(VALU_DEP_2) | instskip(NEXT) | instid1(VALU_DEP_1)
	v_cvt_f64_f32_e32 v[28:29], v31
	v_frexp_exp_i32_f64_e32 v28, v[28:29]
	v_frexp_mant_f32_e32 v29, v31
	s_delay_alu instid0(VALU_DEP_1) | instskip(SKIP_1) | instid1(VALU_DEP_1)
	v_cmp_gt_f32_e64 s42, 0x3f2aaaab, v29
	v_add_f32_e32 v29, -1.0, v31
	v_sub_f32_e32 v33, v29, v31
	v_sub_f32_e32 v29, v30, v29
	s_delay_alu instid0(VALU_DEP_4) | instskip(SKIP_1) | instid1(VALU_DEP_1)
	v_subrev_co_ci_u32_e64 v28, s42, 0, v28, s42
	s_mov_b32 s42, 0x3e9b6dac
	v_sub_nc_u32_e32 v32, 0, v28
	v_cvt_f32_i32_e32 v28, v28
	s_delay_alu instid0(VALU_DEP_2) | instskip(NEXT) | instid1(VALU_DEP_1)
	v_ldexp_f32 v31, v31, v32
	v_dual_add_f32 v34, 1.0, v31 :: v_dual_add_f32 v33, 1.0, v33
	s_delay_alu instid0(VALU_DEP_1) | instskip(NEXT) | instid1(VALU_DEP_2)
	v_add_f32_e32 v29, v29, v33
	v_add_f32_e32 v33, -1.0, v34
	s_delay_alu instid0(VALU_DEP_2) | instskip(NEXT) | instid1(VALU_DEP_2)
	v_ldexp_f32 v29, v29, v32
	v_dual_add_f32 v32, -1.0, v31 :: v_dual_sub_f32 v33, v31, v33
	s_delay_alu instid0(VALU_DEP_1) | instskip(NEXT) | instid1(VALU_DEP_2)
	v_add_f32_e32 v35, 1.0, v32
	v_add_f32_e32 v33, v29, v33
	s_delay_alu instid0(VALU_DEP_2) | instskip(NEXT) | instid1(VALU_DEP_2)
	v_sub_f32_e32 v31, v31, v35
	v_add_f32_e32 v35, v34, v33
	s_delay_alu instid0(VALU_DEP_2) | instskip(NEXT) | instid1(VALU_DEP_2)
	v_add_f32_e32 v29, v29, v31
	v_rcp_f32_e32 v31, v35
	v_sub_f32_e32 v34, v34, v35
	s_delay_alu instid0(VALU_DEP_1) | instskip(NEXT) | instid1(VALU_DEP_1)
	v_dual_add_f32 v36, v32, v29 :: v_dual_add_f32 v33, v33, v34
	v_sub_f32_e32 v32, v32, v36
	s_waitcnt_depctr 0xfff
	v_mul_f32_e32 v37, v36, v31
	s_delay_alu instid0(VALU_DEP_1) | instskip(NEXT) | instid1(VALU_DEP_1)
	v_dual_add_f32 v29, v29, v32 :: v_dual_mul_f32 v38, v35, v37
	v_fma_f32 v34, v37, v35, -v38
	s_delay_alu instid0(VALU_DEP_1) | instskip(NEXT) | instid1(VALU_DEP_1)
	v_fmac_f32_e32 v34, v37, v33
	v_add_f32_e32 v39, v38, v34
	s_delay_alu instid0(VALU_DEP_1) | instskip(SKIP_1) | instid1(VALU_DEP_2)
	v_sub_f32_e32 v40, v36, v39
	v_sub_f32_e32 v32, v39, v38
	;; [unrolled: 1-line block ×3, first 2 shown]
	s_delay_alu instid0(VALU_DEP_2) | instskip(NEXT) | instid1(VALU_DEP_2)
	v_sub_f32_e32 v32, v32, v34
	v_sub_f32_e32 v36, v36, v39
	s_delay_alu instid0(VALU_DEP_1) | instskip(NEXT) | instid1(VALU_DEP_1)
	v_add_f32_e32 v29, v29, v36
	v_add_f32_e32 v29, v32, v29
	s_delay_alu instid0(VALU_DEP_1) | instskip(NEXT) | instid1(VALU_DEP_1)
	v_add_f32_e32 v32, v40, v29
	v_mul_f32_e32 v34, v31, v32
	s_delay_alu instid0(VALU_DEP_1) | instskip(NEXT) | instid1(VALU_DEP_1)
	v_dual_sub_f32 v39, v40, v32 :: v_dual_mul_f32 v36, v35, v34
	v_add_f32_e32 v29, v29, v39
	s_delay_alu instid0(VALU_DEP_2) | instskip(NEXT) | instid1(VALU_DEP_1)
	v_fma_f32 v35, v34, v35, -v36
	v_fmac_f32_e32 v35, v34, v33
	s_delay_alu instid0(VALU_DEP_1) | instskip(NEXT) | instid1(VALU_DEP_1)
	v_add_f32_e32 v33, v36, v35
	v_sub_f32_e32 v38, v32, v33
	v_sub_f32_e32 v36, v33, v36
	s_delay_alu instid0(VALU_DEP_2) | instskip(NEXT) | instid1(VALU_DEP_1)
	v_sub_f32_e32 v32, v32, v38
	v_sub_f32_e32 v32, v32, v33
	s_delay_alu instid0(VALU_DEP_3) | instskip(NEXT) | instid1(VALU_DEP_2)
	v_sub_f32_e32 v33, v36, v35
	v_add_f32_e32 v29, v29, v32
	v_add_f32_e32 v32, v37, v34
	s_delay_alu instid0(VALU_DEP_2) | instskip(NEXT) | instid1(VALU_DEP_2)
	v_add_f32_e32 v29, v33, v29
	v_sub_f32_e32 v33, v32, v37
	s_delay_alu instid0(VALU_DEP_2) | instskip(NEXT) | instid1(VALU_DEP_2)
	v_add_f32_e32 v29, v38, v29
	v_sub_f32_e32 v33, v34, v33
	s_delay_alu instid0(VALU_DEP_2) | instskip(NEXT) | instid1(VALU_DEP_1)
	v_mul_f32_e32 v29, v31, v29
	v_add_f32_e32 v29, v33, v29
	s_delay_alu instid0(VALU_DEP_1) | instskip(NEXT) | instid1(VALU_DEP_1)
	v_add_f32_e32 v31, v32, v29
	v_mul_f32_e32 v33, v31, v31
	s_delay_alu instid0(VALU_DEP_1) | instskip(SKIP_2) | instid1(VALU_DEP_3)
	v_fmaak_f32 v34, s42, v33, 0x3ecc95a3
	v_mul_f32_e32 v35, v31, v33
	v_cmp_eq_f32_e64 s42, 0x7f800000, v30
	v_fmaak_f32 v33, v33, v34, 0x3f2aaada
	v_ldexp_f32 v34, v31, 1
	v_sub_f32_e32 v31, v31, v32
	s_delay_alu instid0(VALU_DEP_4) | instskip(NEXT) | instid1(VALU_DEP_3)
	s_or_b32 s42, s42, s44
	v_mul_f32_e32 v33, v35, v33
	v_mul_f32_e32 v35, 0x3f317218, v28
	s_delay_alu instid0(VALU_DEP_2) | instskip(NEXT) | instid1(VALU_DEP_1)
	v_dual_sub_f32 v29, v29, v31 :: v_dual_add_f32 v32, v34, v33
	v_ldexp_f32 v29, v29, 1
	s_delay_alu instid0(VALU_DEP_2) | instskip(NEXT) | instid1(VALU_DEP_4)
	v_sub_f32_e32 v31, v32, v34
	v_fma_f32 v34, 0x3f317218, v28, -v35
	s_delay_alu instid0(VALU_DEP_1) | instskip(NEXT) | instid1(VALU_DEP_1)
	v_dual_sub_f32 v31, v33, v31 :: v_dual_fmamk_f32 v28, v28, 0xb102e308, v34
	v_add_f32_e32 v29, v29, v31
	s_delay_alu instid0(VALU_DEP_2) | instskip(NEXT) | instid1(VALU_DEP_2)
	v_add_f32_e32 v31, v35, v28
	v_add_f32_e32 v33, v32, v29
	s_delay_alu instid0(VALU_DEP_2) | instskip(NEXT) | instid1(VALU_DEP_2)
	v_sub_f32_e32 v35, v31, v35
	v_add_f32_e32 v34, v31, v33
	v_sub_f32_e32 v32, v33, v32
	s_delay_alu instid0(VALU_DEP_3) | instskip(NEXT) | instid1(VALU_DEP_2)
	v_sub_f32_e32 v28, v28, v35
	v_dual_sub_f32 v36, v34, v31 :: v_dual_sub_f32 v29, v29, v32
	s_delay_alu instid0(VALU_DEP_1) | instskip(NEXT) | instid1(VALU_DEP_2)
	v_sub_f32_e32 v37, v34, v36
	v_dual_sub_f32 v32, v33, v36 :: v_dual_add_f32 v33, v28, v29
	s_delay_alu instid0(VALU_DEP_2) | instskip(NEXT) | instid1(VALU_DEP_1)
	v_sub_f32_e32 v31, v31, v37
	v_dual_add_f32 v31, v32, v31 :: v_dual_sub_f32 v32, v33, v28
	s_delay_alu instid0(VALU_DEP_1) | instskip(NEXT) | instid1(VALU_DEP_2)
	v_add_f32_e32 v31, v33, v31
	v_sub_f32_e32 v33, v33, v32
	v_sub_f32_e32 v29, v29, v32
	s_delay_alu instid0(VALU_DEP_2) | instskip(NEXT) | instid1(VALU_DEP_1)
	v_dual_add_f32 v35, v34, v31 :: v_dual_sub_f32 v28, v28, v33
	v_sub_f32_e32 v32, v35, v34
	s_delay_alu instid0(VALU_DEP_2) | instskip(NEXT) | instid1(VALU_DEP_2)
	v_add_f32_e32 v28, v29, v28
	v_sub_f32_e32 v29, v31, v32
	s_delay_alu instid0(VALU_DEP_1) | instskip(NEXT) | instid1(VALU_DEP_1)
	v_add_f32_e32 v28, v28, v29
	v_add_f32_e32 v28, v35, v28
	s_delay_alu instid0(VALU_DEP_1) | instskip(NEXT) | instid1(VALU_DEP_1)
	v_cndmask_b32_e64 v28, v28, v30, s42
	v_add_f32_e32 v24, v24, v28
	s_delay_alu instid0(VALU_DEP_1) | instskip(NEXT) | instid1(VALU_DEP_1)
	v_cvt_f16_f32_e32 v28, v24
	v_cvt_f32_f16_e32 v30, v28
	v_mov_b32_e32 v29, v28
.LBB440_82:
	s_or_b32 exec_lo, exec_lo, s43
	v_lshrrev_b32_e32 v5, 16, v5
	s_delay_alu instid0(VALU_DEP_3) | instskip(SKIP_1) | instid1(VALU_DEP_3)
	v_max_f32_e32 v31, v30, v30
	v_cmp_u_f16_e64 s42, v28, v28
	v_cvt_f32_f16_e32 v24, v5
	s_delay_alu instid0(VALU_DEP_1) | instskip(SKIP_1) | instid1(VALU_DEP_2)
	v_min_f32_e32 v32, v31, v24
	v_max_f32_e32 v31, v31, v24
	v_cndmask_b32_e64 v32, v32, v30, s42
	s_delay_alu instid0(VALU_DEP_2) | instskip(SKIP_1) | instid1(VALU_DEP_1)
	v_cndmask_b32_e64 v33, v31, v30, s42
	v_cmp_u_f16_e64 s42, v5, v5
	v_cndmask_b32_e64 v31, v32, v24, s42
	s_delay_alu instid0(VALU_DEP_3) | instskip(NEXT) | instid1(VALU_DEP_2)
	v_cndmask_b32_e64 v5, v33, v24, s42
	v_cmp_class_f32_e64 s44, v31, 0x1f8
	s_delay_alu instid0(VALU_DEP_2) | instskip(NEXT) | instid1(VALU_DEP_1)
	v_cmp_neq_f32_e64 s43, v31, v5
	s_or_b32 s43, s43, s44
	s_delay_alu instid0(SALU_CYCLE_1)
	s_and_saveexec_b32 s44, s43
	s_cbranch_execz .LBB440_84
; %bb.83:
	v_sub_f32_e32 v28, v31, v5
	s_delay_alu instid0(VALU_DEP_1) | instskip(NEXT) | instid1(VALU_DEP_1)
	v_mul_f32_e32 v29, 0x3fb8aa3b, v28
	v_fma_f32 v30, 0x3fb8aa3b, v28, -v29
	v_rndne_f32_e32 v31, v29
	s_delay_alu instid0(VALU_DEP_1) | instskip(SKIP_1) | instid1(VALU_DEP_2)
	v_dual_sub_f32 v29, v29, v31 :: v_dual_fmamk_f32 v30, v28, 0x32a5705f, v30
	v_cmp_ngt_f32_e64 s43, 0xc2ce8ed0, v28
	v_add_f32_e32 v29, v29, v30
	v_cvt_i32_f32_e32 v30, v31
	s_delay_alu instid0(VALU_DEP_2) | instskip(SKIP_2) | instid1(VALU_DEP_1)
	v_exp_f32_e32 v29, v29
	s_waitcnt_depctr 0xfff
	v_ldexp_f32 v29, v29, v30
	v_cndmask_b32_e64 v29, 0, v29, s43
	v_cmp_nlt_f32_e64 s43, 0x42b17218, v28
	s_delay_alu instid0(VALU_DEP_1) | instskip(NEXT) | instid1(VALU_DEP_1)
	v_cndmask_b32_e64 v30, 0x7f800000, v29, s43
	v_add_f32_e32 v31, 1.0, v30
	v_cmp_gt_f32_e64 s46, 0x33800000, |v30|
	s_delay_alu instid0(VALU_DEP_2) | instskip(NEXT) | instid1(VALU_DEP_1)
	v_cvt_f64_f32_e32 v[28:29], v31
	v_frexp_exp_i32_f64_e32 v28, v[28:29]
	v_frexp_mant_f32_e32 v29, v31
	s_delay_alu instid0(VALU_DEP_1) | instskip(SKIP_1) | instid1(VALU_DEP_1)
	v_cmp_gt_f32_e64 s43, 0x3f2aaaab, v29
	v_add_f32_e32 v29, -1.0, v31
	v_sub_f32_e32 v33, v29, v31
	v_sub_f32_e32 v29, v30, v29
	s_delay_alu instid0(VALU_DEP_4) | instskip(SKIP_1) | instid1(VALU_DEP_1)
	v_subrev_co_ci_u32_e64 v28, s43, 0, v28, s43
	s_mov_b32 s43, 0x3e9b6dac
	v_sub_nc_u32_e32 v32, 0, v28
	v_cvt_f32_i32_e32 v28, v28
	s_delay_alu instid0(VALU_DEP_2) | instskip(NEXT) | instid1(VALU_DEP_1)
	v_ldexp_f32 v31, v31, v32
	v_dual_add_f32 v34, 1.0, v31 :: v_dual_add_f32 v33, 1.0, v33
	s_delay_alu instid0(VALU_DEP_1) | instskip(NEXT) | instid1(VALU_DEP_2)
	v_add_f32_e32 v29, v29, v33
	v_add_f32_e32 v33, -1.0, v34
	s_delay_alu instid0(VALU_DEP_2) | instskip(NEXT) | instid1(VALU_DEP_2)
	v_ldexp_f32 v29, v29, v32
	v_dual_add_f32 v32, -1.0, v31 :: v_dual_sub_f32 v33, v31, v33
	s_delay_alu instid0(VALU_DEP_1) | instskip(NEXT) | instid1(VALU_DEP_2)
	v_add_f32_e32 v35, 1.0, v32
	v_add_f32_e32 v33, v29, v33
	s_delay_alu instid0(VALU_DEP_2) | instskip(NEXT) | instid1(VALU_DEP_2)
	v_sub_f32_e32 v31, v31, v35
	v_add_f32_e32 v35, v34, v33
	s_delay_alu instid0(VALU_DEP_2) | instskip(NEXT) | instid1(VALU_DEP_2)
	v_add_f32_e32 v29, v29, v31
	v_rcp_f32_e32 v31, v35
	v_sub_f32_e32 v34, v34, v35
	s_delay_alu instid0(VALU_DEP_1) | instskip(NEXT) | instid1(VALU_DEP_1)
	v_dual_add_f32 v36, v32, v29 :: v_dual_add_f32 v33, v33, v34
	v_sub_f32_e32 v32, v32, v36
	s_waitcnt_depctr 0xfff
	v_mul_f32_e32 v37, v36, v31
	s_delay_alu instid0(VALU_DEP_1) | instskip(NEXT) | instid1(VALU_DEP_1)
	v_dual_add_f32 v29, v29, v32 :: v_dual_mul_f32 v38, v35, v37
	v_fma_f32 v34, v37, v35, -v38
	s_delay_alu instid0(VALU_DEP_1) | instskip(NEXT) | instid1(VALU_DEP_1)
	v_fmac_f32_e32 v34, v37, v33
	v_add_f32_e32 v39, v38, v34
	s_delay_alu instid0(VALU_DEP_1) | instskip(SKIP_1) | instid1(VALU_DEP_2)
	v_sub_f32_e32 v40, v36, v39
	v_sub_f32_e32 v32, v39, v38
	;; [unrolled: 1-line block ×3, first 2 shown]
	s_delay_alu instid0(VALU_DEP_2) | instskip(NEXT) | instid1(VALU_DEP_2)
	v_sub_f32_e32 v32, v32, v34
	v_sub_f32_e32 v36, v36, v39
	s_delay_alu instid0(VALU_DEP_1) | instskip(NEXT) | instid1(VALU_DEP_1)
	v_add_f32_e32 v29, v29, v36
	v_add_f32_e32 v29, v32, v29
	s_delay_alu instid0(VALU_DEP_1) | instskip(NEXT) | instid1(VALU_DEP_1)
	v_add_f32_e32 v32, v40, v29
	v_mul_f32_e32 v34, v31, v32
	s_delay_alu instid0(VALU_DEP_1) | instskip(NEXT) | instid1(VALU_DEP_1)
	v_dual_sub_f32 v39, v40, v32 :: v_dual_mul_f32 v36, v35, v34
	v_add_f32_e32 v29, v29, v39
	s_delay_alu instid0(VALU_DEP_2) | instskip(NEXT) | instid1(VALU_DEP_1)
	v_fma_f32 v35, v34, v35, -v36
	v_fmac_f32_e32 v35, v34, v33
	s_delay_alu instid0(VALU_DEP_1) | instskip(NEXT) | instid1(VALU_DEP_1)
	v_add_f32_e32 v33, v36, v35
	v_sub_f32_e32 v38, v32, v33
	v_sub_f32_e32 v36, v33, v36
	s_delay_alu instid0(VALU_DEP_2) | instskip(NEXT) | instid1(VALU_DEP_1)
	v_sub_f32_e32 v32, v32, v38
	v_sub_f32_e32 v32, v32, v33
	s_delay_alu instid0(VALU_DEP_3) | instskip(NEXT) | instid1(VALU_DEP_2)
	v_sub_f32_e32 v33, v36, v35
	v_add_f32_e32 v29, v29, v32
	v_add_f32_e32 v32, v37, v34
	s_delay_alu instid0(VALU_DEP_2) | instskip(NEXT) | instid1(VALU_DEP_2)
	v_add_f32_e32 v29, v33, v29
	v_sub_f32_e32 v33, v32, v37
	s_delay_alu instid0(VALU_DEP_2) | instskip(NEXT) | instid1(VALU_DEP_2)
	v_add_f32_e32 v29, v38, v29
	v_sub_f32_e32 v33, v34, v33
	s_delay_alu instid0(VALU_DEP_2) | instskip(NEXT) | instid1(VALU_DEP_1)
	v_mul_f32_e32 v29, v31, v29
	v_add_f32_e32 v29, v33, v29
	s_delay_alu instid0(VALU_DEP_1) | instskip(NEXT) | instid1(VALU_DEP_1)
	v_add_f32_e32 v31, v32, v29
	v_mul_f32_e32 v33, v31, v31
	s_delay_alu instid0(VALU_DEP_1) | instskip(SKIP_2) | instid1(VALU_DEP_3)
	v_fmaak_f32 v34, s43, v33, 0x3ecc95a3
	v_mul_f32_e32 v35, v31, v33
	v_cmp_eq_f32_e64 s43, 0x7f800000, v30
	v_fmaak_f32 v33, v33, v34, 0x3f2aaada
	v_ldexp_f32 v34, v31, 1
	v_sub_f32_e32 v31, v31, v32
	s_delay_alu instid0(VALU_DEP_4) | instskip(NEXT) | instid1(VALU_DEP_3)
	s_or_b32 s43, s43, s46
	v_mul_f32_e32 v33, v35, v33
	v_mul_f32_e32 v35, 0x3f317218, v28
	s_delay_alu instid0(VALU_DEP_2) | instskip(NEXT) | instid1(VALU_DEP_1)
	v_dual_sub_f32 v29, v29, v31 :: v_dual_add_f32 v32, v34, v33
	v_ldexp_f32 v29, v29, 1
	s_delay_alu instid0(VALU_DEP_2) | instskip(NEXT) | instid1(VALU_DEP_4)
	v_sub_f32_e32 v31, v32, v34
	v_fma_f32 v34, 0x3f317218, v28, -v35
	s_delay_alu instid0(VALU_DEP_1) | instskip(NEXT) | instid1(VALU_DEP_1)
	v_dual_sub_f32 v31, v33, v31 :: v_dual_fmamk_f32 v28, v28, 0xb102e308, v34
	v_add_f32_e32 v29, v29, v31
	s_delay_alu instid0(VALU_DEP_2) | instskip(NEXT) | instid1(VALU_DEP_2)
	v_add_f32_e32 v31, v35, v28
	v_add_f32_e32 v33, v32, v29
	s_delay_alu instid0(VALU_DEP_2) | instskip(NEXT) | instid1(VALU_DEP_2)
	v_sub_f32_e32 v35, v31, v35
	v_add_f32_e32 v34, v31, v33
	v_sub_f32_e32 v32, v33, v32
	s_delay_alu instid0(VALU_DEP_3) | instskip(NEXT) | instid1(VALU_DEP_2)
	v_sub_f32_e32 v28, v28, v35
	v_dual_sub_f32 v36, v34, v31 :: v_dual_sub_f32 v29, v29, v32
	s_delay_alu instid0(VALU_DEP_1) | instskip(NEXT) | instid1(VALU_DEP_2)
	v_sub_f32_e32 v37, v34, v36
	v_dual_sub_f32 v32, v33, v36 :: v_dual_add_f32 v33, v28, v29
	s_delay_alu instid0(VALU_DEP_2) | instskip(NEXT) | instid1(VALU_DEP_1)
	v_sub_f32_e32 v31, v31, v37
	v_dual_add_f32 v31, v32, v31 :: v_dual_sub_f32 v32, v33, v28
	s_delay_alu instid0(VALU_DEP_1) | instskip(NEXT) | instid1(VALU_DEP_2)
	v_add_f32_e32 v31, v33, v31
	v_sub_f32_e32 v33, v33, v32
	v_sub_f32_e32 v29, v29, v32
	s_delay_alu instid0(VALU_DEP_2) | instskip(NEXT) | instid1(VALU_DEP_1)
	v_dual_add_f32 v35, v34, v31 :: v_dual_sub_f32 v28, v28, v33
	v_sub_f32_e32 v32, v35, v34
	s_delay_alu instid0(VALU_DEP_2) | instskip(NEXT) | instid1(VALU_DEP_2)
	v_add_f32_e32 v28, v29, v28
	v_sub_f32_e32 v29, v31, v32
	s_delay_alu instid0(VALU_DEP_1) | instskip(NEXT) | instid1(VALU_DEP_1)
	v_add_f32_e32 v28, v28, v29
	v_add_f32_e32 v28, v35, v28
	s_delay_alu instid0(VALU_DEP_1) | instskip(NEXT) | instid1(VALU_DEP_1)
	v_cndmask_b32_e64 v28, v28, v30, s43
	v_add_f32_e32 v5, v5, v28
	s_delay_alu instid0(VALU_DEP_1) | instskip(NEXT) | instid1(VALU_DEP_1)
	v_cvt_f16_f32_e32 v28, v5
	v_cvt_f32_f16_e32 v30, v28
	v_mov_b32_e32 v29, v28
.LBB440_84:
	s_or_b32 exec_lo, exec_lo, s44
	v_cvt_f32_f16_e32 v5, v25
	s_delay_alu instid0(VALU_DEP_3) | instskip(SKIP_1) | instid1(VALU_DEP_2)
	v_max_f32_e32 v31, v30, v30
	v_cmp_u_f16_e64 s43, v28, v28
	v_min_f32_e32 v32, v31, v5
	v_max_f32_e32 v31, v31, v5
	s_delay_alu instid0(VALU_DEP_2) | instskip(NEXT) | instid1(VALU_DEP_2)
	v_cndmask_b32_e64 v32, v32, v30, s43
	v_cndmask_b32_e64 v31, v31, v30, s43
	v_cmp_u_f16_e64 s43, v25, v25
	s_delay_alu instid0(VALU_DEP_1) | instskip(NEXT) | instid1(VALU_DEP_3)
	v_cndmask_b32_e64 v32, v32, v5, s43
	v_cndmask_b32_e64 v31, v31, v5, s43
	s_delay_alu instid0(VALU_DEP_2) | instskip(NEXT) | instid1(VALU_DEP_2)
	v_cmp_class_f32_e64 s46, v32, 0x1f8
	v_cmp_neq_f32_e64 s44, v32, v31
	s_delay_alu instid0(VALU_DEP_1) | instskip(NEXT) | instid1(SALU_CYCLE_1)
	s_or_b32 s44, s44, s46
	s_and_saveexec_b32 s46, s44
	s_cbranch_execz .LBB440_86
; %bb.85:
	v_sub_f32_e32 v28, v32, v31
	s_delay_alu instid0(VALU_DEP_1) | instskip(NEXT) | instid1(VALU_DEP_1)
	v_mul_f32_e32 v29, 0x3fb8aa3b, v28
	v_fma_f32 v30, 0x3fb8aa3b, v28, -v29
	v_rndne_f32_e32 v32, v29
	s_delay_alu instid0(VALU_DEP_1) | instskip(SKIP_1) | instid1(VALU_DEP_2)
	v_dual_sub_f32 v29, v29, v32 :: v_dual_fmamk_f32 v30, v28, 0x32a5705f, v30
	v_cmp_ngt_f32_e64 s44, 0xc2ce8ed0, v28
	v_add_f32_e32 v29, v29, v30
	v_cvt_i32_f32_e32 v30, v32
	s_delay_alu instid0(VALU_DEP_2) | instskip(SKIP_2) | instid1(VALU_DEP_1)
	v_exp_f32_e32 v29, v29
	s_waitcnt_depctr 0xfff
	v_ldexp_f32 v29, v29, v30
	v_cndmask_b32_e64 v29, 0, v29, s44
	v_cmp_nlt_f32_e64 s44, 0x42b17218, v28
	s_delay_alu instid0(VALU_DEP_1) | instskip(NEXT) | instid1(VALU_DEP_1)
	v_cndmask_b32_e64 v30, 0x7f800000, v29, s44
	v_add_f32_e32 v32, 1.0, v30
	v_cmp_gt_f32_e64 s47, 0x33800000, |v30|
	s_delay_alu instid0(VALU_DEP_2) | instskip(NEXT) | instid1(VALU_DEP_1)
	v_cvt_f64_f32_e32 v[28:29], v32
	v_frexp_exp_i32_f64_e32 v28, v[28:29]
	v_frexp_mant_f32_e32 v29, v32
	s_delay_alu instid0(VALU_DEP_1) | instskip(SKIP_1) | instid1(VALU_DEP_1)
	v_cmp_gt_f32_e64 s44, 0x3f2aaaab, v29
	v_add_f32_e32 v29, -1.0, v32
	v_dual_sub_f32 v34, v29, v32 :: v_dual_sub_f32 v29, v30, v29
	s_delay_alu instid0(VALU_DEP_3) | instskip(SKIP_1) | instid1(VALU_DEP_1)
	v_subrev_co_ci_u32_e64 v28, s44, 0, v28, s44
	s_mov_b32 s44, 0x3e9b6dac
	v_sub_nc_u32_e32 v33, 0, v28
	v_cvt_f32_i32_e32 v28, v28
	s_delay_alu instid0(VALU_DEP_2) | instskip(NEXT) | instid1(VALU_DEP_1)
	v_ldexp_f32 v32, v32, v33
	v_dual_add_f32 v34, 1.0, v34 :: v_dual_add_f32 v35, 1.0, v32
	s_delay_alu instid0(VALU_DEP_1) | instskip(NEXT) | instid1(VALU_DEP_1)
	v_dual_add_f32 v29, v29, v34 :: v_dual_add_f32 v34, -1.0, v35
	v_ldexp_f32 v29, v29, v33
	s_delay_alu instid0(VALU_DEP_2) | instskip(NEXT) | instid1(VALU_DEP_1)
	v_dual_add_f32 v33, -1.0, v32 :: v_dual_sub_f32 v34, v32, v34
	v_add_f32_e32 v36, 1.0, v33
	s_delay_alu instid0(VALU_DEP_2) | instskip(NEXT) | instid1(VALU_DEP_2)
	v_add_f32_e32 v34, v29, v34
	v_sub_f32_e32 v32, v32, v36
	s_delay_alu instid0(VALU_DEP_1) | instskip(NEXT) | instid1(VALU_DEP_1)
	v_dual_add_f32 v36, v35, v34 :: v_dual_add_f32 v29, v29, v32
	v_rcp_f32_e32 v32, v36
	v_sub_f32_e32 v35, v35, v36
	s_delay_alu instid0(VALU_DEP_1) | instskip(NEXT) | instid1(VALU_DEP_1)
	v_dual_add_f32 v37, v33, v29 :: v_dual_add_f32 v34, v34, v35
	v_sub_f32_e32 v33, v33, v37
	s_waitcnt_depctr 0xfff
	v_mul_f32_e32 v38, v37, v32
	v_add_f32_e32 v29, v29, v33
	s_delay_alu instid0(VALU_DEP_2) | instskip(NEXT) | instid1(VALU_DEP_1)
	v_mul_f32_e32 v39, v36, v38
	v_fma_f32 v35, v38, v36, -v39
	s_delay_alu instid0(VALU_DEP_1) | instskip(NEXT) | instid1(VALU_DEP_1)
	v_fmac_f32_e32 v35, v38, v34
	v_add_f32_e32 v40, v39, v35
	s_delay_alu instid0(VALU_DEP_1) | instskip(SKIP_1) | instid1(VALU_DEP_2)
	v_sub_f32_e32 v41, v37, v40
	v_sub_f32_e32 v33, v40, v39
	;; [unrolled: 1-line block ×3, first 2 shown]
	s_delay_alu instid0(VALU_DEP_2) | instskip(NEXT) | instid1(VALU_DEP_2)
	v_sub_f32_e32 v33, v33, v35
	v_sub_f32_e32 v37, v37, v40
	s_delay_alu instid0(VALU_DEP_1) | instskip(NEXT) | instid1(VALU_DEP_1)
	v_add_f32_e32 v29, v29, v37
	v_add_f32_e32 v29, v33, v29
	s_delay_alu instid0(VALU_DEP_1) | instskip(NEXT) | instid1(VALU_DEP_1)
	v_add_f32_e32 v33, v41, v29
	v_mul_f32_e32 v35, v32, v33
	s_delay_alu instid0(VALU_DEP_1) | instskip(NEXT) | instid1(VALU_DEP_1)
	v_mul_f32_e32 v37, v36, v35
	v_fma_f32 v36, v35, v36, -v37
	s_delay_alu instid0(VALU_DEP_1) | instskip(SKIP_1) | instid1(VALU_DEP_2)
	v_fmac_f32_e32 v36, v35, v34
	v_sub_f32_e32 v40, v41, v33
	v_add_f32_e32 v34, v37, v36
	s_delay_alu instid0(VALU_DEP_2) | instskip(NEXT) | instid1(VALU_DEP_2)
	v_add_f32_e32 v29, v29, v40
	v_sub_f32_e32 v39, v33, v34
	v_sub_f32_e32 v37, v34, v37
	s_delay_alu instid0(VALU_DEP_2) | instskip(NEXT) | instid1(VALU_DEP_1)
	v_sub_f32_e32 v33, v33, v39
	v_sub_f32_e32 v33, v33, v34
	s_delay_alu instid0(VALU_DEP_3) | instskip(NEXT) | instid1(VALU_DEP_2)
	v_sub_f32_e32 v34, v37, v36
	v_add_f32_e32 v29, v29, v33
	v_add_f32_e32 v33, v38, v35
	s_delay_alu instid0(VALU_DEP_1) | instskip(NEXT) | instid1(VALU_DEP_1)
	v_dual_add_f32 v29, v34, v29 :: v_dual_sub_f32 v34, v33, v38
	v_add_f32_e32 v29, v39, v29
	s_delay_alu instid0(VALU_DEP_1) | instskip(NEXT) | instid1(VALU_DEP_1)
	v_dual_sub_f32 v34, v35, v34 :: v_dual_mul_f32 v29, v32, v29
	v_add_f32_e32 v29, v34, v29
	s_delay_alu instid0(VALU_DEP_1) | instskip(NEXT) | instid1(VALU_DEP_1)
	v_add_f32_e32 v32, v33, v29
	v_mul_f32_e32 v34, v32, v32
	s_delay_alu instid0(VALU_DEP_1) | instskip(SKIP_2) | instid1(VALU_DEP_3)
	v_fmaak_f32 v35, s44, v34, 0x3ecc95a3
	v_mul_f32_e32 v36, v32, v34
	v_cmp_eq_f32_e64 s44, 0x7f800000, v30
	v_fmaak_f32 v34, v34, v35, 0x3f2aaada
	v_ldexp_f32 v35, v32, 1
	v_sub_f32_e32 v32, v32, v33
	s_delay_alu instid0(VALU_DEP_4) | instskip(NEXT) | instid1(VALU_DEP_3)
	s_or_b32 s44, s44, s47
	v_mul_f32_e32 v34, v36, v34
	v_mul_f32_e32 v36, 0x3f317218, v28
	s_delay_alu instid0(VALU_DEP_3) | instskip(NEXT) | instid1(VALU_DEP_3)
	v_sub_f32_e32 v29, v29, v32
	v_add_f32_e32 v33, v35, v34
	s_delay_alu instid0(VALU_DEP_2) | instskip(NEXT) | instid1(VALU_DEP_2)
	v_ldexp_f32 v29, v29, 1
	v_sub_f32_e32 v32, v33, v35
	v_fma_f32 v35, 0x3f317218, v28, -v36
	s_delay_alu instid0(VALU_DEP_2) | instskip(NEXT) | instid1(VALU_DEP_1)
	v_sub_f32_e32 v32, v34, v32
	v_dual_fmamk_f32 v28, v28, 0xb102e308, v35 :: v_dual_add_f32 v29, v29, v32
	s_delay_alu instid0(VALU_DEP_1) | instskip(NEXT) | instid1(VALU_DEP_2)
	v_add_f32_e32 v32, v36, v28
	v_add_f32_e32 v34, v33, v29
	s_delay_alu instid0(VALU_DEP_2) | instskip(NEXT) | instid1(VALU_DEP_2)
	v_sub_f32_e32 v36, v32, v36
	v_add_f32_e32 v35, v32, v34
	s_delay_alu instid0(VALU_DEP_2) | instskip(NEXT) | instid1(VALU_DEP_2)
	v_sub_f32_e32 v28, v28, v36
	v_sub_f32_e32 v37, v35, v32
	;; [unrolled: 1-line block ×3, first 2 shown]
	s_delay_alu instid0(VALU_DEP_2) | instskip(NEXT) | instid1(VALU_DEP_2)
	v_sub_f32_e32 v38, v35, v37
	v_sub_f32_e32 v29, v29, v33
	s_delay_alu instid0(VALU_DEP_2) | instskip(NEXT) | instid1(VALU_DEP_2)
	v_dual_sub_f32 v33, v34, v37 :: v_dual_sub_f32 v32, v32, v38
	v_add_f32_e32 v34, v28, v29
	s_delay_alu instid0(VALU_DEP_2) | instskip(NEXT) | instid1(VALU_DEP_2)
	v_add_f32_e32 v32, v33, v32
	v_sub_f32_e32 v33, v34, v28
	s_delay_alu instid0(VALU_DEP_2) | instskip(NEXT) | instid1(VALU_DEP_2)
	v_add_f32_e32 v32, v34, v32
	v_sub_f32_e32 v34, v34, v33
	s_delay_alu instid0(VALU_DEP_2) | instskip(NEXT) | instid1(VALU_DEP_2)
	v_dual_sub_f32 v29, v29, v33 :: v_dual_add_f32 v36, v35, v32
	v_sub_f32_e32 v28, v28, v34
	s_delay_alu instid0(VALU_DEP_1) | instskip(NEXT) | instid1(VALU_DEP_1)
	v_dual_sub_f32 v33, v36, v35 :: v_dual_add_f32 v28, v29, v28
	v_sub_f32_e32 v29, v32, v33
	s_delay_alu instid0(VALU_DEP_1) | instskip(NEXT) | instid1(VALU_DEP_1)
	v_add_f32_e32 v28, v28, v29
	v_add_f32_e32 v28, v36, v28
	s_delay_alu instid0(VALU_DEP_1) | instskip(NEXT) | instid1(VALU_DEP_1)
	v_cndmask_b32_e64 v28, v28, v30, s44
	v_add_f32_e32 v28, v31, v28
	s_delay_alu instid0(VALU_DEP_1) | instskip(NEXT) | instid1(VALU_DEP_1)
	v_cvt_f16_f32_e32 v28, v28
	v_cvt_f32_f16_e32 v30, v28
	v_mov_b32_e32 v29, v28
.LBB440_86:
	s_or_b32 exec_lo, exec_lo, s46
	v_lshrrev_b32_e32 v31, 16, v25
	s_delay_alu instid0(VALU_DEP_3) | instskip(SKIP_1) | instid1(VALU_DEP_3)
	v_max_f32_e32 v32, v30, v30
	v_cmp_u_f16_e64 s44, v28, v28
	v_cvt_f32_f16_e32 v25, v31
	s_delay_alu instid0(VALU_DEP_1) | instskip(SKIP_1) | instid1(VALU_DEP_2)
	v_min_f32_e32 v33, v32, v25
	v_max_f32_e32 v32, v32, v25
	v_cndmask_b32_e64 v28, v33, v30, s44
	s_delay_alu instid0(VALU_DEP_2) | instskip(SKIP_1) | instid1(VALU_DEP_1)
	v_cndmask_b32_e64 v32, v32, v30, s44
	v_cmp_u_f16_e64 s44, v31, v31
	v_cndmask_b32_e64 v30, v28, v25, s44
	s_delay_alu instid0(VALU_DEP_3) | instskip(NEXT) | instid1(VALU_DEP_2)
	v_cndmask_b32_e64 v28, v32, v25, s44
	v_cmp_class_f32_e64 s47, v30, 0x1f8
	s_delay_alu instid0(VALU_DEP_2) | instskip(NEXT) | instid1(VALU_DEP_1)
	v_cmp_neq_f32_e64 s46, v30, v28
	s_or_b32 s46, s46, s47
	s_delay_alu instid0(SALU_CYCLE_1)
	s_and_saveexec_b32 s47, s46
	s_cbranch_execz .LBB440_88
; %bb.87:
	v_sub_f32_e32 v29, v30, v28
	s_delay_alu instid0(VALU_DEP_1) | instskip(SKIP_1) | instid1(VALU_DEP_2)
	v_mul_f32_e32 v30, 0x3fb8aa3b, v29
	v_cmp_ngt_f32_e64 s46, 0xc2ce8ed0, v29
	v_fma_f32 v31, 0x3fb8aa3b, v29, -v30
	v_rndne_f32_e32 v32, v30
	s_delay_alu instid0(VALU_DEP_1) | instskip(NEXT) | instid1(VALU_DEP_1)
	v_dual_fmamk_f32 v31, v29, 0x32a5705f, v31 :: v_dual_sub_f32 v30, v30, v32
	v_add_f32_e32 v30, v30, v31
	v_cvt_i32_f32_e32 v31, v32
	s_delay_alu instid0(VALU_DEP_2) | instskip(SKIP_2) | instid1(VALU_DEP_1)
	v_exp_f32_e32 v30, v30
	s_waitcnt_depctr 0xfff
	v_ldexp_f32 v30, v30, v31
	v_cndmask_b32_e64 v30, 0, v30, s46
	v_cmp_nlt_f32_e64 s46, 0x42b17218, v29
	s_delay_alu instid0(VALU_DEP_1) | instskip(NEXT) | instid1(VALU_DEP_1)
	v_cndmask_b32_e64 v31, 0x7f800000, v30, s46
	v_add_f32_e32 v32, 1.0, v31
	v_cmp_gt_f32_e64 s48, 0x33800000, |v31|
	s_delay_alu instid0(VALU_DEP_2) | instskip(NEXT) | instid1(VALU_DEP_1)
	v_cvt_f64_f32_e32 v[29:30], v32
	v_frexp_exp_i32_f64_e32 v29, v[29:30]
	v_frexp_mant_f32_e32 v30, v32
	s_delay_alu instid0(VALU_DEP_1) | instskip(SKIP_1) | instid1(VALU_DEP_1)
	v_cmp_gt_f32_e64 s46, 0x3f2aaaab, v30
	v_add_f32_e32 v30, -1.0, v32
	v_sub_f32_e32 v34, v30, v32
	v_sub_f32_e32 v30, v31, v30
	s_delay_alu instid0(VALU_DEP_4) | instskip(SKIP_1) | instid1(VALU_DEP_1)
	v_subrev_co_ci_u32_e64 v29, s46, 0, v29, s46
	s_mov_b32 s46, 0x3e9b6dac
	v_sub_nc_u32_e32 v33, 0, v29
	v_cvt_f32_i32_e32 v29, v29
	s_delay_alu instid0(VALU_DEP_2) | instskip(NEXT) | instid1(VALU_DEP_1)
	v_ldexp_f32 v32, v32, v33
	v_dual_add_f32 v35, 1.0, v32 :: v_dual_add_f32 v34, 1.0, v34
	s_delay_alu instid0(VALU_DEP_1) | instskip(NEXT) | instid1(VALU_DEP_2)
	v_add_f32_e32 v30, v30, v34
	v_add_f32_e32 v34, -1.0, v35
	s_delay_alu instid0(VALU_DEP_2) | instskip(NEXT) | instid1(VALU_DEP_2)
	v_ldexp_f32 v30, v30, v33
	v_dual_add_f32 v33, -1.0, v32 :: v_dual_sub_f32 v34, v32, v34
	s_delay_alu instid0(VALU_DEP_1) | instskip(NEXT) | instid1(VALU_DEP_2)
	v_add_f32_e32 v36, 1.0, v33
	v_add_f32_e32 v34, v30, v34
	s_delay_alu instid0(VALU_DEP_2) | instskip(NEXT) | instid1(VALU_DEP_2)
	v_sub_f32_e32 v32, v32, v36
	v_add_f32_e32 v36, v35, v34
	s_delay_alu instid0(VALU_DEP_2) | instskip(NEXT) | instid1(VALU_DEP_2)
	v_add_f32_e32 v30, v30, v32
	v_rcp_f32_e32 v32, v36
	v_sub_f32_e32 v35, v35, v36
	s_delay_alu instid0(VALU_DEP_1) | instskip(NEXT) | instid1(VALU_DEP_1)
	v_dual_add_f32 v37, v33, v30 :: v_dual_add_f32 v34, v34, v35
	v_sub_f32_e32 v33, v33, v37
	s_waitcnt_depctr 0xfff
	v_mul_f32_e32 v38, v37, v32
	s_delay_alu instid0(VALU_DEP_1) | instskip(NEXT) | instid1(VALU_DEP_1)
	v_dual_add_f32 v30, v30, v33 :: v_dual_mul_f32 v39, v36, v38
	v_fma_f32 v35, v38, v36, -v39
	s_delay_alu instid0(VALU_DEP_1) | instskip(NEXT) | instid1(VALU_DEP_1)
	v_fmac_f32_e32 v35, v38, v34
	v_add_f32_e32 v40, v39, v35
	s_delay_alu instid0(VALU_DEP_1) | instskip(SKIP_1) | instid1(VALU_DEP_2)
	v_sub_f32_e32 v41, v37, v40
	v_sub_f32_e32 v33, v40, v39
	;; [unrolled: 1-line block ×3, first 2 shown]
	s_delay_alu instid0(VALU_DEP_2) | instskip(NEXT) | instid1(VALU_DEP_2)
	v_sub_f32_e32 v33, v33, v35
	v_sub_f32_e32 v37, v37, v40
	s_delay_alu instid0(VALU_DEP_1) | instskip(NEXT) | instid1(VALU_DEP_1)
	v_add_f32_e32 v30, v30, v37
	v_add_f32_e32 v30, v33, v30
	s_delay_alu instid0(VALU_DEP_1) | instskip(NEXT) | instid1(VALU_DEP_1)
	v_add_f32_e32 v33, v41, v30
	v_mul_f32_e32 v35, v32, v33
	s_delay_alu instid0(VALU_DEP_1) | instskip(NEXT) | instid1(VALU_DEP_1)
	v_dual_sub_f32 v40, v41, v33 :: v_dual_mul_f32 v37, v36, v35
	v_add_f32_e32 v30, v30, v40
	s_delay_alu instid0(VALU_DEP_2) | instskip(NEXT) | instid1(VALU_DEP_1)
	v_fma_f32 v36, v35, v36, -v37
	v_fmac_f32_e32 v36, v35, v34
	s_delay_alu instid0(VALU_DEP_1) | instskip(NEXT) | instid1(VALU_DEP_1)
	v_add_f32_e32 v34, v37, v36
	v_sub_f32_e32 v39, v33, v34
	v_sub_f32_e32 v37, v34, v37
	s_delay_alu instid0(VALU_DEP_2) | instskip(NEXT) | instid1(VALU_DEP_1)
	v_sub_f32_e32 v33, v33, v39
	v_sub_f32_e32 v33, v33, v34
	s_delay_alu instid0(VALU_DEP_3) | instskip(NEXT) | instid1(VALU_DEP_2)
	v_sub_f32_e32 v34, v37, v36
	v_add_f32_e32 v30, v30, v33
	v_add_f32_e32 v33, v38, v35
	s_delay_alu instid0(VALU_DEP_2) | instskip(NEXT) | instid1(VALU_DEP_2)
	v_add_f32_e32 v30, v34, v30
	v_sub_f32_e32 v34, v33, v38
	s_delay_alu instid0(VALU_DEP_2) | instskip(NEXT) | instid1(VALU_DEP_2)
	v_add_f32_e32 v30, v39, v30
	v_sub_f32_e32 v34, v35, v34
	s_delay_alu instid0(VALU_DEP_2) | instskip(NEXT) | instid1(VALU_DEP_1)
	v_mul_f32_e32 v30, v32, v30
	v_add_f32_e32 v30, v34, v30
	s_delay_alu instid0(VALU_DEP_1) | instskip(NEXT) | instid1(VALU_DEP_1)
	v_add_f32_e32 v32, v33, v30
	v_mul_f32_e32 v34, v32, v32
	s_delay_alu instid0(VALU_DEP_1) | instskip(SKIP_2) | instid1(VALU_DEP_3)
	v_fmaak_f32 v35, s46, v34, 0x3ecc95a3
	v_mul_f32_e32 v36, v32, v34
	v_cmp_eq_f32_e64 s46, 0x7f800000, v31
	v_fmaak_f32 v34, v34, v35, 0x3f2aaada
	v_ldexp_f32 v35, v32, 1
	v_sub_f32_e32 v32, v32, v33
	s_delay_alu instid0(VALU_DEP_4) | instskip(NEXT) | instid1(VALU_DEP_3)
	s_or_b32 s46, s46, s48
	v_mul_f32_e32 v34, v36, v34
	v_mul_f32_e32 v36, 0x3f317218, v29
	s_delay_alu instid0(VALU_DEP_2) | instskip(NEXT) | instid1(VALU_DEP_1)
	v_dual_sub_f32 v30, v30, v32 :: v_dual_add_f32 v33, v35, v34
	v_ldexp_f32 v30, v30, 1
	s_delay_alu instid0(VALU_DEP_2) | instskip(NEXT) | instid1(VALU_DEP_4)
	v_sub_f32_e32 v32, v33, v35
	v_fma_f32 v35, 0x3f317218, v29, -v36
	s_delay_alu instid0(VALU_DEP_1) | instskip(NEXT) | instid1(VALU_DEP_1)
	v_dual_sub_f32 v32, v34, v32 :: v_dual_fmamk_f32 v29, v29, 0xb102e308, v35
	v_add_f32_e32 v30, v30, v32
	s_delay_alu instid0(VALU_DEP_2) | instskip(NEXT) | instid1(VALU_DEP_2)
	v_add_f32_e32 v32, v36, v29
	v_add_f32_e32 v34, v33, v30
	s_delay_alu instid0(VALU_DEP_2) | instskip(NEXT) | instid1(VALU_DEP_2)
	v_sub_f32_e32 v36, v32, v36
	v_add_f32_e32 v35, v32, v34
	v_sub_f32_e32 v33, v34, v33
	s_delay_alu instid0(VALU_DEP_3) | instskip(NEXT) | instid1(VALU_DEP_2)
	v_sub_f32_e32 v29, v29, v36
	v_dual_sub_f32 v37, v35, v32 :: v_dual_sub_f32 v30, v30, v33
	s_delay_alu instid0(VALU_DEP_1) | instskip(NEXT) | instid1(VALU_DEP_2)
	v_sub_f32_e32 v38, v35, v37
	v_dual_sub_f32 v33, v34, v37 :: v_dual_add_f32 v34, v29, v30
	s_delay_alu instid0(VALU_DEP_2) | instskip(NEXT) | instid1(VALU_DEP_1)
	v_sub_f32_e32 v32, v32, v38
	v_dual_add_f32 v32, v33, v32 :: v_dual_sub_f32 v33, v34, v29
	s_delay_alu instid0(VALU_DEP_1) | instskip(NEXT) | instid1(VALU_DEP_2)
	v_add_f32_e32 v32, v34, v32
	v_sub_f32_e32 v34, v34, v33
	v_sub_f32_e32 v30, v30, v33
	s_delay_alu instid0(VALU_DEP_2) | instskip(NEXT) | instid1(VALU_DEP_1)
	v_dual_add_f32 v36, v35, v32 :: v_dual_sub_f32 v29, v29, v34
	v_sub_f32_e32 v33, v36, v35
	s_delay_alu instid0(VALU_DEP_2) | instskip(NEXT) | instid1(VALU_DEP_2)
	v_add_f32_e32 v29, v30, v29
	v_sub_f32_e32 v30, v32, v33
	s_delay_alu instid0(VALU_DEP_1) | instskip(NEXT) | instid1(VALU_DEP_1)
	v_add_f32_e32 v29, v29, v30
	v_add_f32_e32 v29, v36, v29
	s_delay_alu instid0(VALU_DEP_1) | instskip(NEXT) | instid1(VALU_DEP_1)
	v_cndmask_b32_e64 v29, v29, v31, s46
	v_add_f32_e32 v28, v28, v29
	s_delay_alu instid0(VALU_DEP_1)
	v_cvt_f16_f32_e32 v29, v28
.LBB440_88:
	s_or_b32 exec_lo, exec_lo, s47
	s_load_b64 s[46:47], s[0:1], 0x18
	v_lshrrev_b32_e32 v28, 4, v0
	s_mov_b32 s48, exec_lo
	s_delay_alu instid0(VALU_DEP_1) | instskip(NEXT) | instid1(VALU_DEP_1)
	v_and_b32_e32 v28, 2, v28
	v_add_nc_u32_e32 v28, v12, v28
	ds_store_b16 v28, v29
	s_waitcnt lgkmcnt(0)
	s_barrier
	buffer_gl0_inv
	v_cmpx_gt_u32_e32 32, v0
	s_cbranch_execz .LBB440_116
; %bb.89:
	v_lshrrev_b32_e32 v28, 3, v0
	s_delay_alu instid0(VALU_DEP_1) | instskip(NEXT) | instid1(VALU_DEP_1)
	v_and_b32_e32 v28, 6, v28
	v_lshl_or_b32 v28, v0, 2, v28
	ds_load_u16 v33, v28
	ds_load_u16 v31, v28 offset:2
	s_waitcnt lgkmcnt(1)
	v_cvt_f32_f16_e32 v30, v33
	s_waitcnt lgkmcnt(0)
	v_cvt_f32_f16_e32 v34, v31
	v_cmp_u_f16_e64 s0, v33, v33
	v_cmp_u_f16_e64 s1, v31, v31
	s_delay_alu instid0(VALU_DEP_3) | instskip(SKIP_1) | instid1(VALU_DEP_2)
	v_max_f32_e32 v35, v30, v34
	v_min_f32_e32 v32, v30, v34
	v_cndmask_b32_e64 v35, v35, v30, s0
	s_delay_alu instid0(VALU_DEP_2) | instskip(NEXT) | instid1(VALU_DEP_2)
	v_cndmask_b32_e64 v32, v32, v30, s0
	v_cndmask_b32_e64 v31, v35, v34, s1
	s_delay_alu instid0(VALU_DEP_2) | instskip(NEXT) | instid1(VALU_DEP_1)
	v_cndmask_b32_e64 v32, v32, v34, s1
	v_cmp_neq_f32_e64 s1, v32, v31
	v_cmp_class_f32_e64 s49, v32, 0x1f8
	s_delay_alu instid0(VALU_DEP_1) | instskip(NEXT) | instid1(SALU_CYCLE_1)
	s_or_b32 s1, s1, s49
	s_and_saveexec_b32 s49, s1
	s_cbranch_execz .LBB440_91
; %bb.90:
	v_sub_f32_e32 v32, v32, v31
	s_delay_alu instid0(VALU_DEP_1) | instskip(NEXT) | instid1(VALU_DEP_1)
	v_mul_f32_e32 v33, 0x3fb8aa3b, v32
	v_fma_f32 v34, 0x3fb8aa3b, v32, -v33
	v_rndne_f32_e32 v35, v33
	s_delay_alu instid0(VALU_DEP_1) | instskip(NEXT) | instid1(VALU_DEP_1)
	v_dual_fmamk_f32 v34, v32, 0x32a5705f, v34 :: v_dual_sub_f32 v33, v33, v35
	v_add_f32_e32 v33, v33, v34
	v_cvt_i32_f32_e32 v34, v35
	v_cmp_ngt_f32_e64 s1, 0xc2ce8ed0, v32
	s_delay_alu instid0(VALU_DEP_3) | instskip(SKIP_2) | instid1(VALU_DEP_1)
	v_exp_f32_e32 v33, v33
	s_waitcnt_depctr 0xfff
	v_ldexp_f32 v33, v33, v34
	v_cndmask_b32_e64 v33, 0, v33, s1
	v_cmp_nlt_f32_e64 s1, 0x42b17218, v32
	s_delay_alu instid0(VALU_DEP_1) | instskip(NEXT) | instid1(VALU_DEP_1)
	v_cndmask_b32_e64 v34, 0x7f800000, v33, s1
	v_add_f32_e32 v35, 1.0, v34
	v_cmp_gt_f32_e64 s50, 0x33800000, |v34|
	s_delay_alu instid0(VALU_DEP_2) | instskip(NEXT) | instid1(VALU_DEP_1)
	v_cvt_f64_f32_e32 v[32:33], v35
	v_frexp_exp_i32_f64_e32 v32, v[32:33]
	v_frexp_mant_f32_e32 v33, v35
	s_delay_alu instid0(VALU_DEP_1) | instskip(SKIP_1) | instid1(VALU_DEP_1)
	v_cmp_gt_f32_e64 s1, 0x3f2aaaab, v33
	v_add_f32_e32 v33, -1.0, v35
	v_sub_f32_e32 v37, v33, v35
	s_delay_alu instid0(VALU_DEP_3) | instskip(SKIP_1) | instid1(VALU_DEP_1)
	v_subrev_co_ci_u32_e64 v32, s1, 0, v32, s1
	s_mov_b32 s1, 0x3e9b6dac
	v_sub_nc_u32_e32 v36, 0, v32
	v_cvt_f32_i32_e32 v32, v32
	s_delay_alu instid0(VALU_DEP_2) | instskip(NEXT) | instid1(VALU_DEP_1)
	v_ldexp_f32 v35, v35, v36
	v_dual_sub_f32 v33, v34, v33 :: v_dual_add_f32 v38, 1.0, v35
	v_add_f32_e32 v37, 1.0, v37
	s_delay_alu instid0(VALU_DEP_1) | instskip(NEXT) | instid1(VALU_DEP_3)
	v_add_f32_e32 v33, v33, v37
	v_add_f32_e32 v37, -1.0, v38
	s_delay_alu instid0(VALU_DEP_2) | instskip(NEXT) | instid1(VALU_DEP_2)
	v_ldexp_f32 v33, v33, v36
	v_dual_add_f32 v36, -1.0, v35 :: v_dual_sub_f32 v37, v35, v37
	s_delay_alu instid0(VALU_DEP_1) | instskip(NEXT) | instid1(VALU_DEP_2)
	v_add_f32_e32 v39, 1.0, v36
	v_add_f32_e32 v37, v33, v37
	s_delay_alu instid0(VALU_DEP_2) | instskip(NEXT) | instid1(VALU_DEP_2)
	v_sub_f32_e32 v35, v35, v39
	v_add_f32_e32 v39, v38, v37
	s_delay_alu instid0(VALU_DEP_2) | instskip(NEXT) | instid1(VALU_DEP_2)
	v_add_f32_e32 v33, v33, v35
	v_rcp_f32_e32 v35, v39
	v_sub_f32_e32 v38, v38, v39
	s_delay_alu instid0(VALU_DEP_1) | instskip(NEXT) | instid1(VALU_DEP_1)
	v_dual_add_f32 v40, v36, v33 :: v_dual_add_f32 v37, v37, v38
	v_sub_f32_e32 v36, v36, v40
	s_waitcnt_depctr 0xfff
	v_mul_f32_e32 v41, v40, v35
	s_delay_alu instid0(VALU_DEP_1) | instskip(NEXT) | instid1(VALU_DEP_1)
	v_dual_add_f32 v33, v33, v36 :: v_dual_mul_f32 v42, v39, v41
	v_fma_f32 v38, v41, v39, -v42
	s_delay_alu instid0(VALU_DEP_1) | instskip(NEXT) | instid1(VALU_DEP_1)
	v_fmac_f32_e32 v38, v41, v37
	v_add_f32_e32 v43, v42, v38
	s_delay_alu instid0(VALU_DEP_1) | instskip(SKIP_1) | instid1(VALU_DEP_2)
	v_sub_f32_e32 v44, v40, v43
	v_sub_f32_e32 v36, v43, v42
	v_sub_f32_e32 v40, v40, v44
	s_delay_alu instid0(VALU_DEP_2) | instskip(NEXT) | instid1(VALU_DEP_2)
	v_sub_f32_e32 v36, v36, v38
	v_sub_f32_e32 v40, v40, v43
	s_delay_alu instid0(VALU_DEP_1) | instskip(NEXT) | instid1(VALU_DEP_1)
	v_add_f32_e32 v33, v33, v40
	v_add_f32_e32 v33, v36, v33
	s_delay_alu instid0(VALU_DEP_1) | instskip(NEXT) | instid1(VALU_DEP_1)
	v_add_f32_e32 v36, v44, v33
	v_mul_f32_e32 v38, v35, v36
	s_delay_alu instid0(VALU_DEP_1) | instskip(NEXT) | instid1(VALU_DEP_1)
	v_dual_sub_f32 v43, v44, v36 :: v_dual_mul_f32 v40, v39, v38
	v_add_f32_e32 v33, v33, v43
	s_delay_alu instid0(VALU_DEP_2) | instskip(NEXT) | instid1(VALU_DEP_1)
	v_fma_f32 v39, v38, v39, -v40
	v_fmac_f32_e32 v39, v38, v37
	s_delay_alu instid0(VALU_DEP_1) | instskip(NEXT) | instid1(VALU_DEP_1)
	v_add_f32_e32 v37, v40, v39
	v_sub_f32_e32 v42, v36, v37
	v_sub_f32_e32 v40, v37, v40
	s_delay_alu instid0(VALU_DEP_2) | instskip(NEXT) | instid1(VALU_DEP_1)
	v_sub_f32_e32 v36, v36, v42
	v_sub_f32_e32 v36, v36, v37
	s_delay_alu instid0(VALU_DEP_3) | instskip(NEXT) | instid1(VALU_DEP_2)
	v_sub_f32_e32 v37, v40, v39
	v_add_f32_e32 v33, v33, v36
	v_add_f32_e32 v36, v41, v38
	s_delay_alu instid0(VALU_DEP_2) | instskip(NEXT) | instid1(VALU_DEP_2)
	v_add_f32_e32 v33, v37, v33
	v_sub_f32_e32 v37, v36, v41
	s_delay_alu instid0(VALU_DEP_2) | instskip(NEXT) | instid1(VALU_DEP_2)
	v_add_f32_e32 v33, v42, v33
	v_sub_f32_e32 v37, v38, v37
	s_delay_alu instid0(VALU_DEP_2) | instskip(NEXT) | instid1(VALU_DEP_1)
	v_mul_f32_e32 v33, v35, v33
	v_add_f32_e32 v33, v37, v33
	s_delay_alu instid0(VALU_DEP_1) | instskip(NEXT) | instid1(VALU_DEP_1)
	v_add_f32_e32 v35, v36, v33
	v_mul_f32_e32 v37, v35, v35
	s_delay_alu instid0(VALU_DEP_1) | instskip(SKIP_2) | instid1(VALU_DEP_3)
	v_fmaak_f32 v38, s1, v37, 0x3ecc95a3
	v_mul_f32_e32 v39, v35, v37
	v_cmp_eq_f32_e64 s1, 0x7f800000, v34
	v_fmaak_f32 v37, v37, v38, 0x3f2aaada
	v_ldexp_f32 v38, v35, 1
	v_sub_f32_e32 v35, v35, v36
	s_delay_alu instid0(VALU_DEP_4) | instskip(NEXT) | instid1(VALU_DEP_3)
	s_or_b32 s1, s1, s50
	v_mul_f32_e32 v37, v39, v37
	v_mul_f32_e32 v39, 0x3f317218, v32
	s_delay_alu instid0(VALU_DEP_2) | instskip(NEXT) | instid1(VALU_DEP_1)
	v_dual_sub_f32 v33, v33, v35 :: v_dual_add_f32 v36, v38, v37
	v_ldexp_f32 v33, v33, 1
	s_delay_alu instid0(VALU_DEP_2) | instskip(NEXT) | instid1(VALU_DEP_4)
	v_sub_f32_e32 v35, v36, v38
	v_fma_f32 v38, 0x3f317218, v32, -v39
	s_delay_alu instid0(VALU_DEP_1) | instskip(NEXT) | instid1(VALU_DEP_1)
	v_dual_sub_f32 v35, v37, v35 :: v_dual_fmamk_f32 v32, v32, 0xb102e308, v38
	v_add_f32_e32 v33, v33, v35
	s_delay_alu instid0(VALU_DEP_2) | instskip(NEXT) | instid1(VALU_DEP_2)
	v_add_f32_e32 v35, v39, v32
	v_add_f32_e32 v37, v36, v33
	s_delay_alu instid0(VALU_DEP_2) | instskip(NEXT) | instid1(VALU_DEP_2)
	v_sub_f32_e32 v39, v35, v39
	v_add_f32_e32 v38, v35, v37
	v_sub_f32_e32 v36, v37, v36
	s_delay_alu instid0(VALU_DEP_3) | instskip(NEXT) | instid1(VALU_DEP_2)
	v_sub_f32_e32 v32, v32, v39
	v_dual_sub_f32 v40, v38, v35 :: v_dual_sub_f32 v33, v33, v36
	s_delay_alu instid0(VALU_DEP_1) | instskip(NEXT) | instid1(VALU_DEP_2)
	v_sub_f32_e32 v41, v38, v40
	v_dual_sub_f32 v36, v37, v40 :: v_dual_add_f32 v37, v32, v33
	s_delay_alu instid0(VALU_DEP_2) | instskip(NEXT) | instid1(VALU_DEP_1)
	v_sub_f32_e32 v35, v35, v41
	v_dual_add_f32 v35, v36, v35 :: v_dual_sub_f32 v36, v37, v32
	s_delay_alu instid0(VALU_DEP_1) | instskip(NEXT) | instid1(VALU_DEP_2)
	v_add_f32_e32 v35, v37, v35
	v_sub_f32_e32 v37, v37, v36
	v_sub_f32_e32 v33, v33, v36
	s_delay_alu instid0(VALU_DEP_2) | instskip(NEXT) | instid1(VALU_DEP_1)
	v_dual_add_f32 v39, v38, v35 :: v_dual_sub_f32 v32, v32, v37
	v_sub_f32_e32 v36, v39, v38
	s_delay_alu instid0(VALU_DEP_2) | instskip(NEXT) | instid1(VALU_DEP_2)
	v_add_f32_e32 v32, v33, v32
	v_sub_f32_e32 v33, v35, v36
	s_delay_alu instid0(VALU_DEP_1) | instskip(NEXT) | instid1(VALU_DEP_1)
	v_add_f32_e32 v32, v32, v33
	v_add_f32_e32 v32, v39, v32
	s_delay_alu instid0(VALU_DEP_1) | instskip(NEXT) | instid1(VALU_DEP_1)
	v_cndmask_b32_e64 v32, v32, v34, s1
	v_add_f32_e32 v31, v31, v32
	s_delay_alu instid0(VALU_DEP_1)
	v_cvt_f16_f32_e32 v33, v31
.LBB440_91:
	s_or_b32 exec_lo, exec_lo, s49
	v_mbcnt_lo_u32_b32 v31, -1, 0
	s_delay_alu instid0(VALU_DEP_2) | instskip(SKIP_1) | instid1(VALU_DEP_2)
	v_and_b32_e32 v34, 0xffff, v33
	s_mov_b32 s49, exec_lo
	v_and_b32_e32 v32, 15, v31
	s_delay_alu instid0(VALU_DEP_2) | instskip(NEXT) | instid1(VALU_DEP_2)
	v_mov_b32_dpp v35, v34 row_shr:1 row_mask:0xf bank_mask:0xf
	v_cmpx_ne_u32_e32 0, v32
	s_cbranch_execz .LBB440_95
; %bb.92:
	s_delay_alu instid0(VALU_DEP_2) | instskip(SKIP_2) | instid1(VALU_DEP_2)
	v_cvt_f32_f16_e32 v34, v35
	v_cvt_f32_f16_e32 v36, v33
	v_cmp_u_f16_e64 s1, v35, v35
	v_min_f32_e32 v37, v34, v36
	v_max_f32_e32 v38, v34, v36
	s_delay_alu instid0(VALU_DEP_2) | instskip(NEXT) | instid1(VALU_DEP_2)
	v_cndmask_b32_e64 v37, v37, v34, s1
	v_cndmask_b32_e64 v38, v38, v34, s1
	v_cmp_u_f16_e64 s1, v33, v33
	s_delay_alu instid0(VALU_DEP_1) | instskip(NEXT) | instid1(VALU_DEP_3)
	v_cndmask_b32_e64 v34, v37, v36, s1
	v_cndmask_b32_e64 v33, v38, v36, s1
	s_delay_alu instid0(VALU_DEP_2) | instskip(NEXT) | instid1(VALU_DEP_2)
	v_cmp_class_f32_e64 s50, v34, 0x1f8
	v_cmp_neq_f32_e64 s1, v34, v33
	s_delay_alu instid0(VALU_DEP_1) | instskip(NEXT) | instid1(SALU_CYCLE_1)
	s_or_b32 s1, s1, s50
	s_and_saveexec_b32 s50, s1
	s_cbranch_execz .LBB440_94
; %bb.93:
	v_sub_f32_e32 v34, v34, v33
	s_delay_alu instid0(VALU_DEP_1) | instskip(NEXT) | instid1(VALU_DEP_1)
	v_mul_f32_e32 v35, 0x3fb8aa3b, v34
	v_fma_f32 v36, 0x3fb8aa3b, v34, -v35
	v_rndne_f32_e32 v37, v35
	s_delay_alu instid0(VALU_DEP_1) | instskip(NEXT) | instid1(VALU_DEP_1)
	v_dual_fmamk_f32 v36, v34, 0x32a5705f, v36 :: v_dual_sub_f32 v35, v35, v37
	v_add_f32_e32 v35, v35, v36
	v_cvt_i32_f32_e32 v36, v37
	v_cmp_ngt_f32_e64 s1, 0xc2ce8ed0, v34
	s_delay_alu instid0(VALU_DEP_3) | instskip(SKIP_2) | instid1(VALU_DEP_1)
	v_exp_f32_e32 v35, v35
	s_waitcnt_depctr 0xfff
	v_ldexp_f32 v35, v35, v36
	v_cndmask_b32_e64 v35, 0, v35, s1
	v_cmp_nlt_f32_e64 s1, 0x42b17218, v34
	s_delay_alu instid0(VALU_DEP_1) | instskip(NEXT) | instid1(VALU_DEP_1)
	v_cndmask_b32_e64 v36, 0x7f800000, v35, s1
	v_add_f32_e32 v37, 1.0, v36
	v_cmp_gt_f32_e64 s51, 0x33800000, |v36|
	s_delay_alu instid0(VALU_DEP_2) | instskip(NEXT) | instid1(VALU_DEP_1)
	v_cvt_f64_f32_e32 v[34:35], v37
	v_frexp_exp_i32_f64_e32 v34, v[34:35]
	v_frexp_mant_f32_e32 v35, v37
	s_delay_alu instid0(VALU_DEP_1) | instskip(SKIP_1) | instid1(VALU_DEP_1)
	v_cmp_gt_f32_e64 s1, 0x3f2aaaab, v35
	v_add_f32_e32 v35, -1.0, v37
	v_sub_f32_e32 v39, v35, v37
	s_delay_alu instid0(VALU_DEP_3) | instskip(SKIP_1) | instid1(VALU_DEP_1)
	v_subrev_co_ci_u32_e64 v34, s1, 0, v34, s1
	s_mov_b32 s1, 0x3e9b6dac
	v_sub_nc_u32_e32 v38, 0, v34
	v_cvt_f32_i32_e32 v34, v34
	s_delay_alu instid0(VALU_DEP_2) | instskip(NEXT) | instid1(VALU_DEP_1)
	v_ldexp_f32 v37, v37, v38
	v_dual_sub_f32 v35, v36, v35 :: v_dual_add_f32 v40, 1.0, v37
	v_add_f32_e32 v39, 1.0, v39
	s_delay_alu instid0(VALU_DEP_1) | instskip(NEXT) | instid1(VALU_DEP_3)
	v_add_f32_e32 v35, v35, v39
	v_add_f32_e32 v39, -1.0, v40
	s_delay_alu instid0(VALU_DEP_2) | instskip(NEXT) | instid1(VALU_DEP_2)
	v_ldexp_f32 v35, v35, v38
	v_dual_add_f32 v38, -1.0, v37 :: v_dual_sub_f32 v39, v37, v39
	s_delay_alu instid0(VALU_DEP_1) | instskip(NEXT) | instid1(VALU_DEP_2)
	v_add_f32_e32 v41, 1.0, v38
	v_add_f32_e32 v39, v35, v39
	s_delay_alu instid0(VALU_DEP_2) | instskip(NEXT) | instid1(VALU_DEP_2)
	v_sub_f32_e32 v37, v37, v41
	v_add_f32_e32 v41, v40, v39
	s_delay_alu instid0(VALU_DEP_2) | instskip(NEXT) | instid1(VALU_DEP_2)
	v_add_f32_e32 v35, v35, v37
	v_rcp_f32_e32 v37, v41
	v_sub_f32_e32 v40, v40, v41
	s_delay_alu instid0(VALU_DEP_1) | instskip(NEXT) | instid1(VALU_DEP_1)
	v_dual_add_f32 v42, v38, v35 :: v_dual_add_f32 v39, v39, v40
	v_sub_f32_e32 v38, v38, v42
	s_waitcnt_depctr 0xfff
	v_mul_f32_e32 v43, v42, v37
	s_delay_alu instid0(VALU_DEP_1) | instskip(NEXT) | instid1(VALU_DEP_1)
	v_dual_add_f32 v35, v35, v38 :: v_dual_mul_f32 v44, v41, v43
	v_fma_f32 v40, v43, v41, -v44
	s_delay_alu instid0(VALU_DEP_1) | instskip(NEXT) | instid1(VALU_DEP_1)
	v_fmac_f32_e32 v40, v43, v39
	v_add_f32_e32 v45, v44, v40
	s_delay_alu instid0(VALU_DEP_1) | instskip(SKIP_1) | instid1(VALU_DEP_2)
	v_sub_f32_e32 v46, v42, v45
	v_sub_f32_e32 v38, v45, v44
	;; [unrolled: 1-line block ×3, first 2 shown]
	s_delay_alu instid0(VALU_DEP_2) | instskip(NEXT) | instid1(VALU_DEP_2)
	v_sub_f32_e32 v38, v38, v40
	v_sub_f32_e32 v42, v42, v45
	s_delay_alu instid0(VALU_DEP_1) | instskip(NEXT) | instid1(VALU_DEP_1)
	v_add_f32_e32 v35, v35, v42
	v_add_f32_e32 v35, v38, v35
	s_delay_alu instid0(VALU_DEP_1) | instskip(NEXT) | instid1(VALU_DEP_1)
	v_add_f32_e32 v38, v46, v35
	v_mul_f32_e32 v40, v37, v38
	s_delay_alu instid0(VALU_DEP_1) | instskip(NEXT) | instid1(VALU_DEP_1)
	v_dual_sub_f32 v45, v46, v38 :: v_dual_mul_f32 v42, v41, v40
	v_add_f32_e32 v35, v35, v45
	s_delay_alu instid0(VALU_DEP_2) | instskip(NEXT) | instid1(VALU_DEP_1)
	v_fma_f32 v41, v40, v41, -v42
	v_fmac_f32_e32 v41, v40, v39
	s_delay_alu instid0(VALU_DEP_1) | instskip(NEXT) | instid1(VALU_DEP_1)
	v_add_f32_e32 v39, v42, v41
	v_sub_f32_e32 v44, v38, v39
	v_sub_f32_e32 v42, v39, v42
	s_delay_alu instid0(VALU_DEP_2) | instskip(NEXT) | instid1(VALU_DEP_1)
	v_sub_f32_e32 v38, v38, v44
	v_sub_f32_e32 v38, v38, v39
	s_delay_alu instid0(VALU_DEP_3) | instskip(NEXT) | instid1(VALU_DEP_2)
	v_sub_f32_e32 v39, v42, v41
	v_add_f32_e32 v35, v35, v38
	v_add_f32_e32 v38, v43, v40
	s_delay_alu instid0(VALU_DEP_2) | instskip(NEXT) | instid1(VALU_DEP_2)
	v_add_f32_e32 v35, v39, v35
	v_sub_f32_e32 v39, v38, v43
	s_delay_alu instid0(VALU_DEP_2) | instskip(NEXT) | instid1(VALU_DEP_2)
	v_add_f32_e32 v35, v44, v35
	v_sub_f32_e32 v39, v40, v39
	s_delay_alu instid0(VALU_DEP_2) | instskip(NEXT) | instid1(VALU_DEP_1)
	v_mul_f32_e32 v35, v37, v35
	v_add_f32_e32 v35, v39, v35
	s_delay_alu instid0(VALU_DEP_1) | instskip(NEXT) | instid1(VALU_DEP_1)
	v_add_f32_e32 v37, v38, v35
	v_mul_f32_e32 v39, v37, v37
	s_delay_alu instid0(VALU_DEP_1) | instskip(SKIP_2) | instid1(VALU_DEP_3)
	v_fmaak_f32 v40, s1, v39, 0x3ecc95a3
	v_mul_f32_e32 v41, v37, v39
	v_cmp_eq_f32_e64 s1, 0x7f800000, v36
	v_fmaak_f32 v39, v39, v40, 0x3f2aaada
	v_ldexp_f32 v40, v37, 1
	v_sub_f32_e32 v37, v37, v38
	s_delay_alu instid0(VALU_DEP_4) | instskip(NEXT) | instid1(VALU_DEP_3)
	s_or_b32 s1, s1, s51
	v_mul_f32_e32 v39, v41, v39
	v_mul_f32_e32 v41, 0x3f317218, v34
	s_delay_alu instid0(VALU_DEP_2) | instskip(NEXT) | instid1(VALU_DEP_1)
	v_dual_sub_f32 v35, v35, v37 :: v_dual_add_f32 v38, v40, v39
	v_ldexp_f32 v35, v35, 1
	s_delay_alu instid0(VALU_DEP_2) | instskip(NEXT) | instid1(VALU_DEP_4)
	v_sub_f32_e32 v37, v38, v40
	v_fma_f32 v40, 0x3f317218, v34, -v41
	s_delay_alu instid0(VALU_DEP_1) | instskip(NEXT) | instid1(VALU_DEP_1)
	v_dual_sub_f32 v37, v39, v37 :: v_dual_fmamk_f32 v34, v34, 0xb102e308, v40
	v_add_f32_e32 v35, v35, v37
	s_delay_alu instid0(VALU_DEP_2) | instskip(NEXT) | instid1(VALU_DEP_2)
	v_add_f32_e32 v37, v41, v34
	v_add_f32_e32 v39, v38, v35
	s_delay_alu instid0(VALU_DEP_2) | instskip(NEXT) | instid1(VALU_DEP_2)
	v_sub_f32_e32 v41, v37, v41
	v_add_f32_e32 v40, v37, v39
	v_sub_f32_e32 v38, v39, v38
	s_delay_alu instid0(VALU_DEP_3) | instskip(NEXT) | instid1(VALU_DEP_2)
	v_sub_f32_e32 v34, v34, v41
	v_dual_sub_f32 v42, v40, v37 :: v_dual_sub_f32 v35, v35, v38
	s_delay_alu instid0(VALU_DEP_1) | instskip(NEXT) | instid1(VALU_DEP_2)
	v_sub_f32_e32 v43, v40, v42
	v_dual_sub_f32 v38, v39, v42 :: v_dual_add_f32 v39, v34, v35
	s_delay_alu instid0(VALU_DEP_2) | instskip(NEXT) | instid1(VALU_DEP_1)
	v_sub_f32_e32 v37, v37, v43
	v_dual_add_f32 v37, v38, v37 :: v_dual_sub_f32 v38, v39, v34
	s_delay_alu instid0(VALU_DEP_1) | instskip(NEXT) | instid1(VALU_DEP_2)
	v_add_f32_e32 v37, v39, v37
	v_sub_f32_e32 v39, v39, v38
	v_sub_f32_e32 v35, v35, v38
	s_delay_alu instid0(VALU_DEP_2) | instskip(NEXT) | instid1(VALU_DEP_1)
	v_dual_add_f32 v41, v40, v37 :: v_dual_sub_f32 v34, v34, v39
	v_sub_f32_e32 v38, v41, v40
	s_delay_alu instid0(VALU_DEP_2) | instskip(NEXT) | instid1(VALU_DEP_2)
	v_add_f32_e32 v34, v35, v34
	v_sub_f32_e32 v35, v37, v38
	s_delay_alu instid0(VALU_DEP_1) | instskip(NEXT) | instid1(VALU_DEP_1)
	v_add_f32_e32 v34, v34, v35
	v_add_f32_e32 v34, v41, v34
	s_delay_alu instid0(VALU_DEP_1) | instskip(NEXT) | instid1(VALU_DEP_1)
	v_cndmask_b32_e64 v34, v34, v36, s1
	v_add_f32_e32 v33, v33, v34
	s_delay_alu instid0(VALU_DEP_1)
	v_cvt_f16_f32_e32 v35, v33
.LBB440_94:
	s_or_b32 exec_lo, exec_lo, s50
	s_delay_alu instid0(VALU_DEP_1)
	v_dual_mov_b32 v33, v35 :: v_dual_and_b32 v34, 0xffff, v35
.LBB440_95:
	s_or_b32 exec_lo, exec_lo, s49
	s_delay_alu instid0(VALU_DEP_1)
	v_mov_b32_dpp v35, v34 row_shr:2 row_mask:0xf bank_mask:0xf
	s_mov_b32 s49, exec_lo
	v_cmpx_lt_u32_e32 1, v32
	s_cbranch_execz .LBB440_99
; %bb.96:
	s_delay_alu instid0(VALU_DEP_2) | instskip(SKIP_2) | instid1(VALU_DEP_2)
	v_cvt_f32_f16_e32 v34, v35
	v_cvt_f32_f16_e32 v36, v33
	v_cmp_u_f16_e64 s1, v35, v35
	v_min_f32_e32 v37, v34, v36
	v_max_f32_e32 v38, v34, v36
	s_delay_alu instid0(VALU_DEP_2) | instskip(NEXT) | instid1(VALU_DEP_2)
	v_cndmask_b32_e64 v37, v37, v34, s1
	v_cndmask_b32_e64 v38, v38, v34, s1
	v_cmp_u_f16_e64 s1, v33, v33
	s_delay_alu instid0(VALU_DEP_1) | instskip(NEXT) | instid1(VALU_DEP_3)
	v_cndmask_b32_e64 v34, v37, v36, s1
	v_cndmask_b32_e64 v33, v38, v36, s1
	s_delay_alu instid0(VALU_DEP_2) | instskip(NEXT) | instid1(VALU_DEP_2)
	v_cmp_class_f32_e64 s50, v34, 0x1f8
	v_cmp_neq_f32_e64 s1, v34, v33
	s_delay_alu instid0(VALU_DEP_1) | instskip(NEXT) | instid1(SALU_CYCLE_1)
	s_or_b32 s1, s1, s50
	s_and_saveexec_b32 s50, s1
	s_cbranch_execz .LBB440_98
; %bb.97:
	v_sub_f32_e32 v34, v34, v33
	s_delay_alu instid0(VALU_DEP_1) | instskip(NEXT) | instid1(VALU_DEP_1)
	v_mul_f32_e32 v35, 0x3fb8aa3b, v34
	v_fma_f32 v36, 0x3fb8aa3b, v34, -v35
	v_rndne_f32_e32 v37, v35
	s_delay_alu instid0(VALU_DEP_1) | instskip(NEXT) | instid1(VALU_DEP_1)
	v_dual_fmamk_f32 v36, v34, 0x32a5705f, v36 :: v_dual_sub_f32 v35, v35, v37
	v_add_f32_e32 v35, v35, v36
	v_cvt_i32_f32_e32 v36, v37
	v_cmp_ngt_f32_e64 s1, 0xc2ce8ed0, v34
	s_delay_alu instid0(VALU_DEP_3) | instskip(SKIP_2) | instid1(VALU_DEP_1)
	v_exp_f32_e32 v35, v35
	s_waitcnt_depctr 0xfff
	v_ldexp_f32 v35, v35, v36
	v_cndmask_b32_e64 v35, 0, v35, s1
	v_cmp_nlt_f32_e64 s1, 0x42b17218, v34
	s_delay_alu instid0(VALU_DEP_1) | instskip(NEXT) | instid1(VALU_DEP_1)
	v_cndmask_b32_e64 v36, 0x7f800000, v35, s1
	v_add_f32_e32 v37, 1.0, v36
	v_cmp_gt_f32_e64 s51, 0x33800000, |v36|
	s_delay_alu instid0(VALU_DEP_2) | instskip(NEXT) | instid1(VALU_DEP_1)
	v_cvt_f64_f32_e32 v[34:35], v37
	v_frexp_exp_i32_f64_e32 v34, v[34:35]
	v_frexp_mant_f32_e32 v35, v37
	s_delay_alu instid0(VALU_DEP_1) | instskip(SKIP_1) | instid1(VALU_DEP_1)
	v_cmp_gt_f32_e64 s1, 0x3f2aaaab, v35
	v_add_f32_e32 v35, -1.0, v37
	v_sub_f32_e32 v39, v35, v37
	s_delay_alu instid0(VALU_DEP_3) | instskip(SKIP_1) | instid1(VALU_DEP_1)
	v_subrev_co_ci_u32_e64 v34, s1, 0, v34, s1
	s_mov_b32 s1, 0x3e9b6dac
	v_sub_nc_u32_e32 v38, 0, v34
	v_cvt_f32_i32_e32 v34, v34
	s_delay_alu instid0(VALU_DEP_2) | instskip(NEXT) | instid1(VALU_DEP_1)
	v_ldexp_f32 v37, v37, v38
	v_dual_sub_f32 v35, v36, v35 :: v_dual_add_f32 v40, 1.0, v37
	v_add_f32_e32 v39, 1.0, v39
	s_delay_alu instid0(VALU_DEP_1) | instskip(NEXT) | instid1(VALU_DEP_3)
	v_add_f32_e32 v35, v35, v39
	v_add_f32_e32 v39, -1.0, v40
	s_delay_alu instid0(VALU_DEP_2) | instskip(NEXT) | instid1(VALU_DEP_2)
	v_ldexp_f32 v35, v35, v38
	v_dual_add_f32 v38, -1.0, v37 :: v_dual_sub_f32 v39, v37, v39
	s_delay_alu instid0(VALU_DEP_1) | instskip(NEXT) | instid1(VALU_DEP_2)
	v_add_f32_e32 v41, 1.0, v38
	v_add_f32_e32 v39, v35, v39
	s_delay_alu instid0(VALU_DEP_2) | instskip(NEXT) | instid1(VALU_DEP_2)
	v_sub_f32_e32 v37, v37, v41
	v_add_f32_e32 v41, v40, v39
	s_delay_alu instid0(VALU_DEP_2) | instskip(NEXT) | instid1(VALU_DEP_2)
	v_add_f32_e32 v35, v35, v37
	v_rcp_f32_e32 v37, v41
	v_sub_f32_e32 v40, v40, v41
	s_delay_alu instid0(VALU_DEP_1) | instskip(NEXT) | instid1(VALU_DEP_1)
	v_dual_add_f32 v42, v38, v35 :: v_dual_add_f32 v39, v39, v40
	v_sub_f32_e32 v38, v38, v42
	s_waitcnt_depctr 0xfff
	v_mul_f32_e32 v43, v42, v37
	s_delay_alu instid0(VALU_DEP_1) | instskip(NEXT) | instid1(VALU_DEP_1)
	v_dual_add_f32 v35, v35, v38 :: v_dual_mul_f32 v44, v41, v43
	v_fma_f32 v40, v43, v41, -v44
	s_delay_alu instid0(VALU_DEP_1) | instskip(NEXT) | instid1(VALU_DEP_1)
	v_fmac_f32_e32 v40, v43, v39
	v_add_f32_e32 v45, v44, v40
	s_delay_alu instid0(VALU_DEP_1) | instskip(SKIP_1) | instid1(VALU_DEP_2)
	v_sub_f32_e32 v46, v42, v45
	v_sub_f32_e32 v38, v45, v44
	;; [unrolled: 1-line block ×3, first 2 shown]
	s_delay_alu instid0(VALU_DEP_2) | instskip(NEXT) | instid1(VALU_DEP_2)
	v_sub_f32_e32 v38, v38, v40
	v_sub_f32_e32 v42, v42, v45
	s_delay_alu instid0(VALU_DEP_1) | instskip(NEXT) | instid1(VALU_DEP_1)
	v_add_f32_e32 v35, v35, v42
	v_add_f32_e32 v35, v38, v35
	s_delay_alu instid0(VALU_DEP_1) | instskip(NEXT) | instid1(VALU_DEP_1)
	v_add_f32_e32 v38, v46, v35
	v_mul_f32_e32 v40, v37, v38
	s_delay_alu instid0(VALU_DEP_1) | instskip(NEXT) | instid1(VALU_DEP_1)
	v_dual_sub_f32 v45, v46, v38 :: v_dual_mul_f32 v42, v41, v40
	v_add_f32_e32 v35, v35, v45
	s_delay_alu instid0(VALU_DEP_2) | instskip(NEXT) | instid1(VALU_DEP_1)
	v_fma_f32 v41, v40, v41, -v42
	v_fmac_f32_e32 v41, v40, v39
	s_delay_alu instid0(VALU_DEP_1) | instskip(NEXT) | instid1(VALU_DEP_1)
	v_add_f32_e32 v39, v42, v41
	v_sub_f32_e32 v44, v38, v39
	v_sub_f32_e32 v42, v39, v42
	s_delay_alu instid0(VALU_DEP_2) | instskip(NEXT) | instid1(VALU_DEP_1)
	v_sub_f32_e32 v38, v38, v44
	v_sub_f32_e32 v38, v38, v39
	s_delay_alu instid0(VALU_DEP_3) | instskip(NEXT) | instid1(VALU_DEP_2)
	v_sub_f32_e32 v39, v42, v41
	v_add_f32_e32 v35, v35, v38
	v_add_f32_e32 v38, v43, v40
	s_delay_alu instid0(VALU_DEP_2) | instskip(NEXT) | instid1(VALU_DEP_2)
	v_add_f32_e32 v35, v39, v35
	v_sub_f32_e32 v39, v38, v43
	s_delay_alu instid0(VALU_DEP_2) | instskip(NEXT) | instid1(VALU_DEP_2)
	v_add_f32_e32 v35, v44, v35
	v_sub_f32_e32 v39, v40, v39
	s_delay_alu instid0(VALU_DEP_2) | instskip(NEXT) | instid1(VALU_DEP_1)
	v_mul_f32_e32 v35, v37, v35
	v_add_f32_e32 v35, v39, v35
	s_delay_alu instid0(VALU_DEP_1) | instskip(NEXT) | instid1(VALU_DEP_1)
	v_add_f32_e32 v37, v38, v35
	v_mul_f32_e32 v39, v37, v37
	s_delay_alu instid0(VALU_DEP_1) | instskip(SKIP_2) | instid1(VALU_DEP_3)
	v_fmaak_f32 v40, s1, v39, 0x3ecc95a3
	v_mul_f32_e32 v41, v37, v39
	v_cmp_eq_f32_e64 s1, 0x7f800000, v36
	v_fmaak_f32 v39, v39, v40, 0x3f2aaada
	v_ldexp_f32 v40, v37, 1
	v_sub_f32_e32 v37, v37, v38
	s_delay_alu instid0(VALU_DEP_4) | instskip(NEXT) | instid1(VALU_DEP_3)
	s_or_b32 s1, s1, s51
	v_mul_f32_e32 v39, v41, v39
	v_mul_f32_e32 v41, 0x3f317218, v34
	s_delay_alu instid0(VALU_DEP_2) | instskip(NEXT) | instid1(VALU_DEP_1)
	v_dual_sub_f32 v35, v35, v37 :: v_dual_add_f32 v38, v40, v39
	v_ldexp_f32 v35, v35, 1
	s_delay_alu instid0(VALU_DEP_2) | instskip(NEXT) | instid1(VALU_DEP_4)
	v_sub_f32_e32 v37, v38, v40
	v_fma_f32 v40, 0x3f317218, v34, -v41
	s_delay_alu instid0(VALU_DEP_1) | instskip(NEXT) | instid1(VALU_DEP_1)
	v_dual_sub_f32 v37, v39, v37 :: v_dual_fmamk_f32 v34, v34, 0xb102e308, v40
	v_add_f32_e32 v35, v35, v37
	s_delay_alu instid0(VALU_DEP_2) | instskip(NEXT) | instid1(VALU_DEP_2)
	v_add_f32_e32 v37, v41, v34
	v_add_f32_e32 v39, v38, v35
	s_delay_alu instid0(VALU_DEP_2) | instskip(NEXT) | instid1(VALU_DEP_2)
	v_sub_f32_e32 v41, v37, v41
	v_add_f32_e32 v40, v37, v39
	v_sub_f32_e32 v38, v39, v38
	s_delay_alu instid0(VALU_DEP_3) | instskip(NEXT) | instid1(VALU_DEP_2)
	v_sub_f32_e32 v34, v34, v41
	v_dual_sub_f32 v42, v40, v37 :: v_dual_sub_f32 v35, v35, v38
	s_delay_alu instid0(VALU_DEP_1) | instskip(NEXT) | instid1(VALU_DEP_2)
	v_sub_f32_e32 v43, v40, v42
	v_dual_sub_f32 v38, v39, v42 :: v_dual_add_f32 v39, v34, v35
	s_delay_alu instid0(VALU_DEP_2) | instskip(NEXT) | instid1(VALU_DEP_1)
	v_sub_f32_e32 v37, v37, v43
	v_dual_add_f32 v37, v38, v37 :: v_dual_sub_f32 v38, v39, v34
	s_delay_alu instid0(VALU_DEP_1) | instskip(NEXT) | instid1(VALU_DEP_2)
	v_add_f32_e32 v37, v39, v37
	v_sub_f32_e32 v39, v39, v38
	v_sub_f32_e32 v35, v35, v38
	s_delay_alu instid0(VALU_DEP_2) | instskip(NEXT) | instid1(VALU_DEP_1)
	v_dual_add_f32 v41, v40, v37 :: v_dual_sub_f32 v34, v34, v39
	v_sub_f32_e32 v38, v41, v40
	s_delay_alu instid0(VALU_DEP_2) | instskip(NEXT) | instid1(VALU_DEP_2)
	v_add_f32_e32 v34, v35, v34
	v_sub_f32_e32 v35, v37, v38
	s_delay_alu instid0(VALU_DEP_1) | instskip(NEXT) | instid1(VALU_DEP_1)
	v_add_f32_e32 v34, v34, v35
	v_add_f32_e32 v34, v41, v34
	s_delay_alu instid0(VALU_DEP_1) | instskip(NEXT) | instid1(VALU_DEP_1)
	v_cndmask_b32_e64 v34, v34, v36, s1
	v_add_f32_e32 v33, v33, v34
	s_delay_alu instid0(VALU_DEP_1)
	v_cvt_f16_f32_e32 v35, v33
.LBB440_98:
	s_or_b32 exec_lo, exec_lo, s50
	s_delay_alu instid0(VALU_DEP_1)
	v_dual_mov_b32 v33, v35 :: v_dual_and_b32 v34, 0xffff, v35
.LBB440_99:
	s_or_b32 exec_lo, exec_lo, s49
	s_delay_alu instid0(VALU_DEP_1)
	v_mov_b32_dpp v35, v34 row_shr:4 row_mask:0xf bank_mask:0xf
	s_mov_b32 s49, exec_lo
	v_cmpx_lt_u32_e32 3, v32
	s_cbranch_execz .LBB440_103
; %bb.100:
	s_delay_alu instid0(VALU_DEP_2) | instskip(SKIP_2) | instid1(VALU_DEP_2)
	v_cvt_f32_f16_e32 v34, v35
	v_cvt_f32_f16_e32 v36, v33
	v_cmp_u_f16_e64 s1, v35, v35
	v_min_f32_e32 v37, v34, v36
	v_max_f32_e32 v38, v34, v36
	s_delay_alu instid0(VALU_DEP_2) | instskip(NEXT) | instid1(VALU_DEP_2)
	v_cndmask_b32_e64 v37, v37, v34, s1
	v_cndmask_b32_e64 v38, v38, v34, s1
	v_cmp_u_f16_e64 s1, v33, v33
	s_delay_alu instid0(VALU_DEP_1) | instskip(NEXT) | instid1(VALU_DEP_3)
	v_cndmask_b32_e64 v34, v37, v36, s1
	v_cndmask_b32_e64 v33, v38, v36, s1
	s_delay_alu instid0(VALU_DEP_2) | instskip(NEXT) | instid1(VALU_DEP_2)
	v_cmp_class_f32_e64 s50, v34, 0x1f8
	v_cmp_neq_f32_e64 s1, v34, v33
	s_delay_alu instid0(VALU_DEP_1) | instskip(NEXT) | instid1(SALU_CYCLE_1)
	s_or_b32 s1, s1, s50
	s_and_saveexec_b32 s50, s1
	s_cbranch_execz .LBB440_102
; %bb.101:
	v_sub_f32_e32 v34, v34, v33
	s_delay_alu instid0(VALU_DEP_1) | instskip(NEXT) | instid1(VALU_DEP_1)
	v_mul_f32_e32 v35, 0x3fb8aa3b, v34
	v_fma_f32 v36, 0x3fb8aa3b, v34, -v35
	v_rndne_f32_e32 v37, v35
	s_delay_alu instid0(VALU_DEP_1) | instskip(NEXT) | instid1(VALU_DEP_1)
	v_dual_fmamk_f32 v36, v34, 0x32a5705f, v36 :: v_dual_sub_f32 v35, v35, v37
	v_add_f32_e32 v35, v35, v36
	v_cvt_i32_f32_e32 v36, v37
	v_cmp_ngt_f32_e64 s1, 0xc2ce8ed0, v34
	s_delay_alu instid0(VALU_DEP_3) | instskip(SKIP_2) | instid1(VALU_DEP_1)
	v_exp_f32_e32 v35, v35
	s_waitcnt_depctr 0xfff
	v_ldexp_f32 v35, v35, v36
	v_cndmask_b32_e64 v35, 0, v35, s1
	v_cmp_nlt_f32_e64 s1, 0x42b17218, v34
	s_delay_alu instid0(VALU_DEP_1) | instskip(NEXT) | instid1(VALU_DEP_1)
	v_cndmask_b32_e64 v36, 0x7f800000, v35, s1
	v_add_f32_e32 v37, 1.0, v36
	v_cmp_gt_f32_e64 s51, 0x33800000, |v36|
	s_delay_alu instid0(VALU_DEP_2) | instskip(NEXT) | instid1(VALU_DEP_1)
	v_cvt_f64_f32_e32 v[34:35], v37
	v_frexp_exp_i32_f64_e32 v34, v[34:35]
	v_frexp_mant_f32_e32 v35, v37
	s_delay_alu instid0(VALU_DEP_1) | instskip(SKIP_1) | instid1(VALU_DEP_1)
	v_cmp_gt_f32_e64 s1, 0x3f2aaaab, v35
	v_add_f32_e32 v35, -1.0, v37
	v_sub_f32_e32 v39, v35, v37
	s_delay_alu instid0(VALU_DEP_3) | instskip(SKIP_1) | instid1(VALU_DEP_1)
	v_subrev_co_ci_u32_e64 v34, s1, 0, v34, s1
	s_mov_b32 s1, 0x3e9b6dac
	v_sub_nc_u32_e32 v38, 0, v34
	v_cvt_f32_i32_e32 v34, v34
	s_delay_alu instid0(VALU_DEP_2) | instskip(NEXT) | instid1(VALU_DEP_1)
	v_ldexp_f32 v37, v37, v38
	v_dual_sub_f32 v35, v36, v35 :: v_dual_add_f32 v40, 1.0, v37
	v_add_f32_e32 v39, 1.0, v39
	s_delay_alu instid0(VALU_DEP_1) | instskip(NEXT) | instid1(VALU_DEP_3)
	v_add_f32_e32 v35, v35, v39
	v_add_f32_e32 v39, -1.0, v40
	s_delay_alu instid0(VALU_DEP_2) | instskip(NEXT) | instid1(VALU_DEP_2)
	v_ldexp_f32 v35, v35, v38
	v_dual_add_f32 v38, -1.0, v37 :: v_dual_sub_f32 v39, v37, v39
	s_delay_alu instid0(VALU_DEP_1) | instskip(NEXT) | instid1(VALU_DEP_2)
	v_add_f32_e32 v41, 1.0, v38
	v_add_f32_e32 v39, v35, v39
	s_delay_alu instid0(VALU_DEP_2) | instskip(NEXT) | instid1(VALU_DEP_2)
	v_sub_f32_e32 v37, v37, v41
	v_add_f32_e32 v41, v40, v39
	s_delay_alu instid0(VALU_DEP_2) | instskip(NEXT) | instid1(VALU_DEP_2)
	v_add_f32_e32 v35, v35, v37
	v_rcp_f32_e32 v37, v41
	v_sub_f32_e32 v40, v40, v41
	s_delay_alu instid0(VALU_DEP_1) | instskip(NEXT) | instid1(VALU_DEP_1)
	v_dual_add_f32 v42, v38, v35 :: v_dual_add_f32 v39, v39, v40
	v_sub_f32_e32 v38, v38, v42
	s_waitcnt_depctr 0xfff
	v_mul_f32_e32 v43, v42, v37
	s_delay_alu instid0(VALU_DEP_1) | instskip(NEXT) | instid1(VALU_DEP_1)
	v_dual_add_f32 v35, v35, v38 :: v_dual_mul_f32 v44, v41, v43
	v_fma_f32 v40, v43, v41, -v44
	s_delay_alu instid0(VALU_DEP_1) | instskip(NEXT) | instid1(VALU_DEP_1)
	v_fmac_f32_e32 v40, v43, v39
	v_add_f32_e32 v45, v44, v40
	s_delay_alu instid0(VALU_DEP_1) | instskip(SKIP_1) | instid1(VALU_DEP_2)
	v_sub_f32_e32 v46, v42, v45
	v_sub_f32_e32 v38, v45, v44
	;; [unrolled: 1-line block ×3, first 2 shown]
	s_delay_alu instid0(VALU_DEP_2) | instskip(NEXT) | instid1(VALU_DEP_2)
	v_sub_f32_e32 v38, v38, v40
	v_sub_f32_e32 v42, v42, v45
	s_delay_alu instid0(VALU_DEP_1) | instskip(NEXT) | instid1(VALU_DEP_1)
	v_add_f32_e32 v35, v35, v42
	v_add_f32_e32 v35, v38, v35
	s_delay_alu instid0(VALU_DEP_1) | instskip(NEXT) | instid1(VALU_DEP_1)
	v_add_f32_e32 v38, v46, v35
	v_mul_f32_e32 v40, v37, v38
	s_delay_alu instid0(VALU_DEP_1) | instskip(NEXT) | instid1(VALU_DEP_1)
	v_dual_sub_f32 v45, v46, v38 :: v_dual_mul_f32 v42, v41, v40
	v_add_f32_e32 v35, v35, v45
	s_delay_alu instid0(VALU_DEP_2) | instskip(NEXT) | instid1(VALU_DEP_1)
	v_fma_f32 v41, v40, v41, -v42
	v_fmac_f32_e32 v41, v40, v39
	s_delay_alu instid0(VALU_DEP_1) | instskip(NEXT) | instid1(VALU_DEP_1)
	v_add_f32_e32 v39, v42, v41
	v_sub_f32_e32 v44, v38, v39
	v_sub_f32_e32 v42, v39, v42
	s_delay_alu instid0(VALU_DEP_2) | instskip(NEXT) | instid1(VALU_DEP_1)
	v_sub_f32_e32 v38, v38, v44
	v_sub_f32_e32 v38, v38, v39
	s_delay_alu instid0(VALU_DEP_3) | instskip(NEXT) | instid1(VALU_DEP_2)
	v_sub_f32_e32 v39, v42, v41
	v_add_f32_e32 v35, v35, v38
	v_add_f32_e32 v38, v43, v40
	s_delay_alu instid0(VALU_DEP_2) | instskip(NEXT) | instid1(VALU_DEP_2)
	v_add_f32_e32 v35, v39, v35
	v_sub_f32_e32 v39, v38, v43
	s_delay_alu instid0(VALU_DEP_2) | instskip(NEXT) | instid1(VALU_DEP_2)
	v_add_f32_e32 v35, v44, v35
	v_sub_f32_e32 v39, v40, v39
	s_delay_alu instid0(VALU_DEP_2) | instskip(NEXT) | instid1(VALU_DEP_1)
	v_mul_f32_e32 v35, v37, v35
	v_add_f32_e32 v35, v39, v35
	s_delay_alu instid0(VALU_DEP_1) | instskip(NEXT) | instid1(VALU_DEP_1)
	v_add_f32_e32 v37, v38, v35
	v_mul_f32_e32 v39, v37, v37
	s_delay_alu instid0(VALU_DEP_1) | instskip(SKIP_2) | instid1(VALU_DEP_3)
	v_fmaak_f32 v40, s1, v39, 0x3ecc95a3
	v_mul_f32_e32 v41, v37, v39
	v_cmp_eq_f32_e64 s1, 0x7f800000, v36
	v_fmaak_f32 v39, v39, v40, 0x3f2aaada
	v_ldexp_f32 v40, v37, 1
	v_sub_f32_e32 v37, v37, v38
	s_delay_alu instid0(VALU_DEP_4) | instskip(NEXT) | instid1(VALU_DEP_3)
	s_or_b32 s1, s1, s51
	v_mul_f32_e32 v39, v41, v39
	v_mul_f32_e32 v41, 0x3f317218, v34
	s_delay_alu instid0(VALU_DEP_2) | instskip(NEXT) | instid1(VALU_DEP_1)
	v_dual_sub_f32 v35, v35, v37 :: v_dual_add_f32 v38, v40, v39
	v_ldexp_f32 v35, v35, 1
	s_delay_alu instid0(VALU_DEP_2) | instskip(NEXT) | instid1(VALU_DEP_4)
	v_sub_f32_e32 v37, v38, v40
	v_fma_f32 v40, 0x3f317218, v34, -v41
	s_delay_alu instid0(VALU_DEP_1) | instskip(NEXT) | instid1(VALU_DEP_1)
	v_dual_sub_f32 v37, v39, v37 :: v_dual_fmamk_f32 v34, v34, 0xb102e308, v40
	v_add_f32_e32 v35, v35, v37
	s_delay_alu instid0(VALU_DEP_2) | instskip(NEXT) | instid1(VALU_DEP_2)
	v_add_f32_e32 v37, v41, v34
	v_add_f32_e32 v39, v38, v35
	s_delay_alu instid0(VALU_DEP_2) | instskip(NEXT) | instid1(VALU_DEP_2)
	v_sub_f32_e32 v41, v37, v41
	v_add_f32_e32 v40, v37, v39
	v_sub_f32_e32 v38, v39, v38
	s_delay_alu instid0(VALU_DEP_3) | instskip(NEXT) | instid1(VALU_DEP_2)
	v_sub_f32_e32 v34, v34, v41
	v_dual_sub_f32 v42, v40, v37 :: v_dual_sub_f32 v35, v35, v38
	s_delay_alu instid0(VALU_DEP_1) | instskip(NEXT) | instid1(VALU_DEP_2)
	v_sub_f32_e32 v43, v40, v42
	v_dual_sub_f32 v38, v39, v42 :: v_dual_add_f32 v39, v34, v35
	s_delay_alu instid0(VALU_DEP_2) | instskip(NEXT) | instid1(VALU_DEP_1)
	v_sub_f32_e32 v37, v37, v43
	v_dual_add_f32 v37, v38, v37 :: v_dual_sub_f32 v38, v39, v34
	s_delay_alu instid0(VALU_DEP_1) | instskip(NEXT) | instid1(VALU_DEP_2)
	v_add_f32_e32 v37, v39, v37
	v_sub_f32_e32 v39, v39, v38
	v_sub_f32_e32 v35, v35, v38
	s_delay_alu instid0(VALU_DEP_2) | instskip(NEXT) | instid1(VALU_DEP_1)
	v_dual_add_f32 v41, v40, v37 :: v_dual_sub_f32 v34, v34, v39
	v_sub_f32_e32 v38, v41, v40
	s_delay_alu instid0(VALU_DEP_2) | instskip(NEXT) | instid1(VALU_DEP_2)
	v_add_f32_e32 v34, v35, v34
	v_sub_f32_e32 v35, v37, v38
	s_delay_alu instid0(VALU_DEP_1) | instskip(NEXT) | instid1(VALU_DEP_1)
	v_add_f32_e32 v34, v34, v35
	v_add_f32_e32 v34, v41, v34
	s_delay_alu instid0(VALU_DEP_1) | instskip(NEXT) | instid1(VALU_DEP_1)
	v_cndmask_b32_e64 v34, v34, v36, s1
	v_add_f32_e32 v33, v33, v34
	s_delay_alu instid0(VALU_DEP_1)
	v_cvt_f16_f32_e32 v35, v33
.LBB440_102:
	s_or_b32 exec_lo, exec_lo, s50
	s_delay_alu instid0(VALU_DEP_1)
	v_dual_mov_b32 v33, v35 :: v_dual_and_b32 v34, 0xffff, v35
.LBB440_103:
	s_or_b32 exec_lo, exec_lo, s49
	s_delay_alu instid0(VALU_DEP_1)
	v_mov_b32_dpp v35, v34 row_shr:8 row_mask:0xf bank_mask:0xf
	s_mov_b32 s49, exec_lo
	v_cmpx_lt_u32_e32 7, v32
	s_cbranch_execz .LBB440_107
; %bb.104:
	s_delay_alu instid0(VALU_DEP_2) | instskip(SKIP_2) | instid1(VALU_DEP_2)
	v_cvt_f32_f16_e32 v32, v35
	v_cvt_f32_f16_e32 v34, v33
	v_cmp_u_f16_e64 s1, v35, v35
	v_min_f32_e32 v36, v32, v34
	v_max_f32_e32 v37, v32, v34
	s_delay_alu instid0(VALU_DEP_2) | instskip(NEXT) | instid1(VALU_DEP_2)
	v_cndmask_b32_e64 v36, v36, v32, s1
	v_cndmask_b32_e64 v32, v37, v32, s1
	v_cmp_u_f16_e64 s1, v33, v33
	s_delay_alu instid0(VALU_DEP_1) | instskip(NEXT) | instid1(VALU_DEP_3)
	v_cndmask_b32_e64 v33, v36, v34, s1
	v_cndmask_b32_e64 v32, v32, v34, s1
	s_delay_alu instid0(VALU_DEP_2) | instskip(NEXT) | instid1(VALU_DEP_2)
	v_cmp_class_f32_e64 s50, v33, 0x1f8
	v_cmp_neq_f32_e64 s1, v33, v32
	s_delay_alu instid0(VALU_DEP_1) | instskip(NEXT) | instid1(SALU_CYCLE_1)
	s_or_b32 s1, s1, s50
	s_and_saveexec_b32 s50, s1
	s_cbranch_execz .LBB440_106
; %bb.105:
	v_sub_f32_e32 v33, v33, v32
	s_delay_alu instid0(VALU_DEP_1) | instskip(NEXT) | instid1(VALU_DEP_1)
	v_mul_f32_e32 v34, 0x3fb8aa3b, v33
	v_fma_f32 v35, 0x3fb8aa3b, v33, -v34
	v_rndne_f32_e32 v36, v34
	s_delay_alu instid0(VALU_DEP_1) | instskip(NEXT) | instid1(VALU_DEP_1)
	v_dual_fmamk_f32 v35, v33, 0x32a5705f, v35 :: v_dual_sub_f32 v34, v34, v36
	v_add_f32_e32 v34, v34, v35
	v_cvt_i32_f32_e32 v35, v36
	v_cmp_ngt_f32_e64 s1, 0xc2ce8ed0, v33
	s_delay_alu instid0(VALU_DEP_3) | instskip(SKIP_2) | instid1(VALU_DEP_1)
	v_exp_f32_e32 v34, v34
	s_waitcnt_depctr 0xfff
	v_ldexp_f32 v34, v34, v35
	v_cndmask_b32_e64 v34, 0, v34, s1
	v_cmp_nlt_f32_e64 s1, 0x42b17218, v33
	s_delay_alu instid0(VALU_DEP_1) | instskip(NEXT) | instid1(VALU_DEP_1)
	v_cndmask_b32_e64 v35, 0x7f800000, v34, s1
	v_add_f32_e32 v36, 1.0, v35
	v_cmp_gt_f32_e64 s51, 0x33800000, |v35|
	s_delay_alu instid0(VALU_DEP_2) | instskip(NEXT) | instid1(VALU_DEP_1)
	v_cvt_f64_f32_e32 v[33:34], v36
	v_frexp_exp_i32_f64_e32 v33, v[33:34]
	v_frexp_mant_f32_e32 v34, v36
	s_delay_alu instid0(VALU_DEP_1) | instskip(SKIP_1) | instid1(VALU_DEP_1)
	v_cmp_gt_f32_e64 s1, 0x3f2aaaab, v34
	v_add_f32_e32 v34, -1.0, v36
	v_sub_f32_e32 v38, v34, v36
	s_delay_alu instid0(VALU_DEP_3) | instskip(SKIP_1) | instid1(VALU_DEP_1)
	v_subrev_co_ci_u32_e64 v33, s1, 0, v33, s1
	s_mov_b32 s1, 0x3e9b6dac
	v_sub_nc_u32_e32 v37, 0, v33
	v_cvt_f32_i32_e32 v33, v33
	s_delay_alu instid0(VALU_DEP_2) | instskip(NEXT) | instid1(VALU_DEP_1)
	v_ldexp_f32 v36, v36, v37
	v_dual_sub_f32 v34, v35, v34 :: v_dual_add_f32 v39, 1.0, v36
	v_add_f32_e32 v38, 1.0, v38
	s_delay_alu instid0(VALU_DEP_1) | instskip(NEXT) | instid1(VALU_DEP_3)
	v_add_f32_e32 v34, v34, v38
	v_add_f32_e32 v38, -1.0, v39
	s_delay_alu instid0(VALU_DEP_2) | instskip(NEXT) | instid1(VALU_DEP_2)
	v_ldexp_f32 v34, v34, v37
	v_dual_add_f32 v37, -1.0, v36 :: v_dual_sub_f32 v38, v36, v38
	s_delay_alu instid0(VALU_DEP_1) | instskip(NEXT) | instid1(VALU_DEP_2)
	v_add_f32_e32 v40, 1.0, v37
	v_add_f32_e32 v38, v34, v38
	s_delay_alu instid0(VALU_DEP_2) | instskip(NEXT) | instid1(VALU_DEP_2)
	v_sub_f32_e32 v36, v36, v40
	v_add_f32_e32 v40, v39, v38
	s_delay_alu instid0(VALU_DEP_2) | instskip(NEXT) | instid1(VALU_DEP_2)
	v_add_f32_e32 v34, v34, v36
	v_rcp_f32_e32 v36, v40
	v_sub_f32_e32 v39, v39, v40
	s_delay_alu instid0(VALU_DEP_1) | instskip(NEXT) | instid1(VALU_DEP_1)
	v_dual_add_f32 v41, v37, v34 :: v_dual_add_f32 v38, v38, v39
	v_sub_f32_e32 v37, v37, v41
	s_waitcnt_depctr 0xfff
	v_mul_f32_e32 v42, v41, v36
	s_delay_alu instid0(VALU_DEP_1) | instskip(NEXT) | instid1(VALU_DEP_1)
	v_dual_add_f32 v34, v34, v37 :: v_dual_mul_f32 v43, v40, v42
	v_fma_f32 v39, v42, v40, -v43
	s_delay_alu instid0(VALU_DEP_1) | instskip(NEXT) | instid1(VALU_DEP_1)
	v_fmac_f32_e32 v39, v42, v38
	v_add_f32_e32 v44, v43, v39
	s_delay_alu instid0(VALU_DEP_1) | instskip(SKIP_1) | instid1(VALU_DEP_2)
	v_sub_f32_e32 v45, v41, v44
	v_sub_f32_e32 v37, v44, v43
	;; [unrolled: 1-line block ×3, first 2 shown]
	s_delay_alu instid0(VALU_DEP_2) | instskip(NEXT) | instid1(VALU_DEP_2)
	v_sub_f32_e32 v37, v37, v39
	v_sub_f32_e32 v41, v41, v44
	s_delay_alu instid0(VALU_DEP_1) | instskip(NEXT) | instid1(VALU_DEP_1)
	v_add_f32_e32 v34, v34, v41
	v_add_f32_e32 v34, v37, v34
	s_delay_alu instid0(VALU_DEP_1) | instskip(NEXT) | instid1(VALU_DEP_1)
	v_add_f32_e32 v37, v45, v34
	v_mul_f32_e32 v39, v36, v37
	s_delay_alu instid0(VALU_DEP_1) | instskip(NEXT) | instid1(VALU_DEP_1)
	v_dual_sub_f32 v44, v45, v37 :: v_dual_mul_f32 v41, v40, v39
	v_add_f32_e32 v34, v34, v44
	s_delay_alu instid0(VALU_DEP_2) | instskip(NEXT) | instid1(VALU_DEP_1)
	v_fma_f32 v40, v39, v40, -v41
	v_fmac_f32_e32 v40, v39, v38
	s_delay_alu instid0(VALU_DEP_1) | instskip(NEXT) | instid1(VALU_DEP_1)
	v_add_f32_e32 v38, v41, v40
	v_sub_f32_e32 v43, v37, v38
	v_sub_f32_e32 v41, v38, v41
	s_delay_alu instid0(VALU_DEP_2) | instskip(NEXT) | instid1(VALU_DEP_1)
	v_sub_f32_e32 v37, v37, v43
	v_sub_f32_e32 v37, v37, v38
	s_delay_alu instid0(VALU_DEP_3) | instskip(NEXT) | instid1(VALU_DEP_2)
	v_sub_f32_e32 v38, v41, v40
	v_add_f32_e32 v34, v34, v37
	v_add_f32_e32 v37, v42, v39
	s_delay_alu instid0(VALU_DEP_2) | instskip(NEXT) | instid1(VALU_DEP_2)
	v_add_f32_e32 v34, v38, v34
	v_sub_f32_e32 v38, v37, v42
	s_delay_alu instid0(VALU_DEP_2) | instskip(NEXT) | instid1(VALU_DEP_2)
	v_add_f32_e32 v34, v43, v34
	v_sub_f32_e32 v38, v39, v38
	s_delay_alu instid0(VALU_DEP_2) | instskip(NEXT) | instid1(VALU_DEP_1)
	v_mul_f32_e32 v34, v36, v34
	v_add_f32_e32 v34, v38, v34
	s_delay_alu instid0(VALU_DEP_1) | instskip(NEXT) | instid1(VALU_DEP_1)
	v_add_f32_e32 v36, v37, v34
	v_mul_f32_e32 v38, v36, v36
	s_delay_alu instid0(VALU_DEP_1) | instskip(SKIP_2) | instid1(VALU_DEP_3)
	v_fmaak_f32 v39, s1, v38, 0x3ecc95a3
	v_mul_f32_e32 v40, v36, v38
	v_cmp_eq_f32_e64 s1, 0x7f800000, v35
	v_fmaak_f32 v38, v38, v39, 0x3f2aaada
	v_ldexp_f32 v39, v36, 1
	v_sub_f32_e32 v36, v36, v37
	s_delay_alu instid0(VALU_DEP_4) | instskip(NEXT) | instid1(VALU_DEP_3)
	s_or_b32 s1, s1, s51
	v_mul_f32_e32 v38, v40, v38
	v_mul_f32_e32 v40, 0x3f317218, v33
	s_delay_alu instid0(VALU_DEP_2) | instskip(NEXT) | instid1(VALU_DEP_1)
	v_dual_sub_f32 v34, v34, v36 :: v_dual_add_f32 v37, v39, v38
	v_ldexp_f32 v34, v34, 1
	s_delay_alu instid0(VALU_DEP_2) | instskip(NEXT) | instid1(VALU_DEP_4)
	v_sub_f32_e32 v36, v37, v39
	v_fma_f32 v39, 0x3f317218, v33, -v40
	s_delay_alu instid0(VALU_DEP_1) | instskip(NEXT) | instid1(VALU_DEP_1)
	v_dual_sub_f32 v36, v38, v36 :: v_dual_fmamk_f32 v33, v33, 0xb102e308, v39
	v_add_f32_e32 v34, v34, v36
	s_delay_alu instid0(VALU_DEP_2) | instskip(NEXT) | instid1(VALU_DEP_2)
	v_add_f32_e32 v36, v40, v33
	v_add_f32_e32 v38, v37, v34
	s_delay_alu instid0(VALU_DEP_2) | instskip(NEXT) | instid1(VALU_DEP_2)
	v_sub_f32_e32 v40, v36, v40
	v_add_f32_e32 v39, v36, v38
	v_sub_f32_e32 v37, v38, v37
	s_delay_alu instid0(VALU_DEP_3) | instskip(NEXT) | instid1(VALU_DEP_2)
	v_sub_f32_e32 v33, v33, v40
	v_dual_sub_f32 v41, v39, v36 :: v_dual_sub_f32 v34, v34, v37
	s_delay_alu instid0(VALU_DEP_1) | instskip(NEXT) | instid1(VALU_DEP_2)
	v_sub_f32_e32 v42, v39, v41
	v_dual_sub_f32 v37, v38, v41 :: v_dual_add_f32 v38, v33, v34
	s_delay_alu instid0(VALU_DEP_2) | instskip(NEXT) | instid1(VALU_DEP_1)
	v_sub_f32_e32 v36, v36, v42
	v_dual_add_f32 v36, v37, v36 :: v_dual_sub_f32 v37, v38, v33
	s_delay_alu instid0(VALU_DEP_1) | instskip(NEXT) | instid1(VALU_DEP_2)
	v_add_f32_e32 v36, v38, v36
	v_sub_f32_e32 v38, v38, v37
	v_sub_f32_e32 v34, v34, v37
	s_delay_alu instid0(VALU_DEP_2) | instskip(NEXT) | instid1(VALU_DEP_1)
	v_dual_add_f32 v40, v39, v36 :: v_dual_sub_f32 v33, v33, v38
	v_sub_f32_e32 v37, v40, v39
	s_delay_alu instid0(VALU_DEP_2) | instskip(NEXT) | instid1(VALU_DEP_2)
	v_add_f32_e32 v33, v34, v33
	v_sub_f32_e32 v34, v36, v37
	s_delay_alu instid0(VALU_DEP_1) | instskip(NEXT) | instid1(VALU_DEP_1)
	v_add_f32_e32 v33, v33, v34
	v_add_f32_e32 v33, v40, v33
	s_delay_alu instid0(VALU_DEP_1) | instskip(NEXT) | instid1(VALU_DEP_1)
	v_cndmask_b32_e64 v33, v33, v35, s1
	v_add_f32_e32 v32, v32, v33
	s_delay_alu instid0(VALU_DEP_1)
	v_cvt_f16_f32_e32 v35, v32
.LBB440_106:
	s_or_b32 exec_lo, exec_lo, s50
	s_delay_alu instid0(VALU_DEP_1)
	v_dual_mov_b32 v33, v35 :: v_dual_and_b32 v34, 0xffff, v35
.LBB440_107:
	s_or_b32 exec_lo, exec_lo, s49
	ds_swizzle_b32 v34, v34 offset:swizzle(BROADCAST,32,15)
	v_and_b32_e32 v32, 16, v31
	s_mov_b32 s49, exec_lo
	s_delay_alu instid0(VALU_DEP_1)
	v_cmpx_ne_u32_e32 0, v32
	s_cbranch_execz .LBB440_111
; %bb.108:
	s_waitcnt lgkmcnt(0)
	v_cvt_f32_f16_e32 v32, v34
	v_cvt_f32_f16_e32 v35, v33
	v_cmp_u_f16_e64 s1, v34, v34
	s_delay_alu instid0(VALU_DEP_2) | instskip(SKIP_1) | instid1(VALU_DEP_2)
	v_min_f32_e32 v36, v32, v35
	v_max_f32_e32 v37, v32, v35
	v_cndmask_b32_e64 v36, v36, v32, s1
	s_delay_alu instid0(VALU_DEP_2) | instskip(SKIP_1) | instid1(VALU_DEP_1)
	v_cndmask_b32_e64 v32, v37, v32, s1
	v_cmp_u_f16_e64 s1, v33, v33
	v_cndmask_b32_e64 v33, v36, v35, s1
	s_delay_alu instid0(VALU_DEP_3) | instskip(NEXT) | instid1(VALU_DEP_2)
	v_cndmask_b32_e64 v32, v32, v35, s1
	v_cmp_class_f32_e64 s50, v33, 0x1f8
	s_delay_alu instid0(VALU_DEP_2) | instskip(NEXT) | instid1(VALU_DEP_1)
	v_cmp_neq_f32_e64 s1, v33, v32
	s_or_b32 s1, s1, s50
	s_delay_alu instid0(SALU_CYCLE_1)
	s_and_saveexec_b32 s50, s1
	s_cbranch_execz .LBB440_110
; %bb.109:
	v_sub_f32_e32 v33, v33, v32
	s_delay_alu instid0(VALU_DEP_1) | instskip(NEXT) | instid1(VALU_DEP_1)
	v_mul_f32_e32 v34, 0x3fb8aa3b, v33
	v_fma_f32 v35, 0x3fb8aa3b, v33, -v34
	v_rndne_f32_e32 v36, v34
	s_delay_alu instid0(VALU_DEP_1) | instskip(NEXT) | instid1(VALU_DEP_1)
	v_dual_fmamk_f32 v35, v33, 0x32a5705f, v35 :: v_dual_sub_f32 v34, v34, v36
	v_add_f32_e32 v34, v34, v35
	v_cvt_i32_f32_e32 v35, v36
	v_cmp_ngt_f32_e64 s1, 0xc2ce8ed0, v33
	s_delay_alu instid0(VALU_DEP_3) | instskip(SKIP_2) | instid1(VALU_DEP_1)
	v_exp_f32_e32 v34, v34
	s_waitcnt_depctr 0xfff
	v_ldexp_f32 v34, v34, v35
	v_cndmask_b32_e64 v34, 0, v34, s1
	v_cmp_nlt_f32_e64 s1, 0x42b17218, v33
	s_delay_alu instid0(VALU_DEP_1) | instskip(NEXT) | instid1(VALU_DEP_1)
	v_cndmask_b32_e64 v35, 0x7f800000, v34, s1
	v_add_f32_e32 v36, 1.0, v35
	v_cmp_gt_f32_e64 s51, 0x33800000, |v35|
	s_delay_alu instid0(VALU_DEP_2) | instskip(NEXT) | instid1(VALU_DEP_1)
	v_cvt_f64_f32_e32 v[33:34], v36
	v_frexp_exp_i32_f64_e32 v33, v[33:34]
	v_frexp_mant_f32_e32 v34, v36
	s_delay_alu instid0(VALU_DEP_1) | instskip(SKIP_1) | instid1(VALU_DEP_1)
	v_cmp_gt_f32_e64 s1, 0x3f2aaaab, v34
	v_add_f32_e32 v34, -1.0, v36
	v_sub_f32_e32 v38, v34, v36
	s_delay_alu instid0(VALU_DEP_3) | instskip(SKIP_1) | instid1(VALU_DEP_1)
	v_subrev_co_ci_u32_e64 v33, s1, 0, v33, s1
	s_mov_b32 s1, 0x3e9b6dac
	v_sub_nc_u32_e32 v37, 0, v33
	v_cvt_f32_i32_e32 v33, v33
	s_delay_alu instid0(VALU_DEP_2) | instskip(NEXT) | instid1(VALU_DEP_1)
	v_ldexp_f32 v36, v36, v37
	v_dual_sub_f32 v34, v35, v34 :: v_dual_add_f32 v39, 1.0, v36
	v_add_f32_e32 v38, 1.0, v38
	s_delay_alu instid0(VALU_DEP_1) | instskip(NEXT) | instid1(VALU_DEP_3)
	v_add_f32_e32 v34, v34, v38
	v_add_f32_e32 v38, -1.0, v39
	s_delay_alu instid0(VALU_DEP_2) | instskip(NEXT) | instid1(VALU_DEP_2)
	v_ldexp_f32 v34, v34, v37
	v_dual_add_f32 v37, -1.0, v36 :: v_dual_sub_f32 v38, v36, v38
	s_delay_alu instid0(VALU_DEP_1) | instskip(NEXT) | instid1(VALU_DEP_2)
	v_add_f32_e32 v40, 1.0, v37
	v_add_f32_e32 v38, v34, v38
	s_delay_alu instid0(VALU_DEP_2) | instskip(NEXT) | instid1(VALU_DEP_2)
	v_sub_f32_e32 v36, v36, v40
	v_add_f32_e32 v40, v39, v38
	s_delay_alu instid0(VALU_DEP_2) | instskip(NEXT) | instid1(VALU_DEP_2)
	v_add_f32_e32 v34, v34, v36
	v_rcp_f32_e32 v36, v40
	v_sub_f32_e32 v39, v39, v40
	s_delay_alu instid0(VALU_DEP_1) | instskip(NEXT) | instid1(VALU_DEP_1)
	v_dual_add_f32 v41, v37, v34 :: v_dual_add_f32 v38, v38, v39
	v_sub_f32_e32 v37, v37, v41
	s_waitcnt_depctr 0xfff
	v_mul_f32_e32 v42, v41, v36
	s_delay_alu instid0(VALU_DEP_1) | instskip(NEXT) | instid1(VALU_DEP_1)
	v_dual_add_f32 v34, v34, v37 :: v_dual_mul_f32 v43, v40, v42
	v_fma_f32 v39, v42, v40, -v43
	s_delay_alu instid0(VALU_DEP_1) | instskip(NEXT) | instid1(VALU_DEP_1)
	v_fmac_f32_e32 v39, v42, v38
	v_add_f32_e32 v44, v43, v39
	s_delay_alu instid0(VALU_DEP_1) | instskip(SKIP_1) | instid1(VALU_DEP_2)
	v_sub_f32_e32 v45, v41, v44
	v_sub_f32_e32 v37, v44, v43
	;; [unrolled: 1-line block ×3, first 2 shown]
	s_delay_alu instid0(VALU_DEP_2) | instskip(NEXT) | instid1(VALU_DEP_2)
	v_sub_f32_e32 v37, v37, v39
	v_sub_f32_e32 v41, v41, v44
	s_delay_alu instid0(VALU_DEP_1) | instskip(NEXT) | instid1(VALU_DEP_1)
	v_add_f32_e32 v34, v34, v41
	v_add_f32_e32 v34, v37, v34
	s_delay_alu instid0(VALU_DEP_1) | instskip(NEXT) | instid1(VALU_DEP_1)
	v_add_f32_e32 v37, v45, v34
	v_mul_f32_e32 v39, v36, v37
	s_delay_alu instid0(VALU_DEP_1) | instskip(NEXT) | instid1(VALU_DEP_1)
	v_dual_sub_f32 v44, v45, v37 :: v_dual_mul_f32 v41, v40, v39
	v_add_f32_e32 v34, v34, v44
	s_delay_alu instid0(VALU_DEP_2) | instskip(NEXT) | instid1(VALU_DEP_1)
	v_fma_f32 v40, v39, v40, -v41
	v_fmac_f32_e32 v40, v39, v38
	s_delay_alu instid0(VALU_DEP_1) | instskip(NEXT) | instid1(VALU_DEP_1)
	v_add_f32_e32 v38, v41, v40
	v_sub_f32_e32 v43, v37, v38
	v_sub_f32_e32 v41, v38, v41
	s_delay_alu instid0(VALU_DEP_2) | instskip(NEXT) | instid1(VALU_DEP_1)
	v_sub_f32_e32 v37, v37, v43
	v_sub_f32_e32 v37, v37, v38
	s_delay_alu instid0(VALU_DEP_3) | instskip(NEXT) | instid1(VALU_DEP_2)
	v_sub_f32_e32 v38, v41, v40
	v_add_f32_e32 v34, v34, v37
	v_add_f32_e32 v37, v42, v39
	s_delay_alu instid0(VALU_DEP_2) | instskip(NEXT) | instid1(VALU_DEP_2)
	v_add_f32_e32 v34, v38, v34
	v_sub_f32_e32 v38, v37, v42
	s_delay_alu instid0(VALU_DEP_2) | instskip(NEXT) | instid1(VALU_DEP_2)
	v_add_f32_e32 v34, v43, v34
	v_sub_f32_e32 v38, v39, v38
	s_delay_alu instid0(VALU_DEP_2) | instskip(NEXT) | instid1(VALU_DEP_1)
	v_mul_f32_e32 v34, v36, v34
	v_add_f32_e32 v34, v38, v34
	s_delay_alu instid0(VALU_DEP_1) | instskip(NEXT) | instid1(VALU_DEP_1)
	v_add_f32_e32 v36, v37, v34
	v_mul_f32_e32 v38, v36, v36
	s_delay_alu instid0(VALU_DEP_1) | instskip(SKIP_2) | instid1(VALU_DEP_3)
	v_fmaak_f32 v39, s1, v38, 0x3ecc95a3
	v_mul_f32_e32 v40, v36, v38
	v_cmp_eq_f32_e64 s1, 0x7f800000, v35
	v_fmaak_f32 v38, v38, v39, 0x3f2aaada
	v_ldexp_f32 v39, v36, 1
	v_sub_f32_e32 v36, v36, v37
	s_delay_alu instid0(VALU_DEP_4) | instskip(NEXT) | instid1(VALU_DEP_3)
	s_or_b32 s1, s1, s51
	v_mul_f32_e32 v38, v40, v38
	v_mul_f32_e32 v40, 0x3f317218, v33
	s_delay_alu instid0(VALU_DEP_2) | instskip(NEXT) | instid1(VALU_DEP_1)
	v_dual_sub_f32 v34, v34, v36 :: v_dual_add_f32 v37, v39, v38
	v_ldexp_f32 v34, v34, 1
	s_delay_alu instid0(VALU_DEP_2) | instskip(NEXT) | instid1(VALU_DEP_4)
	v_sub_f32_e32 v36, v37, v39
	v_fma_f32 v39, 0x3f317218, v33, -v40
	s_delay_alu instid0(VALU_DEP_1) | instskip(NEXT) | instid1(VALU_DEP_1)
	v_dual_sub_f32 v36, v38, v36 :: v_dual_fmamk_f32 v33, v33, 0xb102e308, v39
	v_add_f32_e32 v34, v34, v36
	s_delay_alu instid0(VALU_DEP_2) | instskip(NEXT) | instid1(VALU_DEP_2)
	v_add_f32_e32 v36, v40, v33
	v_add_f32_e32 v38, v37, v34
	s_delay_alu instid0(VALU_DEP_2) | instskip(NEXT) | instid1(VALU_DEP_2)
	v_sub_f32_e32 v40, v36, v40
	v_add_f32_e32 v39, v36, v38
	v_sub_f32_e32 v37, v38, v37
	s_delay_alu instid0(VALU_DEP_3) | instskip(NEXT) | instid1(VALU_DEP_2)
	v_sub_f32_e32 v33, v33, v40
	v_dual_sub_f32 v41, v39, v36 :: v_dual_sub_f32 v34, v34, v37
	s_delay_alu instid0(VALU_DEP_1) | instskip(NEXT) | instid1(VALU_DEP_2)
	v_sub_f32_e32 v42, v39, v41
	v_dual_sub_f32 v37, v38, v41 :: v_dual_add_f32 v38, v33, v34
	s_delay_alu instid0(VALU_DEP_2) | instskip(NEXT) | instid1(VALU_DEP_1)
	v_sub_f32_e32 v36, v36, v42
	v_dual_add_f32 v36, v37, v36 :: v_dual_sub_f32 v37, v38, v33
	s_delay_alu instid0(VALU_DEP_1) | instskip(NEXT) | instid1(VALU_DEP_2)
	v_add_f32_e32 v36, v38, v36
	v_sub_f32_e32 v38, v38, v37
	v_sub_f32_e32 v34, v34, v37
	s_delay_alu instid0(VALU_DEP_2) | instskip(NEXT) | instid1(VALU_DEP_1)
	v_dual_add_f32 v40, v39, v36 :: v_dual_sub_f32 v33, v33, v38
	v_sub_f32_e32 v37, v40, v39
	s_delay_alu instid0(VALU_DEP_2) | instskip(NEXT) | instid1(VALU_DEP_2)
	v_add_f32_e32 v33, v34, v33
	v_sub_f32_e32 v34, v36, v37
	s_delay_alu instid0(VALU_DEP_1) | instskip(NEXT) | instid1(VALU_DEP_1)
	v_add_f32_e32 v33, v33, v34
	v_add_f32_e32 v33, v40, v33
	s_delay_alu instid0(VALU_DEP_1) | instskip(NEXT) | instid1(VALU_DEP_1)
	v_cndmask_b32_e64 v33, v33, v35, s1
	v_add_f32_e32 v32, v32, v33
	s_delay_alu instid0(VALU_DEP_1)
	v_cvt_f16_f32_e32 v34, v32
.LBB440_110:
	s_or_b32 exec_lo, exec_lo, s50
	s_delay_alu instid0(VALU_DEP_1)
	v_mov_b32_e32 v33, v34
.LBB440_111:
	s_or_b32 exec_lo, exec_lo, s49
	v_add_nc_u32_e32 v32, -1, v31
	s_delay_alu instid0(VALU_DEP_1) | instskip(NEXT) | instid1(VALU_DEP_1)
	v_cmp_gt_i32_e64 s1, 0, v32
	v_cndmask_b32_e64 v31, v32, v31, s1
	v_and_b32_e32 v32, 0xffff, v33
	s_delay_alu instid0(VALU_DEP_2)
	v_lshlrev_b32_e32 v31, 2, v31
	ds_bpermute_b32 v31, v31, v32
	v_max_f32_e32 v32, v30, v30
	s_waitcnt lgkmcnt(0)
	v_cvt_f32_f16_e32 v33, v31
	v_cmp_u_f16_e64 s1, v31, v31
	s_delay_alu instid0(VALU_DEP_2) | instskip(SKIP_1) | instid1(VALU_DEP_2)
	v_min_f32_e32 v34, v33, v32
	v_max_f32_e32 v32, v33, v32
	v_cndmask_b32_e64 v34, v34, v33, s1
	s_delay_alu instid0(VALU_DEP_2) | instskip(NEXT) | instid1(VALU_DEP_2)
	v_cndmask_b32_e64 v33, v32, v33, s1
	v_cndmask_b32_e64 v32, v34, v30, s0
	s_delay_alu instid0(VALU_DEP_2) | instskip(NEXT) | instid1(VALU_DEP_2)
	v_cndmask_b32_e64 v30, v33, v30, s0
	v_cmp_class_f32_e64 s1, v32, 0x1f8
	s_delay_alu instid0(VALU_DEP_2) | instskip(NEXT) | instid1(VALU_DEP_1)
	v_cmp_neq_f32_e64 s0, v32, v30
	s_or_b32 s0, s0, s1
	s_delay_alu instid0(SALU_CYCLE_1)
	s_and_saveexec_b32 s1, s0
	s_cbranch_execz .LBB440_113
; %bb.112:
	v_sub_f32_e32 v31, v32, v30
	s_delay_alu instid0(VALU_DEP_1) | instskip(SKIP_1) | instid1(VALU_DEP_2)
	v_mul_f32_e32 v32, 0x3fb8aa3b, v31
	v_cmp_ngt_f32_e64 s0, 0xc2ce8ed0, v31
	v_fma_f32 v33, 0x3fb8aa3b, v31, -v32
	v_rndne_f32_e32 v34, v32
	s_delay_alu instid0(VALU_DEP_1) | instskip(NEXT) | instid1(VALU_DEP_1)
	v_dual_fmamk_f32 v33, v31, 0x32a5705f, v33 :: v_dual_sub_f32 v32, v32, v34
	v_add_f32_e32 v32, v32, v33
	v_cvt_i32_f32_e32 v33, v34
	s_delay_alu instid0(VALU_DEP_2) | instskip(SKIP_2) | instid1(VALU_DEP_1)
	v_exp_f32_e32 v32, v32
	s_waitcnt_depctr 0xfff
	v_ldexp_f32 v32, v32, v33
	v_cndmask_b32_e64 v32, 0, v32, s0
	v_cmp_nlt_f32_e64 s0, 0x42b17218, v31
	s_delay_alu instid0(VALU_DEP_1) | instskip(NEXT) | instid1(VALU_DEP_1)
	v_cndmask_b32_e64 v33, 0x7f800000, v32, s0
	v_add_f32_e32 v34, 1.0, v33
	v_cmp_gt_f32_e64 s49, 0x33800000, |v33|
	s_delay_alu instid0(VALU_DEP_2) | instskip(NEXT) | instid1(VALU_DEP_1)
	v_cvt_f64_f32_e32 v[31:32], v34
	v_frexp_exp_i32_f64_e32 v31, v[31:32]
	v_frexp_mant_f32_e32 v32, v34
	s_delay_alu instid0(VALU_DEP_1) | instskip(SKIP_1) | instid1(VALU_DEP_1)
	v_cmp_gt_f32_e64 s0, 0x3f2aaaab, v32
	v_add_f32_e32 v32, -1.0, v34
	v_sub_f32_e32 v36, v32, v34
	v_sub_f32_e32 v32, v33, v32
	s_delay_alu instid0(VALU_DEP_4) | instskip(SKIP_1) | instid1(VALU_DEP_1)
	v_subrev_co_ci_u32_e64 v31, s0, 0, v31, s0
	s_mov_b32 s0, 0x3e9b6dac
	v_sub_nc_u32_e32 v35, 0, v31
	v_cvt_f32_i32_e32 v31, v31
	s_delay_alu instid0(VALU_DEP_2) | instskip(NEXT) | instid1(VALU_DEP_1)
	v_ldexp_f32 v34, v34, v35
	v_dual_add_f32 v37, 1.0, v34 :: v_dual_add_f32 v36, 1.0, v36
	s_delay_alu instid0(VALU_DEP_1) | instskip(NEXT) | instid1(VALU_DEP_2)
	v_add_f32_e32 v32, v32, v36
	v_add_f32_e32 v36, -1.0, v37
	s_delay_alu instid0(VALU_DEP_2) | instskip(NEXT) | instid1(VALU_DEP_2)
	v_ldexp_f32 v32, v32, v35
	v_dual_add_f32 v35, -1.0, v34 :: v_dual_sub_f32 v36, v34, v36
	s_delay_alu instid0(VALU_DEP_1) | instskip(NEXT) | instid1(VALU_DEP_2)
	v_add_f32_e32 v38, 1.0, v35
	v_add_f32_e32 v36, v32, v36
	s_delay_alu instid0(VALU_DEP_2) | instskip(NEXT) | instid1(VALU_DEP_2)
	v_sub_f32_e32 v34, v34, v38
	v_add_f32_e32 v38, v37, v36
	s_delay_alu instid0(VALU_DEP_2) | instskip(NEXT) | instid1(VALU_DEP_2)
	v_add_f32_e32 v32, v32, v34
	v_rcp_f32_e32 v34, v38
	v_sub_f32_e32 v37, v37, v38
	s_delay_alu instid0(VALU_DEP_1) | instskip(NEXT) | instid1(VALU_DEP_1)
	v_dual_add_f32 v39, v35, v32 :: v_dual_add_f32 v36, v36, v37
	v_sub_f32_e32 v35, v35, v39
	s_waitcnt_depctr 0xfff
	v_mul_f32_e32 v40, v39, v34
	s_delay_alu instid0(VALU_DEP_1) | instskip(NEXT) | instid1(VALU_DEP_1)
	v_dual_add_f32 v32, v32, v35 :: v_dual_mul_f32 v41, v38, v40
	v_fma_f32 v37, v40, v38, -v41
	s_delay_alu instid0(VALU_DEP_1) | instskip(NEXT) | instid1(VALU_DEP_1)
	v_fmac_f32_e32 v37, v40, v36
	v_add_f32_e32 v42, v41, v37
	s_delay_alu instid0(VALU_DEP_1) | instskip(SKIP_1) | instid1(VALU_DEP_2)
	v_sub_f32_e32 v43, v39, v42
	v_sub_f32_e32 v35, v42, v41
	;; [unrolled: 1-line block ×3, first 2 shown]
	s_delay_alu instid0(VALU_DEP_2) | instskip(NEXT) | instid1(VALU_DEP_2)
	v_sub_f32_e32 v35, v35, v37
	v_sub_f32_e32 v39, v39, v42
	s_delay_alu instid0(VALU_DEP_1) | instskip(NEXT) | instid1(VALU_DEP_1)
	v_add_f32_e32 v32, v32, v39
	v_add_f32_e32 v32, v35, v32
	s_delay_alu instid0(VALU_DEP_1) | instskip(NEXT) | instid1(VALU_DEP_1)
	v_add_f32_e32 v35, v43, v32
	v_mul_f32_e32 v37, v34, v35
	s_delay_alu instid0(VALU_DEP_1) | instskip(NEXT) | instid1(VALU_DEP_1)
	v_dual_sub_f32 v42, v43, v35 :: v_dual_mul_f32 v39, v38, v37
	v_add_f32_e32 v32, v32, v42
	s_delay_alu instid0(VALU_DEP_2) | instskip(NEXT) | instid1(VALU_DEP_1)
	v_fma_f32 v38, v37, v38, -v39
	v_fmac_f32_e32 v38, v37, v36
	s_delay_alu instid0(VALU_DEP_1) | instskip(NEXT) | instid1(VALU_DEP_1)
	v_add_f32_e32 v36, v39, v38
	v_sub_f32_e32 v41, v35, v36
	v_sub_f32_e32 v39, v36, v39
	s_delay_alu instid0(VALU_DEP_2) | instskip(NEXT) | instid1(VALU_DEP_1)
	v_sub_f32_e32 v35, v35, v41
	v_sub_f32_e32 v35, v35, v36
	s_delay_alu instid0(VALU_DEP_3) | instskip(NEXT) | instid1(VALU_DEP_2)
	v_sub_f32_e32 v36, v39, v38
	v_add_f32_e32 v32, v32, v35
	v_add_f32_e32 v35, v40, v37
	s_delay_alu instid0(VALU_DEP_2) | instskip(NEXT) | instid1(VALU_DEP_2)
	v_add_f32_e32 v32, v36, v32
	v_sub_f32_e32 v36, v35, v40
	s_delay_alu instid0(VALU_DEP_2) | instskip(NEXT) | instid1(VALU_DEP_2)
	v_add_f32_e32 v32, v41, v32
	v_sub_f32_e32 v36, v37, v36
	s_delay_alu instid0(VALU_DEP_2) | instskip(NEXT) | instid1(VALU_DEP_1)
	v_mul_f32_e32 v32, v34, v32
	v_add_f32_e32 v32, v36, v32
	s_delay_alu instid0(VALU_DEP_1) | instskip(NEXT) | instid1(VALU_DEP_1)
	v_add_f32_e32 v34, v35, v32
	v_mul_f32_e32 v36, v34, v34
	s_delay_alu instid0(VALU_DEP_1) | instskip(SKIP_2) | instid1(VALU_DEP_3)
	v_fmaak_f32 v37, s0, v36, 0x3ecc95a3
	v_mul_f32_e32 v38, v34, v36
	v_cmp_eq_f32_e64 s0, 0x7f800000, v33
	v_fmaak_f32 v36, v36, v37, 0x3f2aaada
	v_ldexp_f32 v37, v34, 1
	v_sub_f32_e32 v34, v34, v35
	s_delay_alu instid0(VALU_DEP_4) | instskip(NEXT) | instid1(VALU_DEP_3)
	s_or_b32 s0, s0, s49
	v_mul_f32_e32 v36, v38, v36
	v_mul_f32_e32 v38, 0x3f317218, v31
	s_delay_alu instid0(VALU_DEP_2) | instskip(NEXT) | instid1(VALU_DEP_1)
	v_dual_sub_f32 v32, v32, v34 :: v_dual_add_f32 v35, v37, v36
	v_ldexp_f32 v32, v32, 1
	s_delay_alu instid0(VALU_DEP_2) | instskip(NEXT) | instid1(VALU_DEP_4)
	v_sub_f32_e32 v34, v35, v37
	v_fma_f32 v37, 0x3f317218, v31, -v38
	s_delay_alu instid0(VALU_DEP_1) | instskip(NEXT) | instid1(VALU_DEP_1)
	v_dual_sub_f32 v34, v36, v34 :: v_dual_fmamk_f32 v31, v31, 0xb102e308, v37
	v_add_f32_e32 v32, v32, v34
	s_delay_alu instid0(VALU_DEP_2) | instskip(NEXT) | instid1(VALU_DEP_2)
	v_add_f32_e32 v34, v38, v31
	v_add_f32_e32 v36, v35, v32
	s_delay_alu instid0(VALU_DEP_2) | instskip(NEXT) | instid1(VALU_DEP_2)
	v_sub_f32_e32 v38, v34, v38
	v_add_f32_e32 v37, v34, v36
	v_sub_f32_e32 v35, v36, v35
	s_delay_alu instid0(VALU_DEP_3) | instskip(NEXT) | instid1(VALU_DEP_2)
	v_sub_f32_e32 v31, v31, v38
	v_dual_sub_f32 v39, v37, v34 :: v_dual_sub_f32 v32, v32, v35
	s_delay_alu instid0(VALU_DEP_1) | instskip(NEXT) | instid1(VALU_DEP_2)
	v_sub_f32_e32 v40, v37, v39
	v_dual_sub_f32 v35, v36, v39 :: v_dual_add_f32 v36, v31, v32
	s_delay_alu instid0(VALU_DEP_2) | instskip(NEXT) | instid1(VALU_DEP_1)
	v_sub_f32_e32 v34, v34, v40
	v_dual_add_f32 v34, v35, v34 :: v_dual_sub_f32 v35, v36, v31
	s_delay_alu instid0(VALU_DEP_1) | instskip(NEXT) | instid1(VALU_DEP_2)
	v_add_f32_e32 v34, v36, v34
	v_sub_f32_e32 v36, v36, v35
	v_sub_f32_e32 v32, v32, v35
	s_delay_alu instid0(VALU_DEP_2) | instskip(NEXT) | instid1(VALU_DEP_1)
	v_dual_add_f32 v38, v37, v34 :: v_dual_sub_f32 v31, v31, v36
	v_sub_f32_e32 v35, v38, v37
	s_delay_alu instid0(VALU_DEP_2) | instskip(NEXT) | instid1(VALU_DEP_2)
	v_add_f32_e32 v31, v32, v31
	v_sub_f32_e32 v32, v34, v35
	s_delay_alu instid0(VALU_DEP_1) | instskip(NEXT) | instid1(VALU_DEP_1)
	v_add_f32_e32 v31, v31, v32
	v_add_f32_e32 v31, v38, v31
	s_delay_alu instid0(VALU_DEP_1) | instskip(NEXT) | instid1(VALU_DEP_1)
	v_cndmask_b32_e64 v31, v31, v33, s0
	v_add_f32_e32 v30, v30, v31
	s_delay_alu instid0(VALU_DEP_1)
	v_cvt_f16_f32_e32 v31, v30
.LBB440_113:
	s_or_b32 exec_lo, exec_lo, s1
	v_cmp_eq_u32_e64 s0, 0, v0
	; wave barrier
	s_delay_alu instid0(VALU_DEP_1)
	v_cndmask_b32_e64 v31, v31, v29, s0
	ds_store_b16 v28, v31
	; wave barrier
	ds_load_u16 v30, v28 offset:2
	v_cvt_f32_f16_e32 v32, v31
	v_cmp_u_f16_e64 s0, v31, v31
	s_waitcnt lgkmcnt(0)
	v_cvt_f32_f16_e32 v33, v30
	s_delay_alu instid0(VALU_DEP_1) | instskip(SKIP_1) | instid1(VALU_DEP_2)
	v_min_f32_e32 v34, v32, v33
	v_max_f32_e32 v35, v32, v33
	v_cndmask_b32_e64 v34, v34, v32, s0
	s_delay_alu instid0(VALU_DEP_2) | instskip(SKIP_1) | instid1(VALU_DEP_1)
	v_cndmask_b32_e64 v35, v35, v32, s0
	v_cmp_u_f16_e64 s0, v30, v30
	v_cndmask_b32_e64 v32, v34, v33, s0
	s_delay_alu instid0(VALU_DEP_3) | instskip(NEXT) | instid1(VALU_DEP_2)
	v_cndmask_b32_e64 v30, v35, v33, s0
	v_cmp_class_f32_e64 s1, v32, 0x1f8
	s_delay_alu instid0(VALU_DEP_2) | instskip(NEXT) | instid1(VALU_DEP_1)
	v_cmp_neq_f32_e64 s0, v32, v30
	s_or_b32 s0, s0, s1
	s_delay_alu instid0(SALU_CYCLE_1)
	s_and_saveexec_b32 s1, s0
	s_cbranch_execz .LBB440_115
; %bb.114:
	v_sub_f32_e32 v31, v32, v30
	s_delay_alu instid0(VALU_DEP_1) | instskip(SKIP_1) | instid1(VALU_DEP_2)
	v_mul_f32_e32 v32, 0x3fb8aa3b, v31
	v_cmp_ngt_f32_e64 s0, 0xc2ce8ed0, v31
	v_fma_f32 v33, 0x3fb8aa3b, v31, -v32
	v_rndne_f32_e32 v34, v32
	s_delay_alu instid0(VALU_DEP_1) | instskip(NEXT) | instid1(VALU_DEP_1)
	v_dual_fmamk_f32 v33, v31, 0x32a5705f, v33 :: v_dual_sub_f32 v32, v32, v34
	v_add_f32_e32 v32, v32, v33
	v_cvt_i32_f32_e32 v33, v34
	s_delay_alu instid0(VALU_DEP_2) | instskip(SKIP_2) | instid1(VALU_DEP_1)
	v_exp_f32_e32 v32, v32
	s_waitcnt_depctr 0xfff
	v_ldexp_f32 v32, v32, v33
	v_cndmask_b32_e64 v32, 0, v32, s0
	v_cmp_nlt_f32_e64 s0, 0x42b17218, v31
	s_delay_alu instid0(VALU_DEP_1) | instskip(NEXT) | instid1(VALU_DEP_1)
	v_cndmask_b32_e64 v33, 0x7f800000, v32, s0
	v_add_f32_e32 v34, 1.0, v33
	v_cmp_gt_f32_e64 s49, 0x33800000, |v33|
	s_delay_alu instid0(VALU_DEP_2) | instskip(NEXT) | instid1(VALU_DEP_1)
	v_cvt_f64_f32_e32 v[31:32], v34
	v_frexp_exp_i32_f64_e32 v31, v[31:32]
	v_frexp_mant_f32_e32 v32, v34
	s_delay_alu instid0(VALU_DEP_1) | instskip(SKIP_1) | instid1(VALU_DEP_1)
	v_cmp_gt_f32_e64 s0, 0x3f2aaaab, v32
	v_add_f32_e32 v32, -1.0, v34
	v_sub_f32_e32 v36, v32, v34
	v_sub_f32_e32 v32, v33, v32
	s_delay_alu instid0(VALU_DEP_4) | instskip(SKIP_1) | instid1(VALU_DEP_1)
	v_subrev_co_ci_u32_e64 v31, s0, 0, v31, s0
	s_mov_b32 s0, 0x3e9b6dac
	v_sub_nc_u32_e32 v35, 0, v31
	v_cvt_f32_i32_e32 v31, v31
	s_delay_alu instid0(VALU_DEP_2) | instskip(NEXT) | instid1(VALU_DEP_1)
	v_ldexp_f32 v34, v34, v35
	v_dual_add_f32 v37, 1.0, v34 :: v_dual_add_f32 v36, 1.0, v36
	s_delay_alu instid0(VALU_DEP_1) | instskip(NEXT) | instid1(VALU_DEP_2)
	v_add_f32_e32 v32, v32, v36
	v_add_f32_e32 v36, -1.0, v37
	s_delay_alu instid0(VALU_DEP_2) | instskip(NEXT) | instid1(VALU_DEP_2)
	v_ldexp_f32 v32, v32, v35
	v_dual_add_f32 v35, -1.0, v34 :: v_dual_sub_f32 v36, v34, v36
	s_delay_alu instid0(VALU_DEP_1) | instskip(NEXT) | instid1(VALU_DEP_2)
	v_add_f32_e32 v38, 1.0, v35
	v_add_f32_e32 v36, v32, v36
	s_delay_alu instid0(VALU_DEP_2) | instskip(NEXT) | instid1(VALU_DEP_2)
	v_sub_f32_e32 v34, v34, v38
	v_add_f32_e32 v38, v37, v36
	s_delay_alu instid0(VALU_DEP_2) | instskip(NEXT) | instid1(VALU_DEP_2)
	v_add_f32_e32 v32, v32, v34
	v_rcp_f32_e32 v34, v38
	v_sub_f32_e32 v37, v37, v38
	s_delay_alu instid0(VALU_DEP_1) | instskip(NEXT) | instid1(VALU_DEP_1)
	v_dual_add_f32 v39, v35, v32 :: v_dual_add_f32 v36, v36, v37
	v_sub_f32_e32 v35, v35, v39
	s_waitcnt_depctr 0xfff
	v_mul_f32_e32 v40, v39, v34
	s_delay_alu instid0(VALU_DEP_1) | instskip(NEXT) | instid1(VALU_DEP_1)
	v_dual_add_f32 v32, v32, v35 :: v_dual_mul_f32 v41, v38, v40
	v_fma_f32 v37, v40, v38, -v41
	s_delay_alu instid0(VALU_DEP_1) | instskip(NEXT) | instid1(VALU_DEP_1)
	v_fmac_f32_e32 v37, v40, v36
	v_add_f32_e32 v42, v41, v37
	s_delay_alu instid0(VALU_DEP_1) | instskip(SKIP_1) | instid1(VALU_DEP_2)
	v_sub_f32_e32 v43, v39, v42
	v_sub_f32_e32 v35, v42, v41
	;; [unrolled: 1-line block ×3, first 2 shown]
	s_delay_alu instid0(VALU_DEP_2) | instskip(NEXT) | instid1(VALU_DEP_2)
	v_sub_f32_e32 v35, v35, v37
	v_sub_f32_e32 v39, v39, v42
	s_delay_alu instid0(VALU_DEP_1) | instskip(NEXT) | instid1(VALU_DEP_1)
	v_add_f32_e32 v32, v32, v39
	v_add_f32_e32 v32, v35, v32
	s_delay_alu instid0(VALU_DEP_1) | instskip(NEXT) | instid1(VALU_DEP_1)
	v_add_f32_e32 v35, v43, v32
	v_mul_f32_e32 v37, v34, v35
	s_delay_alu instid0(VALU_DEP_1) | instskip(NEXT) | instid1(VALU_DEP_1)
	v_dual_sub_f32 v42, v43, v35 :: v_dual_mul_f32 v39, v38, v37
	v_add_f32_e32 v32, v32, v42
	s_delay_alu instid0(VALU_DEP_2) | instskip(NEXT) | instid1(VALU_DEP_1)
	v_fma_f32 v38, v37, v38, -v39
	v_fmac_f32_e32 v38, v37, v36
	s_delay_alu instid0(VALU_DEP_1) | instskip(NEXT) | instid1(VALU_DEP_1)
	v_add_f32_e32 v36, v39, v38
	v_sub_f32_e32 v41, v35, v36
	v_sub_f32_e32 v39, v36, v39
	s_delay_alu instid0(VALU_DEP_2) | instskip(NEXT) | instid1(VALU_DEP_1)
	v_sub_f32_e32 v35, v35, v41
	v_sub_f32_e32 v35, v35, v36
	s_delay_alu instid0(VALU_DEP_3) | instskip(NEXT) | instid1(VALU_DEP_2)
	v_sub_f32_e32 v36, v39, v38
	v_add_f32_e32 v32, v32, v35
	v_add_f32_e32 v35, v40, v37
	s_delay_alu instid0(VALU_DEP_2) | instskip(NEXT) | instid1(VALU_DEP_2)
	v_add_f32_e32 v32, v36, v32
	v_sub_f32_e32 v36, v35, v40
	s_delay_alu instid0(VALU_DEP_2) | instskip(NEXT) | instid1(VALU_DEP_2)
	v_add_f32_e32 v32, v41, v32
	v_sub_f32_e32 v36, v37, v36
	s_delay_alu instid0(VALU_DEP_2) | instskip(NEXT) | instid1(VALU_DEP_1)
	v_mul_f32_e32 v32, v34, v32
	v_add_f32_e32 v32, v36, v32
	s_delay_alu instid0(VALU_DEP_1) | instskip(NEXT) | instid1(VALU_DEP_1)
	v_add_f32_e32 v34, v35, v32
	v_mul_f32_e32 v36, v34, v34
	s_delay_alu instid0(VALU_DEP_1) | instskip(SKIP_2) | instid1(VALU_DEP_3)
	v_fmaak_f32 v37, s0, v36, 0x3ecc95a3
	v_mul_f32_e32 v38, v34, v36
	v_cmp_eq_f32_e64 s0, 0x7f800000, v33
	v_fmaak_f32 v36, v36, v37, 0x3f2aaada
	v_ldexp_f32 v37, v34, 1
	v_sub_f32_e32 v34, v34, v35
	s_delay_alu instid0(VALU_DEP_4) | instskip(NEXT) | instid1(VALU_DEP_3)
	s_or_b32 s0, s0, s49
	v_mul_f32_e32 v36, v38, v36
	v_mul_f32_e32 v38, 0x3f317218, v31
	s_delay_alu instid0(VALU_DEP_2) | instskip(NEXT) | instid1(VALU_DEP_1)
	v_dual_sub_f32 v32, v32, v34 :: v_dual_add_f32 v35, v37, v36
	v_ldexp_f32 v32, v32, 1
	s_delay_alu instid0(VALU_DEP_2) | instskip(NEXT) | instid1(VALU_DEP_4)
	v_sub_f32_e32 v34, v35, v37
	v_fma_f32 v37, 0x3f317218, v31, -v38
	s_delay_alu instid0(VALU_DEP_1) | instskip(NEXT) | instid1(VALU_DEP_1)
	v_dual_sub_f32 v34, v36, v34 :: v_dual_fmamk_f32 v31, v31, 0xb102e308, v37
	v_add_f32_e32 v32, v32, v34
	s_delay_alu instid0(VALU_DEP_2) | instskip(NEXT) | instid1(VALU_DEP_2)
	v_add_f32_e32 v34, v38, v31
	v_add_f32_e32 v36, v35, v32
	s_delay_alu instid0(VALU_DEP_2) | instskip(NEXT) | instid1(VALU_DEP_2)
	v_sub_f32_e32 v38, v34, v38
	v_add_f32_e32 v37, v34, v36
	v_sub_f32_e32 v35, v36, v35
	s_delay_alu instid0(VALU_DEP_3) | instskip(NEXT) | instid1(VALU_DEP_2)
	v_sub_f32_e32 v31, v31, v38
	v_dual_sub_f32 v39, v37, v34 :: v_dual_sub_f32 v32, v32, v35
	s_delay_alu instid0(VALU_DEP_1) | instskip(NEXT) | instid1(VALU_DEP_2)
	v_sub_f32_e32 v40, v37, v39
	v_dual_sub_f32 v35, v36, v39 :: v_dual_add_f32 v36, v31, v32
	s_delay_alu instid0(VALU_DEP_2) | instskip(NEXT) | instid1(VALU_DEP_1)
	v_sub_f32_e32 v34, v34, v40
	v_dual_add_f32 v34, v35, v34 :: v_dual_sub_f32 v35, v36, v31
	s_delay_alu instid0(VALU_DEP_1) | instskip(NEXT) | instid1(VALU_DEP_2)
	v_add_f32_e32 v34, v36, v34
	v_sub_f32_e32 v36, v36, v35
	v_sub_f32_e32 v32, v32, v35
	s_delay_alu instid0(VALU_DEP_2) | instskip(NEXT) | instid1(VALU_DEP_1)
	v_dual_add_f32 v38, v37, v34 :: v_dual_sub_f32 v31, v31, v36
	v_sub_f32_e32 v35, v38, v37
	s_delay_alu instid0(VALU_DEP_2) | instskip(NEXT) | instid1(VALU_DEP_2)
	v_add_f32_e32 v31, v32, v31
	v_sub_f32_e32 v32, v34, v35
	s_delay_alu instid0(VALU_DEP_1) | instskip(NEXT) | instid1(VALU_DEP_1)
	v_add_f32_e32 v31, v31, v32
	v_add_f32_e32 v31, v38, v31
	s_delay_alu instid0(VALU_DEP_1) | instskip(NEXT) | instid1(VALU_DEP_1)
	v_cndmask_b32_e64 v31, v31, v33, s0
	v_add_f32_e32 v30, v30, v31
	s_delay_alu instid0(VALU_DEP_1)
	v_cvt_f16_f32_e32 v31, v30
.LBB440_115:
	s_or_b32 exec_lo, exec_lo, s1
	ds_store_b16 v28, v31 offset:2
.LBB440_116:
	s_or_b32 exec_lo, exec_lo, s48
	v_mul_u32_u24_e32 v28, 42, v0
	v_cmp_ne_u32_e64 s0, 0, v0
	s_waitcnt lgkmcnt(0)
	s_barrier
	buffer_gl0_inv
	s_and_saveexec_b32 s1, s0
	s_cbranch_execz .LBB440_118
; %bb.117:
	v_add_nc_u32_e32 v29, -1, v0
	s_delay_alu instid0(VALU_DEP_1) | instskip(NEXT) | instid1(VALU_DEP_1)
	v_lshrrev_b32_e32 v30, 5, v29
	v_add_lshl_u32 v29, v30, v29, 1
	ds_load_u16 v29, v29
.LBB440_118:
	s_or_b32 exec_lo, exec_lo, s1
	v_mov_b32_e32 v30, v2
	s_and_saveexec_b32 s1, s0
	s_cbranch_execz .LBB440_122
; %bb.119:
	s_waitcnt lgkmcnt(0)
	v_cvt_f32_f16_e32 v31, v29
	v_max_f32_e32 v2, v13, v13
	v_cmp_u_f16_e64 s0, v29, v29
	s_delay_alu instid0(VALU_DEP_2) | instskip(SKIP_1) | instid1(VALU_DEP_2)
	v_min_f32_e32 v26, v31, v2
	v_max_f32_e32 v2, v31, v2
	v_cndmask_b32_e64 v26, v26, v31, s0
	s_delay_alu instid0(VALU_DEP_2) | instskip(NEXT) | instid1(VALU_DEP_2)
	v_cndmask_b32_e64 v2, v2, v31, s0
	v_cndmask_b32_e64 v26, v26, v13, s45
	s_delay_alu instid0(VALU_DEP_2) | instskip(NEXT) | instid1(VALU_DEP_2)
	v_cndmask_b32_e64 v2, v2, v13, s45
	v_cmp_class_f32_e64 s45, v26, 0x1f8
	s_delay_alu instid0(VALU_DEP_2) | instskip(NEXT) | instid1(VALU_DEP_1)
	v_cmp_neq_f32_e64 s0, v26, v2
	s_or_b32 s0, s0, s45
	s_delay_alu instid0(SALU_CYCLE_1)
	s_and_saveexec_b32 s45, s0
	s_cbranch_execz .LBB440_121
; %bb.120:
	v_sub_f32_e32 v13, v26, v2
	s_delay_alu instid0(VALU_DEP_1) | instskip(SKIP_1) | instid1(VALU_DEP_2)
	v_mul_f32_e32 v26, 0x3fb8aa3b, v13
	v_cmp_ngt_f32_e64 s0, 0xc2ce8ed0, v13
	v_fma_f32 v27, 0x3fb8aa3b, v13, -v26
	v_rndne_f32_e32 v29, v26
	s_delay_alu instid0(VALU_DEP_1) | instskip(NEXT) | instid1(VALU_DEP_1)
	v_dual_fmamk_f32 v27, v13, 0x32a5705f, v27 :: v_dual_sub_f32 v26, v26, v29
	v_add_f32_e32 v26, v26, v27
	v_cvt_i32_f32_e32 v27, v29
	s_delay_alu instid0(VALU_DEP_2) | instskip(SKIP_2) | instid1(VALU_DEP_1)
	v_exp_f32_e32 v26, v26
	s_waitcnt_depctr 0xfff
	v_ldexp_f32 v26, v26, v27
	v_cndmask_b32_e64 v26, 0, v26, s0
	v_cmp_nlt_f32_e64 s0, 0x42b17218, v13
	s_delay_alu instid0(VALU_DEP_1) | instskip(NEXT) | instid1(VALU_DEP_1)
	v_cndmask_b32_e64 v13, 0x7f800000, v26, s0
	v_add_f32_e32 v29, 1.0, v13
	v_cmp_gt_f32_e64 s48, 0x33800000, |v13|
	s_delay_alu instid0(VALU_DEP_2) | instskip(NEXT) | instid1(VALU_DEP_1)
	v_cvt_f64_f32_e32 v[26:27], v29
	v_frexp_exp_i32_f64_e32 v26, v[26:27]
	v_frexp_mant_f32_e32 v27, v29
	s_delay_alu instid0(VALU_DEP_1) | instskip(SKIP_1) | instid1(VALU_DEP_1)
	v_cmp_gt_f32_e64 s0, 0x3f2aaaab, v27
	v_add_f32_e32 v27, -1.0, v29
	v_sub_f32_e32 v31, v27, v29
	v_sub_f32_e32 v27, v13, v27
	s_delay_alu instid0(VALU_DEP_4) | instskip(SKIP_1) | instid1(VALU_DEP_1)
	v_subrev_co_ci_u32_e64 v26, s0, 0, v26, s0
	s_mov_b32 s0, 0x3e9b6dac
	v_sub_nc_u32_e32 v30, 0, v26
	v_cvt_f32_i32_e32 v26, v26
	s_delay_alu instid0(VALU_DEP_2) | instskip(NEXT) | instid1(VALU_DEP_1)
	v_ldexp_f32 v29, v29, v30
	v_dual_add_f32 v31, 1.0, v31 :: v_dual_add_f32 v32, 1.0, v29
	s_delay_alu instid0(VALU_DEP_1) | instskip(NEXT) | instid1(VALU_DEP_2)
	v_add_f32_e32 v27, v27, v31
	v_add_f32_e32 v31, -1.0, v32
	s_delay_alu instid0(VALU_DEP_2) | instskip(NEXT) | instid1(VALU_DEP_2)
	v_ldexp_f32 v27, v27, v30
	v_dual_add_f32 v30, -1.0, v29 :: v_dual_sub_f32 v31, v29, v31
	s_delay_alu instid0(VALU_DEP_1) | instskip(NEXT) | instid1(VALU_DEP_2)
	v_add_f32_e32 v33, 1.0, v30
	v_add_f32_e32 v31, v27, v31
	s_delay_alu instid0(VALU_DEP_2) | instskip(NEXT) | instid1(VALU_DEP_2)
	v_sub_f32_e32 v29, v29, v33
	v_add_f32_e32 v33, v32, v31
	s_delay_alu instid0(VALU_DEP_2) | instskip(NEXT) | instid1(VALU_DEP_2)
	v_add_f32_e32 v27, v27, v29
	v_rcp_f32_e32 v29, v33
	v_sub_f32_e32 v32, v32, v33
	s_delay_alu instid0(VALU_DEP_1) | instskip(NEXT) | instid1(VALU_DEP_1)
	v_dual_add_f32 v34, v30, v27 :: v_dual_add_f32 v31, v31, v32
	v_sub_f32_e32 v30, v30, v34
	s_waitcnt_depctr 0xfff
	v_mul_f32_e32 v35, v34, v29
	s_delay_alu instid0(VALU_DEP_1) | instskip(NEXT) | instid1(VALU_DEP_1)
	v_dual_add_f32 v27, v27, v30 :: v_dual_mul_f32 v36, v33, v35
	v_fma_f32 v32, v35, v33, -v36
	s_delay_alu instid0(VALU_DEP_1) | instskip(NEXT) | instid1(VALU_DEP_1)
	v_fmac_f32_e32 v32, v35, v31
	v_add_f32_e32 v37, v36, v32
	s_delay_alu instid0(VALU_DEP_1) | instskip(SKIP_1) | instid1(VALU_DEP_2)
	v_sub_f32_e32 v38, v34, v37
	v_sub_f32_e32 v30, v37, v36
	;; [unrolled: 1-line block ×3, first 2 shown]
	s_delay_alu instid0(VALU_DEP_2) | instskip(NEXT) | instid1(VALU_DEP_2)
	v_sub_f32_e32 v30, v30, v32
	v_sub_f32_e32 v34, v34, v37
	s_delay_alu instid0(VALU_DEP_1) | instskip(NEXT) | instid1(VALU_DEP_1)
	v_add_f32_e32 v27, v27, v34
	v_add_f32_e32 v27, v30, v27
	s_delay_alu instid0(VALU_DEP_1) | instskip(NEXT) | instid1(VALU_DEP_1)
	v_add_f32_e32 v30, v38, v27
	v_mul_f32_e32 v32, v29, v30
	s_delay_alu instid0(VALU_DEP_1) | instskip(NEXT) | instid1(VALU_DEP_1)
	v_dual_sub_f32 v37, v38, v30 :: v_dual_mul_f32 v34, v33, v32
	v_fma_f32 v33, v32, v33, -v34
	s_delay_alu instid0(VALU_DEP_1) | instskip(NEXT) | instid1(VALU_DEP_1)
	v_fmac_f32_e32 v33, v32, v31
	v_add_f32_e32 v31, v34, v33
	s_delay_alu instid0(VALU_DEP_1) | instskip(SKIP_1) | instid1(VALU_DEP_2)
	v_sub_f32_e32 v36, v30, v31
	v_sub_f32_e32 v34, v31, v34
	v_dual_sub_f32 v30, v30, v36 :: v_dual_add_f32 v27, v27, v37
	s_delay_alu instid0(VALU_DEP_1) | instskip(NEXT) | instid1(VALU_DEP_1)
	v_sub_f32_e32 v30, v30, v31
	v_add_f32_e32 v27, v27, v30
	s_delay_alu instid0(VALU_DEP_4) | instskip(NEXT) | instid1(VALU_DEP_1)
	v_dual_add_f32 v30, v35, v32 :: v_dual_sub_f32 v31, v34, v33
	v_add_f32_e32 v27, v31, v27
	s_delay_alu instid0(VALU_DEP_2) | instskip(NEXT) | instid1(VALU_DEP_2)
	v_sub_f32_e32 v31, v30, v35
	v_add_f32_e32 v27, v36, v27
	s_delay_alu instid0(VALU_DEP_2) | instskip(NEXT) | instid1(VALU_DEP_2)
	v_sub_f32_e32 v31, v32, v31
	v_mul_f32_e32 v27, v29, v27
	s_delay_alu instid0(VALU_DEP_1) | instskip(NEXT) | instid1(VALU_DEP_1)
	v_add_f32_e32 v27, v31, v27
	v_add_f32_e32 v29, v30, v27
	s_delay_alu instid0(VALU_DEP_1) | instskip(NEXT) | instid1(VALU_DEP_1)
	v_mul_f32_e32 v31, v29, v29
	v_fmaak_f32 v32, s0, v31, 0x3ecc95a3
	v_mul_f32_e32 v33, v29, v31
	v_cmp_eq_f32_e64 s0, 0x7f800000, v13
	s_delay_alu instid0(VALU_DEP_3) | instskip(SKIP_2) | instid1(VALU_DEP_4)
	v_fmaak_f32 v31, v31, v32, 0x3f2aaada
	v_ldexp_f32 v32, v29, 1
	v_sub_f32_e32 v29, v29, v30
	s_or_b32 s0, s0, s48
	s_delay_alu instid0(VALU_DEP_3) | instskip(NEXT) | instid1(VALU_DEP_1)
	v_mul_f32_e32 v31, v33, v31
	v_dual_sub_f32 v27, v27, v29 :: v_dual_add_f32 v30, v32, v31
	s_delay_alu instid0(VALU_DEP_1) | instskip(NEXT) | instid1(VALU_DEP_2)
	v_ldexp_f32 v27, v27, 1
	v_sub_f32_e32 v29, v30, v32
	s_delay_alu instid0(VALU_DEP_1) | instskip(NEXT) | instid1(VALU_DEP_1)
	v_sub_f32_e32 v29, v31, v29
	v_add_f32_e32 v27, v27, v29
	s_delay_alu instid0(VALU_DEP_1) | instskip(SKIP_1) | instid1(VALU_DEP_2)
	v_add_f32_e32 v31, v30, v27
	v_mul_f32_e32 v33, 0x3f317218, v26
	v_sub_f32_e32 v30, v31, v30
	s_delay_alu instid0(VALU_DEP_2) | instskip(NEXT) | instid1(VALU_DEP_1)
	v_fma_f32 v32, 0x3f317218, v26, -v33
	v_dual_sub_f32 v27, v27, v30 :: v_dual_fmamk_f32 v26, v26, 0xb102e308, v32
	s_delay_alu instid0(VALU_DEP_1) | instskip(NEXT) | instid1(VALU_DEP_1)
	v_add_f32_e32 v29, v33, v26
	v_add_f32_e32 v32, v29, v31
	v_sub_f32_e32 v33, v29, v33
	s_delay_alu instid0(VALU_DEP_2) | instskip(NEXT) | instid1(VALU_DEP_1)
	v_sub_f32_e32 v34, v32, v29
	v_dual_sub_f32 v26, v26, v33 :: v_dual_sub_f32 v35, v32, v34
	s_delay_alu instid0(VALU_DEP_1) | instskip(NEXT) | instid1(VALU_DEP_2)
	v_dual_sub_f32 v30, v31, v34 :: v_dual_add_f32 v31, v26, v27
	v_sub_f32_e32 v29, v29, v35
	s_delay_alu instid0(VALU_DEP_1) | instskip(NEXT) | instid1(VALU_DEP_1)
	v_dual_add_f32 v29, v30, v29 :: v_dual_sub_f32 v30, v31, v26
	v_add_f32_e32 v29, v31, v29
	s_delay_alu instid0(VALU_DEP_2) | instskip(SKIP_1) | instid1(VALU_DEP_2)
	v_sub_f32_e32 v31, v31, v30
	v_sub_f32_e32 v27, v27, v30
	v_dual_add_f32 v33, v32, v29 :: v_dual_sub_f32 v26, v26, v31
	s_delay_alu instid0(VALU_DEP_1) | instskip(NEXT) | instid1(VALU_DEP_2)
	v_sub_f32_e32 v30, v33, v32
	v_add_f32_e32 v26, v27, v26
	s_delay_alu instid0(VALU_DEP_2) | instskip(NEXT) | instid1(VALU_DEP_1)
	v_sub_f32_e32 v27, v29, v30
	v_add_f32_e32 v26, v26, v27
	s_delay_alu instid0(VALU_DEP_1) | instskip(NEXT) | instid1(VALU_DEP_1)
	v_add_f32_e32 v26, v33, v26
	v_cndmask_b32_e64 v13, v26, v13, s0
	s_delay_alu instid0(VALU_DEP_1) | instskip(NEXT) | instid1(VALU_DEP_1)
	v_add_f32_e32 v2, v2, v13
	v_cvt_f16_f32_e32 v29, v2
	s_delay_alu instid0(VALU_DEP_1)
	v_cvt_f32_f16_e32 v31, v29
.LBB440_121:
	s_or_b32 exec_lo, exec_lo, s45
	v_dual_max_f32 v13, v14, v14 :: v_dual_mov_b32 v2, v29
	s_delay_alu instid0(VALU_DEP_2) | instskip(SKIP_1) | instid1(VALU_DEP_1)
	v_dual_max_f32 v27, v31, v31 :: v_dual_mov_b32 v30, v29
	;;#ASMSTART
	;;#ASMEND
	v_min_f32_e32 v26, v27, v13
	v_max_f32_e32 v27, v27, v13
	v_mov_b32_e32 v13, v31
.LBB440_122:
	s_or_b32 exec_lo, exec_lo, s1
	s_delay_alu instid0(VALU_DEP_1) | instskip(NEXT) | instid1(VALU_DEP_1)
	v_cmp_u_f16_e64 s0, v30, v30
	v_cndmask_b32_e64 v26, v26, v13, s0
	s_waitcnt lgkmcnt(0)
	v_cndmask_b32_e64 v29, v27, v13, s0
	s_delay_alu instid0(VALU_DEP_2) | instskip(NEXT) | instid1(VALU_DEP_2)
	v_cndmask_b32_e64 v27, v26, v14, s23
	v_cndmask_b32_e64 v26, v29, v14, s23
	v_mov_b32_e32 v14, v2
	s_delay_alu instid0(VALU_DEP_3) | instskip(NEXT) | instid1(VALU_DEP_3)
	v_cmp_class_f32_e64 s1, v27, 0x1f8
	v_cmp_neq_f32_e64 s0, v27, v26
	s_delay_alu instid0(VALU_DEP_1) | instskip(NEXT) | instid1(SALU_CYCLE_1)
	s_or_b32 s0, s0, s1
	s_and_saveexec_b32 s1, s0
	s_cbranch_execz .LBB440_124
; %bb.123:
	v_sub_f32_e32 v13, v27, v26
	s_delay_alu instid0(VALU_DEP_1) | instskip(NEXT) | instid1(VALU_DEP_1)
	v_mul_f32_e32 v14, 0x3fb8aa3b, v13
	v_fma_f32 v27, 0x3fb8aa3b, v13, -v14
	v_rndne_f32_e32 v29, v14
	s_delay_alu instid0(VALU_DEP_1) | instskip(SKIP_1) | instid1(VALU_DEP_2)
	v_dual_sub_f32 v14, v14, v29 :: v_dual_fmamk_f32 v27, v13, 0x32a5705f, v27
	v_cmp_ngt_f32_e64 s0, 0xc2ce8ed0, v13
	v_add_f32_e32 v14, v14, v27
	v_cvt_i32_f32_e32 v27, v29
	s_delay_alu instid0(VALU_DEP_2) | instskip(SKIP_2) | instid1(VALU_DEP_1)
	v_exp_f32_e32 v14, v14
	s_waitcnt_depctr 0xfff
	v_ldexp_f32 v14, v14, v27
	v_cndmask_b32_e64 v14, 0, v14, s0
	v_cmp_nlt_f32_e64 s0, 0x42b17218, v13
	s_delay_alu instid0(VALU_DEP_1) | instskip(NEXT) | instid1(VALU_DEP_1)
	v_cndmask_b32_e64 v27, 0x7f800000, v14, s0
	v_add_f32_e32 v29, 1.0, v27
	v_cmp_gt_f32_e64 s23, 0x33800000, |v27|
	s_delay_alu instid0(VALU_DEP_2) | instskip(NEXT) | instid1(VALU_DEP_1)
	v_cvt_f64_f32_e32 v[13:14], v29
	v_frexp_exp_i32_f64_e32 v13, v[13:14]
	v_frexp_mant_f32_e32 v14, v29
	s_delay_alu instid0(VALU_DEP_1) | instskip(SKIP_1) | instid1(VALU_DEP_1)
	v_cmp_gt_f32_e64 s0, 0x3f2aaaab, v14
	v_add_f32_e32 v14, -1.0, v29
	v_dual_sub_f32 v31, v14, v29 :: v_dual_sub_f32 v14, v27, v14
	s_delay_alu instid0(VALU_DEP_3) | instskip(SKIP_1) | instid1(VALU_DEP_1)
	v_subrev_co_ci_u32_e64 v13, s0, 0, v13, s0
	s_mov_b32 s0, 0x3e9b6dac
	v_sub_nc_u32_e32 v30, 0, v13
	v_cvt_f32_i32_e32 v13, v13
	s_delay_alu instid0(VALU_DEP_2) | instskip(NEXT) | instid1(VALU_DEP_1)
	v_ldexp_f32 v29, v29, v30
	v_dual_add_f32 v31, 1.0, v31 :: v_dual_add_f32 v32, 1.0, v29
	s_delay_alu instid0(VALU_DEP_1) | instskip(NEXT) | instid1(VALU_DEP_1)
	v_dual_add_f32 v14, v14, v31 :: v_dual_add_f32 v31, -1.0, v32
	v_ldexp_f32 v14, v14, v30
	s_delay_alu instid0(VALU_DEP_2) | instskip(NEXT) | instid1(VALU_DEP_1)
	v_dual_add_f32 v30, -1.0, v29 :: v_dual_sub_f32 v31, v29, v31
	v_add_f32_e32 v33, 1.0, v30
	s_delay_alu instid0(VALU_DEP_2) | instskip(NEXT) | instid1(VALU_DEP_2)
	v_add_f32_e32 v31, v14, v31
	v_sub_f32_e32 v29, v29, v33
	s_delay_alu instid0(VALU_DEP_1) | instskip(NEXT) | instid1(VALU_DEP_1)
	v_dual_add_f32 v33, v32, v31 :: v_dual_add_f32 v14, v14, v29
	v_rcp_f32_e32 v29, v33
	v_sub_f32_e32 v32, v32, v33
	s_delay_alu instid0(VALU_DEP_1) | instskip(NEXT) | instid1(VALU_DEP_1)
	v_dual_add_f32 v34, v30, v14 :: v_dual_add_f32 v31, v31, v32
	v_sub_f32_e32 v30, v30, v34
	s_waitcnt_depctr 0xfff
	v_mul_f32_e32 v35, v34, v29
	v_add_f32_e32 v14, v14, v30
	s_delay_alu instid0(VALU_DEP_2) | instskip(NEXT) | instid1(VALU_DEP_1)
	v_mul_f32_e32 v36, v33, v35
	v_fma_f32 v32, v35, v33, -v36
	s_delay_alu instid0(VALU_DEP_1) | instskip(NEXT) | instid1(VALU_DEP_1)
	v_fmac_f32_e32 v32, v35, v31
	v_add_f32_e32 v37, v36, v32
	s_delay_alu instid0(VALU_DEP_1) | instskip(SKIP_1) | instid1(VALU_DEP_2)
	v_sub_f32_e32 v38, v34, v37
	v_sub_f32_e32 v30, v37, v36
	;; [unrolled: 1-line block ×3, first 2 shown]
	s_delay_alu instid0(VALU_DEP_2) | instskip(NEXT) | instid1(VALU_DEP_2)
	v_sub_f32_e32 v30, v30, v32
	v_sub_f32_e32 v34, v34, v37
	s_delay_alu instid0(VALU_DEP_1) | instskip(NEXT) | instid1(VALU_DEP_1)
	v_add_f32_e32 v14, v14, v34
	v_add_f32_e32 v14, v30, v14
	s_delay_alu instid0(VALU_DEP_1) | instskip(NEXT) | instid1(VALU_DEP_1)
	v_add_f32_e32 v30, v38, v14
	v_mul_f32_e32 v32, v29, v30
	s_delay_alu instid0(VALU_DEP_1) | instskip(NEXT) | instid1(VALU_DEP_1)
	v_mul_f32_e32 v34, v33, v32
	v_fma_f32 v33, v32, v33, -v34
	s_delay_alu instid0(VALU_DEP_1) | instskip(SKIP_1) | instid1(VALU_DEP_2)
	v_fmac_f32_e32 v33, v32, v31
	v_sub_f32_e32 v37, v38, v30
	v_add_f32_e32 v31, v34, v33
	s_delay_alu instid0(VALU_DEP_2) | instskip(NEXT) | instid1(VALU_DEP_2)
	v_add_f32_e32 v14, v14, v37
	v_sub_f32_e32 v36, v30, v31
	v_sub_f32_e32 v34, v31, v34
	s_delay_alu instid0(VALU_DEP_2) | instskip(NEXT) | instid1(VALU_DEP_1)
	v_sub_f32_e32 v30, v30, v36
	v_sub_f32_e32 v30, v30, v31
	s_delay_alu instid0(VALU_DEP_3) | instskip(NEXT) | instid1(VALU_DEP_2)
	v_sub_f32_e32 v31, v34, v33
	v_add_f32_e32 v14, v14, v30
	v_add_f32_e32 v30, v35, v32
	s_delay_alu instid0(VALU_DEP_1) | instskip(NEXT) | instid1(VALU_DEP_1)
	v_dual_add_f32 v14, v31, v14 :: v_dual_sub_f32 v31, v30, v35
	v_add_f32_e32 v14, v36, v14
	s_delay_alu instid0(VALU_DEP_1) | instskip(NEXT) | instid1(VALU_DEP_1)
	v_dual_sub_f32 v31, v32, v31 :: v_dual_mul_f32 v14, v29, v14
	v_add_f32_e32 v14, v31, v14
	s_delay_alu instid0(VALU_DEP_1) | instskip(NEXT) | instid1(VALU_DEP_1)
	v_add_f32_e32 v29, v30, v14
	v_mul_f32_e32 v31, v29, v29
	s_delay_alu instid0(VALU_DEP_1) | instskip(SKIP_2) | instid1(VALU_DEP_3)
	v_fmaak_f32 v32, s0, v31, 0x3ecc95a3
	v_mul_f32_e32 v33, v29, v31
	v_cmp_eq_f32_e64 s0, 0x7f800000, v27
	v_fmaak_f32 v31, v31, v32, 0x3f2aaada
	v_ldexp_f32 v32, v29, 1
	v_sub_f32_e32 v29, v29, v30
	s_delay_alu instid0(VALU_DEP_4) | instskip(NEXT) | instid1(VALU_DEP_3)
	s_or_b32 s0, s0, s23
	v_mul_f32_e32 v31, v33, v31
	v_mul_f32_e32 v33, 0x3f317218, v13
	s_delay_alu instid0(VALU_DEP_3) | instskip(NEXT) | instid1(VALU_DEP_3)
	v_sub_f32_e32 v14, v14, v29
	v_add_f32_e32 v30, v32, v31
	s_delay_alu instid0(VALU_DEP_2) | instskip(NEXT) | instid1(VALU_DEP_2)
	v_ldexp_f32 v14, v14, 1
	v_sub_f32_e32 v29, v30, v32
	v_fma_f32 v32, 0x3f317218, v13, -v33
	s_delay_alu instid0(VALU_DEP_2) | instskip(NEXT) | instid1(VALU_DEP_1)
	v_sub_f32_e32 v29, v31, v29
	v_dual_fmamk_f32 v13, v13, 0xb102e308, v32 :: v_dual_add_f32 v14, v14, v29
	s_delay_alu instid0(VALU_DEP_1) | instskip(NEXT) | instid1(VALU_DEP_2)
	v_add_f32_e32 v29, v33, v13
	v_add_f32_e32 v31, v30, v14
	s_delay_alu instid0(VALU_DEP_2) | instskip(NEXT) | instid1(VALU_DEP_2)
	v_sub_f32_e32 v33, v29, v33
	v_add_f32_e32 v32, v29, v31
	s_delay_alu instid0(VALU_DEP_2) | instskip(NEXT) | instid1(VALU_DEP_2)
	v_sub_f32_e32 v13, v13, v33
	v_sub_f32_e32 v34, v32, v29
	;; [unrolled: 1-line block ×3, first 2 shown]
	s_delay_alu instid0(VALU_DEP_2) | instskip(NEXT) | instid1(VALU_DEP_2)
	v_sub_f32_e32 v35, v32, v34
	v_sub_f32_e32 v14, v14, v30
	s_delay_alu instid0(VALU_DEP_2) | instskip(NEXT) | instid1(VALU_DEP_2)
	v_dual_sub_f32 v30, v31, v34 :: v_dual_sub_f32 v29, v29, v35
	v_add_f32_e32 v31, v13, v14
	s_delay_alu instid0(VALU_DEP_2) | instskip(NEXT) | instid1(VALU_DEP_2)
	v_add_f32_e32 v29, v30, v29
	v_sub_f32_e32 v30, v31, v13
	s_delay_alu instid0(VALU_DEP_2) | instskip(NEXT) | instid1(VALU_DEP_2)
	v_add_f32_e32 v29, v31, v29
	v_sub_f32_e32 v31, v31, v30
	s_delay_alu instid0(VALU_DEP_2) | instskip(NEXT) | instid1(VALU_DEP_2)
	v_dual_sub_f32 v14, v14, v30 :: v_dual_add_f32 v33, v32, v29
	v_sub_f32_e32 v13, v13, v31
	s_delay_alu instid0(VALU_DEP_1) | instskip(NEXT) | instid1(VALU_DEP_1)
	v_dual_sub_f32 v30, v33, v32 :: v_dual_add_f32 v13, v14, v13
	v_sub_f32_e32 v14, v29, v30
	s_delay_alu instid0(VALU_DEP_1) | instskip(NEXT) | instid1(VALU_DEP_1)
	v_add_f32_e32 v13, v13, v14
	v_add_f32_e32 v13, v33, v13
	s_delay_alu instid0(VALU_DEP_1) | instskip(NEXT) | instid1(VALU_DEP_1)
	v_cndmask_b32_e64 v13, v13, v27, s0
	v_add_f32_e32 v13, v26, v13
	s_delay_alu instid0(VALU_DEP_1) | instskip(NEXT) | instid1(VALU_DEP_1)
	v_cvt_f16_f32_e32 v30, v13
	v_cvt_f32_f16_e32 v13, v30
	v_mov_b32_e32 v14, v30
.LBB440_124:
	s_or_b32 exec_lo, exec_lo, s1
	s_delay_alu instid0(VALU_DEP_2) | instskip(SKIP_1) | instid1(VALU_DEP_2)
	v_dual_max_f32 v26, v15, v15 :: v_dual_max_f32 v27, v13, v13
	v_cmp_u_f16_e64 s0, v30, v30
	v_min_f32_e32 v29, v27, v26
	v_max_f32_e32 v26, v27, v26
	s_delay_alu instid0(VALU_DEP_2) | instskip(NEXT) | instid1(VALU_DEP_2)
	v_cndmask_b32_e64 v27, v29, v13, s0
	v_cndmask_b32_e64 v26, v26, v13, s0
	s_delay_alu instid0(VALU_DEP_2) | instskip(NEXT) | instid1(VALU_DEP_2)
	v_cndmask_b32_e64 v27, v27, v15, s24
	v_cndmask_b32_e64 v26, v26, v15, s24
	v_mov_b32_e32 v15, v14
	s_delay_alu instid0(VALU_DEP_3) | instskip(NEXT) | instid1(VALU_DEP_3)
	v_cmp_class_f32_e64 s1, v27, 0x1f8
	v_cmp_neq_f32_e64 s0, v27, v26
	s_delay_alu instid0(VALU_DEP_1) | instskip(NEXT) | instid1(SALU_CYCLE_1)
	s_or_b32 s0, s0, s1
	s_and_saveexec_b32 s1, s0
	s_cbranch_execz .LBB440_126
; %bb.125:
	v_sub_f32_e32 v13, v27, v26
	s_delay_alu instid0(VALU_DEP_1) | instskip(SKIP_1) | instid1(VALU_DEP_2)
	v_mul_f32_e32 v15, 0x3fb8aa3b, v13
	v_cmp_ngt_f32_e64 s0, 0xc2ce8ed0, v13
	v_fma_f32 v27, 0x3fb8aa3b, v13, -v15
	v_rndne_f32_e32 v29, v15
	s_delay_alu instid0(VALU_DEP_2) | instskip(NEXT) | instid1(VALU_DEP_2)
	v_fmamk_f32 v27, v13, 0x32a5705f, v27
	v_sub_f32_e32 v15, v15, v29
	s_delay_alu instid0(VALU_DEP_1) | instskip(SKIP_1) | instid1(VALU_DEP_2)
	v_add_f32_e32 v15, v15, v27
	v_cvt_i32_f32_e32 v27, v29
	v_exp_f32_e32 v15, v15
	s_waitcnt_depctr 0xfff
	v_ldexp_f32 v15, v15, v27
	s_delay_alu instid0(VALU_DEP_1) | instskip(SKIP_1) | instid1(VALU_DEP_1)
	v_cndmask_b32_e64 v15, 0, v15, s0
	v_cmp_nlt_f32_e64 s0, 0x42b17218, v13
	v_cndmask_b32_e64 v13, 0x7f800000, v15, s0
	s_delay_alu instid0(VALU_DEP_1) | instskip(SKIP_1) | instid1(VALU_DEP_2)
	v_add_f32_e32 v15, 1.0, v13
	v_cmp_gt_f32_e64 s23, 0x33800000, |v13|
	v_cvt_f64_f32_e32 v[29:30], v15
	s_delay_alu instid0(VALU_DEP_1) | instskip(SKIP_1) | instid1(VALU_DEP_1)
	v_frexp_exp_i32_f64_e32 v27, v[29:30]
	v_frexp_mant_f32_e32 v29, v15
	v_cmp_gt_f32_e64 s0, 0x3f2aaaab, v29
	v_add_f32_e32 v29, -1.0, v15
	s_delay_alu instid0(VALU_DEP_1) | instskip(SKIP_1) | instid1(VALU_DEP_2)
	v_sub_f32_e32 v31, v29, v15
	v_sub_f32_e32 v29, v13, v29
	v_add_f32_e32 v31, 1.0, v31
	s_delay_alu instid0(VALU_DEP_1) | instskip(SKIP_2) | instid1(VALU_DEP_1)
	v_add_f32_e32 v29, v29, v31
	v_subrev_co_ci_u32_e64 v27, s0, 0, v27, s0
	s_mov_b32 s0, 0x3e9b6dac
	v_sub_nc_u32_e32 v30, 0, v27
	v_cvt_f32_i32_e32 v27, v27
	s_delay_alu instid0(VALU_DEP_2) | instskip(SKIP_1) | instid1(VALU_DEP_2)
	v_ldexp_f32 v15, v15, v30
	v_ldexp_f32 v29, v29, v30
	v_add_f32_e32 v32, 1.0, v15
	s_delay_alu instid0(VALU_DEP_1) | instskip(NEXT) | instid1(VALU_DEP_1)
	v_dual_add_f32 v30, -1.0, v15 :: v_dual_add_f32 v31, -1.0, v32
	v_add_f32_e32 v33, 1.0, v30
	s_delay_alu instid0(VALU_DEP_2) | instskip(NEXT) | instid1(VALU_DEP_2)
	v_sub_f32_e32 v31, v15, v31
	v_sub_f32_e32 v15, v15, v33
	s_delay_alu instid0(VALU_DEP_2) | instskip(NEXT) | instid1(VALU_DEP_2)
	v_add_f32_e32 v31, v29, v31
	v_add_f32_e32 v15, v29, v15
	s_delay_alu instid0(VALU_DEP_2) | instskip(NEXT) | instid1(VALU_DEP_2)
	v_add_f32_e32 v33, v32, v31
	v_add_f32_e32 v34, v30, v15
	s_delay_alu instid0(VALU_DEP_2) | instskip(SKIP_1) | instid1(VALU_DEP_1)
	v_rcp_f32_e32 v29, v33
	v_sub_f32_e32 v32, v32, v33
	v_dual_sub_f32 v30, v30, v34 :: v_dual_add_f32 v31, v31, v32
	s_delay_alu instid0(VALU_DEP_1) | instskip(SKIP_2) | instid1(VALU_DEP_1)
	v_add_f32_e32 v15, v15, v30
	s_waitcnt_depctr 0xfff
	v_mul_f32_e32 v35, v34, v29
	v_mul_f32_e32 v36, v33, v35
	s_delay_alu instid0(VALU_DEP_1) | instskip(NEXT) | instid1(VALU_DEP_1)
	v_fma_f32 v32, v35, v33, -v36
	v_fmac_f32_e32 v32, v35, v31
	s_delay_alu instid0(VALU_DEP_1) | instskip(NEXT) | instid1(VALU_DEP_1)
	v_add_f32_e32 v37, v36, v32
	v_sub_f32_e32 v38, v34, v37
	v_sub_f32_e32 v30, v37, v36
	s_delay_alu instid0(VALU_DEP_2) | instskip(NEXT) | instid1(VALU_DEP_2)
	v_sub_f32_e32 v34, v34, v38
	v_sub_f32_e32 v30, v30, v32
	s_delay_alu instid0(VALU_DEP_2) | instskip(NEXT) | instid1(VALU_DEP_1)
	v_sub_f32_e32 v34, v34, v37
	v_add_f32_e32 v15, v15, v34
	s_delay_alu instid0(VALU_DEP_1) | instskip(NEXT) | instid1(VALU_DEP_1)
	v_add_f32_e32 v15, v30, v15
	v_add_f32_e32 v30, v38, v15
	s_delay_alu instid0(VALU_DEP_1) | instskip(NEXT) | instid1(VALU_DEP_1)
	v_mul_f32_e32 v32, v29, v30
	v_dual_sub_f32 v37, v38, v30 :: v_dual_mul_f32 v34, v33, v32
	s_delay_alu instid0(VALU_DEP_1) | instskip(NEXT) | instid1(VALU_DEP_2)
	v_add_f32_e32 v15, v15, v37
	v_fma_f32 v33, v32, v33, -v34
	s_delay_alu instid0(VALU_DEP_1) | instskip(NEXT) | instid1(VALU_DEP_1)
	v_fmac_f32_e32 v33, v32, v31
	v_add_f32_e32 v31, v34, v33
	s_delay_alu instid0(VALU_DEP_1) | instskip(SKIP_1) | instid1(VALU_DEP_2)
	v_sub_f32_e32 v36, v30, v31
	v_sub_f32_e32 v34, v31, v34
	;; [unrolled: 1-line block ×3, first 2 shown]
	s_delay_alu instid0(VALU_DEP_1) | instskip(NEXT) | instid1(VALU_DEP_3)
	v_sub_f32_e32 v30, v30, v31
	v_sub_f32_e32 v31, v34, v33
	s_delay_alu instid0(VALU_DEP_2) | instskip(SKIP_1) | instid1(VALU_DEP_2)
	v_add_f32_e32 v15, v15, v30
	v_add_f32_e32 v30, v35, v32
	v_add_f32_e32 v15, v31, v15
	s_delay_alu instid0(VALU_DEP_2) | instskip(NEXT) | instid1(VALU_DEP_2)
	v_sub_f32_e32 v31, v30, v35
	v_add_f32_e32 v15, v36, v15
	s_delay_alu instid0(VALU_DEP_2) | instskip(NEXT) | instid1(VALU_DEP_2)
	v_sub_f32_e32 v31, v32, v31
	v_mul_f32_e32 v15, v29, v15
	s_delay_alu instid0(VALU_DEP_1) | instskip(NEXT) | instid1(VALU_DEP_1)
	v_add_f32_e32 v15, v31, v15
	v_add_f32_e32 v29, v30, v15
	s_delay_alu instid0(VALU_DEP_1) | instskip(NEXT) | instid1(VALU_DEP_1)
	v_mul_f32_e32 v31, v29, v29
	v_fmaak_f32 v32, s0, v31, 0x3ecc95a3
	v_mul_f32_e32 v33, v29, v31
	v_cmp_eq_f32_e64 s0, 0x7f800000, v13
	s_delay_alu instid0(VALU_DEP_3) | instskip(SKIP_2) | instid1(VALU_DEP_4)
	v_fmaak_f32 v31, v31, v32, 0x3f2aaada
	v_ldexp_f32 v32, v29, 1
	v_sub_f32_e32 v29, v29, v30
	s_or_b32 s0, s0, s23
	s_delay_alu instid0(VALU_DEP_3) | instskip(SKIP_1) | instid1(VALU_DEP_2)
	v_mul_f32_e32 v31, v33, v31
	v_mul_f32_e32 v33, 0x3f317218, v27
	v_dual_sub_f32 v15, v15, v29 :: v_dual_add_f32 v30, v32, v31
	s_delay_alu instid0(VALU_DEP_1) | instskip(NEXT) | instid1(VALU_DEP_2)
	v_ldexp_f32 v15, v15, 1
	v_sub_f32_e32 v29, v30, v32
	s_delay_alu instid0(VALU_DEP_4) | instskip(NEXT) | instid1(VALU_DEP_2)
	v_fma_f32 v32, 0x3f317218, v27, -v33
	v_sub_f32_e32 v29, v31, v29
	s_delay_alu instid0(VALU_DEP_2) | instskip(NEXT) | instid1(VALU_DEP_2)
	v_fmamk_f32 v27, v27, 0xb102e308, v32
	v_add_f32_e32 v15, v15, v29
	s_delay_alu instid0(VALU_DEP_2) | instskip(NEXT) | instid1(VALU_DEP_2)
	v_add_f32_e32 v29, v33, v27
	v_add_f32_e32 v31, v30, v15
	s_delay_alu instid0(VALU_DEP_2) | instskip(NEXT) | instid1(VALU_DEP_2)
	v_sub_f32_e32 v33, v29, v33
	v_add_f32_e32 v32, v29, v31
	v_sub_f32_e32 v30, v31, v30
	s_delay_alu instid0(VALU_DEP_3) | instskip(NEXT) | instid1(VALU_DEP_2)
	v_sub_f32_e32 v27, v27, v33
	v_dual_sub_f32 v34, v32, v29 :: v_dual_sub_f32 v15, v15, v30
	s_delay_alu instid0(VALU_DEP_1) | instskip(SKIP_1) | instid1(VALU_DEP_3)
	v_sub_f32_e32 v35, v32, v34
	v_sub_f32_e32 v30, v31, v34
	v_add_f32_e32 v31, v27, v15
	s_delay_alu instid0(VALU_DEP_3) | instskip(NEXT) | instid1(VALU_DEP_1)
	v_sub_f32_e32 v29, v29, v35
	v_dual_add_f32 v29, v30, v29 :: v_dual_sub_f32 v30, v31, v27
	s_delay_alu instid0(VALU_DEP_1) | instskip(NEXT) | instid1(VALU_DEP_2)
	v_add_f32_e32 v29, v31, v29
	v_sub_f32_e32 v31, v31, v30
	v_sub_f32_e32 v15, v15, v30
	s_delay_alu instid0(VALU_DEP_3) | instskip(NEXT) | instid1(VALU_DEP_1)
	v_add_f32_e32 v33, v32, v29
	v_dual_sub_f32 v27, v27, v31 :: v_dual_sub_f32 v30, v33, v32
	s_delay_alu instid0(VALU_DEP_1) | instskip(NEXT) | instid1(VALU_DEP_2)
	v_add_f32_e32 v15, v15, v27
	v_sub_f32_e32 v27, v29, v30
	s_delay_alu instid0(VALU_DEP_1) | instskip(NEXT) | instid1(VALU_DEP_1)
	v_add_f32_e32 v15, v15, v27
	v_add_f32_e32 v15, v33, v15
	s_delay_alu instid0(VALU_DEP_1) | instskip(NEXT) | instid1(VALU_DEP_1)
	v_cndmask_b32_e64 v13, v15, v13, s0
	v_add_f32_e32 v13, v26, v13
	s_delay_alu instid0(VALU_DEP_1) | instskip(NEXT) | instid1(VALU_DEP_1)
	v_cvt_f16_f32_e32 v30, v13
	v_cvt_f32_f16_e32 v13, v30
	v_mov_b32_e32 v15, v30
.LBB440_126:
	s_or_b32 exec_lo, exec_lo, s1
	s_delay_alu instid0(VALU_DEP_2) | instskip(SKIP_1) | instid1(VALU_DEP_2)
	v_dual_max_f32 v26, v16, v16 :: v_dual_max_f32 v27, v13, v13
	v_cmp_u_f16_e64 s0, v30, v30
	v_min_f32_e32 v29, v27, v26
	v_max_f32_e32 v26, v27, v26
	s_delay_alu instid0(VALU_DEP_2) | instskip(NEXT) | instid1(VALU_DEP_2)
	v_cndmask_b32_e64 v27, v29, v13, s0
	v_cndmask_b32_e64 v26, v26, v13, s0
	s_delay_alu instid0(VALU_DEP_2) | instskip(NEXT) | instid1(VALU_DEP_2)
	v_cndmask_b32_e64 v27, v27, v16, s25
	v_cndmask_b32_e64 v26, v26, v16, s25
	v_mov_b32_e32 v16, v15
	s_delay_alu instid0(VALU_DEP_3) | instskip(NEXT) | instid1(VALU_DEP_3)
	v_cmp_class_f32_e64 s1, v27, 0x1f8
	v_cmp_neq_f32_e64 s0, v27, v26
	s_delay_alu instid0(VALU_DEP_1) | instskip(NEXT) | instid1(SALU_CYCLE_1)
	s_or_b32 s0, s0, s1
	s_and_saveexec_b32 s1, s0
	s_cbranch_execz .LBB440_128
; %bb.127:
	v_sub_f32_e32 v13, v27, v26
	s_delay_alu instid0(VALU_DEP_1) | instskip(NEXT) | instid1(VALU_DEP_1)
	v_mul_f32_e32 v16, 0x3fb8aa3b, v13
	v_fma_f32 v27, 0x3fb8aa3b, v13, -v16
	v_rndne_f32_e32 v29, v16
	s_delay_alu instid0(VALU_DEP_1) | instskip(SKIP_1) | instid1(VALU_DEP_2)
	v_dual_sub_f32 v16, v16, v29 :: v_dual_fmamk_f32 v27, v13, 0x32a5705f, v27
	v_cmp_ngt_f32_e64 s0, 0xc2ce8ed0, v13
	v_add_f32_e32 v16, v16, v27
	v_cvt_i32_f32_e32 v27, v29
	s_delay_alu instid0(VALU_DEP_2) | instskip(SKIP_2) | instid1(VALU_DEP_1)
	v_exp_f32_e32 v16, v16
	s_waitcnt_depctr 0xfff
	v_ldexp_f32 v16, v16, v27
	v_cndmask_b32_e64 v16, 0, v16, s0
	v_cmp_nlt_f32_e64 s0, 0x42b17218, v13
	s_delay_alu instid0(VALU_DEP_1) | instskip(NEXT) | instid1(VALU_DEP_1)
	v_cndmask_b32_e64 v13, 0x7f800000, v16, s0
	v_add_f32_e32 v16, 1.0, v13
	v_cmp_gt_f32_e64 s23, 0x33800000, |v13|
	s_delay_alu instid0(VALU_DEP_2) | instskip(NEXT) | instid1(VALU_DEP_1)
	v_cvt_f64_f32_e32 v[29:30], v16
	v_frexp_exp_i32_f64_e32 v27, v[29:30]
	v_frexp_mant_f32_e32 v29, v16
	s_delay_alu instid0(VALU_DEP_1) | instskip(SKIP_1) | instid1(VALU_DEP_1)
	v_cmp_gt_f32_e64 s0, 0x3f2aaaab, v29
	v_add_f32_e32 v29, -1.0, v16
	v_sub_f32_e32 v31, v29, v16
	v_sub_f32_e32 v29, v13, v29
	s_delay_alu instid0(VALU_DEP_2) | instskip(NEXT) | instid1(VALU_DEP_1)
	v_add_f32_e32 v31, 1.0, v31
	v_add_f32_e32 v29, v29, v31
	v_subrev_co_ci_u32_e64 v27, s0, 0, v27, s0
	s_mov_b32 s0, 0x3e9b6dac
	s_delay_alu instid0(VALU_DEP_1) | instskip(SKIP_1) | instid1(VALU_DEP_2)
	v_sub_nc_u32_e32 v30, 0, v27
	v_cvt_f32_i32_e32 v27, v27
	v_ldexp_f32 v16, v16, v30
	v_ldexp_f32 v29, v29, v30
	s_delay_alu instid0(VALU_DEP_2) | instskip(NEXT) | instid1(VALU_DEP_1)
	v_add_f32_e32 v32, 1.0, v16
	v_add_f32_e32 v31, -1.0, v32
	s_delay_alu instid0(VALU_DEP_1) | instskip(NEXT) | instid1(VALU_DEP_1)
	v_dual_add_f32 v30, -1.0, v16 :: v_dual_sub_f32 v31, v16, v31
	v_add_f32_e32 v33, 1.0, v30
	s_delay_alu instid0(VALU_DEP_1) | instskip(NEXT) | instid1(VALU_DEP_1)
	v_sub_f32_e32 v16, v16, v33
	v_add_f32_e32 v16, v29, v16
	s_delay_alu instid0(VALU_DEP_1) | instskip(NEXT) | instid1(VALU_DEP_1)
	v_dual_add_f32 v31, v29, v31 :: v_dual_add_f32 v34, v30, v16
	v_dual_add_f32 v33, v32, v31 :: v_dual_sub_f32 v30, v30, v34
	s_delay_alu instid0(VALU_DEP_1) | instskip(SKIP_1) | instid1(VALU_DEP_1)
	v_rcp_f32_e32 v29, v33
	v_sub_f32_e32 v32, v32, v33
	v_dual_add_f32 v16, v16, v30 :: v_dual_add_f32 v31, v31, v32
	s_waitcnt_depctr 0xfff
	v_mul_f32_e32 v35, v34, v29
	s_delay_alu instid0(VALU_DEP_1) | instskip(NEXT) | instid1(VALU_DEP_1)
	v_mul_f32_e32 v36, v33, v35
	v_fma_f32 v32, v35, v33, -v36
	s_delay_alu instid0(VALU_DEP_1) | instskip(NEXT) | instid1(VALU_DEP_1)
	v_fmac_f32_e32 v32, v35, v31
	v_add_f32_e32 v37, v36, v32
	s_delay_alu instid0(VALU_DEP_1) | instskip(NEXT) | instid1(VALU_DEP_1)
	v_sub_f32_e32 v38, v34, v37
	v_sub_f32_e32 v34, v34, v38
	;; [unrolled: 1-line block ×3, first 2 shown]
	s_delay_alu instid0(VALU_DEP_2) | instskip(NEXT) | instid1(VALU_DEP_2)
	v_sub_f32_e32 v34, v34, v37
	v_sub_f32_e32 v30, v30, v32
	s_delay_alu instid0(VALU_DEP_2) | instskip(NEXT) | instid1(VALU_DEP_1)
	v_add_f32_e32 v16, v16, v34
	v_add_f32_e32 v16, v30, v16
	s_delay_alu instid0(VALU_DEP_1) | instskip(NEXT) | instid1(VALU_DEP_1)
	v_add_f32_e32 v30, v38, v16
	v_mul_f32_e32 v32, v29, v30
	s_delay_alu instid0(VALU_DEP_1) | instskip(NEXT) | instid1(VALU_DEP_1)
	v_dual_sub_f32 v37, v38, v30 :: v_dual_mul_f32 v34, v33, v32
	v_add_f32_e32 v16, v16, v37
	s_delay_alu instid0(VALU_DEP_2) | instskip(NEXT) | instid1(VALU_DEP_1)
	v_fma_f32 v33, v32, v33, -v34
	v_fmac_f32_e32 v33, v32, v31
	s_delay_alu instid0(VALU_DEP_1) | instskip(NEXT) | instid1(VALU_DEP_1)
	v_add_f32_e32 v31, v34, v33
	v_sub_f32_e32 v36, v30, v31
	s_delay_alu instid0(VALU_DEP_1) | instskip(NEXT) | instid1(VALU_DEP_1)
	v_sub_f32_e32 v30, v30, v36
	v_sub_f32_e32 v30, v30, v31
	s_delay_alu instid0(VALU_DEP_1) | instskip(SKIP_2) | instid1(VALU_DEP_1)
	v_add_f32_e32 v16, v16, v30
	v_add_f32_e32 v30, v35, v32
	v_sub_f32_e32 v34, v31, v34
	v_sub_f32_e32 v31, v34, v33
	s_delay_alu instid0(VALU_DEP_1) | instskip(NEXT) | instid1(VALU_DEP_1)
	v_dual_add_f32 v16, v31, v16 :: v_dual_sub_f32 v31, v30, v35
	v_add_f32_e32 v16, v36, v16
	s_delay_alu instid0(VALU_DEP_1) | instskip(NEXT) | instid1(VALU_DEP_1)
	v_dual_sub_f32 v31, v32, v31 :: v_dual_mul_f32 v16, v29, v16
	v_add_f32_e32 v16, v31, v16
	s_delay_alu instid0(VALU_DEP_1) | instskip(NEXT) | instid1(VALU_DEP_1)
	v_add_f32_e32 v29, v30, v16
	v_mul_f32_e32 v31, v29, v29
	s_delay_alu instid0(VALU_DEP_1) | instskip(SKIP_2) | instid1(VALU_DEP_3)
	v_fmaak_f32 v32, s0, v31, 0x3ecc95a3
	v_mul_f32_e32 v33, v29, v31
	v_cmp_eq_f32_e64 s0, 0x7f800000, v13
	v_fmaak_f32 v31, v31, v32, 0x3f2aaada
	v_ldexp_f32 v32, v29, 1
	v_sub_f32_e32 v29, v29, v30
	s_delay_alu instid0(VALU_DEP_4) | instskip(NEXT) | instid1(VALU_DEP_3)
	s_or_b32 s0, s0, s23
	v_mul_f32_e32 v31, v33, v31
	s_delay_alu instid0(VALU_DEP_2) | instskip(NEXT) | instid1(VALU_DEP_2)
	v_dual_mul_f32 v33, 0x3f317218, v27 :: v_dual_sub_f32 v16, v16, v29
	v_add_f32_e32 v30, v32, v31
	s_delay_alu instid0(VALU_DEP_2) | instskip(NEXT) | instid1(VALU_DEP_2)
	v_ldexp_f32 v16, v16, 1
	v_sub_f32_e32 v29, v30, v32
	s_delay_alu instid0(VALU_DEP_4) | instskip(NEXT) | instid1(VALU_DEP_2)
	v_fma_f32 v32, 0x3f317218, v27, -v33
	v_sub_f32_e32 v29, v31, v29
	s_delay_alu instid0(VALU_DEP_1) | instskip(NEXT) | instid1(VALU_DEP_1)
	v_dual_fmamk_f32 v27, v27, 0xb102e308, v32 :: v_dual_add_f32 v16, v16, v29
	v_add_f32_e32 v29, v33, v27
	s_delay_alu instid0(VALU_DEP_1) | instskip(NEXT) | instid1(VALU_DEP_1)
	v_sub_f32_e32 v33, v29, v33
	v_sub_f32_e32 v27, v27, v33
	s_delay_alu instid0(VALU_DEP_4) | instskip(NEXT) | instid1(VALU_DEP_1)
	v_add_f32_e32 v31, v30, v16
	v_sub_f32_e32 v30, v31, v30
	s_delay_alu instid0(VALU_DEP_1) | instskip(SKIP_1) | instid1(VALU_DEP_1)
	v_sub_f32_e32 v16, v16, v30
	v_add_f32_e32 v32, v29, v31
	v_sub_f32_e32 v34, v32, v29
	s_delay_alu instid0(VALU_DEP_1) | instskip(NEXT) | instid1(VALU_DEP_4)
	v_sub_f32_e32 v30, v31, v34
	v_add_f32_e32 v31, v27, v16
	v_sub_f32_e32 v35, v32, v34
	s_delay_alu instid0(VALU_DEP_1) | instskip(NEXT) | instid1(VALU_DEP_1)
	v_sub_f32_e32 v29, v29, v35
	v_dual_add_f32 v29, v30, v29 :: v_dual_sub_f32 v30, v31, v27
	s_delay_alu instid0(VALU_DEP_1) | instskip(SKIP_1) | instid1(VALU_DEP_2)
	v_dual_add_f32 v29, v31, v29 :: v_dual_sub_f32 v16, v16, v30
	v_sub_f32_e32 v31, v31, v30
	v_add_f32_e32 v33, v32, v29
	s_delay_alu instid0(VALU_DEP_1) | instskip(NEXT) | instid1(VALU_DEP_1)
	v_dual_sub_f32 v27, v27, v31 :: v_dual_sub_f32 v30, v33, v32
	v_dual_add_f32 v16, v16, v27 :: v_dual_sub_f32 v27, v29, v30
	s_delay_alu instid0(VALU_DEP_1) | instskip(NEXT) | instid1(VALU_DEP_1)
	v_add_f32_e32 v16, v16, v27
	v_add_f32_e32 v16, v33, v16
	s_delay_alu instid0(VALU_DEP_1) | instskip(NEXT) | instid1(VALU_DEP_1)
	v_cndmask_b32_e64 v13, v16, v13, s0
	v_add_f32_e32 v13, v26, v13
	s_delay_alu instid0(VALU_DEP_1) | instskip(NEXT) | instid1(VALU_DEP_1)
	v_cvt_f16_f32_e32 v30, v13
	v_cvt_f32_f16_e32 v13, v30
	v_mov_b32_e32 v16, v30
.LBB440_128:
	s_or_b32 exec_lo, exec_lo, s1
	s_delay_alu instid0(VALU_DEP_2) | instskip(SKIP_1) | instid1(VALU_DEP_2)
	v_dual_max_f32 v26, v3, v3 :: v_dual_max_f32 v27, v13, v13
	v_cmp_u_f16_e64 s0, v30, v30
	v_min_f32_e32 v29, v27, v26
	v_max_f32_e32 v26, v27, v26
	s_delay_alu instid0(VALU_DEP_2) | instskip(NEXT) | instid1(VALU_DEP_2)
	v_cndmask_b32_e64 v27, v29, v13, s0
	v_cndmask_b32_e64 v26, v26, v13, s0
	s_delay_alu instid0(VALU_DEP_2) | instskip(NEXT) | instid1(VALU_DEP_2)
	v_cndmask_b32_e64 v27, v27, v3, s26
	v_cndmask_b32_e64 v26, v26, v3, s26
	v_mov_b32_e32 v3, v16
	s_delay_alu instid0(VALU_DEP_3) | instskip(NEXT) | instid1(VALU_DEP_3)
	v_cmp_class_f32_e64 s1, v27, 0x1f8
	v_cmp_neq_f32_e64 s0, v27, v26
	s_delay_alu instid0(VALU_DEP_1) | instskip(NEXT) | instid1(SALU_CYCLE_1)
	s_or_b32 s0, s0, s1
	s_and_saveexec_b32 s1, s0
	s_cbranch_execz .LBB440_130
; %bb.129:
	v_sub_f32_e32 v3, v27, v26
	s_delay_alu instid0(VALU_DEP_1) | instskip(SKIP_1) | instid1(VALU_DEP_2)
	v_mul_f32_e32 v13, 0x3fb8aa3b, v3
	v_cmp_ngt_f32_e64 s0, 0xc2ce8ed0, v3
	v_fma_f32 v27, 0x3fb8aa3b, v3, -v13
	v_rndne_f32_e32 v29, v13
	s_delay_alu instid0(VALU_DEP_2) | instskip(NEXT) | instid1(VALU_DEP_2)
	v_fmamk_f32 v27, v3, 0x32a5705f, v27
	v_sub_f32_e32 v13, v13, v29
	s_delay_alu instid0(VALU_DEP_1) | instskip(SKIP_1) | instid1(VALU_DEP_2)
	v_add_f32_e32 v13, v13, v27
	v_cvt_i32_f32_e32 v27, v29
	v_exp_f32_e32 v13, v13
	s_waitcnt_depctr 0xfff
	v_ldexp_f32 v13, v13, v27
	s_delay_alu instid0(VALU_DEP_1) | instskip(SKIP_1) | instid1(VALU_DEP_1)
	v_cndmask_b32_e64 v13, 0, v13, s0
	v_cmp_nlt_f32_e64 s0, 0x42b17218, v3
	v_cndmask_b32_e64 v3, 0x7f800000, v13, s0
	s_delay_alu instid0(VALU_DEP_1) | instskip(SKIP_1) | instid1(VALU_DEP_2)
	v_add_f32_e32 v13, 1.0, v3
	v_cmp_gt_f32_e64 s23, 0x33800000, |v3|
	v_cvt_f64_f32_e32 v[29:30], v13
	s_delay_alu instid0(VALU_DEP_1) | instskip(SKIP_1) | instid1(VALU_DEP_1)
	v_frexp_exp_i32_f64_e32 v27, v[29:30]
	v_frexp_mant_f32_e32 v29, v13
	v_cmp_gt_f32_e64 s0, 0x3f2aaaab, v29
	v_add_f32_e32 v29, -1.0, v13
	s_delay_alu instid0(VALU_DEP_1) | instskip(SKIP_1) | instid1(VALU_DEP_2)
	v_sub_f32_e32 v31, v29, v13
	v_sub_f32_e32 v29, v3, v29
	v_add_f32_e32 v31, 1.0, v31
	s_delay_alu instid0(VALU_DEP_1) | instskip(SKIP_2) | instid1(VALU_DEP_1)
	v_add_f32_e32 v29, v29, v31
	v_subrev_co_ci_u32_e64 v27, s0, 0, v27, s0
	s_mov_b32 s0, 0x3e9b6dac
	v_sub_nc_u32_e32 v30, 0, v27
	v_cvt_f32_i32_e32 v27, v27
	s_delay_alu instid0(VALU_DEP_2) | instskip(SKIP_1) | instid1(VALU_DEP_2)
	v_ldexp_f32 v13, v13, v30
	v_ldexp_f32 v29, v29, v30
	v_add_f32_e32 v32, 1.0, v13
	s_delay_alu instid0(VALU_DEP_1) | instskip(NEXT) | instid1(VALU_DEP_1)
	v_dual_add_f32 v30, -1.0, v13 :: v_dual_add_f32 v31, -1.0, v32
	v_add_f32_e32 v33, 1.0, v30
	s_delay_alu instid0(VALU_DEP_2) | instskip(NEXT) | instid1(VALU_DEP_2)
	v_sub_f32_e32 v31, v13, v31
	v_sub_f32_e32 v13, v13, v33
	s_delay_alu instid0(VALU_DEP_2) | instskip(NEXT) | instid1(VALU_DEP_2)
	v_add_f32_e32 v31, v29, v31
	v_add_f32_e32 v13, v29, v13
	s_delay_alu instid0(VALU_DEP_1) | instskip(NEXT) | instid1(VALU_DEP_1)
	v_dual_add_f32 v33, v32, v31 :: v_dual_add_f32 v34, v30, v13
	v_rcp_f32_e32 v29, v33
	v_sub_f32_e32 v32, v32, v33
	s_delay_alu instid0(VALU_DEP_1) | instskip(SKIP_3) | instid1(VALU_DEP_2)
	v_dual_sub_f32 v30, v30, v34 :: v_dual_add_f32 v31, v31, v32
	s_waitcnt_depctr 0xfff
	v_mul_f32_e32 v35, v34, v29
	v_add_f32_e32 v13, v13, v30
	v_mul_f32_e32 v36, v33, v35
	s_delay_alu instid0(VALU_DEP_1) | instskip(NEXT) | instid1(VALU_DEP_1)
	v_fma_f32 v32, v35, v33, -v36
	v_fmac_f32_e32 v32, v35, v31
	s_delay_alu instid0(VALU_DEP_1) | instskip(NEXT) | instid1(VALU_DEP_1)
	v_add_f32_e32 v37, v36, v32
	v_sub_f32_e32 v38, v34, v37
	v_sub_f32_e32 v30, v37, v36
	s_delay_alu instid0(VALU_DEP_2) | instskip(NEXT) | instid1(VALU_DEP_2)
	v_sub_f32_e32 v34, v34, v38
	v_sub_f32_e32 v30, v30, v32
	s_delay_alu instid0(VALU_DEP_2) | instskip(NEXT) | instid1(VALU_DEP_1)
	v_sub_f32_e32 v34, v34, v37
	v_add_f32_e32 v13, v13, v34
	s_delay_alu instid0(VALU_DEP_1) | instskip(NEXT) | instid1(VALU_DEP_1)
	v_add_f32_e32 v13, v30, v13
	v_add_f32_e32 v30, v38, v13
	s_delay_alu instid0(VALU_DEP_1) | instskip(NEXT) | instid1(VALU_DEP_1)
	v_mul_f32_e32 v32, v29, v30
	v_dual_sub_f32 v37, v38, v30 :: v_dual_mul_f32 v34, v33, v32
	s_delay_alu instid0(VALU_DEP_1) | instskip(NEXT) | instid1(VALU_DEP_2)
	v_add_f32_e32 v13, v13, v37
	v_fma_f32 v33, v32, v33, -v34
	s_delay_alu instid0(VALU_DEP_1) | instskip(NEXT) | instid1(VALU_DEP_1)
	v_fmac_f32_e32 v33, v32, v31
	v_add_f32_e32 v31, v34, v33
	s_delay_alu instid0(VALU_DEP_1) | instskip(SKIP_1) | instid1(VALU_DEP_2)
	v_sub_f32_e32 v36, v30, v31
	v_sub_f32_e32 v34, v31, v34
	;; [unrolled: 1-line block ×3, first 2 shown]
	s_delay_alu instid0(VALU_DEP_1) | instskip(NEXT) | instid1(VALU_DEP_3)
	v_sub_f32_e32 v30, v30, v31
	v_sub_f32_e32 v31, v34, v33
	s_delay_alu instid0(VALU_DEP_2) | instskip(NEXT) | instid1(VALU_DEP_1)
	v_dual_add_f32 v13, v13, v30 :: v_dual_add_f32 v30, v35, v32
	v_add_f32_e32 v13, v31, v13
	s_delay_alu instid0(VALU_DEP_2) | instskip(NEXT) | instid1(VALU_DEP_2)
	v_sub_f32_e32 v31, v30, v35
	v_add_f32_e32 v13, v36, v13
	s_delay_alu instid0(VALU_DEP_2) | instskip(NEXT) | instid1(VALU_DEP_2)
	v_sub_f32_e32 v31, v32, v31
	v_mul_f32_e32 v13, v29, v13
	s_delay_alu instid0(VALU_DEP_1) | instskip(NEXT) | instid1(VALU_DEP_1)
	v_add_f32_e32 v13, v31, v13
	v_add_f32_e32 v29, v30, v13
	s_delay_alu instid0(VALU_DEP_1) | instskip(NEXT) | instid1(VALU_DEP_1)
	v_mul_f32_e32 v31, v29, v29
	v_fmaak_f32 v32, s0, v31, 0x3ecc95a3
	v_mul_f32_e32 v33, v29, v31
	v_cmp_eq_f32_e64 s0, 0x7f800000, v3
	s_delay_alu instid0(VALU_DEP_3) | instskip(SKIP_2) | instid1(VALU_DEP_4)
	v_fmaak_f32 v31, v31, v32, 0x3f2aaada
	v_ldexp_f32 v32, v29, 1
	v_sub_f32_e32 v29, v29, v30
	s_or_b32 s0, s0, s23
	s_delay_alu instid0(VALU_DEP_3) | instskip(SKIP_1) | instid1(VALU_DEP_2)
	v_mul_f32_e32 v31, v33, v31
	v_mul_f32_e32 v33, 0x3f317218, v27
	v_dual_sub_f32 v13, v13, v29 :: v_dual_add_f32 v30, v32, v31
	s_delay_alu instid0(VALU_DEP_1) | instskip(NEXT) | instid1(VALU_DEP_2)
	v_ldexp_f32 v13, v13, 1
	v_sub_f32_e32 v29, v30, v32
	s_delay_alu instid0(VALU_DEP_4) | instskip(NEXT) | instid1(VALU_DEP_2)
	v_fma_f32 v32, 0x3f317218, v27, -v33
	v_sub_f32_e32 v29, v31, v29
	s_delay_alu instid0(VALU_DEP_2) | instskip(NEXT) | instid1(VALU_DEP_2)
	v_fmamk_f32 v27, v27, 0xb102e308, v32
	v_add_f32_e32 v13, v13, v29
	s_delay_alu instid0(VALU_DEP_2) | instskip(NEXT) | instid1(VALU_DEP_2)
	v_add_f32_e32 v29, v33, v27
	v_add_f32_e32 v31, v30, v13
	s_delay_alu instid0(VALU_DEP_2) | instskip(NEXT) | instid1(VALU_DEP_2)
	v_sub_f32_e32 v33, v29, v33
	v_add_f32_e32 v32, v29, v31
	v_sub_f32_e32 v30, v31, v30
	s_delay_alu instid0(VALU_DEP_3) | instskip(NEXT) | instid1(VALU_DEP_2)
	v_sub_f32_e32 v27, v27, v33
	v_dual_sub_f32 v34, v32, v29 :: v_dual_sub_f32 v13, v13, v30
	s_delay_alu instid0(VALU_DEP_1) | instskip(SKIP_1) | instid1(VALU_DEP_3)
	v_sub_f32_e32 v35, v32, v34
	v_sub_f32_e32 v30, v31, v34
	v_add_f32_e32 v31, v27, v13
	s_delay_alu instid0(VALU_DEP_3) | instskip(NEXT) | instid1(VALU_DEP_1)
	v_sub_f32_e32 v29, v29, v35
	v_dual_add_f32 v29, v30, v29 :: v_dual_sub_f32 v30, v31, v27
	s_delay_alu instid0(VALU_DEP_1) | instskip(NEXT) | instid1(VALU_DEP_2)
	v_add_f32_e32 v29, v31, v29
	v_sub_f32_e32 v31, v31, v30
	v_sub_f32_e32 v13, v13, v30
	s_delay_alu instid0(VALU_DEP_3) | instskip(NEXT) | instid1(VALU_DEP_1)
	v_add_f32_e32 v33, v32, v29
	v_dual_sub_f32 v27, v27, v31 :: v_dual_sub_f32 v30, v33, v32
	s_delay_alu instid0(VALU_DEP_1) | instskip(NEXT) | instid1(VALU_DEP_2)
	v_add_f32_e32 v13, v13, v27
	v_sub_f32_e32 v27, v29, v30
	s_delay_alu instid0(VALU_DEP_1) | instskip(NEXT) | instid1(VALU_DEP_1)
	v_add_f32_e32 v13, v13, v27
	v_add_f32_e32 v13, v33, v13
	s_delay_alu instid0(VALU_DEP_1) | instskip(NEXT) | instid1(VALU_DEP_1)
	v_cndmask_b32_e64 v3, v13, v3, s0
	v_add_f32_e32 v3, v26, v3
	s_delay_alu instid0(VALU_DEP_1) | instskip(NEXT) | instid1(VALU_DEP_1)
	v_cvt_f16_f32_e32 v30, v3
	v_cvt_f32_f16_e32 v13, v30
	v_mov_b32_e32 v3, v30
.LBB440_130:
	s_or_b32 exec_lo, exec_lo, s1
	v_max_f32_e32 v26, v17, v17
	s_delay_alu instid0(VALU_DEP_3) | instskip(SKIP_1) | instid1(VALU_DEP_2)
	v_max_f32_e32 v27, v13, v13
	v_cmp_u_f16_e64 s0, v30, v30
	v_min_f32_e32 v29, v27, v26
	v_max_f32_e32 v26, v27, v26
	s_delay_alu instid0(VALU_DEP_2) | instskip(NEXT) | instid1(VALU_DEP_2)
	v_cndmask_b32_e64 v27, v29, v13, s0
	v_cndmask_b32_e64 v26, v26, v13, s0
	s_delay_alu instid0(VALU_DEP_2) | instskip(NEXT) | instid1(VALU_DEP_2)
	v_cndmask_b32_e64 v27, v27, v17, s27
	v_cndmask_b32_e64 v26, v26, v17, s27
	v_mov_b32_e32 v17, v3
	s_delay_alu instid0(VALU_DEP_3) | instskip(NEXT) | instid1(VALU_DEP_3)
	v_cmp_class_f32_e64 s1, v27, 0x1f8
	v_cmp_neq_f32_e64 s0, v27, v26
	s_delay_alu instid0(VALU_DEP_1) | instskip(NEXT) | instid1(SALU_CYCLE_1)
	s_or_b32 s0, s0, s1
	s_and_saveexec_b32 s1, s0
	s_cbranch_execz .LBB440_132
; %bb.131:
	v_sub_f32_e32 v13, v27, v26
	s_delay_alu instid0(VALU_DEP_1) | instskip(SKIP_1) | instid1(VALU_DEP_2)
	v_mul_f32_e32 v17, 0x3fb8aa3b, v13
	v_cmp_ngt_f32_e64 s0, 0xc2ce8ed0, v13
	v_fma_f32 v27, 0x3fb8aa3b, v13, -v17
	v_rndne_f32_e32 v29, v17
	s_delay_alu instid0(VALU_DEP_2) | instskip(NEXT) | instid1(VALU_DEP_2)
	v_fmamk_f32 v27, v13, 0x32a5705f, v27
	v_sub_f32_e32 v17, v17, v29
	s_delay_alu instid0(VALU_DEP_1) | instskip(SKIP_1) | instid1(VALU_DEP_2)
	v_add_f32_e32 v17, v17, v27
	v_cvt_i32_f32_e32 v27, v29
	v_exp_f32_e32 v17, v17
	s_waitcnt_depctr 0xfff
	v_ldexp_f32 v17, v17, v27
	s_delay_alu instid0(VALU_DEP_1) | instskip(SKIP_1) | instid1(VALU_DEP_1)
	v_cndmask_b32_e64 v17, 0, v17, s0
	v_cmp_nlt_f32_e64 s0, 0x42b17218, v13
	v_cndmask_b32_e64 v13, 0x7f800000, v17, s0
	s_delay_alu instid0(VALU_DEP_1) | instskip(SKIP_1) | instid1(VALU_DEP_2)
	v_add_f32_e32 v17, 1.0, v13
	v_cmp_gt_f32_e64 s23, 0x33800000, |v13|
	v_cvt_f64_f32_e32 v[29:30], v17
	s_delay_alu instid0(VALU_DEP_1) | instskip(SKIP_1) | instid1(VALU_DEP_1)
	v_frexp_exp_i32_f64_e32 v27, v[29:30]
	v_frexp_mant_f32_e32 v29, v17
	v_cmp_gt_f32_e64 s0, 0x3f2aaaab, v29
	v_add_f32_e32 v29, -1.0, v17
	s_delay_alu instid0(VALU_DEP_1) | instskip(SKIP_1) | instid1(VALU_DEP_2)
	v_sub_f32_e32 v31, v29, v17
	v_sub_f32_e32 v29, v13, v29
	v_add_f32_e32 v31, 1.0, v31
	s_delay_alu instid0(VALU_DEP_1) | instskip(SKIP_2) | instid1(VALU_DEP_1)
	v_add_f32_e32 v29, v29, v31
	v_subrev_co_ci_u32_e64 v27, s0, 0, v27, s0
	s_mov_b32 s0, 0x3e9b6dac
	v_sub_nc_u32_e32 v30, 0, v27
	v_cvt_f32_i32_e32 v27, v27
	s_delay_alu instid0(VALU_DEP_2) | instskip(SKIP_1) | instid1(VALU_DEP_2)
	v_ldexp_f32 v17, v17, v30
	v_ldexp_f32 v29, v29, v30
	v_add_f32_e32 v32, 1.0, v17
	s_delay_alu instid0(VALU_DEP_1) | instskip(NEXT) | instid1(VALU_DEP_1)
	v_dual_add_f32 v30, -1.0, v17 :: v_dual_add_f32 v31, -1.0, v32
	v_add_f32_e32 v33, 1.0, v30
	s_delay_alu instid0(VALU_DEP_2) | instskip(NEXT) | instid1(VALU_DEP_2)
	v_sub_f32_e32 v31, v17, v31
	v_sub_f32_e32 v17, v17, v33
	s_delay_alu instid0(VALU_DEP_2) | instskip(NEXT) | instid1(VALU_DEP_2)
	v_add_f32_e32 v31, v29, v31
	v_add_f32_e32 v17, v29, v17
	s_delay_alu instid0(VALU_DEP_1) | instskip(NEXT) | instid1(VALU_DEP_1)
	v_dual_add_f32 v33, v32, v31 :: v_dual_add_f32 v34, v30, v17
	v_rcp_f32_e32 v29, v33
	v_sub_f32_e32 v32, v32, v33
	s_delay_alu instid0(VALU_DEP_1) | instskip(SKIP_3) | instid1(VALU_DEP_2)
	v_dual_sub_f32 v30, v30, v34 :: v_dual_add_f32 v31, v31, v32
	s_waitcnt_depctr 0xfff
	v_mul_f32_e32 v35, v34, v29
	v_add_f32_e32 v17, v17, v30
	v_mul_f32_e32 v36, v33, v35
	s_delay_alu instid0(VALU_DEP_1) | instskip(NEXT) | instid1(VALU_DEP_1)
	v_fma_f32 v32, v35, v33, -v36
	v_fmac_f32_e32 v32, v35, v31
	s_delay_alu instid0(VALU_DEP_1) | instskip(NEXT) | instid1(VALU_DEP_1)
	v_add_f32_e32 v37, v36, v32
	v_sub_f32_e32 v38, v34, v37
	v_sub_f32_e32 v30, v37, v36
	s_delay_alu instid0(VALU_DEP_2) | instskip(NEXT) | instid1(VALU_DEP_2)
	v_sub_f32_e32 v34, v34, v38
	v_sub_f32_e32 v30, v30, v32
	s_delay_alu instid0(VALU_DEP_2) | instskip(NEXT) | instid1(VALU_DEP_1)
	v_sub_f32_e32 v34, v34, v37
	v_add_f32_e32 v17, v17, v34
	s_delay_alu instid0(VALU_DEP_1) | instskip(NEXT) | instid1(VALU_DEP_1)
	v_add_f32_e32 v17, v30, v17
	v_add_f32_e32 v30, v38, v17
	s_delay_alu instid0(VALU_DEP_1) | instskip(NEXT) | instid1(VALU_DEP_1)
	v_mul_f32_e32 v32, v29, v30
	v_dual_sub_f32 v37, v38, v30 :: v_dual_mul_f32 v34, v33, v32
	s_delay_alu instid0(VALU_DEP_1) | instskip(NEXT) | instid1(VALU_DEP_2)
	v_add_f32_e32 v17, v17, v37
	v_fma_f32 v33, v32, v33, -v34
	s_delay_alu instid0(VALU_DEP_1) | instskip(NEXT) | instid1(VALU_DEP_1)
	v_fmac_f32_e32 v33, v32, v31
	v_add_f32_e32 v31, v34, v33
	s_delay_alu instid0(VALU_DEP_1) | instskip(SKIP_1) | instid1(VALU_DEP_2)
	v_sub_f32_e32 v36, v30, v31
	v_sub_f32_e32 v34, v31, v34
	;; [unrolled: 1-line block ×3, first 2 shown]
	s_delay_alu instid0(VALU_DEP_1) | instskip(NEXT) | instid1(VALU_DEP_3)
	v_sub_f32_e32 v30, v30, v31
	v_sub_f32_e32 v31, v34, v33
	s_delay_alu instid0(VALU_DEP_2) | instskip(NEXT) | instid1(VALU_DEP_1)
	v_dual_add_f32 v17, v17, v30 :: v_dual_add_f32 v30, v35, v32
	v_add_f32_e32 v17, v31, v17
	s_delay_alu instid0(VALU_DEP_2) | instskip(NEXT) | instid1(VALU_DEP_2)
	v_sub_f32_e32 v31, v30, v35
	v_add_f32_e32 v17, v36, v17
	s_delay_alu instid0(VALU_DEP_2) | instskip(NEXT) | instid1(VALU_DEP_2)
	v_sub_f32_e32 v31, v32, v31
	v_mul_f32_e32 v17, v29, v17
	s_delay_alu instid0(VALU_DEP_1) | instskip(NEXT) | instid1(VALU_DEP_1)
	v_add_f32_e32 v17, v31, v17
	v_add_f32_e32 v29, v30, v17
	s_delay_alu instid0(VALU_DEP_1) | instskip(NEXT) | instid1(VALU_DEP_1)
	v_mul_f32_e32 v31, v29, v29
	v_fmaak_f32 v32, s0, v31, 0x3ecc95a3
	v_mul_f32_e32 v33, v29, v31
	v_cmp_eq_f32_e64 s0, 0x7f800000, v13
	s_delay_alu instid0(VALU_DEP_3) | instskip(SKIP_2) | instid1(VALU_DEP_4)
	v_fmaak_f32 v31, v31, v32, 0x3f2aaada
	v_ldexp_f32 v32, v29, 1
	v_sub_f32_e32 v29, v29, v30
	s_or_b32 s0, s0, s23
	s_delay_alu instid0(VALU_DEP_3) | instskip(SKIP_1) | instid1(VALU_DEP_2)
	v_mul_f32_e32 v31, v33, v31
	v_mul_f32_e32 v33, 0x3f317218, v27
	v_dual_sub_f32 v17, v17, v29 :: v_dual_add_f32 v30, v32, v31
	s_delay_alu instid0(VALU_DEP_1) | instskip(NEXT) | instid1(VALU_DEP_2)
	v_ldexp_f32 v17, v17, 1
	v_sub_f32_e32 v29, v30, v32
	s_delay_alu instid0(VALU_DEP_4) | instskip(NEXT) | instid1(VALU_DEP_2)
	v_fma_f32 v32, 0x3f317218, v27, -v33
	v_sub_f32_e32 v29, v31, v29
	s_delay_alu instid0(VALU_DEP_2) | instskip(NEXT) | instid1(VALU_DEP_2)
	v_fmamk_f32 v27, v27, 0xb102e308, v32
	v_add_f32_e32 v17, v17, v29
	s_delay_alu instid0(VALU_DEP_2) | instskip(NEXT) | instid1(VALU_DEP_2)
	v_add_f32_e32 v29, v33, v27
	v_add_f32_e32 v31, v30, v17
	s_delay_alu instid0(VALU_DEP_2) | instskip(NEXT) | instid1(VALU_DEP_2)
	v_sub_f32_e32 v33, v29, v33
	v_add_f32_e32 v32, v29, v31
	v_sub_f32_e32 v30, v31, v30
	s_delay_alu instid0(VALU_DEP_3) | instskip(NEXT) | instid1(VALU_DEP_2)
	v_sub_f32_e32 v27, v27, v33
	v_dual_sub_f32 v34, v32, v29 :: v_dual_sub_f32 v17, v17, v30
	s_delay_alu instid0(VALU_DEP_1) | instskip(SKIP_1) | instid1(VALU_DEP_3)
	v_sub_f32_e32 v35, v32, v34
	v_sub_f32_e32 v30, v31, v34
	v_add_f32_e32 v31, v27, v17
	s_delay_alu instid0(VALU_DEP_3) | instskip(NEXT) | instid1(VALU_DEP_1)
	v_sub_f32_e32 v29, v29, v35
	v_dual_add_f32 v29, v30, v29 :: v_dual_sub_f32 v30, v31, v27
	s_delay_alu instid0(VALU_DEP_1) | instskip(NEXT) | instid1(VALU_DEP_2)
	v_add_f32_e32 v29, v31, v29
	v_sub_f32_e32 v31, v31, v30
	v_sub_f32_e32 v17, v17, v30
	s_delay_alu instid0(VALU_DEP_3) | instskip(NEXT) | instid1(VALU_DEP_1)
	v_add_f32_e32 v33, v32, v29
	v_dual_sub_f32 v27, v27, v31 :: v_dual_sub_f32 v30, v33, v32
	s_delay_alu instid0(VALU_DEP_1) | instskip(NEXT) | instid1(VALU_DEP_2)
	v_add_f32_e32 v17, v17, v27
	v_sub_f32_e32 v27, v29, v30
	s_delay_alu instid0(VALU_DEP_1) | instskip(NEXT) | instid1(VALU_DEP_1)
	v_add_f32_e32 v17, v17, v27
	v_add_f32_e32 v17, v33, v17
	s_delay_alu instid0(VALU_DEP_1) | instskip(NEXT) | instid1(VALU_DEP_1)
	v_cndmask_b32_e64 v13, v17, v13, s0
	v_add_f32_e32 v13, v26, v13
	s_delay_alu instid0(VALU_DEP_1) | instskip(NEXT) | instid1(VALU_DEP_1)
	v_cvt_f16_f32_e32 v30, v13
	v_cvt_f32_f16_e32 v13, v30
	v_mov_b32_e32 v17, v30
.LBB440_132:
	s_or_b32 exec_lo, exec_lo, s1
	s_delay_alu instid0(VALU_DEP_2) | instskip(SKIP_1) | instid1(VALU_DEP_2)
	v_dual_max_f32 v26, v10, v10 :: v_dual_max_f32 v27, v13, v13
	v_cmp_u_f16_e64 s0, v30, v30
	v_min_f32_e32 v29, v27, v26
	v_max_f32_e32 v26, v27, v26
	s_delay_alu instid0(VALU_DEP_2) | instskip(NEXT) | instid1(VALU_DEP_2)
	v_cndmask_b32_e64 v27, v29, v13, s0
	v_cndmask_b32_e64 v26, v26, v13, s0
	s_delay_alu instid0(VALU_DEP_2) | instskip(NEXT) | instid1(VALU_DEP_2)
	v_cndmask_b32_e64 v27, v27, v10, s28
	v_cndmask_b32_e64 v26, v26, v10, s28
	v_mov_b32_e32 v10, v17
	s_delay_alu instid0(VALU_DEP_3) | instskip(NEXT) | instid1(VALU_DEP_3)
	v_cmp_class_f32_e64 s1, v27, 0x1f8
	v_cmp_neq_f32_e64 s0, v27, v26
	s_delay_alu instid0(VALU_DEP_1) | instskip(NEXT) | instid1(SALU_CYCLE_1)
	s_or_b32 s0, s0, s1
	s_and_saveexec_b32 s1, s0
	s_cbranch_execz .LBB440_134
; %bb.133:
	v_sub_f32_e32 v10, v27, v26
	s_delay_alu instid0(VALU_DEP_1) | instskip(NEXT) | instid1(VALU_DEP_1)
	v_mul_f32_e32 v13, 0x3fb8aa3b, v10
	v_fma_f32 v27, 0x3fb8aa3b, v10, -v13
	v_rndne_f32_e32 v29, v13
	s_delay_alu instid0(VALU_DEP_1) | instskip(NEXT) | instid1(VALU_DEP_3)
	v_sub_f32_e32 v13, v13, v29
	v_fmamk_f32 v27, v10, 0x32a5705f, v27
	v_cmp_ngt_f32_e64 s0, 0xc2ce8ed0, v10
	s_delay_alu instid0(VALU_DEP_2) | instskip(SKIP_1) | instid1(VALU_DEP_2)
	v_add_f32_e32 v13, v13, v27
	v_cvt_i32_f32_e32 v27, v29
	v_exp_f32_e32 v13, v13
	s_waitcnt_depctr 0xfff
	v_ldexp_f32 v13, v13, v27
	s_delay_alu instid0(VALU_DEP_1) | instskip(SKIP_1) | instid1(VALU_DEP_1)
	v_cndmask_b32_e64 v13, 0, v13, s0
	v_cmp_nlt_f32_e64 s0, 0x42b17218, v10
	v_cndmask_b32_e64 v10, 0x7f800000, v13, s0
	s_delay_alu instid0(VALU_DEP_1) | instskip(SKIP_1) | instid1(VALU_DEP_2)
	v_add_f32_e32 v13, 1.0, v10
	v_cmp_gt_f32_e64 s23, 0x33800000, |v10|
	v_cvt_f64_f32_e32 v[29:30], v13
	s_delay_alu instid0(VALU_DEP_1) | instskip(SKIP_1) | instid1(VALU_DEP_1)
	v_frexp_exp_i32_f64_e32 v27, v[29:30]
	v_frexp_mant_f32_e32 v29, v13
	v_cmp_gt_f32_e64 s0, 0x3f2aaaab, v29
	v_add_f32_e32 v29, -1.0, v13
	s_delay_alu instid0(VALU_DEP_1) | instskip(SKIP_1) | instid1(VALU_DEP_4)
	v_sub_f32_e32 v31, v29, v13
	v_sub_f32_e32 v29, v10, v29
	v_subrev_co_ci_u32_e64 v27, s0, 0, v27, s0
	s_mov_b32 s0, 0x3e9b6dac
	s_delay_alu instid0(VALU_DEP_1) | instskip(SKIP_1) | instid1(VALU_DEP_2)
	v_sub_nc_u32_e32 v30, 0, v27
	v_cvt_f32_i32_e32 v27, v27
	v_ldexp_f32 v13, v13, v30
	s_delay_alu instid0(VALU_DEP_1) | instskip(NEXT) | instid1(VALU_DEP_1)
	v_dual_add_f32 v31, 1.0, v31 :: v_dual_add_f32 v32, 1.0, v13
	v_add_f32_e32 v29, v29, v31
	s_delay_alu instid0(VALU_DEP_2) | instskip(NEXT) | instid1(VALU_DEP_2)
	v_add_f32_e32 v31, -1.0, v32
	v_ldexp_f32 v29, v29, v30
	s_delay_alu instid0(VALU_DEP_2) | instskip(NEXT) | instid1(VALU_DEP_1)
	v_dual_add_f32 v30, -1.0, v13 :: v_dual_sub_f32 v31, v13, v31
	v_add_f32_e32 v33, 1.0, v30
	s_delay_alu instid0(VALU_DEP_2) | instskip(NEXT) | instid1(VALU_DEP_2)
	v_add_f32_e32 v31, v29, v31
	v_sub_f32_e32 v13, v13, v33
	s_delay_alu instid0(VALU_DEP_2) | instskip(NEXT) | instid1(VALU_DEP_2)
	v_add_f32_e32 v33, v32, v31
	v_add_f32_e32 v13, v29, v13
	s_delay_alu instid0(VALU_DEP_2) | instskip(SKIP_1) | instid1(VALU_DEP_1)
	v_rcp_f32_e32 v29, v33
	v_sub_f32_e32 v32, v32, v33
	v_dual_add_f32 v34, v30, v13 :: v_dual_add_f32 v31, v31, v32
	s_delay_alu instid0(VALU_DEP_1) | instskip(SKIP_3) | instid1(VALU_DEP_2)
	v_sub_f32_e32 v30, v30, v34
	s_waitcnt_depctr 0xfff
	v_mul_f32_e32 v35, v34, v29
	v_add_f32_e32 v13, v13, v30
	v_mul_f32_e32 v36, v33, v35
	s_delay_alu instid0(VALU_DEP_1) | instskip(NEXT) | instid1(VALU_DEP_1)
	v_fma_f32 v32, v35, v33, -v36
	v_fmac_f32_e32 v32, v35, v31
	s_delay_alu instid0(VALU_DEP_1) | instskip(NEXT) | instid1(VALU_DEP_1)
	v_add_f32_e32 v37, v36, v32
	v_sub_f32_e32 v38, v34, v37
	v_sub_f32_e32 v30, v37, v36
	s_delay_alu instid0(VALU_DEP_2) | instskip(NEXT) | instid1(VALU_DEP_2)
	v_sub_f32_e32 v34, v34, v38
	v_sub_f32_e32 v30, v30, v32
	s_delay_alu instid0(VALU_DEP_2) | instskip(NEXT) | instid1(VALU_DEP_1)
	v_sub_f32_e32 v34, v34, v37
	v_add_f32_e32 v13, v13, v34
	s_delay_alu instid0(VALU_DEP_1) | instskip(NEXT) | instid1(VALU_DEP_1)
	v_add_f32_e32 v13, v30, v13
	v_add_f32_e32 v30, v38, v13
	s_delay_alu instid0(VALU_DEP_1) | instskip(NEXT) | instid1(VALU_DEP_1)
	v_mul_f32_e32 v32, v29, v30
	v_dual_sub_f32 v37, v38, v30 :: v_dual_mul_f32 v34, v33, v32
	s_delay_alu instid0(VALU_DEP_1) | instskip(NEXT) | instid1(VALU_DEP_2)
	v_add_f32_e32 v13, v13, v37
	v_fma_f32 v33, v32, v33, -v34
	s_delay_alu instid0(VALU_DEP_1) | instskip(NEXT) | instid1(VALU_DEP_1)
	v_fmac_f32_e32 v33, v32, v31
	v_add_f32_e32 v31, v34, v33
	s_delay_alu instid0(VALU_DEP_1) | instskip(SKIP_1) | instid1(VALU_DEP_2)
	v_sub_f32_e32 v36, v30, v31
	v_sub_f32_e32 v34, v31, v34
	;; [unrolled: 1-line block ×3, first 2 shown]
	s_delay_alu instid0(VALU_DEP_1) | instskip(NEXT) | instid1(VALU_DEP_3)
	v_sub_f32_e32 v30, v30, v31
	v_sub_f32_e32 v31, v34, v33
	s_delay_alu instid0(VALU_DEP_2) | instskip(NEXT) | instid1(VALU_DEP_1)
	v_dual_add_f32 v13, v13, v30 :: v_dual_add_f32 v30, v35, v32
	v_add_f32_e32 v13, v31, v13
	s_delay_alu instid0(VALU_DEP_2) | instskip(NEXT) | instid1(VALU_DEP_2)
	v_sub_f32_e32 v31, v30, v35
	v_add_f32_e32 v13, v36, v13
	s_delay_alu instid0(VALU_DEP_2) | instskip(NEXT) | instid1(VALU_DEP_2)
	v_sub_f32_e32 v31, v32, v31
	v_mul_f32_e32 v13, v29, v13
	s_delay_alu instid0(VALU_DEP_1) | instskip(NEXT) | instid1(VALU_DEP_1)
	v_add_f32_e32 v13, v31, v13
	v_add_f32_e32 v29, v30, v13
	s_delay_alu instid0(VALU_DEP_1) | instskip(NEXT) | instid1(VALU_DEP_1)
	v_mul_f32_e32 v31, v29, v29
	v_fmaak_f32 v32, s0, v31, 0x3ecc95a3
	v_mul_f32_e32 v33, v29, v31
	v_cmp_eq_f32_e64 s0, 0x7f800000, v10
	s_delay_alu instid0(VALU_DEP_3) | instskip(SKIP_2) | instid1(VALU_DEP_4)
	v_fmaak_f32 v31, v31, v32, 0x3f2aaada
	v_ldexp_f32 v32, v29, 1
	v_sub_f32_e32 v29, v29, v30
	s_or_b32 s0, s0, s23
	s_delay_alu instid0(VALU_DEP_3) | instskip(SKIP_1) | instid1(VALU_DEP_2)
	v_mul_f32_e32 v31, v33, v31
	v_mul_f32_e32 v33, 0x3f317218, v27
	v_dual_sub_f32 v13, v13, v29 :: v_dual_add_f32 v30, v32, v31
	s_delay_alu instid0(VALU_DEP_1) | instskip(NEXT) | instid1(VALU_DEP_2)
	v_ldexp_f32 v13, v13, 1
	v_sub_f32_e32 v29, v30, v32
	s_delay_alu instid0(VALU_DEP_4) | instskip(NEXT) | instid1(VALU_DEP_2)
	v_fma_f32 v32, 0x3f317218, v27, -v33
	v_sub_f32_e32 v29, v31, v29
	s_delay_alu instid0(VALU_DEP_2) | instskip(NEXT) | instid1(VALU_DEP_2)
	v_fmamk_f32 v27, v27, 0xb102e308, v32
	v_add_f32_e32 v13, v13, v29
	s_delay_alu instid0(VALU_DEP_2) | instskip(NEXT) | instid1(VALU_DEP_2)
	v_add_f32_e32 v29, v33, v27
	v_add_f32_e32 v31, v30, v13
	s_delay_alu instid0(VALU_DEP_2) | instskip(NEXT) | instid1(VALU_DEP_2)
	v_sub_f32_e32 v33, v29, v33
	v_add_f32_e32 v32, v29, v31
	v_sub_f32_e32 v30, v31, v30
	s_delay_alu instid0(VALU_DEP_3) | instskip(NEXT) | instid1(VALU_DEP_2)
	v_sub_f32_e32 v27, v27, v33
	v_dual_sub_f32 v34, v32, v29 :: v_dual_sub_f32 v13, v13, v30
	s_delay_alu instid0(VALU_DEP_1) | instskip(SKIP_1) | instid1(VALU_DEP_3)
	v_sub_f32_e32 v35, v32, v34
	v_sub_f32_e32 v30, v31, v34
	v_add_f32_e32 v31, v27, v13
	s_delay_alu instid0(VALU_DEP_3) | instskip(NEXT) | instid1(VALU_DEP_1)
	v_sub_f32_e32 v29, v29, v35
	v_dual_add_f32 v29, v30, v29 :: v_dual_sub_f32 v30, v31, v27
	s_delay_alu instid0(VALU_DEP_1) | instskip(NEXT) | instid1(VALU_DEP_2)
	v_add_f32_e32 v29, v31, v29
	v_sub_f32_e32 v31, v31, v30
	v_sub_f32_e32 v13, v13, v30
	s_delay_alu instid0(VALU_DEP_3) | instskip(NEXT) | instid1(VALU_DEP_1)
	v_add_f32_e32 v33, v32, v29
	v_dual_sub_f32 v27, v27, v31 :: v_dual_sub_f32 v30, v33, v32
	s_delay_alu instid0(VALU_DEP_1) | instskip(NEXT) | instid1(VALU_DEP_2)
	v_add_f32_e32 v13, v13, v27
	v_sub_f32_e32 v27, v29, v30
	s_delay_alu instid0(VALU_DEP_1) | instskip(NEXT) | instid1(VALU_DEP_1)
	v_add_f32_e32 v13, v13, v27
	v_add_f32_e32 v13, v33, v13
	s_delay_alu instid0(VALU_DEP_1) | instskip(NEXT) | instid1(VALU_DEP_1)
	v_cndmask_b32_e64 v10, v13, v10, s0
	v_add_f32_e32 v10, v26, v10
	s_delay_alu instid0(VALU_DEP_1) | instskip(NEXT) | instid1(VALU_DEP_1)
	v_cvt_f16_f32_e32 v30, v10
	v_mov_b32_e32 v10, v30
	v_cvt_f32_f16_e32 v13, v30
.LBB440_134:
	s_or_b32 exec_lo, exec_lo, s1
	s_delay_alu instid0(VALU_DEP_1) | instskip(SKIP_1) | instid1(VALU_DEP_2)
	v_dual_max_f32 v26, v18, v18 :: v_dual_max_f32 v27, v13, v13
	v_cmp_u_f16_e64 s0, v30, v30
	v_min_f32_e32 v29, v27, v26
	v_max_f32_e32 v26, v27, v26
	s_delay_alu instid0(VALU_DEP_2) | instskip(NEXT) | instid1(VALU_DEP_2)
	v_cndmask_b32_e64 v27, v29, v13, s0
	v_cndmask_b32_e64 v26, v26, v13, s0
	s_delay_alu instid0(VALU_DEP_2) | instskip(NEXT) | instid1(VALU_DEP_2)
	v_cndmask_b32_e64 v27, v27, v18, s29
	v_cndmask_b32_e64 v26, v26, v18, s29
	v_mov_b32_e32 v18, v10
	s_delay_alu instid0(VALU_DEP_3) | instskip(NEXT) | instid1(VALU_DEP_3)
	v_cmp_class_f32_e64 s1, v27, 0x1f8
	v_cmp_neq_f32_e64 s0, v27, v26
	s_delay_alu instid0(VALU_DEP_1) | instskip(NEXT) | instid1(SALU_CYCLE_1)
	s_or_b32 s0, s0, s1
	s_and_saveexec_b32 s1, s0
	s_cbranch_execz .LBB440_136
; %bb.135:
	v_sub_f32_e32 v13, v27, v26
	s_delay_alu instid0(VALU_DEP_1) | instskip(NEXT) | instid1(VALU_DEP_1)
	v_mul_f32_e32 v18, 0x3fb8aa3b, v13
	v_fma_f32 v27, 0x3fb8aa3b, v13, -v18
	v_rndne_f32_e32 v29, v18
	s_delay_alu instid0(VALU_DEP_1) | instskip(SKIP_1) | instid1(VALU_DEP_2)
	v_dual_sub_f32 v18, v18, v29 :: v_dual_fmamk_f32 v27, v13, 0x32a5705f, v27
	v_cmp_ngt_f32_e64 s0, 0xc2ce8ed0, v13
	v_add_f32_e32 v18, v18, v27
	v_cvt_i32_f32_e32 v27, v29
	s_delay_alu instid0(VALU_DEP_2) | instskip(SKIP_2) | instid1(VALU_DEP_1)
	v_exp_f32_e32 v18, v18
	s_waitcnt_depctr 0xfff
	v_ldexp_f32 v18, v18, v27
	v_cndmask_b32_e64 v18, 0, v18, s0
	v_cmp_nlt_f32_e64 s0, 0x42b17218, v13
	s_delay_alu instid0(VALU_DEP_1) | instskip(NEXT) | instid1(VALU_DEP_1)
	v_cndmask_b32_e64 v13, 0x7f800000, v18, s0
	v_add_f32_e32 v18, 1.0, v13
	v_cmp_gt_f32_e64 s23, 0x33800000, |v13|
	s_delay_alu instid0(VALU_DEP_2) | instskip(NEXT) | instid1(VALU_DEP_1)
	v_cvt_f64_f32_e32 v[29:30], v18
	v_frexp_exp_i32_f64_e32 v27, v[29:30]
	v_frexp_mant_f32_e32 v29, v18
	s_delay_alu instid0(VALU_DEP_1) | instskip(SKIP_1) | instid1(VALU_DEP_1)
	v_cmp_gt_f32_e64 s0, 0x3f2aaaab, v29
	v_add_f32_e32 v29, -1.0, v18
	v_sub_f32_e32 v31, v29, v18
	v_sub_f32_e32 v29, v13, v29
	s_delay_alu instid0(VALU_DEP_2) | instskip(NEXT) | instid1(VALU_DEP_1)
	v_add_f32_e32 v31, 1.0, v31
	v_add_f32_e32 v29, v29, v31
	v_subrev_co_ci_u32_e64 v27, s0, 0, v27, s0
	s_mov_b32 s0, 0x3e9b6dac
	s_delay_alu instid0(VALU_DEP_1) | instskip(SKIP_1) | instid1(VALU_DEP_2)
	v_sub_nc_u32_e32 v30, 0, v27
	v_cvt_f32_i32_e32 v27, v27
	v_ldexp_f32 v18, v18, v30
	v_ldexp_f32 v29, v29, v30
	s_delay_alu instid0(VALU_DEP_2) | instskip(NEXT) | instid1(VALU_DEP_1)
	v_add_f32_e32 v32, 1.0, v18
	v_dual_add_f32 v30, -1.0, v18 :: v_dual_add_f32 v31, -1.0, v32
	s_delay_alu instid0(VALU_DEP_1) | instskip(NEXT) | instid1(VALU_DEP_2)
	v_add_f32_e32 v33, 1.0, v30
	v_sub_f32_e32 v31, v18, v31
	s_delay_alu instid0(VALU_DEP_2) | instskip(NEXT) | instid1(VALU_DEP_1)
	v_sub_f32_e32 v18, v18, v33
	v_add_f32_e32 v18, v29, v18
	s_delay_alu instid0(VALU_DEP_1) | instskip(NEXT) | instid1(VALU_DEP_1)
	v_dual_add_f32 v31, v29, v31 :: v_dual_add_f32 v34, v30, v18
	v_dual_add_f32 v33, v32, v31 :: v_dual_sub_f32 v30, v30, v34
	s_delay_alu instid0(VALU_DEP_1) | instskip(SKIP_1) | instid1(VALU_DEP_1)
	v_rcp_f32_e32 v29, v33
	v_sub_f32_e32 v32, v32, v33
	v_dual_add_f32 v18, v18, v30 :: v_dual_add_f32 v31, v31, v32
	s_waitcnt_depctr 0xfff
	v_mul_f32_e32 v35, v34, v29
	s_delay_alu instid0(VALU_DEP_1) | instskip(NEXT) | instid1(VALU_DEP_1)
	v_mul_f32_e32 v36, v33, v35
	v_fma_f32 v32, v35, v33, -v36
	s_delay_alu instid0(VALU_DEP_1) | instskip(NEXT) | instid1(VALU_DEP_1)
	v_fmac_f32_e32 v32, v35, v31
	v_add_f32_e32 v37, v36, v32
	s_delay_alu instid0(VALU_DEP_1) | instskip(SKIP_1) | instid1(VALU_DEP_2)
	v_sub_f32_e32 v38, v34, v37
	v_sub_f32_e32 v30, v37, v36
	;; [unrolled: 1-line block ×3, first 2 shown]
	s_delay_alu instid0(VALU_DEP_2) | instskip(NEXT) | instid1(VALU_DEP_2)
	v_sub_f32_e32 v30, v30, v32
	v_sub_f32_e32 v34, v34, v37
	s_delay_alu instid0(VALU_DEP_1) | instskip(NEXT) | instid1(VALU_DEP_1)
	v_add_f32_e32 v18, v18, v34
	v_add_f32_e32 v18, v30, v18
	s_delay_alu instid0(VALU_DEP_1) | instskip(NEXT) | instid1(VALU_DEP_1)
	v_add_f32_e32 v30, v38, v18
	v_mul_f32_e32 v32, v29, v30
	s_delay_alu instid0(VALU_DEP_1) | instskip(NEXT) | instid1(VALU_DEP_1)
	v_dual_sub_f32 v37, v38, v30 :: v_dual_mul_f32 v34, v33, v32
	v_add_f32_e32 v18, v18, v37
	s_delay_alu instid0(VALU_DEP_2) | instskip(NEXT) | instid1(VALU_DEP_1)
	v_fma_f32 v33, v32, v33, -v34
	v_fmac_f32_e32 v33, v32, v31
	s_delay_alu instid0(VALU_DEP_1) | instskip(NEXT) | instid1(VALU_DEP_1)
	v_add_f32_e32 v31, v34, v33
	v_sub_f32_e32 v36, v30, v31
	s_delay_alu instid0(VALU_DEP_1) | instskip(NEXT) | instid1(VALU_DEP_1)
	v_sub_f32_e32 v30, v30, v36
	v_sub_f32_e32 v30, v30, v31
	s_delay_alu instid0(VALU_DEP_1) | instskip(SKIP_2) | instid1(VALU_DEP_1)
	v_add_f32_e32 v18, v18, v30
	v_add_f32_e32 v30, v35, v32
	v_sub_f32_e32 v34, v31, v34
	v_sub_f32_e32 v31, v34, v33
	s_delay_alu instid0(VALU_DEP_1) | instskip(NEXT) | instid1(VALU_DEP_1)
	v_dual_add_f32 v18, v31, v18 :: v_dual_sub_f32 v31, v30, v35
	v_add_f32_e32 v18, v36, v18
	s_delay_alu instid0(VALU_DEP_1) | instskip(NEXT) | instid1(VALU_DEP_1)
	v_dual_sub_f32 v31, v32, v31 :: v_dual_mul_f32 v18, v29, v18
	v_add_f32_e32 v18, v31, v18
	s_delay_alu instid0(VALU_DEP_1) | instskip(NEXT) | instid1(VALU_DEP_1)
	v_add_f32_e32 v29, v30, v18
	v_mul_f32_e32 v31, v29, v29
	s_delay_alu instid0(VALU_DEP_1) | instskip(SKIP_2) | instid1(VALU_DEP_3)
	v_fmaak_f32 v32, s0, v31, 0x3ecc95a3
	v_mul_f32_e32 v33, v29, v31
	v_cmp_eq_f32_e64 s0, 0x7f800000, v13
	v_fmaak_f32 v31, v31, v32, 0x3f2aaada
	v_ldexp_f32 v32, v29, 1
	v_sub_f32_e32 v29, v29, v30
	s_delay_alu instid0(VALU_DEP_4) | instskip(NEXT) | instid1(VALU_DEP_3)
	s_or_b32 s0, s0, s23
	v_mul_f32_e32 v31, v33, v31
	s_delay_alu instid0(VALU_DEP_2) | instskip(NEXT) | instid1(VALU_DEP_2)
	v_dual_mul_f32 v33, 0x3f317218, v27 :: v_dual_sub_f32 v18, v18, v29
	v_add_f32_e32 v30, v32, v31
	s_delay_alu instid0(VALU_DEP_2) | instskip(NEXT) | instid1(VALU_DEP_2)
	v_ldexp_f32 v18, v18, 1
	v_sub_f32_e32 v29, v30, v32
	s_delay_alu instid0(VALU_DEP_4) | instskip(NEXT) | instid1(VALU_DEP_2)
	v_fma_f32 v32, 0x3f317218, v27, -v33
	v_sub_f32_e32 v29, v31, v29
	s_delay_alu instid0(VALU_DEP_1) | instskip(NEXT) | instid1(VALU_DEP_1)
	v_dual_fmamk_f32 v27, v27, 0xb102e308, v32 :: v_dual_add_f32 v18, v18, v29
	v_add_f32_e32 v29, v33, v27
	s_delay_alu instid0(VALU_DEP_2) | instskip(NEXT) | instid1(VALU_DEP_2)
	v_add_f32_e32 v31, v30, v18
	v_sub_f32_e32 v33, v29, v33
	s_delay_alu instid0(VALU_DEP_1) | instskip(NEXT) | instid1(VALU_DEP_1)
	v_dual_add_f32 v32, v29, v31 :: v_dual_sub_f32 v27, v27, v33
	v_sub_f32_e32 v34, v32, v29
	v_sub_f32_e32 v30, v31, v30
	s_delay_alu instid0(VALU_DEP_2) | instskip(NEXT) | instid1(VALU_DEP_2)
	v_sub_f32_e32 v35, v32, v34
	v_sub_f32_e32 v18, v18, v30
	s_delay_alu instid0(VALU_DEP_2) | instskip(NEXT) | instid1(VALU_DEP_2)
	v_dual_sub_f32 v30, v31, v34 :: v_dual_sub_f32 v29, v29, v35
	v_add_f32_e32 v31, v27, v18
	s_delay_alu instid0(VALU_DEP_1) | instskip(NEXT) | instid1(VALU_DEP_1)
	v_dual_add_f32 v29, v30, v29 :: v_dual_sub_f32 v30, v31, v27
	v_add_f32_e32 v29, v31, v29
	s_delay_alu instid0(VALU_DEP_2) | instskip(NEXT) | instid1(VALU_DEP_2)
	v_sub_f32_e32 v31, v31, v30
	v_dual_sub_f32 v18, v18, v30 :: v_dual_add_f32 v33, v32, v29
	s_delay_alu instid0(VALU_DEP_1) | instskip(NEXT) | instid1(VALU_DEP_1)
	v_dual_sub_f32 v27, v27, v31 :: v_dual_sub_f32 v30, v33, v32
	v_dual_add_f32 v18, v18, v27 :: v_dual_sub_f32 v27, v29, v30
	s_delay_alu instid0(VALU_DEP_1) | instskip(NEXT) | instid1(VALU_DEP_1)
	v_add_f32_e32 v18, v18, v27
	v_add_f32_e32 v18, v33, v18
	s_delay_alu instid0(VALU_DEP_1) | instskip(NEXT) | instid1(VALU_DEP_1)
	v_cndmask_b32_e64 v13, v18, v13, s0
	v_add_f32_e32 v13, v26, v13
	s_delay_alu instid0(VALU_DEP_1) | instskip(NEXT) | instid1(VALU_DEP_1)
	v_cvt_f16_f32_e32 v30, v13
	v_cvt_f32_f16_e32 v13, v30
	v_mov_b32_e32 v18, v30
.LBB440_136:
	s_or_b32 exec_lo, exec_lo, s1
	s_delay_alu instid0(VALU_DEP_2) | instskip(SKIP_1) | instid1(VALU_DEP_2)
	v_dual_max_f32 v26, v11, v11 :: v_dual_max_f32 v27, v13, v13
	v_cmp_u_f16_e64 s0, v30, v30
	v_min_f32_e32 v29, v27, v26
	v_max_f32_e32 v26, v27, v26
	s_delay_alu instid0(VALU_DEP_2) | instskip(NEXT) | instid1(VALU_DEP_2)
	v_cndmask_b32_e64 v27, v29, v13, s0
	v_cndmask_b32_e64 v26, v26, v13, s0
	s_delay_alu instid0(VALU_DEP_2) | instskip(NEXT) | instid1(VALU_DEP_2)
	v_cndmask_b32_e64 v27, v27, v11, s30
	v_cndmask_b32_e64 v26, v26, v11, s30
	v_mov_b32_e32 v11, v18
	s_delay_alu instid0(VALU_DEP_3) | instskip(NEXT) | instid1(VALU_DEP_3)
	v_cmp_class_f32_e64 s1, v27, 0x1f8
	v_cmp_neq_f32_e64 s0, v27, v26
	s_delay_alu instid0(VALU_DEP_1) | instskip(NEXT) | instid1(SALU_CYCLE_1)
	s_or_b32 s0, s0, s1
	s_and_saveexec_b32 s1, s0
	s_cbranch_execz .LBB440_138
; %bb.137:
	v_sub_f32_e32 v11, v27, v26
	s_delay_alu instid0(VALU_DEP_1) | instskip(SKIP_1) | instid1(VALU_DEP_2)
	v_mul_f32_e32 v13, 0x3fb8aa3b, v11
	v_cmp_ngt_f32_e64 s0, 0xc2ce8ed0, v11
	v_fma_f32 v27, 0x3fb8aa3b, v11, -v13
	v_rndne_f32_e32 v29, v13
	s_delay_alu instid0(VALU_DEP_2) | instskip(NEXT) | instid1(VALU_DEP_2)
	v_fmamk_f32 v27, v11, 0x32a5705f, v27
	v_sub_f32_e32 v13, v13, v29
	s_delay_alu instid0(VALU_DEP_1) | instskip(SKIP_1) | instid1(VALU_DEP_2)
	v_add_f32_e32 v13, v13, v27
	v_cvt_i32_f32_e32 v27, v29
	v_exp_f32_e32 v13, v13
	s_waitcnt_depctr 0xfff
	v_ldexp_f32 v13, v13, v27
	s_delay_alu instid0(VALU_DEP_1) | instskip(SKIP_1) | instid1(VALU_DEP_1)
	v_cndmask_b32_e64 v13, 0, v13, s0
	v_cmp_nlt_f32_e64 s0, 0x42b17218, v11
	v_cndmask_b32_e64 v11, 0x7f800000, v13, s0
	s_delay_alu instid0(VALU_DEP_1) | instskip(SKIP_1) | instid1(VALU_DEP_2)
	v_add_f32_e32 v13, 1.0, v11
	v_cmp_gt_f32_e64 s23, 0x33800000, |v11|
	v_cvt_f64_f32_e32 v[29:30], v13
	s_delay_alu instid0(VALU_DEP_1) | instskip(SKIP_1) | instid1(VALU_DEP_1)
	v_frexp_exp_i32_f64_e32 v27, v[29:30]
	v_frexp_mant_f32_e32 v29, v13
	v_cmp_gt_f32_e64 s0, 0x3f2aaaab, v29
	v_add_f32_e32 v29, -1.0, v13
	s_delay_alu instid0(VALU_DEP_1) | instskip(SKIP_1) | instid1(VALU_DEP_2)
	v_sub_f32_e32 v31, v29, v13
	v_sub_f32_e32 v29, v11, v29
	v_add_f32_e32 v31, 1.0, v31
	s_delay_alu instid0(VALU_DEP_1) | instskip(SKIP_2) | instid1(VALU_DEP_1)
	v_add_f32_e32 v29, v29, v31
	v_subrev_co_ci_u32_e64 v27, s0, 0, v27, s0
	s_mov_b32 s0, 0x3e9b6dac
	v_sub_nc_u32_e32 v30, 0, v27
	v_cvt_f32_i32_e32 v27, v27
	s_delay_alu instid0(VALU_DEP_2) | instskip(SKIP_1) | instid1(VALU_DEP_2)
	v_ldexp_f32 v13, v13, v30
	v_ldexp_f32 v29, v29, v30
	v_add_f32_e32 v32, 1.0, v13
	s_delay_alu instid0(VALU_DEP_1) | instskip(NEXT) | instid1(VALU_DEP_1)
	v_dual_add_f32 v30, -1.0, v13 :: v_dual_add_f32 v31, -1.0, v32
	v_add_f32_e32 v33, 1.0, v30
	s_delay_alu instid0(VALU_DEP_2) | instskip(NEXT) | instid1(VALU_DEP_2)
	v_sub_f32_e32 v31, v13, v31
	v_sub_f32_e32 v13, v13, v33
	s_delay_alu instid0(VALU_DEP_2) | instskip(NEXT) | instid1(VALU_DEP_2)
	v_add_f32_e32 v31, v29, v31
	v_add_f32_e32 v13, v29, v13
	s_delay_alu instid0(VALU_DEP_1) | instskip(NEXT) | instid1(VALU_DEP_1)
	v_dual_add_f32 v33, v32, v31 :: v_dual_add_f32 v34, v30, v13
	v_rcp_f32_e32 v29, v33
	v_sub_f32_e32 v32, v32, v33
	s_delay_alu instid0(VALU_DEP_1) | instskip(SKIP_3) | instid1(VALU_DEP_2)
	v_dual_sub_f32 v30, v30, v34 :: v_dual_add_f32 v31, v31, v32
	s_waitcnt_depctr 0xfff
	v_mul_f32_e32 v35, v34, v29
	v_add_f32_e32 v13, v13, v30
	v_mul_f32_e32 v36, v33, v35
	s_delay_alu instid0(VALU_DEP_1) | instskip(NEXT) | instid1(VALU_DEP_1)
	v_fma_f32 v32, v35, v33, -v36
	v_fmac_f32_e32 v32, v35, v31
	s_delay_alu instid0(VALU_DEP_1) | instskip(NEXT) | instid1(VALU_DEP_1)
	v_add_f32_e32 v37, v36, v32
	v_sub_f32_e32 v38, v34, v37
	v_sub_f32_e32 v30, v37, v36
	s_delay_alu instid0(VALU_DEP_2) | instskip(NEXT) | instid1(VALU_DEP_2)
	v_sub_f32_e32 v34, v34, v38
	v_sub_f32_e32 v30, v30, v32
	s_delay_alu instid0(VALU_DEP_2) | instskip(NEXT) | instid1(VALU_DEP_1)
	v_sub_f32_e32 v34, v34, v37
	v_add_f32_e32 v13, v13, v34
	s_delay_alu instid0(VALU_DEP_1) | instskip(NEXT) | instid1(VALU_DEP_1)
	v_add_f32_e32 v13, v30, v13
	v_add_f32_e32 v30, v38, v13
	s_delay_alu instid0(VALU_DEP_1) | instskip(NEXT) | instid1(VALU_DEP_1)
	v_mul_f32_e32 v32, v29, v30
	v_dual_sub_f32 v37, v38, v30 :: v_dual_mul_f32 v34, v33, v32
	s_delay_alu instid0(VALU_DEP_1) | instskip(NEXT) | instid1(VALU_DEP_2)
	v_add_f32_e32 v13, v13, v37
	v_fma_f32 v33, v32, v33, -v34
	s_delay_alu instid0(VALU_DEP_1) | instskip(NEXT) | instid1(VALU_DEP_1)
	v_fmac_f32_e32 v33, v32, v31
	v_add_f32_e32 v31, v34, v33
	s_delay_alu instid0(VALU_DEP_1) | instskip(SKIP_1) | instid1(VALU_DEP_2)
	v_sub_f32_e32 v36, v30, v31
	v_sub_f32_e32 v34, v31, v34
	;; [unrolled: 1-line block ×3, first 2 shown]
	s_delay_alu instid0(VALU_DEP_1) | instskip(NEXT) | instid1(VALU_DEP_3)
	v_sub_f32_e32 v30, v30, v31
	v_sub_f32_e32 v31, v34, v33
	s_delay_alu instid0(VALU_DEP_2) | instskip(NEXT) | instid1(VALU_DEP_1)
	v_dual_add_f32 v13, v13, v30 :: v_dual_add_f32 v30, v35, v32
	v_add_f32_e32 v13, v31, v13
	s_delay_alu instid0(VALU_DEP_2) | instskip(NEXT) | instid1(VALU_DEP_2)
	v_sub_f32_e32 v31, v30, v35
	v_add_f32_e32 v13, v36, v13
	s_delay_alu instid0(VALU_DEP_2) | instskip(NEXT) | instid1(VALU_DEP_2)
	v_sub_f32_e32 v31, v32, v31
	v_mul_f32_e32 v13, v29, v13
	s_delay_alu instid0(VALU_DEP_1) | instskip(NEXT) | instid1(VALU_DEP_1)
	v_add_f32_e32 v13, v31, v13
	v_add_f32_e32 v29, v30, v13
	s_delay_alu instid0(VALU_DEP_1) | instskip(NEXT) | instid1(VALU_DEP_1)
	v_mul_f32_e32 v31, v29, v29
	v_fmaak_f32 v32, s0, v31, 0x3ecc95a3
	v_mul_f32_e32 v33, v29, v31
	v_cmp_eq_f32_e64 s0, 0x7f800000, v11
	s_delay_alu instid0(VALU_DEP_3) | instskip(SKIP_2) | instid1(VALU_DEP_4)
	v_fmaak_f32 v31, v31, v32, 0x3f2aaada
	v_ldexp_f32 v32, v29, 1
	v_sub_f32_e32 v29, v29, v30
	s_or_b32 s0, s0, s23
	s_delay_alu instid0(VALU_DEP_3) | instskip(SKIP_1) | instid1(VALU_DEP_2)
	v_mul_f32_e32 v31, v33, v31
	v_mul_f32_e32 v33, 0x3f317218, v27
	v_dual_sub_f32 v13, v13, v29 :: v_dual_add_f32 v30, v32, v31
	s_delay_alu instid0(VALU_DEP_1) | instskip(NEXT) | instid1(VALU_DEP_2)
	v_ldexp_f32 v13, v13, 1
	v_sub_f32_e32 v29, v30, v32
	s_delay_alu instid0(VALU_DEP_4) | instskip(NEXT) | instid1(VALU_DEP_2)
	v_fma_f32 v32, 0x3f317218, v27, -v33
	v_sub_f32_e32 v29, v31, v29
	s_delay_alu instid0(VALU_DEP_2) | instskip(NEXT) | instid1(VALU_DEP_2)
	v_fmamk_f32 v27, v27, 0xb102e308, v32
	v_add_f32_e32 v13, v13, v29
	s_delay_alu instid0(VALU_DEP_2) | instskip(NEXT) | instid1(VALU_DEP_2)
	v_add_f32_e32 v29, v33, v27
	v_add_f32_e32 v31, v30, v13
	s_delay_alu instid0(VALU_DEP_2) | instskip(NEXT) | instid1(VALU_DEP_2)
	v_sub_f32_e32 v33, v29, v33
	v_add_f32_e32 v32, v29, v31
	v_sub_f32_e32 v30, v31, v30
	s_delay_alu instid0(VALU_DEP_3) | instskip(NEXT) | instid1(VALU_DEP_2)
	v_sub_f32_e32 v27, v27, v33
	v_dual_sub_f32 v34, v32, v29 :: v_dual_sub_f32 v13, v13, v30
	s_delay_alu instid0(VALU_DEP_1) | instskip(SKIP_1) | instid1(VALU_DEP_3)
	v_sub_f32_e32 v35, v32, v34
	v_sub_f32_e32 v30, v31, v34
	v_add_f32_e32 v31, v27, v13
	s_delay_alu instid0(VALU_DEP_3) | instskip(NEXT) | instid1(VALU_DEP_1)
	v_sub_f32_e32 v29, v29, v35
	v_dual_add_f32 v29, v30, v29 :: v_dual_sub_f32 v30, v31, v27
	s_delay_alu instid0(VALU_DEP_1) | instskip(NEXT) | instid1(VALU_DEP_2)
	v_add_f32_e32 v29, v31, v29
	v_sub_f32_e32 v31, v31, v30
	v_sub_f32_e32 v13, v13, v30
	s_delay_alu instid0(VALU_DEP_3) | instskip(NEXT) | instid1(VALU_DEP_1)
	v_add_f32_e32 v33, v32, v29
	v_dual_sub_f32 v27, v27, v31 :: v_dual_sub_f32 v30, v33, v32
	s_delay_alu instid0(VALU_DEP_1) | instskip(NEXT) | instid1(VALU_DEP_2)
	v_add_f32_e32 v13, v13, v27
	v_sub_f32_e32 v27, v29, v30
	s_delay_alu instid0(VALU_DEP_1) | instskip(NEXT) | instid1(VALU_DEP_1)
	v_add_f32_e32 v13, v13, v27
	v_add_f32_e32 v13, v33, v13
	s_delay_alu instid0(VALU_DEP_1) | instskip(NEXT) | instid1(VALU_DEP_1)
	v_cndmask_b32_e64 v11, v13, v11, s0
	v_add_f32_e32 v11, v26, v11
	s_delay_alu instid0(VALU_DEP_1) | instskip(NEXT) | instid1(VALU_DEP_1)
	v_cvt_f16_f32_e32 v30, v11
	v_cvt_f32_f16_e32 v13, v30
	v_mov_b32_e32 v11, v30
.LBB440_138:
	s_or_b32 exec_lo, exec_lo, s1
	s_delay_alu instid0(VALU_DEP_2) | instskip(SKIP_1) | instid1(VALU_DEP_2)
	v_dual_max_f32 v26, v19, v19 :: v_dual_max_f32 v27, v13, v13
	v_cmp_u_f16_e64 s0, v30, v30
	v_min_f32_e32 v29, v27, v26
	v_max_f32_e32 v26, v27, v26
	s_delay_alu instid0(VALU_DEP_2) | instskip(NEXT) | instid1(VALU_DEP_2)
	v_cndmask_b32_e64 v27, v29, v13, s0
	v_cndmask_b32_e64 v26, v26, v13, s0
	s_delay_alu instid0(VALU_DEP_2) | instskip(NEXT) | instid1(VALU_DEP_2)
	v_cndmask_b32_e64 v27, v27, v19, s31
	v_cndmask_b32_e64 v26, v26, v19, s31
	v_mov_b32_e32 v19, v11
	s_delay_alu instid0(VALU_DEP_3) | instskip(NEXT) | instid1(VALU_DEP_3)
	v_cmp_class_f32_e64 s1, v27, 0x1f8
	v_cmp_neq_f32_e64 s0, v27, v26
	s_delay_alu instid0(VALU_DEP_1) | instskip(NEXT) | instid1(SALU_CYCLE_1)
	s_or_b32 s0, s0, s1
	s_and_saveexec_b32 s1, s0
	s_cbranch_execz .LBB440_140
; %bb.139:
	v_sub_f32_e32 v13, v27, v26
	s_delay_alu instid0(VALU_DEP_1) | instskip(SKIP_1) | instid1(VALU_DEP_2)
	v_mul_f32_e32 v19, 0x3fb8aa3b, v13
	v_cmp_ngt_f32_e64 s0, 0xc2ce8ed0, v13
	v_fma_f32 v27, 0x3fb8aa3b, v13, -v19
	v_rndne_f32_e32 v29, v19
	s_delay_alu instid0(VALU_DEP_2) | instskip(NEXT) | instid1(VALU_DEP_2)
	v_fmamk_f32 v27, v13, 0x32a5705f, v27
	v_sub_f32_e32 v19, v19, v29
	s_delay_alu instid0(VALU_DEP_1) | instskip(SKIP_1) | instid1(VALU_DEP_2)
	v_add_f32_e32 v19, v19, v27
	v_cvt_i32_f32_e32 v27, v29
	v_exp_f32_e32 v19, v19
	s_waitcnt_depctr 0xfff
	v_ldexp_f32 v19, v19, v27
	s_delay_alu instid0(VALU_DEP_1) | instskip(SKIP_1) | instid1(VALU_DEP_1)
	v_cndmask_b32_e64 v19, 0, v19, s0
	v_cmp_nlt_f32_e64 s0, 0x42b17218, v13
	v_cndmask_b32_e64 v13, 0x7f800000, v19, s0
	s_delay_alu instid0(VALU_DEP_1) | instskip(SKIP_1) | instid1(VALU_DEP_2)
	v_add_f32_e32 v19, 1.0, v13
	v_cmp_gt_f32_e64 s23, 0x33800000, |v13|
	v_cvt_f64_f32_e32 v[29:30], v19
	s_delay_alu instid0(VALU_DEP_1) | instskip(SKIP_1) | instid1(VALU_DEP_1)
	v_frexp_exp_i32_f64_e32 v27, v[29:30]
	v_frexp_mant_f32_e32 v29, v19
	v_cmp_gt_f32_e64 s0, 0x3f2aaaab, v29
	v_add_f32_e32 v29, -1.0, v19
	s_delay_alu instid0(VALU_DEP_1) | instskip(SKIP_1) | instid1(VALU_DEP_2)
	v_sub_f32_e32 v31, v29, v19
	v_sub_f32_e32 v29, v13, v29
	v_add_f32_e32 v31, 1.0, v31
	s_delay_alu instid0(VALU_DEP_1) | instskip(SKIP_2) | instid1(VALU_DEP_1)
	v_add_f32_e32 v29, v29, v31
	v_subrev_co_ci_u32_e64 v27, s0, 0, v27, s0
	s_mov_b32 s0, 0x3e9b6dac
	v_sub_nc_u32_e32 v30, 0, v27
	v_cvt_f32_i32_e32 v27, v27
	s_delay_alu instid0(VALU_DEP_2) | instskip(SKIP_1) | instid1(VALU_DEP_2)
	v_ldexp_f32 v19, v19, v30
	v_ldexp_f32 v29, v29, v30
	v_add_f32_e32 v32, 1.0, v19
	s_delay_alu instid0(VALU_DEP_1) | instskip(NEXT) | instid1(VALU_DEP_1)
	v_dual_add_f32 v30, -1.0, v19 :: v_dual_add_f32 v31, -1.0, v32
	v_add_f32_e32 v33, 1.0, v30
	s_delay_alu instid0(VALU_DEP_2) | instskip(NEXT) | instid1(VALU_DEP_2)
	v_sub_f32_e32 v31, v19, v31
	v_sub_f32_e32 v19, v19, v33
	s_delay_alu instid0(VALU_DEP_2) | instskip(NEXT) | instid1(VALU_DEP_2)
	v_add_f32_e32 v31, v29, v31
	v_add_f32_e32 v19, v29, v19
	s_delay_alu instid0(VALU_DEP_2) | instskip(NEXT) | instid1(VALU_DEP_2)
	v_add_f32_e32 v33, v32, v31
	v_add_f32_e32 v34, v30, v19
	s_delay_alu instid0(VALU_DEP_2) | instskip(SKIP_1) | instid1(VALU_DEP_1)
	v_rcp_f32_e32 v29, v33
	v_sub_f32_e32 v32, v32, v33
	v_dual_sub_f32 v30, v30, v34 :: v_dual_add_f32 v31, v31, v32
	s_delay_alu instid0(VALU_DEP_1) | instskip(SKIP_2) | instid1(VALU_DEP_1)
	v_add_f32_e32 v19, v19, v30
	s_waitcnt_depctr 0xfff
	v_mul_f32_e32 v35, v34, v29
	v_mul_f32_e32 v36, v33, v35
	s_delay_alu instid0(VALU_DEP_1) | instskip(NEXT) | instid1(VALU_DEP_1)
	v_fma_f32 v32, v35, v33, -v36
	v_fmac_f32_e32 v32, v35, v31
	s_delay_alu instid0(VALU_DEP_1) | instskip(NEXT) | instid1(VALU_DEP_1)
	v_add_f32_e32 v37, v36, v32
	v_sub_f32_e32 v38, v34, v37
	v_sub_f32_e32 v30, v37, v36
	s_delay_alu instid0(VALU_DEP_2) | instskip(NEXT) | instid1(VALU_DEP_2)
	v_sub_f32_e32 v34, v34, v38
	v_sub_f32_e32 v30, v30, v32
	s_delay_alu instid0(VALU_DEP_2) | instskip(NEXT) | instid1(VALU_DEP_1)
	v_sub_f32_e32 v34, v34, v37
	v_add_f32_e32 v19, v19, v34
	s_delay_alu instid0(VALU_DEP_1) | instskip(NEXT) | instid1(VALU_DEP_1)
	v_add_f32_e32 v19, v30, v19
	v_add_f32_e32 v30, v38, v19
	s_delay_alu instid0(VALU_DEP_1) | instskip(NEXT) | instid1(VALU_DEP_1)
	v_mul_f32_e32 v32, v29, v30
	v_dual_sub_f32 v37, v38, v30 :: v_dual_mul_f32 v34, v33, v32
	s_delay_alu instid0(VALU_DEP_1) | instskip(NEXT) | instid1(VALU_DEP_2)
	v_add_f32_e32 v19, v19, v37
	v_fma_f32 v33, v32, v33, -v34
	s_delay_alu instid0(VALU_DEP_1) | instskip(NEXT) | instid1(VALU_DEP_1)
	v_fmac_f32_e32 v33, v32, v31
	v_add_f32_e32 v31, v34, v33
	s_delay_alu instid0(VALU_DEP_1) | instskip(SKIP_1) | instid1(VALU_DEP_2)
	v_sub_f32_e32 v36, v30, v31
	v_sub_f32_e32 v34, v31, v34
	;; [unrolled: 1-line block ×3, first 2 shown]
	s_delay_alu instid0(VALU_DEP_1) | instskip(NEXT) | instid1(VALU_DEP_3)
	v_sub_f32_e32 v30, v30, v31
	v_sub_f32_e32 v31, v34, v33
	s_delay_alu instid0(VALU_DEP_2) | instskip(SKIP_1) | instid1(VALU_DEP_2)
	v_add_f32_e32 v19, v19, v30
	v_add_f32_e32 v30, v35, v32
	;; [unrolled: 1-line block ×3, first 2 shown]
	s_delay_alu instid0(VALU_DEP_2) | instskip(NEXT) | instid1(VALU_DEP_2)
	v_sub_f32_e32 v31, v30, v35
	v_add_f32_e32 v19, v36, v19
	s_delay_alu instid0(VALU_DEP_2) | instskip(NEXT) | instid1(VALU_DEP_2)
	v_sub_f32_e32 v31, v32, v31
	v_mul_f32_e32 v19, v29, v19
	s_delay_alu instid0(VALU_DEP_1) | instskip(NEXT) | instid1(VALU_DEP_1)
	v_add_f32_e32 v19, v31, v19
	v_add_f32_e32 v29, v30, v19
	s_delay_alu instid0(VALU_DEP_1) | instskip(NEXT) | instid1(VALU_DEP_1)
	v_mul_f32_e32 v31, v29, v29
	v_fmaak_f32 v32, s0, v31, 0x3ecc95a3
	v_mul_f32_e32 v33, v29, v31
	v_cmp_eq_f32_e64 s0, 0x7f800000, v13
	s_delay_alu instid0(VALU_DEP_3) | instskip(SKIP_2) | instid1(VALU_DEP_4)
	v_fmaak_f32 v31, v31, v32, 0x3f2aaada
	v_ldexp_f32 v32, v29, 1
	v_sub_f32_e32 v29, v29, v30
	s_or_b32 s0, s0, s23
	s_delay_alu instid0(VALU_DEP_3) | instskip(SKIP_1) | instid1(VALU_DEP_2)
	v_mul_f32_e32 v31, v33, v31
	v_mul_f32_e32 v33, 0x3f317218, v27
	v_dual_sub_f32 v19, v19, v29 :: v_dual_add_f32 v30, v32, v31
	s_delay_alu instid0(VALU_DEP_1) | instskip(NEXT) | instid1(VALU_DEP_2)
	v_ldexp_f32 v19, v19, 1
	v_sub_f32_e32 v29, v30, v32
	s_delay_alu instid0(VALU_DEP_4) | instskip(NEXT) | instid1(VALU_DEP_2)
	v_fma_f32 v32, 0x3f317218, v27, -v33
	v_sub_f32_e32 v29, v31, v29
	s_delay_alu instid0(VALU_DEP_2) | instskip(NEXT) | instid1(VALU_DEP_2)
	v_fmamk_f32 v27, v27, 0xb102e308, v32
	v_add_f32_e32 v19, v19, v29
	s_delay_alu instid0(VALU_DEP_2) | instskip(NEXT) | instid1(VALU_DEP_2)
	v_add_f32_e32 v29, v33, v27
	v_add_f32_e32 v31, v30, v19
	s_delay_alu instid0(VALU_DEP_2) | instskip(NEXT) | instid1(VALU_DEP_2)
	v_sub_f32_e32 v33, v29, v33
	v_add_f32_e32 v32, v29, v31
	v_sub_f32_e32 v30, v31, v30
	s_delay_alu instid0(VALU_DEP_3) | instskip(NEXT) | instid1(VALU_DEP_2)
	v_sub_f32_e32 v27, v27, v33
	v_dual_sub_f32 v34, v32, v29 :: v_dual_sub_f32 v19, v19, v30
	s_delay_alu instid0(VALU_DEP_1) | instskip(SKIP_1) | instid1(VALU_DEP_3)
	v_sub_f32_e32 v35, v32, v34
	v_sub_f32_e32 v30, v31, v34
	v_add_f32_e32 v31, v27, v19
	s_delay_alu instid0(VALU_DEP_3) | instskip(NEXT) | instid1(VALU_DEP_1)
	v_sub_f32_e32 v29, v29, v35
	v_dual_add_f32 v29, v30, v29 :: v_dual_sub_f32 v30, v31, v27
	s_delay_alu instid0(VALU_DEP_1) | instskip(NEXT) | instid1(VALU_DEP_2)
	v_add_f32_e32 v29, v31, v29
	v_sub_f32_e32 v31, v31, v30
	v_sub_f32_e32 v19, v19, v30
	s_delay_alu instid0(VALU_DEP_3) | instskip(NEXT) | instid1(VALU_DEP_1)
	v_add_f32_e32 v33, v32, v29
	v_dual_sub_f32 v27, v27, v31 :: v_dual_sub_f32 v30, v33, v32
	s_delay_alu instid0(VALU_DEP_1) | instskip(NEXT) | instid1(VALU_DEP_2)
	v_add_f32_e32 v19, v19, v27
	v_sub_f32_e32 v27, v29, v30
	s_delay_alu instid0(VALU_DEP_1) | instskip(NEXT) | instid1(VALU_DEP_1)
	v_add_f32_e32 v19, v19, v27
	v_add_f32_e32 v19, v33, v19
	s_delay_alu instid0(VALU_DEP_1) | instskip(NEXT) | instid1(VALU_DEP_1)
	v_cndmask_b32_e64 v13, v19, v13, s0
	v_add_f32_e32 v13, v26, v13
	s_delay_alu instid0(VALU_DEP_1) | instskip(NEXT) | instid1(VALU_DEP_1)
	v_cvt_f16_f32_e32 v30, v13
	v_cvt_f32_f16_e32 v13, v30
	v_mov_b32_e32 v19, v30
.LBB440_140:
	s_or_b32 exec_lo, exec_lo, s1
	s_delay_alu instid0(VALU_DEP_2) | instskip(SKIP_1) | instid1(VALU_DEP_2)
	v_dual_max_f32 v26, v8, v8 :: v_dual_max_f32 v27, v13, v13
	v_cmp_u_f16_e64 s0, v30, v30
	v_min_f32_e32 v29, v27, v26
	v_max_f32_e32 v26, v27, v26
	s_delay_alu instid0(VALU_DEP_2) | instskip(NEXT) | instid1(VALU_DEP_2)
	v_cndmask_b32_e64 v27, v29, v13, s0
	v_cndmask_b32_e64 v26, v26, v13, s0
	s_delay_alu instid0(VALU_DEP_2) | instskip(NEXT) | instid1(VALU_DEP_2)
	v_cndmask_b32_e64 v27, v27, v8, s33
	v_cndmask_b32_e64 v26, v26, v8, s33
	v_mov_b32_e32 v8, v19
	s_delay_alu instid0(VALU_DEP_3) | instskip(NEXT) | instid1(VALU_DEP_3)
	v_cmp_class_f32_e64 s1, v27, 0x1f8
	v_cmp_neq_f32_e64 s0, v27, v26
	s_delay_alu instid0(VALU_DEP_1) | instskip(NEXT) | instid1(SALU_CYCLE_1)
	s_or_b32 s0, s0, s1
	s_and_saveexec_b32 s1, s0
	s_cbranch_execz .LBB440_142
; %bb.141:
	v_sub_f32_e32 v8, v27, v26
	s_delay_alu instid0(VALU_DEP_1) | instskip(NEXT) | instid1(VALU_DEP_1)
	v_mul_f32_e32 v13, 0x3fb8aa3b, v8
	v_fma_f32 v27, 0x3fb8aa3b, v8, -v13
	v_rndne_f32_e32 v29, v13
	s_delay_alu instid0(VALU_DEP_1) | instskip(NEXT) | instid1(VALU_DEP_3)
	v_sub_f32_e32 v13, v13, v29
	v_fmamk_f32 v27, v8, 0x32a5705f, v27
	v_cmp_ngt_f32_e64 s0, 0xc2ce8ed0, v8
	s_delay_alu instid0(VALU_DEP_2) | instskip(SKIP_1) | instid1(VALU_DEP_2)
	v_add_f32_e32 v13, v13, v27
	v_cvt_i32_f32_e32 v27, v29
	v_exp_f32_e32 v13, v13
	s_waitcnt_depctr 0xfff
	v_ldexp_f32 v13, v13, v27
	s_delay_alu instid0(VALU_DEP_1) | instskip(SKIP_1) | instid1(VALU_DEP_1)
	v_cndmask_b32_e64 v13, 0, v13, s0
	v_cmp_nlt_f32_e64 s0, 0x42b17218, v8
	v_cndmask_b32_e64 v8, 0x7f800000, v13, s0
	s_delay_alu instid0(VALU_DEP_1) | instskip(SKIP_1) | instid1(VALU_DEP_2)
	v_add_f32_e32 v13, 1.0, v8
	v_cmp_gt_f32_e64 s23, 0x33800000, |v8|
	v_cvt_f64_f32_e32 v[29:30], v13
	s_delay_alu instid0(VALU_DEP_1) | instskip(SKIP_1) | instid1(VALU_DEP_1)
	v_frexp_exp_i32_f64_e32 v27, v[29:30]
	v_frexp_mant_f32_e32 v29, v13
	v_cmp_gt_f32_e64 s0, 0x3f2aaaab, v29
	v_add_f32_e32 v29, -1.0, v13
	s_delay_alu instid0(VALU_DEP_1) | instskip(SKIP_1) | instid1(VALU_DEP_4)
	v_sub_f32_e32 v31, v29, v13
	v_sub_f32_e32 v29, v8, v29
	v_subrev_co_ci_u32_e64 v27, s0, 0, v27, s0
	s_mov_b32 s0, 0x3e9b6dac
	s_delay_alu instid0(VALU_DEP_1) | instskip(SKIP_1) | instid1(VALU_DEP_2)
	v_sub_nc_u32_e32 v30, 0, v27
	v_cvt_f32_i32_e32 v27, v27
	v_ldexp_f32 v13, v13, v30
	s_delay_alu instid0(VALU_DEP_1) | instskip(NEXT) | instid1(VALU_DEP_1)
	v_dual_add_f32 v31, 1.0, v31 :: v_dual_add_f32 v32, 1.0, v13
	v_add_f32_e32 v29, v29, v31
	s_delay_alu instid0(VALU_DEP_2) | instskip(NEXT) | instid1(VALU_DEP_2)
	v_add_f32_e32 v31, -1.0, v32
	v_ldexp_f32 v29, v29, v30
	s_delay_alu instid0(VALU_DEP_2) | instskip(NEXT) | instid1(VALU_DEP_1)
	v_dual_add_f32 v30, -1.0, v13 :: v_dual_sub_f32 v31, v13, v31
	v_add_f32_e32 v33, 1.0, v30
	s_delay_alu instid0(VALU_DEP_2) | instskip(NEXT) | instid1(VALU_DEP_2)
	v_add_f32_e32 v31, v29, v31
	v_sub_f32_e32 v13, v13, v33
	s_delay_alu instid0(VALU_DEP_2) | instskip(NEXT) | instid1(VALU_DEP_2)
	v_add_f32_e32 v33, v32, v31
	v_add_f32_e32 v13, v29, v13
	s_delay_alu instid0(VALU_DEP_2) | instskip(SKIP_1) | instid1(VALU_DEP_1)
	v_rcp_f32_e32 v29, v33
	v_sub_f32_e32 v32, v32, v33
	v_dual_add_f32 v34, v30, v13 :: v_dual_add_f32 v31, v31, v32
	s_delay_alu instid0(VALU_DEP_1) | instskip(SKIP_3) | instid1(VALU_DEP_2)
	v_sub_f32_e32 v30, v30, v34
	s_waitcnt_depctr 0xfff
	v_mul_f32_e32 v35, v34, v29
	v_add_f32_e32 v13, v13, v30
	v_mul_f32_e32 v36, v33, v35
	s_delay_alu instid0(VALU_DEP_1) | instskip(NEXT) | instid1(VALU_DEP_1)
	v_fma_f32 v32, v35, v33, -v36
	v_fmac_f32_e32 v32, v35, v31
	s_delay_alu instid0(VALU_DEP_1) | instskip(NEXT) | instid1(VALU_DEP_1)
	v_add_f32_e32 v37, v36, v32
	v_sub_f32_e32 v38, v34, v37
	v_sub_f32_e32 v30, v37, v36
	s_delay_alu instid0(VALU_DEP_2) | instskip(NEXT) | instid1(VALU_DEP_2)
	v_sub_f32_e32 v34, v34, v38
	v_sub_f32_e32 v30, v30, v32
	s_delay_alu instid0(VALU_DEP_2) | instskip(NEXT) | instid1(VALU_DEP_1)
	v_sub_f32_e32 v34, v34, v37
	v_add_f32_e32 v13, v13, v34
	s_delay_alu instid0(VALU_DEP_1) | instskip(NEXT) | instid1(VALU_DEP_1)
	v_add_f32_e32 v13, v30, v13
	v_add_f32_e32 v30, v38, v13
	s_delay_alu instid0(VALU_DEP_1) | instskip(NEXT) | instid1(VALU_DEP_1)
	v_mul_f32_e32 v32, v29, v30
	v_dual_sub_f32 v37, v38, v30 :: v_dual_mul_f32 v34, v33, v32
	s_delay_alu instid0(VALU_DEP_1) | instskip(NEXT) | instid1(VALU_DEP_2)
	v_add_f32_e32 v13, v13, v37
	v_fma_f32 v33, v32, v33, -v34
	s_delay_alu instid0(VALU_DEP_1) | instskip(NEXT) | instid1(VALU_DEP_1)
	v_fmac_f32_e32 v33, v32, v31
	v_add_f32_e32 v31, v34, v33
	s_delay_alu instid0(VALU_DEP_1) | instskip(SKIP_1) | instid1(VALU_DEP_2)
	v_sub_f32_e32 v36, v30, v31
	v_sub_f32_e32 v34, v31, v34
	;; [unrolled: 1-line block ×3, first 2 shown]
	s_delay_alu instid0(VALU_DEP_1) | instskip(NEXT) | instid1(VALU_DEP_3)
	v_sub_f32_e32 v30, v30, v31
	v_sub_f32_e32 v31, v34, v33
	s_delay_alu instid0(VALU_DEP_2) | instskip(NEXT) | instid1(VALU_DEP_1)
	v_dual_add_f32 v13, v13, v30 :: v_dual_add_f32 v30, v35, v32
	v_add_f32_e32 v13, v31, v13
	s_delay_alu instid0(VALU_DEP_2) | instskip(NEXT) | instid1(VALU_DEP_2)
	v_sub_f32_e32 v31, v30, v35
	v_add_f32_e32 v13, v36, v13
	s_delay_alu instid0(VALU_DEP_2) | instskip(NEXT) | instid1(VALU_DEP_2)
	v_sub_f32_e32 v31, v32, v31
	v_mul_f32_e32 v13, v29, v13
	s_delay_alu instid0(VALU_DEP_1) | instskip(NEXT) | instid1(VALU_DEP_1)
	v_add_f32_e32 v13, v31, v13
	v_add_f32_e32 v29, v30, v13
	s_delay_alu instid0(VALU_DEP_1) | instskip(NEXT) | instid1(VALU_DEP_1)
	v_mul_f32_e32 v31, v29, v29
	v_fmaak_f32 v32, s0, v31, 0x3ecc95a3
	v_mul_f32_e32 v33, v29, v31
	v_cmp_eq_f32_e64 s0, 0x7f800000, v8
	s_delay_alu instid0(VALU_DEP_3) | instskip(SKIP_2) | instid1(VALU_DEP_4)
	v_fmaak_f32 v31, v31, v32, 0x3f2aaada
	v_ldexp_f32 v32, v29, 1
	v_sub_f32_e32 v29, v29, v30
	s_or_b32 s0, s0, s23
	s_delay_alu instid0(VALU_DEP_3) | instskip(SKIP_1) | instid1(VALU_DEP_2)
	v_mul_f32_e32 v31, v33, v31
	v_mul_f32_e32 v33, 0x3f317218, v27
	v_dual_sub_f32 v13, v13, v29 :: v_dual_add_f32 v30, v32, v31
	s_delay_alu instid0(VALU_DEP_1) | instskip(NEXT) | instid1(VALU_DEP_2)
	v_ldexp_f32 v13, v13, 1
	v_sub_f32_e32 v29, v30, v32
	s_delay_alu instid0(VALU_DEP_4) | instskip(NEXT) | instid1(VALU_DEP_2)
	v_fma_f32 v32, 0x3f317218, v27, -v33
	v_sub_f32_e32 v29, v31, v29
	s_delay_alu instid0(VALU_DEP_2) | instskip(NEXT) | instid1(VALU_DEP_2)
	v_fmamk_f32 v27, v27, 0xb102e308, v32
	v_add_f32_e32 v13, v13, v29
	s_delay_alu instid0(VALU_DEP_2) | instskip(NEXT) | instid1(VALU_DEP_2)
	v_add_f32_e32 v29, v33, v27
	v_add_f32_e32 v31, v30, v13
	s_delay_alu instid0(VALU_DEP_2) | instskip(NEXT) | instid1(VALU_DEP_2)
	v_sub_f32_e32 v33, v29, v33
	v_add_f32_e32 v32, v29, v31
	v_sub_f32_e32 v30, v31, v30
	s_delay_alu instid0(VALU_DEP_3) | instskip(NEXT) | instid1(VALU_DEP_2)
	v_sub_f32_e32 v27, v27, v33
	v_dual_sub_f32 v34, v32, v29 :: v_dual_sub_f32 v13, v13, v30
	s_delay_alu instid0(VALU_DEP_1) | instskip(SKIP_1) | instid1(VALU_DEP_3)
	v_sub_f32_e32 v35, v32, v34
	v_sub_f32_e32 v30, v31, v34
	v_add_f32_e32 v31, v27, v13
	s_delay_alu instid0(VALU_DEP_3) | instskip(NEXT) | instid1(VALU_DEP_1)
	v_sub_f32_e32 v29, v29, v35
	v_dual_add_f32 v29, v30, v29 :: v_dual_sub_f32 v30, v31, v27
	s_delay_alu instid0(VALU_DEP_1) | instskip(NEXT) | instid1(VALU_DEP_2)
	v_add_f32_e32 v29, v31, v29
	v_sub_f32_e32 v31, v31, v30
	v_sub_f32_e32 v13, v13, v30
	s_delay_alu instid0(VALU_DEP_3) | instskip(NEXT) | instid1(VALU_DEP_1)
	v_add_f32_e32 v33, v32, v29
	v_dual_sub_f32 v27, v27, v31 :: v_dual_sub_f32 v30, v33, v32
	s_delay_alu instid0(VALU_DEP_1) | instskip(NEXT) | instid1(VALU_DEP_2)
	v_add_f32_e32 v13, v13, v27
	v_sub_f32_e32 v27, v29, v30
	s_delay_alu instid0(VALU_DEP_1) | instskip(NEXT) | instid1(VALU_DEP_1)
	v_add_f32_e32 v13, v13, v27
	v_add_f32_e32 v13, v33, v13
	s_delay_alu instid0(VALU_DEP_1) | instskip(NEXT) | instid1(VALU_DEP_1)
	v_cndmask_b32_e64 v8, v13, v8, s0
	v_add_f32_e32 v8, v26, v8
	s_delay_alu instid0(VALU_DEP_1) | instskip(NEXT) | instid1(VALU_DEP_1)
	v_cvt_f16_f32_e32 v30, v8
	v_mov_b32_e32 v8, v30
	v_cvt_f32_f16_e32 v13, v30
.LBB440_142:
	s_or_b32 exec_lo, exec_lo, s1
	s_delay_alu instid0(VALU_DEP_1) | instskip(SKIP_1) | instid1(VALU_DEP_2)
	v_dual_max_f32 v26, v20, v20 :: v_dual_max_f32 v27, v13, v13
	v_cmp_u_f16_e64 s0, v30, v30
	v_min_f32_e32 v29, v27, v26
	v_max_f32_e32 v26, v27, v26
	s_delay_alu instid0(VALU_DEP_2) | instskip(NEXT) | instid1(VALU_DEP_2)
	v_cndmask_b32_e64 v27, v29, v13, s0
	v_cndmask_b32_e64 v26, v26, v13, s0
	s_delay_alu instid0(VALU_DEP_2) | instskip(NEXT) | instid1(VALU_DEP_2)
	v_cndmask_b32_e64 v27, v27, v20, s34
	v_cndmask_b32_e64 v26, v26, v20, s34
	v_mov_b32_e32 v20, v8
	s_delay_alu instid0(VALU_DEP_3) | instskip(NEXT) | instid1(VALU_DEP_3)
	v_cmp_class_f32_e64 s1, v27, 0x1f8
	v_cmp_neq_f32_e64 s0, v27, v26
	s_delay_alu instid0(VALU_DEP_1) | instskip(NEXT) | instid1(SALU_CYCLE_1)
	s_or_b32 s0, s0, s1
	s_and_saveexec_b32 s1, s0
	s_cbranch_execz .LBB440_144
; %bb.143:
	v_sub_f32_e32 v13, v27, v26
	s_delay_alu instid0(VALU_DEP_1) | instskip(NEXT) | instid1(VALU_DEP_1)
	v_mul_f32_e32 v20, 0x3fb8aa3b, v13
	v_fma_f32 v27, 0x3fb8aa3b, v13, -v20
	v_rndne_f32_e32 v29, v20
	s_delay_alu instid0(VALU_DEP_1) | instskip(SKIP_1) | instid1(VALU_DEP_2)
	v_dual_sub_f32 v20, v20, v29 :: v_dual_fmamk_f32 v27, v13, 0x32a5705f, v27
	v_cmp_ngt_f32_e64 s0, 0xc2ce8ed0, v13
	v_add_f32_e32 v20, v20, v27
	v_cvt_i32_f32_e32 v27, v29
	s_delay_alu instid0(VALU_DEP_2) | instskip(SKIP_2) | instid1(VALU_DEP_1)
	v_exp_f32_e32 v20, v20
	s_waitcnt_depctr 0xfff
	v_ldexp_f32 v20, v20, v27
	v_cndmask_b32_e64 v20, 0, v20, s0
	v_cmp_nlt_f32_e64 s0, 0x42b17218, v13
	s_delay_alu instid0(VALU_DEP_1) | instskip(NEXT) | instid1(VALU_DEP_1)
	v_cndmask_b32_e64 v13, 0x7f800000, v20, s0
	v_add_f32_e32 v20, 1.0, v13
	v_cmp_gt_f32_e64 s23, 0x33800000, |v13|
	s_delay_alu instid0(VALU_DEP_2) | instskip(NEXT) | instid1(VALU_DEP_1)
	v_cvt_f64_f32_e32 v[29:30], v20
	v_frexp_exp_i32_f64_e32 v27, v[29:30]
	v_frexp_mant_f32_e32 v29, v20
	s_delay_alu instid0(VALU_DEP_1) | instskip(SKIP_1) | instid1(VALU_DEP_1)
	v_cmp_gt_f32_e64 s0, 0x3f2aaaab, v29
	v_add_f32_e32 v29, -1.0, v20
	v_sub_f32_e32 v31, v29, v20
	v_sub_f32_e32 v29, v13, v29
	s_delay_alu instid0(VALU_DEP_2) | instskip(NEXT) | instid1(VALU_DEP_1)
	v_add_f32_e32 v31, 1.0, v31
	v_add_f32_e32 v29, v29, v31
	v_subrev_co_ci_u32_e64 v27, s0, 0, v27, s0
	s_mov_b32 s0, 0x3e9b6dac
	s_delay_alu instid0(VALU_DEP_1) | instskip(SKIP_1) | instid1(VALU_DEP_2)
	v_sub_nc_u32_e32 v30, 0, v27
	v_cvt_f32_i32_e32 v27, v27
	v_ldexp_f32 v20, v20, v30
	v_ldexp_f32 v29, v29, v30
	s_delay_alu instid0(VALU_DEP_2) | instskip(NEXT) | instid1(VALU_DEP_1)
	v_add_f32_e32 v32, 1.0, v20
	v_add_f32_e32 v31, -1.0, v32
	s_delay_alu instid0(VALU_DEP_1) | instskip(NEXT) | instid1(VALU_DEP_1)
	v_dual_add_f32 v30, -1.0, v20 :: v_dual_sub_f32 v31, v20, v31
	v_add_f32_e32 v33, 1.0, v30
	s_delay_alu instid0(VALU_DEP_1) | instskip(NEXT) | instid1(VALU_DEP_1)
	v_sub_f32_e32 v20, v20, v33
	v_add_f32_e32 v20, v29, v20
	s_delay_alu instid0(VALU_DEP_1) | instskip(NEXT) | instid1(VALU_DEP_1)
	v_dual_add_f32 v31, v29, v31 :: v_dual_add_f32 v34, v30, v20
	v_dual_add_f32 v33, v32, v31 :: v_dual_sub_f32 v30, v30, v34
	s_delay_alu instid0(VALU_DEP_1) | instskip(SKIP_1) | instid1(VALU_DEP_1)
	v_rcp_f32_e32 v29, v33
	v_sub_f32_e32 v32, v32, v33
	v_dual_add_f32 v20, v20, v30 :: v_dual_add_f32 v31, v31, v32
	s_waitcnt_depctr 0xfff
	v_mul_f32_e32 v35, v34, v29
	s_delay_alu instid0(VALU_DEP_1) | instskip(NEXT) | instid1(VALU_DEP_1)
	v_mul_f32_e32 v36, v33, v35
	v_fma_f32 v32, v35, v33, -v36
	s_delay_alu instid0(VALU_DEP_1) | instskip(NEXT) | instid1(VALU_DEP_1)
	v_fmac_f32_e32 v32, v35, v31
	v_add_f32_e32 v37, v36, v32
	s_delay_alu instid0(VALU_DEP_1) | instskip(NEXT) | instid1(VALU_DEP_1)
	v_sub_f32_e32 v38, v34, v37
	v_sub_f32_e32 v34, v34, v38
	v_sub_f32_e32 v30, v37, v36
	s_delay_alu instid0(VALU_DEP_2) | instskip(NEXT) | instid1(VALU_DEP_2)
	v_sub_f32_e32 v34, v34, v37
	v_sub_f32_e32 v30, v30, v32
	s_delay_alu instid0(VALU_DEP_2) | instskip(NEXT) | instid1(VALU_DEP_1)
	v_add_f32_e32 v20, v20, v34
	v_add_f32_e32 v20, v30, v20
	s_delay_alu instid0(VALU_DEP_1) | instskip(NEXT) | instid1(VALU_DEP_1)
	v_add_f32_e32 v30, v38, v20
	v_mul_f32_e32 v32, v29, v30
	s_delay_alu instid0(VALU_DEP_1) | instskip(NEXT) | instid1(VALU_DEP_1)
	v_dual_sub_f32 v37, v38, v30 :: v_dual_mul_f32 v34, v33, v32
	v_add_f32_e32 v20, v20, v37
	s_delay_alu instid0(VALU_DEP_2) | instskip(NEXT) | instid1(VALU_DEP_1)
	v_fma_f32 v33, v32, v33, -v34
	v_fmac_f32_e32 v33, v32, v31
	s_delay_alu instid0(VALU_DEP_1) | instskip(NEXT) | instid1(VALU_DEP_1)
	v_add_f32_e32 v31, v34, v33
	v_sub_f32_e32 v36, v30, v31
	s_delay_alu instid0(VALU_DEP_1) | instskip(NEXT) | instid1(VALU_DEP_1)
	v_sub_f32_e32 v30, v30, v36
	v_sub_f32_e32 v30, v30, v31
	s_delay_alu instid0(VALU_DEP_1) | instskip(SKIP_2) | instid1(VALU_DEP_1)
	v_add_f32_e32 v20, v20, v30
	v_add_f32_e32 v30, v35, v32
	v_sub_f32_e32 v34, v31, v34
	v_sub_f32_e32 v31, v34, v33
	s_delay_alu instid0(VALU_DEP_1) | instskip(NEXT) | instid1(VALU_DEP_1)
	v_dual_add_f32 v20, v31, v20 :: v_dual_sub_f32 v31, v30, v35
	v_add_f32_e32 v20, v36, v20
	s_delay_alu instid0(VALU_DEP_1) | instskip(NEXT) | instid1(VALU_DEP_1)
	v_dual_sub_f32 v31, v32, v31 :: v_dual_mul_f32 v20, v29, v20
	v_add_f32_e32 v20, v31, v20
	s_delay_alu instid0(VALU_DEP_1) | instskip(NEXT) | instid1(VALU_DEP_1)
	v_add_f32_e32 v29, v30, v20
	v_mul_f32_e32 v31, v29, v29
	s_delay_alu instid0(VALU_DEP_1) | instskip(SKIP_2) | instid1(VALU_DEP_3)
	v_fmaak_f32 v32, s0, v31, 0x3ecc95a3
	v_mul_f32_e32 v33, v29, v31
	v_cmp_eq_f32_e64 s0, 0x7f800000, v13
	v_fmaak_f32 v31, v31, v32, 0x3f2aaada
	v_ldexp_f32 v32, v29, 1
	v_sub_f32_e32 v29, v29, v30
	s_delay_alu instid0(VALU_DEP_4) | instskip(NEXT) | instid1(VALU_DEP_3)
	s_or_b32 s0, s0, s23
	v_mul_f32_e32 v31, v33, v31
	s_delay_alu instid0(VALU_DEP_2) | instskip(NEXT) | instid1(VALU_DEP_2)
	v_dual_mul_f32 v33, 0x3f317218, v27 :: v_dual_sub_f32 v20, v20, v29
	v_add_f32_e32 v30, v32, v31
	s_delay_alu instid0(VALU_DEP_2) | instskip(NEXT) | instid1(VALU_DEP_2)
	v_ldexp_f32 v20, v20, 1
	v_sub_f32_e32 v29, v30, v32
	s_delay_alu instid0(VALU_DEP_4) | instskip(NEXT) | instid1(VALU_DEP_2)
	v_fma_f32 v32, 0x3f317218, v27, -v33
	v_sub_f32_e32 v29, v31, v29
	s_delay_alu instid0(VALU_DEP_1) | instskip(NEXT) | instid1(VALU_DEP_1)
	v_dual_fmamk_f32 v27, v27, 0xb102e308, v32 :: v_dual_add_f32 v20, v20, v29
	v_add_f32_e32 v29, v33, v27
	s_delay_alu instid0(VALU_DEP_1) | instskip(NEXT) | instid1(VALU_DEP_1)
	v_sub_f32_e32 v33, v29, v33
	v_sub_f32_e32 v27, v27, v33
	s_delay_alu instid0(VALU_DEP_4) | instskip(NEXT) | instid1(VALU_DEP_1)
	v_add_f32_e32 v31, v30, v20
	v_sub_f32_e32 v30, v31, v30
	s_delay_alu instid0(VALU_DEP_1) | instskip(SKIP_1) | instid1(VALU_DEP_1)
	v_sub_f32_e32 v20, v20, v30
	v_add_f32_e32 v32, v29, v31
	v_sub_f32_e32 v34, v32, v29
	s_delay_alu instid0(VALU_DEP_1) | instskip(NEXT) | instid1(VALU_DEP_4)
	v_sub_f32_e32 v30, v31, v34
	v_add_f32_e32 v31, v27, v20
	v_sub_f32_e32 v35, v32, v34
	s_delay_alu instid0(VALU_DEP_1) | instskip(NEXT) | instid1(VALU_DEP_1)
	v_sub_f32_e32 v29, v29, v35
	v_dual_add_f32 v29, v30, v29 :: v_dual_sub_f32 v30, v31, v27
	s_delay_alu instid0(VALU_DEP_1) | instskip(SKIP_1) | instid1(VALU_DEP_2)
	v_dual_add_f32 v29, v31, v29 :: v_dual_sub_f32 v20, v20, v30
	v_sub_f32_e32 v31, v31, v30
	v_add_f32_e32 v33, v32, v29
	s_delay_alu instid0(VALU_DEP_1) | instskip(NEXT) | instid1(VALU_DEP_1)
	v_dual_sub_f32 v27, v27, v31 :: v_dual_sub_f32 v30, v33, v32
	v_dual_add_f32 v20, v20, v27 :: v_dual_sub_f32 v27, v29, v30
	s_delay_alu instid0(VALU_DEP_1) | instskip(NEXT) | instid1(VALU_DEP_1)
	v_add_f32_e32 v20, v20, v27
	v_add_f32_e32 v20, v33, v20
	s_delay_alu instid0(VALU_DEP_1) | instskip(NEXT) | instid1(VALU_DEP_1)
	v_cndmask_b32_e64 v13, v20, v13, s0
	v_add_f32_e32 v13, v26, v13
	s_delay_alu instid0(VALU_DEP_1) | instskip(NEXT) | instid1(VALU_DEP_1)
	v_cvt_f16_f32_e32 v30, v13
	v_cvt_f32_f16_e32 v13, v30
	v_mov_b32_e32 v20, v30
.LBB440_144:
	s_or_b32 exec_lo, exec_lo, s1
	v_max_f32_e32 v26, v9, v9
	s_delay_alu instid0(VALU_DEP_3) | instskip(SKIP_1) | instid1(VALU_DEP_2)
	v_max_f32_e32 v27, v13, v13
	v_cmp_u_f16_e64 s0, v30, v30
	v_min_f32_e32 v29, v27, v26
	v_max_f32_e32 v26, v27, v26
	s_delay_alu instid0(VALU_DEP_2) | instskip(NEXT) | instid1(VALU_DEP_2)
	v_cndmask_b32_e64 v27, v29, v13, s0
	v_cndmask_b32_e64 v26, v26, v13, s0
	s_delay_alu instid0(VALU_DEP_2) | instskip(NEXT) | instid1(VALU_DEP_2)
	v_cndmask_b32_e64 v27, v27, v9, s35
	v_cndmask_b32_e64 v26, v26, v9, s35
	v_mov_b32_e32 v9, v20
	s_delay_alu instid0(VALU_DEP_3) | instskip(NEXT) | instid1(VALU_DEP_3)
	v_cmp_class_f32_e64 s1, v27, 0x1f8
	v_cmp_neq_f32_e64 s0, v27, v26
	s_delay_alu instid0(VALU_DEP_1) | instskip(NEXT) | instid1(SALU_CYCLE_1)
	s_or_b32 s0, s0, s1
	s_and_saveexec_b32 s1, s0
	s_cbranch_execz .LBB440_146
; %bb.145:
	v_sub_f32_e32 v9, v27, v26
	s_delay_alu instid0(VALU_DEP_1) | instskip(SKIP_1) | instid1(VALU_DEP_2)
	v_mul_f32_e32 v13, 0x3fb8aa3b, v9
	v_cmp_ngt_f32_e64 s0, 0xc2ce8ed0, v9
	v_fma_f32 v27, 0x3fb8aa3b, v9, -v13
	v_rndne_f32_e32 v29, v13
	s_delay_alu instid0(VALU_DEP_2) | instskip(NEXT) | instid1(VALU_DEP_2)
	v_fmamk_f32 v27, v9, 0x32a5705f, v27
	v_sub_f32_e32 v13, v13, v29
	s_delay_alu instid0(VALU_DEP_1) | instskip(SKIP_1) | instid1(VALU_DEP_2)
	v_add_f32_e32 v13, v13, v27
	v_cvt_i32_f32_e32 v27, v29
	v_exp_f32_e32 v13, v13
	s_waitcnt_depctr 0xfff
	v_ldexp_f32 v13, v13, v27
	s_delay_alu instid0(VALU_DEP_1) | instskip(SKIP_1) | instid1(VALU_DEP_1)
	v_cndmask_b32_e64 v13, 0, v13, s0
	v_cmp_nlt_f32_e64 s0, 0x42b17218, v9
	v_cndmask_b32_e64 v9, 0x7f800000, v13, s0
	s_delay_alu instid0(VALU_DEP_1) | instskip(SKIP_1) | instid1(VALU_DEP_2)
	v_add_f32_e32 v13, 1.0, v9
	v_cmp_gt_f32_e64 s23, 0x33800000, |v9|
	v_cvt_f64_f32_e32 v[29:30], v13
	s_delay_alu instid0(VALU_DEP_1) | instskip(SKIP_1) | instid1(VALU_DEP_1)
	v_frexp_exp_i32_f64_e32 v27, v[29:30]
	v_frexp_mant_f32_e32 v29, v13
	v_cmp_gt_f32_e64 s0, 0x3f2aaaab, v29
	v_add_f32_e32 v29, -1.0, v13
	s_delay_alu instid0(VALU_DEP_1) | instskip(SKIP_1) | instid1(VALU_DEP_2)
	v_sub_f32_e32 v31, v29, v13
	v_sub_f32_e32 v29, v9, v29
	v_add_f32_e32 v31, 1.0, v31
	s_delay_alu instid0(VALU_DEP_1) | instskip(SKIP_2) | instid1(VALU_DEP_1)
	v_add_f32_e32 v29, v29, v31
	v_subrev_co_ci_u32_e64 v27, s0, 0, v27, s0
	s_mov_b32 s0, 0x3e9b6dac
	v_sub_nc_u32_e32 v30, 0, v27
	v_cvt_f32_i32_e32 v27, v27
	s_delay_alu instid0(VALU_DEP_2) | instskip(SKIP_1) | instid1(VALU_DEP_2)
	v_ldexp_f32 v13, v13, v30
	v_ldexp_f32 v29, v29, v30
	v_add_f32_e32 v32, 1.0, v13
	s_delay_alu instid0(VALU_DEP_1) | instskip(NEXT) | instid1(VALU_DEP_1)
	v_dual_add_f32 v30, -1.0, v13 :: v_dual_add_f32 v31, -1.0, v32
	v_add_f32_e32 v33, 1.0, v30
	s_delay_alu instid0(VALU_DEP_2) | instskip(NEXT) | instid1(VALU_DEP_2)
	v_sub_f32_e32 v31, v13, v31
	v_sub_f32_e32 v13, v13, v33
	s_delay_alu instid0(VALU_DEP_2) | instskip(NEXT) | instid1(VALU_DEP_2)
	v_add_f32_e32 v31, v29, v31
	v_add_f32_e32 v13, v29, v13
	s_delay_alu instid0(VALU_DEP_1) | instskip(NEXT) | instid1(VALU_DEP_1)
	v_dual_add_f32 v33, v32, v31 :: v_dual_add_f32 v34, v30, v13
	v_rcp_f32_e32 v29, v33
	v_sub_f32_e32 v32, v32, v33
	s_delay_alu instid0(VALU_DEP_1) | instskip(SKIP_3) | instid1(VALU_DEP_2)
	v_dual_sub_f32 v30, v30, v34 :: v_dual_add_f32 v31, v31, v32
	s_waitcnt_depctr 0xfff
	v_mul_f32_e32 v35, v34, v29
	v_add_f32_e32 v13, v13, v30
	v_mul_f32_e32 v36, v33, v35
	s_delay_alu instid0(VALU_DEP_1) | instskip(NEXT) | instid1(VALU_DEP_1)
	v_fma_f32 v32, v35, v33, -v36
	v_fmac_f32_e32 v32, v35, v31
	s_delay_alu instid0(VALU_DEP_1) | instskip(NEXT) | instid1(VALU_DEP_1)
	v_add_f32_e32 v37, v36, v32
	v_sub_f32_e32 v38, v34, v37
	v_sub_f32_e32 v30, v37, v36
	s_delay_alu instid0(VALU_DEP_2) | instskip(NEXT) | instid1(VALU_DEP_2)
	v_sub_f32_e32 v34, v34, v38
	v_sub_f32_e32 v30, v30, v32
	s_delay_alu instid0(VALU_DEP_2) | instskip(NEXT) | instid1(VALU_DEP_1)
	v_sub_f32_e32 v34, v34, v37
	v_add_f32_e32 v13, v13, v34
	s_delay_alu instid0(VALU_DEP_1) | instskip(NEXT) | instid1(VALU_DEP_1)
	v_add_f32_e32 v13, v30, v13
	v_add_f32_e32 v30, v38, v13
	s_delay_alu instid0(VALU_DEP_1) | instskip(NEXT) | instid1(VALU_DEP_1)
	v_mul_f32_e32 v32, v29, v30
	v_dual_sub_f32 v37, v38, v30 :: v_dual_mul_f32 v34, v33, v32
	s_delay_alu instid0(VALU_DEP_1) | instskip(NEXT) | instid1(VALU_DEP_2)
	v_add_f32_e32 v13, v13, v37
	v_fma_f32 v33, v32, v33, -v34
	s_delay_alu instid0(VALU_DEP_1) | instskip(NEXT) | instid1(VALU_DEP_1)
	v_fmac_f32_e32 v33, v32, v31
	v_add_f32_e32 v31, v34, v33
	s_delay_alu instid0(VALU_DEP_1) | instskip(SKIP_1) | instid1(VALU_DEP_2)
	v_sub_f32_e32 v36, v30, v31
	v_sub_f32_e32 v34, v31, v34
	;; [unrolled: 1-line block ×3, first 2 shown]
	s_delay_alu instid0(VALU_DEP_1) | instskip(NEXT) | instid1(VALU_DEP_3)
	v_sub_f32_e32 v30, v30, v31
	v_sub_f32_e32 v31, v34, v33
	s_delay_alu instid0(VALU_DEP_2) | instskip(NEXT) | instid1(VALU_DEP_1)
	v_dual_add_f32 v13, v13, v30 :: v_dual_add_f32 v30, v35, v32
	v_add_f32_e32 v13, v31, v13
	s_delay_alu instid0(VALU_DEP_2) | instskip(NEXT) | instid1(VALU_DEP_2)
	v_sub_f32_e32 v31, v30, v35
	v_add_f32_e32 v13, v36, v13
	s_delay_alu instid0(VALU_DEP_2) | instskip(NEXT) | instid1(VALU_DEP_2)
	v_sub_f32_e32 v31, v32, v31
	v_mul_f32_e32 v13, v29, v13
	s_delay_alu instid0(VALU_DEP_1) | instskip(NEXT) | instid1(VALU_DEP_1)
	v_add_f32_e32 v13, v31, v13
	v_add_f32_e32 v29, v30, v13
	s_delay_alu instid0(VALU_DEP_1) | instskip(NEXT) | instid1(VALU_DEP_1)
	v_mul_f32_e32 v31, v29, v29
	v_fmaak_f32 v32, s0, v31, 0x3ecc95a3
	v_mul_f32_e32 v33, v29, v31
	v_cmp_eq_f32_e64 s0, 0x7f800000, v9
	s_delay_alu instid0(VALU_DEP_3) | instskip(SKIP_2) | instid1(VALU_DEP_4)
	v_fmaak_f32 v31, v31, v32, 0x3f2aaada
	v_ldexp_f32 v32, v29, 1
	v_sub_f32_e32 v29, v29, v30
	s_or_b32 s0, s0, s23
	s_delay_alu instid0(VALU_DEP_3) | instskip(SKIP_1) | instid1(VALU_DEP_2)
	v_mul_f32_e32 v31, v33, v31
	v_mul_f32_e32 v33, 0x3f317218, v27
	v_dual_sub_f32 v13, v13, v29 :: v_dual_add_f32 v30, v32, v31
	s_delay_alu instid0(VALU_DEP_1) | instskip(NEXT) | instid1(VALU_DEP_2)
	v_ldexp_f32 v13, v13, 1
	v_sub_f32_e32 v29, v30, v32
	s_delay_alu instid0(VALU_DEP_4) | instskip(NEXT) | instid1(VALU_DEP_2)
	v_fma_f32 v32, 0x3f317218, v27, -v33
	v_sub_f32_e32 v29, v31, v29
	s_delay_alu instid0(VALU_DEP_2) | instskip(NEXT) | instid1(VALU_DEP_2)
	v_fmamk_f32 v27, v27, 0xb102e308, v32
	v_add_f32_e32 v13, v13, v29
	s_delay_alu instid0(VALU_DEP_2) | instskip(NEXT) | instid1(VALU_DEP_2)
	v_add_f32_e32 v29, v33, v27
	v_add_f32_e32 v31, v30, v13
	s_delay_alu instid0(VALU_DEP_2) | instskip(NEXT) | instid1(VALU_DEP_2)
	v_sub_f32_e32 v33, v29, v33
	v_add_f32_e32 v32, v29, v31
	v_sub_f32_e32 v30, v31, v30
	s_delay_alu instid0(VALU_DEP_3) | instskip(NEXT) | instid1(VALU_DEP_2)
	v_sub_f32_e32 v27, v27, v33
	v_dual_sub_f32 v34, v32, v29 :: v_dual_sub_f32 v13, v13, v30
	s_delay_alu instid0(VALU_DEP_1) | instskip(SKIP_1) | instid1(VALU_DEP_3)
	v_sub_f32_e32 v35, v32, v34
	v_sub_f32_e32 v30, v31, v34
	v_add_f32_e32 v31, v27, v13
	s_delay_alu instid0(VALU_DEP_3) | instskip(NEXT) | instid1(VALU_DEP_1)
	v_sub_f32_e32 v29, v29, v35
	v_dual_add_f32 v29, v30, v29 :: v_dual_sub_f32 v30, v31, v27
	s_delay_alu instid0(VALU_DEP_1) | instskip(NEXT) | instid1(VALU_DEP_2)
	v_add_f32_e32 v29, v31, v29
	v_sub_f32_e32 v31, v31, v30
	v_sub_f32_e32 v13, v13, v30
	s_delay_alu instid0(VALU_DEP_3) | instskip(NEXT) | instid1(VALU_DEP_1)
	v_add_f32_e32 v33, v32, v29
	v_dual_sub_f32 v27, v27, v31 :: v_dual_sub_f32 v30, v33, v32
	s_delay_alu instid0(VALU_DEP_1) | instskip(NEXT) | instid1(VALU_DEP_2)
	v_add_f32_e32 v13, v13, v27
	v_sub_f32_e32 v27, v29, v30
	s_delay_alu instid0(VALU_DEP_1) | instskip(NEXT) | instid1(VALU_DEP_1)
	v_add_f32_e32 v13, v13, v27
	v_add_f32_e32 v13, v33, v13
	s_delay_alu instid0(VALU_DEP_1) | instskip(NEXT) | instid1(VALU_DEP_1)
	v_cndmask_b32_e64 v9, v13, v9, s0
	v_add_f32_e32 v9, v26, v9
	s_delay_alu instid0(VALU_DEP_1) | instskip(NEXT) | instid1(VALU_DEP_1)
	v_cvt_f16_f32_e32 v30, v9
	v_cvt_f32_f16_e32 v13, v30
	v_mov_b32_e32 v9, v30
.LBB440_146:
	s_or_b32 exec_lo, exec_lo, s1
	v_max_f32_e32 v26, v21, v21
	s_delay_alu instid0(VALU_DEP_3) | instskip(SKIP_1) | instid1(VALU_DEP_2)
	v_max_f32_e32 v27, v13, v13
	v_cmp_u_f16_e64 s0, v30, v30
	v_min_f32_e32 v29, v27, v26
	v_max_f32_e32 v26, v27, v26
	s_delay_alu instid0(VALU_DEP_2) | instskip(NEXT) | instid1(VALU_DEP_2)
	v_cndmask_b32_e64 v27, v29, v13, s0
	v_cndmask_b32_e64 v26, v26, v13, s0
	s_delay_alu instid0(VALU_DEP_2) | instskip(NEXT) | instid1(VALU_DEP_2)
	v_cndmask_b32_e64 v27, v27, v21, s36
	v_cndmask_b32_e64 v26, v26, v21, s36
	v_mov_b32_e32 v21, v9
	s_delay_alu instid0(VALU_DEP_3) | instskip(NEXT) | instid1(VALU_DEP_3)
	v_cmp_class_f32_e64 s1, v27, 0x1f8
	v_cmp_neq_f32_e64 s0, v27, v26
	s_delay_alu instid0(VALU_DEP_1) | instskip(NEXT) | instid1(SALU_CYCLE_1)
	s_or_b32 s0, s0, s1
	s_and_saveexec_b32 s1, s0
	s_cbranch_execz .LBB440_148
; %bb.147:
	v_sub_f32_e32 v13, v27, v26
	s_delay_alu instid0(VALU_DEP_1) | instskip(SKIP_1) | instid1(VALU_DEP_2)
	v_mul_f32_e32 v21, 0x3fb8aa3b, v13
	v_cmp_ngt_f32_e64 s0, 0xc2ce8ed0, v13
	v_fma_f32 v27, 0x3fb8aa3b, v13, -v21
	v_rndne_f32_e32 v29, v21
	s_delay_alu instid0(VALU_DEP_2) | instskip(NEXT) | instid1(VALU_DEP_2)
	v_fmamk_f32 v27, v13, 0x32a5705f, v27
	v_sub_f32_e32 v21, v21, v29
	s_delay_alu instid0(VALU_DEP_1) | instskip(SKIP_1) | instid1(VALU_DEP_2)
	v_add_f32_e32 v21, v21, v27
	v_cvt_i32_f32_e32 v27, v29
	v_exp_f32_e32 v21, v21
	s_waitcnt_depctr 0xfff
	v_ldexp_f32 v21, v21, v27
	s_delay_alu instid0(VALU_DEP_1) | instskip(SKIP_1) | instid1(VALU_DEP_1)
	v_cndmask_b32_e64 v21, 0, v21, s0
	v_cmp_nlt_f32_e64 s0, 0x42b17218, v13
	v_cndmask_b32_e64 v13, 0x7f800000, v21, s0
	s_delay_alu instid0(VALU_DEP_1) | instskip(SKIP_1) | instid1(VALU_DEP_2)
	v_add_f32_e32 v21, 1.0, v13
	v_cmp_gt_f32_e64 s23, 0x33800000, |v13|
	v_cvt_f64_f32_e32 v[29:30], v21
	s_delay_alu instid0(VALU_DEP_1) | instskip(SKIP_1) | instid1(VALU_DEP_1)
	v_frexp_exp_i32_f64_e32 v27, v[29:30]
	v_frexp_mant_f32_e32 v29, v21
	v_cmp_gt_f32_e64 s0, 0x3f2aaaab, v29
	v_add_f32_e32 v29, -1.0, v21
	s_delay_alu instid0(VALU_DEP_1) | instskip(SKIP_1) | instid1(VALU_DEP_2)
	v_sub_f32_e32 v31, v29, v21
	v_sub_f32_e32 v29, v13, v29
	v_add_f32_e32 v31, 1.0, v31
	s_delay_alu instid0(VALU_DEP_1) | instskip(SKIP_2) | instid1(VALU_DEP_1)
	v_add_f32_e32 v29, v29, v31
	v_subrev_co_ci_u32_e64 v27, s0, 0, v27, s0
	s_mov_b32 s0, 0x3e9b6dac
	v_sub_nc_u32_e32 v30, 0, v27
	v_cvt_f32_i32_e32 v27, v27
	s_delay_alu instid0(VALU_DEP_2) | instskip(SKIP_1) | instid1(VALU_DEP_2)
	v_ldexp_f32 v21, v21, v30
	v_ldexp_f32 v29, v29, v30
	v_add_f32_e32 v32, 1.0, v21
	s_delay_alu instid0(VALU_DEP_1) | instskip(NEXT) | instid1(VALU_DEP_1)
	v_dual_add_f32 v30, -1.0, v21 :: v_dual_add_f32 v31, -1.0, v32
	v_add_f32_e32 v33, 1.0, v30
	s_delay_alu instid0(VALU_DEP_2) | instskip(NEXT) | instid1(VALU_DEP_2)
	v_sub_f32_e32 v31, v21, v31
	v_sub_f32_e32 v21, v21, v33
	s_delay_alu instid0(VALU_DEP_2) | instskip(NEXT) | instid1(VALU_DEP_2)
	v_add_f32_e32 v31, v29, v31
	v_add_f32_e32 v21, v29, v21
	s_delay_alu instid0(VALU_DEP_1) | instskip(NEXT) | instid1(VALU_DEP_1)
	v_dual_add_f32 v33, v32, v31 :: v_dual_add_f32 v34, v30, v21
	v_rcp_f32_e32 v29, v33
	v_sub_f32_e32 v32, v32, v33
	s_delay_alu instid0(VALU_DEP_1) | instskip(SKIP_3) | instid1(VALU_DEP_2)
	v_dual_sub_f32 v30, v30, v34 :: v_dual_add_f32 v31, v31, v32
	s_waitcnt_depctr 0xfff
	v_mul_f32_e32 v35, v34, v29
	v_add_f32_e32 v21, v21, v30
	v_mul_f32_e32 v36, v33, v35
	s_delay_alu instid0(VALU_DEP_1) | instskip(NEXT) | instid1(VALU_DEP_1)
	v_fma_f32 v32, v35, v33, -v36
	v_fmac_f32_e32 v32, v35, v31
	s_delay_alu instid0(VALU_DEP_1) | instskip(NEXT) | instid1(VALU_DEP_1)
	v_add_f32_e32 v37, v36, v32
	v_sub_f32_e32 v38, v34, v37
	v_sub_f32_e32 v30, v37, v36
	s_delay_alu instid0(VALU_DEP_2) | instskip(NEXT) | instid1(VALU_DEP_2)
	v_sub_f32_e32 v34, v34, v38
	v_sub_f32_e32 v30, v30, v32
	s_delay_alu instid0(VALU_DEP_2) | instskip(NEXT) | instid1(VALU_DEP_1)
	v_sub_f32_e32 v34, v34, v37
	v_add_f32_e32 v21, v21, v34
	s_delay_alu instid0(VALU_DEP_1) | instskip(NEXT) | instid1(VALU_DEP_1)
	v_add_f32_e32 v21, v30, v21
	v_add_f32_e32 v30, v38, v21
	s_delay_alu instid0(VALU_DEP_1) | instskip(NEXT) | instid1(VALU_DEP_1)
	v_mul_f32_e32 v32, v29, v30
	v_dual_sub_f32 v37, v38, v30 :: v_dual_mul_f32 v34, v33, v32
	s_delay_alu instid0(VALU_DEP_1) | instskip(NEXT) | instid1(VALU_DEP_2)
	v_add_f32_e32 v21, v21, v37
	v_fma_f32 v33, v32, v33, -v34
	s_delay_alu instid0(VALU_DEP_1) | instskip(NEXT) | instid1(VALU_DEP_1)
	v_fmac_f32_e32 v33, v32, v31
	v_add_f32_e32 v31, v34, v33
	s_delay_alu instid0(VALU_DEP_1) | instskip(SKIP_1) | instid1(VALU_DEP_2)
	v_sub_f32_e32 v36, v30, v31
	v_sub_f32_e32 v34, v31, v34
	v_sub_f32_e32 v30, v30, v36
	s_delay_alu instid0(VALU_DEP_1) | instskip(NEXT) | instid1(VALU_DEP_3)
	v_sub_f32_e32 v30, v30, v31
	v_sub_f32_e32 v31, v34, v33
	s_delay_alu instid0(VALU_DEP_2) | instskip(NEXT) | instid1(VALU_DEP_1)
	v_dual_add_f32 v21, v21, v30 :: v_dual_add_f32 v30, v35, v32
	v_add_f32_e32 v21, v31, v21
	s_delay_alu instid0(VALU_DEP_2) | instskip(NEXT) | instid1(VALU_DEP_2)
	v_sub_f32_e32 v31, v30, v35
	v_add_f32_e32 v21, v36, v21
	s_delay_alu instid0(VALU_DEP_2) | instskip(NEXT) | instid1(VALU_DEP_2)
	v_sub_f32_e32 v31, v32, v31
	v_mul_f32_e32 v21, v29, v21
	s_delay_alu instid0(VALU_DEP_1) | instskip(NEXT) | instid1(VALU_DEP_1)
	v_add_f32_e32 v21, v31, v21
	v_add_f32_e32 v29, v30, v21
	s_delay_alu instid0(VALU_DEP_1) | instskip(NEXT) | instid1(VALU_DEP_1)
	v_mul_f32_e32 v31, v29, v29
	v_fmaak_f32 v32, s0, v31, 0x3ecc95a3
	v_mul_f32_e32 v33, v29, v31
	v_cmp_eq_f32_e64 s0, 0x7f800000, v13
	s_delay_alu instid0(VALU_DEP_3) | instskip(SKIP_2) | instid1(VALU_DEP_4)
	v_fmaak_f32 v31, v31, v32, 0x3f2aaada
	v_ldexp_f32 v32, v29, 1
	v_sub_f32_e32 v29, v29, v30
	s_or_b32 s0, s0, s23
	s_delay_alu instid0(VALU_DEP_3) | instskip(SKIP_1) | instid1(VALU_DEP_2)
	v_mul_f32_e32 v31, v33, v31
	v_mul_f32_e32 v33, 0x3f317218, v27
	v_dual_sub_f32 v21, v21, v29 :: v_dual_add_f32 v30, v32, v31
	s_delay_alu instid0(VALU_DEP_1) | instskip(NEXT) | instid1(VALU_DEP_2)
	v_ldexp_f32 v21, v21, 1
	v_sub_f32_e32 v29, v30, v32
	s_delay_alu instid0(VALU_DEP_4) | instskip(NEXT) | instid1(VALU_DEP_2)
	v_fma_f32 v32, 0x3f317218, v27, -v33
	v_sub_f32_e32 v29, v31, v29
	s_delay_alu instid0(VALU_DEP_2) | instskip(NEXT) | instid1(VALU_DEP_2)
	v_fmamk_f32 v27, v27, 0xb102e308, v32
	v_add_f32_e32 v21, v21, v29
	s_delay_alu instid0(VALU_DEP_2) | instskip(NEXT) | instid1(VALU_DEP_2)
	v_add_f32_e32 v29, v33, v27
	v_add_f32_e32 v31, v30, v21
	s_delay_alu instid0(VALU_DEP_2) | instskip(NEXT) | instid1(VALU_DEP_2)
	v_sub_f32_e32 v33, v29, v33
	v_add_f32_e32 v32, v29, v31
	v_sub_f32_e32 v30, v31, v30
	s_delay_alu instid0(VALU_DEP_3) | instskip(NEXT) | instid1(VALU_DEP_2)
	v_sub_f32_e32 v27, v27, v33
	v_dual_sub_f32 v34, v32, v29 :: v_dual_sub_f32 v21, v21, v30
	s_delay_alu instid0(VALU_DEP_1) | instskip(SKIP_1) | instid1(VALU_DEP_3)
	v_sub_f32_e32 v35, v32, v34
	v_sub_f32_e32 v30, v31, v34
	v_add_f32_e32 v31, v27, v21
	s_delay_alu instid0(VALU_DEP_3) | instskip(NEXT) | instid1(VALU_DEP_1)
	v_sub_f32_e32 v29, v29, v35
	v_dual_add_f32 v29, v30, v29 :: v_dual_sub_f32 v30, v31, v27
	s_delay_alu instid0(VALU_DEP_1) | instskip(NEXT) | instid1(VALU_DEP_2)
	v_add_f32_e32 v29, v31, v29
	v_sub_f32_e32 v31, v31, v30
	v_sub_f32_e32 v21, v21, v30
	s_delay_alu instid0(VALU_DEP_3) | instskip(NEXT) | instid1(VALU_DEP_1)
	v_add_f32_e32 v33, v32, v29
	v_dual_sub_f32 v27, v27, v31 :: v_dual_sub_f32 v30, v33, v32
	s_delay_alu instid0(VALU_DEP_1) | instskip(NEXT) | instid1(VALU_DEP_2)
	v_add_f32_e32 v21, v21, v27
	v_sub_f32_e32 v27, v29, v30
	s_delay_alu instid0(VALU_DEP_1) | instskip(NEXT) | instid1(VALU_DEP_1)
	v_add_f32_e32 v21, v21, v27
	v_add_f32_e32 v21, v33, v21
	s_delay_alu instid0(VALU_DEP_1) | instskip(NEXT) | instid1(VALU_DEP_1)
	v_cndmask_b32_e64 v13, v21, v13, s0
	v_add_f32_e32 v13, v26, v13
	s_delay_alu instid0(VALU_DEP_1) | instskip(NEXT) | instid1(VALU_DEP_1)
	v_cvt_f16_f32_e32 v30, v13
	v_cvt_f32_f16_e32 v13, v30
	v_mov_b32_e32 v21, v30
.LBB440_148:
	s_or_b32 exec_lo, exec_lo, s1
	s_delay_alu instid0(VALU_DEP_2) | instskip(SKIP_1) | instid1(VALU_DEP_2)
	v_dual_max_f32 v26, v6, v6 :: v_dual_max_f32 v27, v13, v13
	v_cmp_u_f16_e64 s0, v30, v30
	v_min_f32_e32 v29, v27, v26
	v_max_f32_e32 v26, v27, v26
	s_delay_alu instid0(VALU_DEP_2) | instskip(NEXT) | instid1(VALU_DEP_2)
	v_cndmask_b32_e64 v27, v29, v13, s0
	v_cndmask_b32_e64 v26, v26, v13, s0
	s_delay_alu instid0(VALU_DEP_2) | instskip(NEXT) | instid1(VALU_DEP_2)
	v_cndmask_b32_e64 v27, v27, v6, s37
	v_cndmask_b32_e64 v26, v26, v6, s37
	v_mov_b32_e32 v6, v21
	s_delay_alu instid0(VALU_DEP_3) | instskip(NEXT) | instid1(VALU_DEP_3)
	v_cmp_class_f32_e64 s1, v27, 0x1f8
	v_cmp_neq_f32_e64 s0, v27, v26
	s_delay_alu instid0(VALU_DEP_1) | instskip(NEXT) | instid1(SALU_CYCLE_1)
	s_or_b32 s0, s0, s1
	s_and_saveexec_b32 s1, s0
	s_cbranch_execz .LBB440_150
; %bb.149:
	v_sub_f32_e32 v6, v27, v26
	s_delay_alu instid0(VALU_DEP_1) | instskip(NEXT) | instid1(VALU_DEP_1)
	v_mul_f32_e32 v13, 0x3fb8aa3b, v6
	v_fma_f32 v27, 0x3fb8aa3b, v6, -v13
	v_rndne_f32_e32 v29, v13
	s_delay_alu instid0(VALU_DEP_1) | instskip(NEXT) | instid1(VALU_DEP_3)
	v_sub_f32_e32 v13, v13, v29
	v_fmamk_f32 v27, v6, 0x32a5705f, v27
	v_cmp_ngt_f32_e64 s0, 0xc2ce8ed0, v6
	s_delay_alu instid0(VALU_DEP_2) | instskip(SKIP_1) | instid1(VALU_DEP_2)
	v_add_f32_e32 v13, v13, v27
	v_cvt_i32_f32_e32 v27, v29
	v_exp_f32_e32 v13, v13
	s_waitcnt_depctr 0xfff
	v_ldexp_f32 v13, v13, v27
	s_delay_alu instid0(VALU_DEP_1) | instskip(SKIP_1) | instid1(VALU_DEP_1)
	v_cndmask_b32_e64 v13, 0, v13, s0
	v_cmp_nlt_f32_e64 s0, 0x42b17218, v6
	v_cndmask_b32_e64 v6, 0x7f800000, v13, s0
	s_delay_alu instid0(VALU_DEP_1) | instskip(SKIP_1) | instid1(VALU_DEP_2)
	v_add_f32_e32 v13, 1.0, v6
	v_cmp_gt_f32_e64 s23, 0x33800000, |v6|
	v_cvt_f64_f32_e32 v[29:30], v13
	s_delay_alu instid0(VALU_DEP_1) | instskip(SKIP_1) | instid1(VALU_DEP_1)
	v_frexp_exp_i32_f64_e32 v27, v[29:30]
	v_frexp_mant_f32_e32 v29, v13
	v_cmp_gt_f32_e64 s0, 0x3f2aaaab, v29
	v_add_f32_e32 v29, -1.0, v13
	s_delay_alu instid0(VALU_DEP_1) | instskip(SKIP_1) | instid1(VALU_DEP_4)
	v_sub_f32_e32 v31, v29, v13
	v_sub_f32_e32 v29, v6, v29
	v_subrev_co_ci_u32_e64 v27, s0, 0, v27, s0
	s_mov_b32 s0, 0x3e9b6dac
	s_delay_alu instid0(VALU_DEP_1) | instskip(SKIP_1) | instid1(VALU_DEP_2)
	v_sub_nc_u32_e32 v30, 0, v27
	v_cvt_f32_i32_e32 v27, v27
	v_ldexp_f32 v13, v13, v30
	s_delay_alu instid0(VALU_DEP_1) | instskip(NEXT) | instid1(VALU_DEP_1)
	v_dual_add_f32 v31, 1.0, v31 :: v_dual_add_f32 v32, 1.0, v13
	v_add_f32_e32 v29, v29, v31
	s_delay_alu instid0(VALU_DEP_2) | instskip(NEXT) | instid1(VALU_DEP_2)
	v_add_f32_e32 v31, -1.0, v32
	v_ldexp_f32 v29, v29, v30
	s_delay_alu instid0(VALU_DEP_2) | instskip(NEXT) | instid1(VALU_DEP_1)
	v_dual_add_f32 v30, -1.0, v13 :: v_dual_sub_f32 v31, v13, v31
	v_add_f32_e32 v33, 1.0, v30
	s_delay_alu instid0(VALU_DEP_2) | instskip(NEXT) | instid1(VALU_DEP_2)
	v_add_f32_e32 v31, v29, v31
	v_sub_f32_e32 v13, v13, v33
	s_delay_alu instid0(VALU_DEP_2) | instskip(NEXT) | instid1(VALU_DEP_2)
	v_add_f32_e32 v33, v32, v31
	v_add_f32_e32 v13, v29, v13
	s_delay_alu instid0(VALU_DEP_2) | instskip(SKIP_1) | instid1(VALU_DEP_1)
	v_rcp_f32_e32 v29, v33
	v_sub_f32_e32 v32, v32, v33
	v_dual_add_f32 v34, v30, v13 :: v_dual_add_f32 v31, v31, v32
	s_delay_alu instid0(VALU_DEP_1) | instskip(SKIP_3) | instid1(VALU_DEP_2)
	v_sub_f32_e32 v30, v30, v34
	s_waitcnt_depctr 0xfff
	v_mul_f32_e32 v35, v34, v29
	v_add_f32_e32 v13, v13, v30
	v_mul_f32_e32 v36, v33, v35
	s_delay_alu instid0(VALU_DEP_1) | instskip(NEXT) | instid1(VALU_DEP_1)
	v_fma_f32 v32, v35, v33, -v36
	v_fmac_f32_e32 v32, v35, v31
	s_delay_alu instid0(VALU_DEP_1) | instskip(NEXT) | instid1(VALU_DEP_1)
	v_add_f32_e32 v37, v36, v32
	v_sub_f32_e32 v38, v34, v37
	v_sub_f32_e32 v30, v37, v36
	s_delay_alu instid0(VALU_DEP_2) | instskip(NEXT) | instid1(VALU_DEP_2)
	v_sub_f32_e32 v34, v34, v38
	v_sub_f32_e32 v30, v30, v32
	s_delay_alu instid0(VALU_DEP_2) | instskip(NEXT) | instid1(VALU_DEP_1)
	v_sub_f32_e32 v34, v34, v37
	v_add_f32_e32 v13, v13, v34
	s_delay_alu instid0(VALU_DEP_1) | instskip(NEXT) | instid1(VALU_DEP_1)
	v_add_f32_e32 v13, v30, v13
	v_add_f32_e32 v30, v38, v13
	s_delay_alu instid0(VALU_DEP_1) | instskip(NEXT) | instid1(VALU_DEP_1)
	v_mul_f32_e32 v32, v29, v30
	v_dual_sub_f32 v37, v38, v30 :: v_dual_mul_f32 v34, v33, v32
	s_delay_alu instid0(VALU_DEP_1) | instskip(NEXT) | instid1(VALU_DEP_2)
	v_add_f32_e32 v13, v13, v37
	v_fma_f32 v33, v32, v33, -v34
	s_delay_alu instid0(VALU_DEP_1) | instskip(NEXT) | instid1(VALU_DEP_1)
	v_fmac_f32_e32 v33, v32, v31
	v_add_f32_e32 v31, v34, v33
	s_delay_alu instid0(VALU_DEP_1) | instskip(SKIP_1) | instid1(VALU_DEP_2)
	v_sub_f32_e32 v36, v30, v31
	v_sub_f32_e32 v34, v31, v34
	;; [unrolled: 1-line block ×3, first 2 shown]
	s_delay_alu instid0(VALU_DEP_1) | instskip(NEXT) | instid1(VALU_DEP_3)
	v_sub_f32_e32 v30, v30, v31
	v_sub_f32_e32 v31, v34, v33
	s_delay_alu instid0(VALU_DEP_2) | instskip(NEXT) | instid1(VALU_DEP_1)
	v_dual_add_f32 v13, v13, v30 :: v_dual_add_f32 v30, v35, v32
	v_add_f32_e32 v13, v31, v13
	s_delay_alu instid0(VALU_DEP_2) | instskip(NEXT) | instid1(VALU_DEP_2)
	v_sub_f32_e32 v31, v30, v35
	v_add_f32_e32 v13, v36, v13
	s_delay_alu instid0(VALU_DEP_2) | instskip(NEXT) | instid1(VALU_DEP_2)
	v_sub_f32_e32 v31, v32, v31
	v_mul_f32_e32 v13, v29, v13
	s_delay_alu instid0(VALU_DEP_1) | instskip(NEXT) | instid1(VALU_DEP_1)
	v_add_f32_e32 v13, v31, v13
	v_add_f32_e32 v29, v30, v13
	s_delay_alu instid0(VALU_DEP_1) | instskip(NEXT) | instid1(VALU_DEP_1)
	v_mul_f32_e32 v31, v29, v29
	v_fmaak_f32 v32, s0, v31, 0x3ecc95a3
	v_mul_f32_e32 v33, v29, v31
	v_cmp_eq_f32_e64 s0, 0x7f800000, v6
	s_delay_alu instid0(VALU_DEP_3) | instskip(SKIP_2) | instid1(VALU_DEP_4)
	v_fmaak_f32 v31, v31, v32, 0x3f2aaada
	v_ldexp_f32 v32, v29, 1
	v_sub_f32_e32 v29, v29, v30
	s_or_b32 s0, s0, s23
	s_delay_alu instid0(VALU_DEP_3) | instskip(SKIP_1) | instid1(VALU_DEP_2)
	v_mul_f32_e32 v31, v33, v31
	v_mul_f32_e32 v33, 0x3f317218, v27
	v_dual_sub_f32 v13, v13, v29 :: v_dual_add_f32 v30, v32, v31
	s_delay_alu instid0(VALU_DEP_1) | instskip(NEXT) | instid1(VALU_DEP_2)
	v_ldexp_f32 v13, v13, 1
	v_sub_f32_e32 v29, v30, v32
	s_delay_alu instid0(VALU_DEP_4) | instskip(NEXT) | instid1(VALU_DEP_2)
	v_fma_f32 v32, 0x3f317218, v27, -v33
	v_sub_f32_e32 v29, v31, v29
	s_delay_alu instid0(VALU_DEP_2) | instskip(NEXT) | instid1(VALU_DEP_2)
	v_fmamk_f32 v27, v27, 0xb102e308, v32
	v_add_f32_e32 v13, v13, v29
	s_delay_alu instid0(VALU_DEP_2) | instskip(NEXT) | instid1(VALU_DEP_2)
	v_add_f32_e32 v29, v33, v27
	v_add_f32_e32 v31, v30, v13
	s_delay_alu instid0(VALU_DEP_2) | instskip(NEXT) | instid1(VALU_DEP_2)
	v_sub_f32_e32 v33, v29, v33
	v_add_f32_e32 v32, v29, v31
	v_sub_f32_e32 v30, v31, v30
	s_delay_alu instid0(VALU_DEP_3) | instskip(NEXT) | instid1(VALU_DEP_2)
	v_sub_f32_e32 v27, v27, v33
	v_dual_sub_f32 v34, v32, v29 :: v_dual_sub_f32 v13, v13, v30
	s_delay_alu instid0(VALU_DEP_1) | instskip(SKIP_1) | instid1(VALU_DEP_3)
	v_sub_f32_e32 v35, v32, v34
	v_sub_f32_e32 v30, v31, v34
	v_add_f32_e32 v31, v27, v13
	s_delay_alu instid0(VALU_DEP_3) | instskip(NEXT) | instid1(VALU_DEP_1)
	v_sub_f32_e32 v29, v29, v35
	v_dual_add_f32 v29, v30, v29 :: v_dual_sub_f32 v30, v31, v27
	s_delay_alu instid0(VALU_DEP_1) | instskip(NEXT) | instid1(VALU_DEP_2)
	v_add_f32_e32 v29, v31, v29
	v_sub_f32_e32 v31, v31, v30
	v_sub_f32_e32 v13, v13, v30
	s_delay_alu instid0(VALU_DEP_3) | instskip(NEXT) | instid1(VALU_DEP_1)
	v_add_f32_e32 v33, v32, v29
	v_dual_sub_f32 v27, v27, v31 :: v_dual_sub_f32 v30, v33, v32
	s_delay_alu instid0(VALU_DEP_1) | instskip(NEXT) | instid1(VALU_DEP_2)
	v_add_f32_e32 v13, v13, v27
	v_sub_f32_e32 v27, v29, v30
	s_delay_alu instid0(VALU_DEP_1) | instskip(NEXT) | instid1(VALU_DEP_1)
	v_add_f32_e32 v13, v13, v27
	v_add_f32_e32 v13, v33, v13
	s_delay_alu instid0(VALU_DEP_1) | instskip(NEXT) | instid1(VALU_DEP_1)
	v_cndmask_b32_e64 v6, v13, v6, s0
	v_add_f32_e32 v6, v26, v6
	s_delay_alu instid0(VALU_DEP_1) | instskip(NEXT) | instid1(VALU_DEP_1)
	v_cvt_f16_f32_e32 v30, v6
	v_mov_b32_e32 v6, v30
	v_cvt_f32_f16_e32 v13, v30
.LBB440_150:
	s_or_b32 exec_lo, exec_lo, s1
	s_delay_alu instid0(VALU_DEP_1) | instskip(SKIP_1) | instid1(VALU_DEP_2)
	v_dual_max_f32 v26, v22, v22 :: v_dual_max_f32 v27, v13, v13
	v_cmp_u_f16_e64 s0, v30, v30
	v_min_f32_e32 v29, v27, v26
	v_max_f32_e32 v26, v27, v26
	s_delay_alu instid0(VALU_DEP_2) | instskip(NEXT) | instid1(VALU_DEP_2)
	v_cndmask_b32_e64 v27, v29, v13, s0
	v_cndmask_b32_e64 v26, v26, v13, s0
	s_delay_alu instid0(VALU_DEP_2) | instskip(NEXT) | instid1(VALU_DEP_2)
	v_cndmask_b32_e64 v27, v27, v22, s38
	v_cndmask_b32_e64 v26, v26, v22, s38
	v_mov_b32_e32 v22, v6
	s_delay_alu instid0(VALU_DEP_3) | instskip(NEXT) | instid1(VALU_DEP_3)
	v_cmp_class_f32_e64 s1, v27, 0x1f8
	v_cmp_neq_f32_e64 s0, v27, v26
	s_delay_alu instid0(VALU_DEP_1) | instskip(NEXT) | instid1(SALU_CYCLE_1)
	s_or_b32 s0, s0, s1
	s_and_saveexec_b32 s1, s0
	s_cbranch_execz .LBB440_152
; %bb.151:
	v_sub_f32_e32 v13, v27, v26
	s_delay_alu instid0(VALU_DEP_1) | instskip(NEXT) | instid1(VALU_DEP_1)
	v_mul_f32_e32 v22, 0x3fb8aa3b, v13
	v_fma_f32 v27, 0x3fb8aa3b, v13, -v22
	v_rndne_f32_e32 v29, v22
	s_delay_alu instid0(VALU_DEP_1) | instskip(SKIP_1) | instid1(VALU_DEP_2)
	v_dual_sub_f32 v22, v22, v29 :: v_dual_fmamk_f32 v27, v13, 0x32a5705f, v27
	v_cmp_ngt_f32_e64 s0, 0xc2ce8ed0, v13
	v_add_f32_e32 v22, v22, v27
	v_cvt_i32_f32_e32 v27, v29
	s_delay_alu instid0(VALU_DEP_2) | instskip(SKIP_2) | instid1(VALU_DEP_1)
	v_exp_f32_e32 v22, v22
	s_waitcnt_depctr 0xfff
	v_ldexp_f32 v22, v22, v27
	v_cndmask_b32_e64 v22, 0, v22, s0
	v_cmp_nlt_f32_e64 s0, 0x42b17218, v13
	s_delay_alu instid0(VALU_DEP_1) | instskip(NEXT) | instid1(VALU_DEP_1)
	v_cndmask_b32_e64 v13, 0x7f800000, v22, s0
	v_add_f32_e32 v22, 1.0, v13
	v_cmp_gt_f32_e64 s23, 0x33800000, |v13|
	s_delay_alu instid0(VALU_DEP_2) | instskip(NEXT) | instid1(VALU_DEP_1)
	v_cvt_f64_f32_e32 v[29:30], v22
	v_frexp_exp_i32_f64_e32 v27, v[29:30]
	v_frexp_mant_f32_e32 v29, v22
	s_delay_alu instid0(VALU_DEP_1) | instskip(SKIP_1) | instid1(VALU_DEP_1)
	v_cmp_gt_f32_e64 s0, 0x3f2aaaab, v29
	v_add_f32_e32 v29, -1.0, v22
	v_sub_f32_e32 v31, v29, v22
	v_sub_f32_e32 v29, v13, v29
	s_delay_alu instid0(VALU_DEP_2) | instskip(NEXT) | instid1(VALU_DEP_1)
	v_add_f32_e32 v31, 1.0, v31
	v_add_f32_e32 v29, v29, v31
	v_subrev_co_ci_u32_e64 v27, s0, 0, v27, s0
	s_mov_b32 s0, 0x3e9b6dac
	s_delay_alu instid0(VALU_DEP_1) | instskip(SKIP_1) | instid1(VALU_DEP_2)
	v_sub_nc_u32_e32 v30, 0, v27
	v_cvt_f32_i32_e32 v27, v27
	v_ldexp_f32 v22, v22, v30
	v_ldexp_f32 v29, v29, v30
	s_delay_alu instid0(VALU_DEP_2) | instskip(NEXT) | instid1(VALU_DEP_1)
	v_add_f32_e32 v32, 1.0, v22
	v_dual_add_f32 v30, -1.0, v22 :: v_dual_add_f32 v31, -1.0, v32
	s_delay_alu instid0(VALU_DEP_1) | instskip(NEXT) | instid1(VALU_DEP_2)
	v_add_f32_e32 v33, 1.0, v30
	v_sub_f32_e32 v31, v22, v31
	s_delay_alu instid0(VALU_DEP_2) | instskip(NEXT) | instid1(VALU_DEP_1)
	v_sub_f32_e32 v22, v22, v33
	v_add_f32_e32 v22, v29, v22
	s_delay_alu instid0(VALU_DEP_1) | instskip(NEXT) | instid1(VALU_DEP_1)
	v_dual_add_f32 v31, v29, v31 :: v_dual_add_f32 v34, v30, v22
	v_dual_add_f32 v33, v32, v31 :: v_dual_sub_f32 v30, v30, v34
	s_delay_alu instid0(VALU_DEP_1) | instskip(SKIP_1) | instid1(VALU_DEP_1)
	v_rcp_f32_e32 v29, v33
	v_sub_f32_e32 v32, v32, v33
	v_dual_add_f32 v22, v22, v30 :: v_dual_add_f32 v31, v31, v32
	s_waitcnt_depctr 0xfff
	v_mul_f32_e32 v35, v34, v29
	s_delay_alu instid0(VALU_DEP_1) | instskip(NEXT) | instid1(VALU_DEP_1)
	v_mul_f32_e32 v36, v33, v35
	v_fma_f32 v32, v35, v33, -v36
	s_delay_alu instid0(VALU_DEP_1) | instskip(NEXT) | instid1(VALU_DEP_1)
	v_fmac_f32_e32 v32, v35, v31
	v_add_f32_e32 v37, v36, v32
	s_delay_alu instid0(VALU_DEP_1) | instskip(SKIP_1) | instid1(VALU_DEP_2)
	v_sub_f32_e32 v38, v34, v37
	v_sub_f32_e32 v30, v37, v36
	v_sub_f32_e32 v34, v34, v38
	s_delay_alu instid0(VALU_DEP_2) | instskip(NEXT) | instid1(VALU_DEP_2)
	v_sub_f32_e32 v30, v30, v32
	v_sub_f32_e32 v34, v34, v37
	s_delay_alu instid0(VALU_DEP_1) | instskip(NEXT) | instid1(VALU_DEP_1)
	v_add_f32_e32 v22, v22, v34
	v_add_f32_e32 v22, v30, v22
	s_delay_alu instid0(VALU_DEP_1) | instskip(NEXT) | instid1(VALU_DEP_1)
	v_add_f32_e32 v30, v38, v22
	v_mul_f32_e32 v32, v29, v30
	s_delay_alu instid0(VALU_DEP_1) | instskip(NEXT) | instid1(VALU_DEP_1)
	v_dual_sub_f32 v37, v38, v30 :: v_dual_mul_f32 v34, v33, v32
	v_add_f32_e32 v22, v22, v37
	s_delay_alu instid0(VALU_DEP_2) | instskip(NEXT) | instid1(VALU_DEP_1)
	v_fma_f32 v33, v32, v33, -v34
	v_fmac_f32_e32 v33, v32, v31
	s_delay_alu instid0(VALU_DEP_1) | instskip(NEXT) | instid1(VALU_DEP_1)
	v_add_f32_e32 v31, v34, v33
	v_sub_f32_e32 v36, v30, v31
	s_delay_alu instid0(VALU_DEP_1) | instskip(NEXT) | instid1(VALU_DEP_1)
	v_sub_f32_e32 v30, v30, v36
	v_sub_f32_e32 v30, v30, v31
	s_delay_alu instid0(VALU_DEP_1) | instskip(SKIP_2) | instid1(VALU_DEP_1)
	v_add_f32_e32 v22, v22, v30
	v_add_f32_e32 v30, v35, v32
	v_sub_f32_e32 v34, v31, v34
	v_sub_f32_e32 v31, v34, v33
	s_delay_alu instid0(VALU_DEP_1) | instskip(NEXT) | instid1(VALU_DEP_1)
	v_dual_add_f32 v22, v31, v22 :: v_dual_sub_f32 v31, v30, v35
	v_add_f32_e32 v22, v36, v22
	s_delay_alu instid0(VALU_DEP_1) | instskip(NEXT) | instid1(VALU_DEP_1)
	v_dual_sub_f32 v31, v32, v31 :: v_dual_mul_f32 v22, v29, v22
	v_add_f32_e32 v22, v31, v22
	s_delay_alu instid0(VALU_DEP_1) | instskip(NEXT) | instid1(VALU_DEP_1)
	v_add_f32_e32 v29, v30, v22
	v_mul_f32_e32 v31, v29, v29
	s_delay_alu instid0(VALU_DEP_1) | instskip(SKIP_2) | instid1(VALU_DEP_3)
	v_fmaak_f32 v32, s0, v31, 0x3ecc95a3
	v_mul_f32_e32 v33, v29, v31
	v_cmp_eq_f32_e64 s0, 0x7f800000, v13
	v_fmaak_f32 v31, v31, v32, 0x3f2aaada
	v_ldexp_f32 v32, v29, 1
	v_sub_f32_e32 v29, v29, v30
	s_delay_alu instid0(VALU_DEP_4) | instskip(NEXT) | instid1(VALU_DEP_3)
	s_or_b32 s0, s0, s23
	v_mul_f32_e32 v31, v33, v31
	s_delay_alu instid0(VALU_DEP_2) | instskip(NEXT) | instid1(VALU_DEP_2)
	v_dual_mul_f32 v33, 0x3f317218, v27 :: v_dual_sub_f32 v22, v22, v29
	v_add_f32_e32 v30, v32, v31
	s_delay_alu instid0(VALU_DEP_2) | instskip(NEXT) | instid1(VALU_DEP_2)
	v_ldexp_f32 v22, v22, 1
	v_sub_f32_e32 v29, v30, v32
	s_delay_alu instid0(VALU_DEP_4) | instskip(NEXT) | instid1(VALU_DEP_2)
	v_fma_f32 v32, 0x3f317218, v27, -v33
	v_sub_f32_e32 v29, v31, v29
	s_delay_alu instid0(VALU_DEP_1) | instskip(NEXT) | instid1(VALU_DEP_1)
	v_dual_fmamk_f32 v27, v27, 0xb102e308, v32 :: v_dual_add_f32 v22, v22, v29
	v_add_f32_e32 v29, v33, v27
	s_delay_alu instid0(VALU_DEP_2) | instskip(NEXT) | instid1(VALU_DEP_2)
	v_add_f32_e32 v31, v30, v22
	v_sub_f32_e32 v33, v29, v33
	s_delay_alu instid0(VALU_DEP_1) | instskip(NEXT) | instid1(VALU_DEP_1)
	v_dual_add_f32 v32, v29, v31 :: v_dual_sub_f32 v27, v27, v33
	v_sub_f32_e32 v34, v32, v29
	v_sub_f32_e32 v30, v31, v30
	s_delay_alu instid0(VALU_DEP_2) | instskip(NEXT) | instid1(VALU_DEP_2)
	v_sub_f32_e32 v35, v32, v34
	v_sub_f32_e32 v22, v22, v30
	s_delay_alu instid0(VALU_DEP_2) | instskip(NEXT) | instid1(VALU_DEP_2)
	v_dual_sub_f32 v30, v31, v34 :: v_dual_sub_f32 v29, v29, v35
	v_add_f32_e32 v31, v27, v22
	s_delay_alu instid0(VALU_DEP_1) | instskip(NEXT) | instid1(VALU_DEP_1)
	v_dual_add_f32 v29, v30, v29 :: v_dual_sub_f32 v30, v31, v27
	v_add_f32_e32 v29, v31, v29
	s_delay_alu instid0(VALU_DEP_2) | instskip(NEXT) | instid1(VALU_DEP_2)
	v_sub_f32_e32 v31, v31, v30
	v_dual_sub_f32 v22, v22, v30 :: v_dual_add_f32 v33, v32, v29
	s_delay_alu instid0(VALU_DEP_1) | instskip(NEXT) | instid1(VALU_DEP_1)
	v_dual_sub_f32 v27, v27, v31 :: v_dual_sub_f32 v30, v33, v32
	v_dual_add_f32 v22, v22, v27 :: v_dual_sub_f32 v27, v29, v30
	s_delay_alu instid0(VALU_DEP_1) | instskip(NEXT) | instid1(VALU_DEP_1)
	v_add_f32_e32 v22, v22, v27
	v_add_f32_e32 v22, v33, v22
	s_delay_alu instid0(VALU_DEP_1) | instskip(NEXT) | instid1(VALU_DEP_1)
	v_cndmask_b32_e64 v13, v22, v13, s0
	v_add_f32_e32 v13, v26, v13
	s_delay_alu instid0(VALU_DEP_1) | instskip(NEXT) | instid1(VALU_DEP_1)
	v_cvt_f16_f32_e32 v30, v13
	v_cvt_f32_f16_e32 v13, v30
	v_mov_b32_e32 v22, v30
.LBB440_152:
	s_or_b32 exec_lo, exec_lo, s1
	s_delay_alu instid0(VALU_DEP_2) | instskip(SKIP_1) | instid1(VALU_DEP_2)
	v_dual_max_f32 v26, v7, v7 :: v_dual_max_f32 v27, v13, v13
	v_cmp_u_f16_e64 s0, v30, v30
	v_min_f32_e32 v29, v27, v26
	v_max_f32_e32 v26, v27, v26
	s_delay_alu instid0(VALU_DEP_2) | instskip(NEXT) | instid1(VALU_DEP_2)
	v_cndmask_b32_e64 v27, v29, v13, s0
	v_cndmask_b32_e64 v26, v26, v13, s0
	s_delay_alu instid0(VALU_DEP_2) | instskip(NEXT) | instid1(VALU_DEP_2)
	v_cndmask_b32_e64 v27, v27, v7, s39
	v_cndmask_b32_e64 v26, v26, v7, s39
	v_mov_b32_e32 v7, v22
	s_delay_alu instid0(VALU_DEP_3) | instskip(NEXT) | instid1(VALU_DEP_3)
	v_cmp_class_f32_e64 s1, v27, 0x1f8
	v_cmp_neq_f32_e64 s0, v27, v26
	s_delay_alu instid0(VALU_DEP_1) | instskip(NEXT) | instid1(SALU_CYCLE_1)
	s_or_b32 s0, s0, s1
	s_and_saveexec_b32 s1, s0
	s_cbranch_execz .LBB440_154
; %bb.153:
	v_sub_f32_e32 v7, v27, v26
	s_delay_alu instid0(VALU_DEP_1) | instskip(SKIP_1) | instid1(VALU_DEP_2)
	v_mul_f32_e32 v13, 0x3fb8aa3b, v7
	v_cmp_ngt_f32_e64 s0, 0xc2ce8ed0, v7
	v_fma_f32 v27, 0x3fb8aa3b, v7, -v13
	v_rndne_f32_e32 v29, v13
	s_delay_alu instid0(VALU_DEP_2) | instskip(NEXT) | instid1(VALU_DEP_2)
	v_fmamk_f32 v27, v7, 0x32a5705f, v27
	v_sub_f32_e32 v13, v13, v29
	s_delay_alu instid0(VALU_DEP_1) | instskip(SKIP_1) | instid1(VALU_DEP_2)
	v_add_f32_e32 v13, v13, v27
	v_cvt_i32_f32_e32 v27, v29
	v_exp_f32_e32 v13, v13
	s_waitcnt_depctr 0xfff
	v_ldexp_f32 v13, v13, v27
	s_delay_alu instid0(VALU_DEP_1) | instskip(SKIP_1) | instid1(VALU_DEP_1)
	v_cndmask_b32_e64 v13, 0, v13, s0
	v_cmp_nlt_f32_e64 s0, 0x42b17218, v7
	v_cndmask_b32_e64 v7, 0x7f800000, v13, s0
	s_delay_alu instid0(VALU_DEP_1) | instskip(SKIP_1) | instid1(VALU_DEP_2)
	v_add_f32_e32 v13, 1.0, v7
	v_cmp_gt_f32_e64 s23, 0x33800000, |v7|
	v_cvt_f64_f32_e32 v[29:30], v13
	s_delay_alu instid0(VALU_DEP_1) | instskip(SKIP_1) | instid1(VALU_DEP_1)
	v_frexp_exp_i32_f64_e32 v27, v[29:30]
	v_frexp_mant_f32_e32 v29, v13
	v_cmp_gt_f32_e64 s0, 0x3f2aaaab, v29
	v_add_f32_e32 v29, -1.0, v13
	s_delay_alu instid0(VALU_DEP_1) | instskip(SKIP_1) | instid1(VALU_DEP_2)
	v_sub_f32_e32 v31, v29, v13
	v_sub_f32_e32 v29, v7, v29
	v_add_f32_e32 v31, 1.0, v31
	s_delay_alu instid0(VALU_DEP_1) | instskip(SKIP_2) | instid1(VALU_DEP_1)
	v_add_f32_e32 v29, v29, v31
	v_subrev_co_ci_u32_e64 v27, s0, 0, v27, s0
	s_mov_b32 s0, 0x3e9b6dac
	v_sub_nc_u32_e32 v30, 0, v27
	v_cvt_f32_i32_e32 v27, v27
	s_delay_alu instid0(VALU_DEP_2) | instskip(SKIP_1) | instid1(VALU_DEP_2)
	v_ldexp_f32 v13, v13, v30
	v_ldexp_f32 v29, v29, v30
	v_add_f32_e32 v32, 1.0, v13
	s_delay_alu instid0(VALU_DEP_1) | instskip(NEXT) | instid1(VALU_DEP_1)
	v_dual_add_f32 v30, -1.0, v13 :: v_dual_add_f32 v31, -1.0, v32
	v_add_f32_e32 v33, 1.0, v30
	s_delay_alu instid0(VALU_DEP_2) | instskip(NEXT) | instid1(VALU_DEP_2)
	v_sub_f32_e32 v31, v13, v31
	v_sub_f32_e32 v13, v13, v33
	s_delay_alu instid0(VALU_DEP_2) | instskip(NEXT) | instid1(VALU_DEP_2)
	v_add_f32_e32 v31, v29, v31
	v_add_f32_e32 v13, v29, v13
	s_delay_alu instid0(VALU_DEP_1) | instskip(NEXT) | instid1(VALU_DEP_1)
	v_dual_add_f32 v33, v32, v31 :: v_dual_add_f32 v34, v30, v13
	v_rcp_f32_e32 v29, v33
	v_sub_f32_e32 v32, v32, v33
	s_delay_alu instid0(VALU_DEP_1) | instskip(SKIP_3) | instid1(VALU_DEP_2)
	v_dual_sub_f32 v30, v30, v34 :: v_dual_add_f32 v31, v31, v32
	s_waitcnt_depctr 0xfff
	v_mul_f32_e32 v35, v34, v29
	v_add_f32_e32 v13, v13, v30
	v_mul_f32_e32 v36, v33, v35
	s_delay_alu instid0(VALU_DEP_1) | instskip(NEXT) | instid1(VALU_DEP_1)
	v_fma_f32 v32, v35, v33, -v36
	v_fmac_f32_e32 v32, v35, v31
	s_delay_alu instid0(VALU_DEP_1) | instskip(NEXT) | instid1(VALU_DEP_1)
	v_add_f32_e32 v37, v36, v32
	v_sub_f32_e32 v38, v34, v37
	v_sub_f32_e32 v30, v37, v36
	s_delay_alu instid0(VALU_DEP_2) | instskip(NEXT) | instid1(VALU_DEP_2)
	v_sub_f32_e32 v34, v34, v38
	v_sub_f32_e32 v30, v30, v32
	s_delay_alu instid0(VALU_DEP_2) | instskip(NEXT) | instid1(VALU_DEP_1)
	v_sub_f32_e32 v34, v34, v37
	v_add_f32_e32 v13, v13, v34
	s_delay_alu instid0(VALU_DEP_1) | instskip(NEXT) | instid1(VALU_DEP_1)
	v_add_f32_e32 v13, v30, v13
	v_add_f32_e32 v30, v38, v13
	s_delay_alu instid0(VALU_DEP_1) | instskip(NEXT) | instid1(VALU_DEP_1)
	v_mul_f32_e32 v32, v29, v30
	v_dual_sub_f32 v37, v38, v30 :: v_dual_mul_f32 v34, v33, v32
	s_delay_alu instid0(VALU_DEP_1) | instskip(NEXT) | instid1(VALU_DEP_2)
	v_add_f32_e32 v13, v13, v37
	v_fma_f32 v33, v32, v33, -v34
	s_delay_alu instid0(VALU_DEP_1) | instskip(NEXT) | instid1(VALU_DEP_1)
	v_fmac_f32_e32 v33, v32, v31
	v_add_f32_e32 v31, v34, v33
	s_delay_alu instid0(VALU_DEP_1) | instskip(SKIP_1) | instid1(VALU_DEP_2)
	v_sub_f32_e32 v36, v30, v31
	v_sub_f32_e32 v34, v31, v34
	;; [unrolled: 1-line block ×3, first 2 shown]
	s_delay_alu instid0(VALU_DEP_1) | instskip(NEXT) | instid1(VALU_DEP_3)
	v_sub_f32_e32 v30, v30, v31
	v_sub_f32_e32 v31, v34, v33
	s_delay_alu instid0(VALU_DEP_2) | instskip(NEXT) | instid1(VALU_DEP_1)
	v_dual_add_f32 v13, v13, v30 :: v_dual_add_f32 v30, v35, v32
	v_add_f32_e32 v13, v31, v13
	s_delay_alu instid0(VALU_DEP_2) | instskip(NEXT) | instid1(VALU_DEP_2)
	v_sub_f32_e32 v31, v30, v35
	v_add_f32_e32 v13, v36, v13
	s_delay_alu instid0(VALU_DEP_2) | instskip(NEXT) | instid1(VALU_DEP_2)
	v_sub_f32_e32 v31, v32, v31
	v_mul_f32_e32 v13, v29, v13
	s_delay_alu instid0(VALU_DEP_1) | instskip(NEXT) | instid1(VALU_DEP_1)
	v_add_f32_e32 v13, v31, v13
	v_add_f32_e32 v29, v30, v13
	s_delay_alu instid0(VALU_DEP_1) | instskip(NEXT) | instid1(VALU_DEP_1)
	v_mul_f32_e32 v31, v29, v29
	v_fmaak_f32 v32, s0, v31, 0x3ecc95a3
	v_mul_f32_e32 v33, v29, v31
	v_cmp_eq_f32_e64 s0, 0x7f800000, v7
	s_delay_alu instid0(VALU_DEP_3) | instskip(SKIP_2) | instid1(VALU_DEP_4)
	v_fmaak_f32 v31, v31, v32, 0x3f2aaada
	v_ldexp_f32 v32, v29, 1
	v_sub_f32_e32 v29, v29, v30
	s_or_b32 s0, s0, s23
	s_delay_alu instid0(VALU_DEP_3) | instskip(SKIP_1) | instid1(VALU_DEP_2)
	v_mul_f32_e32 v31, v33, v31
	v_mul_f32_e32 v33, 0x3f317218, v27
	v_dual_sub_f32 v13, v13, v29 :: v_dual_add_f32 v30, v32, v31
	s_delay_alu instid0(VALU_DEP_1) | instskip(NEXT) | instid1(VALU_DEP_2)
	v_ldexp_f32 v13, v13, 1
	v_sub_f32_e32 v29, v30, v32
	s_delay_alu instid0(VALU_DEP_4) | instskip(NEXT) | instid1(VALU_DEP_2)
	v_fma_f32 v32, 0x3f317218, v27, -v33
	v_sub_f32_e32 v29, v31, v29
	s_delay_alu instid0(VALU_DEP_2) | instskip(NEXT) | instid1(VALU_DEP_2)
	v_fmamk_f32 v27, v27, 0xb102e308, v32
	v_add_f32_e32 v13, v13, v29
	s_delay_alu instid0(VALU_DEP_2) | instskip(NEXT) | instid1(VALU_DEP_2)
	v_add_f32_e32 v29, v33, v27
	v_add_f32_e32 v31, v30, v13
	s_delay_alu instid0(VALU_DEP_2) | instskip(NEXT) | instid1(VALU_DEP_2)
	v_sub_f32_e32 v33, v29, v33
	v_add_f32_e32 v32, v29, v31
	v_sub_f32_e32 v30, v31, v30
	s_delay_alu instid0(VALU_DEP_3) | instskip(NEXT) | instid1(VALU_DEP_2)
	v_sub_f32_e32 v27, v27, v33
	v_dual_sub_f32 v34, v32, v29 :: v_dual_sub_f32 v13, v13, v30
	s_delay_alu instid0(VALU_DEP_1) | instskip(SKIP_1) | instid1(VALU_DEP_3)
	v_sub_f32_e32 v35, v32, v34
	v_sub_f32_e32 v30, v31, v34
	v_add_f32_e32 v31, v27, v13
	s_delay_alu instid0(VALU_DEP_3) | instskip(NEXT) | instid1(VALU_DEP_1)
	v_sub_f32_e32 v29, v29, v35
	v_dual_add_f32 v29, v30, v29 :: v_dual_sub_f32 v30, v31, v27
	s_delay_alu instid0(VALU_DEP_1) | instskip(NEXT) | instid1(VALU_DEP_2)
	v_add_f32_e32 v29, v31, v29
	v_sub_f32_e32 v31, v31, v30
	v_sub_f32_e32 v13, v13, v30
	s_delay_alu instid0(VALU_DEP_3) | instskip(NEXT) | instid1(VALU_DEP_1)
	v_add_f32_e32 v33, v32, v29
	v_dual_sub_f32 v27, v27, v31 :: v_dual_sub_f32 v30, v33, v32
	s_delay_alu instid0(VALU_DEP_1) | instskip(NEXT) | instid1(VALU_DEP_2)
	v_add_f32_e32 v13, v13, v27
	v_sub_f32_e32 v27, v29, v30
	s_delay_alu instid0(VALU_DEP_1) | instskip(NEXT) | instid1(VALU_DEP_1)
	v_add_f32_e32 v13, v13, v27
	v_add_f32_e32 v13, v33, v13
	s_delay_alu instid0(VALU_DEP_1) | instskip(NEXT) | instid1(VALU_DEP_1)
	v_cndmask_b32_e64 v7, v13, v7, s0
	v_add_f32_e32 v7, v26, v7
	s_delay_alu instid0(VALU_DEP_1) | instskip(NEXT) | instid1(VALU_DEP_1)
	v_cvt_f16_f32_e32 v30, v7
	v_cvt_f32_f16_e32 v13, v30
	v_mov_b32_e32 v7, v30
.LBB440_154:
	s_or_b32 exec_lo, exec_lo, s1
	s_delay_alu instid0(VALU_DEP_2) | instskip(SKIP_1) | instid1(VALU_DEP_2)
	v_dual_max_f32 v26, v23, v23 :: v_dual_max_f32 v27, v13, v13
	v_cmp_u_f16_e64 s0, v30, v30
	v_min_f32_e32 v29, v27, v26
	v_max_f32_e32 v26, v27, v26
	s_delay_alu instid0(VALU_DEP_2) | instskip(NEXT) | instid1(VALU_DEP_2)
	v_cndmask_b32_e64 v27, v29, v13, s0
	v_cndmask_b32_e64 v26, v26, v13, s0
	s_delay_alu instid0(VALU_DEP_2) | instskip(NEXT) | instid1(VALU_DEP_2)
	v_cndmask_b32_e64 v27, v27, v23, s40
	v_cndmask_b32_e64 v26, v26, v23, s40
	v_mov_b32_e32 v23, v7
	s_delay_alu instid0(VALU_DEP_3) | instskip(NEXT) | instid1(VALU_DEP_3)
	v_cmp_class_f32_e64 s1, v27, 0x1f8
	v_cmp_neq_f32_e64 s0, v27, v26
	s_delay_alu instid0(VALU_DEP_1) | instskip(NEXT) | instid1(SALU_CYCLE_1)
	s_or_b32 s0, s0, s1
	s_and_saveexec_b32 s1, s0
	s_cbranch_execz .LBB440_156
; %bb.155:
	v_sub_f32_e32 v13, v27, v26
	s_delay_alu instid0(VALU_DEP_1) | instskip(SKIP_1) | instid1(VALU_DEP_2)
	v_mul_f32_e32 v23, 0x3fb8aa3b, v13
	v_cmp_ngt_f32_e64 s0, 0xc2ce8ed0, v13
	v_fma_f32 v27, 0x3fb8aa3b, v13, -v23
	v_rndne_f32_e32 v29, v23
	s_delay_alu instid0(VALU_DEP_2) | instskip(NEXT) | instid1(VALU_DEP_2)
	v_fmamk_f32 v27, v13, 0x32a5705f, v27
	v_sub_f32_e32 v23, v23, v29
	s_delay_alu instid0(VALU_DEP_1) | instskip(SKIP_1) | instid1(VALU_DEP_2)
	v_add_f32_e32 v23, v23, v27
	v_cvt_i32_f32_e32 v27, v29
	v_exp_f32_e32 v23, v23
	s_waitcnt_depctr 0xfff
	v_ldexp_f32 v23, v23, v27
	s_delay_alu instid0(VALU_DEP_1) | instskip(SKIP_1) | instid1(VALU_DEP_1)
	v_cndmask_b32_e64 v23, 0, v23, s0
	v_cmp_nlt_f32_e64 s0, 0x42b17218, v13
	v_cndmask_b32_e64 v13, 0x7f800000, v23, s0
	s_delay_alu instid0(VALU_DEP_1) | instskip(SKIP_1) | instid1(VALU_DEP_2)
	v_add_f32_e32 v23, 1.0, v13
	v_cmp_gt_f32_e64 s23, 0x33800000, |v13|
	v_cvt_f64_f32_e32 v[29:30], v23
	s_delay_alu instid0(VALU_DEP_1) | instskip(SKIP_1) | instid1(VALU_DEP_1)
	v_frexp_exp_i32_f64_e32 v27, v[29:30]
	v_frexp_mant_f32_e32 v29, v23
	v_cmp_gt_f32_e64 s0, 0x3f2aaaab, v29
	v_add_f32_e32 v29, -1.0, v23
	s_delay_alu instid0(VALU_DEP_1) | instskip(SKIP_1) | instid1(VALU_DEP_2)
	v_sub_f32_e32 v31, v29, v23
	v_sub_f32_e32 v29, v13, v29
	v_add_f32_e32 v31, 1.0, v31
	s_delay_alu instid0(VALU_DEP_1) | instskip(SKIP_2) | instid1(VALU_DEP_1)
	v_add_f32_e32 v29, v29, v31
	v_subrev_co_ci_u32_e64 v27, s0, 0, v27, s0
	s_mov_b32 s0, 0x3e9b6dac
	v_sub_nc_u32_e32 v30, 0, v27
	v_cvt_f32_i32_e32 v27, v27
	s_delay_alu instid0(VALU_DEP_2) | instskip(SKIP_1) | instid1(VALU_DEP_2)
	v_ldexp_f32 v23, v23, v30
	v_ldexp_f32 v29, v29, v30
	v_add_f32_e32 v32, 1.0, v23
	s_delay_alu instid0(VALU_DEP_1) | instskip(NEXT) | instid1(VALU_DEP_1)
	v_dual_add_f32 v30, -1.0, v23 :: v_dual_add_f32 v31, -1.0, v32
	v_add_f32_e32 v33, 1.0, v30
	s_delay_alu instid0(VALU_DEP_2) | instskip(NEXT) | instid1(VALU_DEP_2)
	v_sub_f32_e32 v31, v23, v31
	v_sub_f32_e32 v23, v23, v33
	s_delay_alu instid0(VALU_DEP_2) | instskip(NEXT) | instid1(VALU_DEP_2)
	v_add_f32_e32 v31, v29, v31
	v_add_f32_e32 v23, v29, v23
	s_delay_alu instid0(VALU_DEP_2) | instskip(NEXT) | instid1(VALU_DEP_2)
	v_add_f32_e32 v33, v32, v31
	v_add_f32_e32 v34, v30, v23
	s_delay_alu instid0(VALU_DEP_2) | instskip(SKIP_1) | instid1(VALU_DEP_1)
	v_rcp_f32_e32 v29, v33
	v_sub_f32_e32 v32, v32, v33
	v_dual_sub_f32 v30, v30, v34 :: v_dual_add_f32 v31, v31, v32
	s_delay_alu instid0(VALU_DEP_1) | instskip(SKIP_2) | instid1(VALU_DEP_1)
	v_add_f32_e32 v23, v23, v30
	s_waitcnt_depctr 0xfff
	v_mul_f32_e32 v35, v34, v29
	v_mul_f32_e32 v36, v33, v35
	s_delay_alu instid0(VALU_DEP_1) | instskip(NEXT) | instid1(VALU_DEP_1)
	v_fma_f32 v32, v35, v33, -v36
	v_fmac_f32_e32 v32, v35, v31
	s_delay_alu instid0(VALU_DEP_1) | instskip(NEXT) | instid1(VALU_DEP_1)
	v_add_f32_e32 v37, v36, v32
	v_sub_f32_e32 v38, v34, v37
	v_sub_f32_e32 v30, v37, v36
	s_delay_alu instid0(VALU_DEP_2) | instskip(NEXT) | instid1(VALU_DEP_2)
	v_sub_f32_e32 v34, v34, v38
	v_sub_f32_e32 v30, v30, v32
	s_delay_alu instid0(VALU_DEP_2) | instskip(NEXT) | instid1(VALU_DEP_1)
	v_sub_f32_e32 v34, v34, v37
	v_add_f32_e32 v23, v23, v34
	s_delay_alu instid0(VALU_DEP_1) | instskip(NEXT) | instid1(VALU_DEP_1)
	v_add_f32_e32 v23, v30, v23
	v_add_f32_e32 v30, v38, v23
	s_delay_alu instid0(VALU_DEP_1) | instskip(NEXT) | instid1(VALU_DEP_1)
	v_mul_f32_e32 v32, v29, v30
	v_dual_sub_f32 v37, v38, v30 :: v_dual_mul_f32 v34, v33, v32
	s_delay_alu instid0(VALU_DEP_1) | instskip(NEXT) | instid1(VALU_DEP_2)
	v_add_f32_e32 v23, v23, v37
	v_fma_f32 v33, v32, v33, -v34
	s_delay_alu instid0(VALU_DEP_1) | instskip(NEXT) | instid1(VALU_DEP_1)
	v_fmac_f32_e32 v33, v32, v31
	v_add_f32_e32 v31, v34, v33
	s_delay_alu instid0(VALU_DEP_1) | instskip(SKIP_1) | instid1(VALU_DEP_2)
	v_sub_f32_e32 v36, v30, v31
	v_sub_f32_e32 v34, v31, v34
	;; [unrolled: 1-line block ×3, first 2 shown]
	s_delay_alu instid0(VALU_DEP_1) | instskip(NEXT) | instid1(VALU_DEP_3)
	v_sub_f32_e32 v30, v30, v31
	v_sub_f32_e32 v31, v34, v33
	s_delay_alu instid0(VALU_DEP_2) | instskip(SKIP_1) | instid1(VALU_DEP_2)
	v_add_f32_e32 v23, v23, v30
	v_add_f32_e32 v30, v35, v32
	;; [unrolled: 1-line block ×3, first 2 shown]
	s_delay_alu instid0(VALU_DEP_2) | instskip(NEXT) | instid1(VALU_DEP_2)
	v_sub_f32_e32 v31, v30, v35
	v_add_f32_e32 v23, v36, v23
	s_delay_alu instid0(VALU_DEP_2) | instskip(NEXT) | instid1(VALU_DEP_2)
	v_sub_f32_e32 v31, v32, v31
	v_mul_f32_e32 v23, v29, v23
	s_delay_alu instid0(VALU_DEP_1) | instskip(NEXT) | instid1(VALU_DEP_1)
	v_add_f32_e32 v23, v31, v23
	v_add_f32_e32 v29, v30, v23
	s_delay_alu instid0(VALU_DEP_1) | instskip(NEXT) | instid1(VALU_DEP_1)
	v_mul_f32_e32 v31, v29, v29
	v_fmaak_f32 v32, s0, v31, 0x3ecc95a3
	v_mul_f32_e32 v33, v29, v31
	v_cmp_eq_f32_e64 s0, 0x7f800000, v13
	s_delay_alu instid0(VALU_DEP_3) | instskip(SKIP_2) | instid1(VALU_DEP_4)
	v_fmaak_f32 v31, v31, v32, 0x3f2aaada
	v_ldexp_f32 v32, v29, 1
	v_sub_f32_e32 v29, v29, v30
	s_or_b32 s0, s0, s23
	s_delay_alu instid0(VALU_DEP_3) | instskip(SKIP_1) | instid1(VALU_DEP_2)
	v_mul_f32_e32 v31, v33, v31
	v_mul_f32_e32 v33, 0x3f317218, v27
	v_dual_sub_f32 v23, v23, v29 :: v_dual_add_f32 v30, v32, v31
	s_delay_alu instid0(VALU_DEP_1) | instskip(NEXT) | instid1(VALU_DEP_2)
	v_ldexp_f32 v23, v23, 1
	v_sub_f32_e32 v29, v30, v32
	s_delay_alu instid0(VALU_DEP_4) | instskip(NEXT) | instid1(VALU_DEP_2)
	v_fma_f32 v32, 0x3f317218, v27, -v33
	v_sub_f32_e32 v29, v31, v29
	s_delay_alu instid0(VALU_DEP_2) | instskip(NEXT) | instid1(VALU_DEP_2)
	v_fmamk_f32 v27, v27, 0xb102e308, v32
	v_add_f32_e32 v23, v23, v29
	s_delay_alu instid0(VALU_DEP_2) | instskip(NEXT) | instid1(VALU_DEP_2)
	v_add_f32_e32 v29, v33, v27
	v_add_f32_e32 v31, v30, v23
	s_delay_alu instid0(VALU_DEP_2) | instskip(NEXT) | instid1(VALU_DEP_2)
	v_sub_f32_e32 v33, v29, v33
	v_add_f32_e32 v32, v29, v31
	v_sub_f32_e32 v30, v31, v30
	s_delay_alu instid0(VALU_DEP_3) | instskip(NEXT) | instid1(VALU_DEP_2)
	v_sub_f32_e32 v27, v27, v33
	v_dual_sub_f32 v34, v32, v29 :: v_dual_sub_f32 v23, v23, v30
	s_delay_alu instid0(VALU_DEP_1) | instskip(SKIP_1) | instid1(VALU_DEP_3)
	v_sub_f32_e32 v35, v32, v34
	v_sub_f32_e32 v30, v31, v34
	v_add_f32_e32 v31, v27, v23
	s_delay_alu instid0(VALU_DEP_3) | instskip(NEXT) | instid1(VALU_DEP_1)
	v_sub_f32_e32 v29, v29, v35
	v_dual_add_f32 v29, v30, v29 :: v_dual_sub_f32 v30, v31, v27
	s_delay_alu instid0(VALU_DEP_1) | instskip(NEXT) | instid1(VALU_DEP_2)
	v_add_f32_e32 v29, v31, v29
	v_sub_f32_e32 v31, v31, v30
	v_sub_f32_e32 v23, v23, v30
	s_delay_alu instid0(VALU_DEP_3) | instskip(NEXT) | instid1(VALU_DEP_1)
	v_add_f32_e32 v33, v32, v29
	v_dual_sub_f32 v27, v27, v31 :: v_dual_sub_f32 v30, v33, v32
	s_delay_alu instid0(VALU_DEP_1) | instskip(NEXT) | instid1(VALU_DEP_2)
	v_add_f32_e32 v23, v23, v27
	v_sub_f32_e32 v27, v29, v30
	s_delay_alu instid0(VALU_DEP_1) | instskip(NEXT) | instid1(VALU_DEP_1)
	v_add_f32_e32 v23, v23, v27
	v_add_f32_e32 v23, v33, v23
	s_delay_alu instid0(VALU_DEP_1) | instskip(NEXT) | instid1(VALU_DEP_1)
	v_cndmask_b32_e64 v13, v23, v13, s0
	v_add_f32_e32 v13, v26, v13
	s_delay_alu instid0(VALU_DEP_1) | instskip(NEXT) | instid1(VALU_DEP_1)
	v_cvt_f16_f32_e32 v30, v13
	v_cvt_f32_f16_e32 v13, v30
	v_mov_b32_e32 v23, v30
.LBB440_156:
	s_or_b32 exec_lo, exec_lo, s1
	s_delay_alu instid0(VALU_DEP_2) | instskip(SKIP_1) | instid1(VALU_DEP_2)
	v_dual_max_f32 v26, v4, v4 :: v_dual_max_f32 v27, v13, v13
	v_cmp_u_f16_e64 s0, v30, v30
	v_min_f32_e32 v29, v27, v26
	v_max_f32_e32 v26, v27, v26
	s_delay_alu instid0(VALU_DEP_2) | instskip(NEXT) | instid1(VALU_DEP_2)
	v_cndmask_b32_e64 v27, v29, v13, s0
	v_cndmask_b32_e64 v26, v26, v13, s0
	s_delay_alu instid0(VALU_DEP_2) | instskip(NEXT) | instid1(VALU_DEP_2)
	v_cndmask_b32_e64 v27, v27, v4, s41
	v_cndmask_b32_e64 v26, v26, v4, s41
	v_mov_b32_e32 v4, v23
	s_delay_alu instid0(VALU_DEP_3) | instskip(NEXT) | instid1(VALU_DEP_3)
	v_cmp_class_f32_e64 s1, v27, 0x1f8
	v_cmp_neq_f32_e64 s0, v27, v26
	s_delay_alu instid0(VALU_DEP_1) | instskip(NEXT) | instid1(SALU_CYCLE_1)
	s_or_b32 s0, s0, s1
	s_and_saveexec_b32 s1, s0
	s_cbranch_execz .LBB440_158
; %bb.157:
	v_sub_f32_e32 v4, v27, v26
	s_delay_alu instid0(VALU_DEP_1) | instskip(NEXT) | instid1(VALU_DEP_1)
	v_mul_f32_e32 v13, 0x3fb8aa3b, v4
	v_fma_f32 v27, 0x3fb8aa3b, v4, -v13
	v_rndne_f32_e32 v29, v13
	s_delay_alu instid0(VALU_DEP_1) | instskip(NEXT) | instid1(VALU_DEP_3)
	v_sub_f32_e32 v13, v13, v29
	v_fmamk_f32 v27, v4, 0x32a5705f, v27
	v_cmp_ngt_f32_e64 s0, 0xc2ce8ed0, v4
	s_delay_alu instid0(VALU_DEP_2) | instskip(SKIP_1) | instid1(VALU_DEP_2)
	v_add_f32_e32 v13, v13, v27
	v_cvt_i32_f32_e32 v27, v29
	v_exp_f32_e32 v13, v13
	s_waitcnt_depctr 0xfff
	v_ldexp_f32 v13, v13, v27
	s_delay_alu instid0(VALU_DEP_1) | instskip(SKIP_1) | instid1(VALU_DEP_1)
	v_cndmask_b32_e64 v13, 0, v13, s0
	v_cmp_nlt_f32_e64 s0, 0x42b17218, v4
	v_cndmask_b32_e64 v4, 0x7f800000, v13, s0
	s_delay_alu instid0(VALU_DEP_1) | instskip(SKIP_1) | instid1(VALU_DEP_2)
	v_add_f32_e32 v13, 1.0, v4
	v_cmp_gt_f32_e64 s23, 0x33800000, |v4|
	v_cvt_f64_f32_e32 v[29:30], v13
	s_delay_alu instid0(VALU_DEP_1) | instskip(SKIP_1) | instid1(VALU_DEP_1)
	v_frexp_exp_i32_f64_e32 v27, v[29:30]
	v_frexp_mant_f32_e32 v29, v13
	v_cmp_gt_f32_e64 s0, 0x3f2aaaab, v29
	v_add_f32_e32 v29, -1.0, v13
	s_delay_alu instid0(VALU_DEP_1) | instskip(SKIP_1) | instid1(VALU_DEP_4)
	v_sub_f32_e32 v31, v29, v13
	v_sub_f32_e32 v29, v4, v29
	v_subrev_co_ci_u32_e64 v27, s0, 0, v27, s0
	s_mov_b32 s0, 0x3e9b6dac
	s_delay_alu instid0(VALU_DEP_1) | instskip(SKIP_1) | instid1(VALU_DEP_2)
	v_sub_nc_u32_e32 v30, 0, v27
	v_cvt_f32_i32_e32 v27, v27
	v_ldexp_f32 v13, v13, v30
	s_delay_alu instid0(VALU_DEP_1) | instskip(NEXT) | instid1(VALU_DEP_1)
	v_dual_add_f32 v31, 1.0, v31 :: v_dual_add_f32 v32, 1.0, v13
	v_add_f32_e32 v29, v29, v31
	s_delay_alu instid0(VALU_DEP_2) | instskip(NEXT) | instid1(VALU_DEP_2)
	v_add_f32_e32 v31, -1.0, v32
	v_ldexp_f32 v29, v29, v30
	s_delay_alu instid0(VALU_DEP_2) | instskip(NEXT) | instid1(VALU_DEP_1)
	v_dual_add_f32 v30, -1.0, v13 :: v_dual_sub_f32 v31, v13, v31
	v_add_f32_e32 v33, 1.0, v30
	s_delay_alu instid0(VALU_DEP_2) | instskip(NEXT) | instid1(VALU_DEP_2)
	v_add_f32_e32 v31, v29, v31
	v_sub_f32_e32 v13, v13, v33
	s_delay_alu instid0(VALU_DEP_2) | instskip(NEXT) | instid1(VALU_DEP_2)
	v_add_f32_e32 v33, v32, v31
	v_add_f32_e32 v13, v29, v13
	s_delay_alu instid0(VALU_DEP_2) | instskip(SKIP_1) | instid1(VALU_DEP_1)
	v_rcp_f32_e32 v29, v33
	v_sub_f32_e32 v32, v32, v33
	v_dual_add_f32 v34, v30, v13 :: v_dual_add_f32 v31, v31, v32
	s_delay_alu instid0(VALU_DEP_1) | instskip(SKIP_3) | instid1(VALU_DEP_2)
	v_sub_f32_e32 v30, v30, v34
	s_waitcnt_depctr 0xfff
	v_mul_f32_e32 v35, v34, v29
	v_add_f32_e32 v13, v13, v30
	v_mul_f32_e32 v36, v33, v35
	s_delay_alu instid0(VALU_DEP_1) | instskip(NEXT) | instid1(VALU_DEP_1)
	v_fma_f32 v32, v35, v33, -v36
	v_fmac_f32_e32 v32, v35, v31
	s_delay_alu instid0(VALU_DEP_1) | instskip(NEXT) | instid1(VALU_DEP_1)
	v_add_f32_e32 v37, v36, v32
	v_sub_f32_e32 v38, v34, v37
	v_sub_f32_e32 v30, v37, v36
	s_delay_alu instid0(VALU_DEP_2) | instskip(NEXT) | instid1(VALU_DEP_2)
	v_sub_f32_e32 v34, v34, v38
	v_sub_f32_e32 v30, v30, v32
	s_delay_alu instid0(VALU_DEP_2) | instskip(NEXT) | instid1(VALU_DEP_1)
	v_sub_f32_e32 v34, v34, v37
	v_add_f32_e32 v13, v13, v34
	s_delay_alu instid0(VALU_DEP_1) | instskip(NEXT) | instid1(VALU_DEP_1)
	v_add_f32_e32 v13, v30, v13
	v_add_f32_e32 v30, v38, v13
	s_delay_alu instid0(VALU_DEP_1) | instskip(NEXT) | instid1(VALU_DEP_1)
	v_mul_f32_e32 v32, v29, v30
	v_dual_sub_f32 v37, v38, v30 :: v_dual_mul_f32 v34, v33, v32
	s_delay_alu instid0(VALU_DEP_1) | instskip(NEXT) | instid1(VALU_DEP_2)
	v_add_f32_e32 v13, v13, v37
	v_fma_f32 v33, v32, v33, -v34
	s_delay_alu instid0(VALU_DEP_1) | instskip(NEXT) | instid1(VALU_DEP_1)
	v_fmac_f32_e32 v33, v32, v31
	v_add_f32_e32 v31, v34, v33
	s_delay_alu instid0(VALU_DEP_1) | instskip(SKIP_1) | instid1(VALU_DEP_2)
	v_sub_f32_e32 v36, v30, v31
	v_sub_f32_e32 v34, v31, v34
	;; [unrolled: 1-line block ×3, first 2 shown]
	s_delay_alu instid0(VALU_DEP_1) | instskip(NEXT) | instid1(VALU_DEP_3)
	v_sub_f32_e32 v30, v30, v31
	v_sub_f32_e32 v31, v34, v33
	s_delay_alu instid0(VALU_DEP_2) | instskip(NEXT) | instid1(VALU_DEP_1)
	v_dual_add_f32 v13, v13, v30 :: v_dual_add_f32 v30, v35, v32
	v_add_f32_e32 v13, v31, v13
	s_delay_alu instid0(VALU_DEP_2) | instskip(NEXT) | instid1(VALU_DEP_2)
	v_sub_f32_e32 v31, v30, v35
	v_add_f32_e32 v13, v36, v13
	s_delay_alu instid0(VALU_DEP_2) | instskip(NEXT) | instid1(VALU_DEP_2)
	v_sub_f32_e32 v31, v32, v31
	v_mul_f32_e32 v13, v29, v13
	s_delay_alu instid0(VALU_DEP_1) | instskip(NEXT) | instid1(VALU_DEP_1)
	v_add_f32_e32 v13, v31, v13
	v_add_f32_e32 v29, v30, v13
	s_delay_alu instid0(VALU_DEP_1) | instskip(NEXT) | instid1(VALU_DEP_1)
	v_mul_f32_e32 v31, v29, v29
	v_fmaak_f32 v32, s0, v31, 0x3ecc95a3
	v_mul_f32_e32 v33, v29, v31
	v_cmp_eq_f32_e64 s0, 0x7f800000, v4
	s_delay_alu instid0(VALU_DEP_3) | instskip(SKIP_2) | instid1(VALU_DEP_4)
	v_fmaak_f32 v31, v31, v32, 0x3f2aaada
	v_ldexp_f32 v32, v29, 1
	v_sub_f32_e32 v29, v29, v30
	s_or_b32 s0, s0, s23
	s_delay_alu instid0(VALU_DEP_3) | instskip(SKIP_1) | instid1(VALU_DEP_2)
	v_mul_f32_e32 v31, v33, v31
	v_mul_f32_e32 v33, 0x3f317218, v27
	v_dual_sub_f32 v13, v13, v29 :: v_dual_add_f32 v30, v32, v31
	s_delay_alu instid0(VALU_DEP_1) | instskip(NEXT) | instid1(VALU_DEP_2)
	v_ldexp_f32 v13, v13, 1
	v_sub_f32_e32 v29, v30, v32
	s_delay_alu instid0(VALU_DEP_4) | instskip(NEXT) | instid1(VALU_DEP_2)
	v_fma_f32 v32, 0x3f317218, v27, -v33
	v_sub_f32_e32 v29, v31, v29
	s_delay_alu instid0(VALU_DEP_2) | instskip(NEXT) | instid1(VALU_DEP_2)
	v_fmamk_f32 v27, v27, 0xb102e308, v32
	v_add_f32_e32 v13, v13, v29
	s_delay_alu instid0(VALU_DEP_2) | instskip(NEXT) | instid1(VALU_DEP_2)
	v_add_f32_e32 v29, v33, v27
	v_add_f32_e32 v31, v30, v13
	s_delay_alu instid0(VALU_DEP_2) | instskip(NEXT) | instid1(VALU_DEP_2)
	v_sub_f32_e32 v33, v29, v33
	v_add_f32_e32 v32, v29, v31
	v_sub_f32_e32 v30, v31, v30
	s_delay_alu instid0(VALU_DEP_3) | instskip(NEXT) | instid1(VALU_DEP_2)
	v_sub_f32_e32 v27, v27, v33
	v_dual_sub_f32 v34, v32, v29 :: v_dual_sub_f32 v13, v13, v30
	s_delay_alu instid0(VALU_DEP_1) | instskip(SKIP_1) | instid1(VALU_DEP_3)
	v_sub_f32_e32 v35, v32, v34
	v_sub_f32_e32 v30, v31, v34
	v_add_f32_e32 v31, v27, v13
	s_delay_alu instid0(VALU_DEP_3) | instskip(NEXT) | instid1(VALU_DEP_1)
	v_sub_f32_e32 v29, v29, v35
	v_dual_add_f32 v29, v30, v29 :: v_dual_sub_f32 v30, v31, v27
	s_delay_alu instid0(VALU_DEP_1) | instskip(NEXT) | instid1(VALU_DEP_2)
	v_add_f32_e32 v29, v31, v29
	v_sub_f32_e32 v31, v31, v30
	v_sub_f32_e32 v13, v13, v30
	s_delay_alu instid0(VALU_DEP_3) | instskip(NEXT) | instid1(VALU_DEP_1)
	v_add_f32_e32 v33, v32, v29
	v_dual_sub_f32 v27, v27, v31 :: v_dual_sub_f32 v30, v33, v32
	s_delay_alu instid0(VALU_DEP_1) | instskip(NEXT) | instid1(VALU_DEP_2)
	v_add_f32_e32 v13, v13, v27
	v_sub_f32_e32 v27, v29, v30
	s_delay_alu instid0(VALU_DEP_1) | instskip(NEXT) | instid1(VALU_DEP_1)
	v_add_f32_e32 v13, v13, v27
	v_add_f32_e32 v13, v33, v13
	s_delay_alu instid0(VALU_DEP_1) | instskip(NEXT) | instid1(VALU_DEP_1)
	v_cndmask_b32_e64 v4, v13, v4, s0
	v_add_f32_e32 v4, v26, v4
	s_delay_alu instid0(VALU_DEP_1) | instskip(NEXT) | instid1(VALU_DEP_1)
	v_cvt_f16_f32_e32 v30, v4
	v_mov_b32_e32 v4, v30
	v_cvt_f32_f16_e32 v13, v30
.LBB440_158:
	s_or_b32 exec_lo, exec_lo, s1
	s_delay_alu instid0(VALU_DEP_1) | instskip(SKIP_1) | instid1(VALU_DEP_2)
	v_dual_max_f32 v26, v24, v24 :: v_dual_max_f32 v27, v13, v13
	v_cmp_u_f16_e64 s0, v30, v30
	v_min_f32_e32 v29, v27, v26
	v_max_f32_e32 v26, v27, v26
	s_delay_alu instid0(VALU_DEP_2) | instskip(NEXT) | instid1(VALU_DEP_2)
	v_cndmask_b32_e64 v27, v29, v13, s0
	v_cndmask_b32_e64 v26, v26, v13, s0
	s_delay_alu instid0(VALU_DEP_2) | instskip(NEXT) | instid1(VALU_DEP_2)
	v_cndmask_b32_e64 v27, v27, v24, s42
	v_cndmask_b32_e64 v26, v26, v24, s42
	v_mov_b32_e32 v24, v4
	s_delay_alu instid0(VALU_DEP_3) | instskip(NEXT) | instid1(VALU_DEP_3)
	v_cmp_class_f32_e64 s1, v27, 0x1f8
	v_cmp_neq_f32_e64 s0, v27, v26
	s_delay_alu instid0(VALU_DEP_1) | instskip(NEXT) | instid1(SALU_CYCLE_1)
	s_or_b32 s0, s0, s1
	s_and_saveexec_b32 s1, s0
	s_cbranch_execz .LBB440_160
; %bb.159:
	v_sub_f32_e32 v13, v27, v26
	s_delay_alu instid0(VALU_DEP_1) | instskip(NEXT) | instid1(VALU_DEP_1)
	v_mul_f32_e32 v24, 0x3fb8aa3b, v13
	v_fma_f32 v27, 0x3fb8aa3b, v13, -v24
	v_rndne_f32_e32 v29, v24
	s_delay_alu instid0(VALU_DEP_1) | instskip(SKIP_1) | instid1(VALU_DEP_2)
	v_dual_sub_f32 v24, v24, v29 :: v_dual_fmamk_f32 v27, v13, 0x32a5705f, v27
	v_cmp_ngt_f32_e64 s0, 0xc2ce8ed0, v13
	v_add_f32_e32 v24, v24, v27
	v_cvt_i32_f32_e32 v27, v29
	s_delay_alu instid0(VALU_DEP_2) | instskip(SKIP_2) | instid1(VALU_DEP_1)
	v_exp_f32_e32 v24, v24
	s_waitcnt_depctr 0xfff
	v_ldexp_f32 v24, v24, v27
	v_cndmask_b32_e64 v24, 0, v24, s0
	v_cmp_nlt_f32_e64 s0, 0x42b17218, v13
	s_delay_alu instid0(VALU_DEP_1) | instskip(NEXT) | instid1(VALU_DEP_1)
	v_cndmask_b32_e64 v13, 0x7f800000, v24, s0
	v_add_f32_e32 v24, 1.0, v13
	v_cmp_gt_f32_e64 s23, 0x33800000, |v13|
	s_delay_alu instid0(VALU_DEP_2) | instskip(NEXT) | instid1(VALU_DEP_1)
	v_cvt_f64_f32_e32 v[29:30], v24
	v_frexp_exp_i32_f64_e32 v27, v[29:30]
	v_frexp_mant_f32_e32 v29, v24
	s_delay_alu instid0(VALU_DEP_1) | instskip(SKIP_1) | instid1(VALU_DEP_1)
	v_cmp_gt_f32_e64 s0, 0x3f2aaaab, v29
	v_add_f32_e32 v29, -1.0, v24
	v_sub_f32_e32 v31, v29, v24
	v_sub_f32_e32 v29, v13, v29
	s_delay_alu instid0(VALU_DEP_2) | instskip(NEXT) | instid1(VALU_DEP_1)
	v_add_f32_e32 v31, 1.0, v31
	v_add_f32_e32 v29, v29, v31
	v_subrev_co_ci_u32_e64 v27, s0, 0, v27, s0
	s_mov_b32 s0, 0x3e9b6dac
	s_delay_alu instid0(VALU_DEP_1) | instskip(SKIP_1) | instid1(VALU_DEP_2)
	v_sub_nc_u32_e32 v30, 0, v27
	v_cvt_f32_i32_e32 v27, v27
	v_ldexp_f32 v24, v24, v30
	v_ldexp_f32 v29, v29, v30
	s_delay_alu instid0(VALU_DEP_2) | instskip(NEXT) | instid1(VALU_DEP_1)
	v_add_f32_e32 v32, 1.0, v24
	v_add_f32_e32 v31, -1.0, v32
	s_delay_alu instid0(VALU_DEP_1) | instskip(NEXT) | instid1(VALU_DEP_1)
	v_dual_add_f32 v30, -1.0, v24 :: v_dual_sub_f32 v31, v24, v31
	v_add_f32_e32 v33, 1.0, v30
	s_delay_alu instid0(VALU_DEP_1) | instskip(NEXT) | instid1(VALU_DEP_1)
	v_sub_f32_e32 v24, v24, v33
	v_add_f32_e32 v24, v29, v24
	s_delay_alu instid0(VALU_DEP_1) | instskip(NEXT) | instid1(VALU_DEP_1)
	v_dual_add_f32 v31, v29, v31 :: v_dual_add_f32 v34, v30, v24
	v_dual_add_f32 v33, v32, v31 :: v_dual_sub_f32 v30, v30, v34
	s_delay_alu instid0(VALU_DEP_1) | instskip(SKIP_1) | instid1(VALU_DEP_1)
	v_rcp_f32_e32 v29, v33
	v_sub_f32_e32 v32, v32, v33
	v_dual_add_f32 v24, v24, v30 :: v_dual_add_f32 v31, v31, v32
	s_waitcnt_depctr 0xfff
	v_mul_f32_e32 v35, v34, v29
	s_delay_alu instid0(VALU_DEP_1) | instskip(NEXT) | instid1(VALU_DEP_1)
	v_mul_f32_e32 v36, v33, v35
	v_fma_f32 v32, v35, v33, -v36
	s_delay_alu instid0(VALU_DEP_1) | instskip(NEXT) | instid1(VALU_DEP_1)
	v_fmac_f32_e32 v32, v35, v31
	v_add_f32_e32 v37, v36, v32
	s_delay_alu instid0(VALU_DEP_1) | instskip(NEXT) | instid1(VALU_DEP_1)
	v_sub_f32_e32 v38, v34, v37
	v_sub_f32_e32 v34, v34, v38
	;; [unrolled: 1-line block ×3, first 2 shown]
	s_delay_alu instid0(VALU_DEP_2) | instskip(NEXT) | instid1(VALU_DEP_2)
	v_sub_f32_e32 v34, v34, v37
	v_sub_f32_e32 v30, v30, v32
	s_delay_alu instid0(VALU_DEP_2) | instskip(NEXT) | instid1(VALU_DEP_1)
	v_add_f32_e32 v24, v24, v34
	v_add_f32_e32 v24, v30, v24
	s_delay_alu instid0(VALU_DEP_1) | instskip(NEXT) | instid1(VALU_DEP_1)
	v_add_f32_e32 v30, v38, v24
	v_mul_f32_e32 v32, v29, v30
	s_delay_alu instid0(VALU_DEP_1) | instskip(NEXT) | instid1(VALU_DEP_1)
	v_dual_sub_f32 v37, v38, v30 :: v_dual_mul_f32 v34, v33, v32
	v_add_f32_e32 v24, v24, v37
	s_delay_alu instid0(VALU_DEP_2) | instskip(NEXT) | instid1(VALU_DEP_1)
	v_fma_f32 v33, v32, v33, -v34
	v_fmac_f32_e32 v33, v32, v31
	s_delay_alu instid0(VALU_DEP_1) | instskip(NEXT) | instid1(VALU_DEP_1)
	v_add_f32_e32 v31, v34, v33
	v_sub_f32_e32 v36, v30, v31
	s_delay_alu instid0(VALU_DEP_1) | instskip(NEXT) | instid1(VALU_DEP_1)
	v_sub_f32_e32 v30, v30, v36
	v_sub_f32_e32 v30, v30, v31
	s_delay_alu instid0(VALU_DEP_1) | instskip(SKIP_2) | instid1(VALU_DEP_1)
	v_add_f32_e32 v24, v24, v30
	v_add_f32_e32 v30, v35, v32
	v_sub_f32_e32 v34, v31, v34
	v_sub_f32_e32 v31, v34, v33
	s_delay_alu instid0(VALU_DEP_1) | instskip(NEXT) | instid1(VALU_DEP_1)
	v_dual_add_f32 v24, v31, v24 :: v_dual_sub_f32 v31, v30, v35
	v_add_f32_e32 v24, v36, v24
	s_delay_alu instid0(VALU_DEP_1) | instskip(NEXT) | instid1(VALU_DEP_1)
	v_dual_sub_f32 v31, v32, v31 :: v_dual_mul_f32 v24, v29, v24
	v_add_f32_e32 v24, v31, v24
	s_delay_alu instid0(VALU_DEP_1) | instskip(NEXT) | instid1(VALU_DEP_1)
	v_add_f32_e32 v29, v30, v24
	v_mul_f32_e32 v31, v29, v29
	s_delay_alu instid0(VALU_DEP_1) | instskip(SKIP_2) | instid1(VALU_DEP_3)
	v_fmaak_f32 v32, s0, v31, 0x3ecc95a3
	v_mul_f32_e32 v33, v29, v31
	v_cmp_eq_f32_e64 s0, 0x7f800000, v13
	v_fmaak_f32 v31, v31, v32, 0x3f2aaada
	v_ldexp_f32 v32, v29, 1
	v_sub_f32_e32 v29, v29, v30
	s_delay_alu instid0(VALU_DEP_4) | instskip(NEXT) | instid1(VALU_DEP_3)
	s_or_b32 s0, s0, s23
	v_mul_f32_e32 v31, v33, v31
	s_delay_alu instid0(VALU_DEP_2) | instskip(NEXT) | instid1(VALU_DEP_2)
	v_dual_mul_f32 v33, 0x3f317218, v27 :: v_dual_sub_f32 v24, v24, v29
	v_add_f32_e32 v30, v32, v31
	s_delay_alu instid0(VALU_DEP_2) | instskip(NEXT) | instid1(VALU_DEP_2)
	v_ldexp_f32 v24, v24, 1
	v_sub_f32_e32 v29, v30, v32
	s_delay_alu instid0(VALU_DEP_4) | instskip(NEXT) | instid1(VALU_DEP_2)
	v_fma_f32 v32, 0x3f317218, v27, -v33
	v_sub_f32_e32 v29, v31, v29
	s_delay_alu instid0(VALU_DEP_1) | instskip(NEXT) | instid1(VALU_DEP_1)
	v_dual_fmamk_f32 v27, v27, 0xb102e308, v32 :: v_dual_add_f32 v24, v24, v29
	v_add_f32_e32 v29, v33, v27
	s_delay_alu instid0(VALU_DEP_1) | instskip(NEXT) | instid1(VALU_DEP_1)
	v_sub_f32_e32 v33, v29, v33
	v_sub_f32_e32 v27, v27, v33
	s_delay_alu instid0(VALU_DEP_4) | instskip(NEXT) | instid1(VALU_DEP_1)
	v_add_f32_e32 v31, v30, v24
	v_sub_f32_e32 v30, v31, v30
	s_delay_alu instid0(VALU_DEP_1) | instskip(SKIP_1) | instid1(VALU_DEP_1)
	v_sub_f32_e32 v24, v24, v30
	v_add_f32_e32 v32, v29, v31
	v_sub_f32_e32 v34, v32, v29
	s_delay_alu instid0(VALU_DEP_1) | instskip(NEXT) | instid1(VALU_DEP_4)
	v_sub_f32_e32 v30, v31, v34
	v_add_f32_e32 v31, v27, v24
	v_sub_f32_e32 v35, v32, v34
	s_delay_alu instid0(VALU_DEP_1) | instskip(NEXT) | instid1(VALU_DEP_1)
	v_sub_f32_e32 v29, v29, v35
	v_dual_add_f32 v29, v30, v29 :: v_dual_sub_f32 v30, v31, v27
	s_delay_alu instid0(VALU_DEP_1) | instskip(SKIP_1) | instid1(VALU_DEP_2)
	v_dual_add_f32 v29, v31, v29 :: v_dual_sub_f32 v24, v24, v30
	v_sub_f32_e32 v31, v31, v30
	v_add_f32_e32 v33, v32, v29
	s_delay_alu instid0(VALU_DEP_1) | instskip(NEXT) | instid1(VALU_DEP_1)
	v_dual_sub_f32 v27, v27, v31 :: v_dual_sub_f32 v30, v33, v32
	v_dual_add_f32 v24, v24, v27 :: v_dual_sub_f32 v27, v29, v30
	s_delay_alu instid0(VALU_DEP_1) | instskip(NEXT) | instid1(VALU_DEP_1)
	v_add_f32_e32 v24, v24, v27
	v_add_f32_e32 v24, v33, v24
	s_delay_alu instid0(VALU_DEP_1) | instskip(NEXT) | instid1(VALU_DEP_1)
	v_cndmask_b32_e64 v13, v24, v13, s0
	v_add_f32_e32 v13, v26, v13
	s_delay_alu instid0(VALU_DEP_1) | instskip(NEXT) | instid1(VALU_DEP_1)
	v_cvt_f16_f32_e32 v30, v13
	v_cvt_f32_f16_e32 v13, v30
	v_mov_b32_e32 v24, v30
.LBB440_160:
	s_or_b32 exec_lo, exec_lo, s1
	v_max_f32_e32 v26, v5, v5
	s_delay_alu instid0(VALU_DEP_3) | instskip(SKIP_1) | instid1(VALU_DEP_2)
	v_max_f32_e32 v27, v13, v13
	v_cmp_u_f16_e64 s0, v30, v30
	v_min_f32_e32 v29, v27, v26
	v_max_f32_e32 v26, v27, v26
	s_delay_alu instid0(VALU_DEP_2) | instskip(NEXT) | instid1(VALU_DEP_2)
	v_cndmask_b32_e64 v27, v29, v13, s0
	v_cndmask_b32_e64 v26, v26, v13, s0
	s_delay_alu instid0(VALU_DEP_2) | instskip(NEXT) | instid1(VALU_DEP_2)
	v_cndmask_b32_e64 v27, v27, v5, s43
	v_cndmask_b32_e64 v26, v26, v5, s43
	v_mov_b32_e32 v5, v24
	s_delay_alu instid0(VALU_DEP_3) | instskip(NEXT) | instid1(VALU_DEP_3)
	v_cmp_class_f32_e64 s1, v27, 0x1f8
	v_cmp_neq_f32_e64 s0, v27, v26
	s_delay_alu instid0(VALU_DEP_1) | instskip(NEXT) | instid1(SALU_CYCLE_1)
	s_or_b32 s0, s0, s1
	s_and_saveexec_b32 s1, s0
	s_cbranch_execz .LBB440_162
; %bb.161:
	v_sub_f32_e32 v5, v27, v26
	s_delay_alu instid0(VALU_DEP_1) | instskip(SKIP_1) | instid1(VALU_DEP_2)
	v_mul_f32_e32 v13, 0x3fb8aa3b, v5
	v_cmp_ngt_f32_e64 s0, 0xc2ce8ed0, v5
	v_fma_f32 v27, 0x3fb8aa3b, v5, -v13
	v_rndne_f32_e32 v29, v13
	s_delay_alu instid0(VALU_DEP_2) | instskip(NEXT) | instid1(VALU_DEP_2)
	v_fmamk_f32 v27, v5, 0x32a5705f, v27
	v_sub_f32_e32 v13, v13, v29
	s_delay_alu instid0(VALU_DEP_1) | instskip(SKIP_1) | instid1(VALU_DEP_2)
	v_add_f32_e32 v13, v13, v27
	v_cvt_i32_f32_e32 v27, v29
	v_exp_f32_e32 v13, v13
	s_waitcnt_depctr 0xfff
	v_ldexp_f32 v13, v13, v27
	s_delay_alu instid0(VALU_DEP_1) | instskip(SKIP_1) | instid1(VALU_DEP_1)
	v_cndmask_b32_e64 v13, 0, v13, s0
	v_cmp_nlt_f32_e64 s0, 0x42b17218, v5
	v_cndmask_b32_e64 v5, 0x7f800000, v13, s0
	s_delay_alu instid0(VALU_DEP_1) | instskip(SKIP_1) | instid1(VALU_DEP_2)
	v_add_f32_e32 v13, 1.0, v5
	v_cmp_gt_f32_e64 s23, 0x33800000, |v5|
	v_cvt_f64_f32_e32 v[29:30], v13
	s_delay_alu instid0(VALU_DEP_1) | instskip(SKIP_1) | instid1(VALU_DEP_1)
	v_frexp_exp_i32_f64_e32 v27, v[29:30]
	v_frexp_mant_f32_e32 v29, v13
	v_cmp_gt_f32_e64 s0, 0x3f2aaaab, v29
	v_add_f32_e32 v29, -1.0, v13
	s_delay_alu instid0(VALU_DEP_1) | instskip(SKIP_1) | instid1(VALU_DEP_2)
	v_sub_f32_e32 v31, v29, v13
	v_sub_f32_e32 v29, v5, v29
	v_add_f32_e32 v31, 1.0, v31
	s_delay_alu instid0(VALU_DEP_1) | instskip(SKIP_2) | instid1(VALU_DEP_1)
	v_add_f32_e32 v29, v29, v31
	v_subrev_co_ci_u32_e64 v27, s0, 0, v27, s0
	s_mov_b32 s0, 0x3e9b6dac
	v_sub_nc_u32_e32 v30, 0, v27
	v_cvt_f32_i32_e32 v27, v27
	s_delay_alu instid0(VALU_DEP_2) | instskip(SKIP_1) | instid1(VALU_DEP_2)
	v_ldexp_f32 v13, v13, v30
	v_ldexp_f32 v29, v29, v30
	v_add_f32_e32 v32, 1.0, v13
	s_delay_alu instid0(VALU_DEP_1) | instskip(NEXT) | instid1(VALU_DEP_1)
	v_dual_add_f32 v30, -1.0, v13 :: v_dual_add_f32 v31, -1.0, v32
	v_add_f32_e32 v33, 1.0, v30
	s_delay_alu instid0(VALU_DEP_2) | instskip(NEXT) | instid1(VALU_DEP_2)
	v_sub_f32_e32 v31, v13, v31
	v_sub_f32_e32 v13, v13, v33
	s_delay_alu instid0(VALU_DEP_2) | instskip(NEXT) | instid1(VALU_DEP_2)
	v_add_f32_e32 v31, v29, v31
	v_add_f32_e32 v13, v29, v13
	s_delay_alu instid0(VALU_DEP_1) | instskip(NEXT) | instid1(VALU_DEP_1)
	v_dual_add_f32 v33, v32, v31 :: v_dual_add_f32 v34, v30, v13
	v_rcp_f32_e32 v29, v33
	v_sub_f32_e32 v32, v32, v33
	s_delay_alu instid0(VALU_DEP_1) | instskip(SKIP_3) | instid1(VALU_DEP_2)
	v_dual_sub_f32 v30, v30, v34 :: v_dual_add_f32 v31, v31, v32
	s_waitcnt_depctr 0xfff
	v_mul_f32_e32 v35, v34, v29
	v_add_f32_e32 v13, v13, v30
	v_mul_f32_e32 v36, v33, v35
	s_delay_alu instid0(VALU_DEP_1) | instskip(NEXT) | instid1(VALU_DEP_1)
	v_fma_f32 v32, v35, v33, -v36
	v_fmac_f32_e32 v32, v35, v31
	s_delay_alu instid0(VALU_DEP_1) | instskip(NEXT) | instid1(VALU_DEP_1)
	v_add_f32_e32 v37, v36, v32
	v_sub_f32_e32 v38, v34, v37
	v_sub_f32_e32 v30, v37, v36
	s_delay_alu instid0(VALU_DEP_2) | instskip(NEXT) | instid1(VALU_DEP_2)
	v_sub_f32_e32 v34, v34, v38
	v_sub_f32_e32 v30, v30, v32
	s_delay_alu instid0(VALU_DEP_2) | instskip(NEXT) | instid1(VALU_DEP_1)
	v_sub_f32_e32 v34, v34, v37
	v_add_f32_e32 v13, v13, v34
	s_delay_alu instid0(VALU_DEP_1) | instskip(NEXT) | instid1(VALU_DEP_1)
	v_add_f32_e32 v13, v30, v13
	v_add_f32_e32 v30, v38, v13
	s_delay_alu instid0(VALU_DEP_1) | instskip(NEXT) | instid1(VALU_DEP_1)
	v_mul_f32_e32 v32, v29, v30
	v_dual_sub_f32 v37, v38, v30 :: v_dual_mul_f32 v34, v33, v32
	s_delay_alu instid0(VALU_DEP_1) | instskip(NEXT) | instid1(VALU_DEP_2)
	v_add_f32_e32 v13, v13, v37
	v_fma_f32 v33, v32, v33, -v34
	s_delay_alu instid0(VALU_DEP_1) | instskip(NEXT) | instid1(VALU_DEP_1)
	v_fmac_f32_e32 v33, v32, v31
	v_add_f32_e32 v31, v34, v33
	s_delay_alu instid0(VALU_DEP_1) | instskip(SKIP_1) | instid1(VALU_DEP_2)
	v_sub_f32_e32 v36, v30, v31
	v_sub_f32_e32 v34, v31, v34
	;; [unrolled: 1-line block ×3, first 2 shown]
	s_delay_alu instid0(VALU_DEP_1) | instskip(NEXT) | instid1(VALU_DEP_3)
	v_sub_f32_e32 v30, v30, v31
	v_sub_f32_e32 v31, v34, v33
	s_delay_alu instid0(VALU_DEP_2) | instskip(NEXT) | instid1(VALU_DEP_1)
	v_dual_add_f32 v13, v13, v30 :: v_dual_add_f32 v30, v35, v32
	v_add_f32_e32 v13, v31, v13
	s_delay_alu instid0(VALU_DEP_2) | instskip(NEXT) | instid1(VALU_DEP_2)
	v_sub_f32_e32 v31, v30, v35
	v_add_f32_e32 v13, v36, v13
	s_delay_alu instid0(VALU_DEP_2) | instskip(NEXT) | instid1(VALU_DEP_2)
	v_sub_f32_e32 v31, v32, v31
	v_mul_f32_e32 v13, v29, v13
	s_delay_alu instid0(VALU_DEP_1) | instskip(NEXT) | instid1(VALU_DEP_1)
	v_add_f32_e32 v13, v31, v13
	v_add_f32_e32 v29, v30, v13
	s_delay_alu instid0(VALU_DEP_1) | instskip(NEXT) | instid1(VALU_DEP_1)
	v_mul_f32_e32 v31, v29, v29
	v_fmaak_f32 v32, s0, v31, 0x3ecc95a3
	v_mul_f32_e32 v33, v29, v31
	v_cmp_eq_f32_e64 s0, 0x7f800000, v5
	s_delay_alu instid0(VALU_DEP_3) | instskip(SKIP_2) | instid1(VALU_DEP_4)
	v_fmaak_f32 v31, v31, v32, 0x3f2aaada
	v_ldexp_f32 v32, v29, 1
	v_sub_f32_e32 v29, v29, v30
	s_or_b32 s0, s0, s23
	s_delay_alu instid0(VALU_DEP_3) | instskip(SKIP_1) | instid1(VALU_DEP_2)
	v_mul_f32_e32 v31, v33, v31
	v_mul_f32_e32 v33, 0x3f317218, v27
	v_dual_sub_f32 v13, v13, v29 :: v_dual_add_f32 v30, v32, v31
	s_delay_alu instid0(VALU_DEP_1) | instskip(NEXT) | instid1(VALU_DEP_2)
	v_ldexp_f32 v13, v13, 1
	v_sub_f32_e32 v29, v30, v32
	s_delay_alu instid0(VALU_DEP_4) | instskip(NEXT) | instid1(VALU_DEP_2)
	v_fma_f32 v32, 0x3f317218, v27, -v33
	v_sub_f32_e32 v29, v31, v29
	s_delay_alu instid0(VALU_DEP_2) | instskip(NEXT) | instid1(VALU_DEP_2)
	v_fmamk_f32 v27, v27, 0xb102e308, v32
	v_add_f32_e32 v13, v13, v29
	s_delay_alu instid0(VALU_DEP_2) | instskip(NEXT) | instid1(VALU_DEP_2)
	v_add_f32_e32 v29, v33, v27
	v_add_f32_e32 v31, v30, v13
	s_delay_alu instid0(VALU_DEP_2) | instskip(NEXT) | instid1(VALU_DEP_2)
	v_sub_f32_e32 v33, v29, v33
	v_add_f32_e32 v32, v29, v31
	v_sub_f32_e32 v30, v31, v30
	s_delay_alu instid0(VALU_DEP_3) | instskip(NEXT) | instid1(VALU_DEP_2)
	v_sub_f32_e32 v27, v27, v33
	v_dual_sub_f32 v34, v32, v29 :: v_dual_sub_f32 v13, v13, v30
	s_delay_alu instid0(VALU_DEP_1) | instskip(SKIP_1) | instid1(VALU_DEP_3)
	v_sub_f32_e32 v35, v32, v34
	v_sub_f32_e32 v30, v31, v34
	v_add_f32_e32 v31, v27, v13
	s_delay_alu instid0(VALU_DEP_3) | instskip(NEXT) | instid1(VALU_DEP_1)
	v_sub_f32_e32 v29, v29, v35
	v_dual_add_f32 v29, v30, v29 :: v_dual_sub_f32 v30, v31, v27
	s_delay_alu instid0(VALU_DEP_1) | instskip(NEXT) | instid1(VALU_DEP_2)
	v_add_f32_e32 v29, v31, v29
	v_sub_f32_e32 v31, v31, v30
	v_sub_f32_e32 v13, v13, v30
	s_delay_alu instid0(VALU_DEP_3) | instskip(NEXT) | instid1(VALU_DEP_1)
	v_add_f32_e32 v33, v32, v29
	v_dual_sub_f32 v27, v27, v31 :: v_dual_sub_f32 v30, v33, v32
	s_delay_alu instid0(VALU_DEP_1) | instskip(NEXT) | instid1(VALU_DEP_2)
	v_add_f32_e32 v13, v13, v27
	v_sub_f32_e32 v27, v29, v30
	s_delay_alu instid0(VALU_DEP_1) | instskip(NEXT) | instid1(VALU_DEP_1)
	v_add_f32_e32 v13, v13, v27
	v_add_f32_e32 v13, v33, v13
	s_delay_alu instid0(VALU_DEP_1) | instskip(NEXT) | instid1(VALU_DEP_1)
	v_cndmask_b32_e64 v5, v13, v5, s0
	v_add_f32_e32 v5, v26, v5
	s_delay_alu instid0(VALU_DEP_1) | instskip(NEXT) | instid1(VALU_DEP_1)
	v_cvt_f16_f32_e32 v30, v5
	v_cvt_f32_f16_e32 v13, v30
	v_mov_b32_e32 v5, v30
.LBB440_162:
	s_or_b32 exec_lo, exec_lo, s1
	v_max_f32_e32 v26, v25, v25
	s_delay_alu instid0(VALU_DEP_3) | instskip(SKIP_1) | instid1(VALU_DEP_2)
	v_max_f32_e32 v27, v13, v13
	v_cmp_u_f16_e64 s0, v30, v30
	v_min_f32_e32 v29, v27, v26
	v_max_f32_e32 v26, v27, v26
	s_delay_alu instid0(VALU_DEP_2) | instskip(NEXT) | instid1(VALU_DEP_2)
	v_cndmask_b32_e64 v27, v29, v13, s0
	v_cndmask_b32_e64 v13, v26, v13, s0
	s_delay_alu instid0(VALU_DEP_2) | instskip(NEXT) | instid1(VALU_DEP_2)
	v_cndmask_b32_e64 v26, v27, v25, s44
	v_cndmask_b32_e64 v13, v13, v25, s44
	v_mov_b32_e32 v25, v5
	s_delay_alu instid0(VALU_DEP_3) | instskip(NEXT) | instid1(VALU_DEP_3)
	v_cmp_class_f32_e64 s1, v26, 0x1f8
	v_cmp_neq_f32_e64 s0, v26, v13
	s_delay_alu instid0(VALU_DEP_1) | instskip(NEXT) | instid1(SALU_CYCLE_1)
	s_or_b32 s0, s0, s1
	s_and_saveexec_b32 s1, s0
	s_cbranch_execz .LBB440_164
; %bb.163:
	v_sub_f32_e32 v25, v26, v13
	s_delay_alu instid0(VALU_DEP_1) | instskip(SKIP_1) | instid1(VALU_DEP_2)
	v_mul_f32_e32 v26, 0x3fb8aa3b, v25
	v_cmp_ngt_f32_e64 s0, 0xc2ce8ed0, v25
	v_fma_f32 v27, 0x3fb8aa3b, v25, -v26
	v_rndne_f32_e32 v29, v26
	s_delay_alu instid0(VALU_DEP_1) | instskip(NEXT) | instid1(VALU_DEP_1)
	v_dual_fmamk_f32 v27, v25, 0x32a5705f, v27 :: v_dual_sub_f32 v26, v26, v29
	v_add_f32_e32 v26, v26, v27
	v_cvt_i32_f32_e32 v27, v29
	s_delay_alu instid0(VALU_DEP_2) | instskip(SKIP_2) | instid1(VALU_DEP_1)
	v_exp_f32_e32 v26, v26
	s_waitcnt_depctr 0xfff
	v_ldexp_f32 v26, v26, v27
	v_cndmask_b32_e64 v26, 0, v26, s0
	v_cmp_nlt_f32_e64 s0, 0x42b17218, v25
	s_delay_alu instid0(VALU_DEP_1) | instskip(NEXT) | instid1(VALU_DEP_1)
	v_cndmask_b32_e64 v27, 0x7f800000, v26, s0
	v_add_f32_e32 v29, 1.0, v27
	v_cmp_gt_f32_e64 s23, 0x33800000, |v27|
	s_delay_alu instid0(VALU_DEP_2) | instskip(NEXT) | instid1(VALU_DEP_1)
	v_cvt_f64_f32_e32 v[25:26], v29
	v_frexp_exp_i32_f64_e32 v25, v[25:26]
	v_frexp_mant_f32_e32 v26, v29
	s_delay_alu instid0(VALU_DEP_1) | instskip(SKIP_1) | instid1(VALU_DEP_1)
	v_cmp_gt_f32_e64 s0, 0x3f2aaaab, v26
	v_add_f32_e32 v26, -1.0, v29
	v_sub_f32_e32 v31, v26, v29
	s_delay_alu instid0(VALU_DEP_1) | instskip(NEXT) | instid1(VALU_DEP_1)
	v_dual_add_f32 v31, 1.0, v31 :: v_dual_sub_f32 v26, v27, v26
	v_add_f32_e32 v26, v26, v31
	v_subrev_co_ci_u32_e64 v25, s0, 0, v25, s0
	s_mov_b32 s0, 0x3e9b6dac
	s_delay_alu instid0(VALU_DEP_1) | instskip(SKIP_1) | instid1(VALU_DEP_2)
	v_sub_nc_u32_e32 v30, 0, v25
	v_cvt_f32_i32_e32 v25, v25
	v_ldexp_f32 v29, v29, v30
	v_ldexp_f32 v26, v26, v30
	s_delay_alu instid0(VALU_DEP_2) | instskip(NEXT) | instid1(VALU_DEP_1)
	v_add_f32_e32 v32, 1.0, v29
	v_add_f32_e32 v31, -1.0, v32
	s_delay_alu instid0(VALU_DEP_1) | instskip(NEXT) | instid1(VALU_DEP_1)
	v_dual_sub_f32 v31, v29, v31 :: v_dual_add_f32 v30, -1.0, v29
	v_add_f32_e32 v31, v26, v31
	s_delay_alu instid0(VALU_DEP_2) | instskip(NEXT) | instid1(VALU_DEP_1)
	v_add_f32_e32 v33, 1.0, v30
	v_sub_f32_e32 v29, v29, v33
	s_delay_alu instid0(VALU_DEP_1) | instskip(NEXT) | instid1(VALU_DEP_1)
	v_dual_add_f32 v33, v32, v31 :: v_dual_add_f32 v26, v26, v29
	v_rcp_f32_e32 v29, v33
	v_sub_f32_e32 v32, v32, v33
	s_delay_alu instid0(VALU_DEP_1) | instskip(NEXT) | instid1(VALU_DEP_1)
	v_dual_add_f32 v34, v30, v26 :: v_dual_add_f32 v31, v31, v32
	v_sub_f32_e32 v30, v30, v34
	s_waitcnt_depctr 0xfff
	v_mul_f32_e32 v35, v34, v29
	v_add_f32_e32 v26, v26, v30
	s_delay_alu instid0(VALU_DEP_2) | instskip(NEXT) | instid1(VALU_DEP_1)
	v_mul_f32_e32 v36, v33, v35
	v_fma_f32 v32, v35, v33, -v36
	s_delay_alu instid0(VALU_DEP_1) | instskip(NEXT) | instid1(VALU_DEP_1)
	v_fmac_f32_e32 v32, v35, v31
	v_add_f32_e32 v37, v36, v32
	s_delay_alu instid0(VALU_DEP_1) | instskip(SKIP_1) | instid1(VALU_DEP_2)
	v_sub_f32_e32 v38, v34, v37
	v_sub_f32_e32 v30, v37, v36
	;; [unrolled: 1-line block ×3, first 2 shown]
	s_delay_alu instid0(VALU_DEP_2) | instskip(NEXT) | instid1(VALU_DEP_2)
	v_sub_f32_e32 v30, v30, v32
	v_sub_f32_e32 v34, v34, v37
	s_delay_alu instid0(VALU_DEP_1) | instskip(NEXT) | instid1(VALU_DEP_1)
	v_add_f32_e32 v26, v26, v34
	v_add_f32_e32 v26, v30, v26
	s_delay_alu instid0(VALU_DEP_1) | instskip(NEXT) | instid1(VALU_DEP_1)
	v_add_f32_e32 v30, v38, v26
	v_mul_f32_e32 v32, v29, v30
	s_delay_alu instid0(VALU_DEP_1) | instskip(NEXT) | instid1(VALU_DEP_1)
	v_dual_sub_f32 v37, v38, v30 :: v_dual_mul_f32 v34, v33, v32
	v_add_f32_e32 v26, v26, v37
	s_delay_alu instid0(VALU_DEP_2) | instskip(NEXT) | instid1(VALU_DEP_1)
	v_fma_f32 v33, v32, v33, -v34
	v_fmac_f32_e32 v33, v32, v31
	s_delay_alu instid0(VALU_DEP_1) | instskip(NEXT) | instid1(VALU_DEP_1)
	v_add_f32_e32 v31, v34, v33
	v_sub_f32_e32 v36, v30, v31
	v_sub_f32_e32 v34, v31, v34
	s_delay_alu instid0(VALU_DEP_2) | instskip(NEXT) | instid1(VALU_DEP_1)
	v_sub_f32_e32 v30, v30, v36
	v_sub_f32_e32 v30, v30, v31
	s_delay_alu instid0(VALU_DEP_3) | instskip(NEXT) | instid1(VALU_DEP_2)
	v_sub_f32_e32 v31, v34, v33
	v_add_f32_e32 v26, v26, v30
	v_add_f32_e32 v30, v35, v32
	s_delay_alu instid0(VALU_DEP_1) | instskip(NEXT) | instid1(VALU_DEP_1)
	v_dual_add_f32 v26, v31, v26 :: v_dual_sub_f32 v31, v30, v35
	v_add_f32_e32 v26, v36, v26
	s_delay_alu instid0(VALU_DEP_1) | instskip(NEXT) | instid1(VALU_DEP_1)
	v_dual_sub_f32 v31, v32, v31 :: v_dual_mul_f32 v26, v29, v26
	v_add_f32_e32 v26, v31, v26
	s_delay_alu instid0(VALU_DEP_1) | instskip(NEXT) | instid1(VALU_DEP_1)
	v_add_f32_e32 v29, v30, v26
	v_mul_f32_e32 v31, v29, v29
	s_delay_alu instid0(VALU_DEP_1) | instskip(SKIP_2) | instid1(VALU_DEP_3)
	v_fmaak_f32 v32, s0, v31, 0x3ecc95a3
	v_mul_f32_e32 v33, v29, v31
	v_cmp_eq_f32_e64 s0, 0x7f800000, v27
	v_fmaak_f32 v31, v31, v32, 0x3f2aaada
	v_ldexp_f32 v32, v29, 1
	v_sub_f32_e32 v29, v29, v30
	s_delay_alu instid0(VALU_DEP_4) | instskip(NEXT) | instid1(VALU_DEP_3)
	s_or_b32 s0, s0, s23
	v_mul_f32_e32 v31, v33, v31
	v_mul_f32_e32 v33, 0x3f317218, v25
	s_delay_alu instid0(VALU_DEP_3) | instskip(NEXT) | instid1(VALU_DEP_3)
	v_sub_f32_e32 v26, v26, v29
	v_add_f32_e32 v30, v32, v31
	s_delay_alu instid0(VALU_DEP_2) | instskip(NEXT) | instid1(VALU_DEP_2)
	v_ldexp_f32 v26, v26, 1
	v_sub_f32_e32 v29, v30, v32
	v_fma_f32 v32, 0x3f317218, v25, -v33
	s_delay_alu instid0(VALU_DEP_2) | instskip(NEXT) | instid1(VALU_DEP_1)
	v_sub_f32_e32 v29, v31, v29
	v_dual_fmamk_f32 v25, v25, 0xb102e308, v32 :: v_dual_add_f32 v26, v26, v29
	s_delay_alu instid0(VALU_DEP_1) | instskip(NEXT) | instid1(VALU_DEP_2)
	v_add_f32_e32 v29, v33, v25
	v_add_f32_e32 v31, v30, v26
	s_delay_alu instid0(VALU_DEP_2) | instskip(NEXT) | instid1(VALU_DEP_2)
	v_sub_f32_e32 v33, v29, v33
	v_add_f32_e32 v32, v29, v31
	s_delay_alu instid0(VALU_DEP_2) | instskip(NEXT) | instid1(VALU_DEP_2)
	v_sub_f32_e32 v25, v25, v33
	v_sub_f32_e32 v34, v32, v29
	;; [unrolled: 1-line block ×3, first 2 shown]
	s_delay_alu instid0(VALU_DEP_2) | instskip(NEXT) | instid1(VALU_DEP_2)
	v_sub_f32_e32 v35, v32, v34
	v_sub_f32_e32 v26, v26, v30
	s_delay_alu instid0(VALU_DEP_2) | instskip(NEXT) | instid1(VALU_DEP_2)
	v_dual_sub_f32 v30, v31, v34 :: v_dual_sub_f32 v29, v29, v35
	v_add_f32_e32 v31, v25, v26
	s_delay_alu instid0(VALU_DEP_2) | instskip(NEXT) | instid1(VALU_DEP_2)
	v_add_f32_e32 v29, v30, v29
	v_sub_f32_e32 v30, v31, v25
	s_delay_alu instid0(VALU_DEP_2) | instskip(NEXT) | instid1(VALU_DEP_2)
	v_add_f32_e32 v29, v31, v29
	v_sub_f32_e32 v31, v31, v30
	s_delay_alu instid0(VALU_DEP_2) | instskip(NEXT) | instid1(VALU_DEP_2)
	v_dual_sub_f32 v26, v26, v30 :: v_dual_add_f32 v33, v32, v29
	v_sub_f32_e32 v25, v25, v31
	s_delay_alu instid0(VALU_DEP_1) | instskip(NEXT) | instid1(VALU_DEP_1)
	v_dual_sub_f32 v30, v33, v32 :: v_dual_add_f32 v25, v26, v25
	v_sub_f32_e32 v26, v29, v30
	s_delay_alu instid0(VALU_DEP_1) | instskip(NEXT) | instid1(VALU_DEP_1)
	v_add_f32_e32 v25, v25, v26
	v_add_f32_e32 v25, v33, v25
	s_delay_alu instid0(VALU_DEP_1) | instskip(NEXT) | instid1(VALU_DEP_1)
	v_cndmask_b32_e64 v25, v25, v27, s0
	v_add_f32_e32 v13, v13, v25
	s_delay_alu instid0(VALU_DEP_1)
	v_cvt_f16_f32_e32 v25, v13
.LBB440_164:
	s_or_b32 exec_lo, exec_lo, s1
	v_add_nc_u32_e32 v13, v12, v28
	v_perm_b32 v15, v16, v15, 0x5040100
	v_perm_b32 v2, v14, v2, 0x5040100
	;; [unrolled: 1-line block ×11, first 2 shown]
	s_barrier
	buffer_gl0_inv
	ds_store_2addr_b32 v13, v2, v15 offset1:1
	ds_store_2addr_b32 v13, v3, v10 offset0:2 offset1:3
	ds_store_2addr_b32 v13, v11, v8 offset0:4 offset1:5
	;; [unrolled: 1-line block ×4, first 2 shown]
	ds_store_b32 v13, v5 offset:40
	s_waitcnt lgkmcnt(0)
	s_barrier
	buffer_gl0_inv
	ds_load_u16 v23, v12 offset:128
	ds_load_u16 v22, v12 offset:256
	;; [unrolled: 1-line block ×21, first 2 shown]
	v_lshlrev_b64 v[0:1], 1, v[0:1]
	s_delay_alu instid0(VALU_DEP_1) | instskip(NEXT) | instid1(VALU_DEP_1)
	v_add_co_u32 v0, s0, s46, v0
	v_add_co_ci_u32_e64 v1, s0, s47, v1, s0
	s_and_saveexec_b32 s0, vcc_lo
	s_cbranch_execnz .LBB440_187
; %bb.165:
	s_or_b32 exec_lo, exec_lo, s0
	s_and_saveexec_b32 s0, s2
	s_cbranch_execnz .LBB440_188
.LBB440_166:
	s_or_b32 exec_lo, exec_lo, s0
	s_and_saveexec_b32 s0, s3
	s_cbranch_execnz .LBB440_189
.LBB440_167:
	s_or_b32 exec_lo, exec_lo, s0
	s_and_saveexec_b32 s0, s4
	s_cbranch_execnz .LBB440_190
.LBB440_168:
	s_or_b32 exec_lo, exec_lo, s0
	s_and_saveexec_b32 s0, s5
	s_cbranch_execnz .LBB440_191
.LBB440_169:
	s_or_b32 exec_lo, exec_lo, s0
	s_and_saveexec_b32 s0, s6
	s_cbranch_execnz .LBB440_192
.LBB440_170:
	s_or_b32 exec_lo, exec_lo, s0
	s_and_saveexec_b32 s0, s7
	s_cbranch_execnz .LBB440_193
.LBB440_171:
	s_or_b32 exec_lo, exec_lo, s0
	s_and_saveexec_b32 s0, s8
	s_cbranch_execnz .LBB440_194
.LBB440_172:
	s_or_b32 exec_lo, exec_lo, s0
	s_and_saveexec_b32 s0, s9
	s_cbranch_execnz .LBB440_195
.LBB440_173:
	s_or_b32 exec_lo, exec_lo, s0
	s_and_saveexec_b32 s0, s10
	s_cbranch_execnz .LBB440_196
.LBB440_174:
	s_or_b32 exec_lo, exec_lo, s0
	s_and_saveexec_b32 s0, s11
	s_cbranch_execnz .LBB440_197
.LBB440_175:
	s_or_b32 exec_lo, exec_lo, s0
	s_and_saveexec_b32 s0, s12
	s_cbranch_execnz .LBB440_198
.LBB440_176:
	s_or_b32 exec_lo, exec_lo, s0
	s_and_saveexec_b32 s0, s13
	s_cbranch_execnz .LBB440_199
.LBB440_177:
	s_or_b32 exec_lo, exec_lo, s0
	s_and_saveexec_b32 s0, s14
	s_cbranch_execnz .LBB440_200
.LBB440_178:
	s_or_b32 exec_lo, exec_lo, s0
	s_and_saveexec_b32 s0, s15
	s_cbranch_execnz .LBB440_201
.LBB440_179:
	s_or_b32 exec_lo, exec_lo, s0
	s_and_saveexec_b32 s0, s16
	s_cbranch_execnz .LBB440_202
.LBB440_180:
	s_or_b32 exec_lo, exec_lo, s0
	s_and_saveexec_b32 s0, s17
	s_cbranch_execnz .LBB440_203
.LBB440_181:
	s_or_b32 exec_lo, exec_lo, s0
	s_and_saveexec_b32 s0, s18
	s_cbranch_execnz .LBB440_204
.LBB440_182:
	s_or_b32 exec_lo, exec_lo, s0
	s_and_saveexec_b32 s0, s19
	s_cbranch_execnz .LBB440_205
.LBB440_183:
	s_or_b32 exec_lo, exec_lo, s0
	s_and_saveexec_b32 s0, s20
	s_cbranch_execnz .LBB440_206
.LBB440_184:
	s_or_b32 exec_lo, exec_lo, s0
	s_and_saveexec_b32 s0, s21
	s_cbranch_execnz .LBB440_207
.LBB440_185:
	s_or_b32 exec_lo, exec_lo, s0
	s_and_saveexec_b32 s0, s22
	s_cbranch_execnz .LBB440_208
.LBB440_186:
	s_nop 0
	s_sendmsg sendmsg(MSG_DEALLOC_VGPRS)
	s_endpgm
.LBB440_187:
	ds_load_u16 v12, v12
	s_waitcnt lgkmcnt(0)
	global_store_b16 v[0:1], v12, off
	s_or_b32 exec_lo, exec_lo, s0
	s_and_saveexec_b32 s0, s2
	s_cbranch_execz .LBB440_166
.LBB440_188:
	s_waitcnt lgkmcnt(20)
	global_store_b16 v[0:1], v23, off offset:128
	s_or_b32 exec_lo, exec_lo, s0
	s_and_saveexec_b32 s0, s3
	s_cbranch_execz .LBB440_167
.LBB440_189:
	s_waitcnt lgkmcnt(19)
	global_store_b16 v[0:1], v22, off offset:256
	s_or_b32 exec_lo, exec_lo, s0
	s_and_saveexec_b32 s0, s4
	s_cbranch_execz .LBB440_168
.LBB440_190:
	s_waitcnt lgkmcnt(18)
	global_store_b16 v[0:1], v21, off offset:384
	s_or_b32 exec_lo, exec_lo, s0
	s_and_saveexec_b32 s0, s5
	s_cbranch_execz .LBB440_169
.LBB440_191:
	s_waitcnt lgkmcnt(17)
	global_store_b16 v[0:1], v20, off offset:512
	s_or_b32 exec_lo, exec_lo, s0
	s_and_saveexec_b32 s0, s6
	s_cbranch_execz .LBB440_170
.LBB440_192:
	s_waitcnt lgkmcnt(16)
	global_store_b16 v[0:1], v19, off offset:640
	s_or_b32 exec_lo, exec_lo, s0
	s_and_saveexec_b32 s0, s7
	s_cbranch_execz .LBB440_171
.LBB440_193:
	s_waitcnt lgkmcnt(15)
	global_store_b16 v[0:1], v18, off offset:768
	s_or_b32 exec_lo, exec_lo, s0
	s_and_saveexec_b32 s0, s8
	s_cbranch_execz .LBB440_172
.LBB440_194:
	s_waitcnt lgkmcnt(14)
	global_store_b16 v[0:1], v17, off offset:896
	s_or_b32 exec_lo, exec_lo, s0
	s_and_saveexec_b32 s0, s9
	s_cbranch_execz .LBB440_173
.LBB440_195:
	s_waitcnt lgkmcnt(13)
	global_store_b16 v[0:1], v16, off offset:1024
	s_or_b32 exec_lo, exec_lo, s0
	s_and_saveexec_b32 s0, s10
	s_cbranch_execz .LBB440_174
.LBB440_196:
	s_waitcnt lgkmcnt(12)
	global_store_b16 v[0:1], v15, off offset:1152
	s_or_b32 exec_lo, exec_lo, s0
	s_and_saveexec_b32 s0, s11
	s_cbranch_execz .LBB440_175
.LBB440_197:
	s_waitcnt lgkmcnt(11)
	global_store_b16 v[0:1], v14, off offset:1280
	s_or_b32 exec_lo, exec_lo, s0
	s_and_saveexec_b32 s0, s12
	s_cbranch_execz .LBB440_176
.LBB440_198:
	s_waitcnt lgkmcnt(10)
	global_store_b16 v[0:1], v13, off offset:1408
	s_or_b32 exec_lo, exec_lo, s0
	s_and_saveexec_b32 s0, s13
	s_cbranch_execz .LBB440_177
.LBB440_199:
	s_waitcnt lgkmcnt(9)
	global_store_b16 v[0:1], v11, off offset:1536
	s_or_b32 exec_lo, exec_lo, s0
	s_and_saveexec_b32 s0, s14
	s_cbranch_execz .LBB440_178
.LBB440_200:
	s_waitcnt lgkmcnt(8)
	global_store_b16 v[0:1], v10, off offset:1664
	s_or_b32 exec_lo, exec_lo, s0
	s_and_saveexec_b32 s0, s15
	s_cbranch_execz .LBB440_179
.LBB440_201:
	s_waitcnt lgkmcnt(7)
	global_store_b16 v[0:1], v9, off offset:1792
	s_or_b32 exec_lo, exec_lo, s0
	s_and_saveexec_b32 s0, s16
	s_cbranch_execz .LBB440_180
.LBB440_202:
	s_waitcnt lgkmcnt(6)
	global_store_b16 v[0:1], v8, off offset:1920
	s_or_b32 exec_lo, exec_lo, s0
	s_and_saveexec_b32 s0, s17
	s_cbranch_execz .LBB440_181
.LBB440_203:
	s_waitcnt lgkmcnt(5)
	global_store_b16 v[0:1], v7, off offset:2048
	s_or_b32 exec_lo, exec_lo, s0
	s_and_saveexec_b32 s0, s18
	s_cbranch_execz .LBB440_182
.LBB440_204:
	s_waitcnt lgkmcnt(4)
	global_store_b16 v[0:1], v6, off offset:2176
	s_or_b32 exec_lo, exec_lo, s0
	s_and_saveexec_b32 s0, s19
	s_cbranch_execz .LBB440_183
.LBB440_205:
	s_waitcnt lgkmcnt(3)
	global_store_b16 v[0:1], v5, off offset:2304
	s_or_b32 exec_lo, exec_lo, s0
	s_and_saveexec_b32 s0, s20
	s_cbranch_execz .LBB440_184
.LBB440_206:
	s_waitcnt lgkmcnt(2)
	global_store_b16 v[0:1], v4, off offset:2432
	s_or_b32 exec_lo, exec_lo, s0
	s_and_saveexec_b32 s0, s21
	s_cbranch_execz .LBB440_185
.LBB440_207:
	s_waitcnt lgkmcnt(1)
	global_store_b16 v[0:1], v3, off offset:2560
	s_or_b32 exec_lo, exec_lo, s0
	s_and_saveexec_b32 s0, s22
	s_cbranch_execz .LBB440_186
.LBB440_208:
	s_waitcnt lgkmcnt(0)
	global_store_b16 v[0:1], v2, off offset:2688
	s_nop 0
	s_sendmsg sendmsg(MSG_DEALLOC_VGPRS)
	s_endpgm
	.section	.rodata,"a",@progbits
	.p2align	6, 0x0
	.amdhsa_kernel _ZN7rocprim17ROCPRIM_400000_NS6detail17trampoline_kernelINS0_14default_configENS1_20scan_config_selectorIN3c104HalfEEEZZNS1_9scan_implILNS1_25lookback_scan_determinismE0ELb0ELb0ES3_PKS6_PS6_S6_ZZZN2at6native31launch_logcumsumexp_cuda_kernelERKNSD_10TensorBaseESH_lENKUlvE_clEvENKUlvE3_clEvEUlS6_S6_E_S6_EEDaPvRmT3_T4_T5_mT6_P12ihipStream_tbENKUlT_T0_E_clISt17integral_constantIbLb0EESX_IbLb1EEEEDaST_SU_EUlST_E0_NS1_11comp_targetILNS1_3genE9ELNS1_11target_archE1100ELNS1_3gpuE3ELNS1_3repE0EEENS1_30default_config_static_selectorELNS0_4arch9wavefront6targetE0EEEvT1_
		.amdhsa_group_segment_fixed_size 2816
		.amdhsa_private_segment_fixed_size 0
		.amdhsa_kernarg_size 32
		.amdhsa_user_sgpr_count 15
		.amdhsa_user_sgpr_dispatch_ptr 0
		.amdhsa_user_sgpr_queue_ptr 0
		.amdhsa_user_sgpr_kernarg_segment_ptr 1
		.amdhsa_user_sgpr_dispatch_id 0
		.amdhsa_user_sgpr_private_segment_size 0
		.amdhsa_wavefront_size32 1
		.amdhsa_uses_dynamic_stack 0
		.amdhsa_enable_private_segment 0
		.amdhsa_system_sgpr_workgroup_id_x 1
		.amdhsa_system_sgpr_workgroup_id_y 0
		.amdhsa_system_sgpr_workgroup_id_z 0
		.amdhsa_system_sgpr_workgroup_info 0
		.amdhsa_system_vgpr_workitem_id 0
		.amdhsa_next_free_vgpr 47
		.amdhsa_next_free_sgpr 52
		.amdhsa_reserve_vcc 1
		.amdhsa_float_round_mode_32 0
		.amdhsa_float_round_mode_16_64 0
		.amdhsa_float_denorm_mode_32 3
		.amdhsa_float_denorm_mode_16_64 3
		.amdhsa_dx10_clamp 1
		.amdhsa_ieee_mode 1
		.amdhsa_fp16_overflow 0
		.amdhsa_workgroup_processor_mode 1
		.amdhsa_memory_ordered 1
		.amdhsa_forward_progress 0
		.amdhsa_shared_vgpr_count 0
		.amdhsa_exception_fp_ieee_invalid_op 0
		.amdhsa_exception_fp_denorm_src 0
		.amdhsa_exception_fp_ieee_div_zero 0
		.amdhsa_exception_fp_ieee_overflow 0
		.amdhsa_exception_fp_ieee_underflow 0
		.amdhsa_exception_fp_ieee_inexact 0
		.amdhsa_exception_int_div_zero 0
	.end_amdhsa_kernel
	.section	.text._ZN7rocprim17ROCPRIM_400000_NS6detail17trampoline_kernelINS0_14default_configENS1_20scan_config_selectorIN3c104HalfEEEZZNS1_9scan_implILNS1_25lookback_scan_determinismE0ELb0ELb0ES3_PKS6_PS6_S6_ZZZN2at6native31launch_logcumsumexp_cuda_kernelERKNSD_10TensorBaseESH_lENKUlvE_clEvENKUlvE3_clEvEUlS6_S6_E_S6_EEDaPvRmT3_T4_T5_mT6_P12ihipStream_tbENKUlT_T0_E_clISt17integral_constantIbLb0EESX_IbLb1EEEEDaST_SU_EUlST_E0_NS1_11comp_targetILNS1_3genE9ELNS1_11target_archE1100ELNS1_3gpuE3ELNS1_3repE0EEENS1_30default_config_static_selectorELNS0_4arch9wavefront6targetE0EEEvT1_,"axG",@progbits,_ZN7rocprim17ROCPRIM_400000_NS6detail17trampoline_kernelINS0_14default_configENS1_20scan_config_selectorIN3c104HalfEEEZZNS1_9scan_implILNS1_25lookback_scan_determinismE0ELb0ELb0ES3_PKS6_PS6_S6_ZZZN2at6native31launch_logcumsumexp_cuda_kernelERKNSD_10TensorBaseESH_lENKUlvE_clEvENKUlvE3_clEvEUlS6_S6_E_S6_EEDaPvRmT3_T4_T5_mT6_P12ihipStream_tbENKUlT_T0_E_clISt17integral_constantIbLb0EESX_IbLb1EEEEDaST_SU_EUlST_E0_NS1_11comp_targetILNS1_3genE9ELNS1_11target_archE1100ELNS1_3gpuE3ELNS1_3repE0EEENS1_30default_config_static_selectorELNS0_4arch9wavefront6targetE0EEEvT1_,comdat
.Lfunc_end440:
	.size	_ZN7rocprim17ROCPRIM_400000_NS6detail17trampoline_kernelINS0_14default_configENS1_20scan_config_selectorIN3c104HalfEEEZZNS1_9scan_implILNS1_25lookback_scan_determinismE0ELb0ELb0ES3_PKS6_PS6_S6_ZZZN2at6native31launch_logcumsumexp_cuda_kernelERKNSD_10TensorBaseESH_lENKUlvE_clEvENKUlvE3_clEvEUlS6_S6_E_S6_EEDaPvRmT3_T4_T5_mT6_P12ihipStream_tbENKUlT_T0_E_clISt17integral_constantIbLb0EESX_IbLb1EEEEDaST_SU_EUlST_E0_NS1_11comp_targetILNS1_3genE9ELNS1_11target_archE1100ELNS1_3gpuE3ELNS1_3repE0EEENS1_30default_config_static_selectorELNS0_4arch9wavefront6targetE0EEEvT1_, .Lfunc_end440-_ZN7rocprim17ROCPRIM_400000_NS6detail17trampoline_kernelINS0_14default_configENS1_20scan_config_selectorIN3c104HalfEEEZZNS1_9scan_implILNS1_25lookback_scan_determinismE0ELb0ELb0ES3_PKS6_PS6_S6_ZZZN2at6native31launch_logcumsumexp_cuda_kernelERKNSD_10TensorBaseESH_lENKUlvE_clEvENKUlvE3_clEvEUlS6_S6_E_S6_EEDaPvRmT3_T4_T5_mT6_P12ihipStream_tbENKUlT_T0_E_clISt17integral_constantIbLb0EESX_IbLb1EEEEDaST_SU_EUlST_E0_NS1_11comp_targetILNS1_3genE9ELNS1_11target_archE1100ELNS1_3gpuE3ELNS1_3repE0EEENS1_30default_config_static_selectorELNS0_4arch9wavefront6targetE0EEEvT1_
                                        ; -- End function
	.section	.AMDGPU.csdata,"",@progbits
; Kernel info:
; codeLenInByte = 51208
; NumSgprs: 54
; NumVgprs: 47
; ScratchSize: 0
; MemoryBound: 0
; FloatMode: 240
; IeeeMode: 1
; LDSByteSize: 2816 bytes/workgroup (compile time only)
; SGPRBlocks: 6
; VGPRBlocks: 5
; NumSGPRsForWavesPerEU: 54
; NumVGPRsForWavesPerEU: 47
; Occupancy: 16
; WaveLimiterHint : 0
; COMPUTE_PGM_RSRC2:SCRATCH_EN: 0
; COMPUTE_PGM_RSRC2:USER_SGPR: 15
; COMPUTE_PGM_RSRC2:TRAP_HANDLER: 0
; COMPUTE_PGM_RSRC2:TGID_X_EN: 1
; COMPUTE_PGM_RSRC2:TGID_Y_EN: 0
; COMPUTE_PGM_RSRC2:TGID_Z_EN: 0
; COMPUTE_PGM_RSRC2:TIDIG_COMP_CNT: 0
	.section	.text._ZN7rocprim17ROCPRIM_400000_NS6detail17trampoline_kernelINS0_14default_configENS1_20scan_config_selectorIN3c104HalfEEEZZNS1_9scan_implILNS1_25lookback_scan_determinismE0ELb0ELb0ES3_PKS6_PS6_S6_ZZZN2at6native31launch_logcumsumexp_cuda_kernelERKNSD_10TensorBaseESH_lENKUlvE_clEvENKUlvE3_clEvEUlS6_S6_E_S6_EEDaPvRmT3_T4_T5_mT6_P12ihipStream_tbENKUlT_T0_E_clISt17integral_constantIbLb0EESX_IbLb1EEEEDaST_SU_EUlST_E0_NS1_11comp_targetILNS1_3genE8ELNS1_11target_archE1030ELNS1_3gpuE2ELNS1_3repE0EEENS1_30default_config_static_selectorELNS0_4arch9wavefront6targetE0EEEvT1_,"axG",@progbits,_ZN7rocprim17ROCPRIM_400000_NS6detail17trampoline_kernelINS0_14default_configENS1_20scan_config_selectorIN3c104HalfEEEZZNS1_9scan_implILNS1_25lookback_scan_determinismE0ELb0ELb0ES3_PKS6_PS6_S6_ZZZN2at6native31launch_logcumsumexp_cuda_kernelERKNSD_10TensorBaseESH_lENKUlvE_clEvENKUlvE3_clEvEUlS6_S6_E_S6_EEDaPvRmT3_T4_T5_mT6_P12ihipStream_tbENKUlT_T0_E_clISt17integral_constantIbLb0EESX_IbLb1EEEEDaST_SU_EUlST_E0_NS1_11comp_targetILNS1_3genE8ELNS1_11target_archE1030ELNS1_3gpuE2ELNS1_3repE0EEENS1_30default_config_static_selectorELNS0_4arch9wavefront6targetE0EEEvT1_,comdat
	.globl	_ZN7rocprim17ROCPRIM_400000_NS6detail17trampoline_kernelINS0_14default_configENS1_20scan_config_selectorIN3c104HalfEEEZZNS1_9scan_implILNS1_25lookback_scan_determinismE0ELb0ELb0ES3_PKS6_PS6_S6_ZZZN2at6native31launch_logcumsumexp_cuda_kernelERKNSD_10TensorBaseESH_lENKUlvE_clEvENKUlvE3_clEvEUlS6_S6_E_S6_EEDaPvRmT3_T4_T5_mT6_P12ihipStream_tbENKUlT_T0_E_clISt17integral_constantIbLb0EESX_IbLb1EEEEDaST_SU_EUlST_E0_NS1_11comp_targetILNS1_3genE8ELNS1_11target_archE1030ELNS1_3gpuE2ELNS1_3repE0EEENS1_30default_config_static_selectorELNS0_4arch9wavefront6targetE0EEEvT1_ ; -- Begin function _ZN7rocprim17ROCPRIM_400000_NS6detail17trampoline_kernelINS0_14default_configENS1_20scan_config_selectorIN3c104HalfEEEZZNS1_9scan_implILNS1_25lookback_scan_determinismE0ELb0ELb0ES3_PKS6_PS6_S6_ZZZN2at6native31launch_logcumsumexp_cuda_kernelERKNSD_10TensorBaseESH_lENKUlvE_clEvENKUlvE3_clEvEUlS6_S6_E_S6_EEDaPvRmT3_T4_T5_mT6_P12ihipStream_tbENKUlT_T0_E_clISt17integral_constantIbLb0EESX_IbLb1EEEEDaST_SU_EUlST_E0_NS1_11comp_targetILNS1_3genE8ELNS1_11target_archE1030ELNS1_3gpuE2ELNS1_3repE0EEENS1_30default_config_static_selectorELNS0_4arch9wavefront6targetE0EEEvT1_
	.p2align	8
	.type	_ZN7rocprim17ROCPRIM_400000_NS6detail17trampoline_kernelINS0_14default_configENS1_20scan_config_selectorIN3c104HalfEEEZZNS1_9scan_implILNS1_25lookback_scan_determinismE0ELb0ELb0ES3_PKS6_PS6_S6_ZZZN2at6native31launch_logcumsumexp_cuda_kernelERKNSD_10TensorBaseESH_lENKUlvE_clEvENKUlvE3_clEvEUlS6_S6_E_S6_EEDaPvRmT3_T4_T5_mT6_P12ihipStream_tbENKUlT_T0_E_clISt17integral_constantIbLb0EESX_IbLb1EEEEDaST_SU_EUlST_E0_NS1_11comp_targetILNS1_3genE8ELNS1_11target_archE1030ELNS1_3gpuE2ELNS1_3repE0EEENS1_30default_config_static_selectorELNS0_4arch9wavefront6targetE0EEEvT1_,@function
_ZN7rocprim17ROCPRIM_400000_NS6detail17trampoline_kernelINS0_14default_configENS1_20scan_config_selectorIN3c104HalfEEEZZNS1_9scan_implILNS1_25lookback_scan_determinismE0ELb0ELb0ES3_PKS6_PS6_S6_ZZZN2at6native31launch_logcumsumexp_cuda_kernelERKNSD_10TensorBaseESH_lENKUlvE_clEvENKUlvE3_clEvEUlS6_S6_E_S6_EEDaPvRmT3_T4_T5_mT6_P12ihipStream_tbENKUlT_T0_E_clISt17integral_constantIbLb0EESX_IbLb1EEEEDaST_SU_EUlST_E0_NS1_11comp_targetILNS1_3genE8ELNS1_11target_archE1030ELNS1_3gpuE2ELNS1_3repE0EEENS1_30default_config_static_selectorELNS0_4arch9wavefront6targetE0EEEvT1_: ; @_ZN7rocprim17ROCPRIM_400000_NS6detail17trampoline_kernelINS0_14default_configENS1_20scan_config_selectorIN3c104HalfEEEZZNS1_9scan_implILNS1_25lookback_scan_determinismE0ELb0ELb0ES3_PKS6_PS6_S6_ZZZN2at6native31launch_logcumsumexp_cuda_kernelERKNSD_10TensorBaseESH_lENKUlvE_clEvENKUlvE3_clEvEUlS6_S6_E_S6_EEDaPvRmT3_T4_T5_mT6_P12ihipStream_tbENKUlT_T0_E_clISt17integral_constantIbLb0EESX_IbLb1EEEEDaST_SU_EUlST_E0_NS1_11comp_targetILNS1_3genE8ELNS1_11target_archE1030ELNS1_3gpuE2ELNS1_3repE0EEENS1_30default_config_static_selectorELNS0_4arch9wavefront6targetE0EEEvT1_
; %bb.0:
	.section	.rodata,"a",@progbits
	.p2align	6, 0x0
	.amdhsa_kernel _ZN7rocprim17ROCPRIM_400000_NS6detail17trampoline_kernelINS0_14default_configENS1_20scan_config_selectorIN3c104HalfEEEZZNS1_9scan_implILNS1_25lookback_scan_determinismE0ELb0ELb0ES3_PKS6_PS6_S6_ZZZN2at6native31launch_logcumsumexp_cuda_kernelERKNSD_10TensorBaseESH_lENKUlvE_clEvENKUlvE3_clEvEUlS6_S6_E_S6_EEDaPvRmT3_T4_T5_mT6_P12ihipStream_tbENKUlT_T0_E_clISt17integral_constantIbLb0EESX_IbLb1EEEEDaST_SU_EUlST_E0_NS1_11comp_targetILNS1_3genE8ELNS1_11target_archE1030ELNS1_3gpuE2ELNS1_3repE0EEENS1_30default_config_static_selectorELNS0_4arch9wavefront6targetE0EEEvT1_
		.amdhsa_group_segment_fixed_size 0
		.amdhsa_private_segment_fixed_size 0
		.amdhsa_kernarg_size 32
		.amdhsa_user_sgpr_count 15
		.amdhsa_user_sgpr_dispatch_ptr 0
		.amdhsa_user_sgpr_queue_ptr 0
		.amdhsa_user_sgpr_kernarg_segment_ptr 1
		.amdhsa_user_sgpr_dispatch_id 0
		.amdhsa_user_sgpr_private_segment_size 0
		.amdhsa_wavefront_size32 1
		.amdhsa_uses_dynamic_stack 0
		.amdhsa_enable_private_segment 0
		.amdhsa_system_sgpr_workgroup_id_x 1
		.amdhsa_system_sgpr_workgroup_id_y 0
		.amdhsa_system_sgpr_workgroup_id_z 0
		.amdhsa_system_sgpr_workgroup_info 0
		.amdhsa_system_vgpr_workitem_id 0
		.amdhsa_next_free_vgpr 1
		.amdhsa_next_free_sgpr 1
		.amdhsa_reserve_vcc 0
		.amdhsa_float_round_mode_32 0
		.amdhsa_float_round_mode_16_64 0
		.amdhsa_float_denorm_mode_32 3
		.amdhsa_float_denorm_mode_16_64 3
		.amdhsa_dx10_clamp 1
		.amdhsa_ieee_mode 1
		.amdhsa_fp16_overflow 0
		.amdhsa_workgroup_processor_mode 1
		.amdhsa_memory_ordered 1
		.amdhsa_forward_progress 0
		.amdhsa_shared_vgpr_count 0
		.amdhsa_exception_fp_ieee_invalid_op 0
		.amdhsa_exception_fp_denorm_src 0
		.amdhsa_exception_fp_ieee_div_zero 0
		.amdhsa_exception_fp_ieee_overflow 0
		.amdhsa_exception_fp_ieee_underflow 0
		.amdhsa_exception_fp_ieee_inexact 0
		.amdhsa_exception_int_div_zero 0
	.end_amdhsa_kernel
	.section	.text._ZN7rocprim17ROCPRIM_400000_NS6detail17trampoline_kernelINS0_14default_configENS1_20scan_config_selectorIN3c104HalfEEEZZNS1_9scan_implILNS1_25lookback_scan_determinismE0ELb0ELb0ES3_PKS6_PS6_S6_ZZZN2at6native31launch_logcumsumexp_cuda_kernelERKNSD_10TensorBaseESH_lENKUlvE_clEvENKUlvE3_clEvEUlS6_S6_E_S6_EEDaPvRmT3_T4_T5_mT6_P12ihipStream_tbENKUlT_T0_E_clISt17integral_constantIbLb0EESX_IbLb1EEEEDaST_SU_EUlST_E0_NS1_11comp_targetILNS1_3genE8ELNS1_11target_archE1030ELNS1_3gpuE2ELNS1_3repE0EEENS1_30default_config_static_selectorELNS0_4arch9wavefront6targetE0EEEvT1_,"axG",@progbits,_ZN7rocprim17ROCPRIM_400000_NS6detail17trampoline_kernelINS0_14default_configENS1_20scan_config_selectorIN3c104HalfEEEZZNS1_9scan_implILNS1_25lookback_scan_determinismE0ELb0ELb0ES3_PKS6_PS6_S6_ZZZN2at6native31launch_logcumsumexp_cuda_kernelERKNSD_10TensorBaseESH_lENKUlvE_clEvENKUlvE3_clEvEUlS6_S6_E_S6_EEDaPvRmT3_T4_T5_mT6_P12ihipStream_tbENKUlT_T0_E_clISt17integral_constantIbLb0EESX_IbLb1EEEEDaST_SU_EUlST_E0_NS1_11comp_targetILNS1_3genE8ELNS1_11target_archE1030ELNS1_3gpuE2ELNS1_3repE0EEENS1_30default_config_static_selectorELNS0_4arch9wavefront6targetE0EEEvT1_,comdat
.Lfunc_end441:
	.size	_ZN7rocprim17ROCPRIM_400000_NS6detail17trampoline_kernelINS0_14default_configENS1_20scan_config_selectorIN3c104HalfEEEZZNS1_9scan_implILNS1_25lookback_scan_determinismE0ELb0ELb0ES3_PKS6_PS6_S6_ZZZN2at6native31launch_logcumsumexp_cuda_kernelERKNSD_10TensorBaseESH_lENKUlvE_clEvENKUlvE3_clEvEUlS6_S6_E_S6_EEDaPvRmT3_T4_T5_mT6_P12ihipStream_tbENKUlT_T0_E_clISt17integral_constantIbLb0EESX_IbLb1EEEEDaST_SU_EUlST_E0_NS1_11comp_targetILNS1_3genE8ELNS1_11target_archE1030ELNS1_3gpuE2ELNS1_3repE0EEENS1_30default_config_static_selectorELNS0_4arch9wavefront6targetE0EEEvT1_, .Lfunc_end441-_ZN7rocprim17ROCPRIM_400000_NS6detail17trampoline_kernelINS0_14default_configENS1_20scan_config_selectorIN3c104HalfEEEZZNS1_9scan_implILNS1_25lookback_scan_determinismE0ELb0ELb0ES3_PKS6_PS6_S6_ZZZN2at6native31launch_logcumsumexp_cuda_kernelERKNSD_10TensorBaseESH_lENKUlvE_clEvENKUlvE3_clEvEUlS6_S6_E_S6_EEDaPvRmT3_T4_T5_mT6_P12ihipStream_tbENKUlT_T0_E_clISt17integral_constantIbLb0EESX_IbLb1EEEEDaST_SU_EUlST_E0_NS1_11comp_targetILNS1_3genE8ELNS1_11target_archE1030ELNS1_3gpuE2ELNS1_3repE0EEENS1_30default_config_static_selectorELNS0_4arch9wavefront6targetE0EEEvT1_
                                        ; -- End function
	.section	.AMDGPU.csdata,"",@progbits
; Kernel info:
; codeLenInByte = 0
; NumSgprs: 0
; NumVgprs: 0
; ScratchSize: 0
; MemoryBound: 0
; FloatMode: 240
; IeeeMode: 1
; LDSByteSize: 0 bytes/workgroup (compile time only)
; SGPRBlocks: 0
; VGPRBlocks: 0
; NumSGPRsForWavesPerEU: 1
; NumVGPRsForWavesPerEU: 1
; Occupancy: 16
; WaveLimiterHint : 0
; COMPUTE_PGM_RSRC2:SCRATCH_EN: 0
; COMPUTE_PGM_RSRC2:USER_SGPR: 15
; COMPUTE_PGM_RSRC2:TRAP_HANDLER: 0
; COMPUTE_PGM_RSRC2:TGID_X_EN: 1
; COMPUTE_PGM_RSRC2:TGID_Y_EN: 0
; COMPUTE_PGM_RSRC2:TGID_Z_EN: 0
; COMPUTE_PGM_RSRC2:TIDIG_COMP_CNT: 0
	.section	.text._ZN2at6native32tensor_kernel_scan_innermost_dimIN3c104HalfEZZZNS0_31launch_logcumsumexp_cuda_kernelERKNS_10TensorBaseES6_lENKUlvE_clEvENKUlvE3_clEvEUlS3_S3_E_EEvPT_PKSA_jjjSA_T0_,"axG",@progbits,_ZN2at6native32tensor_kernel_scan_innermost_dimIN3c104HalfEZZZNS0_31launch_logcumsumexp_cuda_kernelERKNS_10TensorBaseES6_lENKUlvE_clEvENKUlvE3_clEvEUlS3_S3_E_EEvPT_PKSA_jjjSA_T0_,comdat
	.globl	_ZN2at6native32tensor_kernel_scan_innermost_dimIN3c104HalfEZZZNS0_31launch_logcumsumexp_cuda_kernelERKNS_10TensorBaseES6_lENKUlvE_clEvENKUlvE3_clEvEUlS3_S3_E_EEvPT_PKSA_jjjSA_T0_ ; -- Begin function _ZN2at6native32tensor_kernel_scan_innermost_dimIN3c104HalfEZZZNS0_31launch_logcumsumexp_cuda_kernelERKNS_10TensorBaseES6_lENKUlvE_clEvENKUlvE3_clEvEUlS3_S3_E_EEvPT_PKSA_jjjSA_T0_
	.p2align	8
	.type	_ZN2at6native32tensor_kernel_scan_innermost_dimIN3c104HalfEZZZNS0_31launch_logcumsumexp_cuda_kernelERKNS_10TensorBaseES6_lENKUlvE_clEvENKUlvE3_clEvEUlS3_S3_E_EEvPT_PKSA_jjjSA_T0_,@function
_ZN2at6native32tensor_kernel_scan_innermost_dimIN3c104HalfEZZZNS0_31launch_logcumsumexp_cuda_kernelERKNS_10TensorBaseES6_lENKUlvE_clEvENKUlvE3_clEvEUlS3_S3_E_EEvPT_PKSA_jjjSA_T0_: ; @_ZN2at6native32tensor_kernel_scan_innermost_dimIN3c104HalfEZZZNS0_31launch_logcumsumexp_cuda_kernelERKNS_10TensorBaseES6_lENKUlvE_clEvENKUlvE3_clEvEUlS3_S3_E_EEvPT_PKSA_jjjSA_T0_
; %bb.0:
	s_load_b256 s[16:23], s[0:1], 0x0
	v_bfe_u32 v9, v0, 10, 10
	s_waitcnt lgkmcnt(0)
	s_lshl_b32 s5, 2, s22
	s_mul_hi_u32 s2, s20, s21
	s_delay_alu instid0(VALU_DEP_1) | instskip(SKIP_3) | instid1(VALU_DEP_1)
	v_mul_lo_u32 v1, s5, v9
	s_mov_b32 s6, s20
	s_cmp_lg_u32 s2, 0
	s_mov_b32 s2, -1
	v_lshl_add_u32 v10, v1, 1, 0
	s_cbranch_scc1 .LBB442_30
; %bb.1:
	s_load_b32 s4, s[0:1], 0x2c
	s_add_u32 s2, s0, 32
	s_addc_u32 s3, s1, 0
	s_waitcnt lgkmcnt(0)
	s_lshr_b32 s4, s4, 16
	s_delay_alu instid0(SALU_CYCLE_1) | instskip(NEXT) | instid1(SALU_CYCLE_1)
	s_mul_i32 s7, s15, s4
	s_cmp_ge_u32 s7, s20
	s_cbranch_scc1 .LBB442_29
; %bb.2:
	s_load_b32 s11, s[2:3], 0x0
	v_dual_mov_b32 v2, 0 :: v_dual_and_b32 v5, 0x3ff, v0
	v_add_nc_u32_e32 v6, -2, v10
	s_lshl_b32 s8, 1, s22
	s_cmp_lg_u32 s21, 0
	s_delay_alu instid0(VALU_DEP_2)
	v_lshl_add_u32 v7, v5, 1, v10
	v_cmp_eq_u32_e64 s2, 0, v5
	v_lshl_add_u32 v8, s5, 1, v6
	s_cselect_b32 s9, -1, 0
	s_add_i32 s10, s22, 1
	v_lshl_add_u32 v11, s8, 1, v7
	s_mov_b32 s12, 0x3e9b6dac
	s_waitcnt lgkmcnt(0)
	s_mul_i32 s11, s11, s4
	s_branch .LBB442_4
.LBB442_3:                              ;   in Loop: Header=BB442_4 Depth=1
	s_add_i32 s7, s7, s11
	s_delay_alu instid0(SALU_CYCLE_1)
	s_cmp_ge_u32 s7, s20
	s_cbranch_scc1 .LBB442_29
.LBB442_4:                              ; =>This Loop Header: Depth=1
                                        ;     Child Loop BB442_7 Depth 2
                                        ;       Child Loop BB442_19 Depth 3
	s_and_not1_b32 vcc_lo, exec_lo, s9
	s_cbranch_vccnz .LBB442_3
; %bb.5:                                ;   in Loop: Header=BB442_4 Depth=1
	v_add_nc_u32_e32 v12, s7, v9
	v_mov_b32_e32 v16, s23
	s_mov_b32 s13, 0
	s_delay_alu instid0(VALU_DEP_2) | instskip(SKIP_2) | instid1(VALU_DEP_3)
	v_mul_lo_u32 v1, v12, s21
	v_cmp_gt_u32_e32 vcc_lo, s20, v12
	v_cmp_le_u32_e64 s3, s20, v12
	v_lshlrev_b64 v[3:4], 1, v[1:2]
	s_delay_alu instid0(VALU_DEP_1) | instskip(NEXT) | instid1(VALU_DEP_1)
	v_add_co_u32 v12, s4, s18, v3
	v_add_co_ci_u32_e64 v13, s4, s19, v4, s4
	v_add_co_u32 v14, s4, s16, v3
	s_delay_alu instid0(VALU_DEP_1)
	v_add_co_ci_u32_e64 v15, s4, s17, v4, s4
	s_branch .LBB442_7
.LBB442_6:                              ;   in Loop: Header=BB442_7 Depth=2
	s_or_b32 exec_lo, exec_lo, s14
	ds_load_u16 v16, v8
	s_add_i32 s13, s13, s5
	s_waitcnt lgkmcnt(0)
	s_waitcnt_vscnt null, 0x0
	s_cmp_ge_u32 s13, s21
	s_barrier
	buffer_gl0_inv
	s_cbranch_scc1 .LBB442_3
.LBB442_7:                              ;   Parent Loop BB442_4 Depth=1
                                        ; =>  This Loop Header: Depth=2
                                        ;       Child Loop BB442_19 Depth 3
	v_add_nc_u32_e32 v1, s13, v5
	s_delay_alu instid0(VALU_DEP_1)
	v_add_nc_u32_e32 v3, s8, v1
	s_and_saveexec_b32 s14, vcc_lo
	s_cbranch_execz .LBB442_16
; %bb.8:                                ;   in Loop: Header=BB442_7 Depth=2
	v_mov_b32_e32 v4, s23
	s_mov_b32 s24, exec_lo
	v_cmpx_gt_u32_e64 s21, v1
	s_cbranch_execz .LBB442_10
; %bb.9:                                ;   in Loop: Header=BB442_7 Depth=2
	v_lshlrev_b64 v[17:18], 1, v[1:2]
	s_delay_alu instid0(VALU_DEP_1) | instskip(NEXT) | instid1(VALU_DEP_1)
	v_add_co_u32 v17, s4, v12, v17
	v_add_co_ci_u32_e64 v18, s4, v13, v18, s4
	global_load_u16 v4, v[17:18], off
.LBB442_10:                             ;   in Loop: Header=BB442_7 Depth=2
	s_or_b32 exec_lo, exec_lo, s24
	v_mov_b32_e32 v17, s23
	s_mov_b32 s24, exec_lo
	s_waitcnt vmcnt(0)
	ds_store_b16 v7, v4
	v_cmpx_gt_u32_e64 s21, v3
	s_cbranch_execz .LBB442_12
; %bb.11:                               ;   in Loop: Header=BB442_7 Depth=2
	v_mov_b32_e32 v4, v2
	s_delay_alu instid0(VALU_DEP_1) | instskip(NEXT) | instid1(VALU_DEP_1)
	v_lshlrev_b64 v[17:18], 1, v[3:4]
	v_add_co_u32 v17, s4, v12, v17
	s_delay_alu instid0(VALU_DEP_1)
	v_add_co_ci_u32_e64 v18, s4, v13, v18, s4
	global_load_u16 v17, v[17:18], off
.LBB442_12:                             ;   in Loop: Header=BB442_7 Depth=2
	s_or_b32 exec_lo, exec_lo, s24
	s_waitcnt vmcnt(0)
	ds_store_b16 v11, v17
	s_and_b32 exec_lo, exec_lo, s2
	s_cbranch_execz .LBB442_16
; %bb.13:                               ;   in Loop: Header=BB442_7 Depth=2
	ds_load_u16 v17, v10
	v_cvt_f32_f16_e32 v4, v16
	s_waitcnt lgkmcnt(0)
	v_cvt_f32_f16_e32 v18, v17
	v_cmp_u_f16_e64 s4, v17, v17
	s_delay_alu instid0(VALU_DEP_2) | instskip(SKIP_1) | instid1(VALU_DEP_2)
	v_min_f32_e32 v19, v18, v4
	v_max_f32_e32 v20, v18, v4
	v_cndmask_b32_e64 v19, v19, v18, s4
	s_delay_alu instid0(VALU_DEP_2) | instskip(SKIP_1) | instid1(VALU_DEP_1)
	v_cndmask_b32_e64 v18, v20, v18, s4
	v_cmp_u_f16_e64 s4, v16, v16
	v_cndmask_b32_e64 v16, v19, v4, s4
	s_delay_alu instid0(VALU_DEP_3) | instskip(NEXT) | instid1(VALU_DEP_2)
	v_cndmask_b32_e64 v4, v18, v4, s4
	v_cmp_class_f32_e64 s24, v16, 0x1f8
	s_delay_alu instid0(VALU_DEP_2) | instskip(NEXT) | instid1(VALU_DEP_1)
	v_cmp_neq_f32_e64 s4, v16, v4
	s_or_b32 s4, s4, s24
	s_delay_alu instid0(SALU_CYCLE_1)
	s_and_saveexec_b32 s24, s4
	s_cbranch_execz .LBB442_15
; %bb.14:                               ;   in Loop: Header=BB442_7 Depth=2
	v_sub_f32_e32 v16, v16, v4
	s_delay_alu instid0(VALU_DEP_1) | instskip(NEXT) | instid1(VALU_DEP_1)
	v_mul_f32_e32 v17, 0x3fb8aa3b, v16
	v_fma_f32 v18, 0x3fb8aa3b, v16, -v17
	v_rndne_f32_e32 v19, v17
	s_delay_alu instid0(VALU_DEP_1) | instskip(SKIP_1) | instid1(VALU_DEP_2)
	v_dual_sub_f32 v17, v17, v19 :: v_dual_fmac_f32 v18, 0x32a5705f, v16
	v_cmp_ngt_f32_e64 s4, 0xc2ce8ed0, v16
	v_add_f32_e32 v17, v17, v18
	v_cvt_i32_f32_e32 v18, v19
	s_delay_alu instid0(VALU_DEP_2) | instskip(SKIP_2) | instid1(VALU_DEP_1)
	v_exp_f32_e32 v17, v17
	s_waitcnt_depctr 0xfff
	v_ldexp_f32 v17, v17, v18
	v_cndmask_b32_e64 v17, 0, v17, s4
	v_cmp_nlt_f32_e64 s4, 0x42b17218, v16
	s_delay_alu instid0(VALU_DEP_1) | instskip(NEXT) | instid1(VALU_DEP_1)
	v_cndmask_b32_e64 v18, 0x7f800000, v17, s4
	v_add_f32_e32 v19, 1.0, v18
	v_cmp_gt_f32_e64 s25, 0x33800000, |v18|
	s_delay_alu instid0(VALU_DEP_2) | instskip(NEXT) | instid1(VALU_DEP_1)
	v_cvt_f64_f32_e32 v[16:17], v19
	v_frexp_exp_i32_f64_e32 v16, v[16:17]
	v_frexp_mant_f32_e32 v17, v19
	s_delay_alu instid0(VALU_DEP_1) | instskip(SKIP_1) | instid1(VALU_DEP_1)
	v_cmp_gt_f32_e64 s4, 0x3f2aaaab, v17
	v_add_f32_e32 v17, -1.0, v19
	v_sub_f32_e32 v21, v17, v19
	v_sub_f32_e32 v17, v18, v17
	s_delay_alu instid0(VALU_DEP_4) | instskip(SKIP_1) | instid1(VALU_DEP_2)
	v_subrev_co_ci_u32_e64 v16, s4, 0, v16, s4
	v_cmp_eq_f32_e64 s4, 0x7f800000, v18
	v_sub_nc_u32_e32 v20, 0, v16
	v_cvt_f32_i32_e32 v16, v16
	s_delay_alu instid0(VALU_DEP_3) | instskip(NEXT) | instid1(VALU_DEP_2)
	s_or_b32 s4, s4, s25
	v_ldexp_f32 v19, v19, v20
	s_delay_alu instid0(VALU_DEP_1) | instskip(NEXT) | instid1(VALU_DEP_1)
	v_dual_add_f32 v22, 1.0, v19 :: v_dual_add_f32 v21, 1.0, v21
	v_add_f32_e32 v17, v17, v21
	s_delay_alu instid0(VALU_DEP_2) | instskip(NEXT) | instid1(VALU_DEP_2)
	v_add_f32_e32 v21, -1.0, v22
	v_ldexp_f32 v17, v17, v20
	s_delay_alu instid0(VALU_DEP_2) | instskip(NEXT) | instid1(VALU_DEP_1)
	v_dual_add_f32 v20, -1.0, v19 :: v_dual_sub_f32 v21, v19, v21
	v_add_f32_e32 v23, 1.0, v20
	s_delay_alu instid0(VALU_DEP_2) | instskip(NEXT) | instid1(VALU_DEP_2)
	v_add_f32_e32 v21, v17, v21
	v_sub_f32_e32 v19, v19, v23
	s_delay_alu instid0(VALU_DEP_2) | instskip(NEXT) | instid1(VALU_DEP_2)
	v_add_f32_e32 v23, v22, v21
	v_add_f32_e32 v17, v17, v19
	s_delay_alu instid0(VALU_DEP_2) | instskip(SKIP_1) | instid1(VALU_DEP_1)
	v_rcp_f32_e32 v19, v23
	v_sub_f32_e32 v22, v22, v23
	v_dual_add_f32 v24, v20, v17 :: v_dual_add_f32 v21, v21, v22
	s_delay_alu instid0(VALU_DEP_1) | instskip(SKIP_2) | instid1(VALU_DEP_1)
	v_sub_f32_e32 v20, v20, v24
	s_waitcnt_depctr 0xfff
	v_mul_f32_e32 v25, v24, v19
	v_dual_add_f32 v17, v17, v20 :: v_dual_mul_f32 v26, v23, v25
	s_delay_alu instid0(VALU_DEP_1) | instskip(NEXT) | instid1(VALU_DEP_1)
	v_fma_f32 v22, v25, v23, -v26
	v_fmac_f32_e32 v22, v25, v21
	s_delay_alu instid0(VALU_DEP_1) | instskip(NEXT) | instid1(VALU_DEP_1)
	v_add_f32_e32 v27, v26, v22
	v_sub_f32_e32 v28, v24, v27
	v_sub_f32_e32 v20, v27, v26
	s_delay_alu instid0(VALU_DEP_2) | instskip(NEXT) | instid1(VALU_DEP_2)
	v_sub_f32_e32 v24, v24, v28
	v_sub_f32_e32 v20, v20, v22
	s_delay_alu instid0(VALU_DEP_2) | instskip(NEXT) | instid1(VALU_DEP_1)
	v_sub_f32_e32 v24, v24, v27
	v_add_f32_e32 v17, v17, v24
	s_delay_alu instid0(VALU_DEP_1) | instskip(NEXT) | instid1(VALU_DEP_1)
	v_add_f32_e32 v17, v20, v17
	v_add_f32_e32 v20, v28, v17
	s_delay_alu instid0(VALU_DEP_1) | instskip(NEXT) | instid1(VALU_DEP_1)
	v_mul_f32_e32 v22, v19, v20
	v_dual_sub_f32 v27, v28, v20 :: v_dual_mul_f32 v24, v23, v22
	s_delay_alu instid0(VALU_DEP_1) | instskip(NEXT) | instid1(VALU_DEP_2)
	v_add_f32_e32 v17, v17, v27
	v_fma_f32 v23, v22, v23, -v24
	s_delay_alu instid0(VALU_DEP_1) | instskip(NEXT) | instid1(VALU_DEP_1)
	v_fmac_f32_e32 v23, v22, v21
	v_add_f32_e32 v21, v24, v23
	s_delay_alu instid0(VALU_DEP_1) | instskip(SKIP_1) | instid1(VALU_DEP_2)
	v_sub_f32_e32 v26, v20, v21
	v_sub_f32_e32 v24, v21, v24
	;; [unrolled: 1-line block ×3, first 2 shown]
	s_delay_alu instid0(VALU_DEP_1) | instskip(NEXT) | instid1(VALU_DEP_3)
	v_sub_f32_e32 v20, v20, v21
	v_sub_f32_e32 v21, v24, v23
	s_delay_alu instid0(VALU_DEP_2) | instskip(SKIP_1) | instid1(VALU_DEP_2)
	v_add_f32_e32 v17, v17, v20
	v_add_f32_e32 v20, v25, v22
	;; [unrolled: 1-line block ×3, first 2 shown]
	s_delay_alu instid0(VALU_DEP_2) | instskip(NEXT) | instid1(VALU_DEP_2)
	v_sub_f32_e32 v21, v20, v25
	v_add_f32_e32 v17, v26, v17
	s_delay_alu instid0(VALU_DEP_2) | instskip(NEXT) | instid1(VALU_DEP_2)
	v_sub_f32_e32 v21, v22, v21
	v_mul_f32_e32 v17, v19, v17
	s_delay_alu instid0(VALU_DEP_1) | instskip(NEXT) | instid1(VALU_DEP_1)
	v_add_f32_e32 v17, v21, v17
	v_add_f32_e32 v19, v20, v17
	s_delay_alu instid0(VALU_DEP_1) | instskip(NEXT) | instid1(VALU_DEP_1)
	v_mul_f32_e32 v21, v19, v19
	v_fmaak_f32 v22, s12, v21, 0x3ecc95a3
	v_mul_f32_e32 v23, v19, v21
	s_delay_alu instid0(VALU_DEP_2) | instskip(SKIP_2) | instid1(VALU_DEP_3)
	v_fmaak_f32 v21, v21, v22, 0x3f2aaada
	v_ldexp_f32 v22, v19, 1
	v_sub_f32_e32 v19, v19, v20
	v_mul_f32_e32 v21, v23, v21
	v_mul_f32_e32 v23, 0x3f317218, v16
	s_delay_alu instid0(VALU_DEP_2) | instskip(NEXT) | instid1(VALU_DEP_1)
	v_dual_sub_f32 v17, v17, v19 :: v_dual_add_f32 v20, v22, v21
	v_ldexp_f32 v17, v17, 1
	s_delay_alu instid0(VALU_DEP_2) | instskip(NEXT) | instid1(VALU_DEP_4)
	v_sub_f32_e32 v19, v20, v22
	v_fma_f32 v22, 0x3f317218, v16, -v23
	s_delay_alu instid0(VALU_DEP_1) | instskip(NEXT) | instid1(VALU_DEP_1)
	v_dual_sub_f32 v19, v21, v19 :: v_dual_fmac_f32 v22, 0xb102e308, v16
	v_dual_add_f32 v16, v17, v19 :: v_dual_add_f32 v17, v23, v22
	s_delay_alu instid0(VALU_DEP_1) | instskip(NEXT) | instid1(VALU_DEP_2)
	v_add_f32_e32 v19, v20, v16
	v_sub_f32_e32 v23, v17, v23
	s_delay_alu instid0(VALU_DEP_2) | instskip(NEXT) | instid1(VALU_DEP_2)
	v_dual_add_f32 v21, v17, v19 :: v_dual_sub_f32 v20, v19, v20
	v_sub_f32_e32 v22, v22, v23
	s_delay_alu instid0(VALU_DEP_2) | instskip(NEXT) | instid1(VALU_DEP_3)
	v_sub_f32_e32 v24, v21, v17
	v_sub_f32_e32 v16, v16, v20
	s_delay_alu instid0(VALU_DEP_2) | instskip(SKIP_1) | instid1(VALU_DEP_2)
	v_sub_f32_e32 v25, v21, v24
	v_sub_f32_e32 v19, v19, v24
	v_dual_add_f32 v20, v22, v16 :: v_dual_sub_f32 v17, v17, v25
	s_delay_alu instid0(VALU_DEP_1) | instskip(NEXT) | instid1(VALU_DEP_2)
	v_add_f32_e32 v17, v19, v17
	v_sub_f32_e32 v19, v20, v22
	s_delay_alu instid0(VALU_DEP_2) | instskip(NEXT) | instid1(VALU_DEP_2)
	v_add_f32_e32 v17, v20, v17
	v_sub_f32_e32 v20, v20, v19
	s_delay_alu instid0(VALU_DEP_2) | instskip(NEXT) | instid1(VALU_DEP_1)
	v_dual_sub_f32 v16, v16, v19 :: v_dual_add_f32 v23, v21, v17
	v_dual_sub_f32 v20, v22, v20 :: v_dual_sub_f32 v19, v23, v21
	s_delay_alu instid0(VALU_DEP_1) | instskip(NEXT) | instid1(VALU_DEP_1)
	v_dual_add_f32 v16, v16, v20 :: v_dual_sub_f32 v17, v17, v19
	v_add_f32_e32 v16, v16, v17
	s_delay_alu instid0(VALU_DEP_1) | instskip(NEXT) | instid1(VALU_DEP_1)
	v_add_f32_e32 v16, v23, v16
	v_cndmask_b32_e64 v16, v16, v18, s4
	s_delay_alu instid0(VALU_DEP_1) | instskip(NEXT) | instid1(VALU_DEP_1)
	v_add_f32_e32 v4, v4, v16
	v_cvt_f16_f32_e32 v17, v4
.LBB442_15:                             ;   in Loop: Header=BB442_7 Depth=2
	s_or_b32 exec_lo, exec_lo, s24
	ds_store_b16 v10, v17
.LBB442_16:                             ;   in Loop: Header=BB442_7 Depth=2
	s_or_b32 exec_lo, exec_lo, s14
	v_mov_b32_e32 v16, 0
	s_mov_b32 s14, 0
	s_waitcnt lgkmcnt(0)
	s_barrier
	buffer_gl0_inv
	s_branch .LBB442_19
.LBB442_17:                             ;   in Loop: Header=BB442_19 Depth=3
	s_or_b32 exec_lo, exec_lo, s25
	ds_store_b16 v16, v18
.LBB442_18:                             ;   in Loop: Header=BB442_19 Depth=3
	s_or_b32 exec_lo, exec_lo, s24
	s_delay_alu instid0(VALU_DEP_1)
	v_cmp_eq_u32_e64 s4, s10, v4
	v_mov_b32_e32 v16, v4
	s_waitcnt lgkmcnt(0)
	s_barrier
	buffer_gl0_inv
	s_or_b32 s14, s4, s14
	s_delay_alu instid0(SALU_CYCLE_1)
	s_and_not1_b32 exec_lo, exec_lo, s14
	s_cbranch_execz .LBB442_24
.LBB442_19:                             ;   Parent Loop BB442_4 Depth=1
                                        ;     Parent Loop BB442_7 Depth=2
                                        ; =>    This Inner Loop Header: Depth=3
	v_add_nc_u32_e32 v4, 1, v16
	s_and_saveexec_b32 s4, s3
	s_delay_alu instid0(SALU_CYCLE_1)
	s_xor_b32 s4, exec_lo, s4
; %bb.20:                               ;   in Loop: Header=BB442_19 Depth=3
	v_add_nc_u32_e32 v4, 1, v16
                                        ; implicit-def: $vgpr16
; %bb.21:                               ;   in Loop: Header=BB442_19 Depth=3
	s_and_not1_saveexec_b32 s24, s4
	s_cbranch_execz .LBB442_18
; %bb.22:                               ;   in Loop: Header=BB442_19 Depth=3
	v_lshlrev_b32_e64 v17, v16, 1
	v_lshrrev_b32_e32 v18, v16, v5
	v_bfm_b32 v16, v16, 0
	s_delay_alu instid0(VALU_DEP_2) | instskip(NEXT) | instid1(VALU_DEP_2)
	v_lshl_or_b32 v17, v18, v4, v17
	v_and_b32_e32 v16, v16, v5
	s_delay_alu instid0(VALU_DEP_2) | instskip(NEXT) | instid1(VALU_DEP_2)
	v_lshlrev_b32_e32 v17, 1, v17
	v_lshlrev_b32_e32 v16, 1, v16
	s_delay_alu instid0(VALU_DEP_1)
	v_add3_u32 v16, v10, v17, v16
	v_add_nc_u32_e32 v17, v6, v17
	ds_load_u16 v18, v16
	ds_load_u16 v17, v17
	s_waitcnt lgkmcnt(1)
	v_cvt_f32_f16_e32 v19, v18
	s_waitcnt lgkmcnt(0)
	v_cvt_f32_f16_e32 v20, v17
	v_cmp_u_f16_e64 s4, v18, v18
	s_delay_alu instid0(VALU_DEP_2) | instskip(SKIP_1) | instid1(VALU_DEP_2)
	v_max_f32_e32 v22, v19, v20
	v_min_f32_e32 v21, v19, v20
	v_cndmask_b32_e64 v22, v22, v19, s4
	s_delay_alu instid0(VALU_DEP_2) | instskip(SKIP_1) | instid1(VALU_DEP_1)
	v_cndmask_b32_e64 v21, v21, v19, s4
	v_cmp_u_f16_e64 s4, v17, v17
	v_cndmask_b32_e64 v19, v21, v20, s4
	s_delay_alu instid0(VALU_DEP_4) | instskip(NEXT) | instid1(VALU_DEP_2)
	v_cndmask_b32_e64 v17, v22, v20, s4
	v_cmp_class_f32_e64 s25, v19, 0x1f8
	s_delay_alu instid0(VALU_DEP_2) | instskip(NEXT) | instid1(VALU_DEP_1)
	v_cmp_neq_f32_e64 s4, v19, v17
	s_or_b32 s4, s4, s25
	s_delay_alu instid0(SALU_CYCLE_1)
	s_and_saveexec_b32 s25, s4
	s_cbranch_execz .LBB442_17
; %bb.23:                               ;   in Loop: Header=BB442_19 Depth=3
	v_sub_f32_e32 v18, v19, v17
	s_delay_alu instid0(VALU_DEP_1) | instskip(SKIP_1) | instid1(VALU_DEP_2)
	v_mul_f32_e32 v19, 0x3fb8aa3b, v18
	v_cmp_ngt_f32_e64 s4, 0xc2ce8ed0, v18
	v_fma_f32 v20, 0x3fb8aa3b, v18, -v19
	v_rndne_f32_e32 v21, v19
	s_delay_alu instid0(VALU_DEP_1) | instskip(NEXT) | instid1(VALU_DEP_1)
	v_dual_fmac_f32 v20, 0x32a5705f, v18 :: v_dual_sub_f32 v19, v19, v21
	v_add_f32_e32 v19, v19, v20
	v_cvt_i32_f32_e32 v20, v21
	s_delay_alu instid0(VALU_DEP_2) | instskip(SKIP_2) | instid1(VALU_DEP_1)
	v_exp_f32_e32 v19, v19
	s_waitcnt_depctr 0xfff
	v_ldexp_f32 v19, v19, v20
	v_cndmask_b32_e64 v19, 0, v19, s4
	v_cmp_nlt_f32_e64 s4, 0x42b17218, v18
	s_delay_alu instid0(VALU_DEP_1) | instskip(NEXT) | instid1(VALU_DEP_1)
	v_cndmask_b32_e64 v20, 0x7f800000, v19, s4
	v_add_f32_e32 v21, 1.0, v20
	v_cmp_gt_f32_e64 s26, 0x33800000, |v20|
	s_delay_alu instid0(VALU_DEP_2) | instskip(NEXT) | instid1(VALU_DEP_1)
	v_cvt_f64_f32_e32 v[18:19], v21
	v_frexp_exp_i32_f64_e32 v18, v[18:19]
	v_frexp_mant_f32_e32 v19, v21
	s_delay_alu instid0(VALU_DEP_1) | instskip(SKIP_1) | instid1(VALU_DEP_1)
	v_cmp_gt_f32_e64 s4, 0x3f2aaaab, v19
	v_add_f32_e32 v19, -1.0, v21
	v_sub_f32_e32 v23, v19, v21
	v_sub_f32_e32 v19, v20, v19
	s_delay_alu instid0(VALU_DEP_4) | instskip(SKIP_1) | instid1(VALU_DEP_2)
	v_subrev_co_ci_u32_e64 v18, s4, 0, v18, s4
	v_cmp_eq_f32_e64 s4, 0x7f800000, v20
	v_sub_nc_u32_e32 v22, 0, v18
	v_cvt_f32_i32_e32 v18, v18
	s_delay_alu instid0(VALU_DEP_3) | instskip(NEXT) | instid1(VALU_DEP_2)
	s_or_b32 s4, s4, s26
	v_ldexp_f32 v21, v21, v22
	s_delay_alu instid0(VALU_DEP_1) | instskip(NEXT) | instid1(VALU_DEP_1)
	v_dual_add_f32 v24, 1.0, v21 :: v_dual_add_f32 v23, 1.0, v23
	v_add_f32_e32 v19, v19, v23
	s_delay_alu instid0(VALU_DEP_2) | instskip(NEXT) | instid1(VALU_DEP_2)
	v_add_f32_e32 v23, -1.0, v24
	v_ldexp_f32 v19, v19, v22
	s_delay_alu instid0(VALU_DEP_2) | instskip(NEXT) | instid1(VALU_DEP_1)
	v_dual_add_f32 v22, -1.0, v21 :: v_dual_sub_f32 v23, v21, v23
	v_add_f32_e32 v25, 1.0, v22
	s_delay_alu instid0(VALU_DEP_2) | instskip(NEXT) | instid1(VALU_DEP_2)
	v_add_f32_e32 v23, v19, v23
	v_sub_f32_e32 v21, v21, v25
	s_delay_alu instid0(VALU_DEP_2) | instskip(NEXT) | instid1(VALU_DEP_2)
	v_add_f32_e32 v25, v24, v23
	v_add_f32_e32 v19, v19, v21
	s_delay_alu instid0(VALU_DEP_2) | instskip(SKIP_1) | instid1(VALU_DEP_1)
	v_rcp_f32_e32 v21, v25
	v_sub_f32_e32 v24, v24, v25
	v_dual_add_f32 v26, v22, v19 :: v_dual_add_f32 v23, v23, v24
	s_delay_alu instid0(VALU_DEP_1) | instskip(SKIP_2) | instid1(VALU_DEP_1)
	v_sub_f32_e32 v22, v22, v26
	s_waitcnt_depctr 0xfff
	v_mul_f32_e32 v27, v26, v21
	v_dual_add_f32 v19, v19, v22 :: v_dual_mul_f32 v28, v25, v27
	s_delay_alu instid0(VALU_DEP_1) | instskip(NEXT) | instid1(VALU_DEP_1)
	v_fma_f32 v24, v27, v25, -v28
	v_fmac_f32_e32 v24, v27, v23
	s_delay_alu instid0(VALU_DEP_1) | instskip(NEXT) | instid1(VALU_DEP_1)
	v_add_f32_e32 v29, v28, v24
	v_sub_f32_e32 v30, v26, v29
	v_sub_f32_e32 v22, v29, v28
	s_delay_alu instid0(VALU_DEP_2) | instskip(NEXT) | instid1(VALU_DEP_2)
	v_sub_f32_e32 v26, v26, v30
	v_sub_f32_e32 v22, v22, v24
	s_delay_alu instid0(VALU_DEP_2) | instskip(NEXT) | instid1(VALU_DEP_1)
	v_sub_f32_e32 v26, v26, v29
	v_add_f32_e32 v19, v19, v26
	s_delay_alu instid0(VALU_DEP_1) | instskip(NEXT) | instid1(VALU_DEP_1)
	v_add_f32_e32 v19, v22, v19
	v_add_f32_e32 v22, v30, v19
	s_delay_alu instid0(VALU_DEP_1) | instskip(NEXT) | instid1(VALU_DEP_1)
	v_mul_f32_e32 v24, v21, v22
	v_dual_sub_f32 v29, v30, v22 :: v_dual_mul_f32 v26, v25, v24
	s_delay_alu instid0(VALU_DEP_1) | instskip(NEXT) | instid1(VALU_DEP_2)
	v_add_f32_e32 v19, v19, v29
	v_fma_f32 v25, v24, v25, -v26
	s_delay_alu instid0(VALU_DEP_1) | instskip(NEXT) | instid1(VALU_DEP_1)
	v_fmac_f32_e32 v25, v24, v23
	v_add_f32_e32 v23, v26, v25
	s_delay_alu instid0(VALU_DEP_1) | instskip(SKIP_1) | instid1(VALU_DEP_2)
	v_sub_f32_e32 v28, v22, v23
	v_sub_f32_e32 v26, v23, v26
	;; [unrolled: 1-line block ×3, first 2 shown]
	s_delay_alu instid0(VALU_DEP_1) | instskip(NEXT) | instid1(VALU_DEP_3)
	v_sub_f32_e32 v22, v22, v23
	v_sub_f32_e32 v23, v26, v25
	s_delay_alu instid0(VALU_DEP_2) | instskip(SKIP_1) | instid1(VALU_DEP_2)
	v_add_f32_e32 v19, v19, v22
	v_add_f32_e32 v22, v27, v24
	;; [unrolled: 1-line block ×3, first 2 shown]
	s_delay_alu instid0(VALU_DEP_2) | instskip(NEXT) | instid1(VALU_DEP_2)
	v_sub_f32_e32 v23, v22, v27
	v_add_f32_e32 v19, v28, v19
	s_delay_alu instid0(VALU_DEP_2) | instskip(NEXT) | instid1(VALU_DEP_2)
	v_sub_f32_e32 v23, v24, v23
	v_mul_f32_e32 v19, v21, v19
	s_delay_alu instid0(VALU_DEP_1) | instskip(NEXT) | instid1(VALU_DEP_1)
	v_add_f32_e32 v19, v23, v19
	v_add_f32_e32 v21, v22, v19
	s_delay_alu instid0(VALU_DEP_1) | instskip(NEXT) | instid1(VALU_DEP_1)
	v_mul_f32_e32 v23, v21, v21
	v_fmaak_f32 v24, s12, v23, 0x3ecc95a3
	v_mul_f32_e32 v25, v21, v23
	s_delay_alu instid0(VALU_DEP_2) | instskip(SKIP_2) | instid1(VALU_DEP_3)
	v_fmaak_f32 v23, v23, v24, 0x3f2aaada
	v_ldexp_f32 v24, v21, 1
	v_sub_f32_e32 v21, v21, v22
	v_mul_f32_e32 v23, v25, v23
	v_mul_f32_e32 v25, 0x3f317218, v18
	s_delay_alu instid0(VALU_DEP_2) | instskip(NEXT) | instid1(VALU_DEP_1)
	v_dual_sub_f32 v19, v19, v21 :: v_dual_add_f32 v22, v24, v23
	v_ldexp_f32 v19, v19, 1
	s_delay_alu instid0(VALU_DEP_2) | instskip(NEXT) | instid1(VALU_DEP_4)
	v_sub_f32_e32 v21, v22, v24
	v_fma_f32 v24, 0x3f317218, v18, -v25
	s_delay_alu instid0(VALU_DEP_1) | instskip(NEXT) | instid1(VALU_DEP_1)
	v_dual_sub_f32 v21, v23, v21 :: v_dual_fmac_f32 v24, 0xb102e308, v18
	v_dual_add_f32 v18, v19, v21 :: v_dual_add_f32 v19, v25, v24
	s_delay_alu instid0(VALU_DEP_1) | instskip(NEXT) | instid1(VALU_DEP_2)
	v_add_f32_e32 v21, v22, v18
	v_sub_f32_e32 v25, v19, v25
	s_delay_alu instid0(VALU_DEP_2) | instskip(NEXT) | instid1(VALU_DEP_2)
	v_dual_add_f32 v23, v19, v21 :: v_dual_sub_f32 v22, v21, v22
	v_sub_f32_e32 v24, v24, v25
	s_delay_alu instid0(VALU_DEP_2) | instskip(NEXT) | instid1(VALU_DEP_3)
	v_sub_f32_e32 v26, v23, v19
	v_sub_f32_e32 v18, v18, v22
	s_delay_alu instid0(VALU_DEP_2) | instskip(SKIP_1) | instid1(VALU_DEP_2)
	v_sub_f32_e32 v27, v23, v26
	v_sub_f32_e32 v21, v21, v26
	v_dual_add_f32 v22, v24, v18 :: v_dual_sub_f32 v19, v19, v27
	s_delay_alu instid0(VALU_DEP_1) | instskip(NEXT) | instid1(VALU_DEP_2)
	v_add_f32_e32 v19, v21, v19
	v_sub_f32_e32 v21, v22, v24
	s_delay_alu instid0(VALU_DEP_2) | instskip(NEXT) | instid1(VALU_DEP_2)
	v_add_f32_e32 v19, v22, v19
	v_sub_f32_e32 v22, v22, v21
	s_delay_alu instid0(VALU_DEP_2) | instskip(NEXT) | instid1(VALU_DEP_1)
	v_dual_sub_f32 v18, v18, v21 :: v_dual_add_f32 v25, v23, v19
	v_dual_sub_f32 v22, v24, v22 :: v_dual_sub_f32 v21, v25, v23
	s_delay_alu instid0(VALU_DEP_1) | instskip(NEXT) | instid1(VALU_DEP_1)
	v_dual_add_f32 v18, v18, v22 :: v_dual_sub_f32 v19, v19, v21
	v_add_f32_e32 v18, v18, v19
	s_delay_alu instid0(VALU_DEP_1) | instskip(NEXT) | instid1(VALU_DEP_1)
	v_add_f32_e32 v18, v25, v18
	v_cndmask_b32_e64 v18, v18, v20, s4
	s_delay_alu instid0(VALU_DEP_1) | instskip(NEXT) | instid1(VALU_DEP_1)
	v_add_f32_e32 v17, v17, v18
	v_cvt_f16_f32_e32 v18, v17
	s_branch .LBB442_17
.LBB442_24:                             ;   in Loop: Header=BB442_7 Depth=2
	s_or_b32 exec_lo, exec_lo, s14
	s_and_saveexec_b32 s14, vcc_lo
	s_cbranch_execz .LBB442_6
; %bb.25:                               ;   in Loop: Header=BB442_7 Depth=2
	s_mov_b32 s24, exec_lo
	v_cmpx_gt_u32_e64 s21, v1
	s_cbranch_execz .LBB442_27
; %bb.26:                               ;   in Loop: Header=BB442_7 Depth=2
	ds_load_u16 v4, v7
	v_lshlrev_b64 v[16:17], 1, v[1:2]
	s_delay_alu instid0(VALU_DEP_1) | instskip(NEXT) | instid1(VALU_DEP_1)
	v_add_co_u32 v16, s4, v14, v16
	v_add_co_ci_u32_e64 v17, s4, v15, v17, s4
	s_waitcnt lgkmcnt(0)
	global_store_b16 v[16:17], v4, off
.LBB442_27:                             ;   in Loop: Header=BB442_7 Depth=2
	s_or_b32 exec_lo, exec_lo, s24
	v_cmp_gt_u32_e64 s4, s21, v3
	s_delay_alu instid0(VALU_DEP_1)
	s_and_b32 exec_lo, exec_lo, s4
	s_cbranch_execz .LBB442_6
; %bb.28:                               ;   in Loop: Header=BB442_7 Depth=2
	ds_load_u16 v1, v11
	v_mov_b32_e32 v4, v2
	s_delay_alu instid0(VALU_DEP_1) | instskip(NEXT) | instid1(VALU_DEP_1)
	v_lshlrev_b64 v[3:4], 1, v[3:4]
	v_add_co_u32 v3, s4, v14, v3
	s_delay_alu instid0(VALU_DEP_1)
	v_add_co_ci_u32_e64 v4, s4, v15, v4, s4
	s_waitcnt lgkmcnt(0)
	global_store_b16 v[3:4], v1, off
	s_branch .LBB442_6
.LBB442_29:
	s_mov_b32 s2, 0
.LBB442_30:
	s_delay_alu instid0(SALU_CYCLE_1)
	s_and_not1_b32 vcc_lo, exec_lo, s2
	s_cbranch_vccnz .LBB442_61
; %bb.31:
	s_load_b32 s2, s[0:1], 0x2c
	s_add_u32 s0, s0, 32
	s_addc_u32 s1, s1, 0
	s_mov_b32 s7, 0
	s_waitcnt lgkmcnt(0)
	s_lshr_b32 s2, s2, 16
	s_delay_alu instid0(SALU_CYCLE_1) | instskip(SKIP_1) | instid1(SALU_CYCLE_1)
	s_mul_hi_u32 s5, s2, s15
	s_mul_i32 s4, s2, s15
	v_cmp_ge_u64_e64 s3, s[4:5], s[6:7]
	s_delay_alu instid0(VALU_DEP_1)
	s_and_b32 vcc_lo, exec_lo, s3
	s_cbranch_vccnz .LBB442_61
; %bb.32:
	s_load_b32 s1, s[0:1], 0x0
	v_dual_mov_b32 v1, 0 :: v_dual_and_b32 v0, 0x3ff, v0
	s_lshl_b32 s8, 1, s22
	s_and_b32 s2, 0xffff, s2
	s_ashr_i32 s9, s8, 31
	s_cmp_lg_u32 s21, 0
	v_lshl_add_u32 v11, v0, 1, v10
	s_cselect_b32 s3, -1, 0
	s_lshl_b64 s[12:13], s[8:9], 1
	v_cmp_eq_u32_e64 s0, 0, v0
	s_lshl_b32 s14, s12, 1
	v_lshl_add_u32 v13, s8, 1, v11
	v_add3_u32 v12, v10, s14, -2
	s_mov_b32 s10, s21
	s_mov_b32 s11, s7
	s_add_i32 s20, s22, 1
	s_mov_b32 s22, 0x3e9b6dac
	s_waitcnt lgkmcnt(0)
	s_mul_i32 s21, s1, s2
	s_branch .LBB442_34
.LBB442_33:                             ;   in Loop: Header=BB442_34 Depth=1
	s_add_u32 s4, s4, s21
	s_addc_u32 s5, s5, 0
	s_delay_alu instid0(SALU_CYCLE_1) | instskip(NEXT) | instid1(VALU_DEP_1)
	v_cmp_ge_u64_e64 s1, s[4:5], s[6:7]
	s_and_b32 vcc_lo, exec_lo, s1
	s_cbranch_vccnz .LBB442_61
.LBB442_34:                             ; =>This Loop Header: Depth=1
                                        ;     Child Loop BB442_37 Depth 2
                                        ;       Child Loop BB442_49 Depth 3
	s_and_not1_b32 vcc_lo, exec_lo, s3
	s_cbranch_vccnz .LBB442_33
; %bb.35:                               ;   in Loop: Header=BB442_34 Depth=1
	v_add_co_u32 v2, s1, s4, v9
	s_delay_alu instid0(VALU_DEP_1) | instskip(SKIP_1) | instid1(VALU_DEP_2)
	v_add_co_ci_u32_e64 v3, null, s5, 0, s1
	s_mov_b64 s[14:15], 0
	v_mad_u64_u32 v[4:5], null, v2, s10, 0
	s_delay_alu instid0(VALU_DEP_2) | instskip(SKIP_1) | instid1(VALU_DEP_3)
	v_cmp_gt_u64_e64 s1, s[6:7], v[2:3]
	v_cmp_le_u64_e64 s2, s[6:7], v[2:3]
	v_mad_u64_u32 v[6:7], null, v3, s10, v[5:6]
	s_delay_alu instid0(VALU_DEP_1) | instskip(NEXT) | instid1(VALU_DEP_1)
	v_dual_mov_b32 v5, v6 :: v_dual_mov_b32 v6, s23
	v_lshlrev_b64 v[4:5], 1, v[4:5]
	s_delay_alu instid0(VALU_DEP_1) | instskip(NEXT) | instid1(VALU_DEP_2)
	v_add_co_u32 v14, vcc_lo, s18, v4
	v_add_co_ci_u32_e32 v15, vcc_lo, s19, v5, vcc_lo
	v_add_co_u32 v16, vcc_lo, s16, v4
	v_add_co_ci_u32_e32 v17, vcc_lo, s17, v5, vcc_lo
	s_branch .LBB442_37
.LBB442_36:                             ;   in Loop: Header=BB442_37 Depth=2
	s_or_b32 exec_lo, exec_lo, s24
	ds_load_u16 v6, v12
	s_add_u32 s14, s14, s12
	s_addc_u32 s15, s15, s13
	s_waitcnt lgkmcnt(0)
	s_waitcnt_vscnt null, 0x0
	v_cmp_ge_u64_e64 s24, s[14:15], s[10:11]
	s_barrier
	buffer_gl0_inv
	s_and_b32 vcc_lo, exec_lo, s24
	s_cbranch_vccnz .LBB442_33
.LBB442_37:                             ;   Parent Loop BB442_34 Depth=1
                                        ; =>  This Loop Header: Depth=2
                                        ;       Child Loop BB442_49 Depth 3
	v_add_co_u32 v4, s24, s14, v0
	s_delay_alu instid0(VALU_DEP_1) | instskip(NEXT) | instid1(VALU_DEP_2)
	v_add_co_ci_u32_e64 v5, null, s15, 0, s24
	v_add_co_u32 v2, vcc_lo, v4, s8
	s_delay_alu instid0(VALU_DEP_2)
	v_add_co_ci_u32_e32 v3, vcc_lo, s9, v5, vcc_lo
	s_and_saveexec_b32 s24, s1
	s_cbranch_execz .LBB442_46
; %bb.38:                               ;   in Loop: Header=BB442_37 Depth=2
	v_mov_b32_e32 v7, s23
	s_mov_b32 s25, exec_lo
	v_cmpx_gt_u64_e64 s[10:11], v[4:5]
	s_cbranch_execz .LBB442_40
; %bb.39:                               ;   in Loop: Header=BB442_37 Depth=2
	v_lshlrev_b64 v[7:8], 1, v[4:5]
	s_delay_alu instid0(VALU_DEP_1) | instskip(NEXT) | instid1(VALU_DEP_2)
	v_add_co_u32 v7, vcc_lo, v14, v7
	v_add_co_ci_u32_e32 v8, vcc_lo, v15, v8, vcc_lo
	global_load_u16 v7, v[7:8], off
.LBB442_40:                             ;   in Loop: Header=BB442_37 Depth=2
	s_or_b32 exec_lo, exec_lo, s25
	v_mov_b32_e32 v8, s23
	s_mov_b32 s25, exec_lo
	s_waitcnt vmcnt(0)
	ds_store_b16 v11, v7
	v_cmpx_gt_u64_e64 s[10:11], v[2:3]
	s_cbranch_execz .LBB442_42
; %bb.41:                               ;   in Loop: Header=BB442_37 Depth=2
	v_lshlrev_b64 v[7:8], 1, v[2:3]
	s_delay_alu instid0(VALU_DEP_1) | instskip(NEXT) | instid1(VALU_DEP_2)
	v_add_co_u32 v7, vcc_lo, v14, v7
	v_add_co_ci_u32_e32 v8, vcc_lo, v15, v8, vcc_lo
	global_load_u16 v8, v[7:8], off
.LBB442_42:                             ;   in Loop: Header=BB442_37 Depth=2
	s_or_b32 exec_lo, exec_lo, s25
	s_waitcnt vmcnt(0)
	ds_store_b16 v13, v8
	s_and_b32 exec_lo, exec_lo, s0
	s_cbranch_execz .LBB442_46
; %bb.43:                               ;   in Loop: Header=BB442_37 Depth=2
	ds_load_u16 v7, v10
	v_cvt_f32_f16_e32 v18, v6
	s_waitcnt lgkmcnt(0)
	v_cvt_f32_f16_e32 v8, v7
	v_cmp_u_f16_e32 vcc_lo, v7, v7
	s_delay_alu instid0(VALU_DEP_2) | instskip(NEXT) | instid1(VALU_DEP_1)
	v_min_f32_e32 v19, v8, v18
	v_dual_max_f32 v20, v8, v18 :: v_dual_cndmask_b32 v19, v19, v8
	s_delay_alu instid0(VALU_DEP_1) | instskip(SKIP_1) | instid1(VALU_DEP_3)
	v_cndmask_b32_e32 v20, v20, v8, vcc_lo
	v_cmp_u_f16_e32 vcc_lo, v6, v6
	v_cndmask_b32_e32 v8, v19, v18, vcc_lo
	s_delay_alu instid0(VALU_DEP_3) | instskip(NEXT) | instid1(VALU_DEP_2)
	v_cndmask_b32_e32 v6, v20, v18, vcc_lo
	v_cmp_class_f32_e64 s25, v8, 0x1f8
	s_delay_alu instid0(VALU_DEP_2) | instskip(NEXT) | instid1(VALU_DEP_2)
	v_cmp_neq_f32_e32 vcc_lo, v8, v6
	s_or_b32 s26, vcc_lo, s25
	s_delay_alu instid0(SALU_CYCLE_1)
	s_and_saveexec_b32 s25, s26
	s_cbranch_execz .LBB442_45
; %bb.44:                               ;   in Loop: Header=BB442_37 Depth=2
	v_sub_f32_e32 v7, v8, v6
	s_delay_alu instid0(VALU_DEP_1) | instskip(SKIP_1) | instid1(VALU_DEP_2)
	v_mul_f32_e32 v8, 0x3fb8aa3b, v7
	v_cmp_ngt_f32_e32 vcc_lo, 0xc2ce8ed0, v7
	v_fma_f32 v18, 0x3fb8aa3b, v7, -v8
	v_rndne_f32_e32 v19, v8
	s_delay_alu instid0(VALU_DEP_2) | instskip(NEXT) | instid1(VALU_DEP_2)
	v_fmac_f32_e32 v18, 0x32a5705f, v7
	v_sub_f32_e32 v8, v8, v19
	s_delay_alu instid0(VALU_DEP_1) | instskip(SKIP_1) | instid1(VALU_DEP_2)
	v_add_f32_e32 v8, v8, v18
	v_cvt_i32_f32_e32 v18, v19
	v_exp_f32_e32 v8, v8
	s_waitcnt_depctr 0xfff
	v_ldexp_f32 v8, v8, v18
	s_delay_alu instid0(VALU_DEP_1) | instskip(SKIP_1) | instid1(VALU_DEP_2)
	v_cndmask_b32_e32 v8, 0, v8, vcc_lo
	v_cmp_nlt_f32_e32 vcc_lo, 0x42b17218, v7
	v_cndmask_b32_e32 v18, 0x7f800000, v8, vcc_lo
	s_delay_alu instid0(VALU_DEP_1) | instskip(NEXT) | instid1(VALU_DEP_1)
	v_add_f32_e32 v19, 1.0, v18
	v_cvt_f64_f32_e32 v[7:8], v19
	s_delay_alu instid0(VALU_DEP_1) | instskip(SKIP_1) | instid1(VALU_DEP_1)
	v_frexp_exp_i32_f64_e32 v7, v[7:8]
	v_frexp_mant_f32_e32 v8, v19
	v_cmp_gt_f32_e32 vcc_lo, 0x3f2aaaab, v8
	v_add_f32_e32 v8, -1.0, v19
	s_delay_alu instid0(VALU_DEP_1) | instskip(SKIP_1) | instid1(VALU_DEP_2)
	v_sub_f32_e32 v21, v8, v19
	v_cmp_gt_f32_e64 s26, 0x33800000, |v18|
	v_add_f32_e32 v21, 1.0, v21
	v_subrev_co_ci_u32_e32 v7, vcc_lo, 0, v7, vcc_lo
	v_cmp_eq_f32_e32 vcc_lo, 0x7f800000, v18
	s_delay_alu instid0(VALU_DEP_2) | instskip(SKIP_2) | instid1(VALU_DEP_2)
	v_sub_nc_u32_e32 v20, 0, v7
	v_cvt_f32_i32_e32 v7, v7
	s_or_b32 vcc_lo, vcc_lo, s26
	v_ldexp_f32 v19, v19, v20
	v_sub_f32_e32 v8, v18, v8
	s_delay_alu instid0(VALU_DEP_1) | instskip(NEXT) | instid1(VALU_DEP_1)
	v_add_f32_e32 v8, v8, v21
	v_ldexp_f32 v8, v8, v20
	s_delay_alu instid0(VALU_DEP_4) | instskip(NEXT) | instid1(VALU_DEP_1)
	v_add_f32_e32 v22, 1.0, v19
	v_add_f32_e32 v21, -1.0, v22
	s_delay_alu instid0(VALU_DEP_1) | instskip(NEXT) | instid1(VALU_DEP_1)
	v_sub_f32_e32 v21, v19, v21
	v_dual_add_f32 v21, v8, v21 :: v_dual_add_f32 v20, -1.0, v19
	s_delay_alu instid0(VALU_DEP_1) | instskip(NEXT) | instid1(VALU_DEP_1)
	v_add_f32_e32 v23, 1.0, v20
	v_sub_f32_e32 v19, v19, v23
	s_delay_alu instid0(VALU_DEP_1) | instskip(NEXT) | instid1(VALU_DEP_1)
	v_dual_add_f32 v23, v22, v21 :: v_dual_add_f32 v8, v8, v19
	v_rcp_f32_e32 v19, v23
	v_sub_f32_e32 v22, v22, v23
	s_delay_alu instid0(VALU_DEP_1) | instskip(SKIP_3) | instid1(VALU_DEP_2)
	v_dual_add_f32 v21, v21, v22 :: v_dual_add_f32 v24, v20, v8
	s_waitcnt_depctr 0xfff
	v_mul_f32_e32 v25, v24, v19
	v_sub_f32_e32 v20, v20, v24
	v_mul_f32_e32 v26, v23, v25
	s_delay_alu instid0(VALU_DEP_1) | instskip(NEXT) | instid1(VALU_DEP_1)
	v_fma_f32 v22, v25, v23, -v26
	v_fmac_f32_e32 v22, v25, v21
	s_delay_alu instid0(VALU_DEP_1) | instskip(NEXT) | instid1(VALU_DEP_1)
	v_dual_add_f32 v27, v26, v22 :: v_dual_add_f32 v8, v8, v20
	v_sub_f32_e32 v28, v24, v27
	v_sub_f32_e32 v20, v27, v26
	s_delay_alu instid0(VALU_DEP_2) | instskip(NEXT) | instid1(VALU_DEP_2)
	v_sub_f32_e32 v24, v24, v28
	v_sub_f32_e32 v20, v20, v22
	s_delay_alu instid0(VALU_DEP_2) | instskip(NEXT) | instid1(VALU_DEP_1)
	v_sub_f32_e32 v24, v24, v27
	v_add_f32_e32 v8, v8, v24
	s_delay_alu instid0(VALU_DEP_1) | instskip(NEXT) | instid1(VALU_DEP_1)
	v_add_f32_e32 v8, v20, v8
	v_add_f32_e32 v20, v28, v8
	s_delay_alu instid0(VALU_DEP_1) | instskip(NEXT) | instid1(VALU_DEP_1)
	v_mul_f32_e32 v22, v19, v20
	v_dual_sub_f32 v27, v28, v20 :: v_dual_mul_f32 v24, v23, v22
	s_delay_alu instid0(VALU_DEP_1) | instskip(NEXT) | instid1(VALU_DEP_2)
	v_add_f32_e32 v8, v8, v27
	v_fma_f32 v23, v22, v23, -v24
	s_delay_alu instid0(VALU_DEP_1) | instskip(NEXT) | instid1(VALU_DEP_1)
	v_fmac_f32_e32 v23, v22, v21
	v_add_f32_e32 v21, v24, v23
	s_delay_alu instid0(VALU_DEP_1) | instskip(SKIP_1) | instid1(VALU_DEP_2)
	v_sub_f32_e32 v26, v20, v21
	v_sub_f32_e32 v24, v21, v24
	;; [unrolled: 1-line block ×3, first 2 shown]
	s_delay_alu instid0(VALU_DEP_1) | instskip(NEXT) | instid1(VALU_DEP_3)
	v_sub_f32_e32 v20, v20, v21
	v_sub_f32_e32 v21, v24, v23
	s_delay_alu instid0(VALU_DEP_2) | instskip(SKIP_1) | instid1(VALU_DEP_1)
	v_add_f32_e32 v8, v8, v20
	v_add_f32_e32 v20, v25, v22
	v_dual_add_f32 v8, v21, v8 :: v_dual_sub_f32 v21, v20, v25
	s_delay_alu instid0(VALU_DEP_1) | instskip(NEXT) | instid1(VALU_DEP_1)
	v_add_f32_e32 v8, v26, v8
	v_dual_sub_f32 v21, v22, v21 :: v_dual_mul_f32 v8, v19, v8
	s_delay_alu instid0(VALU_DEP_1) | instskip(NEXT) | instid1(VALU_DEP_1)
	v_add_f32_e32 v8, v21, v8
	v_add_f32_e32 v19, v20, v8
	s_delay_alu instid0(VALU_DEP_1) | instskip(NEXT) | instid1(VALU_DEP_1)
	v_mul_f32_e32 v21, v19, v19
	v_fmaak_f32 v22, s22, v21, 0x3ecc95a3
	v_mul_f32_e32 v23, v19, v21
	s_delay_alu instid0(VALU_DEP_2) | instskip(SKIP_2) | instid1(VALU_DEP_3)
	v_fmaak_f32 v21, v21, v22, 0x3f2aaada
	v_ldexp_f32 v22, v19, 1
	v_sub_f32_e32 v19, v19, v20
	v_mul_f32_e32 v21, v23, v21
	v_mul_f32_e32 v23, 0x3f317218, v7
	s_delay_alu instid0(VALU_DEP_3) | instskip(NEXT) | instid1(VALU_DEP_3)
	v_sub_f32_e32 v8, v8, v19
	v_add_f32_e32 v20, v22, v21
	s_delay_alu instid0(VALU_DEP_2) | instskip(NEXT) | instid1(VALU_DEP_2)
	v_ldexp_f32 v8, v8, 1
	v_sub_f32_e32 v19, v20, v22
	v_fma_f32 v22, 0x3f317218, v7, -v23
	s_delay_alu instid0(VALU_DEP_2) | instskip(NEXT) | instid1(VALU_DEP_2)
	v_sub_f32_e32 v19, v21, v19
	v_fmac_f32_e32 v22, 0xb102e308, v7
	s_delay_alu instid0(VALU_DEP_1) | instskip(NEXT) | instid1(VALU_DEP_1)
	v_dual_add_f32 v7, v8, v19 :: v_dual_add_f32 v8, v23, v22
	v_sub_f32_e32 v23, v8, v23
	s_delay_alu instid0(VALU_DEP_2) | instskip(NEXT) | instid1(VALU_DEP_2)
	v_add_f32_e32 v19, v20, v7
	v_sub_f32_e32 v22, v22, v23
	s_delay_alu instid0(VALU_DEP_2) | instskip(NEXT) | instid1(VALU_DEP_1)
	v_dual_add_f32 v21, v8, v19 :: v_dual_sub_f32 v20, v19, v20
	v_sub_f32_e32 v24, v21, v8
	s_delay_alu instid0(VALU_DEP_2) | instskip(NEXT) | instid1(VALU_DEP_2)
	v_sub_f32_e32 v7, v7, v20
	v_sub_f32_e32 v25, v21, v24
	s_delay_alu instid0(VALU_DEP_2) | instskip(NEXT) | instid1(VALU_DEP_2)
	v_dual_sub_f32 v19, v19, v24 :: v_dual_add_f32 v20, v22, v7
	v_sub_f32_e32 v8, v8, v25
	s_delay_alu instid0(VALU_DEP_1) | instskip(NEXT) | instid1(VALU_DEP_1)
	v_dual_add_f32 v8, v19, v8 :: v_dual_sub_f32 v19, v20, v22
	v_add_f32_e32 v8, v20, v8
	s_delay_alu instid0(VALU_DEP_2) | instskip(SKIP_1) | instid1(VALU_DEP_3)
	v_sub_f32_e32 v20, v20, v19
	v_sub_f32_e32 v7, v7, v19
	v_add_f32_e32 v23, v21, v8
	s_delay_alu instid0(VALU_DEP_1) | instskip(NEXT) | instid1(VALU_DEP_1)
	v_dual_sub_f32 v20, v22, v20 :: v_dual_sub_f32 v19, v23, v21
	v_dual_add_f32 v7, v7, v20 :: v_dual_sub_f32 v8, v8, v19
	s_delay_alu instid0(VALU_DEP_1) | instskip(NEXT) | instid1(VALU_DEP_1)
	v_add_f32_e32 v7, v7, v8
	v_add_f32_e32 v7, v23, v7
	s_delay_alu instid0(VALU_DEP_1) | instskip(NEXT) | instid1(VALU_DEP_1)
	v_cndmask_b32_e32 v7, v7, v18, vcc_lo
	v_add_f32_e32 v6, v6, v7
	s_delay_alu instid0(VALU_DEP_1)
	v_cvt_f16_f32_e32 v7, v6
.LBB442_45:                             ;   in Loop: Header=BB442_37 Depth=2
	s_or_b32 exec_lo, exec_lo, s25
	ds_store_b16 v10, v7
.LBB442_46:                             ;   in Loop: Header=BB442_37 Depth=2
	s_or_b32 exec_lo, exec_lo, s24
	v_mov_b32_e32 v19, 0
	s_mov_b32 s24, 0
	s_waitcnt lgkmcnt(0)
	s_barrier
	buffer_gl0_inv
	s_branch .LBB442_49
.LBB442_47:                             ;   in Loop: Header=BB442_49 Depth=3
	s_or_b32 exec_lo, exec_lo, s26
	ds_store_b16 v6, v8
.LBB442_48:                             ;   in Loop: Header=BB442_49 Depth=3
	s_or_b32 exec_lo, exec_lo, s25
	s_delay_alu instid0(VALU_DEP_1)
	v_cmp_eq_u32_e32 vcc_lo, s20, v18
	v_mov_b32_e32 v19, v18
	s_waitcnt lgkmcnt(0)
	s_barrier
	buffer_gl0_inv
	s_or_b32 s24, vcc_lo, s24
	s_delay_alu instid0(SALU_CYCLE_1)
	s_and_not1_b32 exec_lo, exec_lo, s24
	s_cbranch_execz .LBB442_56
.LBB442_49:                             ;   Parent Loop BB442_34 Depth=1
                                        ;     Parent Loop BB442_37 Depth=2
                                        ; =>    This Inner Loop Header: Depth=3
	v_add_nc_u32_e32 v18, 1, v19
	s_and_saveexec_b32 s25, s2
	s_delay_alu instid0(SALU_CYCLE_1)
	s_xor_b32 s25, exec_lo, s25
; %bb.50:                               ;   in Loop: Header=BB442_49 Depth=3
	v_add_nc_u32_e32 v18, 1, v19
                                        ; implicit-def: $vgpr19
; %bb.51:                               ;   in Loop: Header=BB442_49 Depth=3
	s_and_not1_saveexec_b32 s25, s25
	s_cbranch_execz .LBB442_48
; %bb.52:                               ;   in Loop: Header=BB442_49 Depth=3
	v_lshlrev_b32_e64 v6, v19, 1
	s_delay_alu instid0(VALU_DEP_1) | instskip(NEXT) | instid1(VALU_DEP_1)
	v_ashrrev_i32_e32 v7, 31, v6
	v_cmp_ge_u64_e32 vcc_lo, v[0:1], v[6:7]
	v_dual_mov_b32 v8, v1 :: v_dual_mov_b32 v7, v0
	s_and_saveexec_b32 s26, vcc_lo
	s_cbranch_execz .LBB442_54
; %bb.53:                               ;   in Loop: Header=BB442_49 Depth=3
	v_cvt_f32_u32_e32 v7, v6
	v_sub_nc_u32_e32 v8, 0, v6
	s_delay_alu instid0(VALU_DEP_2) | instskip(SKIP_2) | instid1(VALU_DEP_1)
	v_rcp_iflag_f32_e32 v7, v7
	s_waitcnt_depctr 0xfff
	v_mul_f32_e32 v7, 0x4f7ffffe, v7
	v_cvt_u32_f32_e32 v7, v7
	s_delay_alu instid0(VALU_DEP_1) | instskip(NEXT) | instid1(VALU_DEP_1)
	v_mul_lo_u32 v8, v8, v7
	v_mul_hi_u32 v8, v7, v8
	s_delay_alu instid0(VALU_DEP_1) | instskip(NEXT) | instid1(VALU_DEP_1)
	v_add_nc_u32_e32 v7, v7, v8
	v_mul_hi_u32 v7, v0, v7
	s_delay_alu instid0(VALU_DEP_1) | instskip(NEXT) | instid1(VALU_DEP_1)
	v_mul_lo_u32 v7, v7, v6
	v_sub_nc_u32_e32 v7, v0, v7
	s_delay_alu instid0(VALU_DEP_1) | instskip(SKIP_1) | instid1(VALU_DEP_2)
	v_sub_nc_u32_e32 v8, v7, v6
	v_cmp_ge_u32_e32 vcc_lo, v7, v6
	v_cndmask_b32_e32 v7, v7, v8, vcc_lo
	s_delay_alu instid0(VALU_DEP_1) | instskip(SKIP_1) | instid1(VALU_DEP_2)
	v_sub_nc_u32_e32 v8, v7, v6
	v_cmp_ge_u32_e32 vcc_lo, v7, v6
	v_cndmask_b32_e32 v7, v7, v8, vcc_lo
.LBB442_54:                             ;   in Loop: Header=BB442_49 Depth=3
	s_or_b32 exec_lo, exec_lo, s26
	v_lshrrev_b32_e32 v8, v19, v0
	s_delay_alu instid0(VALU_DEP_1) | instskip(NEXT) | instid1(VALU_DEP_1)
	v_lshl_or_b32 v6, v8, v18, v6
	v_lshl_add_u32 v8, v6, 1, v10
	s_delay_alu instid0(VALU_DEP_1)
	v_lshl_add_u32 v6, v7, 1, v8
	v_add_nc_u32_e32 v7, -2, v8
	ds_load_u16 v8, v6
	ds_load_u16 v7, v7
	s_waitcnt lgkmcnt(1)
	v_cvt_f32_f16_e32 v19, v8
	s_waitcnt lgkmcnt(0)
	v_cvt_f32_f16_e32 v20, v7
	v_cmp_u_f16_e32 vcc_lo, v8, v8
	s_delay_alu instid0(VALU_DEP_2) | instskip(NEXT) | instid1(VALU_DEP_1)
	v_min_f32_e32 v21, v19, v20
	v_dual_max_f32 v22, v19, v20 :: v_dual_cndmask_b32 v21, v21, v19
	s_delay_alu instid0(VALU_DEP_1) | instskip(SKIP_1) | instid1(VALU_DEP_3)
	v_cndmask_b32_e32 v22, v22, v19, vcc_lo
	v_cmp_u_f16_e32 vcc_lo, v7, v7
	v_cndmask_b32_e32 v19, v21, v20, vcc_lo
	s_delay_alu instid0(VALU_DEP_3) | instskip(NEXT) | instid1(VALU_DEP_2)
	v_cndmask_b32_e32 v7, v22, v20, vcc_lo
	v_cmp_class_f32_e64 s26, v19, 0x1f8
	s_delay_alu instid0(VALU_DEP_2) | instskip(NEXT) | instid1(VALU_DEP_2)
	v_cmp_neq_f32_e32 vcc_lo, v19, v7
	s_or_b32 s27, vcc_lo, s26
	s_delay_alu instid0(SALU_CYCLE_1)
	s_and_saveexec_b32 s26, s27
	s_cbranch_execz .LBB442_47
; %bb.55:                               ;   in Loop: Header=BB442_49 Depth=3
	v_sub_f32_e32 v8, v19, v7
	s_delay_alu instid0(VALU_DEP_1) | instskip(SKIP_1) | instid1(VALU_DEP_2)
	v_mul_f32_e32 v19, 0x3fb8aa3b, v8
	v_cmp_ngt_f32_e32 vcc_lo, 0xc2ce8ed0, v8
	v_fma_f32 v20, 0x3fb8aa3b, v8, -v19
	v_rndne_f32_e32 v21, v19
	s_delay_alu instid0(VALU_DEP_1) | instskip(NEXT) | instid1(VALU_DEP_1)
	v_dual_fmac_f32 v20, 0x32a5705f, v8 :: v_dual_sub_f32 v19, v19, v21
	v_add_f32_e32 v19, v19, v20
	v_cvt_i32_f32_e32 v20, v21
	s_delay_alu instid0(VALU_DEP_2) | instskip(SKIP_2) | instid1(VALU_DEP_1)
	v_exp_f32_e32 v19, v19
	s_waitcnt_depctr 0xfff
	v_ldexp_f32 v19, v19, v20
	v_cndmask_b32_e32 v19, 0, v19, vcc_lo
	v_cmp_nlt_f32_e32 vcc_lo, 0x42b17218, v8
	s_delay_alu instid0(VALU_DEP_2) | instskip(NEXT) | instid1(VALU_DEP_1)
	v_cndmask_b32_e32 v8, 0x7f800000, v19, vcc_lo
	v_add_f32_e32 v21, 1.0, v8
	s_delay_alu instid0(VALU_DEP_1) | instskip(NEXT) | instid1(VALU_DEP_1)
	v_cvt_f64_f32_e32 v[19:20], v21
	v_frexp_exp_i32_f64_e32 v19, v[19:20]
	v_frexp_mant_f32_e32 v20, v21
	s_delay_alu instid0(VALU_DEP_1) | instskip(SKIP_1) | instid1(VALU_DEP_1)
	v_cmp_gt_f32_e32 vcc_lo, 0x3f2aaaab, v20
	v_add_f32_e32 v20, -1.0, v21
	v_sub_f32_e32 v23, v20, v21
	s_delay_alu instid0(VALU_DEP_1) | instskip(NEXT) | instid1(VALU_DEP_1)
	v_dual_sub_f32 v20, v8, v20 :: v_dual_add_f32 v23, 1.0, v23
	v_add_f32_e32 v20, v20, v23
	v_subrev_co_ci_u32_e32 v19, vcc_lo, 0, v19, vcc_lo
	s_delay_alu instid0(VALU_DEP_1) | instskip(SKIP_1) | instid1(VALU_DEP_2)
	v_sub_nc_u32_e32 v22, 0, v19
	v_cvt_f32_i32_e32 v19, v19
	v_ldexp_f32 v21, v21, v22
	v_ldexp_f32 v20, v20, v22
	s_delay_alu instid0(VALU_DEP_2) | instskip(NEXT) | instid1(VALU_DEP_1)
	v_add_f32_e32 v22, -1.0, v21
	v_dual_add_f32 v24, 1.0, v21 :: v_dual_add_f32 v25, 1.0, v22
	s_delay_alu instid0(VALU_DEP_1) | instskip(SKIP_2) | instid1(VALU_DEP_3)
	v_add_f32_e32 v23, -1.0, v24
	v_cmp_eq_f32_e32 vcc_lo, 0x7f800000, v8
	v_cmp_gt_f32_e64 s27, 0x33800000, |v8|
	v_sub_f32_e32 v23, v21, v23
	v_sub_f32_e32 v21, v21, v25
	s_delay_alu instid0(VALU_DEP_3) | instskip(NEXT) | instid1(VALU_DEP_2)
	s_or_b32 vcc_lo, vcc_lo, s27
	v_add_f32_e32 v23, v20, v23
	s_delay_alu instid0(VALU_DEP_2) | instskip(NEXT) | instid1(VALU_DEP_1)
	v_add_f32_e32 v20, v20, v21
	v_dual_add_f32 v26, v22, v20 :: v_dual_add_f32 v25, v24, v23
	s_delay_alu instid0(VALU_DEP_1) | instskip(NEXT) | instid1(VALU_DEP_2)
	v_sub_f32_e32 v22, v22, v26
	v_rcp_f32_e32 v21, v25
	v_sub_f32_e32 v24, v24, v25
	s_delay_alu instid0(VALU_DEP_1) | instskip(SKIP_2) | instid1(VALU_DEP_1)
	v_dual_add_f32 v20, v20, v22 :: v_dual_add_f32 v23, v23, v24
	s_waitcnt_depctr 0xfff
	v_mul_f32_e32 v27, v26, v21
	v_mul_f32_e32 v28, v25, v27
	s_delay_alu instid0(VALU_DEP_1) | instskip(NEXT) | instid1(VALU_DEP_1)
	v_fma_f32 v24, v27, v25, -v28
	v_fmac_f32_e32 v24, v27, v23
	s_delay_alu instid0(VALU_DEP_1) | instskip(NEXT) | instid1(VALU_DEP_1)
	v_add_f32_e32 v29, v28, v24
	v_sub_f32_e32 v30, v26, v29
	s_delay_alu instid0(VALU_DEP_1) | instskip(SKIP_1) | instid1(VALU_DEP_2)
	v_sub_f32_e32 v26, v26, v30
	v_sub_f32_e32 v22, v29, v28
	;; [unrolled: 1-line block ×3, first 2 shown]
	s_delay_alu instid0(VALU_DEP_2) | instskip(NEXT) | instid1(VALU_DEP_2)
	v_sub_f32_e32 v22, v22, v24
	v_add_f32_e32 v20, v20, v26
	s_delay_alu instid0(VALU_DEP_1) | instskip(NEXT) | instid1(VALU_DEP_1)
	v_add_f32_e32 v20, v22, v20
	v_add_f32_e32 v22, v30, v20
	s_delay_alu instid0(VALU_DEP_1) | instskip(NEXT) | instid1(VALU_DEP_1)
	v_mul_f32_e32 v24, v21, v22
	v_dual_sub_f32 v29, v30, v22 :: v_dual_mul_f32 v26, v25, v24
	s_delay_alu instid0(VALU_DEP_1) | instskip(NEXT) | instid1(VALU_DEP_2)
	v_add_f32_e32 v20, v20, v29
	v_fma_f32 v25, v24, v25, -v26
	s_delay_alu instid0(VALU_DEP_1) | instskip(NEXT) | instid1(VALU_DEP_1)
	v_fmac_f32_e32 v25, v24, v23
	v_add_f32_e32 v23, v26, v25
	s_delay_alu instid0(VALU_DEP_1) | instskip(SKIP_1) | instid1(VALU_DEP_2)
	v_sub_f32_e32 v28, v22, v23
	v_sub_f32_e32 v26, v23, v26
	;; [unrolled: 1-line block ×3, first 2 shown]
	s_delay_alu instid0(VALU_DEP_1) | instskip(NEXT) | instid1(VALU_DEP_1)
	v_sub_f32_e32 v22, v22, v23
	v_dual_sub_f32 v23, v26, v25 :: v_dual_add_f32 v20, v20, v22
	v_add_f32_e32 v22, v27, v24
	s_delay_alu instid0(VALU_DEP_1) | instskip(NEXT) | instid1(VALU_DEP_1)
	v_dual_add_f32 v20, v23, v20 :: v_dual_sub_f32 v23, v22, v27
	v_add_f32_e32 v20, v28, v20
	s_delay_alu instid0(VALU_DEP_1) | instskip(NEXT) | instid1(VALU_DEP_1)
	v_dual_sub_f32 v23, v24, v23 :: v_dual_mul_f32 v20, v21, v20
	v_add_f32_e32 v20, v23, v20
	s_delay_alu instid0(VALU_DEP_1) | instskip(NEXT) | instid1(VALU_DEP_1)
	v_add_f32_e32 v21, v22, v20
	v_mul_f32_e32 v23, v21, v21
	s_delay_alu instid0(VALU_DEP_1) | instskip(SKIP_1) | instid1(VALU_DEP_2)
	v_fmaak_f32 v24, s22, v23, 0x3ecc95a3
	v_mul_f32_e32 v25, v21, v23
	v_fmaak_f32 v23, v23, v24, 0x3f2aaada
	v_ldexp_f32 v24, v21, 1
	v_sub_f32_e32 v21, v21, v22
	s_delay_alu instid0(VALU_DEP_3) | instskip(NEXT) | instid1(VALU_DEP_2)
	v_mul_f32_e32 v23, v25, v23
	v_dual_mul_f32 v25, 0x3f317218, v19 :: v_dual_sub_f32 v20, v20, v21
	s_delay_alu instid0(VALU_DEP_2) | instskip(NEXT) | instid1(VALU_DEP_2)
	v_add_f32_e32 v22, v24, v23
	v_ldexp_f32 v20, v20, 1
	s_delay_alu instid0(VALU_DEP_2) | instskip(NEXT) | instid1(VALU_DEP_4)
	v_sub_f32_e32 v21, v22, v24
	v_fma_f32 v24, 0x3f317218, v19, -v25
	s_delay_alu instid0(VALU_DEP_1) | instskip(NEXT) | instid1(VALU_DEP_1)
	v_dual_sub_f32 v21, v23, v21 :: v_dual_fmac_f32 v24, 0xb102e308, v19
	v_add_f32_e32 v19, v20, v21
	s_delay_alu instid0(VALU_DEP_1) | instskip(NEXT) | instid1(VALU_DEP_1)
	v_add_f32_e32 v21, v22, v19
	v_sub_f32_e32 v22, v21, v22
	s_delay_alu instid0(VALU_DEP_1) | instskip(NEXT) | instid1(VALU_DEP_1)
	v_dual_sub_f32 v19, v19, v22 :: v_dual_add_f32 v20, v25, v24
	v_add_f32_e32 v23, v20, v21
	s_delay_alu instid0(VALU_DEP_1) | instskip(NEXT) | instid1(VALU_DEP_1)
	v_dual_sub_f32 v25, v20, v25 :: v_dual_sub_f32 v26, v23, v20
	v_dual_sub_f32 v24, v24, v25 :: v_dual_sub_f32 v27, v23, v26
	s_delay_alu instid0(VALU_DEP_1) | instskip(NEXT) | instid1(VALU_DEP_2)
	v_dual_sub_f32 v21, v21, v26 :: v_dual_add_f32 v22, v24, v19
	v_sub_f32_e32 v20, v20, v27
	s_delay_alu instid0(VALU_DEP_1) | instskip(NEXT) | instid1(VALU_DEP_3)
	v_add_f32_e32 v20, v21, v20
	v_sub_f32_e32 v21, v22, v24
	s_delay_alu instid0(VALU_DEP_2) | instskip(NEXT) | instid1(VALU_DEP_2)
	v_add_f32_e32 v20, v22, v20
	v_sub_f32_e32 v22, v22, v21
	v_sub_f32_e32 v19, v19, v21
	s_delay_alu instid0(VALU_DEP_2) | instskip(NEXT) | instid1(VALU_DEP_1)
	v_dual_add_f32 v25, v23, v20 :: v_dual_sub_f32 v22, v24, v22
	v_sub_f32_e32 v21, v25, v23
	s_delay_alu instid0(VALU_DEP_1) | instskip(NEXT) | instid1(VALU_DEP_1)
	v_dual_add_f32 v19, v19, v22 :: v_dual_sub_f32 v20, v20, v21
	v_add_f32_e32 v19, v19, v20
	s_delay_alu instid0(VALU_DEP_1) | instskip(NEXT) | instid1(VALU_DEP_1)
	v_add_f32_e32 v19, v25, v19
	v_cndmask_b32_e32 v8, v19, v8, vcc_lo
	s_delay_alu instid0(VALU_DEP_1) | instskip(NEXT) | instid1(VALU_DEP_1)
	v_add_f32_e32 v7, v7, v8
	v_cvt_f16_f32_e32 v8, v7
	s_branch .LBB442_47
.LBB442_56:                             ;   in Loop: Header=BB442_37 Depth=2
	s_or_b32 exec_lo, exec_lo, s24
	s_and_saveexec_b32 s24, s1
	s_cbranch_execz .LBB442_36
; %bb.57:                               ;   in Loop: Header=BB442_37 Depth=2
	s_mov_b32 s25, exec_lo
	v_cmpx_gt_u64_e64 s[10:11], v[4:5]
	s_cbranch_execz .LBB442_59
; %bb.58:                               ;   in Loop: Header=BB442_37 Depth=2
	ds_load_u16 v6, v11
	v_lshlrev_b64 v[4:5], 1, v[4:5]
	s_delay_alu instid0(VALU_DEP_1) | instskip(NEXT) | instid1(VALU_DEP_2)
	v_add_co_u32 v4, vcc_lo, v16, v4
	v_add_co_ci_u32_e32 v5, vcc_lo, v17, v5, vcc_lo
	s_waitcnt lgkmcnt(0)
	global_store_b16 v[4:5], v6, off
.LBB442_59:                             ;   in Loop: Header=BB442_37 Depth=2
	s_or_b32 exec_lo, exec_lo, s25
	v_cmp_gt_u64_e32 vcc_lo, s[10:11], v[2:3]
	s_and_b32 exec_lo, exec_lo, vcc_lo
	s_cbranch_execz .LBB442_36
; %bb.60:                               ;   in Loop: Header=BB442_37 Depth=2
	ds_load_u16 v4, v13
	v_lshlrev_b64 v[2:3], 1, v[2:3]
	s_delay_alu instid0(VALU_DEP_1) | instskip(NEXT) | instid1(VALU_DEP_2)
	v_add_co_u32 v2, vcc_lo, v16, v2
	v_add_co_ci_u32_e32 v3, vcc_lo, v17, v3, vcc_lo
	s_waitcnt lgkmcnt(0)
	global_store_b16 v[2:3], v4, off
	s_branch .LBB442_36
.LBB442_61:
	s_endpgm
	.section	.rodata,"a",@progbits
	.p2align	6, 0x0
	.amdhsa_kernel _ZN2at6native32tensor_kernel_scan_innermost_dimIN3c104HalfEZZZNS0_31launch_logcumsumexp_cuda_kernelERKNS_10TensorBaseES6_lENKUlvE_clEvENKUlvE3_clEvEUlS3_S3_E_EEvPT_PKSA_jjjSA_T0_
		.amdhsa_group_segment_fixed_size 0
		.amdhsa_private_segment_fixed_size 0
		.amdhsa_kernarg_size 288
		.amdhsa_user_sgpr_count 15
		.amdhsa_user_sgpr_dispatch_ptr 0
		.amdhsa_user_sgpr_queue_ptr 0
		.amdhsa_user_sgpr_kernarg_segment_ptr 1
		.amdhsa_user_sgpr_dispatch_id 0
		.amdhsa_user_sgpr_private_segment_size 0
		.amdhsa_wavefront_size32 1
		.amdhsa_uses_dynamic_stack 0
		.amdhsa_enable_private_segment 0
		.amdhsa_system_sgpr_workgroup_id_x 1
		.amdhsa_system_sgpr_workgroup_id_y 0
		.amdhsa_system_sgpr_workgroup_id_z 0
		.amdhsa_system_sgpr_workgroup_info 0
		.amdhsa_system_vgpr_workitem_id 1
		.amdhsa_next_free_vgpr 31
		.amdhsa_next_free_sgpr 28
		.amdhsa_reserve_vcc 1
		.amdhsa_float_round_mode_32 0
		.amdhsa_float_round_mode_16_64 0
		.amdhsa_float_denorm_mode_32 3
		.amdhsa_float_denorm_mode_16_64 3
		.amdhsa_dx10_clamp 1
		.amdhsa_ieee_mode 1
		.amdhsa_fp16_overflow 0
		.amdhsa_workgroup_processor_mode 1
		.amdhsa_memory_ordered 1
		.amdhsa_forward_progress 0
		.amdhsa_shared_vgpr_count 0
		.amdhsa_exception_fp_ieee_invalid_op 0
		.amdhsa_exception_fp_denorm_src 0
		.amdhsa_exception_fp_ieee_div_zero 0
		.amdhsa_exception_fp_ieee_overflow 0
		.amdhsa_exception_fp_ieee_underflow 0
		.amdhsa_exception_fp_ieee_inexact 0
		.amdhsa_exception_int_div_zero 0
	.end_amdhsa_kernel
	.section	.text._ZN2at6native32tensor_kernel_scan_innermost_dimIN3c104HalfEZZZNS0_31launch_logcumsumexp_cuda_kernelERKNS_10TensorBaseES6_lENKUlvE_clEvENKUlvE3_clEvEUlS3_S3_E_EEvPT_PKSA_jjjSA_T0_,"axG",@progbits,_ZN2at6native32tensor_kernel_scan_innermost_dimIN3c104HalfEZZZNS0_31launch_logcumsumexp_cuda_kernelERKNS_10TensorBaseES6_lENKUlvE_clEvENKUlvE3_clEvEUlS3_S3_E_EEvPT_PKSA_jjjSA_T0_,comdat
.Lfunc_end442:
	.size	_ZN2at6native32tensor_kernel_scan_innermost_dimIN3c104HalfEZZZNS0_31launch_logcumsumexp_cuda_kernelERKNS_10TensorBaseES6_lENKUlvE_clEvENKUlvE3_clEvEUlS3_S3_E_EEvPT_PKSA_jjjSA_T0_, .Lfunc_end442-_ZN2at6native32tensor_kernel_scan_innermost_dimIN3c104HalfEZZZNS0_31launch_logcumsumexp_cuda_kernelERKNS_10TensorBaseES6_lENKUlvE_clEvENKUlvE3_clEvEUlS3_S3_E_EEvPT_PKSA_jjjSA_T0_
                                        ; -- End function
	.section	.AMDGPU.csdata,"",@progbits
; Kernel info:
; codeLenInByte = 5592
; NumSgprs: 30
; NumVgprs: 31
; ScratchSize: 0
; MemoryBound: 0
; FloatMode: 240
; IeeeMode: 1
; LDSByteSize: 0 bytes/workgroup (compile time only)
; SGPRBlocks: 3
; VGPRBlocks: 3
; NumSGPRsForWavesPerEU: 30
; NumVGPRsForWavesPerEU: 31
; Occupancy: 16
; WaveLimiterHint : 0
; COMPUTE_PGM_RSRC2:SCRATCH_EN: 0
; COMPUTE_PGM_RSRC2:USER_SGPR: 15
; COMPUTE_PGM_RSRC2:TRAP_HANDLER: 0
; COMPUTE_PGM_RSRC2:TGID_X_EN: 1
; COMPUTE_PGM_RSRC2:TGID_Y_EN: 0
; COMPUTE_PGM_RSRC2:TGID_Z_EN: 0
; COMPUTE_PGM_RSRC2:TIDIG_COMP_CNT: 1
	.section	.text._ZN2at6native28tensor_kernel_scan_outer_dimIN3c104HalfEjZZZNS0_31launch_logcumsumexp_cuda_kernelERKNS_10TensorBaseES6_lENKUlvE_clEvENKUlvE3_clEvEUlS3_S3_E_EEvPT_PKSA_jjjSA_T1_,"axG",@progbits,_ZN2at6native28tensor_kernel_scan_outer_dimIN3c104HalfEjZZZNS0_31launch_logcumsumexp_cuda_kernelERKNS_10TensorBaseES6_lENKUlvE_clEvENKUlvE3_clEvEUlS3_S3_E_EEvPT_PKSA_jjjSA_T1_,comdat
	.globl	_ZN2at6native28tensor_kernel_scan_outer_dimIN3c104HalfEjZZZNS0_31launch_logcumsumexp_cuda_kernelERKNS_10TensorBaseES6_lENKUlvE_clEvENKUlvE3_clEvEUlS3_S3_E_EEvPT_PKSA_jjjSA_T1_ ; -- Begin function _ZN2at6native28tensor_kernel_scan_outer_dimIN3c104HalfEjZZZNS0_31launch_logcumsumexp_cuda_kernelERKNS_10TensorBaseES6_lENKUlvE_clEvENKUlvE3_clEvEUlS3_S3_E_EEvPT_PKSA_jjjSA_T1_
	.p2align	8
	.type	_ZN2at6native28tensor_kernel_scan_outer_dimIN3c104HalfEjZZZNS0_31launch_logcumsumexp_cuda_kernelERKNS_10TensorBaseES6_lENKUlvE_clEvENKUlvE3_clEvEUlS3_S3_E_EEvPT_PKSA_jjjSA_T1_,@function
_ZN2at6native28tensor_kernel_scan_outer_dimIN3c104HalfEjZZZNS0_31launch_logcumsumexp_cuda_kernelERKNS_10TensorBaseES6_lENKUlvE_clEvENKUlvE3_clEvEUlS3_S3_E_EEvPT_PKSA_jjjSA_T1_: ; @_ZN2at6native28tensor_kernel_scan_outer_dimIN3c104HalfEjZZZNS0_31launch_logcumsumexp_cuda_kernelERKNS_10TensorBaseES6_lENKUlvE_clEvENKUlvE3_clEvEUlS3_S3_E_EEvPT_PKSA_jjjSA_T1_
; %bb.0:
	s_load_b128 s[4:7], s[0:1], 0x10
	s_waitcnt lgkmcnt(0)
	s_cmp_ge_u32 s14, s4
	s_cbranch_scc1 .LBB443_11
; %bb.1:
	s_clause 0x2
	s_load_b32 s12, s[0:1], 0x2c
	s_load_b32 s20, s[0:1], 0x20
	s_load_b128 s[8:11], s[0:1], 0x0
	s_add_u32 s2, s0, 32
	s_addc_u32 s3, s1, 0
	s_mul_i32 s0, s14, s6
	v_mov_b32_e32 v3, 0
	s_mul_i32 s18, s0, s5
	s_mov_b32 s13, 0
	s_mov_b32 s22, 0x3e9b6dac
	s_waitcnt lgkmcnt(0)
	s_and_b32 s1, s12, 0xffff
	s_mov_b32 s12, s5
	v_mad_u64_u32 v[1:2], null, s15, s1, v[0:1]
	s_mul_i32 s15, s20, s6
	s_cmp_lg_u32 s6, 0
	s_mul_i32 s15, s15, s5
	s_cselect_b32 s21, -1, 0
	s_lshl_b64 s[16:17], s[12:13], 1
	s_mov_b32 s12, s18
	s_delay_alu instid0(VALU_DEP_1)
	v_cmp_gt_u32_e64 s0, s5, v1
	s_branch .LBB443_3
.LBB443_2:                              ;   in Loop: Header=BB443_3 Depth=1
	s_or_b32 exec_lo, exec_lo, s23
	s_add_i32 s14, s20, s14
	s_add_i32 s12, s12, s15
	s_cmp_ge_u32 s14, s4
	s_cbranch_scc1 .LBB443_11
.LBB443_3:                              ; =>This Loop Header: Depth=1
                                        ;     Child Loop BB443_6 Depth 2
                                        ;       Child Loop BB443_9 Depth 3
	s_delay_alu instid0(VALU_DEP_1)
	s_and_saveexec_b32 s23, s0
	s_cbranch_execz .LBB443_2
; %bb.4:                                ;   in Loop: Header=BB443_3 Depth=1
	s_load_b32 s24, s[2:3], 0x4
	v_mov_b32_e32 v2, v1
	s_lshl_b64 s[18:19], s[12:13], 1
	s_mov_b32 s25, 0
	s_waitcnt lgkmcnt(0)
	s_mul_i32 s24, s24, s1
	s_branch .LBB443_6
.LBB443_5:                              ;   in Loop: Header=BB443_6 Depth=2
	v_add_nc_u32_e32 v2, s24, v2
	s_delay_alu instid0(VALU_DEP_1) | instskip(SKIP_1) | instid1(SALU_CYCLE_1)
	v_cmp_le_u32_e32 vcc_lo, s5, v2
	s_or_b32 s25, vcc_lo, s25
	s_and_not1_b32 exec_lo, exec_lo, s25
	s_cbranch_execz .LBB443_2
.LBB443_6:                              ;   Parent Loop BB443_3 Depth=1
                                        ; =>  This Loop Header: Depth=2
                                        ;       Child Loop BB443_9 Depth 3
	s_and_not1_b32 vcc_lo, exec_lo, s21
	s_cbranch_vccnz .LBB443_5
; %bb.7:                                ;   in Loop: Header=BB443_6 Depth=2
	v_lshlrev_b64 v[4:5], 1, v[2:3]
	v_mov_b32_e32 v6, s7
	s_mov_b32 s26, s6
	s_delay_alu instid0(VALU_DEP_2) | instskip(NEXT) | instid1(VALU_DEP_3)
	v_add_co_u32 v0, vcc_lo, s18, v4
	v_add_co_ci_u32_e32 v4, vcc_lo, s19, v5, vcc_lo
	s_branch .LBB443_9
.LBB443_8:                              ;   in Loop: Header=BB443_9 Depth=3
	s_or_b32 exec_lo, exec_lo, s27
	v_add_co_u32 v7, vcc_lo, s8, v0
	v_add_co_ci_u32_e32 v8, vcc_lo, s9, v4, vcc_lo
	v_add_co_u32 v0, vcc_lo, v0, s16
	v_add_co_ci_u32_e32 v4, vcc_lo, s17, v4, vcc_lo
	s_add_i32 s26, s26, -1
	global_store_b16 v[7:8], v6, off
	s_cmp_eq_u32 s26, 0
	s_cbranch_scc1 .LBB443_5
.LBB443_9:                              ;   Parent Loop BB443_3 Depth=1
                                        ;     Parent Loop BB443_6 Depth=2
                                        ; =>    This Inner Loop Header: Depth=3
	s_delay_alu instid0(VALU_DEP_2) | instskip(NEXT) | instid1(VALU_DEP_2)
	v_add_co_u32 v7, vcc_lo, s10, v0
	v_add_co_ci_u32_e32 v8, vcc_lo, s11, v4, vcc_lo
	v_cmp_u_f16_e32 vcc_lo, v6, v6
	global_load_u16 v5, v[7:8], off
	v_cvt_f32_f16_e32 v7, v6
	s_waitcnt vmcnt(0)
	v_cvt_f32_f16_e32 v8, v5
	s_delay_alu instid0(VALU_DEP_1) | instskip(NEXT) | instid1(VALU_DEP_1)
	v_max_f32_e32 v10, v7, v8
	v_dual_min_f32 v9, v7, v8 :: v_dual_cndmask_b32 v10, v10, v7
	s_delay_alu instid0(VALU_DEP_1) | instskip(SKIP_1) | instid1(VALU_DEP_2)
	v_cndmask_b32_e32 v9, v9, v7, vcc_lo
	v_cmp_u_f16_e32 vcc_lo, v5, v5
	v_cndmask_b32_e32 v7, v9, v8, vcc_lo
	s_delay_alu instid0(VALU_DEP_4) | instskip(NEXT) | instid1(VALU_DEP_2)
	v_cndmask_b32_e32 v5, v10, v8, vcc_lo
	v_cmp_class_f32_e64 s27, v7, 0x1f8
	s_delay_alu instid0(VALU_DEP_2) | instskip(NEXT) | instid1(VALU_DEP_2)
	v_cmp_neq_f32_e32 vcc_lo, v7, v5
	s_or_b32 s28, vcc_lo, s27
	s_delay_alu instid0(SALU_CYCLE_1)
	s_and_saveexec_b32 s27, s28
	s_cbranch_execz .LBB443_8
; %bb.10:                               ;   in Loop: Header=BB443_9 Depth=3
	v_sub_f32_e32 v6, v7, v5
	s_delay_alu instid0(VALU_DEP_1) | instskip(SKIP_1) | instid1(VALU_DEP_2)
	v_mul_f32_e32 v7, 0x3fb8aa3b, v6
	v_cmp_ngt_f32_e32 vcc_lo, 0xc2ce8ed0, v6
	v_fma_f32 v8, 0x3fb8aa3b, v6, -v7
	v_rndne_f32_e32 v9, v7
	s_delay_alu instid0(VALU_DEP_1) | instskip(NEXT) | instid1(VALU_DEP_1)
	v_dual_fmac_f32 v8, 0x32a5705f, v6 :: v_dual_sub_f32 v7, v7, v9
	v_add_f32_e32 v7, v7, v8
	v_cvt_i32_f32_e32 v8, v9
	s_delay_alu instid0(VALU_DEP_2) | instskip(SKIP_2) | instid1(VALU_DEP_1)
	v_exp_f32_e32 v7, v7
	s_waitcnt_depctr 0xfff
	v_ldexp_f32 v7, v7, v8
	v_cndmask_b32_e32 v7, 0, v7, vcc_lo
	v_cmp_nlt_f32_e32 vcc_lo, 0x42b17218, v6
	s_delay_alu instid0(VALU_DEP_2) | instskip(NEXT) | instid1(VALU_DEP_1)
	v_cndmask_b32_e32 v8, 0x7f800000, v7, vcc_lo
	v_add_f32_e32 v9, 1.0, v8
	s_delay_alu instid0(VALU_DEP_1) | instskip(NEXT) | instid1(VALU_DEP_1)
	v_cvt_f64_f32_e32 v[6:7], v9
	v_frexp_exp_i32_f64_e32 v6, v[6:7]
	v_frexp_mant_f32_e32 v7, v9
	s_delay_alu instid0(VALU_DEP_1) | instskip(SKIP_2) | instid1(VALU_DEP_2)
	v_cmp_gt_f32_e32 vcc_lo, 0x3f2aaaab, v7
	v_add_f32_e32 v7, -1.0, v9
	v_cmp_gt_f32_e64 s28, 0x33800000, |v8|
	v_sub_f32_e32 v11, v7, v9
	v_sub_f32_e32 v7, v8, v7
	v_subrev_co_ci_u32_e32 v6, vcc_lo, 0, v6, vcc_lo
	v_cmp_eq_f32_e32 vcc_lo, 0x7f800000, v8
	s_delay_alu instid0(VALU_DEP_2) | instskip(SKIP_2) | instid1(VALU_DEP_2)
	v_sub_nc_u32_e32 v10, 0, v6
	v_cvt_f32_i32_e32 v6, v6
	s_or_b32 vcc_lo, vcc_lo, s28
	v_ldexp_f32 v9, v9, v10
	s_delay_alu instid0(VALU_DEP_1) | instskip(NEXT) | instid1(VALU_DEP_1)
	v_dual_add_f32 v12, 1.0, v9 :: v_dual_add_f32 v11, 1.0, v11
	v_add_f32_e32 v7, v7, v11
	s_delay_alu instid0(VALU_DEP_2) | instskip(NEXT) | instid1(VALU_DEP_2)
	v_add_f32_e32 v11, -1.0, v12
	v_ldexp_f32 v7, v7, v10
	s_delay_alu instid0(VALU_DEP_2) | instskip(NEXT) | instid1(VALU_DEP_1)
	v_dual_add_f32 v10, -1.0, v9 :: v_dual_sub_f32 v11, v9, v11
	v_add_f32_e32 v13, 1.0, v10
	s_delay_alu instid0(VALU_DEP_2) | instskip(NEXT) | instid1(VALU_DEP_2)
	v_add_f32_e32 v11, v7, v11
	v_sub_f32_e32 v9, v9, v13
	s_delay_alu instid0(VALU_DEP_2) | instskip(NEXT) | instid1(VALU_DEP_2)
	v_add_f32_e32 v13, v12, v11
	v_add_f32_e32 v7, v7, v9
	s_delay_alu instid0(VALU_DEP_2) | instskip(SKIP_1) | instid1(VALU_DEP_1)
	v_rcp_f32_e32 v9, v13
	v_sub_f32_e32 v12, v12, v13
	v_dual_add_f32 v14, v10, v7 :: v_dual_add_f32 v11, v11, v12
	s_delay_alu instid0(VALU_DEP_1) | instskip(SKIP_2) | instid1(VALU_DEP_1)
	v_sub_f32_e32 v10, v10, v14
	s_waitcnt_depctr 0xfff
	v_mul_f32_e32 v15, v14, v9
	v_dual_add_f32 v7, v7, v10 :: v_dual_mul_f32 v16, v13, v15
	s_delay_alu instid0(VALU_DEP_1) | instskip(NEXT) | instid1(VALU_DEP_1)
	v_fma_f32 v12, v15, v13, -v16
	v_fmac_f32_e32 v12, v15, v11
	s_delay_alu instid0(VALU_DEP_1) | instskip(NEXT) | instid1(VALU_DEP_1)
	v_add_f32_e32 v17, v16, v12
	v_sub_f32_e32 v18, v14, v17
	v_sub_f32_e32 v10, v17, v16
	s_delay_alu instid0(VALU_DEP_2) | instskip(NEXT) | instid1(VALU_DEP_2)
	v_sub_f32_e32 v14, v14, v18
	v_sub_f32_e32 v10, v10, v12
	s_delay_alu instid0(VALU_DEP_2) | instskip(NEXT) | instid1(VALU_DEP_1)
	v_sub_f32_e32 v14, v14, v17
	v_add_f32_e32 v7, v7, v14
	s_delay_alu instid0(VALU_DEP_1) | instskip(NEXT) | instid1(VALU_DEP_1)
	v_add_f32_e32 v7, v10, v7
	v_add_f32_e32 v10, v18, v7
	s_delay_alu instid0(VALU_DEP_1) | instskip(NEXT) | instid1(VALU_DEP_1)
	v_mul_f32_e32 v12, v9, v10
	v_dual_sub_f32 v17, v18, v10 :: v_dual_mul_f32 v14, v13, v12
	s_delay_alu instid0(VALU_DEP_1) | instskip(NEXT) | instid1(VALU_DEP_2)
	v_add_f32_e32 v7, v7, v17
	v_fma_f32 v13, v12, v13, -v14
	s_delay_alu instid0(VALU_DEP_1) | instskip(NEXT) | instid1(VALU_DEP_1)
	v_fmac_f32_e32 v13, v12, v11
	v_add_f32_e32 v11, v14, v13
	s_delay_alu instid0(VALU_DEP_1) | instskip(SKIP_1) | instid1(VALU_DEP_2)
	v_sub_f32_e32 v16, v10, v11
	v_sub_f32_e32 v14, v11, v14
	;; [unrolled: 1-line block ×3, first 2 shown]
	s_delay_alu instid0(VALU_DEP_1) | instskip(NEXT) | instid1(VALU_DEP_3)
	v_sub_f32_e32 v10, v10, v11
	v_sub_f32_e32 v11, v14, v13
	s_delay_alu instid0(VALU_DEP_2) | instskip(SKIP_1) | instid1(VALU_DEP_2)
	v_add_f32_e32 v7, v7, v10
	v_add_f32_e32 v10, v15, v12
	;; [unrolled: 1-line block ×3, first 2 shown]
	s_delay_alu instid0(VALU_DEP_2) | instskip(NEXT) | instid1(VALU_DEP_2)
	v_sub_f32_e32 v11, v10, v15
	v_add_f32_e32 v7, v16, v7
	s_delay_alu instid0(VALU_DEP_2) | instskip(NEXT) | instid1(VALU_DEP_2)
	v_sub_f32_e32 v11, v12, v11
	v_mul_f32_e32 v7, v9, v7
	s_delay_alu instid0(VALU_DEP_1) | instskip(NEXT) | instid1(VALU_DEP_1)
	v_add_f32_e32 v7, v11, v7
	v_add_f32_e32 v9, v10, v7
	s_delay_alu instid0(VALU_DEP_1) | instskip(NEXT) | instid1(VALU_DEP_1)
	v_mul_f32_e32 v11, v9, v9
	v_fmaak_f32 v12, s22, v11, 0x3ecc95a3
	v_mul_f32_e32 v13, v9, v11
	s_delay_alu instid0(VALU_DEP_2) | instskip(SKIP_2) | instid1(VALU_DEP_3)
	v_fmaak_f32 v11, v11, v12, 0x3f2aaada
	v_ldexp_f32 v12, v9, 1
	v_sub_f32_e32 v9, v9, v10
	v_mul_f32_e32 v11, v13, v11
	v_mul_f32_e32 v13, 0x3f317218, v6
	s_delay_alu instid0(VALU_DEP_2) | instskip(NEXT) | instid1(VALU_DEP_1)
	v_dual_sub_f32 v7, v7, v9 :: v_dual_add_f32 v10, v12, v11
	v_ldexp_f32 v7, v7, 1
	s_delay_alu instid0(VALU_DEP_2) | instskip(NEXT) | instid1(VALU_DEP_4)
	v_sub_f32_e32 v9, v10, v12
	v_fma_f32 v12, 0x3f317218, v6, -v13
	s_delay_alu instid0(VALU_DEP_1) | instskip(NEXT) | instid1(VALU_DEP_1)
	v_dual_sub_f32 v9, v11, v9 :: v_dual_fmac_f32 v12, 0xb102e308, v6
	v_dual_add_f32 v6, v7, v9 :: v_dual_add_f32 v7, v13, v12
	s_delay_alu instid0(VALU_DEP_1) | instskip(NEXT) | instid1(VALU_DEP_2)
	v_add_f32_e32 v9, v10, v6
	v_sub_f32_e32 v13, v7, v13
	s_delay_alu instid0(VALU_DEP_2) | instskip(NEXT) | instid1(VALU_DEP_2)
	v_dual_add_f32 v11, v7, v9 :: v_dual_sub_f32 v10, v9, v10
	v_sub_f32_e32 v12, v12, v13
	s_delay_alu instid0(VALU_DEP_2) | instskip(NEXT) | instid1(VALU_DEP_3)
	v_sub_f32_e32 v14, v11, v7
	v_sub_f32_e32 v6, v6, v10
	s_delay_alu instid0(VALU_DEP_2) | instskip(SKIP_1) | instid1(VALU_DEP_2)
	v_sub_f32_e32 v15, v11, v14
	v_sub_f32_e32 v9, v9, v14
	v_dual_add_f32 v10, v12, v6 :: v_dual_sub_f32 v7, v7, v15
	s_delay_alu instid0(VALU_DEP_1) | instskip(NEXT) | instid1(VALU_DEP_2)
	v_add_f32_e32 v7, v9, v7
	v_sub_f32_e32 v9, v10, v12
	s_delay_alu instid0(VALU_DEP_2) | instskip(NEXT) | instid1(VALU_DEP_2)
	v_add_f32_e32 v7, v10, v7
	v_sub_f32_e32 v10, v10, v9
	s_delay_alu instid0(VALU_DEP_2) | instskip(NEXT) | instid1(VALU_DEP_1)
	v_dual_sub_f32 v6, v6, v9 :: v_dual_add_f32 v13, v11, v7
	v_dual_sub_f32 v10, v12, v10 :: v_dual_sub_f32 v9, v13, v11
	s_delay_alu instid0(VALU_DEP_1) | instskip(NEXT) | instid1(VALU_DEP_1)
	v_dual_add_f32 v6, v6, v10 :: v_dual_sub_f32 v7, v7, v9
	v_add_f32_e32 v6, v6, v7
	s_delay_alu instid0(VALU_DEP_1) | instskip(NEXT) | instid1(VALU_DEP_1)
	v_add_f32_e32 v6, v13, v6
	v_cndmask_b32_e32 v6, v6, v8, vcc_lo
	s_delay_alu instid0(VALU_DEP_1) | instskip(NEXT) | instid1(VALU_DEP_1)
	v_add_f32_e32 v5, v5, v6
	v_cvt_f16_f32_e32 v6, v5
	s_branch .LBB443_8
.LBB443_11:
	s_nop 0
	s_sendmsg sendmsg(MSG_DEALLOC_VGPRS)
	s_endpgm
	.section	.rodata,"a",@progbits
	.p2align	6, 0x0
	.amdhsa_kernel _ZN2at6native28tensor_kernel_scan_outer_dimIN3c104HalfEjZZZNS0_31launch_logcumsumexp_cuda_kernelERKNS_10TensorBaseES6_lENKUlvE_clEvENKUlvE3_clEvEUlS3_S3_E_EEvPT_PKSA_jjjSA_T1_
		.amdhsa_group_segment_fixed_size 0
		.amdhsa_private_segment_fixed_size 0
		.amdhsa_kernarg_size 288
		.amdhsa_user_sgpr_count 14
		.amdhsa_user_sgpr_dispatch_ptr 0
		.amdhsa_user_sgpr_queue_ptr 0
		.amdhsa_user_sgpr_kernarg_segment_ptr 1
		.amdhsa_user_sgpr_dispatch_id 0
		.amdhsa_user_sgpr_private_segment_size 0
		.amdhsa_wavefront_size32 1
		.amdhsa_uses_dynamic_stack 0
		.amdhsa_enable_private_segment 0
		.amdhsa_system_sgpr_workgroup_id_x 1
		.amdhsa_system_sgpr_workgroup_id_y 1
		.amdhsa_system_sgpr_workgroup_id_z 0
		.amdhsa_system_sgpr_workgroup_info 0
		.amdhsa_system_vgpr_workitem_id 0
		.amdhsa_next_free_vgpr 19
		.amdhsa_next_free_sgpr 29
		.amdhsa_reserve_vcc 1
		.amdhsa_float_round_mode_32 0
		.amdhsa_float_round_mode_16_64 0
		.amdhsa_float_denorm_mode_32 3
		.amdhsa_float_denorm_mode_16_64 3
		.amdhsa_dx10_clamp 1
		.amdhsa_ieee_mode 1
		.amdhsa_fp16_overflow 0
		.amdhsa_workgroup_processor_mode 1
		.amdhsa_memory_ordered 1
		.amdhsa_forward_progress 0
		.amdhsa_shared_vgpr_count 0
		.amdhsa_exception_fp_ieee_invalid_op 0
		.amdhsa_exception_fp_denorm_src 0
		.amdhsa_exception_fp_ieee_div_zero 0
		.amdhsa_exception_fp_ieee_overflow 0
		.amdhsa_exception_fp_ieee_underflow 0
		.amdhsa_exception_fp_ieee_inexact 0
		.amdhsa_exception_int_div_zero 0
	.end_amdhsa_kernel
	.section	.text._ZN2at6native28tensor_kernel_scan_outer_dimIN3c104HalfEjZZZNS0_31launch_logcumsumexp_cuda_kernelERKNS_10TensorBaseES6_lENKUlvE_clEvENKUlvE3_clEvEUlS3_S3_E_EEvPT_PKSA_jjjSA_T1_,"axG",@progbits,_ZN2at6native28tensor_kernel_scan_outer_dimIN3c104HalfEjZZZNS0_31launch_logcumsumexp_cuda_kernelERKNS_10TensorBaseES6_lENKUlvE_clEvENKUlvE3_clEvEUlS3_S3_E_EEvPT_PKSA_jjjSA_T1_,comdat
.Lfunc_end443:
	.size	_ZN2at6native28tensor_kernel_scan_outer_dimIN3c104HalfEjZZZNS0_31launch_logcumsumexp_cuda_kernelERKNS_10TensorBaseES6_lENKUlvE_clEvENKUlvE3_clEvEUlS3_S3_E_EEvPT_PKSA_jjjSA_T1_, .Lfunc_end443-_ZN2at6native28tensor_kernel_scan_outer_dimIN3c104HalfEjZZZNS0_31launch_logcumsumexp_cuda_kernelERKNS_10TensorBaseES6_lENKUlvE_clEvENKUlvE3_clEvEUlS3_S3_E_EEvPT_PKSA_jjjSA_T1_
                                        ; -- End function
	.section	.AMDGPU.csdata,"",@progbits
; Kernel info:
; codeLenInByte = 1228
; NumSgprs: 31
; NumVgprs: 19
; ScratchSize: 0
; MemoryBound: 0
; FloatMode: 240
; IeeeMode: 1
; LDSByteSize: 0 bytes/workgroup (compile time only)
; SGPRBlocks: 3
; VGPRBlocks: 2
; NumSGPRsForWavesPerEU: 31
; NumVGPRsForWavesPerEU: 19
; Occupancy: 16
; WaveLimiterHint : 0
; COMPUTE_PGM_RSRC2:SCRATCH_EN: 0
; COMPUTE_PGM_RSRC2:USER_SGPR: 14
; COMPUTE_PGM_RSRC2:TRAP_HANDLER: 0
; COMPUTE_PGM_RSRC2:TGID_X_EN: 1
; COMPUTE_PGM_RSRC2:TGID_Y_EN: 1
; COMPUTE_PGM_RSRC2:TGID_Z_EN: 0
; COMPUTE_PGM_RSRC2:TIDIG_COMP_CNT: 0
	.section	.text._ZN2at6native28tensor_kernel_scan_outer_dimIN3c104HalfEmZZZNS0_31launch_logcumsumexp_cuda_kernelERKNS_10TensorBaseES6_lENKUlvE_clEvENKUlvE3_clEvEUlS3_S3_E_EEvPT_PKSA_jjjSA_T1_,"axG",@progbits,_ZN2at6native28tensor_kernel_scan_outer_dimIN3c104HalfEmZZZNS0_31launch_logcumsumexp_cuda_kernelERKNS_10TensorBaseES6_lENKUlvE_clEvENKUlvE3_clEvEUlS3_S3_E_EEvPT_PKSA_jjjSA_T1_,comdat
	.globl	_ZN2at6native28tensor_kernel_scan_outer_dimIN3c104HalfEmZZZNS0_31launch_logcumsumexp_cuda_kernelERKNS_10TensorBaseES6_lENKUlvE_clEvENKUlvE3_clEvEUlS3_S3_E_EEvPT_PKSA_jjjSA_T1_ ; -- Begin function _ZN2at6native28tensor_kernel_scan_outer_dimIN3c104HalfEmZZZNS0_31launch_logcumsumexp_cuda_kernelERKNS_10TensorBaseES6_lENKUlvE_clEvENKUlvE3_clEvEUlS3_S3_E_EEvPT_PKSA_jjjSA_T1_
	.p2align	8
	.type	_ZN2at6native28tensor_kernel_scan_outer_dimIN3c104HalfEmZZZNS0_31launch_logcumsumexp_cuda_kernelERKNS_10TensorBaseES6_lENKUlvE_clEvENKUlvE3_clEvEUlS3_S3_E_EEvPT_PKSA_jjjSA_T1_,@function
_ZN2at6native28tensor_kernel_scan_outer_dimIN3c104HalfEmZZZNS0_31launch_logcumsumexp_cuda_kernelERKNS_10TensorBaseES6_lENKUlvE_clEvENKUlvE3_clEvEUlS3_S3_E_EEvPT_PKSA_jjjSA_T1_: ; @_ZN2at6native28tensor_kernel_scan_outer_dimIN3c104HalfEmZZZNS0_31launch_logcumsumexp_cuda_kernelERKNS_10TensorBaseES6_lENKUlvE_clEvENKUlvE3_clEvEUlS3_S3_E_EEvPT_PKSA_jjjSA_T1_
; %bb.0:
	s_load_b128 s[4:7], s[0:1], 0x10
	s_waitcnt lgkmcnt(0)
	s_cmp_ge_u32 s14, s4
	s_cbranch_scc1 .LBB444_11
; %bb.1:
	s_clause 0x2
	s_load_b32 s12, s[0:1], 0x2c
	s_load_b128 s[8:11], s[0:1], 0x0
	s_load_b32 s18, s[0:1], 0x20
	s_add_u32 s2, s0, 32
	s_addc_u32 s3, s1, 0
	v_mov_b32_e32 v3, 0
	s_mov_b32 s17, 0
	s_mov_b32 s16, s5
	s_mul_hi_u32 s13, s6, s5
	s_mov_b32 s19, 0x3e9b6dac
	s_waitcnt lgkmcnt(0)
	s_and_b32 s1, s12, 0xffff
	s_cmp_lg_u32 s6, 0
	v_mad_u64_u32 v[1:2], null, s15, s1, v[0:1]
	s_mul_i32 s12, s6, s5
	s_cselect_b32 s15, -1, 0
	s_lshl_b64 s[12:13], s[12:13], 1
	s_lshl_b64 s[16:17], s[16:17], 1
	s_delay_alu instid0(VALU_DEP_1)
	v_cmp_gt_u32_e64 s0, s5, v1
	s_branch .LBB444_3
.LBB444_2:                              ;   in Loop: Header=BB444_3 Depth=1
	s_or_b32 exec_lo, exec_lo, s20
	s_add_i32 s14, s14, s18
	s_delay_alu instid0(SALU_CYCLE_1)
	s_cmp_ge_u32 s14, s4
	s_cbranch_scc1 .LBB444_11
.LBB444_3:                              ; =>This Loop Header: Depth=1
                                        ;     Child Loop BB444_6 Depth 2
                                        ;       Child Loop BB444_9 Depth 3
	s_delay_alu instid0(VALU_DEP_1)
	s_and_saveexec_b32 s20, s0
	s_cbranch_execz .LBB444_2
; %bb.4:                                ;   in Loop: Header=BB444_3 Depth=1
	s_load_b32 s23, s[2:3], 0x4
	v_mov_b32_e32 v2, v1
	s_mul_i32 s22, s13, s14
	s_mul_hi_u32 s24, s12, s14
	s_mul_i32 s21, s12, s14
	s_add_i32 s22, s24, s22
	s_mov_b32 s24, 0
	s_waitcnt lgkmcnt(0)
	s_mul_i32 s23, s23, s1
	s_branch .LBB444_6
.LBB444_5:                              ;   in Loop: Header=BB444_6 Depth=2
	v_add_nc_u32_e32 v2, s23, v2
	s_delay_alu instid0(VALU_DEP_1) | instskip(SKIP_1) | instid1(SALU_CYCLE_1)
	v_cmp_le_u32_e32 vcc_lo, s5, v2
	s_or_b32 s24, vcc_lo, s24
	s_and_not1_b32 exec_lo, exec_lo, s24
	s_cbranch_execz .LBB444_2
.LBB444_6:                              ;   Parent Loop BB444_3 Depth=1
                                        ; =>  This Loop Header: Depth=2
                                        ;       Child Loop BB444_9 Depth 3
	s_and_not1_b32 vcc_lo, exec_lo, s15
	s_cbranch_vccnz .LBB444_5
; %bb.7:                                ;   in Loop: Header=BB444_6 Depth=2
	v_lshlrev_b64 v[4:5], 1, v[2:3]
	v_mov_b32_e32 v6, s7
	s_mov_b32 s25, s6
	s_delay_alu instid0(VALU_DEP_2) | instskip(NEXT) | instid1(VALU_DEP_3)
	v_add_co_u32 v0, vcc_lo, s21, v4
	v_add_co_ci_u32_e32 v4, vcc_lo, s22, v5, vcc_lo
	s_branch .LBB444_9
.LBB444_8:                              ;   in Loop: Header=BB444_9 Depth=3
	s_or_b32 exec_lo, exec_lo, s26
	v_add_co_u32 v7, vcc_lo, s8, v0
	v_add_co_ci_u32_e32 v8, vcc_lo, s9, v4, vcc_lo
	v_add_co_u32 v0, vcc_lo, v0, s16
	v_add_co_ci_u32_e32 v4, vcc_lo, s17, v4, vcc_lo
	s_add_i32 s25, s25, -1
	global_store_b16 v[7:8], v6, off
	s_cmp_eq_u32 s25, 0
	s_cbranch_scc1 .LBB444_5
.LBB444_9:                              ;   Parent Loop BB444_3 Depth=1
                                        ;     Parent Loop BB444_6 Depth=2
                                        ; =>    This Inner Loop Header: Depth=3
	s_delay_alu instid0(VALU_DEP_2) | instskip(NEXT) | instid1(VALU_DEP_2)
	v_add_co_u32 v7, vcc_lo, s10, v0
	v_add_co_ci_u32_e32 v8, vcc_lo, s11, v4, vcc_lo
	v_cmp_u_f16_e32 vcc_lo, v6, v6
	global_load_u16 v5, v[7:8], off
	v_cvt_f32_f16_e32 v7, v6
	s_waitcnt vmcnt(0)
	v_cvt_f32_f16_e32 v8, v5
	s_delay_alu instid0(VALU_DEP_1) | instskip(NEXT) | instid1(VALU_DEP_1)
	v_max_f32_e32 v10, v7, v8
	v_dual_min_f32 v9, v7, v8 :: v_dual_cndmask_b32 v10, v10, v7
	s_delay_alu instid0(VALU_DEP_1) | instskip(SKIP_1) | instid1(VALU_DEP_2)
	v_cndmask_b32_e32 v9, v9, v7, vcc_lo
	v_cmp_u_f16_e32 vcc_lo, v5, v5
	v_cndmask_b32_e32 v7, v9, v8, vcc_lo
	s_delay_alu instid0(VALU_DEP_4) | instskip(NEXT) | instid1(VALU_DEP_2)
	v_cndmask_b32_e32 v5, v10, v8, vcc_lo
	v_cmp_class_f32_e64 s26, v7, 0x1f8
	s_delay_alu instid0(VALU_DEP_2) | instskip(NEXT) | instid1(VALU_DEP_2)
	v_cmp_neq_f32_e32 vcc_lo, v7, v5
	s_or_b32 s27, vcc_lo, s26
	s_delay_alu instid0(SALU_CYCLE_1)
	s_and_saveexec_b32 s26, s27
	s_cbranch_execz .LBB444_8
; %bb.10:                               ;   in Loop: Header=BB444_9 Depth=3
	v_sub_f32_e32 v6, v7, v5
	s_delay_alu instid0(VALU_DEP_1) | instskip(SKIP_1) | instid1(VALU_DEP_2)
	v_mul_f32_e32 v7, 0x3fb8aa3b, v6
	v_cmp_ngt_f32_e32 vcc_lo, 0xc2ce8ed0, v6
	v_fma_f32 v8, 0x3fb8aa3b, v6, -v7
	v_rndne_f32_e32 v9, v7
	s_delay_alu instid0(VALU_DEP_1) | instskip(NEXT) | instid1(VALU_DEP_1)
	v_dual_fmac_f32 v8, 0x32a5705f, v6 :: v_dual_sub_f32 v7, v7, v9
	v_add_f32_e32 v7, v7, v8
	v_cvt_i32_f32_e32 v8, v9
	s_delay_alu instid0(VALU_DEP_2) | instskip(SKIP_2) | instid1(VALU_DEP_1)
	v_exp_f32_e32 v7, v7
	s_waitcnt_depctr 0xfff
	v_ldexp_f32 v7, v7, v8
	v_cndmask_b32_e32 v7, 0, v7, vcc_lo
	v_cmp_nlt_f32_e32 vcc_lo, 0x42b17218, v6
	s_delay_alu instid0(VALU_DEP_2) | instskip(NEXT) | instid1(VALU_DEP_1)
	v_cndmask_b32_e32 v8, 0x7f800000, v7, vcc_lo
	v_add_f32_e32 v9, 1.0, v8
	s_delay_alu instid0(VALU_DEP_1) | instskip(NEXT) | instid1(VALU_DEP_1)
	v_cvt_f64_f32_e32 v[6:7], v9
	v_frexp_exp_i32_f64_e32 v6, v[6:7]
	v_frexp_mant_f32_e32 v7, v9
	s_delay_alu instid0(VALU_DEP_1) | instskip(SKIP_2) | instid1(VALU_DEP_2)
	v_cmp_gt_f32_e32 vcc_lo, 0x3f2aaaab, v7
	v_add_f32_e32 v7, -1.0, v9
	v_cmp_gt_f32_e64 s27, 0x33800000, |v8|
	v_sub_f32_e32 v11, v7, v9
	v_sub_f32_e32 v7, v8, v7
	v_subrev_co_ci_u32_e32 v6, vcc_lo, 0, v6, vcc_lo
	v_cmp_eq_f32_e32 vcc_lo, 0x7f800000, v8
	s_delay_alu instid0(VALU_DEP_2) | instskip(SKIP_2) | instid1(VALU_DEP_2)
	v_sub_nc_u32_e32 v10, 0, v6
	v_cvt_f32_i32_e32 v6, v6
	s_or_b32 vcc_lo, vcc_lo, s27
	v_ldexp_f32 v9, v9, v10
	s_delay_alu instid0(VALU_DEP_1) | instskip(NEXT) | instid1(VALU_DEP_1)
	v_dual_add_f32 v12, 1.0, v9 :: v_dual_add_f32 v11, 1.0, v11
	v_add_f32_e32 v7, v7, v11
	s_delay_alu instid0(VALU_DEP_2) | instskip(NEXT) | instid1(VALU_DEP_2)
	v_add_f32_e32 v11, -1.0, v12
	v_ldexp_f32 v7, v7, v10
	s_delay_alu instid0(VALU_DEP_2) | instskip(NEXT) | instid1(VALU_DEP_1)
	v_dual_add_f32 v10, -1.0, v9 :: v_dual_sub_f32 v11, v9, v11
	v_add_f32_e32 v13, 1.0, v10
	s_delay_alu instid0(VALU_DEP_2) | instskip(NEXT) | instid1(VALU_DEP_2)
	v_add_f32_e32 v11, v7, v11
	v_sub_f32_e32 v9, v9, v13
	s_delay_alu instid0(VALU_DEP_2) | instskip(NEXT) | instid1(VALU_DEP_2)
	v_add_f32_e32 v13, v12, v11
	v_add_f32_e32 v7, v7, v9
	s_delay_alu instid0(VALU_DEP_2) | instskip(SKIP_1) | instid1(VALU_DEP_1)
	v_rcp_f32_e32 v9, v13
	v_sub_f32_e32 v12, v12, v13
	v_dual_add_f32 v14, v10, v7 :: v_dual_add_f32 v11, v11, v12
	s_delay_alu instid0(VALU_DEP_1) | instskip(SKIP_2) | instid1(VALU_DEP_1)
	v_sub_f32_e32 v10, v10, v14
	s_waitcnt_depctr 0xfff
	v_mul_f32_e32 v15, v14, v9
	v_dual_add_f32 v7, v7, v10 :: v_dual_mul_f32 v16, v13, v15
	s_delay_alu instid0(VALU_DEP_1) | instskip(NEXT) | instid1(VALU_DEP_1)
	v_fma_f32 v12, v15, v13, -v16
	v_fmac_f32_e32 v12, v15, v11
	s_delay_alu instid0(VALU_DEP_1) | instskip(NEXT) | instid1(VALU_DEP_1)
	v_add_f32_e32 v17, v16, v12
	v_sub_f32_e32 v18, v14, v17
	v_sub_f32_e32 v10, v17, v16
	s_delay_alu instid0(VALU_DEP_2) | instskip(NEXT) | instid1(VALU_DEP_2)
	v_sub_f32_e32 v14, v14, v18
	v_sub_f32_e32 v10, v10, v12
	s_delay_alu instid0(VALU_DEP_2) | instskip(NEXT) | instid1(VALU_DEP_1)
	v_sub_f32_e32 v14, v14, v17
	v_add_f32_e32 v7, v7, v14
	s_delay_alu instid0(VALU_DEP_1) | instskip(NEXT) | instid1(VALU_DEP_1)
	v_add_f32_e32 v7, v10, v7
	v_add_f32_e32 v10, v18, v7
	s_delay_alu instid0(VALU_DEP_1) | instskip(NEXT) | instid1(VALU_DEP_1)
	v_mul_f32_e32 v12, v9, v10
	v_dual_sub_f32 v17, v18, v10 :: v_dual_mul_f32 v14, v13, v12
	s_delay_alu instid0(VALU_DEP_1) | instskip(NEXT) | instid1(VALU_DEP_2)
	v_add_f32_e32 v7, v7, v17
	v_fma_f32 v13, v12, v13, -v14
	s_delay_alu instid0(VALU_DEP_1) | instskip(NEXT) | instid1(VALU_DEP_1)
	v_fmac_f32_e32 v13, v12, v11
	v_add_f32_e32 v11, v14, v13
	s_delay_alu instid0(VALU_DEP_1) | instskip(SKIP_1) | instid1(VALU_DEP_2)
	v_sub_f32_e32 v16, v10, v11
	v_sub_f32_e32 v14, v11, v14
	;; [unrolled: 1-line block ×3, first 2 shown]
	s_delay_alu instid0(VALU_DEP_1) | instskip(NEXT) | instid1(VALU_DEP_3)
	v_sub_f32_e32 v10, v10, v11
	v_sub_f32_e32 v11, v14, v13
	s_delay_alu instid0(VALU_DEP_2) | instskip(SKIP_1) | instid1(VALU_DEP_2)
	v_add_f32_e32 v7, v7, v10
	v_add_f32_e32 v10, v15, v12
	;; [unrolled: 1-line block ×3, first 2 shown]
	s_delay_alu instid0(VALU_DEP_2) | instskip(NEXT) | instid1(VALU_DEP_2)
	v_sub_f32_e32 v11, v10, v15
	v_add_f32_e32 v7, v16, v7
	s_delay_alu instid0(VALU_DEP_2) | instskip(NEXT) | instid1(VALU_DEP_2)
	v_sub_f32_e32 v11, v12, v11
	v_mul_f32_e32 v7, v9, v7
	s_delay_alu instid0(VALU_DEP_1) | instskip(NEXT) | instid1(VALU_DEP_1)
	v_add_f32_e32 v7, v11, v7
	v_add_f32_e32 v9, v10, v7
	s_delay_alu instid0(VALU_DEP_1) | instskip(NEXT) | instid1(VALU_DEP_1)
	v_mul_f32_e32 v11, v9, v9
	v_fmaak_f32 v12, s19, v11, 0x3ecc95a3
	v_mul_f32_e32 v13, v9, v11
	s_delay_alu instid0(VALU_DEP_2) | instskip(SKIP_2) | instid1(VALU_DEP_3)
	v_fmaak_f32 v11, v11, v12, 0x3f2aaada
	v_ldexp_f32 v12, v9, 1
	v_sub_f32_e32 v9, v9, v10
	v_mul_f32_e32 v11, v13, v11
	v_mul_f32_e32 v13, 0x3f317218, v6
	s_delay_alu instid0(VALU_DEP_2) | instskip(NEXT) | instid1(VALU_DEP_1)
	v_dual_sub_f32 v7, v7, v9 :: v_dual_add_f32 v10, v12, v11
	v_ldexp_f32 v7, v7, 1
	s_delay_alu instid0(VALU_DEP_2) | instskip(NEXT) | instid1(VALU_DEP_4)
	v_sub_f32_e32 v9, v10, v12
	v_fma_f32 v12, 0x3f317218, v6, -v13
	s_delay_alu instid0(VALU_DEP_1) | instskip(NEXT) | instid1(VALU_DEP_1)
	v_dual_sub_f32 v9, v11, v9 :: v_dual_fmac_f32 v12, 0xb102e308, v6
	v_dual_add_f32 v6, v7, v9 :: v_dual_add_f32 v7, v13, v12
	s_delay_alu instid0(VALU_DEP_1) | instskip(NEXT) | instid1(VALU_DEP_2)
	v_add_f32_e32 v9, v10, v6
	v_sub_f32_e32 v13, v7, v13
	s_delay_alu instid0(VALU_DEP_2) | instskip(NEXT) | instid1(VALU_DEP_2)
	v_dual_add_f32 v11, v7, v9 :: v_dual_sub_f32 v10, v9, v10
	v_sub_f32_e32 v12, v12, v13
	s_delay_alu instid0(VALU_DEP_2) | instskip(NEXT) | instid1(VALU_DEP_3)
	v_sub_f32_e32 v14, v11, v7
	v_sub_f32_e32 v6, v6, v10
	s_delay_alu instid0(VALU_DEP_2) | instskip(SKIP_1) | instid1(VALU_DEP_2)
	v_sub_f32_e32 v15, v11, v14
	v_sub_f32_e32 v9, v9, v14
	v_dual_add_f32 v10, v12, v6 :: v_dual_sub_f32 v7, v7, v15
	s_delay_alu instid0(VALU_DEP_1) | instskip(NEXT) | instid1(VALU_DEP_2)
	v_add_f32_e32 v7, v9, v7
	v_sub_f32_e32 v9, v10, v12
	s_delay_alu instid0(VALU_DEP_2) | instskip(NEXT) | instid1(VALU_DEP_2)
	v_add_f32_e32 v7, v10, v7
	v_sub_f32_e32 v10, v10, v9
	s_delay_alu instid0(VALU_DEP_2) | instskip(NEXT) | instid1(VALU_DEP_1)
	v_dual_sub_f32 v6, v6, v9 :: v_dual_add_f32 v13, v11, v7
	v_dual_sub_f32 v10, v12, v10 :: v_dual_sub_f32 v9, v13, v11
	s_delay_alu instid0(VALU_DEP_1) | instskip(NEXT) | instid1(VALU_DEP_1)
	v_dual_add_f32 v6, v6, v10 :: v_dual_sub_f32 v7, v7, v9
	v_add_f32_e32 v6, v6, v7
	s_delay_alu instid0(VALU_DEP_1) | instskip(NEXT) | instid1(VALU_DEP_1)
	v_add_f32_e32 v6, v13, v6
	v_cndmask_b32_e32 v6, v6, v8, vcc_lo
	s_delay_alu instid0(VALU_DEP_1) | instskip(NEXT) | instid1(VALU_DEP_1)
	v_add_f32_e32 v5, v5, v6
	v_cvt_f16_f32_e32 v6, v5
	s_branch .LBB444_8
.LBB444_11:
	s_nop 0
	s_sendmsg sendmsg(MSG_DEALLOC_VGPRS)
	s_endpgm
	.section	.rodata,"a",@progbits
	.p2align	6, 0x0
	.amdhsa_kernel _ZN2at6native28tensor_kernel_scan_outer_dimIN3c104HalfEmZZZNS0_31launch_logcumsumexp_cuda_kernelERKNS_10TensorBaseES6_lENKUlvE_clEvENKUlvE3_clEvEUlS3_S3_E_EEvPT_PKSA_jjjSA_T1_
		.amdhsa_group_segment_fixed_size 0
		.amdhsa_private_segment_fixed_size 0
		.amdhsa_kernarg_size 288
		.amdhsa_user_sgpr_count 14
		.amdhsa_user_sgpr_dispatch_ptr 0
		.amdhsa_user_sgpr_queue_ptr 0
		.amdhsa_user_sgpr_kernarg_segment_ptr 1
		.amdhsa_user_sgpr_dispatch_id 0
		.amdhsa_user_sgpr_private_segment_size 0
		.amdhsa_wavefront_size32 1
		.amdhsa_uses_dynamic_stack 0
		.amdhsa_enable_private_segment 0
		.amdhsa_system_sgpr_workgroup_id_x 1
		.amdhsa_system_sgpr_workgroup_id_y 1
		.amdhsa_system_sgpr_workgroup_id_z 0
		.amdhsa_system_sgpr_workgroup_info 0
		.amdhsa_system_vgpr_workitem_id 0
		.amdhsa_next_free_vgpr 19
		.amdhsa_next_free_sgpr 28
		.amdhsa_reserve_vcc 1
		.amdhsa_float_round_mode_32 0
		.amdhsa_float_round_mode_16_64 0
		.amdhsa_float_denorm_mode_32 3
		.amdhsa_float_denorm_mode_16_64 3
		.amdhsa_dx10_clamp 1
		.amdhsa_ieee_mode 1
		.amdhsa_fp16_overflow 0
		.amdhsa_workgroup_processor_mode 1
		.amdhsa_memory_ordered 1
		.amdhsa_forward_progress 0
		.amdhsa_shared_vgpr_count 0
		.amdhsa_exception_fp_ieee_invalid_op 0
		.amdhsa_exception_fp_denorm_src 0
		.amdhsa_exception_fp_ieee_div_zero 0
		.amdhsa_exception_fp_ieee_overflow 0
		.amdhsa_exception_fp_ieee_underflow 0
		.amdhsa_exception_fp_ieee_inexact 0
		.amdhsa_exception_int_div_zero 0
	.end_amdhsa_kernel
	.section	.text._ZN2at6native28tensor_kernel_scan_outer_dimIN3c104HalfEmZZZNS0_31launch_logcumsumexp_cuda_kernelERKNS_10TensorBaseES6_lENKUlvE_clEvENKUlvE3_clEvEUlS3_S3_E_EEvPT_PKSA_jjjSA_T1_,"axG",@progbits,_ZN2at6native28tensor_kernel_scan_outer_dimIN3c104HalfEmZZZNS0_31launch_logcumsumexp_cuda_kernelERKNS_10TensorBaseES6_lENKUlvE_clEvENKUlvE3_clEvEUlS3_S3_E_EEvPT_PKSA_jjjSA_T1_,comdat
.Lfunc_end444:
	.size	_ZN2at6native28tensor_kernel_scan_outer_dimIN3c104HalfEmZZZNS0_31launch_logcumsumexp_cuda_kernelERKNS_10TensorBaseES6_lENKUlvE_clEvENKUlvE3_clEvEUlS3_S3_E_EEvPT_PKSA_jjjSA_T1_, .Lfunc_end444-_ZN2at6native28tensor_kernel_scan_outer_dimIN3c104HalfEmZZZNS0_31launch_logcumsumexp_cuda_kernelERKNS_10TensorBaseES6_lENKUlvE_clEvENKUlvE3_clEvEUlS3_S3_E_EEvPT_PKSA_jjjSA_T1_
                                        ; -- End function
	.section	.AMDGPU.csdata,"",@progbits
; Kernel info:
; codeLenInByte = 1232
; NumSgprs: 30
; NumVgprs: 19
; ScratchSize: 0
; MemoryBound: 0
; FloatMode: 240
; IeeeMode: 1
; LDSByteSize: 0 bytes/workgroup (compile time only)
; SGPRBlocks: 3
; VGPRBlocks: 2
; NumSGPRsForWavesPerEU: 30
; NumVGPRsForWavesPerEU: 19
; Occupancy: 16
; WaveLimiterHint : 0
; COMPUTE_PGM_RSRC2:SCRATCH_EN: 0
; COMPUTE_PGM_RSRC2:USER_SGPR: 14
; COMPUTE_PGM_RSRC2:TRAP_HANDLER: 0
; COMPUTE_PGM_RSRC2:TGID_X_EN: 1
; COMPUTE_PGM_RSRC2:TGID_Y_EN: 1
; COMPUTE_PGM_RSRC2:TGID_Z_EN: 0
; COMPUTE_PGM_RSRC2:TIDIG_COMP_CNT: 0
	.section	.text._ZN7rocprim17ROCPRIM_400000_NS6detail31init_lookback_scan_state_kernelINS1_19lookback_scan_stateIN3c108BFloat16ELb0ELb1EEENS1_16block_id_wrapperIjLb0EEEEEvT_jT0_jPNS9_10value_typeE,"axG",@progbits,_ZN7rocprim17ROCPRIM_400000_NS6detail31init_lookback_scan_state_kernelINS1_19lookback_scan_stateIN3c108BFloat16ELb0ELb1EEENS1_16block_id_wrapperIjLb0EEEEEvT_jT0_jPNS9_10value_typeE,comdat
	.protected	_ZN7rocprim17ROCPRIM_400000_NS6detail31init_lookback_scan_state_kernelINS1_19lookback_scan_stateIN3c108BFloat16ELb0ELb1EEENS1_16block_id_wrapperIjLb0EEEEEvT_jT0_jPNS9_10value_typeE ; -- Begin function _ZN7rocprim17ROCPRIM_400000_NS6detail31init_lookback_scan_state_kernelINS1_19lookback_scan_stateIN3c108BFloat16ELb0ELb1EEENS1_16block_id_wrapperIjLb0EEEEEvT_jT0_jPNS9_10value_typeE
	.globl	_ZN7rocprim17ROCPRIM_400000_NS6detail31init_lookback_scan_state_kernelINS1_19lookback_scan_stateIN3c108BFloat16ELb0ELb1EEENS1_16block_id_wrapperIjLb0EEEEEvT_jT0_jPNS9_10value_typeE
	.p2align	8
	.type	_ZN7rocprim17ROCPRIM_400000_NS6detail31init_lookback_scan_state_kernelINS1_19lookback_scan_stateIN3c108BFloat16ELb0ELb1EEENS1_16block_id_wrapperIjLb0EEEEEvT_jT0_jPNS9_10value_typeE,@function
_ZN7rocprim17ROCPRIM_400000_NS6detail31init_lookback_scan_state_kernelINS1_19lookback_scan_stateIN3c108BFloat16ELb0ELb1EEENS1_16block_id_wrapperIjLb0EEEEEvT_jT0_jPNS9_10value_typeE: ; @_ZN7rocprim17ROCPRIM_400000_NS6detail31init_lookback_scan_state_kernelINS1_19lookback_scan_stateIN3c108BFloat16ELb0ELb1EEENS1_16block_id_wrapperIjLb0EEEEEvT_jT0_jPNS9_10value_typeE
; %bb.0:
	s_clause 0x3
	s_load_b32 s7, s[0:1], 0x2c
	s_load_b64 s[4:5], s[0:1], 0x18
	s_load_b64 s[2:3], s[0:1], 0x0
	s_load_b32 s6, s[0:1], 0x8
	s_waitcnt lgkmcnt(0)
	s_and_b32 s7, s7, 0xffff
	s_cmp_eq_u64 s[4:5], 0
	v_mad_u64_u32 v[1:2], null, s15, s7, v[0:1]
	s_cbranch_scc1 .LBB445_6
; %bb.1:
	s_load_b32 s0, s[0:1], 0x10
	s_waitcnt lgkmcnt(0)
	s_cmp_lt_u32 s0, s6
	s_cselect_b32 s1, s0, 0
	s_delay_alu instid0(VALU_DEP_1) | instid1(SALU_CYCLE_1)
	v_cmp_eq_u32_e32 vcc_lo, s1, v1
	s_mov_b32 s1, 0
	s_and_saveexec_b32 s7, vcc_lo
	s_cbranch_execz .LBB445_5
; %bb.2:
	s_add_i32 s0, s0, 32
	v_mov_b32_e32 v2, 0
	s_lshl_b64 s[0:1], s[0:1], 2
	s_delay_alu instid0(SALU_CYCLE_1) | instskip(SKIP_4) | instid1(VALU_DEP_1)
	s_add_u32 s0, s2, s0
	s_addc_u32 s1, s3, s1
	global_load_b32 v0, v2, s[0:1] glc
	s_waitcnt vmcnt(0)
	v_and_b32_e32 v3, 0xff0000, v0
	v_cmp_ne_u32_e32 vcc_lo, 0, v3
	s_cbranch_vccnz .LBB445_4
.LBB445_3:                              ; =>This Inner Loop Header: Depth=1
	global_load_b32 v0, v2, s[0:1] glc
	s_waitcnt vmcnt(0)
	v_and_b32_e32 v3, 0xff0000, v0
	s_delay_alu instid0(VALU_DEP_1)
	v_cmp_eq_u32_e32 vcc_lo, 0, v3
	s_cbranch_vccnz .LBB445_3
.LBB445_4:
	v_mov_b32_e32 v2, 0
	global_store_b16 v2, v0, s[4:5]
.LBB445_5:
	s_or_b32 exec_lo, exec_lo, s7
.LBB445_6:
	s_delay_alu instid0(SALU_CYCLE_1) | instskip(NEXT) | instid1(VALU_DEP_1)
	s_mov_b32 s0, exec_lo
	v_cmpx_gt_u32_e64 s6, v1
	s_cbranch_execz .LBB445_8
; %bb.7:
	v_dual_mov_b32 v3, 0 :: v_dual_add_nc_u32 v2, 32, v1
	s_delay_alu instid0(VALU_DEP_1) | instskip(NEXT) | instid1(VALU_DEP_1)
	v_lshlrev_b64 v[4:5], 2, v[2:3]
	v_add_co_u32 v4, vcc_lo, s2, v4
	s_delay_alu instid0(VALU_DEP_2)
	v_add_co_ci_u32_e32 v5, vcc_lo, s3, v5, vcc_lo
	global_store_b32 v[4:5], v3, off
.LBB445_8:
	s_or_b32 exec_lo, exec_lo, s0
	s_delay_alu instid0(SALU_CYCLE_1)
	s_mov_b32 s0, exec_lo
	v_cmpx_gt_u32_e32 32, v1
	s_cbranch_execz .LBB445_10
; %bb.9:
	v_mov_b32_e32 v2, 0
	s_delay_alu instid0(VALU_DEP_1) | instskip(SKIP_1) | instid1(VALU_DEP_2)
	v_lshlrev_b64 v[0:1], 2, v[1:2]
	v_mov_b32_e32 v2, 0xff0000
	v_add_co_u32 v0, vcc_lo, s2, v0
	s_delay_alu instid0(VALU_DEP_3)
	v_add_co_ci_u32_e32 v1, vcc_lo, s3, v1, vcc_lo
	global_store_b32 v[0:1], v2, off
.LBB445_10:
	s_nop 0
	s_sendmsg sendmsg(MSG_DEALLOC_VGPRS)
	s_endpgm
	.section	.rodata,"a",@progbits
	.p2align	6, 0x0
	.amdhsa_kernel _ZN7rocprim17ROCPRIM_400000_NS6detail31init_lookback_scan_state_kernelINS1_19lookback_scan_stateIN3c108BFloat16ELb0ELb1EEENS1_16block_id_wrapperIjLb0EEEEEvT_jT0_jPNS9_10value_typeE
		.amdhsa_group_segment_fixed_size 0
		.amdhsa_private_segment_fixed_size 0
		.amdhsa_kernarg_size 288
		.amdhsa_user_sgpr_count 15
		.amdhsa_user_sgpr_dispatch_ptr 0
		.amdhsa_user_sgpr_queue_ptr 0
		.amdhsa_user_sgpr_kernarg_segment_ptr 1
		.amdhsa_user_sgpr_dispatch_id 0
		.amdhsa_user_sgpr_private_segment_size 0
		.amdhsa_wavefront_size32 1
		.amdhsa_uses_dynamic_stack 0
		.amdhsa_enable_private_segment 0
		.amdhsa_system_sgpr_workgroup_id_x 1
		.amdhsa_system_sgpr_workgroup_id_y 0
		.amdhsa_system_sgpr_workgroup_id_z 0
		.amdhsa_system_sgpr_workgroup_info 0
		.amdhsa_system_vgpr_workitem_id 0
		.amdhsa_next_free_vgpr 6
		.amdhsa_next_free_sgpr 16
		.amdhsa_reserve_vcc 1
		.amdhsa_float_round_mode_32 0
		.amdhsa_float_round_mode_16_64 0
		.amdhsa_float_denorm_mode_32 3
		.amdhsa_float_denorm_mode_16_64 3
		.amdhsa_dx10_clamp 1
		.amdhsa_ieee_mode 1
		.amdhsa_fp16_overflow 0
		.amdhsa_workgroup_processor_mode 1
		.amdhsa_memory_ordered 1
		.amdhsa_forward_progress 0
		.amdhsa_shared_vgpr_count 0
		.amdhsa_exception_fp_ieee_invalid_op 0
		.amdhsa_exception_fp_denorm_src 0
		.amdhsa_exception_fp_ieee_div_zero 0
		.amdhsa_exception_fp_ieee_overflow 0
		.amdhsa_exception_fp_ieee_underflow 0
		.amdhsa_exception_fp_ieee_inexact 0
		.amdhsa_exception_int_div_zero 0
	.end_amdhsa_kernel
	.section	.text._ZN7rocprim17ROCPRIM_400000_NS6detail31init_lookback_scan_state_kernelINS1_19lookback_scan_stateIN3c108BFloat16ELb0ELb1EEENS1_16block_id_wrapperIjLb0EEEEEvT_jT0_jPNS9_10value_typeE,"axG",@progbits,_ZN7rocprim17ROCPRIM_400000_NS6detail31init_lookback_scan_state_kernelINS1_19lookback_scan_stateIN3c108BFloat16ELb0ELb1EEENS1_16block_id_wrapperIjLb0EEEEEvT_jT0_jPNS9_10value_typeE,comdat
.Lfunc_end445:
	.size	_ZN7rocprim17ROCPRIM_400000_NS6detail31init_lookback_scan_state_kernelINS1_19lookback_scan_stateIN3c108BFloat16ELb0ELb1EEENS1_16block_id_wrapperIjLb0EEEEEvT_jT0_jPNS9_10value_typeE, .Lfunc_end445-_ZN7rocprim17ROCPRIM_400000_NS6detail31init_lookback_scan_state_kernelINS1_19lookback_scan_stateIN3c108BFloat16ELb0ELb1EEENS1_16block_id_wrapperIjLb0EEEEEvT_jT0_jPNS9_10value_typeE
                                        ; -- End function
	.section	.AMDGPU.csdata,"",@progbits
; Kernel info:
; codeLenInByte = 348
; NumSgprs: 18
; NumVgprs: 6
; ScratchSize: 0
; MemoryBound: 0
; FloatMode: 240
; IeeeMode: 1
; LDSByteSize: 0 bytes/workgroup (compile time only)
; SGPRBlocks: 2
; VGPRBlocks: 0
; NumSGPRsForWavesPerEU: 18
; NumVGPRsForWavesPerEU: 6
; Occupancy: 16
; WaveLimiterHint : 0
; COMPUTE_PGM_RSRC2:SCRATCH_EN: 0
; COMPUTE_PGM_RSRC2:USER_SGPR: 15
; COMPUTE_PGM_RSRC2:TRAP_HANDLER: 0
; COMPUTE_PGM_RSRC2:TGID_X_EN: 1
; COMPUTE_PGM_RSRC2:TGID_Y_EN: 0
; COMPUTE_PGM_RSRC2:TGID_Z_EN: 0
; COMPUTE_PGM_RSRC2:TIDIG_COMP_CNT: 0
	.section	.text._ZN7rocprim17ROCPRIM_400000_NS6detail17trampoline_kernelINS0_14default_configENS1_20scan_config_selectorIN3c108BFloat16EEEZZNS1_9scan_implILNS1_25lookback_scan_determinismE0ELb0ELb0ES3_PKS6_PS6_S6_ZZZN2at6native31launch_logcumsumexp_cuda_kernelERKNSD_10TensorBaseESH_lENKUlvE_clEvENKUlvE4_clEvEUlS6_S6_E_S6_EEDaPvRmT3_T4_T5_mT6_P12ihipStream_tbENKUlT_T0_E_clISt17integral_constantIbLb0EESY_EEDaST_SU_EUlST_E_NS1_11comp_targetILNS1_3genE0ELNS1_11target_archE4294967295ELNS1_3gpuE0ELNS1_3repE0EEENS1_30default_config_static_selectorELNS0_4arch9wavefront6targetE0EEEvT1_,"axG",@progbits,_ZN7rocprim17ROCPRIM_400000_NS6detail17trampoline_kernelINS0_14default_configENS1_20scan_config_selectorIN3c108BFloat16EEEZZNS1_9scan_implILNS1_25lookback_scan_determinismE0ELb0ELb0ES3_PKS6_PS6_S6_ZZZN2at6native31launch_logcumsumexp_cuda_kernelERKNSD_10TensorBaseESH_lENKUlvE_clEvENKUlvE4_clEvEUlS6_S6_E_S6_EEDaPvRmT3_T4_T5_mT6_P12ihipStream_tbENKUlT_T0_E_clISt17integral_constantIbLb0EESY_EEDaST_SU_EUlST_E_NS1_11comp_targetILNS1_3genE0ELNS1_11target_archE4294967295ELNS1_3gpuE0ELNS1_3repE0EEENS1_30default_config_static_selectorELNS0_4arch9wavefront6targetE0EEEvT1_,comdat
	.globl	_ZN7rocprim17ROCPRIM_400000_NS6detail17trampoline_kernelINS0_14default_configENS1_20scan_config_selectorIN3c108BFloat16EEEZZNS1_9scan_implILNS1_25lookback_scan_determinismE0ELb0ELb0ES3_PKS6_PS6_S6_ZZZN2at6native31launch_logcumsumexp_cuda_kernelERKNSD_10TensorBaseESH_lENKUlvE_clEvENKUlvE4_clEvEUlS6_S6_E_S6_EEDaPvRmT3_T4_T5_mT6_P12ihipStream_tbENKUlT_T0_E_clISt17integral_constantIbLb0EESY_EEDaST_SU_EUlST_E_NS1_11comp_targetILNS1_3genE0ELNS1_11target_archE4294967295ELNS1_3gpuE0ELNS1_3repE0EEENS1_30default_config_static_selectorELNS0_4arch9wavefront6targetE0EEEvT1_ ; -- Begin function _ZN7rocprim17ROCPRIM_400000_NS6detail17trampoline_kernelINS0_14default_configENS1_20scan_config_selectorIN3c108BFloat16EEEZZNS1_9scan_implILNS1_25lookback_scan_determinismE0ELb0ELb0ES3_PKS6_PS6_S6_ZZZN2at6native31launch_logcumsumexp_cuda_kernelERKNSD_10TensorBaseESH_lENKUlvE_clEvENKUlvE4_clEvEUlS6_S6_E_S6_EEDaPvRmT3_T4_T5_mT6_P12ihipStream_tbENKUlT_T0_E_clISt17integral_constantIbLb0EESY_EEDaST_SU_EUlST_E_NS1_11comp_targetILNS1_3genE0ELNS1_11target_archE4294967295ELNS1_3gpuE0ELNS1_3repE0EEENS1_30default_config_static_selectorELNS0_4arch9wavefront6targetE0EEEvT1_
	.p2align	8
	.type	_ZN7rocprim17ROCPRIM_400000_NS6detail17trampoline_kernelINS0_14default_configENS1_20scan_config_selectorIN3c108BFloat16EEEZZNS1_9scan_implILNS1_25lookback_scan_determinismE0ELb0ELb0ES3_PKS6_PS6_S6_ZZZN2at6native31launch_logcumsumexp_cuda_kernelERKNSD_10TensorBaseESH_lENKUlvE_clEvENKUlvE4_clEvEUlS6_S6_E_S6_EEDaPvRmT3_T4_T5_mT6_P12ihipStream_tbENKUlT_T0_E_clISt17integral_constantIbLb0EESY_EEDaST_SU_EUlST_E_NS1_11comp_targetILNS1_3genE0ELNS1_11target_archE4294967295ELNS1_3gpuE0ELNS1_3repE0EEENS1_30default_config_static_selectorELNS0_4arch9wavefront6targetE0EEEvT1_,@function
_ZN7rocprim17ROCPRIM_400000_NS6detail17trampoline_kernelINS0_14default_configENS1_20scan_config_selectorIN3c108BFloat16EEEZZNS1_9scan_implILNS1_25lookback_scan_determinismE0ELb0ELb0ES3_PKS6_PS6_S6_ZZZN2at6native31launch_logcumsumexp_cuda_kernelERKNSD_10TensorBaseESH_lENKUlvE_clEvENKUlvE4_clEvEUlS6_S6_E_S6_EEDaPvRmT3_T4_T5_mT6_P12ihipStream_tbENKUlT_T0_E_clISt17integral_constantIbLb0EESY_EEDaST_SU_EUlST_E_NS1_11comp_targetILNS1_3genE0ELNS1_11target_archE4294967295ELNS1_3gpuE0ELNS1_3repE0EEENS1_30default_config_static_selectorELNS0_4arch9wavefront6targetE0EEEvT1_: ; @_ZN7rocprim17ROCPRIM_400000_NS6detail17trampoline_kernelINS0_14default_configENS1_20scan_config_selectorIN3c108BFloat16EEEZZNS1_9scan_implILNS1_25lookback_scan_determinismE0ELb0ELb0ES3_PKS6_PS6_S6_ZZZN2at6native31launch_logcumsumexp_cuda_kernelERKNSD_10TensorBaseESH_lENKUlvE_clEvENKUlvE4_clEvEUlS6_S6_E_S6_EEDaPvRmT3_T4_T5_mT6_P12ihipStream_tbENKUlT_T0_E_clISt17integral_constantIbLb0EESY_EEDaST_SU_EUlST_E_NS1_11comp_targetILNS1_3genE0ELNS1_11target_archE4294967295ELNS1_3gpuE0ELNS1_3repE0EEENS1_30default_config_static_selectorELNS0_4arch9wavefront6targetE0EEEvT1_
; %bb.0:
	.section	.rodata,"a",@progbits
	.p2align	6, 0x0
	.amdhsa_kernel _ZN7rocprim17ROCPRIM_400000_NS6detail17trampoline_kernelINS0_14default_configENS1_20scan_config_selectorIN3c108BFloat16EEEZZNS1_9scan_implILNS1_25lookback_scan_determinismE0ELb0ELb0ES3_PKS6_PS6_S6_ZZZN2at6native31launch_logcumsumexp_cuda_kernelERKNSD_10TensorBaseESH_lENKUlvE_clEvENKUlvE4_clEvEUlS6_S6_E_S6_EEDaPvRmT3_T4_T5_mT6_P12ihipStream_tbENKUlT_T0_E_clISt17integral_constantIbLb0EESY_EEDaST_SU_EUlST_E_NS1_11comp_targetILNS1_3genE0ELNS1_11target_archE4294967295ELNS1_3gpuE0ELNS1_3repE0EEENS1_30default_config_static_selectorELNS0_4arch9wavefront6targetE0EEEvT1_
		.amdhsa_group_segment_fixed_size 0
		.amdhsa_private_segment_fixed_size 0
		.amdhsa_kernarg_size 96
		.amdhsa_user_sgpr_count 15
		.amdhsa_user_sgpr_dispatch_ptr 0
		.amdhsa_user_sgpr_queue_ptr 0
		.amdhsa_user_sgpr_kernarg_segment_ptr 1
		.amdhsa_user_sgpr_dispatch_id 0
		.amdhsa_user_sgpr_private_segment_size 0
		.amdhsa_wavefront_size32 1
		.amdhsa_uses_dynamic_stack 0
		.amdhsa_enable_private_segment 0
		.amdhsa_system_sgpr_workgroup_id_x 1
		.amdhsa_system_sgpr_workgroup_id_y 0
		.amdhsa_system_sgpr_workgroup_id_z 0
		.amdhsa_system_sgpr_workgroup_info 0
		.amdhsa_system_vgpr_workitem_id 0
		.amdhsa_next_free_vgpr 1
		.amdhsa_next_free_sgpr 1
		.amdhsa_reserve_vcc 0
		.amdhsa_float_round_mode_32 0
		.amdhsa_float_round_mode_16_64 0
		.amdhsa_float_denorm_mode_32 3
		.amdhsa_float_denorm_mode_16_64 3
		.amdhsa_dx10_clamp 1
		.amdhsa_ieee_mode 1
		.amdhsa_fp16_overflow 0
		.amdhsa_workgroup_processor_mode 1
		.amdhsa_memory_ordered 1
		.amdhsa_forward_progress 0
		.amdhsa_shared_vgpr_count 0
		.amdhsa_exception_fp_ieee_invalid_op 0
		.amdhsa_exception_fp_denorm_src 0
		.amdhsa_exception_fp_ieee_div_zero 0
		.amdhsa_exception_fp_ieee_overflow 0
		.amdhsa_exception_fp_ieee_underflow 0
		.amdhsa_exception_fp_ieee_inexact 0
		.amdhsa_exception_int_div_zero 0
	.end_amdhsa_kernel
	.section	.text._ZN7rocprim17ROCPRIM_400000_NS6detail17trampoline_kernelINS0_14default_configENS1_20scan_config_selectorIN3c108BFloat16EEEZZNS1_9scan_implILNS1_25lookback_scan_determinismE0ELb0ELb0ES3_PKS6_PS6_S6_ZZZN2at6native31launch_logcumsumexp_cuda_kernelERKNSD_10TensorBaseESH_lENKUlvE_clEvENKUlvE4_clEvEUlS6_S6_E_S6_EEDaPvRmT3_T4_T5_mT6_P12ihipStream_tbENKUlT_T0_E_clISt17integral_constantIbLb0EESY_EEDaST_SU_EUlST_E_NS1_11comp_targetILNS1_3genE0ELNS1_11target_archE4294967295ELNS1_3gpuE0ELNS1_3repE0EEENS1_30default_config_static_selectorELNS0_4arch9wavefront6targetE0EEEvT1_,"axG",@progbits,_ZN7rocprim17ROCPRIM_400000_NS6detail17trampoline_kernelINS0_14default_configENS1_20scan_config_selectorIN3c108BFloat16EEEZZNS1_9scan_implILNS1_25lookback_scan_determinismE0ELb0ELb0ES3_PKS6_PS6_S6_ZZZN2at6native31launch_logcumsumexp_cuda_kernelERKNSD_10TensorBaseESH_lENKUlvE_clEvENKUlvE4_clEvEUlS6_S6_E_S6_EEDaPvRmT3_T4_T5_mT6_P12ihipStream_tbENKUlT_T0_E_clISt17integral_constantIbLb0EESY_EEDaST_SU_EUlST_E_NS1_11comp_targetILNS1_3genE0ELNS1_11target_archE4294967295ELNS1_3gpuE0ELNS1_3repE0EEENS1_30default_config_static_selectorELNS0_4arch9wavefront6targetE0EEEvT1_,comdat
.Lfunc_end446:
	.size	_ZN7rocprim17ROCPRIM_400000_NS6detail17trampoline_kernelINS0_14default_configENS1_20scan_config_selectorIN3c108BFloat16EEEZZNS1_9scan_implILNS1_25lookback_scan_determinismE0ELb0ELb0ES3_PKS6_PS6_S6_ZZZN2at6native31launch_logcumsumexp_cuda_kernelERKNSD_10TensorBaseESH_lENKUlvE_clEvENKUlvE4_clEvEUlS6_S6_E_S6_EEDaPvRmT3_T4_T5_mT6_P12ihipStream_tbENKUlT_T0_E_clISt17integral_constantIbLb0EESY_EEDaST_SU_EUlST_E_NS1_11comp_targetILNS1_3genE0ELNS1_11target_archE4294967295ELNS1_3gpuE0ELNS1_3repE0EEENS1_30default_config_static_selectorELNS0_4arch9wavefront6targetE0EEEvT1_, .Lfunc_end446-_ZN7rocprim17ROCPRIM_400000_NS6detail17trampoline_kernelINS0_14default_configENS1_20scan_config_selectorIN3c108BFloat16EEEZZNS1_9scan_implILNS1_25lookback_scan_determinismE0ELb0ELb0ES3_PKS6_PS6_S6_ZZZN2at6native31launch_logcumsumexp_cuda_kernelERKNSD_10TensorBaseESH_lENKUlvE_clEvENKUlvE4_clEvEUlS6_S6_E_S6_EEDaPvRmT3_T4_T5_mT6_P12ihipStream_tbENKUlT_T0_E_clISt17integral_constantIbLb0EESY_EEDaST_SU_EUlST_E_NS1_11comp_targetILNS1_3genE0ELNS1_11target_archE4294967295ELNS1_3gpuE0ELNS1_3repE0EEENS1_30default_config_static_selectorELNS0_4arch9wavefront6targetE0EEEvT1_
                                        ; -- End function
	.section	.AMDGPU.csdata,"",@progbits
; Kernel info:
; codeLenInByte = 0
; NumSgprs: 0
; NumVgprs: 0
; ScratchSize: 0
; MemoryBound: 0
; FloatMode: 240
; IeeeMode: 1
; LDSByteSize: 0 bytes/workgroup (compile time only)
; SGPRBlocks: 0
; VGPRBlocks: 0
; NumSGPRsForWavesPerEU: 1
; NumVGPRsForWavesPerEU: 1
; Occupancy: 16
; WaveLimiterHint : 0
; COMPUTE_PGM_RSRC2:SCRATCH_EN: 0
; COMPUTE_PGM_RSRC2:USER_SGPR: 15
; COMPUTE_PGM_RSRC2:TRAP_HANDLER: 0
; COMPUTE_PGM_RSRC2:TGID_X_EN: 1
; COMPUTE_PGM_RSRC2:TGID_Y_EN: 0
; COMPUTE_PGM_RSRC2:TGID_Z_EN: 0
; COMPUTE_PGM_RSRC2:TIDIG_COMP_CNT: 0
	.section	.text._ZN7rocprim17ROCPRIM_400000_NS6detail17trampoline_kernelINS0_14default_configENS1_20scan_config_selectorIN3c108BFloat16EEEZZNS1_9scan_implILNS1_25lookback_scan_determinismE0ELb0ELb0ES3_PKS6_PS6_S6_ZZZN2at6native31launch_logcumsumexp_cuda_kernelERKNSD_10TensorBaseESH_lENKUlvE_clEvENKUlvE4_clEvEUlS6_S6_E_S6_EEDaPvRmT3_T4_T5_mT6_P12ihipStream_tbENKUlT_T0_E_clISt17integral_constantIbLb0EESY_EEDaST_SU_EUlST_E_NS1_11comp_targetILNS1_3genE5ELNS1_11target_archE942ELNS1_3gpuE9ELNS1_3repE0EEENS1_30default_config_static_selectorELNS0_4arch9wavefront6targetE0EEEvT1_,"axG",@progbits,_ZN7rocprim17ROCPRIM_400000_NS6detail17trampoline_kernelINS0_14default_configENS1_20scan_config_selectorIN3c108BFloat16EEEZZNS1_9scan_implILNS1_25lookback_scan_determinismE0ELb0ELb0ES3_PKS6_PS6_S6_ZZZN2at6native31launch_logcumsumexp_cuda_kernelERKNSD_10TensorBaseESH_lENKUlvE_clEvENKUlvE4_clEvEUlS6_S6_E_S6_EEDaPvRmT3_T4_T5_mT6_P12ihipStream_tbENKUlT_T0_E_clISt17integral_constantIbLb0EESY_EEDaST_SU_EUlST_E_NS1_11comp_targetILNS1_3genE5ELNS1_11target_archE942ELNS1_3gpuE9ELNS1_3repE0EEENS1_30default_config_static_selectorELNS0_4arch9wavefront6targetE0EEEvT1_,comdat
	.globl	_ZN7rocprim17ROCPRIM_400000_NS6detail17trampoline_kernelINS0_14default_configENS1_20scan_config_selectorIN3c108BFloat16EEEZZNS1_9scan_implILNS1_25lookback_scan_determinismE0ELb0ELb0ES3_PKS6_PS6_S6_ZZZN2at6native31launch_logcumsumexp_cuda_kernelERKNSD_10TensorBaseESH_lENKUlvE_clEvENKUlvE4_clEvEUlS6_S6_E_S6_EEDaPvRmT3_T4_T5_mT6_P12ihipStream_tbENKUlT_T0_E_clISt17integral_constantIbLb0EESY_EEDaST_SU_EUlST_E_NS1_11comp_targetILNS1_3genE5ELNS1_11target_archE942ELNS1_3gpuE9ELNS1_3repE0EEENS1_30default_config_static_selectorELNS0_4arch9wavefront6targetE0EEEvT1_ ; -- Begin function _ZN7rocprim17ROCPRIM_400000_NS6detail17trampoline_kernelINS0_14default_configENS1_20scan_config_selectorIN3c108BFloat16EEEZZNS1_9scan_implILNS1_25lookback_scan_determinismE0ELb0ELb0ES3_PKS6_PS6_S6_ZZZN2at6native31launch_logcumsumexp_cuda_kernelERKNSD_10TensorBaseESH_lENKUlvE_clEvENKUlvE4_clEvEUlS6_S6_E_S6_EEDaPvRmT3_T4_T5_mT6_P12ihipStream_tbENKUlT_T0_E_clISt17integral_constantIbLb0EESY_EEDaST_SU_EUlST_E_NS1_11comp_targetILNS1_3genE5ELNS1_11target_archE942ELNS1_3gpuE9ELNS1_3repE0EEENS1_30default_config_static_selectorELNS0_4arch9wavefront6targetE0EEEvT1_
	.p2align	8
	.type	_ZN7rocprim17ROCPRIM_400000_NS6detail17trampoline_kernelINS0_14default_configENS1_20scan_config_selectorIN3c108BFloat16EEEZZNS1_9scan_implILNS1_25lookback_scan_determinismE0ELb0ELb0ES3_PKS6_PS6_S6_ZZZN2at6native31launch_logcumsumexp_cuda_kernelERKNSD_10TensorBaseESH_lENKUlvE_clEvENKUlvE4_clEvEUlS6_S6_E_S6_EEDaPvRmT3_T4_T5_mT6_P12ihipStream_tbENKUlT_T0_E_clISt17integral_constantIbLb0EESY_EEDaST_SU_EUlST_E_NS1_11comp_targetILNS1_3genE5ELNS1_11target_archE942ELNS1_3gpuE9ELNS1_3repE0EEENS1_30default_config_static_selectorELNS0_4arch9wavefront6targetE0EEEvT1_,@function
_ZN7rocprim17ROCPRIM_400000_NS6detail17trampoline_kernelINS0_14default_configENS1_20scan_config_selectorIN3c108BFloat16EEEZZNS1_9scan_implILNS1_25lookback_scan_determinismE0ELb0ELb0ES3_PKS6_PS6_S6_ZZZN2at6native31launch_logcumsumexp_cuda_kernelERKNSD_10TensorBaseESH_lENKUlvE_clEvENKUlvE4_clEvEUlS6_S6_E_S6_EEDaPvRmT3_T4_T5_mT6_P12ihipStream_tbENKUlT_T0_E_clISt17integral_constantIbLb0EESY_EEDaST_SU_EUlST_E_NS1_11comp_targetILNS1_3genE5ELNS1_11target_archE942ELNS1_3gpuE9ELNS1_3repE0EEENS1_30default_config_static_selectorELNS0_4arch9wavefront6targetE0EEEvT1_: ; @_ZN7rocprim17ROCPRIM_400000_NS6detail17trampoline_kernelINS0_14default_configENS1_20scan_config_selectorIN3c108BFloat16EEEZZNS1_9scan_implILNS1_25lookback_scan_determinismE0ELb0ELb0ES3_PKS6_PS6_S6_ZZZN2at6native31launch_logcumsumexp_cuda_kernelERKNSD_10TensorBaseESH_lENKUlvE_clEvENKUlvE4_clEvEUlS6_S6_E_S6_EEDaPvRmT3_T4_T5_mT6_P12ihipStream_tbENKUlT_T0_E_clISt17integral_constantIbLb0EESY_EEDaST_SU_EUlST_E_NS1_11comp_targetILNS1_3genE5ELNS1_11target_archE942ELNS1_3gpuE9ELNS1_3repE0EEENS1_30default_config_static_selectorELNS0_4arch9wavefront6targetE0EEEvT1_
; %bb.0:
	.section	.rodata,"a",@progbits
	.p2align	6, 0x0
	.amdhsa_kernel _ZN7rocprim17ROCPRIM_400000_NS6detail17trampoline_kernelINS0_14default_configENS1_20scan_config_selectorIN3c108BFloat16EEEZZNS1_9scan_implILNS1_25lookback_scan_determinismE0ELb0ELb0ES3_PKS6_PS6_S6_ZZZN2at6native31launch_logcumsumexp_cuda_kernelERKNSD_10TensorBaseESH_lENKUlvE_clEvENKUlvE4_clEvEUlS6_S6_E_S6_EEDaPvRmT3_T4_T5_mT6_P12ihipStream_tbENKUlT_T0_E_clISt17integral_constantIbLb0EESY_EEDaST_SU_EUlST_E_NS1_11comp_targetILNS1_3genE5ELNS1_11target_archE942ELNS1_3gpuE9ELNS1_3repE0EEENS1_30default_config_static_selectorELNS0_4arch9wavefront6targetE0EEEvT1_
		.amdhsa_group_segment_fixed_size 0
		.amdhsa_private_segment_fixed_size 0
		.amdhsa_kernarg_size 96
		.amdhsa_user_sgpr_count 15
		.amdhsa_user_sgpr_dispatch_ptr 0
		.amdhsa_user_sgpr_queue_ptr 0
		.amdhsa_user_sgpr_kernarg_segment_ptr 1
		.amdhsa_user_sgpr_dispatch_id 0
		.amdhsa_user_sgpr_private_segment_size 0
		.amdhsa_wavefront_size32 1
		.amdhsa_uses_dynamic_stack 0
		.amdhsa_enable_private_segment 0
		.amdhsa_system_sgpr_workgroup_id_x 1
		.amdhsa_system_sgpr_workgroup_id_y 0
		.amdhsa_system_sgpr_workgroup_id_z 0
		.amdhsa_system_sgpr_workgroup_info 0
		.amdhsa_system_vgpr_workitem_id 0
		.amdhsa_next_free_vgpr 1
		.amdhsa_next_free_sgpr 1
		.amdhsa_reserve_vcc 0
		.amdhsa_float_round_mode_32 0
		.amdhsa_float_round_mode_16_64 0
		.amdhsa_float_denorm_mode_32 3
		.amdhsa_float_denorm_mode_16_64 3
		.amdhsa_dx10_clamp 1
		.amdhsa_ieee_mode 1
		.amdhsa_fp16_overflow 0
		.amdhsa_workgroup_processor_mode 1
		.amdhsa_memory_ordered 1
		.amdhsa_forward_progress 0
		.amdhsa_shared_vgpr_count 0
		.amdhsa_exception_fp_ieee_invalid_op 0
		.amdhsa_exception_fp_denorm_src 0
		.amdhsa_exception_fp_ieee_div_zero 0
		.amdhsa_exception_fp_ieee_overflow 0
		.amdhsa_exception_fp_ieee_underflow 0
		.amdhsa_exception_fp_ieee_inexact 0
		.amdhsa_exception_int_div_zero 0
	.end_amdhsa_kernel
	.section	.text._ZN7rocprim17ROCPRIM_400000_NS6detail17trampoline_kernelINS0_14default_configENS1_20scan_config_selectorIN3c108BFloat16EEEZZNS1_9scan_implILNS1_25lookback_scan_determinismE0ELb0ELb0ES3_PKS6_PS6_S6_ZZZN2at6native31launch_logcumsumexp_cuda_kernelERKNSD_10TensorBaseESH_lENKUlvE_clEvENKUlvE4_clEvEUlS6_S6_E_S6_EEDaPvRmT3_T4_T5_mT6_P12ihipStream_tbENKUlT_T0_E_clISt17integral_constantIbLb0EESY_EEDaST_SU_EUlST_E_NS1_11comp_targetILNS1_3genE5ELNS1_11target_archE942ELNS1_3gpuE9ELNS1_3repE0EEENS1_30default_config_static_selectorELNS0_4arch9wavefront6targetE0EEEvT1_,"axG",@progbits,_ZN7rocprim17ROCPRIM_400000_NS6detail17trampoline_kernelINS0_14default_configENS1_20scan_config_selectorIN3c108BFloat16EEEZZNS1_9scan_implILNS1_25lookback_scan_determinismE0ELb0ELb0ES3_PKS6_PS6_S6_ZZZN2at6native31launch_logcumsumexp_cuda_kernelERKNSD_10TensorBaseESH_lENKUlvE_clEvENKUlvE4_clEvEUlS6_S6_E_S6_EEDaPvRmT3_T4_T5_mT6_P12ihipStream_tbENKUlT_T0_E_clISt17integral_constantIbLb0EESY_EEDaST_SU_EUlST_E_NS1_11comp_targetILNS1_3genE5ELNS1_11target_archE942ELNS1_3gpuE9ELNS1_3repE0EEENS1_30default_config_static_selectorELNS0_4arch9wavefront6targetE0EEEvT1_,comdat
.Lfunc_end447:
	.size	_ZN7rocprim17ROCPRIM_400000_NS6detail17trampoline_kernelINS0_14default_configENS1_20scan_config_selectorIN3c108BFloat16EEEZZNS1_9scan_implILNS1_25lookback_scan_determinismE0ELb0ELb0ES3_PKS6_PS6_S6_ZZZN2at6native31launch_logcumsumexp_cuda_kernelERKNSD_10TensorBaseESH_lENKUlvE_clEvENKUlvE4_clEvEUlS6_S6_E_S6_EEDaPvRmT3_T4_T5_mT6_P12ihipStream_tbENKUlT_T0_E_clISt17integral_constantIbLb0EESY_EEDaST_SU_EUlST_E_NS1_11comp_targetILNS1_3genE5ELNS1_11target_archE942ELNS1_3gpuE9ELNS1_3repE0EEENS1_30default_config_static_selectorELNS0_4arch9wavefront6targetE0EEEvT1_, .Lfunc_end447-_ZN7rocprim17ROCPRIM_400000_NS6detail17trampoline_kernelINS0_14default_configENS1_20scan_config_selectorIN3c108BFloat16EEEZZNS1_9scan_implILNS1_25lookback_scan_determinismE0ELb0ELb0ES3_PKS6_PS6_S6_ZZZN2at6native31launch_logcumsumexp_cuda_kernelERKNSD_10TensorBaseESH_lENKUlvE_clEvENKUlvE4_clEvEUlS6_S6_E_S6_EEDaPvRmT3_T4_T5_mT6_P12ihipStream_tbENKUlT_T0_E_clISt17integral_constantIbLb0EESY_EEDaST_SU_EUlST_E_NS1_11comp_targetILNS1_3genE5ELNS1_11target_archE942ELNS1_3gpuE9ELNS1_3repE0EEENS1_30default_config_static_selectorELNS0_4arch9wavefront6targetE0EEEvT1_
                                        ; -- End function
	.section	.AMDGPU.csdata,"",@progbits
; Kernel info:
; codeLenInByte = 0
; NumSgprs: 0
; NumVgprs: 0
; ScratchSize: 0
; MemoryBound: 0
; FloatMode: 240
; IeeeMode: 1
; LDSByteSize: 0 bytes/workgroup (compile time only)
; SGPRBlocks: 0
; VGPRBlocks: 0
; NumSGPRsForWavesPerEU: 1
; NumVGPRsForWavesPerEU: 1
; Occupancy: 16
; WaveLimiterHint : 0
; COMPUTE_PGM_RSRC2:SCRATCH_EN: 0
; COMPUTE_PGM_RSRC2:USER_SGPR: 15
; COMPUTE_PGM_RSRC2:TRAP_HANDLER: 0
; COMPUTE_PGM_RSRC2:TGID_X_EN: 1
; COMPUTE_PGM_RSRC2:TGID_Y_EN: 0
; COMPUTE_PGM_RSRC2:TGID_Z_EN: 0
; COMPUTE_PGM_RSRC2:TIDIG_COMP_CNT: 0
	.section	.text._ZN7rocprim17ROCPRIM_400000_NS6detail17trampoline_kernelINS0_14default_configENS1_20scan_config_selectorIN3c108BFloat16EEEZZNS1_9scan_implILNS1_25lookback_scan_determinismE0ELb0ELb0ES3_PKS6_PS6_S6_ZZZN2at6native31launch_logcumsumexp_cuda_kernelERKNSD_10TensorBaseESH_lENKUlvE_clEvENKUlvE4_clEvEUlS6_S6_E_S6_EEDaPvRmT3_T4_T5_mT6_P12ihipStream_tbENKUlT_T0_E_clISt17integral_constantIbLb0EESY_EEDaST_SU_EUlST_E_NS1_11comp_targetILNS1_3genE4ELNS1_11target_archE910ELNS1_3gpuE8ELNS1_3repE0EEENS1_30default_config_static_selectorELNS0_4arch9wavefront6targetE0EEEvT1_,"axG",@progbits,_ZN7rocprim17ROCPRIM_400000_NS6detail17trampoline_kernelINS0_14default_configENS1_20scan_config_selectorIN3c108BFloat16EEEZZNS1_9scan_implILNS1_25lookback_scan_determinismE0ELb0ELb0ES3_PKS6_PS6_S6_ZZZN2at6native31launch_logcumsumexp_cuda_kernelERKNSD_10TensorBaseESH_lENKUlvE_clEvENKUlvE4_clEvEUlS6_S6_E_S6_EEDaPvRmT3_T4_T5_mT6_P12ihipStream_tbENKUlT_T0_E_clISt17integral_constantIbLb0EESY_EEDaST_SU_EUlST_E_NS1_11comp_targetILNS1_3genE4ELNS1_11target_archE910ELNS1_3gpuE8ELNS1_3repE0EEENS1_30default_config_static_selectorELNS0_4arch9wavefront6targetE0EEEvT1_,comdat
	.globl	_ZN7rocprim17ROCPRIM_400000_NS6detail17trampoline_kernelINS0_14default_configENS1_20scan_config_selectorIN3c108BFloat16EEEZZNS1_9scan_implILNS1_25lookback_scan_determinismE0ELb0ELb0ES3_PKS6_PS6_S6_ZZZN2at6native31launch_logcumsumexp_cuda_kernelERKNSD_10TensorBaseESH_lENKUlvE_clEvENKUlvE4_clEvEUlS6_S6_E_S6_EEDaPvRmT3_T4_T5_mT6_P12ihipStream_tbENKUlT_T0_E_clISt17integral_constantIbLb0EESY_EEDaST_SU_EUlST_E_NS1_11comp_targetILNS1_3genE4ELNS1_11target_archE910ELNS1_3gpuE8ELNS1_3repE0EEENS1_30default_config_static_selectorELNS0_4arch9wavefront6targetE0EEEvT1_ ; -- Begin function _ZN7rocprim17ROCPRIM_400000_NS6detail17trampoline_kernelINS0_14default_configENS1_20scan_config_selectorIN3c108BFloat16EEEZZNS1_9scan_implILNS1_25lookback_scan_determinismE0ELb0ELb0ES3_PKS6_PS6_S6_ZZZN2at6native31launch_logcumsumexp_cuda_kernelERKNSD_10TensorBaseESH_lENKUlvE_clEvENKUlvE4_clEvEUlS6_S6_E_S6_EEDaPvRmT3_T4_T5_mT6_P12ihipStream_tbENKUlT_T0_E_clISt17integral_constantIbLb0EESY_EEDaST_SU_EUlST_E_NS1_11comp_targetILNS1_3genE4ELNS1_11target_archE910ELNS1_3gpuE8ELNS1_3repE0EEENS1_30default_config_static_selectorELNS0_4arch9wavefront6targetE0EEEvT1_
	.p2align	8
	.type	_ZN7rocprim17ROCPRIM_400000_NS6detail17trampoline_kernelINS0_14default_configENS1_20scan_config_selectorIN3c108BFloat16EEEZZNS1_9scan_implILNS1_25lookback_scan_determinismE0ELb0ELb0ES3_PKS6_PS6_S6_ZZZN2at6native31launch_logcumsumexp_cuda_kernelERKNSD_10TensorBaseESH_lENKUlvE_clEvENKUlvE4_clEvEUlS6_S6_E_S6_EEDaPvRmT3_T4_T5_mT6_P12ihipStream_tbENKUlT_T0_E_clISt17integral_constantIbLb0EESY_EEDaST_SU_EUlST_E_NS1_11comp_targetILNS1_3genE4ELNS1_11target_archE910ELNS1_3gpuE8ELNS1_3repE0EEENS1_30default_config_static_selectorELNS0_4arch9wavefront6targetE0EEEvT1_,@function
_ZN7rocprim17ROCPRIM_400000_NS6detail17trampoline_kernelINS0_14default_configENS1_20scan_config_selectorIN3c108BFloat16EEEZZNS1_9scan_implILNS1_25lookback_scan_determinismE0ELb0ELb0ES3_PKS6_PS6_S6_ZZZN2at6native31launch_logcumsumexp_cuda_kernelERKNSD_10TensorBaseESH_lENKUlvE_clEvENKUlvE4_clEvEUlS6_S6_E_S6_EEDaPvRmT3_T4_T5_mT6_P12ihipStream_tbENKUlT_T0_E_clISt17integral_constantIbLb0EESY_EEDaST_SU_EUlST_E_NS1_11comp_targetILNS1_3genE4ELNS1_11target_archE910ELNS1_3gpuE8ELNS1_3repE0EEENS1_30default_config_static_selectorELNS0_4arch9wavefront6targetE0EEEvT1_: ; @_ZN7rocprim17ROCPRIM_400000_NS6detail17trampoline_kernelINS0_14default_configENS1_20scan_config_selectorIN3c108BFloat16EEEZZNS1_9scan_implILNS1_25lookback_scan_determinismE0ELb0ELb0ES3_PKS6_PS6_S6_ZZZN2at6native31launch_logcumsumexp_cuda_kernelERKNSD_10TensorBaseESH_lENKUlvE_clEvENKUlvE4_clEvEUlS6_S6_E_S6_EEDaPvRmT3_T4_T5_mT6_P12ihipStream_tbENKUlT_T0_E_clISt17integral_constantIbLb0EESY_EEDaST_SU_EUlST_E_NS1_11comp_targetILNS1_3genE4ELNS1_11target_archE910ELNS1_3gpuE8ELNS1_3repE0EEENS1_30default_config_static_selectorELNS0_4arch9wavefront6targetE0EEEvT1_
; %bb.0:
	.section	.rodata,"a",@progbits
	.p2align	6, 0x0
	.amdhsa_kernel _ZN7rocprim17ROCPRIM_400000_NS6detail17trampoline_kernelINS0_14default_configENS1_20scan_config_selectorIN3c108BFloat16EEEZZNS1_9scan_implILNS1_25lookback_scan_determinismE0ELb0ELb0ES3_PKS6_PS6_S6_ZZZN2at6native31launch_logcumsumexp_cuda_kernelERKNSD_10TensorBaseESH_lENKUlvE_clEvENKUlvE4_clEvEUlS6_S6_E_S6_EEDaPvRmT3_T4_T5_mT6_P12ihipStream_tbENKUlT_T0_E_clISt17integral_constantIbLb0EESY_EEDaST_SU_EUlST_E_NS1_11comp_targetILNS1_3genE4ELNS1_11target_archE910ELNS1_3gpuE8ELNS1_3repE0EEENS1_30default_config_static_selectorELNS0_4arch9wavefront6targetE0EEEvT1_
		.amdhsa_group_segment_fixed_size 0
		.amdhsa_private_segment_fixed_size 0
		.amdhsa_kernarg_size 96
		.amdhsa_user_sgpr_count 15
		.amdhsa_user_sgpr_dispatch_ptr 0
		.amdhsa_user_sgpr_queue_ptr 0
		.amdhsa_user_sgpr_kernarg_segment_ptr 1
		.amdhsa_user_sgpr_dispatch_id 0
		.amdhsa_user_sgpr_private_segment_size 0
		.amdhsa_wavefront_size32 1
		.amdhsa_uses_dynamic_stack 0
		.amdhsa_enable_private_segment 0
		.amdhsa_system_sgpr_workgroup_id_x 1
		.amdhsa_system_sgpr_workgroup_id_y 0
		.amdhsa_system_sgpr_workgroup_id_z 0
		.amdhsa_system_sgpr_workgroup_info 0
		.amdhsa_system_vgpr_workitem_id 0
		.amdhsa_next_free_vgpr 1
		.amdhsa_next_free_sgpr 1
		.amdhsa_reserve_vcc 0
		.amdhsa_float_round_mode_32 0
		.amdhsa_float_round_mode_16_64 0
		.amdhsa_float_denorm_mode_32 3
		.amdhsa_float_denorm_mode_16_64 3
		.amdhsa_dx10_clamp 1
		.amdhsa_ieee_mode 1
		.amdhsa_fp16_overflow 0
		.amdhsa_workgroup_processor_mode 1
		.amdhsa_memory_ordered 1
		.amdhsa_forward_progress 0
		.amdhsa_shared_vgpr_count 0
		.amdhsa_exception_fp_ieee_invalid_op 0
		.amdhsa_exception_fp_denorm_src 0
		.amdhsa_exception_fp_ieee_div_zero 0
		.amdhsa_exception_fp_ieee_overflow 0
		.amdhsa_exception_fp_ieee_underflow 0
		.amdhsa_exception_fp_ieee_inexact 0
		.amdhsa_exception_int_div_zero 0
	.end_amdhsa_kernel
	.section	.text._ZN7rocprim17ROCPRIM_400000_NS6detail17trampoline_kernelINS0_14default_configENS1_20scan_config_selectorIN3c108BFloat16EEEZZNS1_9scan_implILNS1_25lookback_scan_determinismE0ELb0ELb0ES3_PKS6_PS6_S6_ZZZN2at6native31launch_logcumsumexp_cuda_kernelERKNSD_10TensorBaseESH_lENKUlvE_clEvENKUlvE4_clEvEUlS6_S6_E_S6_EEDaPvRmT3_T4_T5_mT6_P12ihipStream_tbENKUlT_T0_E_clISt17integral_constantIbLb0EESY_EEDaST_SU_EUlST_E_NS1_11comp_targetILNS1_3genE4ELNS1_11target_archE910ELNS1_3gpuE8ELNS1_3repE0EEENS1_30default_config_static_selectorELNS0_4arch9wavefront6targetE0EEEvT1_,"axG",@progbits,_ZN7rocprim17ROCPRIM_400000_NS6detail17trampoline_kernelINS0_14default_configENS1_20scan_config_selectorIN3c108BFloat16EEEZZNS1_9scan_implILNS1_25lookback_scan_determinismE0ELb0ELb0ES3_PKS6_PS6_S6_ZZZN2at6native31launch_logcumsumexp_cuda_kernelERKNSD_10TensorBaseESH_lENKUlvE_clEvENKUlvE4_clEvEUlS6_S6_E_S6_EEDaPvRmT3_T4_T5_mT6_P12ihipStream_tbENKUlT_T0_E_clISt17integral_constantIbLb0EESY_EEDaST_SU_EUlST_E_NS1_11comp_targetILNS1_3genE4ELNS1_11target_archE910ELNS1_3gpuE8ELNS1_3repE0EEENS1_30default_config_static_selectorELNS0_4arch9wavefront6targetE0EEEvT1_,comdat
.Lfunc_end448:
	.size	_ZN7rocprim17ROCPRIM_400000_NS6detail17trampoline_kernelINS0_14default_configENS1_20scan_config_selectorIN3c108BFloat16EEEZZNS1_9scan_implILNS1_25lookback_scan_determinismE0ELb0ELb0ES3_PKS6_PS6_S6_ZZZN2at6native31launch_logcumsumexp_cuda_kernelERKNSD_10TensorBaseESH_lENKUlvE_clEvENKUlvE4_clEvEUlS6_S6_E_S6_EEDaPvRmT3_T4_T5_mT6_P12ihipStream_tbENKUlT_T0_E_clISt17integral_constantIbLb0EESY_EEDaST_SU_EUlST_E_NS1_11comp_targetILNS1_3genE4ELNS1_11target_archE910ELNS1_3gpuE8ELNS1_3repE0EEENS1_30default_config_static_selectorELNS0_4arch9wavefront6targetE0EEEvT1_, .Lfunc_end448-_ZN7rocprim17ROCPRIM_400000_NS6detail17trampoline_kernelINS0_14default_configENS1_20scan_config_selectorIN3c108BFloat16EEEZZNS1_9scan_implILNS1_25lookback_scan_determinismE0ELb0ELb0ES3_PKS6_PS6_S6_ZZZN2at6native31launch_logcumsumexp_cuda_kernelERKNSD_10TensorBaseESH_lENKUlvE_clEvENKUlvE4_clEvEUlS6_S6_E_S6_EEDaPvRmT3_T4_T5_mT6_P12ihipStream_tbENKUlT_T0_E_clISt17integral_constantIbLb0EESY_EEDaST_SU_EUlST_E_NS1_11comp_targetILNS1_3genE4ELNS1_11target_archE910ELNS1_3gpuE8ELNS1_3repE0EEENS1_30default_config_static_selectorELNS0_4arch9wavefront6targetE0EEEvT1_
                                        ; -- End function
	.section	.AMDGPU.csdata,"",@progbits
; Kernel info:
; codeLenInByte = 0
; NumSgprs: 0
; NumVgprs: 0
; ScratchSize: 0
; MemoryBound: 0
; FloatMode: 240
; IeeeMode: 1
; LDSByteSize: 0 bytes/workgroup (compile time only)
; SGPRBlocks: 0
; VGPRBlocks: 0
; NumSGPRsForWavesPerEU: 1
; NumVGPRsForWavesPerEU: 1
; Occupancy: 16
; WaveLimiterHint : 0
; COMPUTE_PGM_RSRC2:SCRATCH_EN: 0
; COMPUTE_PGM_RSRC2:USER_SGPR: 15
; COMPUTE_PGM_RSRC2:TRAP_HANDLER: 0
; COMPUTE_PGM_RSRC2:TGID_X_EN: 1
; COMPUTE_PGM_RSRC2:TGID_Y_EN: 0
; COMPUTE_PGM_RSRC2:TGID_Z_EN: 0
; COMPUTE_PGM_RSRC2:TIDIG_COMP_CNT: 0
	.section	.text._ZN7rocprim17ROCPRIM_400000_NS6detail17trampoline_kernelINS0_14default_configENS1_20scan_config_selectorIN3c108BFloat16EEEZZNS1_9scan_implILNS1_25lookback_scan_determinismE0ELb0ELb0ES3_PKS6_PS6_S6_ZZZN2at6native31launch_logcumsumexp_cuda_kernelERKNSD_10TensorBaseESH_lENKUlvE_clEvENKUlvE4_clEvEUlS6_S6_E_S6_EEDaPvRmT3_T4_T5_mT6_P12ihipStream_tbENKUlT_T0_E_clISt17integral_constantIbLb0EESY_EEDaST_SU_EUlST_E_NS1_11comp_targetILNS1_3genE3ELNS1_11target_archE908ELNS1_3gpuE7ELNS1_3repE0EEENS1_30default_config_static_selectorELNS0_4arch9wavefront6targetE0EEEvT1_,"axG",@progbits,_ZN7rocprim17ROCPRIM_400000_NS6detail17trampoline_kernelINS0_14default_configENS1_20scan_config_selectorIN3c108BFloat16EEEZZNS1_9scan_implILNS1_25lookback_scan_determinismE0ELb0ELb0ES3_PKS6_PS6_S6_ZZZN2at6native31launch_logcumsumexp_cuda_kernelERKNSD_10TensorBaseESH_lENKUlvE_clEvENKUlvE4_clEvEUlS6_S6_E_S6_EEDaPvRmT3_T4_T5_mT6_P12ihipStream_tbENKUlT_T0_E_clISt17integral_constantIbLb0EESY_EEDaST_SU_EUlST_E_NS1_11comp_targetILNS1_3genE3ELNS1_11target_archE908ELNS1_3gpuE7ELNS1_3repE0EEENS1_30default_config_static_selectorELNS0_4arch9wavefront6targetE0EEEvT1_,comdat
	.globl	_ZN7rocprim17ROCPRIM_400000_NS6detail17trampoline_kernelINS0_14default_configENS1_20scan_config_selectorIN3c108BFloat16EEEZZNS1_9scan_implILNS1_25lookback_scan_determinismE0ELb0ELb0ES3_PKS6_PS6_S6_ZZZN2at6native31launch_logcumsumexp_cuda_kernelERKNSD_10TensorBaseESH_lENKUlvE_clEvENKUlvE4_clEvEUlS6_S6_E_S6_EEDaPvRmT3_T4_T5_mT6_P12ihipStream_tbENKUlT_T0_E_clISt17integral_constantIbLb0EESY_EEDaST_SU_EUlST_E_NS1_11comp_targetILNS1_3genE3ELNS1_11target_archE908ELNS1_3gpuE7ELNS1_3repE0EEENS1_30default_config_static_selectorELNS0_4arch9wavefront6targetE0EEEvT1_ ; -- Begin function _ZN7rocprim17ROCPRIM_400000_NS6detail17trampoline_kernelINS0_14default_configENS1_20scan_config_selectorIN3c108BFloat16EEEZZNS1_9scan_implILNS1_25lookback_scan_determinismE0ELb0ELb0ES3_PKS6_PS6_S6_ZZZN2at6native31launch_logcumsumexp_cuda_kernelERKNSD_10TensorBaseESH_lENKUlvE_clEvENKUlvE4_clEvEUlS6_S6_E_S6_EEDaPvRmT3_T4_T5_mT6_P12ihipStream_tbENKUlT_T0_E_clISt17integral_constantIbLb0EESY_EEDaST_SU_EUlST_E_NS1_11comp_targetILNS1_3genE3ELNS1_11target_archE908ELNS1_3gpuE7ELNS1_3repE0EEENS1_30default_config_static_selectorELNS0_4arch9wavefront6targetE0EEEvT1_
	.p2align	8
	.type	_ZN7rocprim17ROCPRIM_400000_NS6detail17trampoline_kernelINS0_14default_configENS1_20scan_config_selectorIN3c108BFloat16EEEZZNS1_9scan_implILNS1_25lookback_scan_determinismE0ELb0ELb0ES3_PKS6_PS6_S6_ZZZN2at6native31launch_logcumsumexp_cuda_kernelERKNSD_10TensorBaseESH_lENKUlvE_clEvENKUlvE4_clEvEUlS6_S6_E_S6_EEDaPvRmT3_T4_T5_mT6_P12ihipStream_tbENKUlT_T0_E_clISt17integral_constantIbLb0EESY_EEDaST_SU_EUlST_E_NS1_11comp_targetILNS1_3genE3ELNS1_11target_archE908ELNS1_3gpuE7ELNS1_3repE0EEENS1_30default_config_static_selectorELNS0_4arch9wavefront6targetE0EEEvT1_,@function
_ZN7rocprim17ROCPRIM_400000_NS6detail17trampoline_kernelINS0_14default_configENS1_20scan_config_selectorIN3c108BFloat16EEEZZNS1_9scan_implILNS1_25lookback_scan_determinismE0ELb0ELb0ES3_PKS6_PS6_S6_ZZZN2at6native31launch_logcumsumexp_cuda_kernelERKNSD_10TensorBaseESH_lENKUlvE_clEvENKUlvE4_clEvEUlS6_S6_E_S6_EEDaPvRmT3_T4_T5_mT6_P12ihipStream_tbENKUlT_T0_E_clISt17integral_constantIbLb0EESY_EEDaST_SU_EUlST_E_NS1_11comp_targetILNS1_3genE3ELNS1_11target_archE908ELNS1_3gpuE7ELNS1_3repE0EEENS1_30default_config_static_selectorELNS0_4arch9wavefront6targetE0EEEvT1_: ; @_ZN7rocprim17ROCPRIM_400000_NS6detail17trampoline_kernelINS0_14default_configENS1_20scan_config_selectorIN3c108BFloat16EEEZZNS1_9scan_implILNS1_25lookback_scan_determinismE0ELb0ELb0ES3_PKS6_PS6_S6_ZZZN2at6native31launch_logcumsumexp_cuda_kernelERKNSD_10TensorBaseESH_lENKUlvE_clEvENKUlvE4_clEvEUlS6_S6_E_S6_EEDaPvRmT3_T4_T5_mT6_P12ihipStream_tbENKUlT_T0_E_clISt17integral_constantIbLb0EESY_EEDaST_SU_EUlST_E_NS1_11comp_targetILNS1_3genE3ELNS1_11target_archE908ELNS1_3gpuE7ELNS1_3repE0EEENS1_30default_config_static_selectorELNS0_4arch9wavefront6targetE0EEEvT1_
; %bb.0:
	.section	.rodata,"a",@progbits
	.p2align	6, 0x0
	.amdhsa_kernel _ZN7rocprim17ROCPRIM_400000_NS6detail17trampoline_kernelINS0_14default_configENS1_20scan_config_selectorIN3c108BFloat16EEEZZNS1_9scan_implILNS1_25lookback_scan_determinismE0ELb0ELb0ES3_PKS6_PS6_S6_ZZZN2at6native31launch_logcumsumexp_cuda_kernelERKNSD_10TensorBaseESH_lENKUlvE_clEvENKUlvE4_clEvEUlS6_S6_E_S6_EEDaPvRmT3_T4_T5_mT6_P12ihipStream_tbENKUlT_T0_E_clISt17integral_constantIbLb0EESY_EEDaST_SU_EUlST_E_NS1_11comp_targetILNS1_3genE3ELNS1_11target_archE908ELNS1_3gpuE7ELNS1_3repE0EEENS1_30default_config_static_selectorELNS0_4arch9wavefront6targetE0EEEvT1_
		.amdhsa_group_segment_fixed_size 0
		.amdhsa_private_segment_fixed_size 0
		.amdhsa_kernarg_size 96
		.amdhsa_user_sgpr_count 15
		.amdhsa_user_sgpr_dispatch_ptr 0
		.amdhsa_user_sgpr_queue_ptr 0
		.amdhsa_user_sgpr_kernarg_segment_ptr 1
		.amdhsa_user_sgpr_dispatch_id 0
		.amdhsa_user_sgpr_private_segment_size 0
		.amdhsa_wavefront_size32 1
		.amdhsa_uses_dynamic_stack 0
		.amdhsa_enable_private_segment 0
		.amdhsa_system_sgpr_workgroup_id_x 1
		.amdhsa_system_sgpr_workgroup_id_y 0
		.amdhsa_system_sgpr_workgroup_id_z 0
		.amdhsa_system_sgpr_workgroup_info 0
		.amdhsa_system_vgpr_workitem_id 0
		.amdhsa_next_free_vgpr 1
		.amdhsa_next_free_sgpr 1
		.amdhsa_reserve_vcc 0
		.amdhsa_float_round_mode_32 0
		.amdhsa_float_round_mode_16_64 0
		.amdhsa_float_denorm_mode_32 3
		.amdhsa_float_denorm_mode_16_64 3
		.amdhsa_dx10_clamp 1
		.amdhsa_ieee_mode 1
		.amdhsa_fp16_overflow 0
		.amdhsa_workgroup_processor_mode 1
		.amdhsa_memory_ordered 1
		.amdhsa_forward_progress 0
		.amdhsa_shared_vgpr_count 0
		.amdhsa_exception_fp_ieee_invalid_op 0
		.amdhsa_exception_fp_denorm_src 0
		.amdhsa_exception_fp_ieee_div_zero 0
		.amdhsa_exception_fp_ieee_overflow 0
		.amdhsa_exception_fp_ieee_underflow 0
		.amdhsa_exception_fp_ieee_inexact 0
		.amdhsa_exception_int_div_zero 0
	.end_amdhsa_kernel
	.section	.text._ZN7rocprim17ROCPRIM_400000_NS6detail17trampoline_kernelINS0_14default_configENS1_20scan_config_selectorIN3c108BFloat16EEEZZNS1_9scan_implILNS1_25lookback_scan_determinismE0ELb0ELb0ES3_PKS6_PS6_S6_ZZZN2at6native31launch_logcumsumexp_cuda_kernelERKNSD_10TensorBaseESH_lENKUlvE_clEvENKUlvE4_clEvEUlS6_S6_E_S6_EEDaPvRmT3_T4_T5_mT6_P12ihipStream_tbENKUlT_T0_E_clISt17integral_constantIbLb0EESY_EEDaST_SU_EUlST_E_NS1_11comp_targetILNS1_3genE3ELNS1_11target_archE908ELNS1_3gpuE7ELNS1_3repE0EEENS1_30default_config_static_selectorELNS0_4arch9wavefront6targetE0EEEvT1_,"axG",@progbits,_ZN7rocprim17ROCPRIM_400000_NS6detail17trampoline_kernelINS0_14default_configENS1_20scan_config_selectorIN3c108BFloat16EEEZZNS1_9scan_implILNS1_25lookback_scan_determinismE0ELb0ELb0ES3_PKS6_PS6_S6_ZZZN2at6native31launch_logcumsumexp_cuda_kernelERKNSD_10TensorBaseESH_lENKUlvE_clEvENKUlvE4_clEvEUlS6_S6_E_S6_EEDaPvRmT3_T4_T5_mT6_P12ihipStream_tbENKUlT_T0_E_clISt17integral_constantIbLb0EESY_EEDaST_SU_EUlST_E_NS1_11comp_targetILNS1_3genE3ELNS1_11target_archE908ELNS1_3gpuE7ELNS1_3repE0EEENS1_30default_config_static_selectorELNS0_4arch9wavefront6targetE0EEEvT1_,comdat
.Lfunc_end449:
	.size	_ZN7rocprim17ROCPRIM_400000_NS6detail17trampoline_kernelINS0_14default_configENS1_20scan_config_selectorIN3c108BFloat16EEEZZNS1_9scan_implILNS1_25lookback_scan_determinismE0ELb0ELb0ES3_PKS6_PS6_S6_ZZZN2at6native31launch_logcumsumexp_cuda_kernelERKNSD_10TensorBaseESH_lENKUlvE_clEvENKUlvE4_clEvEUlS6_S6_E_S6_EEDaPvRmT3_T4_T5_mT6_P12ihipStream_tbENKUlT_T0_E_clISt17integral_constantIbLb0EESY_EEDaST_SU_EUlST_E_NS1_11comp_targetILNS1_3genE3ELNS1_11target_archE908ELNS1_3gpuE7ELNS1_3repE0EEENS1_30default_config_static_selectorELNS0_4arch9wavefront6targetE0EEEvT1_, .Lfunc_end449-_ZN7rocprim17ROCPRIM_400000_NS6detail17trampoline_kernelINS0_14default_configENS1_20scan_config_selectorIN3c108BFloat16EEEZZNS1_9scan_implILNS1_25lookback_scan_determinismE0ELb0ELb0ES3_PKS6_PS6_S6_ZZZN2at6native31launch_logcumsumexp_cuda_kernelERKNSD_10TensorBaseESH_lENKUlvE_clEvENKUlvE4_clEvEUlS6_S6_E_S6_EEDaPvRmT3_T4_T5_mT6_P12ihipStream_tbENKUlT_T0_E_clISt17integral_constantIbLb0EESY_EEDaST_SU_EUlST_E_NS1_11comp_targetILNS1_3genE3ELNS1_11target_archE908ELNS1_3gpuE7ELNS1_3repE0EEENS1_30default_config_static_selectorELNS0_4arch9wavefront6targetE0EEEvT1_
                                        ; -- End function
	.section	.AMDGPU.csdata,"",@progbits
; Kernel info:
; codeLenInByte = 0
; NumSgprs: 0
; NumVgprs: 0
; ScratchSize: 0
; MemoryBound: 0
; FloatMode: 240
; IeeeMode: 1
; LDSByteSize: 0 bytes/workgroup (compile time only)
; SGPRBlocks: 0
; VGPRBlocks: 0
; NumSGPRsForWavesPerEU: 1
; NumVGPRsForWavesPerEU: 1
; Occupancy: 16
; WaveLimiterHint : 0
; COMPUTE_PGM_RSRC2:SCRATCH_EN: 0
; COMPUTE_PGM_RSRC2:USER_SGPR: 15
; COMPUTE_PGM_RSRC2:TRAP_HANDLER: 0
; COMPUTE_PGM_RSRC2:TGID_X_EN: 1
; COMPUTE_PGM_RSRC2:TGID_Y_EN: 0
; COMPUTE_PGM_RSRC2:TGID_Z_EN: 0
; COMPUTE_PGM_RSRC2:TIDIG_COMP_CNT: 0
	.section	.text._ZN7rocprim17ROCPRIM_400000_NS6detail17trampoline_kernelINS0_14default_configENS1_20scan_config_selectorIN3c108BFloat16EEEZZNS1_9scan_implILNS1_25lookback_scan_determinismE0ELb0ELb0ES3_PKS6_PS6_S6_ZZZN2at6native31launch_logcumsumexp_cuda_kernelERKNSD_10TensorBaseESH_lENKUlvE_clEvENKUlvE4_clEvEUlS6_S6_E_S6_EEDaPvRmT3_T4_T5_mT6_P12ihipStream_tbENKUlT_T0_E_clISt17integral_constantIbLb0EESY_EEDaST_SU_EUlST_E_NS1_11comp_targetILNS1_3genE2ELNS1_11target_archE906ELNS1_3gpuE6ELNS1_3repE0EEENS1_30default_config_static_selectorELNS0_4arch9wavefront6targetE0EEEvT1_,"axG",@progbits,_ZN7rocprim17ROCPRIM_400000_NS6detail17trampoline_kernelINS0_14default_configENS1_20scan_config_selectorIN3c108BFloat16EEEZZNS1_9scan_implILNS1_25lookback_scan_determinismE0ELb0ELb0ES3_PKS6_PS6_S6_ZZZN2at6native31launch_logcumsumexp_cuda_kernelERKNSD_10TensorBaseESH_lENKUlvE_clEvENKUlvE4_clEvEUlS6_S6_E_S6_EEDaPvRmT3_T4_T5_mT6_P12ihipStream_tbENKUlT_T0_E_clISt17integral_constantIbLb0EESY_EEDaST_SU_EUlST_E_NS1_11comp_targetILNS1_3genE2ELNS1_11target_archE906ELNS1_3gpuE6ELNS1_3repE0EEENS1_30default_config_static_selectorELNS0_4arch9wavefront6targetE0EEEvT1_,comdat
	.globl	_ZN7rocprim17ROCPRIM_400000_NS6detail17trampoline_kernelINS0_14default_configENS1_20scan_config_selectorIN3c108BFloat16EEEZZNS1_9scan_implILNS1_25lookback_scan_determinismE0ELb0ELb0ES3_PKS6_PS6_S6_ZZZN2at6native31launch_logcumsumexp_cuda_kernelERKNSD_10TensorBaseESH_lENKUlvE_clEvENKUlvE4_clEvEUlS6_S6_E_S6_EEDaPvRmT3_T4_T5_mT6_P12ihipStream_tbENKUlT_T0_E_clISt17integral_constantIbLb0EESY_EEDaST_SU_EUlST_E_NS1_11comp_targetILNS1_3genE2ELNS1_11target_archE906ELNS1_3gpuE6ELNS1_3repE0EEENS1_30default_config_static_selectorELNS0_4arch9wavefront6targetE0EEEvT1_ ; -- Begin function _ZN7rocprim17ROCPRIM_400000_NS6detail17trampoline_kernelINS0_14default_configENS1_20scan_config_selectorIN3c108BFloat16EEEZZNS1_9scan_implILNS1_25lookback_scan_determinismE0ELb0ELb0ES3_PKS6_PS6_S6_ZZZN2at6native31launch_logcumsumexp_cuda_kernelERKNSD_10TensorBaseESH_lENKUlvE_clEvENKUlvE4_clEvEUlS6_S6_E_S6_EEDaPvRmT3_T4_T5_mT6_P12ihipStream_tbENKUlT_T0_E_clISt17integral_constantIbLb0EESY_EEDaST_SU_EUlST_E_NS1_11comp_targetILNS1_3genE2ELNS1_11target_archE906ELNS1_3gpuE6ELNS1_3repE0EEENS1_30default_config_static_selectorELNS0_4arch9wavefront6targetE0EEEvT1_
	.p2align	8
	.type	_ZN7rocprim17ROCPRIM_400000_NS6detail17trampoline_kernelINS0_14default_configENS1_20scan_config_selectorIN3c108BFloat16EEEZZNS1_9scan_implILNS1_25lookback_scan_determinismE0ELb0ELb0ES3_PKS6_PS6_S6_ZZZN2at6native31launch_logcumsumexp_cuda_kernelERKNSD_10TensorBaseESH_lENKUlvE_clEvENKUlvE4_clEvEUlS6_S6_E_S6_EEDaPvRmT3_T4_T5_mT6_P12ihipStream_tbENKUlT_T0_E_clISt17integral_constantIbLb0EESY_EEDaST_SU_EUlST_E_NS1_11comp_targetILNS1_3genE2ELNS1_11target_archE906ELNS1_3gpuE6ELNS1_3repE0EEENS1_30default_config_static_selectorELNS0_4arch9wavefront6targetE0EEEvT1_,@function
_ZN7rocprim17ROCPRIM_400000_NS6detail17trampoline_kernelINS0_14default_configENS1_20scan_config_selectorIN3c108BFloat16EEEZZNS1_9scan_implILNS1_25lookback_scan_determinismE0ELb0ELb0ES3_PKS6_PS6_S6_ZZZN2at6native31launch_logcumsumexp_cuda_kernelERKNSD_10TensorBaseESH_lENKUlvE_clEvENKUlvE4_clEvEUlS6_S6_E_S6_EEDaPvRmT3_T4_T5_mT6_P12ihipStream_tbENKUlT_T0_E_clISt17integral_constantIbLb0EESY_EEDaST_SU_EUlST_E_NS1_11comp_targetILNS1_3genE2ELNS1_11target_archE906ELNS1_3gpuE6ELNS1_3repE0EEENS1_30default_config_static_selectorELNS0_4arch9wavefront6targetE0EEEvT1_: ; @_ZN7rocprim17ROCPRIM_400000_NS6detail17trampoline_kernelINS0_14default_configENS1_20scan_config_selectorIN3c108BFloat16EEEZZNS1_9scan_implILNS1_25lookback_scan_determinismE0ELb0ELb0ES3_PKS6_PS6_S6_ZZZN2at6native31launch_logcumsumexp_cuda_kernelERKNSD_10TensorBaseESH_lENKUlvE_clEvENKUlvE4_clEvEUlS6_S6_E_S6_EEDaPvRmT3_T4_T5_mT6_P12ihipStream_tbENKUlT_T0_E_clISt17integral_constantIbLb0EESY_EEDaST_SU_EUlST_E_NS1_11comp_targetILNS1_3genE2ELNS1_11target_archE906ELNS1_3gpuE6ELNS1_3repE0EEENS1_30default_config_static_selectorELNS0_4arch9wavefront6targetE0EEEvT1_
; %bb.0:
	.section	.rodata,"a",@progbits
	.p2align	6, 0x0
	.amdhsa_kernel _ZN7rocprim17ROCPRIM_400000_NS6detail17trampoline_kernelINS0_14default_configENS1_20scan_config_selectorIN3c108BFloat16EEEZZNS1_9scan_implILNS1_25lookback_scan_determinismE0ELb0ELb0ES3_PKS6_PS6_S6_ZZZN2at6native31launch_logcumsumexp_cuda_kernelERKNSD_10TensorBaseESH_lENKUlvE_clEvENKUlvE4_clEvEUlS6_S6_E_S6_EEDaPvRmT3_T4_T5_mT6_P12ihipStream_tbENKUlT_T0_E_clISt17integral_constantIbLb0EESY_EEDaST_SU_EUlST_E_NS1_11comp_targetILNS1_3genE2ELNS1_11target_archE906ELNS1_3gpuE6ELNS1_3repE0EEENS1_30default_config_static_selectorELNS0_4arch9wavefront6targetE0EEEvT1_
		.amdhsa_group_segment_fixed_size 0
		.amdhsa_private_segment_fixed_size 0
		.amdhsa_kernarg_size 96
		.amdhsa_user_sgpr_count 15
		.amdhsa_user_sgpr_dispatch_ptr 0
		.amdhsa_user_sgpr_queue_ptr 0
		.amdhsa_user_sgpr_kernarg_segment_ptr 1
		.amdhsa_user_sgpr_dispatch_id 0
		.amdhsa_user_sgpr_private_segment_size 0
		.amdhsa_wavefront_size32 1
		.amdhsa_uses_dynamic_stack 0
		.amdhsa_enable_private_segment 0
		.amdhsa_system_sgpr_workgroup_id_x 1
		.amdhsa_system_sgpr_workgroup_id_y 0
		.amdhsa_system_sgpr_workgroup_id_z 0
		.amdhsa_system_sgpr_workgroup_info 0
		.amdhsa_system_vgpr_workitem_id 0
		.amdhsa_next_free_vgpr 1
		.amdhsa_next_free_sgpr 1
		.amdhsa_reserve_vcc 0
		.amdhsa_float_round_mode_32 0
		.amdhsa_float_round_mode_16_64 0
		.amdhsa_float_denorm_mode_32 3
		.amdhsa_float_denorm_mode_16_64 3
		.amdhsa_dx10_clamp 1
		.amdhsa_ieee_mode 1
		.amdhsa_fp16_overflow 0
		.amdhsa_workgroup_processor_mode 1
		.amdhsa_memory_ordered 1
		.amdhsa_forward_progress 0
		.amdhsa_shared_vgpr_count 0
		.amdhsa_exception_fp_ieee_invalid_op 0
		.amdhsa_exception_fp_denorm_src 0
		.amdhsa_exception_fp_ieee_div_zero 0
		.amdhsa_exception_fp_ieee_overflow 0
		.amdhsa_exception_fp_ieee_underflow 0
		.amdhsa_exception_fp_ieee_inexact 0
		.amdhsa_exception_int_div_zero 0
	.end_amdhsa_kernel
	.section	.text._ZN7rocprim17ROCPRIM_400000_NS6detail17trampoline_kernelINS0_14default_configENS1_20scan_config_selectorIN3c108BFloat16EEEZZNS1_9scan_implILNS1_25lookback_scan_determinismE0ELb0ELb0ES3_PKS6_PS6_S6_ZZZN2at6native31launch_logcumsumexp_cuda_kernelERKNSD_10TensorBaseESH_lENKUlvE_clEvENKUlvE4_clEvEUlS6_S6_E_S6_EEDaPvRmT3_T4_T5_mT6_P12ihipStream_tbENKUlT_T0_E_clISt17integral_constantIbLb0EESY_EEDaST_SU_EUlST_E_NS1_11comp_targetILNS1_3genE2ELNS1_11target_archE906ELNS1_3gpuE6ELNS1_3repE0EEENS1_30default_config_static_selectorELNS0_4arch9wavefront6targetE0EEEvT1_,"axG",@progbits,_ZN7rocprim17ROCPRIM_400000_NS6detail17trampoline_kernelINS0_14default_configENS1_20scan_config_selectorIN3c108BFloat16EEEZZNS1_9scan_implILNS1_25lookback_scan_determinismE0ELb0ELb0ES3_PKS6_PS6_S6_ZZZN2at6native31launch_logcumsumexp_cuda_kernelERKNSD_10TensorBaseESH_lENKUlvE_clEvENKUlvE4_clEvEUlS6_S6_E_S6_EEDaPvRmT3_T4_T5_mT6_P12ihipStream_tbENKUlT_T0_E_clISt17integral_constantIbLb0EESY_EEDaST_SU_EUlST_E_NS1_11comp_targetILNS1_3genE2ELNS1_11target_archE906ELNS1_3gpuE6ELNS1_3repE0EEENS1_30default_config_static_selectorELNS0_4arch9wavefront6targetE0EEEvT1_,comdat
.Lfunc_end450:
	.size	_ZN7rocprim17ROCPRIM_400000_NS6detail17trampoline_kernelINS0_14default_configENS1_20scan_config_selectorIN3c108BFloat16EEEZZNS1_9scan_implILNS1_25lookback_scan_determinismE0ELb0ELb0ES3_PKS6_PS6_S6_ZZZN2at6native31launch_logcumsumexp_cuda_kernelERKNSD_10TensorBaseESH_lENKUlvE_clEvENKUlvE4_clEvEUlS6_S6_E_S6_EEDaPvRmT3_T4_T5_mT6_P12ihipStream_tbENKUlT_T0_E_clISt17integral_constantIbLb0EESY_EEDaST_SU_EUlST_E_NS1_11comp_targetILNS1_3genE2ELNS1_11target_archE906ELNS1_3gpuE6ELNS1_3repE0EEENS1_30default_config_static_selectorELNS0_4arch9wavefront6targetE0EEEvT1_, .Lfunc_end450-_ZN7rocprim17ROCPRIM_400000_NS6detail17trampoline_kernelINS0_14default_configENS1_20scan_config_selectorIN3c108BFloat16EEEZZNS1_9scan_implILNS1_25lookback_scan_determinismE0ELb0ELb0ES3_PKS6_PS6_S6_ZZZN2at6native31launch_logcumsumexp_cuda_kernelERKNSD_10TensorBaseESH_lENKUlvE_clEvENKUlvE4_clEvEUlS6_S6_E_S6_EEDaPvRmT3_T4_T5_mT6_P12ihipStream_tbENKUlT_T0_E_clISt17integral_constantIbLb0EESY_EEDaST_SU_EUlST_E_NS1_11comp_targetILNS1_3genE2ELNS1_11target_archE906ELNS1_3gpuE6ELNS1_3repE0EEENS1_30default_config_static_selectorELNS0_4arch9wavefront6targetE0EEEvT1_
                                        ; -- End function
	.section	.AMDGPU.csdata,"",@progbits
; Kernel info:
; codeLenInByte = 0
; NumSgprs: 0
; NumVgprs: 0
; ScratchSize: 0
; MemoryBound: 0
; FloatMode: 240
; IeeeMode: 1
; LDSByteSize: 0 bytes/workgroup (compile time only)
; SGPRBlocks: 0
; VGPRBlocks: 0
; NumSGPRsForWavesPerEU: 1
; NumVGPRsForWavesPerEU: 1
; Occupancy: 16
; WaveLimiterHint : 0
; COMPUTE_PGM_RSRC2:SCRATCH_EN: 0
; COMPUTE_PGM_RSRC2:USER_SGPR: 15
; COMPUTE_PGM_RSRC2:TRAP_HANDLER: 0
; COMPUTE_PGM_RSRC2:TGID_X_EN: 1
; COMPUTE_PGM_RSRC2:TGID_Y_EN: 0
; COMPUTE_PGM_RSRC2:TGID_Z_EN: 0
; COMPUTE_PGM_RSRC2:TIDIG_COMP_CNT: 0
	.section	.text._ZN7rocprim17ROCPRIM_400000_NS6detail17trampoline_kernelINS0_14default_configENS1_20scan_config_selectorIN3c108BFloat16EEEZZNS1_9scan_implILNS1_25lookback_scan_determinismE0ELb0ELb0ES3_PKS6_PS6_S6_ZZZN2at6native31launch_logcumsumexp_cuda_kernelERKNSD_10TensorBaseESH_lENKUlvE_clEvENKUlvE4_clEvEUlS6_S6_E_S6_EEDaPvRmT3_T4_T5_mT6_P12ihipStream_tbENKUlT_T0_E_clISt17integral_constantIbLb0EESY_EEDaST_SU_EUlST_E_NS1_11comp_targetILNS1_3genE10ELNS1_11target_archE1201ELNS1_3gpuE5ELNS1_3repE0EEENS1_30default_config_static_selectorELNS0_4arch9wavefront6targetE0EEEvT1_,"axG",@progbits,_ZN7rocprim17ROCPRIM_400000_NS6detail17trampoline_kernelINS0_14default_configENS1_20scan_config_selectorIN3c108BFloat16EEEZZNS1_9scan_implILNS1_25lookback_scan_determinismE0ELb0ELb0ES3_PKS6_PS6_S6_ZZZN2at6native31launch_logcumsumexp_cuda_kernelERKNSD_10TensorBaseESH_lENKUlvE_clEvENKUlvE4_clEvEUlS6_S6_E_S6_EEDaPvRmT3_T4_T5_mT6_P12ihipStream_tbENKUlT_T0_E_clISt17integral_constantIbLb0EESY_EEDaST_SU_EUlST_E_NS1_11comp_targetILNS1_3genE10ELNS1_11target_archE1201ELNS1_3gpuE5ELNS1_3repE0EEENS1_30default_config_static_selectorELNS0_4arch9wavefront6targetE0EEEvT1_,comdat
	.globl	_ZN7rocprim17ROCPRIM_400000_NS6detail17trampoline_kernelINS0_14default_configENS1_20scan_config_selectorIN3c108BFloat16EEEZZNS1_9scan_implILNS1_25lookback_scan_determinismE0ELb0ELb0ES3_PKS6_PS6_S6_ZZZN2at6native31launch_logcumsumexp_cuda_kernelERKNSD_10TensorBaseESH_lENKUlvE_clEvENKUlvE4_clEvEUlS6_S6_E_S6_EEDaPvRmT3_T4_T5_mT6_P12ihipStream_tbENKUlT_T0_E_clISt17integral_constantIbLb0EESY_EEDaST_SU_EUlST_E_NS1_11comp_targetILNS1_3genE10ELNS1_11target_archE1201ELNS1_3gpuE5ELNS1_3repE0EEENS1_30default_config_static_selectorELNS0_4arch9wavefront6targetE0EEEvT1_ ; -- Begin function _ZN7rocprim17ROCPRIM_400000_NS6detail17trampoline_kernelINS0_14default_configENS1_20scan_config_selectorIN3c108BFloat16EEEZZNS1_9scan_implILNS1_25lookback_scan_determinismE0ELb0ELb0ES3_PKS6_PS6_S6_ZZZN2at6native31launch_logcumsumexp_cuda_kernelERKNSD_10TensorBaseESH_lENKUlvE_clEvENKUlvE4_clEvEUlS6_S6_E_S6_EEDaPvRmT3_T4_T5_mT6_P12ihipStream_tbENKUlT_T0_E_clISt17integral_constantIbLb0EESY_EEDaST_SU_EUlST_E_NS1_11comp_targetILNS1_3genE10ELNS1_11target_archE1201ELNS1_3gpuE5ELNS1_3repE0EEENS1_30default_config_static_selectorELNS0_4arch9wavefront6targetE0EEEvT1_
	.p2align	8
	.type	_ZN7rocprim17ROCPRIM_400000_NS6detail17trampoline_kernelINS0_14default_configENS1_20scan_config_selectorIN3c108BFloat16EEEZZNS1_9scan_implILNS1_25lookback_scan_determinismE0ELb0ELb0ES3_PKS6_PS6_S6_ZZZN2at6native31launch_logcumsumexp_cuda_kernelERKNSD_10TensorBaseESH_lENKUlvE_clEvENKUlvE4_clEvEUlS6_S6_E_S6_EEDaPvRmT3_T4_T5_mT6_P12ihipStream_tbENKUlT_T0_E_clISt17integral_constantIbLb0EESY_EEDaST_SU_EUlST_E_NS1_11comp_targetILNS1_3genE10ELNS1_11target_archE1201ELNS1_3gpuE5ELNS1_3repE0EEENS1_30default_config_static_selectorELNS0_4arch9wavefront6targetE0EEEvT1_,@function
_ZN7rocprim17ROCPRIM_400000_NS6detail17trampoline_kernelINS0_14default_configENS1_20scan_config_selectorIN3c108BFloat16EEEZZNS1_9scan_implILNS1_25lookback_scan_determinismE0ELb0ELb0ES3_PKS6_PS6_S6_ZZZN2at6native31launch_logcumsumexp_cuda_kernelERKNSD_10TensorBaseESH_lENKUlvE_clEvENKUlvE4_clEvEUlS6_S6_E_S6_EEDaPvRmT3_T4_T5_mT6_P12ihipStream_tbENKUlT_T0_E_clISt17integral_constantIbLb0EESY_EEDaST_SU_EUlST_E_NS1_11comp_targetILNS1_3genE10ELNS1_11target_archE1201ELNS1_3gpuE5ELNS1_3repE0EEENS1_30default_config_static_selectorELNS0_4arch9wavefront6targetE0EEEvT1_: ; @_ZN7rocprim17ROCPRIM_400000_NS6detail17trampoline_kernelINS0_14default_configENS1_20scan_config_selectorIN3c108BFloat16EEEZZNS1_9scan_implILNS1_25lookback_scan_determinismE0ELb0ELb0ES3_PKS6_PS6_S6_ZZZN2at6native31launch_logcumsumexp_cuda_kernelERKNSD_10TensorBaseESH_lENKUlvE_clEvENKUlvE4_clEvEUlS6_S6_E_S6_EEDaPvRmT3_T4_T5_mT6_P12ihipStream_tbENKUlT_T0_E_clISt17integral_constantIbLb0EESY_EEDaST_SU_EUlST_E_NS1_11comp_targetILNS1_3genE10ELNS1_11target_archE1201ELNS1_3gpuE5ELNS1_3repE0EEENS1_30default_config_static_selectorELNS0_4arch9wavefront6targetE0EEEvT1_
; %bb.0:
	.section	.rodata,"a",@progbits
	.p2align	6, 0x0
	.amdhsa_kernel _ZN7rocprim17ROCPRIM_400000_NS6detail17trampoline_kernelINS0_14default_configENS1_20scan_config_selectorIN3c108BFloat16EEEZZNS1_9scan_implILNS1_25lookback_scan_determinismE0ELb0ELb0ES3_PKS6_PS6_S6_ZZZN2at6native31launch_logcumsumexp_cuda_kernelERKNSD_10TensorBaseESH_lENKUlvE_clEvENKUlvE4_clEvEUlS6_S6_E_S6_EEDaPvRmT3_T4_T5_mT6_P12ihipStream_tbENKUlT_T0_E_clISt17integral_constantIbLb0EESY_EEDaST_SU_EUlST_E_NS1_11comp_targetILNS1_3genE10ELNS1_11target_archE1201ELNS1_3gpuE5ELNS1_3repE0EEENS1_30default_config_static_selectorELNS0_4arch9wavefront6targetE0EEEvT1_
		.amdhsa_group_segment_fixed_size 0
		.amdhsa_private_segment_fixed_size 0
		.amdhsa_kernarg_size 96
		.amdhsa_user_sgpr_count 15
		.amdhsa_user_sgpr_dispatch_ptr 0
		.amdhsa_user_sgpr_queue_ptr 0
		.amdhsa_user_sgpr_kernarg_segment_ptr 1
		.amdhsa_user_sgpr_dispatch_id 0
		.amdhsa_user_sgpr_private_segment_size 0
		.amdhsa_wavefront_size32 1
		.amdhsa_uses_dynamic_stack 0
		.amdhsa_enable_private_segment 0
		.amdhsa_system_sgpr_workgroup_id_x 1
		.amdhsa_system_sgpr_workgroup_id_y 0
		.amdhsa_system_sgpr_workgroup_id_z 0
		.amdhsa_system_sgpr_workgroup_info 0
		.amdhsa_system_vgpr_workitem_id 0
		.amdhsa_next_free_vgpr 1
		.amdhsa_next_free_sgpr 1
		.amdhsa_reserve_vcc 0
		.amdhsa_float_round_mode_32 0
		.amdhsa_float_round_mode_16_64 0
		.amdhsa_float_denorm_mode_32 3
		.amdhsa_float_denorm_mode_16_64 3
		.amdhsa_dx10_clamp 1
		.amdhsa_ieee_mode 1
		.amdhsa_fp16_overflow 0
		.amdhsa_workgroup_processor_mode 1
		.amdhsa_memory_ordered 1
		.amdhsa_forward_progress 0
		.amdhsa_shared_vgpr_count 0
		.amdhsa_exception_fp_ieee_invalid_op 0
		.amdhsa_exception_fp_denorm_src 0
		.amdhsa_exception_fp_ieee_div_zero 0
		.amdhsa_exception_fp_ieee_overflow 0
		.amdhsa_exception_fp_ieee_underflow 0
		.amdhsa_exception_fp_ieee_inexact 0
		.amdhsa_exception_int_div_zero 0
	.end_amdhsa_kernel
	.section	.text._ZN7rocprim17ROCPRIM_400000_NS6detail17trampoline_kernelINS0_14default_configENS1_20scan_config_selectorIN3c108BFloat16EEEZZNS1_9scan_implILNS1_25lookback_scan_determinismE0ELb0ELb0ES3_PKS6_PS6_S6_ZZZN2at6native31launch_logcumsumexp_cuda_kernelERKNSD_10TensorBaseESH_lENKUlvE_clEvENKUlvE4_clEvEUlS6_S6_E_S6_EEDaPvRmT3_T4_T5_mT6_P12ihipStream_tbENKUlT_T0_E_clISt17integral_constantIbLb0EESY_EEDaST_SU_EUlST_E_NS1_11comp_targetILNS1_3genE10ELNS1_11target_archE1201ELNS1_3gpuE5ELNS1_3repE0EEENS1_30default_config_static_selectorELNS0_4arch9wavefront6targetE0EEEvT1_,"axG",@progbits,_ZN7rocprim17ROCPRIM_400000_NS6detail17trampoline_kernelINS0_14default_configENS1_20scan_config_selectorIN3c108BFloat16EEEZZNS1_9scan_implILNS1_25lookback_scan_determinismE0ELb0ELb0ES3_PKS6_PS6_S6_ZZZN2at6native31launch_logcumsumexp_cuda_kernelERKNSD_10TensorBaseESH_lENKUlvE_clEvENKUlvE4_clEvEUlS6_S6_E_S6_EEDaPvRmT3_T4_T5_mT6_P12ihipStream_tbENKUlT_T0_E_clISt17integral_constantIbLb0EESY_EEDaST_SU_EUlST_E_NS1_11comp_targetILNS1_3genE10ELNS1_11target_archE1201ELNS1_3gpuE5ELNS1_3repE0EEENS1_30default_config_static_selectorELNS0_4arch9wavefront6targetE0EEEvT1_,comdat
.Lfunc_end451:
	.size	_ZN7rocprim17ROCPRIM_400000_NS6detail17trampoline_kernelINS0_14default_configENS1_20scan_config_selectorIN3c108BFloat16EEEZZNS1_9scan_implILNS1_25lookback_scan_determinismE0ELb0ELb0ES3_PKS6_PS6_S6_ZZZN2at6native31launch_logcumsumexp_cuda_kernelERKNSD_10TensorBaseESH_lENKUlvE_clEvENKUlvE4_clEvEUlS6_S6_E_S6_EEDaPvRmT3_T4_T5_mT6_P12ihipStream_tbENKUlT_T0_E_clISt17integral_constantIbLb0EESY_EEDaST_SU_EUlST_E_NS1_11comp_targetILNS1_3genE10ELNS1_11target_archE1201ELNS1_3gpuE5ELNS1_3repE0EEENS1_30default_config_static_selectorELNS0_4arch9wavefront6targetE0EEEvT1_, .Lfunc_end451-_ZN7rocprim17ROCPRIM_400000_NS6detail17trampoline_kernelINS0_14default_configENS1_20scan_config_selectorIN3c108BFloat16EEEZZNS1_9scan_implILNS1_25lookback_scan_determinismE0ELb0ELb0ES3_PKS6_PS6_S6_ZZZN2at6native31launch_logcumsumexp_cuda_kernelERKNSD_10TensorBaseESH_lENKUlvE_clEvENKUlvE4_clEvEUlS6_S6_E_S6_EEDaPvRmT3_T4_T5_mT6_P12ihipStream_tbENKUlT_T0_E_clISt17integral_constantIbLb0EESY_EEDaST_SU_EUlST_E_NS1_11comp_targetILNS1_3genE10ELNS1_11target_archE1201ELNS1_3gpuE5ELNS1_3repE0EEENS1_30default_config_static_selectorELNS0_4arch9wavefront6targetE0EEEvT1_
                                        ; -- End function
	.section	.AMDGPU.csdata,"",@progbits
; Kernel info:
; codeLenInByte = 0
; NumSgprs: 0
; NumVgprs: 0
; ScratchSize: 0
; MemoryBound: 0
; FloatMode: 240
; IeeeMode: 1
; LDSByteSize: 0 bytes/workgroup (compile time only)
; SGPRBlocks: 0
; VGPRBlocks: 0
; NumSGPRsForWavesPerEU: 1
; NumVGPRsForWavesPerEU: 1
; Occupancy: 16
; WaveLimiterHint : 0
; COMPUTE_PGM_RSRC2:SCRATCH_EN: 0
; COMPUTE_PGM_RSRC2:USER_SGPR: 15
; COMPUTE_PGM_RSRC2:TRAP_HANDLER: 0
; COMPUTE_PGM_RSRC2:TGID_X_EN: 1
; COMPUTE_PGM_RSRC2:TGID_Y_EN: 0
; COMPUTE_PGM_RSRC2:TGID_Z_EN: 0
; COMPUTE_PGM_RSRC2:TIDIG_COMP_CNT: 0
	.section	.text._ZN7rocprim17ROCPRIM_400000_NS6detail17trampoline_kernelINS0_14default_configENS1_20scan_config_selectorIN3c108BFloat16EEEZZNS1_9scan_implILNS1_25lookback_scan_determinismE0ELb0ELb0ES3_PKS6_PS6_S6_ZZZN2at6native31launch_logcumsumexp_cuda_kernelERKNSD_10TensorBaseESH_lENKUlvE_clEvENKUlvE4_clEvEUlS6_S6_E_S6_EEDaPvRmT3_T4_T5_mT6_P12ihipStream_tbENKUlT_T0_E_clISt17integral_constantIbLb0EESY_EEDaST_SU_EUlST_E_NS1_11comp_targetILNS1_3genE10ELNS1_11target_archE1200ELNS1_3gpuE4ELNS1_3repE0EEENS1_30default_config_static_selectorELNS0_4arch9wavefront6targetE0EEEvT1_,"axG",@progbits,_ZN7rocprim17ROCPRIM_400000_NS6detail17trampoline_kernelINS0_14default_configENS1_20scan_config_selectorIN3c108BFloat16EEEZZNS1_9scan_implILNS1_25lookback_scan_determinismE0ELb0ELb0ES3_PKS6_PS6_S6_ZZZN2at6native31launch_logcumsumexp_cuda_kernelERKNSD_10TensorBaseESH_lENKUlvE_clEvENKUlvE4_clEvEUlS6_S6_E_S6_EEDaPvRmT3_T4_T5_mT6_P12ihipStream_tbENKUlT_T0_E_clISt17integral_constantIbLb0EESY_EEDaST_SU_EUlST_E_NS1_11comp_targetILNS1_3genE10ELNS1_11target_archE1200ELNS1_3gpuE4ELNS1_3repE0EEENS1_30default_config_static_selectorELNS0_4arch9wavefront6targetE0EEEvT1_,comdat
	.globl	_ZN7rocprim17ROCPRIM_400000_NS6detail17trampoline_kernelINS0_14default_configENS1_20scan_config_selectorIN3c108BFloat16EEEZZNS1_9scan_implILNS1_25lookback_scan_determinismE0ELb0ELb0ES3_PKS6_PS6_S6_ZZZN2at6native31launch_logcumsumexp_cuda_kernelERKNSD_10TensorBaseESH_lENKUlvE_clEvENKUlvE4_clEvEUlS6_S6_E_S6_EEDaPvRmT3_T4_T5_mT6_P12ihipStream_tbENKUlT_T0_E_clISt17integral_constantIbLb0EESY_EEDaST_SU_EUlST_E_NS1_11comp_targetILNS1_3genE10ELNS1_11target_archE1200ELNS1_3gpuE4ELNS1_3repE0EEENS1_30default_config_static_selectorELNS0_4arch9wavefront6targetE0EEEvT1_ ; -- Begin function _ZN7rocprim17ROCPRIM_400000_NS6detail17trampoline_kernelINS0_14default_configENS1_20scan_config_selectorIN3c108BFloat16EEEZZNS1_9scan_implILNS1_25lookback_scan_determinismE0ELb0ELb0ES3_PKS6_PS6_S6_ZZZN2at6native31launch_logcumsumexp_cuda_kernelERKNSD_10TensorBaseESH_lENKUlvE_clEvENKUlvE4_clEvEUlS6_S6_E_S6_EEDaPvRmT3_T4_T5_mT6_P12ihipStream_tbENKUlT_T0_E_clISt17integral_constantIbLb0EESY_EEDaST_SU_EUlST_E_NS1_11comp_targetILNS1_3genE10ELNS1_11target_archE1200ELNS1_3gpuE4ELNS1_3repE0EEENS1_30default_config_static_selectorELNS0_4arch9wavefront6targetE0EEEvT1_
	.p2align	8
	.type	_ZN7rocprim17ROCPRIM_400000_NS6detail17trampoline_kernelINS0_14default_configENS1_20scan_config_selectorIN3c108BFloat16EEEZZNS1_9scan_implILNS1_25lookback_scan_determinismE0ELb0ELb0ES3_PKS6_PS6_S6_ZZZN2at6native31launch_logcumsumexp_cuda_kernelERKNSD_10TensorBaseESH_lENKUlvE_clEvENKUlvE4_clEvEUlS6_S6_E_S6_EEDaPvRmT3_T4_T5_mT6_P12ihipStream_tbENKUlT_T0_E_clISt17integral_constantIbLb0EESY_EEDaST_SU_EUlST_E_NS1_11comp_targetILNS1_3genE10ELNS1_11target_archE1200ELNS1_3gpuE4ELNS1_3repE0EEENS1_30default_config_static_selectorELNS0_4arch9wavefront6targetE0EEEvT1_,@function
_ZN7rocprim17ROCPRIM_400000_NS6detail17trampoline_kernelINS0_14default_configENS1_20scan_config_selectorIN3c108BFloat16EEEZZNS1_9scan_implILNS1_25lookback_scan_determinismE0ELb0ELb0ES3_PKS6_PS6_S6_ZZZN2at6native31launch_logcumsumexp_cuda_kernelERKNSD_10TensorBaseESH_lENKUlvE_clEvENKUlvE4_clEvEUlS6_S6_E_S6_EEDaPvRmT3_T4_T5_mT6_P12ihipStream_tbENKUlT_T0_E_clISt17integral_constantIbLb0EESY_EEDaST_SU_EUlST_E_NS1_11comp_targetILNS1_3genE10ELNS1_11target_archE1200ELNS1_3gpuE4ELNS1_3repE0EEENS1_30default_config_static_selectorELNS0_4arch9wavefront6targetE0EEEvT1_: ; @_ZN7rocprim17ROCPRIM_400000_NS6detail17trampoline_kernelINS0_14default_configENS1_20scan_config_selectorIN3c108BFloat16EEEZZNS1_9scan_implILNS1_25lookback_scan_determinismE0ELb0ELb0ES3_PKS6_PS6_S6_ZZZN2at6native31launch_logcumsumexp_cuda_kernelERKNSD_10TensorBaseESH_lENKUlvE_clEvENKUlvE4_clEvEUlS6_S6_E_S6_EEDaPvRmT3_T4_T5_mT6_P12ihipStream_tbENKUlT_T0_E_clISt17integral_constantIbLb0EESY_EEDaST_SU_EUlST_E_NS1_11comp_targetILNS1_3genE10ELNS1_11target_archE1200ELNS1_3gpuE4ELNS1_3repE0EEENS1_30default_config_static_selectorELNS0_4arch9wavefront6targetE0EEEvT1_
; %bb.0:
	.section	.rodata,"a",@progbits
	.p2align	6, 0x0
	.amdhsa_kernel _ZN7rocprim17ROCPRIM_400000_NS6detail17trampoline_kernelINS0_14default_configENS1_20scan_config_selectorIN3c108BFloat16EEEZZNS1_9scan_implILNS1_25lookback_scan_determinismE0ELb0ELb0ES3_PKS6_PS6_S6_ZZZN2at6native31launch_logcumsumexp_cuda_kernelERKNSD_10TensorBaseESH_lENKUlvE_clEvENKUlvE4_clEvEUlS6_S6_E_S6_EEDaPvRmT3_T4_T5_mT6_P12ihipStream_tbENKUlT_T0_E_clISt17integral_constantIbLb0EESY_EEDaST_SU_EUlST_E_NS1_11comp_targetILNS1_3genE10ELNS1_11target_archE1200ELNS1_3gpuE4ELNS1_3repE0EEENS1_30default_config_static_selectorELNS0_4arch9wavefront6targetE0EEEvT1_
		.amdhsa_group_segment_fixed_size 0
		.amdhsa_private_segment_fixed_size 0
		.amdhsa_kernarg_size 96
		.amdhsa_user_sgpr_count 15
		.amdhsa_user_sgpr_dispatch_ptr 0
		.amdhsa_user_sgpr_queue_ptr 0
		.amdhsa_user_sgpr_kernarg_segment_ptr 1
		.amdhsa_user_sgpr_dispatch_id 0
		.amdhsa_user_sgpr_private_segment_size 0
		.amdhsa_wavefront_size32 1
		.amdhsa_uses_dynamic_stack 0
		.amdhsa_enable_private_segment 0
		.amdhsa_system_sgpr_workgroup_id_x 1
		.amdhsa_system_sgpr_workgroup_id_y 0
		.amdhsa_system_sgpr_workgroup_id_z 0
		.amdhsa_system_sgpr_workgroup_info 0
		.amdhsa_system_vgpr_workitem_id 0
		.amdhsa_next_free_vgpr 1
		.amdhsa_next_free_sgpr 1
		.amdhsa_reserve_vcc 0
		.amdhsa_float_round_mode_32 0
		.amdhsa_float_round_mode_16_64 0
		.amdhsa_float_denorm_mode_32 3
		.amdhsa_float_denorm_mode_16_64 3
		.amdhsa_dx10_clamp 1
		.amdhsa_ieee_mode 1
		.amdhsa_fp16_overflow 0
		.amdhsa_workgroup_processor_mode 1
		.amdhsa_memory_ordered 1
		.amdhsa_forward_progress 0
		.amdhsa_shared_vgpr_count 0
		.amdhsa_exception_fp_ieee_invalid_op 0
		.amdhsa_exception_fp_denorm_src 0
		.amdhsa_exception_fp_ieee_div_zero 0
		.amdhsa_exception_fp_ieee_overflow 0
		.amdhsa_exception_fp_ieee_underflow 0
		.amdhsa_exception_fp_ieee_inexact 0
		.amdhsa_exception_int_div_zero 0
	.end_amdhsa_kernel
	.section	.text._ZN7rocprim17ROCPRIM_400000_NS6detail17trampoline_kernelINS0_14default_configENS1_20scan_config_selectorIN3c108BFloat16EEEZZNS1_9scan_implILNS1_25lookback_scan_determinismE0ELb0ELb0ES3_PKS6_PS6_S6_ZZZN2at6native31launch_logcumsumexp_cuda_kernelERKNSD_10TensorBaseESH_lENKUlvE_clEvENKUlvE4_clEvEUlS6_S6_E_S6_EEDaPvRmT3_T4_T5_mT6_P12ihipStream_tbENKUlT_T0_E_clISt17integral_constantIbLb0EESY_EEDaST_SU_EUlST_E_NS1_11comp_targetILNS1_3genE10ELNS1_11target_archE1200ELNS1_3gpuE4ELNS1_3repE0EEENS1_30default_config_static_selectorELNS0_4arch9wavefront6targetE0EEEvT1_,"axG",@progbits,_ZN7rocprim17ROCPRIM_400000_NS6detail17trampoline_kernelINS0_14default_configENS1_20scan_config_selectorIN3c108BFloat16EEEZZNS1_9scan_implILNS1_25lookback_scan_determinismE0ELb0ELb0ES3_PKS6_PS6_S6_ZZZN2at6native31launch_logcumsumexp_cuda_kernelERKNSD_10TensorBaseESH_lENKUlvE_clEvENKUlvE4_clEvEUlS6_S6_E_S6_EEDaPvRmT3_T4_T5_mT6_P12ihipStream_tbENKUlT_T0_E_clISt17integral_constantIbLb0EESY_EEDaST_SU_EUlST_E_NS1_11comp_targetILNS1_3genE10ELNS1_11target_archE1200ELNS1_3gpuE4ELNS1_3repE0EEENS1_30default_config_static_selectorELNS0_4arch9wavefront6targetE0EEEvT1_,comdat
.Lfunc_end452:
	.size	_ZN7rocprim17ROCPRIM_400000_NS6detail17trampoline_kernelINS0_14default_configENS1_20scan_config_selectorIN3c108BFloat16EEEZZNS1_9scan_implILNS1_25lookback_scan_determinismE0ELb0ELb0ES3_PKS6_PS6_S6_ZZZN2at6native31launch_logcumsumexp_cuda_kernelERKNSD_10TensorBaseESH_lENKUlvE_clEvENKUlvE4_clEvEUlS6_S6_E_S6_EEDaPvRmT3_T4_T5_mT6_P12ihipStream_tbENKUlT_T0_E_clISt17integral_constantIbLb0EESY_EEDaST_SU_EUlST_E_NS1_11comp_targetILNS1_3genE10ELNS1_11target_archE1200ELNS1_3gpuE4ELNS1_3repE0EEENS1_30default_config_static_selectorELNS0_4arch9wavefront6targetE0EEEvT1_, .Lfunc_end452-_ZN7rocprim17ROCPRIM_400000_NS6detail17trampoline_kernelINS0_14default_configENS1_20scan_config_selectorIN3c108BFloat16EEEZZNS1_9scan_implILNS1_25lookback_scan_determinismE0ELb0ELb0ES3_PKS6_PS6_S6_ZZZN2at6native31launch_logcumsumexp_cuda_kernelERKNSD_10TensorBaseESH_lENKUlvE_clEvENKUlvE4_clEvEUlS6_S6_E_S6_EEDaPvRmT3_T4_T5_mT6_P12ihipStream_tbENKUlT_T0_E_clISt17integral_constantIbLb0EESY_EEDaST_SU_EUlST_E_NS1_11comp_targetILNS1_3genE10ELNS1_11target_archE1200ELNS1_3gpuE4ELNS1_3repE0EEENS1_30default_config_static_selectorELNS0_4arch9wavefront6targetE0EEEvT1_
                                        ; -- End function
	.section	.AMDGPU.csdata,"",@progbits
; Kernel info:
; codeLenInByte = 0
; NumSgprs: 0
; NumVgprs: 0
; ScratchSize: 0
; MemoryBound: 0
; FloatMode: 240
; IeeeMode: 1
; LDSByteSize: 0 bytes/workgroup (compile time only)
; SGPRBlocks: 0
; VGPRBlocks: 0
; NumSGPRsForWavesPerEU: 1
; NumVGPRsForWavesPerEU: 1
; Occupancy: 16
; WaveLimiterHint : 0
; COMPUTE_PGM_RSRC2:SCRATCH_EN: 0
; COMPUTE_PGM_RSRC2:USER_SGPR: 15
; COMPUTE_PGM_RSRC2:TRAP_HANDLER: 0
; COMPUTE_PGM_RSRC2:TGID_X_EN: 1
; COMPUTE_PGM_RSRC2:TGID_Y_EN: 0
; COMPUTE_PGM_RSRC2:TGID_Z_EN: 0
; COMPUTE_PGM_RSRC2:TIDIG_COMP_CNT: 0
	.text
	.p2align	2                               ; -- Begin function _ZZZN7rocprim17ROCPRIM_400000_NS6detail9scan_implILNS1_25lookback_scan_determinismE0ELb0ELb0ENS0_14default_configEPKN3c108BFloat16EPS6_S6_ZZZN2at6native31launch_logcumsumexp_cuda_kernelERKNSA_10TensorBaseESE_lENKUlvE_clEvENKUlvE4_clEvEUlS6_S6_E_S6_EEDaPvRmT3_T4_T5_mT6_P12ihipStream_tbENKUlT_T0_E_clISt17integral_constantIbLb0EESV_EEDaSQ_SR_ENKUlSQ_E_clINS1_13target_configIS4_NS1_20scan_config_selectorIS6_EENS1_11comp_targetILNS1_3genE9ELNS1_11target_archE1100ELNS1_3gpuE3ELNS1_3repE0EEELNS0_4arch9wavefront6targetE0EEEEEDaSQ_
	.type	_ZZZN7rocprim17ROCPRIM_400000_NS6detail9scan_implILNS1_25lookback_scan_determinismE0ELb0ELb0ENS0_14default_configEPKN3c108BFloat16EPS6_S6_ZZZN2at6native31launch_logcumsumexp_cuda_kernelERKNSA_10TensorBaseESE_lENKUlvE_clEvENKUlvE4_clEvEUlS6_S6_E_S6_EEDaPvRmT3_T4_T5_mT6_P12ihipStream_tbENKUlT_T0_E_clISt17integral_constantIbLb0EESV_EEDaSQ_SR_ENKUlSQ_E_clINS1_13target_configIS4_NS1_20scan_config_selectorIS6_EENS1_11comp_targetILNS1_3genE9ELNS1_11target_archE1100ELNS1_3gpuE3ELNS1_3repE0EEELNS0_4arch9wavefront6targetE0EEEEEDaSQ_,@function
_ZZZN7rocprim17ROCPRIM_400000_NS6detail9scan_implILNS1_25lookback_scan_determinismE0ELb0ELb0ENS0_14default_configEPKN3c108BFloat16EPS6_S6_ZZZN2at6native31launch_logcumsumexp_cuda_kernelERKNSA_10TensorBaseESE_lENKUlvE_clEvENKUlvE4_clEvEUlS6_S6_E_S6_EEDaPvRmT3_T4_T5_mT6_P12ihipStream_tbENKUlT_T0_E_clISt17integral_constantIbLb0EESV_EEDaSQ_SR_ENKUlSQ_E_clINS1_13target_configIS4_NS1_20scan_config_selectorIS6_EENS1_11comp_targetILNS1_3genE9ELNS1_11target_archE1100ELNS1_3gpuE3ELNS1_3repE0EEELNS0_4arch9wavefront6targetE0EEEEEDaSQ_: ; @_ZZZN7rocprim17ROCPRIM_400000_NS6detail9scan_implILNS1_25lookback_scan_determinismE0ELb0ELb0ENS0_14default_configEPKN3c108BFloat16EPS6_S6_ZZZN2at6native31launch_logcumsumexp_cuda_kernelERKNSA_10TensorBaseESE_lENKUlvE_clEvENKUlvE4_clEvEUlS6_S6_E_S6_EEDaPvRmT3_T4_T5_mT6_P12ihipStream_tbENKUlT_T0_E_clISt17integral_constantIbLb0EESV_EEDaSQ_SR_ENKUlSQ_E_clINS1_13target_configIS4_NS1_20scan_config_selectorIS6_EENS1_11comp_targetILNS1_3genE9ELNS1_11target_archE1100ELNS1_3gpuE3ELNS1_3repE0EEELNS0_4arch9wavefront6targetE0EEEEEDaSQ_
; %bb.0:
	s_waitcnt vmcnt(0) expcnt(0) lgkmcnt(0)
	s_or_saveexec_b32 s0, -1
	scratch_store_b32 off, v40, s32         ; 4-byte Folded Spill
	s_mov_b32 exec_lo, s0
	v_writelane_b32 v40, s30, 0
	v_writelane_b32 v40, s31, 1
	s_clause 0x4
	flat_load_b96 v[14:16], v[0:1] offset:40
	flat_load_b128 v[18:21], v[0:1]
	flat_load_b128 v[10:13], v[0:1] offset:16
	flat_load_b128 v[2:5], v[0:1] offset:56
	;; [unrolled: 1-line block ×3, first 2 shown]
	s_mov_b32 s1, 0
	s_mul_i32 s0, s12, 0x580
	v_and_b32_e32 v0, 0x3ff, v31
	s_lshl_b64 s[28:29], s[0:1], 1
	s_delay_alu instid0(VALU_DEP_1) | instskip(SKIP_4) | instid1(VALU_DEP_2)
	v_lshlrev_b32_e32 v24, 1, v0
	s_waitcnt vmcnt(4) lgkmcnt(4)
	v_add_nc_u32_e32 v1, -1, v16
	s_waitcnt vmcnt(3) lgkmcnt(3)
	v_lshlrev_b64 v[16:17], 1, v[20:21]
	v_mul_lo_u32 v20, 0x580, v1
	v_cmp_ne_u32_e64 s0, s12, v1
	s_delay_alu instid0(VALU_DEP_3) | instskip(NEXT) | instid1(VALU_DEP_4)
	v_add_co_u32 v18, vcc_lo, v18, v16
	v_add_co_ci_u32_e32 v19, vcc_lo, v19, v17, vcc_lo
	s_delay_alu instid0(VALU_DEP_2) | instskip(NEXT) | instid1(VALU_DEP_2)
	v_add_co_u32 v18, vcc_lo, v18, s28
	v_add_co_ci_u32_e32 v19, vcc_lo, s29, v19, vcc_lo
	s_waitcnt vmcnt(2) lgkmcnt(2)
	v_sub_co_u32 v22, vcc_lo, v12, v20
	v_subrev_co_ci_u32_e32 v23, vcc_lo, 0, v13, vcc_lo
	s_and_saveexec_b32 s1, s0
	s_delay_alu instid0(SALU_CYCLE_1)
	s_xor_b32 s1, exec_lo, s1
	s_cbranch_execz .LBB453_2
; %bb.1:
	v_add_co_u32 v12, vcc_lo, v18, v24
	v_add_co_ci_u32_e32 v13, vcc_lo, 0, v19, vcc_lo
	s_clause 0x15
	flat_load_u16 v1, v[12:13]
	flat_load_u16 v18, v[12:13] offset:128
	flat_load_u16 v19, v[12:13] offset:256
	;; [unrolled: 1-line block ×21, first 2 shown]
	s_waitcnt vmcnt(21) lgkmcnt(21)
	ds_store_b16 v24, v1
	s_waitcnt vmcnt(20) lgkmcnt(21)
	ds_store_b16 v24, v18 offset:128
	s_waitcnt vmcnt(19) lgkmcnt(21)
	ds_store_b16 v24, v19 offset:256
	;; [unrolled: 2-line block ×21, first 2 shown]
	s_waitcnt lgkmcnt(0)
	s_waitcnt_vscnt null, 0x0
	s_barrier
                                        ; implicit-def: $vgpr18
.LBB453_2:
	s_and_not1_saveexec_b32 s1, s1
	s_cbranch_execz .LBB453_48
; %bb.3:
	flat_load_u16 v1, v[18:19]
	s_mov_b32 s2, exec_lo
	s_waitcnt vmcnt(0) lgkmcnt(0)
	v_mov_b32_e32 v12, v1
	v_cmpx_lt_u32_e64 v0, v22
	s_cbranch_execz .LBB453_5
; %bb.4:
	v_add_co_u32 v12, vcc_lo, v18, v24
	v_add_co_ci_u32_e32 v13, vcc_lo, 0, v19, vcc_lo
	flat_load_u16 v12, v[12:13]
.LBB453_5:
	s_or_b32 exec_lo, exec_lo, s2
	v_add_nc_u32_e32 v13, 64, v0
	s_delay_alu instid0(VALU_DEP_1)
	v_cmp_lt_u32_e32 vcc_lo, v13, v22
	v_mov_b32_e32 v13, v1
	s_and_saveexec_b32 s2, vcc_lo
	s_cbranch_execz .LBB453_7
; %bb.6:
	v_add_co_u32 v20, vcc_lo, v18, v24
	v_add_co_ci_u32_e32 v21, vcc_lo, 0, v19, vcc_lo
	flat_load_u16 v13, v[20:21] offset:128
.LBB453_7:
	s_or_b32 exec_lo, exec_lo, s2
	v_add_nc_u32_e32 v20, 0x80, v0
	s_delay_alu instid0(VALU_DEP_1)
	v_cmp_lt_u32_e32 vcc_lo, v20, v22
	v_mov_b32_e32 v20, v1
	s_and_saveexec_b32 s2, vcc_lo
	s_cbranch_execz .LBB453_9
; %bb.8:
	v_add_co_u32 v20, vcc_lo, v18, v24
	v_add_co_ci_u32_e32 v21, vcc_lo, 0, v19, vcc_lo
	flat_load_u16 v20, v[20:21] offset:256
.LBB453_9:
	;; [unrolled: 12-line block ×15, first 2 shown]
	s_or_b32 exec_lo, exec_lo, s2
	v_or_b32_e32 v37, 0x400, v0
	s_delay_alu instid0(VALU_DEP_1)
	v_cmp_lt_u32_e32 vcc_lo, v37, v22
	v_mov_b32_e32 v37, v1
	s_and_saveexec_b32 s2, vcc_lo
	s_cbranch_execz .LBB453_37
; %bb.36:
	v_add_co_u32 v37, vcc_lo, v18, v24
	v_add_co_ci_u32_e32 v38, vcc_lo, 0, v19, vcc_lo
	flat_load_u16 v37, v[37:38] offset:2048
.LBB453_37:
	s_or_b32 exec_lo, exec_lo, s2
	v_add_nc_u32_e32 v38, 0x440, v0
	s_delay_alu instid0(VALU_DEP_1)
	v_cmp_lt_u32_e32 vcc_lo, v38, v22
	v_mov_b32_e32 v38, v1
	s_and_saveexec_b32 s2, vcc_lo
	s_cbranch_execz .LBB453_39
; %bb.38:
	v_add_co_u32 v38, vcc_lo, v18, v24
	v_add_co_ci_u32_e32 v39, vcc_lo, 0, v19, vcc_lo
	flat_load_u16 v38, v[38:39] offset:2176
.LBB453_39:
	s_or_b32 exec_lo, exec_lo, s2
	v_add_nc_u32_e32 v39, 0x480, v0
	;; [unrolled: 12-line block ×5, first 2 shown]
	s_mov_b32 s2, exec_lo
	s_delay_alu instid0(VALU_DEP_1)
	v_cmpx_lt_u32_e64 v50, v22
	s_cbranch_execz .LBB453_47
; %bb.46:
	v_add_co_u32 v18, vcc_lo, v18, v24
	v_add_co_ci_u32_e32 v19, vcc_lo, 0, v19, vcc_lo
	flat_load_u16 v1, v[18:19] offset:2688
.LBB453_47:
	s_or_b32 exec_lo, exec_lo, s2
	s_waitcnt vmcnt(0) lgkmcnt(0)
	ds_store_b16 v24, v12
	ds_store_b16 v24, v13 offset:128
	ds_store_b16 v24, v20 offset:256
	;; [unrolled: 1-line block ×21, first 2 shown]
	s_waitcnt lgkmcnt(0)
	s_waitcnt_vscnt null, 0x0
	s_barrier
.LBB453_48:
	s_or_b32 exec_lo, exec_lo, s1
	v_mul_u32_u24_e32 v25, 22, v0
	s_waitcnt vmcnt(0) lgkmcnt(0)
	s_waitcnt_vscnt null, 0x0
	buffer_gl0_inv
	s_cmp_lg_u32 s12, 0
	v_lshlrev_b32_e32 v1, 1, v25
	ds_load_2addr_b32 v[12:13], v1 offset1:1
	ds_load_2addr_b32 v[18:19], v1 offset0:2 offset1:3
	ds_load_2addr_b32 v[20:21], v1 offset0:4 offset1:5
	;; [unrolled: 1-line block ×4, first 2 shown]
	ds_load_b32 v64, v1 offset:40
	s_waitcnt lgkmcnt(0)
	s_barrier
	buffer_gl0_inv
	v_lshrrev_b32_e32 v65, 16, v12
	v_lshrrev_b32_e32 v52, 16, v13
	v_and_b32_e32 v53, 0xffff, v13
	v_lshrrev_b32_e32 v50, 16, v18
	v_lshrrev_b32_e32 v48, 16, v19
	v_and_b32_e32 v51, 0xffff, v18
	v_and_b32_e32 v49, 0xffff, v19
	v_lshrrev_b32_e32 v38, 16, v20
	v_lshrrev_b32_e32 v36, 16, v21
	v_and_b32_e32 v39, 0xffff, v20
	;; [unrolled: 4-line block ×4, first 2 shown]
	v_and_b32_e32 v29, 0xffff, v55
	v_lshrrev_b32_e32 v26, 16, v64
	v_and_b32_e32 v27, 0xffff, v64
	v_lshlrev_b32_e32 v13, 16, v65
	s_cbranch_scc0 .LBB453_233
; %bb.49:
	s_delay_alu instid0(VALU_DEP_1) | instskip(SKIP_2) | instid1(VALU_DEP_2)
	v_max_f32_e32 v55, v13, v13
	v_lshlrev_b32_e32 v135, 16, v12
	v_cmp_u_f32_e64 s1, v13, v13
	v_max_f32_e32 v144, v135, v135
	s_delay_alu instid0(VALU_DEP_1) | instskip(SKIP_2) | instid1(VALU_DEP_1)
	v_min_f32_e32 v18, v144, v55
	v_max_f32_e32 v19, v144, v55
	v_cmp_u_f32_e64 s23, v135, v135
	v_cndmask_b32_e64 v18, v18, v135, s23
	s_delay_alu instid0(VALU_DEP_3) | instskip(NEXT) | instid1(VALU_DEP_2)
	v_cndmask_b32_e64 v19, v19, v135, s23
	v_cndmask_b32_e64 v20, v18, v13, s1
	s_delay_alu instid0(VALU_DEP_2) | instskip(SKIP_1) | instid1(VALU_DEP_3)
	v_cndmask_b32_e64 v18, v19, v13, s1
	v_mov_b32_e32 v19, v135
	v_cmp_class_f32_e64 s2, v20, 0x1f8
	s_delay_alu instid0(VALU_DEP_3) | instskip(NEXT) | instid1(VALU_DEP_2)
	v_cmp_neq_f32_e32 vcc_lo, v20, v18
	s_or_b32 s3, vcc_lo, s2
	s_delay_alu instid0(SALU_CYCLE_1)
	s_and_saveexec_b32 s2, s3
	s_cbranch_execz .LBB453_51
; %bb.50:
	v_sub_f32_e32 v19, v20, v18
	s_mov_b32 s3, 0x3e9b6dac
	s_delay_alu instid0(VALU_DEP_1) | instskip(SKIP_1) | instid1(VALU_DEP_2)
	v_mul_f32_e32 v20, 0x3fb8aa3b, v19
	v_cmp_ngt_f32_e32 vcc_lo, 0xc2ce8ed0, v19
	v_fma_f32 v21, 0x3fb8aa3b, v19, -v20
	v_rndne_f32_e32 v54, v20
	s_delay_alu instid0(VALU_DEP_1) | instskip(NEXT) | instid1(VALU_DEP_1)
	v_dual_fmamk_f32 v21, v19, 0x32a5705f, v21 :: v_dual_sub_f32 v20, v20, v54
	v_add_f32_e32 v20, v20, v21
	v_cvt_i32_f32_e32 v21, v54
	s_delay_alu instid0(VALU_DEP_2) | instskip(SKIP_2) | instid1(VALU_DEP_1)
	v_exp_f32_e32 v20, v20
	s_waitcnt_depctr 0xfff
	v_ldexp_f32 v20, v20, v21
	v_cndmask_b32_e32 v20, 0, v20, vcc_lo
	v_cmp_nlt_f32_e32 vcc_lo, 0x42b17218, v19
	s_delay_alu instid0(VALU_DEP_2) | instskip(NEXT) | instid1(VALU_DEP_1)
	v_cndmask_b32_e32 v21, 0x7f800000, v20, vcc_lo
	v_add_f32_e32 v54, 1.0, v21
	s_delay_alu instid0(VALU_DEP_1) | instskip(NEXT) | instid1(VALU_DEP_1)
	v_cvt_f64_f32_e32 v[19:20], v54
	v_frexp_exp_i32_f64_e32 v19, v[19:20]
	v_frexp_mant_f32_e32 v20, v54
	s_delay_alu instid0(VALU_DEP_1) | instskip(SKIP_1) | instid1(VALU_DEP_1)
	v_cmp_gt_f32_e32 vcc_lo, 0x3f2aaaab, v20
	v_add_f32_e32 v20, -1.0, v54
	v_dual_sub_f32 v65, v20, v54 :: v_dual_sub_f32 v20, v21, v20
	s_delay_alu instid0(VALU_DEP_1) | instskip(NEXT) | instid1(VALU_DEP_1)
	v_add_f32_e32 v65, 1.0, v65
	v_add_f32_e32 v20, v20, v65
	v_subrev_co_ci_u32_e32 v19, vcc_lo, 0, v19, vcc_lo
	v_cmp_eq_f32_e32 vcc_lo, 0x7f800000, v21
	s_delay_alu instid0(VALU_DEP_2) | instskip(SKIP_1) | instid1(VALU_DEP_2)
	v_sub_nc_u32_e32 v64, 0, v19
	v_cvt_f32_i32_e32 v19, v19
	v_ldexp_f32 v54, v54, v64
	v_ldexp_f32 v20, v20, v64
	s_delay_alu instid0(VALU_DEP_2) | instskip(NEXT) | instid1(VALU_DEP_1)
	v_add_f32_e32 v66, 1.0, v54
	v_add_f32_e32 v65, -1.0, v66
	s_delay_alu instid0(VALU_DEP_1) | instskip(NEXT) | instid1(VALU_DEP_1)
	v_dual_sub_f32 v65, v54, v65 :: v_dual_add_f32 v64, -1.0, v54
	v_add_f32_e32 v65, v20, v65
	s_delay_alu instid0(VALU_DEP_2) | instskip(NEXT) | instid1(VALU_DEP_1)
	v_add_f32_e32 v67, 1.0, v64
	v_sub_f32_e32 v54, v54, v67
	s_delay_alu instid0(VALU_DEP_1) | instskip(NEXT) | instid1(VALU_DEP_1)
	v_dual_add_f32 v67, v66, v65 :: v_dual_add_f32 v20, v20, v54
	v_rcp_f32_e32 v54, v67
	v_sub_f32_e32 v66, v66, v67
	s_delay_alu instid0(VALU_DEP_1) | instskip(SKIP_2) | instid1(VALU_DEP_1)
	v_dual_add_f32 v68, v64, v20 :: v_dual_add_f32 v65, v65, v66
	s_waitcnt_depctr 0xfff
	v_mul_f32_e32 v69, v68, v54
	v_mul_f32_e32 v70, v67, v69
	s_delay_alu instid0(VALU_DEP_1) | instskip(NEXT) | instid1(VALU_DEP_1)
	v_fma_f32 v66, v69, v67, -v70
	v_fmac_f32_e32 v66, v69, v65
	s_delay_alu instid0(VALU_DEP_1) | instskip(NEXT) | instid1(VALU_DEP_1)
	v_dual_add_f32 v71, v70, v66 :: v_dual_sub_f32 v64, v64, v68
	v_sub_f32_e32 v80, v68, v71
	s_delay_alu instid0(VALU_DEP_2) | instskip(SKIP_1) | instid1(VALU_DEP_3)
	v_add_f32_e32 v20, v20, v64
	v_sub_f32_e32 v64, v71, v70
	v_sub_f32_e32 v68, v68, v80
	s_delay_alu instid0(VALU_DEP_2) | instskip(NEXT) | instid1(VALU_DEP_2)
	v_sub_f32_e32 v64, v64, v66
	v_sub_f32_e32 v68, v68, v71
	s_delay_alu instid0(VALU_DEP_1) | instskip(NEXT) | instid1(VALU_DEP_1)
	v_add_f32_e32 v20, v20, v68
	v_add_f32_e32 v20, v64, v20
	s_delay_alu instid0(VALU_DEP_1) | instskip(NEXT) | instid1(VALU_DEP_1)
	v_add_f32_e32 v64, v80, v20
	v_mul_f32_e32 v66, v54, v64
	s_delay_alu instid0(VALU_DEP_1) | instskip(NEXT) | instid1(VALU_DEP_1)
	v_mul_f32_e32 v68, v67, v66
	v_fma_f32 v67, v66, v67, -v68
	s_delay_alu instid0(VALU_DEP_1) | instskip(SKIP_1) | instid1(VALU_DEP_2)
	v_fmac_f32_e32 v67, v66, v65
	v_sub_f32_e32 v71, v80, v64
	v_add_f32_e32 v65, v68, v67
	s_delay_alu instid0(VALU_DEP_2) | instskip(NEXT) | instid1(VALU_DEP_2)
	v_add_f32_e32 v20, v20, v71
	v_sub_f32_e32 v70, v64, v65
	v_sub_f32_e32 v68, v65, v68
	s_delay_alu instid0(VALU_DEP_2) | instskip(NEXT) | instid1(VALU_DEP_1)
	v_sub_f32_e32 v64, v64, v70
	v_sub_f32_e32 v64, v64, v65
	s_delay_alu instid0(VALU_DEP_3) | instskip(NEXT) | instid1(VALU_DEP_2)
	v_sub_f32_e32 v65, v68, v67
	v_add_f32_e32 v20, v20, v64
	v_add_f32_e32 v64, v69, v66
	s_delay_alu instid0(VALU_DEP_1) | instskip(NEXT) | instid1(VALU_DEP_1)
	v_dual_add_f32 v20, v65, v20 :: v_dual_sub_f32 v65, v64, v69
	v_add_f32_e32 v20, v70, v20
	s_delay_alu instid0(VALU_DEP_2) | instskip(NEXT) | instid1(VALU_DEP_2)
	v_sub_f32_e32 v65, v66, v65
	v_mul_f32_e32 v20, v54, v20
	s_delay_alu instid0(VALU_DEP_1) | instskip(NEXT) | instid1(VALU_DEP_1)
	v_add_f32_e32 v20, v65, v20
	v_add_f32_e32 v54, v64, v20
	s_delay_alu instid0(VALU_DEP_1) | instskip(NEXT) | instid1(VALU_DEP_1)
	v_mul_f32_e32 v65, v54, v54
	v_fmaak_f32 v66, s3, v65, 0x3ecc95a3
	v_mul_f32_e32 v67, v54, v65
	v_cmp_gt_f32_e64 s3, 0x33800000, |v21|
	s_delay_alu instid0(VALU_DEP_3) | instskip(SKIP_2) | instid1(VALU_DEP_4)
	v_fmaak_f32 v65, v65, v66, 0x3f2aaada
	v_ldexp_f32 v66, v54, 1
	v_sub_f32_e32 v54, v54, v64
	s_or_b32 vcc_lo, vcc_lo, s3
	s_delay_alu instid0(VALU_DEP_3) | instskip(NEXT) | instid1(VALU_DEP_2)
	v_mul_f32_e32 v65, v67, v65
	v_dual_mul_f32 v67, 0x3f317218, v19 :: v_dual_sub_f32 v20, v20, v54
	s_delay_alu instid0(VALU_DEP_2) | instskip(NEXT) | instid1(VALU_DEP_2)
	v_add_f32_e32 v64, v66, v65
	v_ldexp_f32 v20, v20, 1
	s_delay_alu instid0(VALU_DEP_2) | instskip(NEXT) | instid1(VALU_DEP_4)
	v_sub_f32_e32 v54, v64, v66
	v_fma_f32 v66, 0x3f317218, v19, -v67
	s_delay_alu instid0(VALU_DEP_1) | instskip(NEXT) | instid1(VALU_DEP_1)
	v_dual_sub_f32 v54, v65, v54 :: v_dual_fmamk_f32 v19, v19, 0xb102e308, v66
	v_add_f32_e32 v20, v20, v54
	s_delay_alu instid0(VALU_DEP_1) | instskip(NEXT) | instid1(VALU_DEP_1)
	v_dual_add_f32 v54, v67, v19 :: v_dual_add_f32 v65, v64, v20
	v_sub_f32_e32 v67, v54, v67
	s_delay_alu instid0(VALU_DEP_2) | instskip(NEXT) | instid1(VALU_DEP_2)
	v_add_f32_e32 v66, v54, v65
	v_dual_sub_f32 v64, v65, v64 :: v_dual_sub_f32 v19, v19, v67
	s_delay_alu instid0(VALU_DEP_2) | instskip(NEXT) | instid1(VALU_DEP_2)
	v_sub_f32_e32 v68, v66, v54
	v_sub_f32_e32 v20, v20, v64
	s_delay_alu instid0(VALU_DEP_2) | instskip(SKIP_1) | instid1(VALU_DEP_2)
	v_sub_f32_e32 v69, v66, v68
	v_sub_f32_e32 v64, v65, v68
	v_dual_add_f32 v65, v19, v20 :: v_dual_sub_f32 v54, v54, v69
	s_delay_alu instid0(VALU_DEP_1) | instskip(NEXT) | instid1(VALU_DEP_2)
	v_add_f32_e32 v54, v64, v54
	v_sub_f32_e32 v64, v65, v19
	s_delay_alu instid0(VALU_DEP_2) | instskip(NEXT) | instid1(VALU_DEP_2)
	v_add_f32_e32 v54, v65, v54
	v_sub_f32_e32 v65, v65, v64
	s_delay_alu instid0(VALU_DEP_2) | instskip(NEXT) | instid1(VALU_DEP_2)
	v_dual_sub_f32 v20, v20, v64 :: v_dual_add_f32 v67, v66, v54
	v_sub_f32_e32 v19, v19, v65
	s_delay_alu instid0(VALU_DEP_1) | instskip(NEXT) | instid1(VALU_DEP_1)
	v_dual_sub_f32 v64, v67, v66 :: v_dual_add_f32 v19, v20, v19
	v_sub_f32_e32 v20, v54, v64
	s_delay_alu instid0(VALU_DEP_1) | instskip(NEXT) | instid1(VALU_DEP_1)
	v_add_f32_e32 v19, v19, v20
	v_add_f32_e32 v19, v67, v19
	s_delay_alu instid0(VALU_DEP_1) | instskip(NEXT) | instid1(VALU_DEP_1)
	v_cndmask_b32_e32 v19, v19, v21, vcc_lo
	v_add_f32_e32 v19, v18, v19
.LBB453_51:
	s_or_b32 exec_lo, exec_lo, s2
	s_delay_alu instid0(VALU_DEP_1) | instskip(SKIP_1) | instid1(VALU_DEP_2)
	v_bfe_u32 v18, v19, 16, 1
	v_cmp_o_f32_e32 vcc_lo, v19, v19
	v_add3_u32 v18, v19, v18, 0x7fff
	s_delay_alu instid0(VALU_DEP_1) | instskip(NEXT) | instid1(VALU_DEP_1)
	v_and_b32_e32 v18, 0xffff0000, v18
	v_dual_cndmask_b32 v19, 0x7fc00000, v18 :: v_dual_lshlrev_b32 v54, 16, v53
	s_delay_alu instid0(VALU_DEP_1) | instskip(SKIP_1) | instid1(VALU_DEP_3)
	v_max_f32_e32 v66, v54, v54
	v_cmp_u_f32_e64 s2, v54, v54
	v_max_f32_e32 v18, v19, v19
	v_cmp_u_f32_e32 vcc_lo, v19, v19
	s_delay_alu instid0(VALU_DEP_2) | instskip(SKIP_1) | instid1(VALU_DEP_2)
	v_min_f32_e32 v20, v18, v66
	v_max_f32_e32 v18, v18, v66
	v_cndmask_b32_e32 v20, v20, v19, vcc_lo
	s_delay_alu instid0(VALU_DEP_2) | instskip(NEXT) | instid1(VALU_DEP_2)
	v_cndmask_b32_e32 v18, v18, v19, vcc_lo
	v_cndmask_b32_e64 v20, v20, v54, s2
	s_delay_alu instid0(VALU_DEP_2) | instskip(NEXT) | instid1(VALU_DEP_2)
	v_cndmask_b32_e64 v18, v18, v54, s2
	v_cmp_class_f32_e64 s3, v20, 0x1f8
	s_delay_alu instid0(VALU_DEP_2) | instskip(NEXT) | instid1(VALU_DEP_2)
	v_cmp_neq_f32_e32 vcc_lo, v20, v18
	s_or_b32 s4, vcc_lo, s3
	s_delay_alu instid0(SALU_CYCLE_1)
	s_and_saveexec_b32 s3, s4
	s_cbranch_execz .LBB453_53
; %bb.52:
	v_sub_f32_e32 v19, v20, v18
	s_mov_b32 s4, 0x3e9b6dac
	s_delay_alu instid0(VALU_DEP_1) | instskip(SKIP_1) | instid1(VALU_DEP_2)
	v_mul_f32_e32 v20, 0x3fb8aa3b, v19
	v_cmp_ngt_f32_e32 vcc_lo, 0xc2ce8ed0, v19
	v_fma_f32 v21, 0x3fb8aa3b, v19, -v20
	v_rndne_f32_e32 v64, v20
	s_delay_alu instid0(VALU_DEP_1) | instskip(NEXT) | instid1(VALU_DEP_1)
	v_dual_fmamk_f32 v21, v19, 0x32a5705f, v21 :: v_dual_sub_f32 v20, v20, v64
	v_add_f32_e32 v20, v20, v21
	v_cvt_i32_f32_e32 v21, v64
	s_delay_alu instid0(VALU_DEP_2) | instskip(SKIP_2) | instid1(VALU_DEP_1)
	v_exp_f32_e32 v20, v20
	s_waitcnt_depctr 0xfff
	v_ldexp_f32 v20, v20, v21
	v_cndmask_b32_e32 v20, 0, v20, vcc_lo
	v_cmp_nlt_f32_e32 vcc_lo, 0x42b17218, v19
	s_delay_alu instid0(VALU_DEP_2) | instskip(NEXT) | instid1(VALU_DEP_1)
	v_cndmask_b32_e32 v21, 0x7f800000, v20, vcc_lo
	v_add_f32_e32 v64, 1.0, v21
	s_delay_alu instid0(VALU_DEP_1) | instskip(NEXT) | instid1(VALU_DEP_1)
	v_cvt_f64_f32_e32 v[19:20], v64
	v_frexp_exp_i32_f64_e32 v19, v[19:20]
	v_frexp_mant_f32_e32 v20, v64
	s_delay_alu instid0(VALU_DEP_1) | instskip(SKIP_1) | instid1(VALU_DEP_1)
	v_cmp_gt_f32_e32 vcc_lo, 0x3f2aaaab, v20
	v_add_f32_e32 v20, -1.0, v64
	v_sub_f32_e32 v67, v20, v64
	s_delay_alu instid0(VALU_DEP_1) | instskip(NEXT) | instid1(VALU_DEP_1)
	v_dual_sub_f32 v20, v21, v20 :: v_dual_add_f32 v67, 1.0, v67
	v_add_f32_e32 v20, v20, v67
	v_subrev_co_ci_u32_e32 v19, vcc_lo, 0, v19, vcc_lo
	v_cmp_eq_f32_e32 vcc_lo, 0x7f800000, v21
	s_delay_alu instid0(VALU_DEP_2) | instskip(SKIP_1) | instid1(VALU_DEP_2)
	v_sub_nc_u32_e32 v65, 0, v19
	v_cvt_f32_i32_e32 v19, v19
	v_ldexp_f32 v64, v64, v65
	v_ldexp_f32 v20, v20, v65
	s_delay_alu instid0(VALU_DEP_2) | instskip(NEXT) | instid1(VALU_DEP_1)
	v_add_f32_e32 v65, -1.0, v64
	v_dual_add_f32 v68, 1.0, v64 :: v_dual_add_f32 v69, 1.0, v65
	s_delay_alu instid0(VALU_DEP_1) | instskip(NEXT) | instid1(VALU_DEP_1)
	v_add_f32_e32 v67, -1.0, v68
	v_sub_f32_e32 v67, v64, v67
	s_delay_alu instid0(VALU_DEP_3) | instskip(NEXT) | instid1(VALU_DEP_2)
	v_sub_f32_e32 v64, v64, v69
	v_add_f32_e32 v67, v20, v67
	s_delay_alu instid0(VALU_DEP_2) | instskip(NEXT) | instid1(VALU_DEP_1)
	v_add_f32_e32 v20, v20, v64
	v_add_f32_e32 v70, v65, v20
	s_delay_alu instid0(VALU_DEP_1) | instskip(NEXT) | instid1(VALU_DEP_4)
	v_sub_f32_e32 v65, v65, v70
	v_add_f32_e32 v69, v68, v67
	s_delay_alu instid0(VALU_DEP_1) | instskip(SKIP_1) | instid1(VALU_DEP_1)
	v_rcp_f32_e32 v64, v69
	v_sub_f32_e32 v68, v68, v69
	v_add_f32_e32 v67, v67, v68
	s_waitcnt_depctr 0xfff
	v_mul_f32_e32 v71, v70, v64
	s_delay_alu instid0(VALU_DEP_1) | instskip(NEXT) | instid1(VALU_DEP_1)
	v_mul_f32_e32 v80, v69, v71
	v_fma_f32 v68, v71, v69, -v80
	s_delay_alu instid0(VALU_DEP_1) | instskip(SKIP_1) | instid1(VALU_DEP_2)
	v_fmac_f32_e32 v68, v71, v67
	v_add_f32_e32 v20, v20, v65
	v_add_f32_e32 v81, v80, v68
	s_delay_alu instid0(VALU_DEP_1) | instskip(NEXT) | instid1(VALU_DEP_1)
	v_dual_sub_f32 v82, v70, v81 :: v_dual_sub_f32 v65, v81, v80
	v_dual_sub_f32 v70, v70, v82 :: v_dual_sub_f32 v65, v65, v68
	s_delay_alu instid0(VALU_DEP_1) | instskip(NEXT) | instid1(VALU_DEP_1)
	v_sub_f32_e32 v70, v70, v81
	v_add_f32_e32 v20, v20, v70
	s_delay_alu instid0(VALU_DEP_1) | instskip(NEXT) | instid1(VALU_DEP_1)
	v_add_f32_e32 v20, v65, v20
	v_add_f32_e32 v65, v82, v20
	s_delay_alu instid0(VALU_DEP_1) | instskip(NEXT) | instid1(VALU_DEP_1)
	v_mul_f32_e32 v68, v64, v65
	v_dual_sub_f32 v81, v82, v65 :: v_dual_mul_f32 v70, v69, v68
	s_delay_alu instid0(VALU_DEP_1) | instskip(NEXT) | instid1(VALU_DEP_1)
	v_fma_f32 v69, v68, v69, -v70
	v_fmac_f32_e32 v69, v68, v67
	s_delay_alu instid0(VALU_DEP_1) | instskip(NEXT) | instid1(VALU_DEP_1)
	v_add_f32_e32 v67, v70, v69
	v_sub_f32_e32 v80, v65, v67
	s_delay_alu instid0(VALU_DEP_1) | instskip(NEXT) | instid1(VALU_DEP_1)
	v_dual_sub_f32 v70, v67, v70 :: v_dual_sub_f32 v65, v65, v80
	v_sub_f32_e32 v65, v65, v67
	s_delay_alu instid0(VALU_DEP_2) | instskip(SKIP_1) | instid1(VALU_DEP_1)
	v_sub_f32_e32 v67, v70, v69
	v_add_f32_e32 v20, v20, v81
	v_dual_add_f32 v20, v20, v65 :: v_dual_add_f32 v65, v71, v68
	s_delay_alu instid0(VALU_DEP_1) | instskip(NEXT) | instid1(VALU_DEP_1)
	v_dual_add_f32 v20, v67, v20 :: v_dual_sub_f32 v67, v65, v71
	v_add_f32_e32 v20, v80, v20
	s_delay_alu instid0(VALU_DEP_2) | instskip(NEXT) | instid1(VALU_DEP_2)
	v_sub_f32_e32 v67, v68, v67
	v_mul_f32_e32 v20, v64, v20
	s_delay_alu instid0(VALU_DEP_1) | instskip(NEXT) | instid1(VALU_DEP_1)
	v_add_f32_e32 v20, v67, v20
	v_add_f32_e32 v64, v65, v20
	s_delay_alu instid0(VALU_DEP_1) | instskip(NEXT) | instid1(VALU_DEP_1)
	v_mul_f32_e32 v67, v64, v64
	v_fmaak_f32 v68, s4, v67, 0x3ecc95a3
	v_mul_f32_e32 v69, v64, v67
	v_cmp_gt_f32_e64 s4, 0x33800000, |v21|
	s_delay_alu instid0(VALU_DEP_3) | instskip(SKIP_2) | instid1(VALU_DEP_4)
	v_fmaak_f32 v67, v67, v68, 0x3f2aaada
	v_ldexp_f32 v68, v64, 1
	v_sub_f32_e32 v64, v64, v65
	s_or_b32 vcc_lo, vcc_lo, s4
	s_delay_alu instid0(VALU_DEP_3) | instskip(SKIP_1) | instid1(VALU_DEP_2)
	v_mul_f32_e32 v67, v69, v67
	v_mul_f32_e32 v69, 0x3f317218, v19
	v_add_f32_e32 v65, v68, v67
	v_sub_f32_e32 v20, v20, v64
	s_delay_alu instid0(VALU_DEP_2) | instskip(NEXT) | instid1(VALU_DEP_4)
	v_sub_f32_e32 v64, v65, v68
	v_fma_f32 v68, 0x3f317218, v19, -v69
	s_delay_alu instid0(VALU_DEP_3) | instskip(NEXT) | instid1(VALU_DEP_3)
	v_ldexp_f32 v20, v20, 1
	v_sub_f32_e32 v64, v67, v64
	s_delay_alu instid0(VALU_DEP_1) | instskip(NEXT) | instid1(VALU_DEP_1)
	v_dual_fmamk_f32 v19, v19, 0xb102e308, v68 :: v_dual_add_f32 v20, v20, v64
	v_add_f32_e32 v64, v69, v19
	s_delay_alu instid0(VALU_DEP_1) | instskip(NEXT) | instid1(VALU_DEP_1)
	v_sub_f32_e32 v69, v64, v69
	v_sub_f32_e32 v19, v19, v69
	s_delay_alu instid0(VALU_DEP_4) | instskip(NEXT) | instid1(VALU_DEP_1)
	v_add_f32_e32 v67, v65, v20
	v_dual_add_f32 v68, v64, v67 :: v_dual_sub_f32 v65, v67, v65
	s_delay_alu instid0(VALU_DEP_1) | instskip(NEXT) | instid1(VALU_DEP_1)
	v_sub_f32_e32 v70, v68, v64
	v_dual_sub_f32 v20, v20, v65 :: v_dual_sub_f32 v65, v67, v70
	v_sub_f32_e32 v71, v68, v70
	s_delay_alu instid0(VALU_DEP_1) | instskip(NEXT) | instid1(VALU_DEP_1)
	v_dual_add_f32 v67, v19, v20 :: v_dual_sub_f32 v64, v64, v71
	v_dual_add_f32 v64, v65, v64 :: v_dual_sub_f32 v65, v67, v19
	s_delay_alu instid0(VALU_DEP_1) | instskip(NEXT) | instid1(VALU_DEP_2)
	v_add_f32_e32 v64, v67, v64
	v_sub_f32_e32 v67, v67, v65
	s_delay_alu instid0(VALU_DEP_2) | instskip(NEXT) | instid1(VALU_DEP_2)
	v_add_f32_e32 v69, v68, v64
	v_dual_sub_f32 v19, v19, v67 :: v_dual_sub_f32 v20, v20, v65
	s_delay_alu instid0(VALU_DEP_2) | instskip(NEXT) | instid1(VALU_DEP_2)
	v_sub_f32_e32 v65, v69, v68
	v_add_f32_e32 v19, v20, v19
	s_delay_alu instid0(VALU_DEP_2) | instskip(NEXT) | instid1(VALU_DEP_1)
	v_sub_f32_e32 v20, v64, v65
	v_add_f32_e32 v19, v19, v20
	s_delay_alu instid0(VALU_DEP_1) | instskip(NEXT) | instid1(VALU_DEP_1)
	v_add_f32_e32 v19, v69, v19
	v_cndmask_b32_e32 v19, v19, v21, vcc_lo
	s_delay_alu instid0(VALU_DEP_1)
	v_add_f32_e32 v19, v18, v19
.LBB453_53:
	s_or_b32 exec_lo, exec_lo, s3
	s_delay_alu instid0(VALU_DEP_1) | instskip(SKIP_1) | instid1(VALU_DEP_2)
	v_bfe_u32 v18, v19, 16, 1
	v_cmp_o_f32_e32 vcc_lo, v19, v19
	v_add3_u32 v18, v19, v18, 0x7fff
	s_delay_alu instid0(VALU_DEP_1) | instskip(NEXT) | instid1(VALU_DEP_1)
	v_and_b32_e32 v18, 0xffff0000, v18
	v_dual_cndmask_b32 v19, 0x7fc00000, v18 :: v_dual_lshlrev_b32 v64, 16, v52
	s_delay_alu instid0(VALU_DEP_1) | instskip(SKIP_1) | instid1(VALU_DEP_3)
	v_max_f32_e32 v68, v64, v64
	v_cmp_u_f32_e64 s3, v64, v64
	v_max_f32_e32 v18, v19, v19
	v_cmp_u_f32_e32 vcc_lo, v19, v19
	s_delay_alu instid0(VALU_DEP_2) | instskip(SKIP_1) | instid1(VALU_DEP_2)
	v_min_f32_e32 v20, v18, v68
	v_max_f32_e32 v18, v18, v68
	v_cndmask_b32_e32 v20, v20, v19, vcc_lo
	s_delay_alu instid0(VALU_DEP_2) | instskip(NEXT) | instid1(VALU_DEP_2)
	v_cndmask_b32_e32 v18, v18, v19, vcc_lo
	v_cndmask_b32_e64 v20, v20, v64, s3
	s_delay_alu instid0(VALU_DEP_2) | instskip(NEXT) | instid1(VALU_DEP_2)
	v_cndmask_b32_e64 v18, v18, v64, s3
	v_cmp_class_f32_e64 s4, v20, 0x1f8
	s_delay_alu instid0(VALU_DEP_2) | instskip(NEXT) | instid1(VALU_DEP_2)
	v_cmp_neq_f32_e32 vcc_lo, v20, v18
	s_or_b32 s5, vcc_lo, s4
	s_delay_alu instid0(SALU_CYCLE_1)
	s_and_saveexec_b32 s4, s5
	s_cbranch_execz .LBB453_55
; %bb.54:
	v_sub_f32_e32 v19, v20, v18
	s_mov_b32 s5, 0x3e9b6dac
	s_delay_alu instid0(VALU_DEP_1) | instskip(SKIP_1) | instid1(VALU_DEP_2)
	v_mul_f32_e32 v20, 0x3fb8aa3b, v19
	v_cmp_ngt_f32_e32 vcc_lo, 0xc2ce8ed0, v19
	v_fma_f32 v21, 0x3fb8aa3b, v19, -v20
	v_rndne_f32_e32 v65, v20
	s_delay_alu instid0(VALU_DEP_1) | instskip(NEXT) | instid1(VALU_DEP_1)
	v_dual_fmamk_f32 v21, v19, 0x32a5705f, v21 :: v_dual_sub_f32 v20, v20, v65
	v_add_f32_e32 v20, v20, v21
	v_cvt_i32_f32_e32 v21, v65
	s_delay_alu instid0(VALU_DEP_2) | instskip(SKIP_2) | instid1(VALU_DEP_1)
	v_exp_f32_e32 v20, v20
	s_waitcnt_depctr 0xfff
	v_ldexp_f32 v20, v20, v21
	v_cndmask_b32_e32 v20, 0, v20, vcc_lo
	v_cmp_nlt_f32_e32 vcc_lo, 0x42b17218, v19
	s_delay_alu instid0(VALU_DEP_2) | instskip(NEXT) | instid1(VALU_DEP_1)
	v_cndmask_b32_e32 v21, 0x7f800000, v20, vcc_lo
	v_add_f32_e32 v65, 1.0, v21
	s_delay_alu instid0(VALU_DEP_1) | instskip(NEXT) | instid1(VALU_DEP_1)
	v_cvt_f64_f32_e32 v[19:20], v65
	v_frexp_exp_i32_f64_e32 v19, v[19:20]
	v_frexp_mant_f32_e32 v20, v65
	s_delay_alu instid0(VALU_DEP_1) | instskip(SKIP_1) | instid1(VALU_DEP_1)
	v_cmp_gt_f32_e32 vcc_lo, 0x3f2aaaab, v20
	v_add_f32_e32 v20, -1.0, v65
	v_dual_sub_f32 v69, v20, v65 :: v_dual_sub_f32 v20, v21, v20
	s_delay_alu instid0(VALU_DEP_1) | instskip(SKIP_2) | instid1(VALU_DEP_2)
	v_add_f32_e32 v69, 1.0, v69
	v_subrev_co_ci_u32_e32 v19, vcc_lo, 0, v19, vcc_lo
	v_cmp_eq_f32_e32 vcc_lo, 0x7f800000, v21
	v_sub_nc_u32_e32 v67, 0, v19
	v_cvt_f32_i32_e32 v19, v19
	s_delay_alu instid0(VALU_DEP_2) | instskip(SKIP_1) | instid1(VALU_DEP_1)
	v_ldexp_f32 v65, v65, v67
	v_add_f32_e32 v20, v20, v69
	v_ldexp_f32 v20, v20, v67
	s_delay_alu instid0(VALU_DEP_3) | instskip(NEXT) | instid1(VALU_DEP_1)
	v_add_f32_e32 v67, -1.0, v65
	v_dual_add_f32 v70, 1.0, v65 :: v_dual_add_f32 v71, 1.0, v67
	s_delay_alu instid0(VALU_DEP_1) | instskip(NEXT) | instid1(VALU_DEP_1)
	v_add_f32_e32 v69, -1.0, v70
	v_sub_f32_e32 v69, v65, v69
	s_delay_alu instid0(VALU_DEP_3) | instskip(NEXT) | instid1(VALU_DEP_2)
	v_sub_f32_e32 v65, v65, v71
	v_add_f32_e32 v69, v20, v69
	s_delay_alu instid0(VALU_DEP_1) | instskip(NEXT) | instid1(VALU_DEP_1)
	v_add_f32_e32 v71, v70, v69
	v_sub_f32_e32 v70, v70, v71
	s_delay_alu instid0(VALU_DEP_4) | instskip(SKIP_1) | instid1(VALU_DEP_1)
	v_add_f32_e32 v20, v20, v65
	v_rcp_f32_e32 v65, v71
	v_dual_add_f32 v69, v69, v70 :: v_dual_add_f32 v80, v67, v20
	s_delay_alu instid0(VALU_DEP_1) | instskip(SKIP_3) | instid1(VALU_DEP_2)
	v_sub_f32_e32 v67, v67, v80
	s_waitcnt_depctr 0xfff
	v_mul_f32_e32 v81, v80, v65
	v_add_f32_e32 v20, v20, v67
	v_mul_f32_e32 v82, v71, v81
	s_delay_alu instid0(VALU_DEP_1) | instskip(NEXT) | instid1(VALU_DEP_1)
	v_fma_f32 v70, v81, v71, -v82
	v_fmac_f32_e32 v70, v81, v69
	s_delay_alu instid0(VALU_DEP_1) | instskip(NEXT) | instid1(VALU_DEP_1)
	v_add_f32_e32 v83, v82, v70
	v_sub_f32_e32 v84, v80, v83
	s_delay_alu instid0(VALU_DEP_1) | instskip(NEXT) | instid1(VALU_DEP_1)
	v_dual_sub_f32 v80, v80, v84 :: v_dual_sub_f32 v67, v83, v82
	v_dual_sub_f32 v80, v80, v83 :: v_dual_sub_f32 v67, v67, v70
	s_delay_alu instid0(VALU_DEP_1) | instskip(NEXT) | instid1(VALU_DEP_1)
	v_add_f32_e32 v20, v20, v80
	v_add_f32_e32 v20, v67, v20
	s_delay_alu instid0(VALU_DEP_1) | instskip(NEXT) | instid1(VALU_DEP_1)
	v_add_f32_e32 v67, v84, v20
	v_mul_f32_e32 v70, v65, v67
	s_delay_alu instid0(VALU_DEP_1) | instskip(NEXT) | instid1(VALU_DEP_1)
	v_dual_sub_f32 v83, v84, v67 :: v_dual_mul_f32 v80, v71, v70
	v_add_f32_e32 v20, v20, v83
	s_delay_alu instid0(VALU_DEP_2) | instskip(NEXT) | instid1(VALU_DEP_1)
	v_fma_f32 v71, v70, v71, -v80
	v_fmac_f32_e32 v71, v70, v69
	s_delay_alu instid0(VALU_DEP_1) | instskip(NEXT) | instid1(VALU_DEP_1)
	v_add_f32_e32 v69, v80, v71
	v_sub_f32_e32 v82, v67, v69
	s_delay_alu instid0(VALU_DEP_1) | instskip(NEXT) | instid1(VALU_DEP_1)
	v_dual_sub_f32 v67, v67, v82 :: v_dual_sub_f32 v80, v69, v80
	v_sub_f32_e32 v67, v67, v69
	s_delay_alu instid0(VALU_DEP_2) | instskip(NEXT) | instid1(VALU_DEP_2)
	v_sub_f32_e32 v69, v80, v71
	v_dual_add_f32 v20, v20, v67 :: v_dual_add_f32 v67, v81, v70
	s_delay_alu instid0(VALU_DEP_1) | instskip(NEXT) | instid1(VALU_DEP_1)
	v_dual_add_f32 v20, v69, v20 :: v_dual_sub_f32 v69, v67, v81
	v_add_f32_e32 v20, v82, v20
	s_delay_alu instid0(VALU_DEP_1) | instskip(NEXT) | instid1(VALU_DEP_1)
	v_dual_sub_f32 v69, v70, v69 :: v_dual_mul_f32 v20, v65, v20
	v_add_f32_e32 v20, v69, v20
	s_delay_alu instid0(VALU_DEP_1) | instskip(NEXT) | instid1(VALU_DEP_1)
	v_add_f32_e32 v65, v67, v20
	v_mul_f32_e32 v69, v65, v65
	s_delay_alu instid0(VALU_DEP_1) | instskip(SKIP_2) | instid1(VALU_DEP_3)
	v_fmaak_f32 v70, s5, v69, 0x3ecc95a3
	v_mul_f32_e32 v71, v65, v69
	v_cmp_gt_f32_e64 s5, 0x33800000, |v21|
	v_fmaak_f32 v69, v69, v70, 0x3f2aaada
	v_ldexp_f32 v70, v65, 1
	v_sub_f32_e32 v65, v65, v67
	s_delay_alu instid0(VALU_DEP_4) | instskip(NEXT) | instid1(VALU_DEP_3)
	s_or_b32 vcc_lo, vcc_lo, s5
	v_mul_f32_e32 v69, v71, v69
	s_delay_alu instid0(VALU_DEP_2) | instskip(NEXT) | instid1(VALU_DEP_2)
	v_sub_f32_e32 v20, v20, v65
	v_add_f32_e32 v67, v70, v69
	s_delay_alu instid0(VALU_DEP_2) | instskip(NEXT) | instid1(VALU_DEP_2)
	v_ldexp_f32 v20, v20, 1
	v_sub_f32_e32 v65, v67, v70
	s_delay_alu instid0(VALU_DEP_1) | instskip(NEXT) | instid1(VALU_DEP_1)
	v_sub_f32_e32 v65, v69, v65
	v_dual_mul_f32 v71, 0x3f317218, v19 :: v_dual_add_f32 v20, v20, v65
	s_delay_alu instid0(VALU_DEP_1) | instskip(NEXT) | instid1(VALU_DEP_2)
	v_fma_f32 v70, 0x3f317218, v19, -v71
	v_add_f32_e32 v69, v67, v20
	s_delay_alu instid0(VALU_DEP_2) | instskip(NEXT) | instid1(VALU_DEP_1)
	v_fmamk_f32 v19, v19, 0xb102e308, v70
	v_add_f32_e32 v65, v71, v19
	s_delay_alu instid0(VALU_DEP_1) | instskip(NEXT) | instid1(VALU_DEP_1)
	v_add_f32_e32 v70, v65, v69
	v_dual_sub_f32 v71, v65, v71 :: v_dual_sub_f32 v80, v70, v65
	v_sub_f32_e32 v67, v69, v67
	s_delay_alu instid0(VALU_DEP_2) | instskip(NEXT) | instid1(VALU_DEP_2)
	v_sub_f32_e32 v19, v19, v71
	v_dual_sub_f32 v81, v70, v80 :: v_dual_sub_f32 v20, v20, v67
	v_sub_f32_e32 v67, v69, v80
	s_delay_alu instid0(VALU_DEP_2) | instskip(NEXT) | instid1(VALU_DEP_3)
	v_sub_f32_e32 v65, v65, v81
	v_add_f32_e32 v69, v19, v20
	s_delay_alu instid0(VALU_DEP_2) | instskip(NEXT) | instid1(VALU_DEP_2)
	v_add_f32_e32 v65, v67, v65
	v_sub_f32_e32 v67, v69, v19
	s_delay_alu instid0(VALU_DEP_2) | instskip(NEXT) | instid1(VALU_DEP_2)
	v_add_f32_e32 v65, v69, v65
	v_sub_f32_e32 v69, v69, v67
	s_delay_alu instid0(VALU_DEP_2) | instskip(NEXT) | instid1(VALU_DEP_2)
	v_dual_sub_f32 v20, v20, v67 :: v_dual_add_f32 v71, v70, v65
	v_sub_f32_e32 v19, v19, v69
	s_delay_alu instid0(VALU_DEP_2) | instskip(NEXT) | instid1(VALU_DEP_2)
	v_sub_f32_e32 v67, v71, v70
	v_add_f32_e32 v19, v20, v19
	s_delay_alu instid0(VALU_DEP_2) | instskip(NEXT) | instid1(VALU_DEP_1)
	v_sub_f32_e32 v20, v65, v67
	v_add_f32_e32 v19, v19, v20
	s_delay_alu instid0(VALU_DEP_1) | instskip(NEXT) | instid1(VALU_DEP_1)
	v_add_f32_e32 v19, v71, v19
	v_cndmask_b32_e32 v19, v19, v21, vcc_lo
	s_delay_alu instid0(VALU_DEP_1)
	v_add_f32_e32 v19, v18, v19
.LBB453_55:
	s_or_b32 exec_lo, exec_lo, s4
	s_delay_alu instid0(VALU_DEP_1) | instskip(SKIP_1) | instid1(VALU_DEP_2)
	v_bfe_u32 v18, v19, 16, 1
	v_cmp_o_f32_e32 vcc_lo, v19, v19
	v_add3_u32 v18, v19, v18, 0x7fff
	s_delay_alu instid0(VALU_DEP_1) | instskip(NEXT) | instid1(VALU_DEP_1)
	v_and_b32_e32 v18, 0xffff0000, v18
	v_cndmask_b32_e32 v19, 0x7fc00000, v18, vcc_lo
	s_delay_alu instid0(VALU_DEP_1) | instskip(SKIP_1) | instid1(VALU_DEP_1)
	v_max_f32_e32 v18, v19, v19
	v_lshlrev_b32_e32 v65, 16, v51
	v_max_f32_e32 v70, v65, v65
	v_cmp_u_f32_e32 vcc_lo, v19, v19
	s_delay_alu instid0(VALU_DEP_2) | instskip(SKIP_2) | instid1(VALU_DEP_3)
	v_min_f32_e32 v20, v18, v70
	v_max_f32_e32 v18, v18, v70
	v_cmp_u_f32_e64 s4, v65, v65
	v_cndmask_b32_e32 v20, v20, v19, vcc_lo
	s_delay_alu instid0(VALU_DEP_3) | instskip(NEXT) | instid1(VALU_DEP_2)
	v_cndmask_b32_e32 v18, v18, v19, vcc_lo
	v_cndmask_b32_e64 v20, v20, v65, s4
	s_delay_alu instid0(VALU_DEP_2) | instskip(NEXT) | instid1(VALU_DEP_2)
	v_cndmask_b32_e64 v18, v18, v65, s4
	v_cmp_class_f32_e64 s5, v20, 0x1f8
	s_delay_alu instid0(VALU_DEP_2) | instskip(NEXT) | instid1(VALU_DEP_2)
	v_cmp_neq_f32_e32 vcc_lo, v20, v18
	s_or_b32 s6, vcc_lo, s5
	s_delay_alu instid0(SALU_CYCLE_1)
	s_and_saveexec_b32 s5, s6
	s_cbranch_execz .LBB453_57
; %bb.56:
	v_sub_f32_e32 v19, v20, v18
	s_mov_b32 s6, 0x3e9b6dac
	s_delay_alu instid0(VALU_DEP_1) | instskip(SKIP_1) | instid1(VALU_DEP_2)
	v_mul_f32_e32 v20, 0x3fb8aa3b, v19
	v_cmp_ngt_f32_e32 vcc_lo, 0xc2ce8ed0, v19
	v_fma_f32 v21, 0x3fb8aa3b, v19, -v20
	v_rndne_f32_e32 v67, v20
	s_delay_alu instid0(VALU_DEP_1) | instskip(NEXT) | instid1(VALU_DEP_1)
	v_dual_fmamk_f32 v21, v19, 0x32a5705f, v21 :: v_dual_sub_f32 v20, v20, v67
	v_add_f32_e32 v20, v20, v21
	v_cvt_i32_f32_e32 v21, v67
	s_delay_alu instid0(VALU_DEP_2) | instskip(SKIP_2) | instid1(VALU_DEP_1)
	v_exp_f32_e32 v20, v20
	s_waitcnt_depctr 0xfff
	v_ldexp_f32 v20, v20, v21
	v_cndmask_b32_e32 v20, 0, v20, vcc_lo
	v_cmp_nlt_f32_e32 vcc_lo, 0x42b17218, v19
	s_delay_alu instid0(VALU_DEP_2) | instskip(NEXT) | instid1(VALU_DEP_1)
	v_cndmask_b32_e32 v21, 0x7f800000, v20, vcc_lo
	v_add_f32_e32 v67, 1.0, v21
	s_delay_alu instid0(VALU_DEP_1) | instskip(NEXT) | instid1(VALU_DEP_1)
	v_cvt_f64_f32_e32 v[19:20], v67
	v_frexp_exp_i32_f64_e32 v19, v[19:20]
	v_frexp_mant_f32_e32 v20, v67
	s_delay_alu instid0(VALU_DEP_1) | instskip(SKIP_1) | instid1(VALU_DEP_1)
	v_cmp_gt_f32_e32 vcc_lo, 0x3f2aaaab, v20
	v_add_f32_e32 v20, -1.0, v67
	v_dual_sub_f32 v71, v20, v67 :: v_dual_sub_f32 v20, v21, v20
	s_delay_alu instid0(VALU_DEP_1) | instskip(NEXT) | instid1(VALU_DEP_1)
	v_add_f32_e32 v71, 1.0, v71
	v_add_f32_e32 v20, v20, v71
	v_subrev_co_ci_u32_e32 v19, vcc_lo, 0, v19, vcc_lo
	v_cmp_eq_f32_e32 vcc_lo, 0x7f800000, v21
	s_delay_alu instid0(VALU_DEP_2) | instskip(SKIP_1) | instid1(VALU_DEP_2)
	v_sub_nc_u32_e32 v69, 0, v19
	v_cvt_f32_i32_e32 v19, v19
	v_ldexp_f32 v67, v67, v69
	v_ldexp_f32 v20, v20, v69
	s_delay_alu instid0(VALU_DEP_2) | instskip(NEXT) | instid1(VALU_DEP_1)
	v_add_f32_e32 v69, -1.0, v67
	v_dual_add_f32 v80, 1.0, v67 :: v_dual_add_f32 v81, 1.0, v69
	s_delay_alu instid0(VALU_DEP_1) | instskip(NEXT) | instid1(VALU_DEP_1)
	v_add_f32_e32 v71, -1.0, v80
	v_sub_f32_e32 v71, v67, v71
	s_delay_alu instid0(VALU_DEP_3) | instskip(NEXT) | instid1(VALU_DEP_2)
	v_sub_f32_e32 v67, v67, v81
	v_add_f32_e32 v71, v20, v71
	s_delay_alu instid0(VALU_DEP_1) | instskip(NEXT) | instid1(VALU_DEP_1)
	v_add_f32_e32 v81, v80, v71
	v_sub_f32_e32 v80, v80, v81
	s_delay_alu instid0(VALU_DEP_4) | instskip(SKIP_1) | instid1(VALU_DEP_2)
	v_add_f32_e32 v20, v20, v67
	v_rcp_f32_e32 v67, v81
	v_add_f32_e32 v71, v71, v80
	s_delay_alu instid0(VALU_DEP_2) | instskip(NEXT) | instid1(VALU_DEP_1)
	v_add_f32_e32 v82, v69, v20
	v_sub_f32_e32 v69, v69, v82
	s_waitcnt_depctr 0xfff
	v_dual_mul_f32 v83, v82, v67 :: v_dual_add_f32 v20, v20, v69
	s_delay_alu instid0(VALU_DEP_1) | instskip(NEXT) | instid1(VALU_DEP_1)
	v_mul_f32_e32 v84, v81, v83
	v_fma_f32 v80, v83, v81, -v84
	s_delay_alu instid0(VALU_DEP_1) | instskip(NEXT) | instid1(VALU_DEP_1)
	v_fmac_f32_e32 v80, v83, v71
	v_add_f32_e32 v85, v84, v80
	s_delay_alu instid0(VALU_DEP_1) | instskip(NEXT) | instid1(VALU_DEP_1)
	v_dual_sub_f32 v86, v82, v85 :: v_dual_sub_f32 v69, v85, v84
	v_sub_f32_e32 v82, v82, v86
	s_delay_alu instid0(VALU_DEP_1) | instskip(NEXT) | instid1(VALU_DEP_1)
	v_dual_sub_f32 v82, v82, v85 :: v_dual_sub_f32 v69, v69, v80
	v_add_f32_e32 v20, v20, v82
	s_delay_alu instid0(VALU_DEP_1) | instskip(NEXT) | instid1(VALU_DEP_1)
	v_add_f32_e32 v20, v69, v20
	v_add_f32_e32 v69, v86, v20
	s_delay_alu instid0(VALU_DEP_1) | instskip(NEXT) | instid1(VALU_DEP_1)
	v_mul_f32_e32 v80, v67, v69
	v_dual_sub_f32 v85, v86, v69 :: v_dual_mul_f32 v82, v81, v80
	s_delay_alu instid0(VALU_DEP_1) | instskip(NEXT) | instid1(VALU_DEP_1)
	v_fma_f32 v81, v80, v81, -v82
	v_fmac_f32_e32 v81, v80, v71
	s_delay_alu instid0(VALU_DEP_3) | instskip(NEXT) | instid1(VALU_DEP_2)
	v_add_f32_e32 v20, v20, v85
	v_add_f32_e32 v71, v82, v81
	s_delay_alu instid0(VALU_DEP_1) | instskip(SKIP_1) | instid1(VALU_DEP_1)
	v_sub_f32_e32 v82, v71, v82
	v_sub_f32_e32 v84, v69, v71
	;; [unrolled: 1-line block ×3, first 2 shown]
	s_delay_alu instid0(VALU_DEP_1) | instskip(NEXT) | instid1(VALU_DEP_4)
	v_sub_f32_e32 v69, v69, v71
	v_sub_f32_e32 v71, v82, v81
	s_delay_alu instid0(VALU_DEP_2) | instskip(NEXT) | instid1(VALU_DEP_1)
	v_dual_add_f32 v20, v20, v69 :: v_dual_add_f32 v69, v83, v80
	v_dual_add_f32 v20, v71, v20 :: v_dual_sub_f32 v71, v69, v83
	s_delay_alu instid0(VALU_DEP_1) | instskip(NEXT) | instid1(VALU_DEP_1)
	v_add_f32_e32 v20, v84, v20
	v_dual_sub_f32 v71, v80, v71 :: v_dual_mul_f32 v20, v67, v20
	s_delay_alu instid0(VALU_DEP_1) | instskip(NEXT) | instid1(VALU_DEP_1)
	v_add_f32_e32 v20, v71, v20
	v_add_f32_e32 v67, v69, v20
	s_delay_alu instid0(VALU_DEP_1) | instskip(NEXT) | instid1(VALU_DEP_1)
	v_mul_f32_e32 v71, v67, v67
	v_fmaak_f32 v80, s6, v71, 0x3ecc95a3
	v_mul_f32_e32 v81, v67, v71
	v_cmp_gt_f32_e64 s6, 0x33800000, |v21|
	s_delay_alu instid0(VALU_DEP_3) | instskip(SKIP_2) | instid1(VALU_DEP_4)
	v_fmaak_f32 v71, v71, v80, 0x3f2aaada
	v_ldexp_f32 v80, v67, 1
	v_sub_f32_e32 v67, v67, v69
	s_or_b32 vcc_lo, vcc_lo, s6
	s_delay_alu instid0(VALU_DEP_3) | instskip(SKIP_1) | instid1(VALU_DEP_3)
	v_mul_f32_e32 v71, v81, v71
	v_mul_f32_e32 v81, 0x3f317218, v19
	v_sub_f32_e32 v20, v20, v67
	s_delay_alu instid0(VALU_DEP_3) | instskip(NEXT) | instid1(VALU_DEP_2)
	v_add_f32_e32 v69, v80, v71
	v_ldexp_f32 v20, v20, 1
	s_delay_alu instid0(VALU_DEP_2) | instskip(SKIP_1) | instid1(VALU_DEP_2)
	v_sub_f32_e32 v67, v69, v80
	v_fma_f32 v80, 0x3f317218, v19, -v81
	v_sub_f32_e32 v67, v71, v67
	s_delay_alu instid0(VALU_DEP_1) | instskip(NEXT) | instid1(VALU_DEP_1)
	v_dual_fmamk_f32 v19, v19, 0xb102e308, v80 :: v_dual_add_f32 v20, v20, v67
	v_add_f32_e32 v67, v81, v19
	s_delay_alu instid0(VALU_DEP_2) | instskip(NEXT) | instid1(VALU_DEP_2)
	v_add_f32_e32 v71, v69, v20
	v_sub_f32_e32 v81, v67, v81
	s_delay_alu instid0(VALU_DEP_2) | instskip(NEXT) | instid1(VALU_DEP_1)
	v_add_f32_e32 v80, v67, v71
	v_dual_sub_f32 v19, v19, v81 :: v_dual_sub_f32 v82, v80, v67
	v_sub_f32_e32 v69, v71, v69
	s_delay_alu instid0(VALU_DEP_2) | instskip(NEXT) | instid1(VALU_DEP_2)
	v_sub_f32_e32 v83, v80, v82
	v_dual_sub_f32 v20, v20, v69 :: v_dual_sub_f32 v69, v71, v82
	s_delay_alu instid0(VALU_DEP_2) | instskip(NEXT) | instid1(VALU_DEP_2)
	v_sub_f32_e32 v67, v67, v83
	v_add_f32_e32 v71, v19, v20
	s_delay_alu instid0(VALU_DEP_2) | instskip(NEXT) | instid1(VALU_DEP_2)
	v_add_f32_e32 v67, v69, v67
	v_sub_f32_e32 v69, v71, v19
	s_delay_alu instid0(VALU_DEP_2) | instskip(NEXT) | instid1(VALU_DEP_2)
	v_add_f32_e32 v67, v71, v67
	v_sub_f32_e32 v71, v71, v69
	v_sub_f32_e32 v20, v20, v69
	s_delay_alu instid0(VALU_DEP_3) | instskip(NEXT) | instid1(VALU_DEP_3)
	v_add_f32_e32 v81, v80, v67
	v_sub_f32_e32 v19, v19, v71
	s_delay_alu instid0(VALU_DEP_2) | instskip(NEXT) | instid1(VALU_DEP_1)
	v_sub_f32_e32 v69, v81, v80
	v_dual_add_f32 v19, v20, v19 :: v_dual_sub_f32 v20, v67, v69
	s_delay_alu instid0(VALU_DEP_1) | instskip(NEXT) | instid1(VALU_DEP_1)
	v_add_f32_e32 v19, v19, v20
	v_add_f32_e32 v19, v81, v19
	s_delay_alu instid0(VALU_DEP_1) | instskip(NEXT) | instid1(VALU_DEP_1)
	v_cndmask_b32_e32 v19, v19, v21, vcc_lo
	v_add_f32_e32 v19, v18, v19
.LBB453_57:
	s_or_b32 exec_lo, exec_lo, s5
	s_delay_alu instid0(VALU_DEP_1) | instskip(SKIP_1) | instid1(VALU_DEP_2)
	v_bfe_u32 v18, v19, 16, 1
	v_cmp_o_f32_e32 vcc_lo, v19, v19
	v_add3_u32 v18, v19, v18, 0x7fff
	s_delay_alu instid0(VALU_DEP_1) | instskip(NEXT) | instid1(VALU_DEP_1)
	v_and_b32_e32 v18, 0xffff0000, v18
	v_cndmask_b32_e32 v19, 0x7fc00000, v18, vcc_lo
	s_delay_alu instid0(VALU_DEP_1) | instskip(NEXT) | instid1(VALU_DEP_1)
	v_dual_max_f32 v18, v19, v19 :: v_dual_lshlrev_b32 v67, 16, v50
	v_max_f32_e32 v80, v67, v67
	v_cmp_u_f32_e32 vcc_lo, v19, v19
	v_cmp_u_f32_e64 s5, v67, v67
	s_delay_alu instid0(VALU_DEP_3) | instskip(SKIP_1) | instid1(VALU_DEP_2)
	v_min_f32_e32 v20, v18, v80
	v_max_f32_e32 v18, v18, v80
	v_cndmask_b32_e32 v20, v20, v19, vcc_lo
	s_delay_alu instid0(VALU_DEP_2) | instskip(NEXT) | instid1(VALU_DEP_2)
	v_cndmask_b32_e32 v18, v18, v19, vcc_lo
	v_cndmask_b32_e64 v20, v20, v67, s5
	s_delay_alu instid0(VALU_DEP_2) | instskip(NEXT) | instid1(VALU_DEP_2)
	v_cndmask_b32_e64 v18, v18, v67, s5
	v_cmp_class_f32_e64 s6, v20, 0x1f8
	s_delay_alu instid0(VALU_DEP_2) | instskip(NEXT) | instid1(VALU_DEP_2)
	v_cmp_neq_f32_e32 vcc_lo, v20, v18
	s_or_b32 s7, vcc_lo, s6
	s_delay_alu instid0(SALU_CYCLE_1)
	s_and_saveexec_b32 s6, s7
	s_cbranch_execz .LBB453_59
; %bb.58:
	v_sub_f32_e32 v19, v20, v18
	s_mov_b32 s7, 0x3e9b6dac
	s_delay_alu instid0(VALU_DEP_1) | instskip(SKIP_1) | instid1(VALU_DEP_2)
	v_mul_f32_e32 v20, 0x3fb8aa3b, v19
	v_cmp_ngt_f32_e32 vcc_lo, 0xc2ce8ed0, v19
	v_fma_f32 v21, 0x3fb8aa3b, v19, -v20
	v_rndne_f32_e32 v69, v20
	s_delay_alu instid0(VALU_DEP_1) | instskip(NEXT) | instid1(VALU_DEP_1)
	v_dual_fmamk_f32 v21, v19, 0x32a5705f, v21 :: v_dual_sub_f32 v20, v20, v69
	v_add_f32_e32 v20, v20, v21
	v_cvt_i32_f32_e32 v21, v69
	s_delay_alu instid0(VALU_DEP_2) | instskip(SKIP_2) | instid1(VALU_DEP_1)
	v_exp_f32_e32 v20, v20
	s_waitcnt_depctr 0xfff
	v_ldexp_f32 v20, v20, v21
	v_cndmask_b32_e32 v20, 0, v20, vcc_lo
	v_cmp_nlt_f32_e32 vcc_lo, 0x42b17218, v19
	s_delay_alu instid0(VALU_DEP_2) | instskip(NEXT) | instid1(VALU_DEP_1)
	v_cndmask_b32_e32 v21, 0x7f800000, v20, vcc_lo
	v_add_f32_e32 v69, 1.0, v21
	s_delay_alu instid0(VALU_DEP_1) | instskip(NEXT) | instid1(VALU_DEP_1)
	v_cvt_f64_f32_e32 v[19:20], v69
	v_frexp_exp_i32_f64_e32 v19, v[19:20]
	v_frexp_mant_f32_e32 v20, v69
	s_delay_alu instid0(VALU_DEP_1) | instskip(SKIP_1) | instid1(VALU_DEP_1)
	v_cmp_gt_f32_e32 vcc_lo, 0x3f2aaaab, v20
	v_add_f32_e32 v20, -1.0, v69
	v_dual_sub_f32 v81, v20, v69 :: v_dual_sub_f32 v20, v21, v20
	s_delay_alu instid0(VALU_DEP_1) | instskip(SKIP_2) | instid1(VALU_DEP_2)
	v_add_f32_e32 v81, 1.0, v81
	v_subrev_co_ci_u32_e32 v19, vcc_lo, 0, v19, vcc_lo
	v_cmp_eq_f32_e32 vcc_lo, 0x7f800000, v21
	v_sub_nc_u32_e32 v71, 0, v19
	v_cvt_f32_i32_e32 v19, v19
	s_delay_alu instid0(VALU_DEP_2) | instskip(SKIP_1) | instid1(VALU_DEP_1)
	v_ldexp_f32 v69, v69, v71
	v_add_f32_e32 v20, v20, v81
	v_ldexp_f32 v20, v20, v71
	s_delay_alu instid0(VALU_DEP_3) | instskip(NEXT) | instid1(VALU_DEP_1)
	v_add_f32_e32 v71, -1.0, v69
	v_dual_add_f32 v82, 1.0, v69 :: v_dual_add_f32 v83, 1.0, v71
	s_delay_alu instid0(VALU_DEP_1) | instskip(NEXT) | instid1(VALU_DEP_1)
	v_add_f32_e32 v81, -1.0, v82
	v_sub_f32_e32 v81, v69, v81
	s_delay_alu instid0(VALU_DEP_3) | instskip(NEXT) | instid1(VALU_DEP_2)
	v_sub_f32_e32 v69, v69, v83
	v_add_f32_e32 v81, v20, v81
	s_delay_alu instid0(VALU_DEP_1) | instskip(NEXT) | instid1(VALU_DEP_1)
	v_add_f32_e32 v83, v82, v81
	v_sub_f32_e32 v82, v82, v83
	s_delay_alu instid0(VALU_DEP_4) | instskip(SKIP_1) | instid1(VALU_DEP_1)
	v_add_f32_e32 v20, v20, v69
	v_rcp_f32_e32 v69, v83
	v_dual_add_f32 v81, v81, v82 :: v_dual_add_f32 v84, v71, v20
	s_delay_alu instid0(VALU_DEP_1) | instskip(SKIP_3) | instid1(VALU_DEP_2)
	v_sub_f32_e32 v71, v71, v84
	s_waitcnt_depctr 0xfff
	v_mul_f32_e32 v85, v84, v69
	v_add_f32_e32 v20, v20, v71
	v_mul_f32_e32 v86, v83, v85
	s_delay_alu instid0(VALU_DEP_1) | instskip(NEXT) | instid1(VALU_DEP_1)
	v_fma_f32 v82, v85, v83, -v86
	v_fmac_f32_e32 v82, v85, v81
	s_delay_alu instid0(VALU_DEP_1) | instskip(NEXT) | instid1(VALU_DEP_1)
	v_add_f32_e32 v87, v86, v82
	v_sub_f32_e32 v96, v84, v87
	s_delay_alu instid0(VALU_DEP_1) | instskip(NEXT) | instid1(VALU_DEP_1)
	v_dual_sub_f32 v84, v84, v96 :: v_dual_sub_f32 v71, v87, v86
	v_dual_sub_f32 v84, v84, v87 :: v_dual_sub_f32 v71, v71, v82
	s_delay_alu instid0(VALU_DEP_1) | instskip(NEXT) | instid1(VALU_DEP_1)
	v_add_f32_e32 v20, v20, v84
	v_add_f32_e32 v20, v71, v20
	s_delay_alu instid0(VALU_DEP_1) | instskip(NEXT) | instid1(VALU_DEP_1)
	v_add_f32_e32 v71, v96, v20
	v_mul_f32_e32 v82, v69, v71
	s_delay_alu instid0(VALU_DEP_1) | instskip(NEXT) | instid1(VALU_DEP_1)
	v_dual_sub_f32 v87, v96, v71 :: v_dual_mul_f32 v84, v83, v82
	v_add_f32_e32 v20, v20, v87
	s_delay_alu instid0(VALU_DEP_2) | instskip(NEXT) | instid1(VALU_DEP_1)
	v_fma_f32 v83, v82, v83, -v84
	v_fmac_f32_e32 v83, v82, v81
	s_delay_alu instid0(VALU_DEP_1) | instskip(NEXT) | instid1(VALU_DEP_1)
	v_add_f32_e32 v81, v84, v83
	v_sub_f32_e32 v86, v71, v81
	s_delay_alu instid0(VALU_DEP_1) | instskip(NEXT) | instid1(VALU_DEP_1)
	v_dual_sub_f32 v71, v71, v86 :: v_dual_sub_f32 v84, v81, v84
	v_sub_f32_e32 v71, v71, v81
	s_delay_alu instid0(VALU_DEP_2) | instskip(NEXT) | instid1(VALU_DEP_2)
	v_sub_f32_e32 v81, v84, v83
	v_dual_add_f32 v20, v20, v71 :: v_dual_add_f32 v71, v85, v82
	s_delay_alu instid0(VALU_DEP_1) | instskip(NEXT) | instid1(VALU_DEP_1)
	v_dual_add_f32 v20, v81, v20 :: v_dual_sub_f32 v81, v71, v85
	v_add_f32_e32 v20, v86, v20
	s_delay_alu instid0(VALU_DEP_1) | instskip(NEXT) | instid1(VALU_DEP_1)
	v_dual_sub_f32 v81, v82, v81 :: v_dual_mul_f32 v20, v69, v20
	v_add_f32_e32 v20, v81, v20
	s_delay_alu instid0(VALU_DEP_1) | instskip(NEXT) | instid1(VALU_DEP_1)
	v_add_f32_e32 v69, v71, v20
	v_mul_f32_e32 v81, v69, v69
	s_delay_alu instid0(VALU_DEP_1) | instskip(SKIP_2) | instid1(VALU_DEP_3)
	v_fmaak_f32 v82, s7, v81, 0x3ecc95a3
	v_mul_f32_e32 v83, v69, v81
	v_cmp_gt_f32_e64 s7, 0x33800000, |v21|
	v_fmaak_f32 v81, v81, v82, 0x3f2aaada
	v_ldexp_f32 v82, v69, 1
	v_sub_f32_e32 v69, v69, v71
	s_delay_alu instid0(VALU_DEP_4) | instskip(NEXT) | instid1(VALU_DEP_3)
	s_or_b32 vcc_lo, vcc_lo, s7
	v_mul_f32_e32 v81, v83, v81
	s_delay_alu instid0(VALU_DEP_2) | instskip(NEXT) | instid1(VALU_DEP_2)
	v_sub_f32_e32 v20, v20, v69
	v_add_f32_e32 v71, v82, v81
	s_delay_alu instid0(VALU_DEP_2) | instskip(NEXT) | instid1(VALU_DEP_2)
	v_ldexp_f32 v20, v20, 1
	v_sub_f32_e32 v69, v71, v82
	s_delay_alu instid0(VALU_DEP_1) | instskip(NEXT) | instid1(VALU_DEP_1)
	v_sub_f32_e32 v69, v81, v69
	v_dual_mul_f32 v83, 0x3f317218, v19 :: v_dual_add_f32 v20, v20, v69
	s_delay_alu instid0(VALU_DEP_1) | instskip(NEXT) | instid1(VALU_DEP_2)
	v_fma_f32 v82, 0x3f317218, v19, -v83
	v_add_f32_e32 v81, v71, v20
	s_delay_alu instid0(VALU_DEP_2) | instskip(NEXT) | instid1(VALU_DEP_1)
	v_fmamk_f32 v19, v19, 0xb102e308, v82
	v_add_f32_e32 v69, v83, v19
	s_delay_alu instid0(VALU_DEP_1) | instskip(NEXT) | instid1(VALU_DEP_1)
	v_add_f32_e32 v82, v69, v81
	v_dual_sub_f32 v83, v69, v83 :: v_dual_sub_f32 v84, v82, v69
	v_sub_f32_e32 v71, v81, v71
	s_delay_alu instid0(VALU_DEP_2) | instskip(NEXT) | instid1(VALU_DEP_2)
	v_sub_f32_e32 v19, v19, v83
	v_dual_sub_f32 v85, v82, v84 :: v_dual_sub_f32 v20, v20, v71
	v_sub_f32_e32 v71, v81, v84
	s_delay_alu instid0(VALU_DEP_2) | instskip(NEXT) | instid1(VALU_DEP_3)
	v_sub_f32_e32 v69, v69, v85
	v_add_f32_e32 v81, v19, v20
	s_delay_alu instid0(VALU_DEP_2) | instskip(NEXT) | instid1(VALU_DEP_2)
	v_add_f32_e32 v69, v71, v69
	v_sub_f32_e32 v71, v81, v19
	s_delay_alu instid0(VALU_DEP_2) | instskip(NEXT) | instid1(VALU_DEP_2)
	v_add_f32_e32 v69, v81, v69
	v_sub_f32_e32 v81, v81, v71
	s_delay_alu instid0(VALU_DEP_2) | instskip(NEXT) | instid1(VALU_DEP_2)
	v_dual_sub_f32 v20, v20, v71 :: v_dual_add_f32 v83, v82, v69
	v_sub_f32_e32 v19, v19, v81
	s_delay_alu instid0(VALU_DEP_2) | instskip(NEXT) | instid1(VALU_DEP_2)
	v_sub_f32_e32 v71, v83, v82
	v_add_f32_e32 v19, v20, v19
	s_delay_alu instid0(VALU_DEP_2) | instskip(NEXT) | instid1(VALU_DEP_1)
	v_sub_f32_e32 v20, v69, v71
	v_add_f32_e32 v19, v19, v20
	s_delay_alu instid0(VALU_DEP_1) | instskip(NEXT) | instid1(VALU_DEP_1)
	v_add_f32_e32 v19, v83, v19
	v_cndmask_b32_e32 v19, v19, v21, vcc_lo
	s_delay_alu instid0(VALU_DEP_1)
	v_add_f32_e32 v19, v18, v19
.LBB453_59:
	s_or_b32 exec_lo, exec_lo, s6
	s_delay_alu instid0(VALU_DEP_1) | instskip(SKIP_1) | instid1(VALU_DEP_2)
	v_bfe_u32 v18, v19, 16, 1
	v_cmp_o_f32_e32 vcc_lo, v19, v19
	v_add3_u32 v18, v19, v18, 0x7fff
	s_delay_alu instid0(VALU_DEP_1) | instskip(NEXT) | instid1(VALU_DEP_1)
	v_and_b32_e32 v18, 0xffff0000, v18
	v_cndmask_b32_e32 v19, 0x7fc00000, v18, vcc_lo
	s_delay_alu instid0(VALU_DEP_1) | instskip(NEXT) | instid1(VALU_DEP_1)
	v_dual_max_f32 v18, v19, v19 :: v_dual_lshlrev_b32 v69, 16, v49
	v_max_f32_e32 v82, v69, v69
	v_cmp_u_f32_e32 vcc_lo, v19, v19
	v_cmp_u_f32_e64 s6, v69, v69
	s_delay_alu instid0(VALU_DEP_3) | instskip(SKIP_1) | instid1(VALU_DEP_2)
	v_min_f32_e32 v20, v18, v82
	v_max_f32_e32 v18, v18, v82
	v_cndmask_b32_e32 v20, v20, v19, vcc_lo
	s_delay_alu instid0(VALU_DEP_2) | instskip(NEXT) | instid1(VALU_DEP_2)
	v_cndmask_b32_e32 v18, v18, v19, vcc_lo
	v_cndmask_b32_e64 v20, v20, v69, s6
	s_delay_alu instid0(VALU_DEP_2) | instskip(NEXT) | instid1(VALU_DEP_2)
	v_cndmask_b32_e64 v18, v18, v69, s6
	v_cmp_class_f32_e64 s7, v20, 0x1f8
	s_delay_alu instid0(VALU_DEP_2) | instskip(NEXT) | instid1(VALU_DEP_2)
	v_cmp_neq_f32_e32 vcc_lo, v20, v18
	s_or_b32 s8, vcc_lo, s7
	s_delay_alu instid0(SALU_CYCLE_1)
	s_and_saveexec_b32 s7, s8
	s_cbranch_execz .LBB453_61
; %bb.60:
	v_sub_f32_e32 v19, v20, v18
	s_mov_b32 s8, 0x3e9b6dac
	s_delay_alu instid0(VALU_DEP_1) | instskip(SKIP_1) | instid1(VALU_DEP_2)
	v_mul_f32_e32 v20, 0x3fb8aa3b, v19
	v_cmp_ngt_f32_e32 vcc_lo, 0xc2ce8ed0, v19
	v_fma_f32 v21, 0x3fb8aa3b, v19, -v20
	v_rndne_f32_e32 v71, v20
	s_delay_alu instid0(VALU_DEP_1) | instskip(NEXT) | instid1(VALU_DEP_1)
	v_dual_fmamk_f32 v21, v19, 0x32a5705f, v21 :: v_dual_sub_f32 v20, v20, v71
	v_add_f32_e32 v20, v20, v21
	v_cvt_i32_f32_e32 v21, v71
	s_delay_alu instid0(VALU_DEP_2) | instskip(SKIP_2) | instid1(VALU_DEP_1)
	v_exp_f32_e32 v20, v20
	s_waitcnt_depctr 0xfff
	v_ldexp_f32 v20, v20, v21
	v_cndmask_b32_e32 v20, 0, v20, vcc_lo
	v_cmp_nlt_f32_e32 vcc_lo, 0x42b17218, v19
	s_delay_alu instid0(VALU_DEP_2) | instskip(NEXT) | instid1(VALU_DEP_1)
	v_cndmask_b32_e32 v21, 0x7f800000, v20, vcc_lo
	v_add_f32_e32 v71, 1.0, v21
	s_delay_alu instid0(VALU_DEP_1) | instskip(NEXT) | instid1(VALU_DEP_1)
	v_cvt_f64_f32_e32 v[19:20], v71
	v_frexp_exp_i32_f64_e32 v19, v[19:20]
	v_frexp_mant_f32_e32 v20, v71
	s_delay_alu instid0(VALU_DEP_1) | instskip(SKIP_1) | instid1(VALU_DEP_1)
	v_cmp_gt_f32_e32 vcc_lo, 0x3f2aaaab, v20
	v_add_f32_e32 v20, -1.0, v71
	v_dual_sub_f32 v83, v20, v71 :: v_dual_sub_f32 v20, v21, v20
	s_delay_alu instid0(VALU_DEP_1) | instskip(NEXT) | instid1(VALU_DEP_1)
	v_add_f32_e32 v83, 1.0, v83
	v_add_f32_e32 v20, v20, v83
	v_subrev_co_ci_u32_e32 v19, vcc_lo, 0, v19, vcc_lo
	v_cmp_eq_f32_e32 vcc_lo, 0x7f800000, v21
	s_delay_alu instid0(VALU_DEP_2) | instskip(SKIP_1) | instid1(VALU_DEP_2)
	v_sub_nc_u32_e32 v81, 0, v19
	v_cvt_f32_i32_e32 v19, v19
	v_ldexp_f32 v71, v71, v81
	v_ldexp_f32 v20, v20, v81
	s_delay_alu instid0(VALU_DEP_2) | instskip(NEXT) | instid1(VALU_DEP_1)
	v_add_f32_e32 v81, -1.0, v71
	v_dual_add_f32 v84, 1.0, v71 :: v_dual_add_f32 v85, 1.0, v81
	s_delay_alu instid0(VALU_DEP_1) | instskip(NEXT) | instid1(VALU_DEP_1)
	v_add_f32_e32 v83, -1.0, v84
	v_sub_f32_e32 v83, v71, v83
	s_delay_alu instid0(VALU_DEP_3) | instskip(NEXT) | instid1(VALU_DEP_2)
	v_sub_f32_e32 v71, v71, v85
	v_add_f32_e32 v83, v20, v83
	s_delay_alu instid0(VALU_DEP_1) | instskip(NEXT) | instid1(VALU_DEP_1)
	v_add_f32_e32 v85, v84, v83
	v_sub_f32_e32 v84, v84, v85
	s_delay_alu instid0(VALU_DEP_4) | instskip(SKIP_1) | instid1(VALU_DEP_2)
	v_add_f32_e32 v20, v20, v71
	v_rcp_f32_e32 v71, v85
	v_add_f32_e32 v83, v83, v84
	s_delay_alu instid0(VALU_DEP_2) | instskip(NEXT) | instid1(VALU_DEP_1)
	v_add_f32_e32 v86, v81, v20
	v_sub_f32_e32 v81, v81, v86
	s_waitcnt_depctr 0xfff
	v_dual_mul_f32 v87, v86, v71 :: v_dual_add_f32 v20, v20, v81
	s_delay_alu instid0(VALU_DEP_1) | instskip(NEXT) | instid1(VALU_DEP_1)
	v_mul_f32_e32 v96, v85, v87
	v_fma_f32 v84, v87, v85, -v96
	s_delay_alu instid0(VALU_DEP_1) | instskip(NEXT) | instid1(VALU_DEP_1)
	v_fmac_f32_e32 v84, v87, v83
	v_add_f32_e32 v97, v96, v84
	s_delay_alu instid0(VALU_DEP_1) | instskip(NEXT) | instid1(VALU_DEP_1)
	v_dual_sub_f32 v98, v86, v97 :: v_dual_sub_f32 v81, v97, v96
	v_sub_f32_e32 v86, v86, v98
	s_delay_alu instid0(VALU_DEP_1) | instskip(NEXT) | instid1(VALU_DEP_1)
	v_dual_sub_f32 v86, v86, v97 :: v_dual_sub_f32 v81, v81, v84
	v_add_f32_e32 v20, v20, v86
	s_delay_alu instid0(VALU_DEP_1) | instskip(NEXT) | instid1(VALU_DEP_1)
	v_add_f32_e32 v20, v81, v20
	v_add_f32_e32 v81, v98, v20
	s_delay_alu instid0(VALU_DEP_1) | instskip(NEXT) | instid1(VALU_DEP_1)
	v_mul_f32_e32 v84, v71, v81
	v_dual_sub_f32 v97, v98, v81 :: v_dual_mul_f32 v86, v85, v84
	s_delay_alu instid0(VALU_DEP_1) | instskip(NEXT) | instid1(VALU_DEP_1)
	v_fma_f32 v85, v84, v85, -v86
	v_fmac_f32_e32 v85, v84, v83
	s_delay_alu instid0(VALU_DEP_3) | instskip(NEXT) | instid1(VALU_DEP_2)
	v_add_f32_e32 v20, v20, v97
	v_add_f32_e32 v83, v86, v85
	s_delay_alu instid0(VALU_DEP_1) | instskip(SKIP_1) | instid1(VALU_DEP_1)
	v_sub_f32_e32 v86, v83, v86
	v_sub_f32_e32 v96, v81, v83
	;; [unrolled: 1-line block ×3, first 2 shown]
	s_delay_alu instid0(VALU_DEP_1) | instskip(NEXT) | instid1(VALU_DEP_4)
	v_sub_f32_e32 v81, v81, v83
	v_sub_f32_e32 v83, v86, v85
	s_delay_alu instid0(VALU_DEP_2) | instskip(NEXT) | instid1(VALU_DEP_1)
	v_dual_add_f32 v20, v20, v81 :: v_dual_add_f32 v81, v87, v84
	v_dual_add_f32 v20, v83, v20 :: v_dual_sub_f32 v83, v81, v87
	s_delay_alu instid0(VALU_DEP_1) | instskip(NEXT) | instid1(VALU_DEP_1)
	v_add_f32_e32 v20, v96, v20
	v_dual_sub_f32 v83, v84, v83 :: v_dual_mul_f32 v20, v71, v20
	s_delay_alu instid0(VALU_DEP_1) | instskip(NEXT) | instid1(VALU_DEP_1)
	v_add_f32_e32 v20, v83, v20
	v_add_f32_e32 v71, v81, v20
	s_delay_alu instid0(VALU_DEP_1) | instskip(NEXT) | instid1(VALU_DEP_1)
	v_mul_f32_e32 v83, v71, v71
	v_fmaak_f32 v84, s8, v83, 0x3ecc95a3
	v_mul_f32_e32 v85, v71, v83
	v_cmp_gt_f32_e64 s8, 0x33800000, |v21|
	s_delay_alu instid0(VALU_DEP_3) | instskip(SKIP_2) | instid1(VALU_DEP_4)
	v_fmaak_f32 v83, v83, v84, 0x3f2aaada
	v_ldexp_f32 v84, v71, 1
	v_sub_f32_e32 v71, v71, v81
	s_or_b32 vcc_lo, vcc_lo, s8
	s_delay_alu instid0(VALU_DEP_3) | instskip(SKIP_1) | instid1(VALU_DEP_3)
	v_mul_f32_e32 v83, v85, v83
	v_mul_f32_e32 v85, 0x3f317218, v19
	v_sub_f32_e32 v20, v20, v71
	s_delay_alu instid0(VALU_DEP_3) | instskip(NEXT) | instid1(VALU_DEP_2)
	v_add_f32_e32 v81, v84, v83
	v_ldexp_f32 v20, v20, 1
	s_delay_alu instid0(VALU_DEP_2) | instskip(SKIP_1) | instid1(VALU_DEP_2)
	v_sub_f32_e32 v71, v81, v84
	v_fma_f32 v84, 0x3f317218, v19, -v85
	v_sub_f32_e32 v71, v83, v71
	s_delay_alu instid0(VALU_DEP_1) | instskip(NEXT) | instid1(VALU_DEP_1)
	v_dual_fmamk_f32 v19, v19, 0xb102e308, v84 :: v_dual_add_f32 v20, v20, v71
	v_add_f32_e32 v71, v85, v19
	s_delay_alu instid0(VALU_DEP_2) | instskip(NEXT) | instid1(VALU_DEP_2)
	v_add_f32_e32 v83, v81, v20
	v_sub_f32_e32 v85, v71, v85
	s_delay_alu instid0(VALU_DEP_2) | instskip(NEXT) | instid1(VALU_DEP_1)
	v_add_f32_e32 v84, v71, v83
	v_dual_sub_f32 v19, v19, v85 :: v_dual_sub_f32 v86, v84, v71
	v_sub_f32_e32 v81, v83, v81
	s_delay_alu instid0(VALU_DEP_2) | instskip(NEXT) | instid1(VALU_DEP_2)
	v_sub_f32_e32 v87, v84, v86
	v_dual_sub_f32 v20, v20, v81 :: v_dual_sub_f32 v81, v83, v86
	s_delay_alu instid0(VALU_DEP_2) | instskip(NEXT) | instid1(VALU_DEP_2)
	v_sub_f32_e32 v71, v71, v87
	v_add_f32_e32 v83, v19, v20
	s_delay_alu instid0(VALU_DEP_2) | instskip(NEXT) | instid1(VALU_DEP_2)
	v_add_f32_e32 v71, v81, v71
	v_sub_f32_e32 v81, v83, v19
	s_delay_alu instid0(VALU_DEP_2) | instskip(NEXT) | instid1(VALU_DEP_2)
	v_add_f32_e32 v71, v83, v71
	v_sub_f32_e32 v83, v83, v81
	v_sub_f32_e32 v20, v20, v81
	s_delay_alu instid0(VALU_DEP_3) | instskip(NEXT) | instid1(VALU_DEP_3)
	v_add_f32_e32 v85, v84, v71
	v_sub_f32_e32 v19, v19, v83
	s_delay_alu instid0(VALU_DEP_2) | instskip(NEXT) | instid1(VALU_DEP_1)
	v_sub_f32_e32 v81, v85, v84
	v_dual_add_f32 v19, v20, v19 :: v_dual_sub_f32 v20, v71, v81
	s_delay_alu instid0(VALU_DEP_1) | instskip(NEXT) | instid1(VALU_DEP_1)
	v_add_f32_e32 v19, v19, v20
	v_add_f32_e32 v19, v85, v19
	s_delay_alu instid0(VALU_DEP_1) | instskip(NEXT) | instid1(VALU_DEP_1)
	v_cndmask_b32_e32 v19, v19, v21, vcc_lo
	v_add_f32_e32 v19, v18, v19
.LBB453_61:
	s_or_b32 exec_lo, exec_lo, s7
	s_delay_alu instid0(VALU_DEP_1) | instskip(SKIP_1) | instid1(VALU_DEP_2)
	v_bfe_u32 v18, v19, 16, 1
	v_cmp_o_f32_e32 vcc_lo, v19, v19
	v_add3_u32 v18, v19, v18, 0x7fff
	s_delay_alu instid0(VALU_DEP_1) | instskip(NEXT) | instid1(VALU_DEP_1)
	v_and_b32_e32 v18, 0xffff0000, v18
	v_cndmask_b32_e32 v19, 0x7fc00000, v18, vcc_lo
	s_delay_alu instid0(VALU_DEP_1) | instskip(NEXT) | instid1(VALU_DEP_1)
	v_dual_max_f32 v18, v19, v19 :: v_dual_lshlrev_b32 v71, 16, v48
	v_max_f32_e32 v84, v71, v71
	v_cmp_u_f32_e32 vcc_lo, v19, v19
	v_cmp_u_f32_e64 s7, v71, v71
	s_delay_alu instid0(VALU_DEP_3) | instskip(SKIP_1) | instid1(VALU_DEP_2)
	v_min_f32_e32 v20, v18, v84
	v_max_f32_e32 v18, v18, v84
	v_cndmask_b32_e32 v20, v20, v19, vcc_lo
	s_delay_alu instid0(VALU_DEP_2) | instskip(NEXT) | instid1(VALU_DEP_2)
	v_cndmask_b32_e32 v18, v18, v19, vcc_lo
	v_cndmask_b32_e64 v20, v20, v71, s7
	s_delay_alu instid0(VALU_DEP_2) | instskip(NEXT) | instid1(VALU_DEP_2)
	v_cndmask_b32_e64 v18, v18, v71, s7
	v_cmp_class_f32_e64 s8, v20, 0x1f8
	s_delay_alu instid0(VALU_DEP_2) | instskip(NEXT) | instid1(VALU_DEP_2)
	v_cmp_neq_f32_e32 vcc_lo, v20, v18
	s_or_b32 s9, vcc_lo, s8
	s_delay_alu instid0(SALU_CYCLE_1)
	s_and_saveexec_b32 s8, s9
	s_cbranch_execz .LBB453_63
; %bb.62:
	v_sub_f32_e32 v19, v20, v18
	s_mov_b32 s9, 0x3e9b6dac
	s_delay_alu instid0(VALU_DEP_1) | instskip(SKIP_1) | instid1(VALU_DEP_2)
	v_mul_f32_e32 v20, 0x3fb8aa3b, v19
	v_cmp_ngt_f32_e32 vcc_lo, 0xc2ce8ed0, v19
	v_fma_f32 v21, 0x3fb8aa3b, v19, -v20
	v_rndne_f32_e32 v81, v20
	s_delay_alu instid0(VALU_DEP_1) | instskip(NEXT) | instid1(VALU_DEP_1)
	v_dual_fmamk_f32 v21, v19, 0x32a5705f, v21 :: v_dual_sub_f32 v20, v20, v81
	v_add_f32_e32 v20, v20, v21
	v_cvt_i32_f32_e32 v21, v81
	s_delay_alu instid0(VALU_DEP_2) | instskip(SKIP_2) | instid1(VALU_DEP_1)
	v_exp_f32_e32 v20, v20
	s_waitcnt_depctr 0xfff
	v_ldexp_f32 v20, v20, v21
	v_cndmask_b32_e32 v20, 0, v20, vcc_lo
	v_cmp_nlt_f32_e32 vcc_lo, 0x42b17218, v19
	s_delay_alu instid0(VALU_DEP_2) | instskip(NEXT) | instid1(VALU_DEP_1)
	v_cndmask_b32_e32 v21, 0x7f800000, v20, vcc_lo
	v_add_f32_e32 v81, 1.0, v21
	s_delay_alu instid0(VALU_DEP_1) | instskip(NEXT) | instid1(VALU_DEP_1)
	v_cvt_f64_f32_e32 v[19:20], v81
	v_frexp_exp_i32_f64_e32 v19, v[19:20]
	v_frexp_mant_f32_e32 v20, v81
	s_delay_alu instid0(VALU_DEP_1) | instskip(SKIP_1) | instid1(VALU_DEP_1)
	v_cmp_gt_f32_e32 vcc_lo, 0x3f2aaaab, v20
	v_add_f32_e32 v20, -1.0, v81
	v_dual_sub_f32 v85, v20, v81 :: v_dual_sub_f32 v20, v21, v20
	s_delay_alu instid0(VALU_DEP_1) | instskip(SKIP_2) | instid1(VALU_DEP_2)
	v_add_f32_e32 v85, 1.0, v85
	v_subrev_co_ci_u32_e32 v19, vcc_lo, 0, v19, vcc_lo
	v_cmp_eq_f32_e32 vcc_lo, 0x7f800000, v21
	v_sub_nc_u32_e32 v83, 0, v19
	v_cvt_f32_i32_e32 v19, v19
	s_delay_alu instid0(VALU_DEP_2) | instskip(SKIP_1) | instid1(VALU_DEP_1)
	v_ldexp_f32 v81, v81, v83
	v_add_f32_e32 v20, v20, v85
	v_ldexp_f32 v20, v20, v83
	s_delay_alu instid0(VALU_DEP_3) | instskip(NEXT) | instid1(VALU_DEP_1)
	v_add_f32_e32 v83, -1.0, v81
	v_dual_add_f32 v86, 1.0, v81 :: v_dual_add_f32 v87, 1.0, v83
	s_delay_alu instid0(VALU_DEP_1) | instskip(NEXT) | instid1(VALU_DEP_1)
	v_add_f32_e32 v85, -1.0, v86
	v_sub_f32_e32 v85, v81, v85
	s_delay_alu instid0(VALU_DEP_3) | instskip(NEXT) | instid1(VALU_DEP_2)
	v_sub_f32_e32 v81, v81, v87
	v_add_f32_e32 v85, v20, v85
	s_delay_alu instid0(VALU_DEP_1) | instskip(NEXT) | instid1(VALU_DEP_1)
	v_add_f32_e32 v87, v86, v85
	v_sub_f32_e32 v86, v86, v87
	s_delay_alu instid0(VALU_DEP_4) | instskip(SKIP_1) | instid1(VALU_DEP_1)
	v_add_f32_e32 v20, v20, v81
	v_rcp_f32_e32 v81, v87
	v_dual_add_f32 v85, v85, v86 :: v_dual_add_f32 v96, v83, v20
	s_delay_alu instid0(VALU_DEP_1) | instskip(SKIP_3) | instid1(VALU_DEP_2)
	v_sub_f32_e32 v83, v83, v96
	s_waitcnt_depctr 0xfff
	v_mul_f32_e32 v97, v96, v81
	v_add_f32_e32 v20, v20, v83
	v_mul_f32_e32 v98, v87, v97
	s_delay_alu instid0(VALU_DEP_1) | instskip(NEXT) | instid1(VALU_DEP_1)
	v_fma_f32 v86, v97, v87, -v98
	v_fmac_f32_e32 v86, v97, v85
	s_delay_alu instid0(VALU_DEP_1) | instskip(NEXT) | instid1(VALU_DEP_1)
	v_add_f32_e32 v99, v98, v86
	v_sub_f32_e32 v100, v96, v99
	s_delay_alu instid0(VALU_DEP_1) | instskip(NEXT) | instid1(VALU_DEP_1)
	v_dual_sub_f32 v96, v96, v100 :: v_dual_sub_f32 v83, v99, v98
	v_dual_sub_f32 v96, v96, v99 :: v_dual_sub_f32 v83, v83, v86
	s_delay_alu instid0(VALU_DEP_1) | instskip(NEXT) | instid1(VALU_DEP_1)
	v_add_f32_e32 v20, v20, v96
	v_add_f32_e32 v20, v83, v20
	s_delay_alu instid0(VALU_DEP_1) | instskip(NEXT) | instid1(VALU_DEP_1)
	v_add_f32_e32 v83, v100, v20
	v_mul_f32_e32 v86, v81, v83
	s_delay_alu instid0(VALU_DEP_1) | instskip(NEXT) | instid1(VALU_DEP_1)
	v_dual_sub_f32 v99, v100, v83 :: v_dual_mul_f32 v96, v87, v86
	v_add_f32_e32 v20, v20, v99
	s_delay_alu instid0(VALU_DEP_2) | instskip(NEXT) | instid1(VALU_DEP_1)
	v_fma_f32 v87, v86, v87, -v96
	v_fmac_f32_e32 v87, v86, v85
	s_delay_alu instid0(VALU_DEP_1) | instskip(NEXT) | instid1(VALU_DEP_1)
	v_add_f32_e32 v85, v96, v87
	v_sub_f32_e32 v98, v83, v85
	s_delay_alu instid0(VALU_DEP_1) | instskip(NEXT) | instid1(VALU_DEP_1)
	v_dual_sub_f32 v83, v83, v98 :: v_dual_sub_f32 v96, v85, v96
	v_sub_f32_e32 v83, v83, v85
	s_delay_alu instid0(VALU_DEP_2) | instskip(NEXT) | instid1(VALU_DEP_2)
	v_sub_f32_e32 v85, v96, v87
	v_dual_add_f32 v20, v20, v83 :: v_dual_add_f32 v83, v97, v86
	s_delay_alu instid0(VALU_DEP_1) | instskip(NEXT) | instid1(VALU_DEP_1)
	v_dual_add_f32 v20, v85, v20 :: v_dual_sub_f32 v85, v83, v97
	v_add_f32_e32 v20, v98, v20
	s_delay_alu instid0(VALU_DEP_1) | instskip(NEXT) | instid1(VALU_DEP_1)
	v_dual_sub_f32 v85, v86, v85 :: v_dual_mul_f32 v20, v81, v20
	v_add_f32_e32 v20, v85, v20
	s_delay_alu instid0(VALU_DEP_1) | instskip(NEXT) | instid1(VALU_DEP_1)
	v_add_f32_e32 v81, v83, v20
	v_mul_f32_e32 v85, v81, v81
	s_delay_alu instid0(VALU_DEP_1) | instskip(SKIP_2) | instid1(VALU_DEP_3)
	v_fmaak_f32 v86, s9, v85, 0x3ecc95a3
	v_mul_f32_e32 v87, v81, v85
	v_cmp_gt_f32_e64 s9, 0x33800000, |v21|
	v_fmaak_f32 v85, v85, v86, 0x3f2aaada
	v_ldexp_f32 v86, v81, 1
	v_sub_f32_e32 v81, v81, v83
	s_delay_alu instid0(VALU_DEP_4) | instskip(NEXT) | instid1(VALU_DEP_3)
	s_or_b32 vcc_lo, vcc_lo, s9
	v_mul_f32_e32 v85, v87, v85
	s_delay_alu instid0(VALU_DEP_2) | instskip(NEXT) | instid1(VALU_DEP_2)
	v_sub_f32_e32 v20, v20, v81
	v_add_f32_e32 v83, v86, v85
	s_delay_alu instid0(VALU_DEP_2) | instskip(NEXT) | instid1(VALU_DEP_2)
	v_ldexp_f32 v20, v20, 1
	v_sub_f32_e32 v81, v83, v86
	s_delay_alu instid0(VALU_DEP_1) | instskip(NEXT) | instid1(VALU_DEP_1)
	v_sub_f32_e32 v81, v85, v81
	v_dual_mul_f32 v87, 0x3f317218, v19 :: v_dual_add_f32 v20, v20, v81
	s_delay_alu instid0(VALU_DEP_1) | instskip(NEXT) | instid1(VALU_DEP_2)
	v_fma_f32 v86, 0x3f317218, v19, -v87
	v_add_f32_e32 v85, v83, v20
	s_delay_alu instid0(VALU_DEP_2) | instskip(NEXT) | instid1(VALU_DEP_1)
	v_fmamk_f32 v19, v19, 0xb102e308, v86
	v_add_f32_e32 v81, v87, v19
	s_delay_alu instid0(VALU_DEP_1) | instskip(NEXT) | instid1(VALU_DEP_1)
	v_add_f32_e32 v86, v81, v85
	v_dual_sub_f32 v87, v81, v87 :: v_dual_sub_f32 v96, v86, v81
	v_sub_f32_e32 v83, v85, v83
	s_delay_alu instid0(VALU_DEP_2) | instskip(NEXT) | instid1(VALU_DEP_2)
	v_sub_f32_e32 v19, v19, v87
	v_dual_sub_f32 v97, v86, v96 :: v_dual_sub_f32 v20, v20, v83
	v_sub_f32_e32 v83, v85, v96
	s_delay_alu instid0(VALU_DEP_2) | instskip(NEXT) | instid1(VALU_DEP_3)
	v_sub_f32_e32 v81, v81, v97
	v_add_f32_e32 v85, v19, v20
	s_delay_alu instid0(VALU_DEP_2) | instskip(NEXT) | instid1(VALU_DEP_2)
	v_add_f32_e32 v81, v83, v81
	v_sub_f32_e32 v83, v85, v19
	s_delay_alu instid0(VALU_DEP_2) | instskip(NEXT) | instid1(VALU_DEP_2)
	v_add_f32_e32 v81, v85, v81
	v_sub_f32_e32 v85, v85, v83
	s_delay_alu instid0(VALU_DEP_2) | instskip(NEXT) | instid1(VALU_DEP_2)
	v_dual_sub_f32 v20, v20, v83 :: v_dual_add_f32 v87, v86, v81
	v_sub_f32_e32 v19, v19, v85
	s_delay_alu instid0(VALU_DEP_2) | instskip(NEXT) | instid1(VALU_DEP_2)
	v_sub_f32_e32 v83, v87, v86
	v_add_f32_e32 v19, v20, v19
	s_delay_alu instid0(VALU_DEP_2) | instskip(NEXT) | instid1(VALU_DEP_1)
	v_sub_f32_e32 v20, v81, v83
	v_add_f32_e32 v19, v19, v20
	s_delay_alu instid0(VALU_DEP_1) | instskip(NEXT) | instid1(VALU_DEP_1)
	v_add_f32_e32 v19, v87, v19
	v_cndmask_b32_e32 v19, v19, v21, vcc_lo
	s_delay_alu instid0(VALU_DEP_1)
	v_add_f32_e32 v19, v18, v19
.LBB453_63:
	s_or_b32 exec_lo, exec_lo, s8
	s_delay_alu instid0(VALU_DEP_1) | instskip(SKIP_1) | instid1(VALU_DEP_2)
	v_bfe_u32 v18, v19, 16, 1
	v_cmp_o_f32_e32 vcc_lo, v19, v19
	v_add3_u32 v18, v19, v18, 0x7fff
	s_delay_alu instid0(VALU_DEP_1) | instskip(NEXT) | instid1(VALU_DEP_1)
	v_and_b32_e32 v18, 0xffff0000, v18
	v_cndmask_b32_e32 v19, 0x7fc00000, v18, vcc_lo
	s_delay_alu instid0(VALU_DEP_1) | instskip(SKIP_1) | instid1(VALU_DEP_1)
	v_max_f32_e32 v18, v19, v19
	v_lshlrev_b32_e32 v81, 16, v39
	v_max_f32_e32 v86, v81, v81
	v_cmp_u_f32_e32 vcc_lo, v19, v19
	s_delay_alu instid0(VALU_DEP_2) | instskip(SKIP_2) | instid1(VALU_DEP_3)
	v_min_f32_e32 v20, v18, v86
	v_max_f32_e32 v18, v18, v86
	v_cmp_u_f32_e64 s8, v81, v81
	v_cndmask_b32_e32 v20, v20, v19, vcc_lo
	s_delay_alu instid0(VALU_DEP_3) | instskip(NEXT) | instid1(VALU_DEP_2)
	v_cndmask_b32_e32 v18, v18, v19, vcc_lo
	v_cndmask_b32_e64 v20, v20, v81, s8
	s_delay_alu instid0(VALU_DEP_2) | instskip(NEXT) | instid1(VALU_DEP_2)
	v_cndmask_b32_e64 v18, v18, v81, s8
	v_cmp_class_f32_e64 s9, v20, 0x1f8
	s_delay_alu instid0(VALU_DEP_2) | instskip(NEXT) | instid1(VALU_DEP_2)
	v_cmp_neq_f32_e32 vcc_lo, v20, v18
	s_or_b32 s10, vcc_lo, s9
	s_delay_alu instid0(SALU_CYCLE_1)
	s_and_saveexec_b32 s9, s10
	s_cbranch_execz .LBB453_65
; %bb.64:
	v_sub_f32_e32 v19, v20, v18
	s_mov_b32 s10, 0x3e9b6dac
	s_delay_alu instid0(VALU_DEP_1) | instskip(SKIP_1) | instid1(VALU_DEP_2)
	v_mul_f32_e32 v20, 0x3fb8aa3b, v19
	v_cmp_ngt_f32_e32 vcc_lo, 0xc2ce8ed0, v19
	v_fma_f32 v21, 0x3fb8aa3b, v19, -v20
	v_rndne_f32_e32 v83, v20
	s_delay_alu instid0(VALU_DEP_1) | instskip(NEXT) | instid1(VALU_DEP_1)
	v_dual_fmamk_f32 v21, v19, 0x32a5705f, v21 :: v_dual_sub_f32 v20, v20, v83
	v_add_f32_e32 v20, v20, v21
	v_cvt_i32_f32_e32 v21, v83
	s_delay_alu instid0(VALU_DEP_2) | instskip(SKIP_2) | instid1(VALU_DEP_1)
	v_exp_f32_e32 v20, v20
	s_waitcnt_depctr 0xfff
	v_ldexp_f32 v20, v20, v21
	v_cndmask_b32_e32 v20, 0, v20, vcc_lo
	v_cmp_nlt_f32_e32 vcc_lo, 0x42b17218, v19
	s_delay_alu instid0(VALU_DEP_2) | instskip(NEXT) | instid1(VALU_DEP_1)
	v_cndmask_b32_e32 v21, 0x7f800000, v20, vcc_lo
	v_add_f32_e32 v83, 1.0, v21
	s_delay_alu instid0(VALU_DEP_1) | instskip(NEXT) | instid1(VALU_DEP_1)
	v_cvt_f64_f32_e32 v[19:20], v83
	v_frexp_exp_i32_f64_e32 v19, v[19:20]
	v_frexp_mant_f32_e32 v20, v83
	s_delay_alu instid0(VALU_DEP_1) | instskip(SKIP_1) | instid1(VALU_DEP_1)
	v_cmp_gt_f32_e32 vcc_lo, 0x3f2aaaab, v20
	v_add_f32_e32 v20, -1.0, v83
	v_dual_sub_f32 v87, v20, v83 :: v_dual_sub_f32 v20, v21, v20
	s_delay_alu instid0(VALU_DEP_1) | instskip(NEXT) | instid1(VALU_DEP_1)
	v_add_f32_e32 v87, 1.0, v87
	v_add_f32_e32 v20, v20, v87
	v_subrev_co_ci_u32_e32 v19, vcc_lo, 0, v19, vcc_lo
	v_cmp_eq_f32_e32 vcc_lo, 0x7f800000, v21
	s_delay_alu instid0(VALU_DEP_2) | instskip(SKIP_1) | instid1(VALU_DEP_2)
	v_sub_nc_u32_e32 v85, 0, v19
	v_cvt_f32_i32_e32 v19, v19
	v_ldexp_f32 v83, v83, v85
	v_ldexp_f32 v20, v20, v85
	s_delay_alu instid0(VALU_DEP_2) | instskip(NEXT) | instid1(VALU_DEP_1)
	v_add_f32_e32 v85, -1.0, v83
	v_dual_add_f32 v96, 1.0, v83 :: v_dual_add_f32 v97, 1.0, v85
	s_delay_alu instid0(VALU_DEP_1) | instskip(NEXT) | instid1(VALU_DEP_1)
	v_add_f32_e32 v87, -1.0, v96
	v_sub_f32_e32 v87, v83, v87
	s_delay_alu instid0(VALU_DEP_3) | instskip(NEXT) | instid1(VALU_DEP_2)
	v_sub_f32_e32 v83, v83, v97
	v_add_f32_e32 v87, v20, v87
	s_delay_alu instid0(VALU_DEP_1) | instskip(NEXT) | instid1(VALU_DEP_1)
	v_add_f32_e32 v97, v96, v87
	v_sub_f32_e32 v96, v96, v97
	s_delay_alu instid0(VALU_DEP_4) | instskip(SKIP_1) | instid1(VALU_DEP_2)
	v_add_f32_e32 v20, v20, v83
	v_rcp_f32_e32 v83, v97
	v_add_f32_e32 v87, v87, v96
	s_delay_alu instid0(VALU_DEP_2) | instskip(NEXT) | instid1(VALU_DEP_1)
	v_add_f32_e32 v98, v85, v20
	v_sub_f32_e32 v85, v85, v98
	s_waitcnt_depctr 0xfff
	v_dual_mul_f32 v99, v98, v83 :: v_dual_add_f32 v20, v20, v85
	s_delay_alu instid0(VALU_DEP_1) | instskip(NEXT) | instid1(VALU_DEP_1)
	v_mul_f32_e32 v100, v97, v99
	v_fma_f32 v96, v99, v97, -v100
	s_delay_alu instid0(VALU_DEP_1) | instskip(NEXT) | instid1(VALU_DEP_1)
	v_fmac_f32_e32 v96, v99, v87
	v_add_f32_e32 v101, v100, v96
	s_delay_alu instid0(VALU_DEP_1) | instskip(NEXT) | instid1(VALU_DEP_1)
	v_dual_sub_f32 v102, v98, v101 :: v_dual_sub_f32 v85, v101, v100
	v_sub_f32_e32 v98, v98, v102
	s_delay_alu instid0(VALU_DEP_1) | instskip(NEXT) | instid1(VALU_DEP_1)
	v_dual_sub_f32 v98, v98, v101 :: v_dual_sub_f32 v85, v85, v96
	v_add_f32_e32 v20, v20, v98
	s_delay_alu instid0(VALU_DEP_1) | instskip(NEXT) | instid1(VALU_DEP_1)
	v_add_f32_e32 v20, v85, v20
	v_add_f32_e32 v85, v102, v20
	s_delay_alu instid0(VALU_DEP_1) | instskip(NEXT) | instid1(VALU_DEP_1)
	v_mul_f32_e32 v96, v83, v85
	v_dual_sub_f32 v101, v102, v85 :: v_dual_mul_f32 v98, v97, v96
	s_delay_alu instid0(VALU_DEP_1) | instskip(NEXT) | instid1(VALU_DEP_1)
	v_fma_f32 v97, v96, v97, -v98
	v_fmac_f32_e32 v97, v96, v87
	s_delay_alu instid0(VALU_DEP_3) | instskip(NEXT) | instid1(VALU_DEP_2)
	v_add_f32_e32 v20, v20, v101
	v_add_f32_e32 v87, v98, v97
	s_delay_alu instid0(VALU_DEP_1) | instskip(SKIP_1) | instid1(VALU_DEP_1)
	v_sub_f32_e32 v98, v87, v98
	v_sub_f32_e32 v100, v85, v87
	;; [unrolled: 1-line block ×3, first 2 shown]
	s_delay_alu instid0(VALU_DEP_1) | instskip(NEXT) | instid1(VALU_DEP_4)
	v_sub_f32_e32 v85, v85, v87
	v_sub_f32_e32 v87, v98, v97
	s_delay_alu instid0(VALU_DEP_2) | instskip(NEXT) | instid1(VALU_DEP_1)
	v_dual_add_f32 v20, v20, v85 :: v_dual_add_f32 v85, v99, v96
	v_dual_add_f32 v20, v87, v20 :: v_dual_sub_f32 v87, v85, v99
	s_delay_alu instid0(VALU_DEP_1) | instskip(NEXT) | instid1(VALU_DEP_1)
	v_add_f32_e32 v20, v100, v20
	v_dual_sub_f32 v87, v96, v87 :: v_dual_mul_f32 v20, v83, v20
	s_delay_alu instid0(VALU_DEP_1) | instskip(NEXT) | instid1(VALU_DEP_1)
	v_add_f32_e32 v20, v87, v20
	v_add_f32_e32 v83, v85, v20
	s_delay_alu instid0(VALU_DEP_1) | instskip(NEXT) | instid1(VALU_DEP_1)
	v_mul_f32_e32 v87, v83, v83
	v_fmaak_f32 v96, s10, v87, 0x3ecc95a3
	v_mul_f32_e32 v97, v83, v87
	v_cmp_gt_f32_e64 s10, 0x33800000, |v21|
	s_delay_alu instid0(VALU_DEP_3) | instskip(SKIP_2) | instid1(VALU_DEP_4)
	v_fmaak_f32 v87, v87, v96, 0x3f2aaada
	v_ldexp_f32 v96, v83, 1
	v_sub_f32_e32 v83, v83, v85
	s_or_b32 vcc_lo, vcc_lo, s10
	s_delay_alu instid0(VALU_DEP_3) | instskip(SKIP_1) | instid1(VALU_DEP_3)
	v_mul_f32_e32 v87, v97, v87
	v_mul_f32_e32 v97, 0x3f317218, v19
	v_sub_f32_e32 v20, v20, v83
	s_delay_alu instid0(VALU_DEP_3) | instskip(NEXT) | instid1(VALU_DEP_2)
	v_add_f32_e32 v85, v96, v87
	v_ldexp_f32 v20, v20, 1
	s_delay_alu instid0(VALU_DEP_2) | instskip(SKIP_1) | instid1(VALU_DEP_2)
	v_sub_f32_e32 v83, v85, v96
	v_fma_f32 v96, 0x3f317218, v19, -v97
	v_sub_f32_e32 v83, v87, v83
	s_delay_alu instid0(VALU_DEP_1) | instskip(NEXT) | instid1(VALU_DEP_1)
	v_dual_fmamk_f32 v19, v19, 0xb102e308, v96 :: v_dual_add_f32 v20, v20, v83
	v_add_f32_e32 v83, v97, v19
	s_delay_alu instid0(VALU_DEP_2) | instskip(NEXT) | instid1(VALU_DEP_2)
	v_add_f32_e32 v87, v85, v20
	v_sub_f32_e32 v97, v83, v97
	s_delay_alu instid0(VALU_DEP_2) | instskip(NEXT) | instid1(VALU_DEP_1)
	v_add_f32_e32 v96, v83, v87
	v_dual_sub_f32 v19, v19, v97 :: v_dual_sub_f32 v98, v96, v83
	v_sub_f32_e32 v85, v87, v85
	s_delay_alu instid0(VALU_DEP_2) | instskip(NEXT) | instid1(VALU_DEP_2)
	v_sub_f32_e32 v99, v96, v98
	v_dual_sub_f32 v20, v20, v85 :: v_dual_sub_f32 v85, v87, v98
	s_delay_alu instid0(VALU_DEP_2) | instskip(NEXT) | instid1(VALU_DEP_2)
	v_sub_f32_e32 v83, v83, v99
	v_add_f32_e32 v87, v19, v20
	s_delay_alu instid0(VALU_DEP_2) | instskip(NEXT) | instid1(VALU_DEP_2)
	v_add_f32_e32 v83, v85, v83
	v_sub_f32_e32 v85, v87, v19
	s_delay_alu instid0(VALU_DEP_2) | instskip(NEXT) | instid1(VALU_DEP_2)
	v_add_f32_e32 v83, v87, v83
	v_sub_f32_e32 v87, v87, v85
	v_sub_f32_e32 v20, v20, v85
	s_delay_alu instid0(VALU_DEP_3) | instskip(NEXT) | instid1(VALU_DEP_3)
	v_add_f32_e32 v97, v96, v83
	v_sub_f32_e32 v19, v19, v87
	s_delay_alu instid0(VALU_DEP_2) | instskip(NEXT) | instid1(VALU_DEP_1)
	v_sub_f32_e32 v85, v97, v96
	v_dual_add_f32 v19, v20, v19 :: v_dual_sub_f32 v20, v83, v85
	s_delay_alu instid0(VALU_DEP_1) | instskip(NEXT) | instid1(VALU_DEP_1)
	v_add_f32_e32 v19, v19, v20
	v_add_f32_e32 v19, v97, v19
	s_delay_alu instid0(VALU_DEP_1) | instskip(NEXT) | instid1(VALU_DEP_1)
	v_cndmask_b32_e32 v19, v19, v21, vcc_lo
	v_add_f32_e32 v19, v18, v19
.LBB453_65:
	s_or_b32 exec_lo, exec_lo, s9
	s_delay_alu instid0(VALU_DEP_1) | instskip(SKIP_1) | instid1(VALU_DEP_2)
	v_bfe_u32 v18, v19, 16, 1
	v_cmp_o_f32_e32 vcc_lo, v19, v19
	v_add3_u32 v18, v19, v18, 0x7fff
	s_delay_alu instid0(VALU_DEP_1) | instskip(NEXT) | instid1(VALU_DEP_1)
	v_and_b32_e32 v18, 0xffff0000, v18
	v_cndmask_b32_e32 v19, 0x7fc00000, v18, vcc_lo
	s_delay_alu instid0(VALU_DEP_1) | instskip(NEXT) | instid1(VALU_DEP_1)
	v_dual_max_f32 v18, v19, v19 :: v_dual_lshlrev_b32 v83, 16, v38
	v_max_f32_e32 v96, v83, v83
	v_cmp_u_f32_e32 vcc_lo, v19, v19
	v_cmp_u_f32_e64 s9, v83, v83
	s_delay_alu instid0(VALU_DEP_3) | instskip(SKIP_1) | instid1(VALU_DEP_2)
	v_min_f32_e32 v20, v18, v96
	v_max_f32_e32 v18, v18, v96
	v_cndmask_b32_e32 v20, v20, v19, vcc_lo
	s_delay_alu instid0(VALU_DEP_2) | instskip(NEXT) | instid1(VALU_DEP_2)
	v_cndmask_b32_e32 v18, v18, v19, vcc_lo
	v_cndmask_b32_e64 v20, v20, v83, s9
	s_delay_alu instid0(VALU_DEP_2) | instskip(NEXT) | instid1(VALU_DEP_2)
	v_cndmask_b32_e64 v18, v18, v83, s9
	v_cmp_class_f32_e64 s10, v20, 0x1f8
	s_delay_alu instid0(VALU_DEP_2) | instskip(NEXT) | instid1(VALU_DEP_2)
	v_cmp_neq_f32_e32 vcc_lo, v20, v18
	s_or_b32 s11, vcc_lo, s10
	s_delay_alu instid0(SALU_CYCLE_1)
	s_and_saveexec_b32 s10, s11
	s_cbranch_execz .LBB453_67
; %bb.66:
	v_sub_f32_e32 v19, v20, v18
	s_mov_b32 s11, 0x3e9b6dac
	s_delay_alu instid0(VALU_DEP_1) | instskip(SKIP_1) | instid1(VALU_DEP_2)
	v_mul_f32_e32 v20, 0x3fb8aa3b, v19
	v_cmp_ngt_f32_e32 vcc_lo, 0xc2ce8ed0, v19
	v_fma_f32 v21, 0x3fb8aa3b, v19, -v20
	v_rndne_f32_e32 v85, v20
	s_delay_alu instid0(VALU_DEP_1) | instskip(NEXT) | instid1(VALU_DEP_1)
	v_dual_fmamk_f32 v21, v19, 0x32a5705f, v21 :: v_dual_sub_f32 v20, v20, v85
	v_add_f32_e32 v20, v20, v21
	v_cvt_i32_f32_e32 v21, v85
	s_delay_alu instid0(VALU_DEP_2) | instskip(SKIP_2) | instid1(VALU_DEP_1)
	v_exp_f32_e32 v20, v20
	s_waitcnt_depctr 0xfff
	v_ldexp_f32 v20, v20, v21
	v_cndmask_b32_e32 v20, 0, v20, vcc_lo
	v_cmp_nlt_f32_e32 vcc_lo, 0x42b17218, v19
	s_delay_alu instid0(VALU_DEP_2) | instskip(NEXT) | instid1(VALU_DEP_1)
	v_cndmask_b32_e32 v21, 0x7f800000, v20, vcc_lo
	v_add_f32_e32 v85, 1.0, v21
	s_delay_alu instid0(VALU_DEP_1) | instskip(NEXT) | instid1(VALU_DEP_1)
	v_cvt_f64_f32_e32 v[19:20], v85
	v_frexp_exp_i32_f64_e32 v19, v[19:20]
	v_frexp_mant_f32_e32 v20, v85
	s_delay_alu instid0(VALU_DEP_1) | instskip(SKIP_1) | instid1(VALU_DEP_1)
	v_cmp_gt_f32_e32 vcc_lo, 0x3f2aaaab, v20
	v_add_f32_e32 v20, -1.0, v85
	v_dual_sub_f32 v97, v20, v85 :: v_dual_sub_f32 v20, v21, v20
	s_delay_alu instid0(VALU_DEP_1) | instskip(SKIP_2) | instid1(VALU_DEP_2)
	v_add_f32_e32 v97, 1.0, v97
	v_subrev_co_ci_u32_e32 v19, vcc_lo, 0, v19, vcc_lo
	v_cmp_eq_f32_e32 vcc_lo, 0x7f800000, v21
	v_sub_nc_u32_e32 v87, 0, v19
	v_cvt_f32_i32_e32 v19, v19
	s_delay_alu instid0(VALU_DEP_2) | instskip(SKIP_1) | instid1(VALU_DEP_1)
	v_ldexp_f32 v85, v85, v87
	v_add_f32_e32 v20, v20, v97
	v_ldexp_f32 v20, v20, v87
	s_delay_alu instid0(VALU_DEP_3) | instskip(NEXT) | instid1(VALU_DEP_1)
	v_add_f32_e32 v87, -1.0, v85
	v_dual_add_f32 v98, 1.0, v85 :: v_dual_add_f32 v99, 1.0, v87
	s_delay_alu instid0(VALU_DEP_1) | instskip(NEXT) | instid1(VALU_DEP_1)
	v_add_f32_e32 v97, -1.0, v98
	v_sub_f32_e32 v97, v85, v97
	s_delay_alu instid0(VALU_DEP_3) | instskip(NEXT) | instid1(VALU_DEP_2)
	v_sub_f32_e32 v85, v85, v99
	v_add_f32_e32 v97, v20, v97
	s_delay_alu instid0(VALU_DEP_1) | instskip(NEXT) | instid1(VALU_DEP_1)
	v_add_f32_e32 v99, v98, v97
	v_sub_f32_e32 v98, v98, v99
	s_delay_alu instid0(VALU_DEP_4) | instskip(SKIP_1) | instid1(VALU_DEP_1)
	v_add_f32_e32 v20, v20, v85
	v_rcp_f32_e32 v85, v99
	v_dual_add_f32 v97, v97, v98 :: v_dual_add_f32 v100, v87, v20
	s_delay_alu instid0(VALU_DEP_1) | instskip(SKIP_3) | instid1(VALU_DEP_2)
	v_sub_f32_e32 v87, v87, v100
	s_waitcnt_depctr 0xfff
	v_mul_f32_e32 v101, v100, v85
	v_add_f32_e32 v20, v20, v87
	v_mul_f32_e32 v102, v99, v101
	s_delay_alu instid0(VALU_DEP_1) | instskip(NEXT) | instid1(VALU_DEP_1)
	v_fma_f32 v98, v101, v99, -v102
	v_fmac_f32_e32 v98, v101, v97
	s_delay_alu instid0(VALU_DEP_1) | instskip(NEXT) | instid1(VALU_DEP_1)
	v_add_f32_e32 v103, v102, v98
	v_sub_f32_e32 v112, v100, v103
	s_delay_alu instid0(VALU_DEP_1) | instskip(NEXT) | instid1(VALU_DEP_1)
	v_dual_sub_f32 v100, v100, v112 :: v_dual_sub_f32 v87, v103, v102
	v_dual_sub_f32 v100, v100, v103 :: v_dual_sub_f32 v87, v87, v98
	s_delay_alu instid0(VALU_DEP_1) | instskip(NEXT) | instid1(VALU_DEP_1)
	v_add_f32_e32 v20, v20, v100
	v_add_f32_e32 v20, v87, v20
	s_delay_alu instid0(VALU_DEP_1) | instskip(NEXT) | instid1(VALU_DEP_1)
	v_add_f32_e32 v87, v112, v20
	v_mul_f32_e32 v98, v85, v87
	s_delay_alu instid0(VALU_DEP_1) | instskip(NEXT) | instid1(VALU_DEP_1)
	v_dual_sub_f32 v103, v112, v87 :: v_dual_mul_f32 v100, v99, v98
	v_add_f32_e32 v20, v20, v103
	s_delay_alu instid0(VALU_DEP_2) | instskip(NEXT) | instid1(VALU_DEP_1)
	v_fma_f32 v99, v98, v99, -v100
	v_fmac_f32_e32 v99, v98, v97
	s_delay_alu instid0(VALU_DEP_1) | instskip(NEXT) | instid1(VALU_DEP_1)
	v_add_f32_e32 v97, v100, v99
	v_sub_f32_e32 v102, v87, v97
	s_delay_alu instid0(VALU_DEP_1) | instskip(NEXT) | instid1(VALU_DEP_1)
	v_dual_sub_f32 v87, v87, v102 :: v_dual_sub_f32 v100, v97, v100
	v_sub_f32_e32 v87, v87, v97
	s_delay_alu instid0(VALU_DEP_2) | instskip(NEXT) | instid1(VALU_DEP_2)
	v_sub_f32_e32 v97, v100, v99
	v_dual_add_f32 v20, v20, v87 :: v_dual_add_f32 v87, v101, v98
	s_delay_alu instid0(VALU_DEP_1) | instskip(NEXT) | instid1(VALU_DEP_1)
	v_dual_add_f32 v20, v97, v20 :: v_dual_sub_f32 v97, v87, v101
	v_add_f32_e32 v20, v102, v20
	s_delay_alu instid0(VALU_DEP_1) | instskip(NEXT) | instid1(VALU_DEP_1)
	v_dual_sub_f32 v97, v98, v97 :: v_dual_mul_f32 v20, v85, v20
	v_add_f32_e32 v20, v97, v20
	s_delay_alu instid0(VALU_DEP_1) | instskip(NEXT) | instid1(VALU_DEP_1)
	v_add_f32_e32 v85, v87, v20
	v_mul_f32_e32 v97, v85, v85
	s_delay_alu instid0(VALU_DEP_1) | instskip(SKIP_2) | instid1(VALU_DEP_3)
	v_fmaak_f32 v98, s11, v97, 0x3ecc95a3
	v_mul_f32_e32 v99, v85, v97
	v_cmp_gt_f32_e64 s11, 0x33800000, |v21|
	v_fmaak_f32 v97, v97, v98, 0x3f2aaada
	v_ldexp_f32 v98, v85, 1
	v_sub_f32_e32 v85, v85, v87
	s_delay_alu instid0(VALU_DEP_4) | instskip(NEXT) | instid1(VALU_DEP_3)
	s_or_b32 vcc_lo, vcc_lo, s11
	v_mul_f32_e32 v97, v99, v97
	s_delay_alu instid0(VALU_DEP_2) | instskip(NEXT) | instid1(VALU_DEP_2)
	v_sub_f32_e32 v20, v20, v85
	v_add_f32_e32 v87, v98, v97
	s_delay_alu instid0(VALU_DEP_2) | instskip(NEXT) | instid1(VALU_DEP_2)
	v_ldexp_f32 v20, v20, 1
	v_sub_f32_e32 v85, v87, v98
	s_delay_alu instid0(VALU_DEP_1) | instskip(NEXT) | instid1(VALU_DEP_1)
	v_sub_f32_e32 v85, v97, v85
	v_dual_mul_f32 v99, 0x3f317218, v19 :: v_dual_add_f32 v20, v20, v85
	s_delay_alu instid0(VALU_DEP_1) | instskip(NEXT) | instid1(VALU_DEP_2)
	v_fma_f32 v98, 0x3f317218, v19, -v99
	v_add_f32_e32 v97, v87, v20
	s_delay_alu instid0(VALU_DEP_2) | instskip(NEXT) | instid1(VALU_DEP_1)
	v_fmamk_f32 v19, v19, 0xb102e308, v98
	v_add_f32_e32 v85, v99, v19
	s_delay_alu instid0(VALU_DEP_1) | instskip(NEXT) | instid1(VALU_DEP_1)
	v_add_f32_e32 v98, v85, v97
	v_dual_sub_f32 v99, v85, v99 :: v_dual_sub_f32 v100, v98, v85
	v_sub_f32_e32 v87, v97, v87
	s_delay_alu instid0(VALU_DEP_2) | instskip(NEXT) | instid1(VALU_DEP_2)
	v_sub_f32_e32 v19, v19, v99
	v_dual_sub_f32 v101, v98, v100 :: v_dual_sub_f32 v20, v20, v87
	v_sub_f32_e32 v87, v97, v100
	s_delay_alu instid0(VALU_DEP_2) | instskip(NEXT) | instid1(VALU_DEP_3)
	v_sub_f32_e32 v85, v85, v101
	v_add_f32_e32 v97, v19, v20
	s_delay_alu instid0(VALU_DEP_2) | instskip(NEXT) | instid1(VALU_DEP_2)
	v_add_f32_e32 v85, v87, v85
	v_sub_f32_e32 v87, v97, v19
	s_delay_alu instid0(VALU_DEP_2) | instskip(NEXT) | instid1(VALU_DEP_2)
	v_add_f32_e32 v85, v97, v85
	v_sub_f32_e32 v97, v97, v87
	s_delay_alu instid0(VALU_DEP_2) | instskip(NEXT) | instid1(VALU_DEP_2)
	v_dual_sub_f32 v20, v20, v87 :: v_dual_add_f32 v99, v98, v85
	v_sub_f32_e32 v19, v19, v97
	s_delay_alu instid0(VALU_DEP_2) | instskip(NEXT) | instid1(VALU_DEP_2)
	v_sub_f32_e32 v87, v99, v98
	v_add_f32_e32 v19, v20, v19
	s_delay_alu instid0(VALU_DEP_2) | instskip(NEXT) | instid1(VALU_DEP_1)
	v_sub_f32_e32 v20, v85, v87
	v_add_f32_e32 v19, v19, v20
	s_delay_alu instid0(VALU_DEP_1) | instskip(NEXT) | instid1(VALU_DEP_1)
	v_add_f32_e32 v19, v99, v19
	v_cndmask_b32_e32 v19, v19, v21, vcc_lo
	s_delay_alu instid0(VALU_DEP_1)
	v_add_f32_e32 v19, v18, v19
.LBB453_67:
	s_or_b32 exec_lo, exec_lo, s10
	s_delay_alu instid0(VALU_DEP_1) | instskip(SKIP_1) | instid1(VALU_DEP_2)
	v_bfe_u32 v18, v19, 16, 1
	v_cmp_o_f32_e32 vcc_lo, v19, v19
	v_add3_u32 v18, v19, v18, 0x7fff
	s_delay_alu instid0(VALU_DEP_1) | instskip(NEXT) | instid1(VALU_DEP_1)
	v_and_b32_e32 v18, 0xffff0000, v18
	v_cndmask_b32_e32 v19, 0x7fc00000, v18, vcc_lo
	s_delay_alu instid0(VALU_DEP_1) | instskip(NEXT) | instid1(VALU_DEP_1)
	v_dual_max_f32 v18, v19, v19 :: v_dual_lshlrev_b32 v85, 16, v37
	v_max_f32_e32 v98, v85, v85
	v_cmp_u_f32_e32 vcc_lo, v19, v19
	v_cmp_u_f32_e64 s10, v85, v85
	s_delay_alu instid0(VALU_DEP_3) | instskip(SKIP_1) | instid1(VALU_DEP_2)
	v_min_f32_e32 v20, v18, v98
	v_max_f32_e32 v18, v18, v98
	v_cndmask_b32_e32 v20, v20, v19, vcc_lo
	s_delay_alu instid0(VALU_DEP_2) | instskip(NEXT) | instid1(VALU_DEP_2)
	v_cndmask_b32_e32 v18, v18, v19, vcc_lo
	v_cndmask_b32_e64 v20, v20, v85, s10
	s_delay_alu instid0(VALU_DEP_2) | instskip(NEXT) | instid1(VALU_DEP_2)
	v_cndmask_b32_e64 v18, v18, v85, s10
	v_cmp_class_f32_e64 s11, v20, 0x1f8
	s_delay_alu instid0(VALU_DEP_2) | instskip(NEXT) | instid1(VALU_DEP_2)
	v_cmp_neq_f32_e32 vcc_lo, v20, v18
	s_or_b32 s13, vcc_lo, s11
	s_delay_alu instid0(SALU_CYCLE_1)
	s_and_saveexec_b32 s11, s13
	s_cbranch_execz .LBB453_69
; %bb.68:
	v_sub_f32_e32 v19, v20, v18
	s_mov_b32 s13, 0x3e9b6dac
	s_delay_alu instid0(VALU_DEP_1) | instskip(SKIP_1) | instid1(VALU_DEP_2)
	v_mul_f32_e32 v20, 0x3fb8aa3b, v19
	v_cmp_ngt_f32_e32 vcc_lo, 0xc2ce8ed0, v19
	v_fma_f32 v21, 0x3fb8aa3b, v19, -v20
	v_rndne_f32_e32 v87, v20
	s_delay_alu instid0(VALU_DEP_1) | instskip(NEXT) | instid1(VALU_DEP_1)
	v_dual_fmamk_f32 v21, v19, 0x32a5705f, v21 :: v_dual_sub_f32 v20, v20, v87
	v_add_f32_e32 v20, v20, v21
	v_cvt_i32_f32_e32 v21, v87
	s_delay_alu instid0(VALU_DEP_2) | instskip(SKIP_2) | instid1(VALU_DEP_1)
	v_exp_f32_e32 v20, v20
	s_waitcnt_depctr 0xfff
	v_ldexp_f32 v20, v20, v21
	v_cndmask_b32_e32 v20, 0, v20, vcc_lo
	v_cmp_nlt_f32_e32 vcc_lo, 0x42b17218, v19
	s_delay_alu instid0(VALU_DEP_2) | instskip(NEXT) | instid1(VALU_DEP_1)
	v_cndmask_b32_e32 v21, 0x7f800000, v20, vcc_lo
	v_add_f32_e32 v87, 1.0, v21
	s_delay_alu instid0(VALU_DEP_1) | instskip(NEXT) | instid1(VALU_DEP_1)
	v_cvt_f64_f32_e32 v[19:20], v87
	v_frexp_exp_i32_f64_e32 v19, v[19:20]
	v_frexp_mant_f32_e32 v20, v87
	s_delay_alu instid0(VALU_DEP_1) | instskip(SKIP_1) | instid1(VALU_DEP_1)
	v_cmp_gt_f32_e32 vcc_lo, 0x3f2aaaab, v20
	v_add_f32_e32 v20, -1.0, v87
	v_dual_sub_f32 v99, v20, v87 :: v_dual_sub_f32 v20, v21, v20
	s_delay_alu instid0(VALU_DEP_1) | instskip(NEXT) | instid1(VALU_DEP_1)
	v_add_f32_e32 v99, 1.0, v99
	v_add_f32_e32 v20, v20, v99
	v_subrev_co_ci_u32_e32 v19, vcc_lo, 0, v19, vcc_lo
	v_cmp_eq_f32_e32 vcc_lo, 0x7f800000, v21
	s_delay_alu instid0(VALU_DEP_2) | instskip(SKIP_1) | instid1(VALU_DEP_2)
	v_sub_nc_u32_e32 v97, 0, v19
	v_cvt_f32_i32_e32 v19, v19
	v_ldexp_f32 v87, v87, v97
	v_ldexp_f32 v20, v20, v97
	s_delay_alu instid0(VALU_DEP_2) | instskip(NEXT) | instid1(VALU_DEP_1)
	v_add_f32_e32 v97, -1.0, v87
	v_dual_add_f32 v100, 1.0, v87 :: v_dual_add_f32 v101, 1.0, v97
	s_delay_alu instid0(VALU_DEP_1) | instskip(NEXT) | instid1(VALU_DEP_1)
	v_add_f32_e32 v99, -1.0, v100
	v_sub_f32_e32 v99, v87, v99
	s_delay_alu instid0(VALU_DEP_3) | instskip(NEXT) | instid1(VALU_DEP_2)
	v_sub_f32_e32 v87, v87, v101
	v_add_f32_e32 v99, v20, v99
	s_delay_alu instid0(VALU_DEP_1) | instskip(NEXT) | instid1(VALU_DEP_1)
	v_add_f32_e32 v101, v100, v99
	v_sub_f32_e32 v100, v100, v101
	s_delay_alu instid0(VALU_DEP_4) | instskip(SKIP_1) | instid1(VALU_DEP_2)
	v_add_f32_e32 v20, v20, v87
	v_rcp_f32_e32 v87, v101
	v_add_f32_e32 v99, v99, v100
	s_delay_alu instid0(VALU_DEP_2) | instskip(NEXT) | instid1(VALU_DEP_1)
	v_add_f32_e32 v102, v97, v20
	v_sub_f32_e32 v97, v97, v102
	s_waitcnt_depctr 0xfff
	v_dual_mul_f32 v103, v102, v87 :: v_dual_add_f32 v20, v20, v97
	s_delay_alu instid0(VALU_DEP_1) | instskip(NEXT) | instid1(VALU_DEP_1)
	v_mul_f32_e32 v112, v101, v103
	v_fma_f32 v100, v103, v101, -v112
	s_delay_alu instid0(VALU_DEP_1) | instskip(NEXT) | instid1(VALU_DEP_1)
	v_fmac_f32_e32 v100, v103, v99
	v_add_f32_e32 v113, v112, v100
	s_delay_alu instid0(VALU_DEP_1) | instskip(NEXT) | instid1(VALU_DEP_1)
	v_dual_sub_f32 v114, v102, v113 :: v_dual_sub_f32 v97, v113, v112
	v_sub_f32_e32 v102, v102, v114
	s_delay_alu instid0(VALU_DEP_1) | instskip(NEXT) | instid1(VALU_DEP_1)
	v_dual_sub_f32 v102, v102, v113 :: v_dual_sub_f32 v97, v97, v100
	v_add_f32_e32 v20, v20, v102
	s_delay_alu instid0(VALU_DEP_1) | instskip(NEXT) | instid1(VALU_DEP_1)
	v_add_f32_e32 v20, v97, v20
	v_add_f32_e32 v97, v114, v20
	s_delay_alu instid0(VALU_DEP_1) | instskip(NEXT) | instid1(VALU_DEP_1)
	v_mul_f32_e32 v100, v87, v97
	v_dual_sub_f32 v113, v114, v97 :: v_dual_mul_f32 v102, v101, v100
	s_delay_alu instid0(VALU_DEP_1) | instskip(NEXT) | instid1(VALU_DEP_1)
	v_fma_f32 v101, v100, v101, -v102
	v_fmac_f32_e32 v101, v100, v99
	s_delay_alu instid0(VALU_DEP_3) | instskip(NEXT) | instid1(VALU_DEP_2)
	v_add_f32_e32 v20, v20, v113
	v_add_f32_e32 v99, v102, v101
	s_delay_alu instid0(VALU_DEP_1) | instskip(SKIP_1) | instid1(VALU_DEP_1)
	v_sub_f32_e32 v102, v99, v102
	v_sub_f32_e32 v112, v97, v99
	;; [unrolled: 1-line block ×3, first 2 shown]
	s_delay_alu instid0(VALU_DEP_1) | instskip(NEXT) | instid1(VALU_DEP_4)
	v_sub_f32_e32 v97, v97, v99
	v_sub_f32_e32 v99, v102, v101
	s_delay_alu instid0(VALU_DEP_2) | instskip(NEXT) | instid1(VALU_DEP_1)
	v_dual_add_f32 v20, v20, v97 :: v_dual_add_f32 v97, v103, v100
	v_dual_add_f32 v20, v99, v20 :: v_dual_sub_f32 v99, v97, v103
	s_delay_alu instid0(VALU_DEP_1) | instskip(NEXT) | instid1(VALU_DEP_1)
	v_add_f32_e32 v20, v112, v20
	v_dual_sub_f32 v99, v100, v99 :: v_dual_mul_f32 v20, v87, v20
	s_delay_alu instid0(VALU_DEP_1) | instskip(NEXT) | instid1(VALU_DEP_1)
	v_add_f32_e32 v20, v99, v20
	v_add_f32_e32 v87, v97, v20
	s_delay_alu instid0(VALU_DEP_1) | instskip(NEXT) | instid1(VALU_DEP_1)
	v_mul_f32_e32 v99, v87, v87
	v_fmaak_f32 v100, s13, v99, 0x3ecc95a3
	v_mul_f32_e32 v101, v87, v99
	v_cmp_gt_f32_e64 s13, 0x33800000, |v21|
	s_delay_alu instid0(VALU_DEP_3) | instskip(SKIP_2) | instid1(VALU_DEP_4)
	v_fmaak_f32 v99, v99, v100, 0x3f2aaada
	v_ldexp_f32 v100, v87, 1
	v_sub_f32_e32 v87, v87, v97
	s_or_b32 vcc_lo, vcc_lo, s13
	s_delay_alu instid0(VALU_DEP_3) | instskip(SKIP_1) | instid1(VALU_DEP_3)
	v_mul_f32_e32 v99, v101, v99
	v_mul_f32_e32 v101, 0x3f317218, v19
	v_sub_f32_e32 v20, v20, v87
	s_delay_alu instid0(VALU_DEP_3) | instskip(NEXT) | instid1(VALU_DEP_2)
	v_add_f32_e32 v97, v100, v99
	v_ldexp_f32 v20, v20, 1
	s_delay_alu instid0(VALU_DEP_2) | instskip(SKIP_1) | instid1(VALU_DEP_2)
	v_sub_f32_e32 v87, v97, v100
	v_fma_f32 v100, 0x3f317218, v19, -v101
	v_sub_f32_e32 v87, v99, v87
	s_delay_alu instid0(VALU_DEP_1) | instskip(NEXT) | instid1(VALU_DEP_1)
	v_dual_fmamk_f32 v19, v19, 0xb102e308, v100 :: v_dual_add_f32 v20, v20, v87
	v_add_f32_e32 v87, v101, v19
	s_delay_alu instid0(VALU_DEP_2) | instskip(NEXT) | instid1(VALU_DEP_2)
	v_add_f32_e32 v99, v97, v20
	v_sub_f32_e32 v101, v87, v101
	s_delay_alu instid0(VALU_DEP_2) | instskip(NEXT) | instid1(VALU_DEP_1)
	v_add_f32_e32 v100, v87, v99
	v_dual_sub_f32 v19, v19, v101 :: v_dual_sub_f32 v102, v100, v87
	v_sub_f32_e32 v97, v99, v97
	s_delay_alu instid0(VALU_DEP_2) | instskip(NEXT) | instid1(VALU_DEP_2)
	v_sub_f32_e32 v103, v100, v102
	v_dual_sub_f32 v20, v20, v97 :: v_dual_sub_f32 v97, v99, v102
	s_delay_alu instid0(VALU_DEP_2) | instskip(NEXT) | instid1(VALU_DEP_2)
	v_sub_f32_e32 v87, v87, v103
	v_add_f32_e32 v99, v19, v20
	s_delay_alu instid0(VALU_DEP_2) | instskip(NEXT) | instid1(VALU_DEP_2)
	v_add_f32_e32 v87, v97, v87
	v_sub_f32_e32 v97, v99, v19
	s_delay_alu instid0(VALU_DEP_2) | instskip(NEXT) | instid1(VALU_DEP_2)
	v_add_f32_e32 v87, v99, v87
	v_sub_f32_e32 v99, v99, v97
	v_sub_f32_e32 v20, v20, v97
	s_delay_alu instid0(VALU_DEP_3) | instskip(NEXT) | instid1(VALU_DEP_3)
	v_add_f32_e32 v101, v100, v87
	v_sub_f32_e32 v19, v19, v99
	s_delay_alu instid0(VALU_DEP_2) | instskip(NEXT) | instid1(VALU_DEP_1)
	v_sub_f32_e32 v97, v101, v100
	v_dual_add_f32 v19, v20, v19 :: v_dual_sub_f32 v20, v87, v97
	s_delay_alu instid0(VALU_DEP_1) | instskip(NEXT) | instid1(VALU_DEP_1)
	v_add_f32_e32 v19, v19, v20
	v_add_f32_e32 v19, v101, v19
	s_delay_alu instid0(VALU_DEP_1) | instskip(NEXT) | instid1(VALU_DEP_1)
	v_cndmask_b32_e32 v19, v19, v21, vcc_lo
	v_add_f32_e32 v19, v18, v19
.LBB453_69:
	s_or_b32 exec_lo, exec_lo, s11
	s_delay_alu instid0(VALU_DEP_1) | instskip(SKIP_1) | instid1(VALU_DEP_2)
	v_bfe_u32 v18, v19, 16, 1
	v_cmp_o_f32_e32 vcc_lo, v19, v19
	v_add3_u32 v18, v19, v18, 0x7fff
	s_delay_alu instid0(VALU_DEP_1) | instskip(NEXT) | instid1(VALU_DEP_1)
	v_and_b32_e32 v18, 0xffff0000, v18
	v_cndmask_b32_e32 v19, 0x7fc00000, v18, vcc_lo
	s_delay_alu instid0(VALU_DEP_1) | instskip(NEXT) | instid1(VALU_DEP_1)
	v_dual_max_f32 v18, v19, v19 :: v_dual_lshlrev_b32 v87, 16, v36
	v_max_f32_e32 v100, v87, v87
	v_cmp_u_f32_e32 vcc_lo, v19, v19
	v_cmp_u_f32_e64 s11, v87, v87
	s_delay_alu instid0(VALU_DEP_3) | instskip(SKIP_1) | instid1(VALU_DEP_2)
	v_min_f32_e32 v20, v18, v100
	v_max_f32_e32 v18, v18, v100
	v_cndmask_b32_e32 v20, v20, v19, vcc_lo
	s_delay_alu instid0(VALU_DEP_2) | instskip(NEXT) | instid1(VALU_DEP_2)
	v_cndmask_b32_e32 v18, v18, v19, vcc_lo
	v_cndmask_b32_e64 v20, v20, v87, s11
	s_delay_alu instid0(VALU_DEP_2) | instskip(NEXT) | instid1(VALU_DEP_2)
	v_cndmask_b32_e64 v18, v18, v87, s11
	v_cmp_class_f32_e64 s13, v20, 0x1f8
	s_delay_alu instid0(VALU_DEP_2) | instskip(NEXT) | instid1(VALU_DEP_2)
	v_cmp_neq_f32_e32 vcc_lo, v20, v18
	s_or_b32 s14, vcc_lo, s13
	s_delay_alu instid0(SALU_CYCLE_1)
	s_and_saveexec_b32 s13, s14
	s_cbranch_execz .LBB453_71
; %bb.70:
	v_sub_f32_e32 v19, v20, v18
	s_mov_b32 s14, 0x3e9b6dac
	s_delay_alu instid0(VALU_DEP_1) | instskip(SKIP_1) | instid1(VALU_DEP_2)
	v_mul_f32_e32 v20, 0x3fb8aa3b, v19
	v_cmp_ngt_f32_e32 vcc_lo, 0xc2ce8ed0, v19
	v_fma_f32 v21, 0x3fb8aa3b, v19, -v20
	v_rndne_f32_e32 v97, v20
	s_delay_alu instid0(VALU_DEP_1) | instskip(NEXT) | instid1(VALU_DEP_1)
	v_dual_fmamk_f32 v21, v19, 0x32a5705f, v21 :: v_dual_sub_f32 v20, v20, v97
	v_add_f32_e32 v20, v20, v21
	v_cvt_i32_f32_e32 v21, v97
	s_delay_alu instid0(VALU_DEP_2) | instskip(SKIP_2) | instid1(VALU_DEP_1)
	v_exp_f32_e32 v20, v20
	s_waitcnt_depctr 0xfff
	v_ldexp_f32 v20, v20, v21
	v_cndmask_b32_e32 v20, 0, v20, vcc_lo
	v_cmp_nlt_f32_e32 vcc_lo, 0x42b17218, v19
	s_delay_alu instid0(VALU_DEP_2) | instskip(NEXT) | instid1(VALU_DEP_1)
	v_cndmask_b32_e32 v21, 0x7f800000, v20, vcc_lo
	v_add_f32_e32 v97, 1.0, v21
	s_delay_alu instid0(VALU_DEP_1) | instskip(NEXT) | instid1(VALU_DEP_1)
	v_cvt_f64_f32_e32 v[19:20], v97
	v_frexp_exp_i32_f64_e32 v19, v[19:20]
	v_frexp_mant_f32_e32 v20, v97
	s_delay_alu instid0(VALU_DEP_1) | instskip(SKIP_1) | instid1(VALU_DEP_1)
	v_cmp_gt_f32_e32 vcc_lo, 0x3f2aaaab, v20
	v_add_f32_e32 v20, -1.0, v97
	v_dual_sub_f32 v101, v20, v97 :: v_dual_sub_f32 v20, v21, v20
	s_delay_alu instid0(VALU_DEP_1) | instskip(SKIP_2) | instid1(VALU_DEP_2)
	v_add_f32_e32 v101, 1.0, v101
	v_subrev_co_ci_u32_e32 v19, vcc_lo, 0, v19, vcc_lo
	v_cmp_eq_f32_e32 vcc_lo, 0x7f800000, v21
	v_sub_nc_u32_e32 v99, 0, v19
	v_cvt_f32_i32_e32 v19, v19
	s_delay_alu instid0(VALU_DEP_2) | instskip(SKIP_1) | instid1(VALU_DEP_1)
	v_ldexp_f32 v97, v97, v99
	v_add_f32_e32 v20, v20, v101
	v_ldexp_f32 v20, v20, v99
	s_delay_alu instid0(VALU_DEP_3) | instskip(NEXT) | instid1(VALU_DEP_1)
	v_add_f32_e32 v99, -1.0, v97
	v_dual_add_f32 v102, 1.0, v97 :: v_dual_add_f32 v103, 1.0, v99
	s_delay_alu instid0(VALU_DEP_1) | instskip(NEXT) | instid1(VALU_DEP_1)
	v_add_f32_e32 v101, -1.0, v102
	v_sub_f32_e32 v101, v97, v101
	s_delay_alu instid0(VALU_DEP_3) | instskip(NEXT) | instid1(VALU_DEP_2)
	v_sub_f32_e32 v97, v97, v103
	v_add_f32_e32 v101, v20, v101
	s_delay_alu instid0(VALU_DEP_1) | instskip(NEXT) | instid1(VALU_DEP_1)
	v_add_f32_e32 v103, v102, v101
	v_sub_f32_e32 v102, v102, v103
	s_delay_alu instid0(VALU_DEP_4) | instskip(SKIP_1) | instid1(VALU_DEP_1)
	v_add_f32_e32 v20, v20, v97
	v_rcp_f32_e32 v97, v103
	v_dual_add_f32 v101, v101, v102 :: v_dual_add_f32 v112, v99, v20
	s_delay_alu instid0(VALU_DEP_1) | instskip(SKIP_3) | instid1(VALU_DEP_2)
	v_sub_f32_e32 v99, v99, v112
	s_waitcnt_depctr 0xfff
	v_mul_f32_e32 v113, v112, v97
	v_add_f32_e32 v20, v20, v99
	v_mul_f32_e32 v114, v103, v113
	s_delay_alu instid0(VALU_DEP_1) | instskip(NEXT) | instid1(VALU_DEP_1)
	v_fma_f32 v102, v113, v103, -v114
	v_fmac_f32_e32 v102, v113, v101
	s_delay_alu instid0(VALU_DEP_1) | instskip(NEXT) | instid1(VALU_DEP_1)
	v_add_f32_e32 v115, v114, v102
	v_sub_f32_e32 v116, v112, v115
	s_delay_alu instid0(VALU_DEP_1) | instskip(NEXT) | instid1(VALU_DEP_1)
	v_dual_sub_f32 v112, v112, v116 :: v_dual_sub_f32 v99, v115, v114
	v_dual_sub_f32 v112, v112, v115 :: v_dual_sub_f32 v99, v99, v102
	s_delay_alu instid0(VALU_DEP_1) | instskip(NEXT) | instid1(VALU_DEP_1)
	v_add_f32_e32 v20, v20, v112
	v_add_f32_e32 v20, v99, v20
	s_delay_alu instid0(VALU_DEP_1) | instskip(NEXT) | instid1(VALU_DEP_1)
	v_add_f32_e32 v99, v116, v20
	v_mul_f32_e32 v102, v97, v99
	s_delay_alu instid0(VALU_DEP_1) | instskip(NEXT) | instid1(VALU_DEP_1)
	v_dual_sub_f32 v115, v116, v99 :: v_dual_mul_f32 v112, v103, v102
	v_add_f32_e32 v20, v20, v115
	s_delay_alu instid0(VALU_DEP_2) | instskip(NEXT) | instid1(VALU_DEP_1)
	v_fma_f32 v103, v102, v103, -v112
	v_fmac_f32_e32 v103, v102, v101
	s_delay_alu instid0(VALU_DEP_1) | instskip(NEXT) | instid1(VALU_DEP_1)
	v_add_f32_e32 v101, v112, v103
	v_sub_f32_e32 v114, v99, v101
	s_delay_alu instid0(VALU_DEP_1) | instskip(NEXT) | instid1(VALU_DEP_1)
	v_dual_sub_f32 v99, v99, v114 :: v_dual_sub_f32 v112, v101, v112
	v_sub_f32_e32 v99, v99, v101
	s_delay_alu instid0(VALU_DEP_2) | instskip(NEXT) | instid1(VALU_DEP_2)
	v_sub_f32_e32 v101, v112, v103
	v_dual_add_f32 v20, v20, v99 :: v_dual_add_f32 v99, v113, v102
	s_delay_alu instid0(VALU_DEP_1) | instskip(NEXT) | instid1(VALU_DEP_1)
	v_dual_add_f32 v20, v101, v20 :: v_dual_sub_f32 v101, v99, v113
	v_add_f32_e32 v20, v114, v20
	s_delay_alu instid0(VALU_DEP_1) | instskip(NEXT) | instid1(VALU_DEP_1)
	v_dual_sub_f32 v101, v102, v101 :: v_dual_mul_f32 v20, v97, v20
	v_add_f32_e32 v20, v101, v20
	s_delay_alu instid0(VALU_DEP_1) | instskip(NEXT) | instid1(VALU_DEP_1)
	v_add_f32_e32 v97, v99, v20
	v_mul_f32_e32 v101, v97, v97
	s_delay_alu instid0(VALU_DEP_1) | instskip(SKIP_2) | instid1(VALU_DEP_3)
	v_fmaak_f32 v102, s14, v101, 0x3ecc95a3
	v_mul_f32_e32 v103, v97, v101
	v_cmp_gt_f32_e64 s14, 0x33800000, |v21|
	v_fmaak_f32 v101, v101, v102, 0x3f2aaada
	v_ldexp_f32 v102, v97, 1
	v_sub_f32_e32 v97, v97, v99
	s_delay_alu instid0(VALU_DEP_4) | instskip(NEXT) | instid1(VALU_DEP_3)
	s_or_b32 vcc_lo, vcc_lo, s14
	v_mul_f32_e32 v101, v103, v101
	s_delay_alu instid0(VALU_DEP_2) | instskip(NEXT) | instid1(VALU_DEP_2)
	v_sub_f32_e32 v20, v20, v97
	v_add_f32_e32 v99, v102, v101
	s_delay_alu instid0(VALU_DEP_2) | instskip(NEXT) | instid1(VALU_DEP_2)
	v_ldexp_f32 v20, v20, 1
	v_sub_f32_e32 v97, v99, v102
	s_delay_alu instid0(VALU_DEP_1) | instskip(NEXT) | instid1(VALU_DEP_1)
	v_sub_f32_e32 v97, v101, v97
	v_dual_mul_f32 v103, 0x3f317218, v19 :: v_dual_add_f32 v20, v20, v97
	s_delay_alu instid0(VALU_DEP_1) | instskip(NEXT) | instid1(VALU_DEP_2)
	v_fma_f32 v102, 0x3f317218, v19, -v103
	v_add_f32_e32 v101, v99, v20
	s_delay_alu instid0(VALU_DEP_2) | instskip(NEXT) | instid1(VALU_DEP_1)
	v_fmamk_f32 v19, v19, 0xb102e308, v102
	v_add_f32_e32 v97, v103, v19
	s_delay_alu instid0(VALU_DEP_1) | instskip(NEXT) | instid1(VALU_DEP_1)
	v_add_f32_e32 v102, v97, v101
	v_dual_sub_f32 v103, v97, v103 :: v_dual_sub_f32 v112, v102, v97
	v_sub_f32_e32 v99, v101, v99
	s_delay_alu instid0(VALU_DEP_2) | instskip(NEXT) | instid1(VALU_DEP_2)
	v_sub_f32_e32 v19, v19, v103
	v_dual_sub_f32 v113, v102, v112 :: v_dual_sub_f32 v20, v20, v99
	v_sub_f32_e32 v99, v101, v112
	s_delay_alu instid0(VALU_DEP_2) | instskip(NEXT) | instid1(VALU_DEP_3)
	v_sub_f32_e32 v97, v97, v113
	v_add_f32_e32 v101, v19, v20
	s_delay_alu instid0(VALU_DEP_2) | instskip(NEXT) | instid1(VALU_DEP_2)
	v_add_f32_e32 v97, v99, v97
	v_sub_f32_e32 v99, v101, v19
	s_delay_alu instid0(VALU_DEP_2) | instskip(NEXT) | instid1(VALU_DEP_2)
	v_add_f32_e32 v97, v101, v97
	v_sub_f32_e32 v101, v101, v99
	s_delay_alu instid0(VALU_DEP_2) | instskip(NEXT) | instid1(VALU_DEP_2)
	v_dual_sub_f32 v20, v20, v99 :: v_dual_add_f32 v103, v102, v97
	v_sub_f32_e32 v19, v19, v101
	s_delay_alu instid0(VALU_DEP_2) | instskip(NEXT) | instid1(VALU_DEP_2)
	v_sub_f32_e32 v99, v103, v102
	v_add_f32_e32 v19, v20, v19
	s_delay_alu instid0(VALU_DEP_2) | instskip(NEXT) | instid1(VALU_DEP_1)
	v_sub_f32_e32 v20, v97, v99
	v_add_f32_e32 v19, v19, v20
	s_delay_alu instid0(VALU_DEP_1) | instskip(NEXT) | instid1(VALU_DEP_1)
	v_add_f32_e32 v19, v103, v19
	v_cndmask_b32_e32 v19, v19, v21, vcc_lo
	s_delay_alu instid0(VALU_DEP_1)
	v_add_f32_e32 v19, v18, v19
.LBB453_71:
	s_or_b32 exec_lo, exec_lo, s13
	s_delay_alu instid0(VALU_DEP_1) | instskip(SKIP_1) | instid1(VALU_DEP_2)
	v_bfe_u32 v18, v19, 16, 1
	v_cmp_o_f32_e32 vcc_lo, v19, v19
	v_add3_u32 v18, v19, v18, 0x7fff
	s_delay_alu instid0(VALU_DEP_1) | instskip(NEXT) | instid1(VALU_DEP_1)
	v_and_b32_e32 v18, 0xffff0000, v18
	v_cndmask_b32_e32 v19, 0x7fc00000, v18, vcc_lo
	s_delay_alu instid0(VALU_DEP_1) | instskip(SKIP_1) | instid1(VALU_DEP_1)
	v_max_f32_e32 v18, v19, v19
	v_lshlrev_b32_e32 v97, 16, v35
	v_max_f32_e32 v102, v97, v97
	v_cmp_u_f32_e32 vcc_lo, v19, v19
	s_delay_alu instid0(VALU_DEP_2) | instskip(SKIP_2) | instid1(VALU_DEP_3)
	v_min_f32_e32 v20, v18, v102
	v_max_f32_e32 v18, v18, v102
	v_cmp_u_f32_e64 s13, v97, v97
	v_cndmask_b32_e32 v20, v20, v19, vcc_lo
	s_delay_alu instid0(VALU_DEP_3) | instskip(NEXT) | instid1(VALU_DEP_2)
	v_cndmask_b32_e32 v18, v18, v19, vcc_lo
	v_cndmask_b32_e64 v20, v20, v97, s13
	s_delay_alu instid0(VALU_DEP_2) | instskip(NEXT) | instid1(VALU_DEP_2)
	v_cndmask_b32_e64 v18, v18, v97, s13
	v_cmp_class_f32_e64 s14, v20, 0x1f8
	s_delay_alu instid0(VALU_DEP_2) | instskip(NEXT) | instid1(VALU_DEP_2)
	v_cmp_neq_f32_e32 vcc_lo, v20, v18
	s_or_b32 s15, vcc_lo, s14
	s_delay_alu instid0(SALU_CYCLE_1)
	s_and_saveexec_b32 s14, s15
	s_cbranch_execz .LBB453_73
; %bb.72:
	v_sub_f32_e32 v19, v20, v18
	s_mov_b32 s15, 0x3e9b6dac
	s_delay_alu instid0(VALU_DEP_1) | instskip(SKIP_1) | instid1(VALU_DEP_2)
	v_mul_f32_e32 v20, 0x3fb8aa3b, v19
	v_cmp_ngt_f32_e32 vcc_lo, 0xc2ce8ed0, v19
	v_fma_f32 v21, 0x3fb8aa3b, v19, -v20
	v_rndne_f32_e32 v99, v20
	s_delay_alu instid0(VALU_DEP_1) | instskip(NEXT) | instid1(VALU_DEP_1)
	v_dual_fmamk_f32 v21, v19, 0x32a5705f, v21 :: v_dual_sub_f32 v20, v20, v99
	v_add_f32_e32 v20, v20, v21
	v_cvt_i32_f32_e32 v21, v99
	s_delay_alu instid0(VALU_DEP_2) | instskip(SKIP_2) | instid1(VALU_DEP_1)
	v_exp_f32_e32 v20, v20
	s_waitcnt_depctr 0xfff
	v_ldexp_f32 v20, v20, v21
	v_cndmask_b32_e32 v20, 0, v20, vcc_lo
	v_cmp_nlt_f32_e32 vcc_lo, 0x42b17218, v19
	s_delay_alu instid0(VALU_DEP_2) | instskip(NEXT) | instid1(VALU_DEP_1)
	v_cndmask_b32_e32 v21, 0x7f800000, v20, vcc_lo
	v_add_f32_e32 v99, 1.0, v21
	s_delay_alu instid0(VALU_DEP_1) | instskip(NEXT) | instid1(VALU_DEP_1)
	v_cvt_f64_f32_e32 v[19:20], v99
	v_frexp_exp_i32_f64_e32 v19, v[19:20]
	v_frexp_mant_f32_e32 v20, v99
	s_delay_alu instid0(VALU_DEP_1) | instskip(SKIP_1) | instid1(VALU_DEP_1)
	v_cmp_gt_f32_e32 vcc_lo, 0x3f2aaaab, v20
	v_add_f32_e32 v20, -1.0, v99
	v_dual_sub_f32 v103, v20, v99 :: v_dual_sub_f32 v20, v21, v20
	s_delay_alu instid0(VALU_DEP_1) | instskip(NEXT) | instid1(VALU_DEP_1)
	v_add_f32_e32 v103, 1.0, v103
	v_add_f32_e32 v20, v20, v103
	v_subrev_co_ci_u32_e32 v19, vcc_lo, 0, v19, vcc_lo
	v_cmp_eq_f32_e32 vcc_lo, 0x7f800000, v21
	s_delay_alu instid0(VALU_DEP_2) | instskip(SKIP_1) | instid1(VALU_DEP_2)
	v_sub_nc_u32_e32 v101, 0, v19
	v_cvt_f32_i32_e32 v19, v19
	v_ldexp_f32 v99, v99, v101
	v_ldexp_f32 v20, v20, v101
	s_delay_alu instid0(VALU_DEP_2) | instskip(NEXT) | instid1(VALU_DEP_1)
	v_add_f32_e32 v101, -1.0, v99
	v_dual_add_f32 v112, 1.0, v99 :: v_dual_add_f32 v113, 1.0, v101
	s_delay_alu instid0(VALU_DEP_1) | instskip(NEXT) | instid1(VALU_DEP_1)
	v_add_f32_e32 v103, -1.0, v112
	v_sub_f32_e32 v103, v99, v103
	s_delay_alu instid0(VALU_DEP_3) | instskip(NEXT) | instid1(VALU_DEP_2)
	v_sub_f32_e32 v99, v99, v113
	v_add_f32_e32 v103, v20, v103
	s_delay_alu instid0(VALU_DEP_1) | instskip(NEXT) | instid1(VALU_DEP_1)
	v_add_f32_e32 v113, v112, v103
	v_sub_f32_e32 v112, v112, v113
	s_delay_alu instid0(VALU_DEP_4) | instskip(SKIP_1) | instid1(VALU_DEP_2)
	v_add_f32_e32 v20, v20, v99
	v_rcp_f32_e32 v99, v113
	v_add_f32_e32 v103, v103, v112
	s_delay_alu instid0(VALU_DEP_2) | instskip(NEXT) | instid1(VALU_DEP_1)
	v_add_f32_e32 v114, v101, v20
	v_sub_f32_e32 v101, v101, v114
	s_waitcnt_depctr 0xfff
	v_dual_mul_f32 v115, v114, v99 :: v_dual_add_f32 v20, v20, v101
	s_delay_alu instid0(VALU_DEP_1) | instskip(NEXT) | instid1(VALU_DEP_1)
	v_mul_f32_e32 v116, v113, v115
	v_fma_f32 v112, v115, v113, -v116
	s_delay_alu instid0(VALU_DEP_1) | instskip(NEXT) | instid1(VALU_DEP_1)
	v_fmac_f32_e32 v112, v115, v103
	v_add_f32_e32 v117, v116, v112
	s_delay_alu instid0(VALU_DEP_1) | instskip(NEXT) | instid1(VALU_DEP_1)
	v_dual_sub_f32 v118, v114, v117 :: v_dual_sub_f32 v101, v117, v116
	v_sub_f32_e32 v114, v114, v118
	s_delay_alu instid0(VALU_DEP_1) | instskip(NEXT) | instid1(VALU_DEP_1)
	v_dual_sub_f32 v114, v114, v117 :: v_dual_sub_f32 v101, v101, v112
	v_add_f32_e32 v20, v20, v114
	s_delay_alu instid0(VALU_DEP_1) | instskip(NEXT) | instid1(VALU_DEP_1)
	v_add_f32_e32 v20, v101, v20
	v_add_f32_e32 v101, v118, v20
	s_delay_alu instid0(VALU_DEP_1) | instskip(NEXT) | instid1(VALU_DEP_1)
	v_mul_f32_e32 v112, v99, v101
	v_dual_sub_f32 v117, v118, v101 :: v_dual_mul_f32 v114, v113, v112
	s_delay_alu instid0(VALU_DEP_1) | instskip(NEXT) | instid1(VALU_DEP_1)
	v_fma_f32 v113, v112, v113, -v114
	v_fmac_f32_e32 v113, v112, v103
	s_delay_alu instid0(VALU_DEP_3) | instskip(NEXT) | instid1(VALU_DEP_2)
	v_add_f32_e32 v20, v20, v117
	v_add_f32_e32 v103, v114, v113
	s_delay_alu instid0(VALU_DEP_1) | instskip(SKIP_1) | instid1(VALU_DEP_1)
	v_sub_f32_e32 v114, v103, v114
	v_sub_f32_e32 v116, v101, v103
	;; [unrolled: 1-line block ×3, first 2 shown]
	s_delay_alu instid0(VALU_DEP_1) | instskip(NEXT) | instid1(VALU_DEP_4)
	v_sub_f32_e32 v101, v101, v103
	v_sub_f32_e32 v103, v114, v113
	s_delay_alu instid0(VALU_DEP_2) | instskip(NEXT) | instid1(VALU_DEP_1)
	v_dual_add_f32 v20, v20, v101 :: v_dual_add_f32 v101, v115, v112
	v_dual_add_f32 v20, v103, v20 :: v_dual_sub_f32 v103, v101, v115
	s_delay_alu instid0(VALU_DEP_1) | instskip(NEXT) | instid1(VALU_DEP_1)
	v_add_f32_e32 v20, v116, v20
	v_dual_sub_f32 v103, v112, v103 :: v_dual_mul_f32 v20, v99, v20
	s_delay_alu instid0(VALU_DEP_1) | instskip(NEXT) | instid1(VALU_DEP_1)
	v_add_f32_e32 v20, v103, v20
	v_add_f32_e32 v99, v101, v20
	s_delay_alu instid0(VALU_DEP_1) | instskip(NEXT) | instid1(VALU_DEP_1)
	v_mul_f32_e32 v103, v99, v99
	v_fmaak_f32 v112, s15, v103, 0x3ecc95a3
	v_mul_f32_e32 v113, v99, v103
	v_cmp_gt_f32_e64 s15, 0x33800000, |v21|
	s_delay_alu instid0(VALU_DEP_3) | instskip(SKIP_2) | instid1(VALU_DEP_4)
	v_fmaak_f32 v103, v103, v112, 0x3f2aaada
	v_ldexp_f32 v112, v99, 1
	v_sub_f32_e32 v99, v99, v101
	s_or_b32 vcc_lo, vcc_lo, s15
	s_delay_alu instid0(VALU_DEP_3) | instskip(SKIP_1) | instid1(VALU_DEP_3)
	v_mul_f32_e32 v103, v113, v103
	v_mul_f32_e32 v113, 0x3f317218, v19
	v_sub_f32_e32 v20, v20, v99
	s_delay_alu instid0(VALU_DEP_3) | instskip(NEXT) | instid1(VALU_DEP_2)
	v_add_f32_e32 v101, v112, v103
	v_ldexp_f32 v20, v20, 1
	s_delay_alu instid0(VALU_DEP_2) | instskip(SKIP_1) | instid1(VALU_DEP_2)
	v_sub_f32_e32 v99, v101, v112
	v_fma_f32 v112, 0x3f317218, v19, -v113
	v_sub_f32_e32 v99, v103, v99
	s_delay_alu instid0(VALU_DEP_1) | instskip(NEXT) | instid1(VALU_DEP_1)
	v_dual_fmamk_f32 v19, v19, 0xb102e308, v112 :: v_dual_add_f32 v20, v20, v99
	v_add_f32_e32 v99, v113, v19
	s_delay_alu instid0(VALU_DEP_2) | instskip(NEXT) | instid1(VALU_DEP_2)
	v_add_f32_e32 v103, v101, v20
	v_sub_f32_e32 v113, v99, v113
	s_delay_alu instid0(VALU_DEP_2) | instskip(NEXT) | instid1(VALU_DEP_1)
	v_add_f32_e32 v112, v99, v103
	v_dual_sub_f32 v19, v19, v113 :: v_dual_sub_f32 v114, v112, v99
	v_sub_f32_e32 v101, v103, v101
	s_delay_alu instid0(VALU_DEP_2) | instskip(NEXT) | instid1(VALU_DEP_2)
	v_sub_f32_e32 v115, v112, v114
	v_dual_sub_f32 v20, v20, v101 :: v_dual_sub_f32 v101, v103, v114
	s_delay_alu instid0(VALU_DEP_2) | instskip(NEXT) | instid1(VALU_DEP_2)
	v_sub_f32_e32 v99, v99, v115
	v_add_f32_e32 v103, v19, v20
	s_delay_alu instid0(VALU_DEP_2) | instskip(NEXT) | instid1(VALU_DEP_2)
	v_add_f32_e32 v99, v101, v99
	v_sub_f32_e32 v101, v103, v19
	s_delay_alu instid0(VALU_DEP_2) | instskip(NEXT) | instid1(VALU_DEP_2)
	v_add_f32_e32 v99, v103, v99
	v_sub_f32_e32 v103, v103, v101
	v_sub_f32_e32 v20, v20, v101
	s_delay_alu instid0(VALU_DEP_3) | instskip(NEXT) | instid1(VALU_DEP_3)
	v_add_f32_e32 v113, v112, v99
	v_sub_f32_e32 v19, v19, v103
	s_delay_alu instid0(VALU_DEP_2) | instskip(NEXT) | instid1(VALU_DEP_1)
	v_sub_f32_e32 v101, v113, v112
	v_dual_add_f32 v19, v20, v19 :: v_dual_sub_f32 v20, v99, v101
	s_delay_alu instid0(VALU_DEP_1) | instskip(NEXT) | instid1(VALU_DEP_1)
	v_add_f32_e32 v19, v19, v20
	v_add_f32_e32 v19, v113, v19
	s_delay_alu instid0(VALU_DEP_1) | instskip(NEXT) | instid1(VALU_DEP_1)
	v_cndmask_b32_e32 v19, v19, v21, vcc_lo
	v_add_f32_e32 v19, v18, v19
.LBB453_73:
	s_or_b32 exec_lo, exec_lo, s14
	s_delay_alu instid0(VALU_DEP_1) | instskip(SKIP_1) | instid1(VALU_DEP_2)
	v_bfe_u32 v18, v19, 16, 1
	v_cmp_o_f32_e32 vcc_lo, v19, v19
	v_add3_u32 v18, v19, v18, 0x7fff
	s_delay_alu instid0(VALU_DEP_1) | instskip(NEXT) | instid1(VALU_DEP_1)
	v_and_b32_e32 v18, 0xffff0000, v18
	v_cndmask_b32_e32 v19, 0x7fc00000, v18, vcc_lo
	s_delay_alu instid0(VALU_DEP_1) | instskip(NEXT) | instid1(VALU_DEP_1)
	v_dual_max_f32 v18, v19, v19 :: v_dual_lshlrev_b32 v99, 16, v34
	v_max_f32_e32 v112, v99, v99
	v_cmp_u_f32_e32 vcc_lo, v19, v19
	v_cmp_u_f32_e64 s14, v99, v99
	s_delay_alu instid0(VALU_DEP_3) | instskip(SKIP_1) | instid1(VALU_DEP_2)
	v_min_f32_e32 v20, v18, v112
	v_max_f32_e32 v18, v18, v112
	v_cndmask_b32_e32 v20, v20, v19, vcc_lo
	s_delay_alu instid0(VALU_DEP_2) | instskip(NEXT) | instid1(VALU_DEP_2)
	v_cndmask_b32_e32 v18, v18, v19, vcc_lo
	v_cndmask_b32_e64 v20, v20, v99, s14
	s_delay_alu instid0(VALU_DEP_2) | instskip(NEXT) | instid1(VALU_DEP_2)
	v_cndmask_b32_e64 v18, v18, v99, s14
	v_cmp_class_f32_e64 s15, v20, 0x1f8
	s_delay_alu instid0(VALU_DEP_2) | instskip(NEXT) | instid1(VALU_DEP_2)
	v_cmp_neq_f32_e32 vcc_lo, v20, v18
	s_or_b32 s16, vcc_lo, s15
	s_delay_alu instid0(SALU_CYCLE_1)
	s_and_saveexec_b32 s15, s16
	s_cbranch_execz .LBB453_75
; %bb.74:
	v_sub_f32_e32 v19, v20, v18
	s_mov_b32 s16, 0x3e9b6dac
	s_delay_alu instid0(VALU_DEP_1) | instskip(SKIP_1) | instid1(VALU_DEP_2)
	v_mul_f32_e32 v20, 0x3fb8aa3b, v19
	v_cmp_ngt_f32_e32 vcc_lo, 0xc2ce8ed0, v19
	v_fma_f32 v21, 0x3fb8aa3b, v19, -v20
	v_rndne_f32_e32 v101, v20
	s_delay_alu instid0(VALU_DEP_1) | instskip(NEXT) | instid1(VALU_DEP_1)
	v_dual_fmamk_f32 v21, v19, 0x32a5705f, v21 :: v_dual_sub_f32 v20, v20, v101
	v_add_f32_e32 v20, v20, v21
	v_cvt_i32_f32_e32 v21, v101
	s_delay_alu instid0(VALU_DEP_2) | instskip(SKIP_2) | instid1(VALU_DEP_1)
	v_exp_f32_e32 v20, v20
	s_waitcnt_depctr 0xfff
	v_ldexp_f32 v20, v20, v21
	v_cndmask_b32_e32 v20, 0, v20, vcc_lo
	v_cmp_nlt_f32_e32 vcc_lo, 0x42b17218, v19
	s_delay_alu instid0(VALU_DEP_2) | instskip(NEXT) | instid1(VALU_DEP_1)
	v_cndmask_b32_e32 v21, 0x7f800000, v20, vcc_lo
	v_add_f32_e32 v101, 1.0, v21
	s_delay_alu instid0(VALU_DEP_1) | instskip(NEXT) | instid1(VALU_DEP_1)
	v_cvt_f64_f32_e32 v[19:20], v101
	v_frexp_exp_i32_f64_e32 v19, v[19:20]
	v_frexp_mant_f32_e32 v20, v101
	s_delay_alu instid0(VALU_DEP_1) | instskip(SKIP_1) | instid1(VALU_DEP_1)
	v_cmp_gt_f32_e32 vcc_lo, 0x3f2aaaab, v20
	v_add_f32_e32 v20, -1.0, v101
	v_dual_sub_f32 v113, v20, v101 :: v_dual_sub_f32 v20, v21, v20
	s_delay_alu instid0(VALU_DEP_1) | instskip(SKIP_2) | instid1(VALU_DEP_2)
	v_add_f32_e32 v113, 1.0, v113
	v_subrev_co_ci_u32_e32 v19, vcc_lo, 0, v19, vcc_lo
	v_cmp_eq_f32_e32 vcc_lo, 0x7f800000, v21
	v_sub_nc_u32_e32 v103, 0, v19
	v_cvt_f32_i32_e32 v19, v19
	s_delay_alu instid0(VALU_DEP_2) | instskip(SKIP_1) | instid1(VALU_DEP_1)
	v_ldexp_f32 v101, v101, v103
	v_add_f32_e32 v20, v20, v113
	v_ldexp_f32 v20, v20, v103
	s_delay_alu instid0(VALU_DEP_3) | instskip(NEXT) | instid1(VALU_DEP_1)
	v_add_f32_e32 v103, -1.0, v101
	v_dual_add_f32 v114, 1.0, v101 :: v_dual_add_f32 v115, 1.0, v103
	s_delay_alu instid0(VALU_DEP_1) | instskip(NEXT) | instid1(VALU_DEP_1)
	v_add_f32_e32 v113, -1.0, v114
	v_sub_f32_e32 v113, v101, v113
	s_delay_alu instid0(VALU_DEP_3) | instskip(NEXT) | instid1(VALU_DEP_2)
	v_sub_f32_e32 v101, v101, v115
	v_add_f32_e32 v113, v20, v113
	s_delay_alu instid0(VALU_DEP_1) | instskip(NEXT) | instid1(VALU_DEP_1)
	v_add_f32_e32 v115, v114, v113
	v_sub_f32_e32 v114, v114, v115
	s_delay_alu instid0(VALU_DEP_4) | instskip(SKIP_1) | instid1(VALU_DEP_1)
	v_add_f32_e32 v20, v20, v101
	v_rcp_f32_e32 v101, v115
	v_dual_add_f32 v113, v113, v114 :: v_dual_add_f32 v116, v103, v20
	s_delay_alu instid0(VALU_DEP_1) | instskip(SKIP_3) | instid1(VALU_DEP_2)
	v_sub_f32_e32 v103, v103, v116
	s_waitcnt_depctr 0xfff
	v_mul_f32_e32 v117, v116, v101
	v_add_f32_e32 v20, v20, v103
	v_mul_f32_e32 v118, v115, v117
	s_delay_alu instid0(VALU_DEP_1) | instskip(NEXT) | instid1(VALU_DEP_1)
	v_fma_f32 v114, v117, v115, -v118
	v_fmac_f32_e32 v114, v117, v113
	s_delay_alu instid0(VALU_DEP_1) | instskip(NEXT) | instid1(VALU_DEP_1)
	v_add_f32_e32 v119, v118, v114
	v_sub_f32_e32 v128, v116, v119
	s_delay_alu instid0(VALU_DEP_1) | instskip(NEXT) | instid1(VALU_DEP_1)
	v_dual_sub_f32 v116, v116, v128 :: v_dual_sub_f32 v103, v119, v118
	v_dual_sub_f32 v116, v116, v119 :: v_dual_sub_f32 v103, v103, v114
	s_delay_alu instid0(VALU_DEP_1) | instskip(NEXT) | instid1(VALU_DEP_1)
	v_add_f32_e32 v20, v20, v116
	v_add_f32_e32 v20, v103, v20
	s_delay_alu instid0(VALU_DEP_1) | instskip(NEXT) | instid1(VALU_DEP_1)
	v_add_f32_e32 v103, v128, v20
	v_mul_f32_e32 v114, v101, v103
	s_delay_alu instid0(VALU_DEP_1) | instskip(NEXT) | instid1(VALU_DEP_1)
	v_dual_sub_f32 v119, v128, v103 :: v_dual_mul_f32 v116, v115, v114
	v_add_f32_e32 v20, v20, v119
	s_delay_alu instid0(VALU_DEP_2) | instskip(NEXT) | instid1(VALU_DEP_1)
	v_fma_f32 v115, v114, v115, -v116
	v_fmac_f32_e32 v115, v114, v113
	s_delay_alu instid0(VALU_DEP_1) | instskip(NEXT) | instid1(VALU_DEP_1)
	v_add_f32_e32 v113, v116, v115
	v_sub_f32_e32 v118, v103, v113
	s_delay_alu instid0(VALU_DEP_1) | instskip(NEXT) | instid1(VALU_DEP_1)
	v_dual_sub_f32 v103, v103, v118 :: v_dual_sub_f32 v116, v113, v116
	v_sub_f32_e32 v103, v103, v113
	s_delay_alu instid0(VALU_DEP_2) | instskip(NEXT) | instid1(VALU_DEP_2)
	v_sub_f32_e32 v113, v116, v115
	v_dual_add_f32 v20, v20, v103 :: v_dual_add_f32 v103, v117, v114
	s_delay_alu instid0(VALU_DEP_1) | instskip(NEXT) | instid1(VALU_DEP_1)
	v_dual_add_f32 v20, v113, v20 :: v_dual_sub_f32 v113, v103, v117
	v_add_f32_e32 v20, v118, v20
	s_delay_alu instid0(VALU_DEP_1) | instskip(NEXT) | instid1(VALU_DEP_1)
	v_dual_sub_f32 v113, v114, v113 :: v_dual_mul_f32 v20, v101, v20
	v_add_f32_e32 v20, v113, v20
	s_delay_alu instid0(VALU_DEP_1) | instskip(NEXT) | instid1(VALU_DEP_1)
	v_add_f32_e32 v101, v103, v20
	v_mul_f32_e32 v113, v101, v101
	s_delay_alu instid0(VALU_DEP_1) | instskip(SKIP_2) | instid1(VALU_DEP_3)
	v_fmaak_f32 v114, s16, v113, 0x3ecc95a3
	v_mul_f32_e32 v115, v101, v113
	v_cmp_gt_f32_e64 s16, 0x33800000, |v21|
	v_fmaak_f32 v113, v113, v114, 0x3f2aaada
	v_ldexp_f32 v114, v101, 1
	v_sub_f32_e32 v101, v101, v103
	s_delay_alu instid0(VALU_DEP_4) | instskip(NEXT) | instid1(VALU_DEP_3)
	s_or_b32 vcc_lo, vcc_lo, s16
	v_mul_f32_e32 v113, v115, v113
	s_delay_alu instid0(VALU_DEP_2) | instskip(NEXT) | instid1(VALU_DEP_2)
	v_sub_f32_e32 v20, v20, v101
	v_add_f32_e32 v103, v114, v113
	s_delay_alu instid0(VALU_DEP_2) | instskip(NEXT) | instid1(VALU_DEP_2)
	v_ldexp_f32 v20, v20, 1
	v_sub_f32_e32 v101, v103, v114
	s_delay_alu instid0(VALU_DEP_1) | instskip(NEXT) | instid1(VALU_DEP_1)
	v_sub_f32_e32 v101, v113, v101
	v_dual_mul_f32 v115, 0x3f317218, v19 :: v_dual_add_f32 v20, v20, v101
	s_delay_alu instid0(VALU_DEP_1) | instskip(NEXT) | instid1(VALU_DEP_2)
	v_fma_f32 v114, 0x3f317218, v19, -v115
	v_add_f32_e32 v113, v103, v20
	s_delay_alu instid0(VALU_DEP_2) | instskip(NEXT) | instid1(VALU_DEP_1)
	v_fmamk_f32 v19, v19, 0xb102e308, v114
	v_add_f32_e32 v101, v115, v19
	s_delay_alu instid0(VALU_DEP_1) | instskip(NEXT) | instid1(VALU_DEP_1)
	v_add_f32_e32 v114, v101, v113
	v_dual_sub_f32 v115, v101, v115 :: v_dual_sub_f32 v116, v114, v101
	v_sub_f32_e32 v103, v113, v103
	s_delay_alu instid0(VALU_DEP_2) | instskip(NEXT) | instid1(VALU_DEP_2)
	v_sub_f32_e32 v19, v19, v115
	v_dual_sub_f32 v117, v114, v116 :: v_dual_sub_f32 v20, v20, v103
	v_sub_f32_e32 v103, v113, v116
	s_delay_alu instid0(VALU_DEP_2) | instskip(NEXT) | instid1(VALU_DEP_3)
	v_sub_f32_e32 v101, v101, v117
	v_add_f32_e32 v113, v19, v20
	s_delay_alu instid0(VALU_DEP_2) | instskip(NEXT) | instid1(VALU_DEP_2)
	v_add_f32_e32 v101, v103, v101
	v_sub_f32_e32 v103, v113, v19
	s_delay_alu instid0(VALU_DEP_2) | instskip(NEXT) | instid1(VALU_DEP_2)
	v_add_f32_e32 v101, v113, v101
	v_sub_f32_e32 v113, v113, v103
	s_delay_alu instid0(VALU_DEP_2) | instskip(NEXT) | instid1(VALU_DEP_2)
	v_dual_sub_f32 v20, v20, v103 :: v_dual_add_f32 v115, v114, v101
	v_sub_f32_e32 v19, v19, v113
	s_delay_alu instid0(VALU_DEP_2) | instskip(NEXT) | instid1(VALU_DEP_2)
	v_sub_f32_e32 v103, v115, v114
	v_add_f32_e32 v19, v20, v19
	s_delay_alu instid0(VALU_DEP_2) | instskip(NEXT) | instid1(VALU_DEP_1)
	v_sub_f32_e32 v20, v101, v103
	v_add_f32_e32 v19, v19, v20
	s_delay_alu instid0(VALU_DEP_1) | instskip(NEXT) | instid1(VALU_DEP_1)
	v_add_f32_e32 v19, v115, v19
	v_cndmask_b32_e32 v19, v19, v21, vcc_lo
	s_delay_alu instid0(VALU_DEP_1)
	v_add_f32_e32 v19, v18, v19
.LBB453_75:
	s_or_b32 exec_lo, exec_lo, s15
	s_delay_alu instid0(VALU_DEP_1) | instskip(SKIP_1) | instid1(VALU_DEP_2)
	v_bfe_u32 v18, v19, 16, 1
	v_cmp_o_f32_e32 vcc_lo, v19, v19
	v_add3_u32 v18, v19, v18, 0x7fff
	s_delay_alu instid0(VALU_DEP_1) | instskip(NEXT) | instid1(VALU_DEP_1)
	v_and_b32_e32 v18, 0xffff0000, v18
	v_cndmask_b32_e32 v19, 0x7fc00000, v18, vcc_lo
	s_delay_alu instid0(VALU_DEP_1) | instskip(NEXT) | instid1(VALU_DEP_1)
	v_dual_max_f32 v18, v19, v19 :: v_dual_lshlrev_b32 v101, 16, v33
	v_max_f32_e32 v114, v101, v101
	v_cmp_u_f32_e32 vcc_lo, v19, v19
	v_cmp_u_f32_e64 s15, v101, v101
	s_delay_alu instid0(VALU_DEP_3) | instskip(SKIP_1) | instid1(VALU_DEP_2)
	v_min_f32_e32 v20, v18, v114
	v_max_f32_e32 v18, v18, v114
	v_cndmask_b32_e32 v20, v20, v19, vcc_lo
	s_delay_alu instid0(VALU_DEP_2) | instskip(NEXT) | instid1(VALU_DEP_2)
	v_cndmask_b32_e32 v18, v18, v19, vcc_lo
	v_cndmask_b32_e64 v20, v20, v101, s15
	s_delay_alu instid0(VALU_DEP_2) | instskip(NEXT) | instid1(VALU_DEP_2)
	v_cndmask_b32_e64 v18, v18, v101, s15
	v_cmp_class_f32_e64 s16, v20, 0x1f8
	s_delay_alu instid0(VALU_DEP_2) | instskip(NEXT) | instid1(VALU_DEP_2)
	v_cmp_neq_f32_e32 vcc_lo, v20, v18
	s_or_b32 s17, vcc_lo, s16
	s_delay_alu instid0(SALU_CYCLE_1)
	s_and_saveexec_b32 s16, s17
	s_cbranch_execz .LBB453_77
; %bb.76:
	v_sub_f32_e32 v19, v20, v18
	s_mov_b32 s17, 0x3e9b6dac
	s_delay_alu instid0(VALU_DEP_1) | instskip(SKIP_1) | instid1(VALU_DEP_2)
	v_mul_f32_e32 v20, 0x3fb8aa3b, v19
	v_cmp_ngt_f32_e32 vcc_lo, 0xc2ce8ed0, v19
	v_fma_f32 v21, 0x3fb8aa3b, v19, -v20
	v_rndne_f32_e32 v103, v20
	s_delay_alu instid0(VALU_DEP_1) | instskip(NEXT) | instid1(VALU_DEP_1)
	v_dual_fmamk_f32 v21, v19, 0x32a5705f, v21 :: v_dual_sub_f32 v20, v20, v103
	v_add_f32_e32 v20, v20, v21
	v_cvt_i32_f32_e32 v21, v103
	s_delay_alu instid0(VALU_DEP_2) | instskip(SKIP_2) | instid1(VALU_DEP_1)
	v_exp_f32_e32 v20, v20
	s_waitcnt_depctr 0xfff
	v_ldexp_f32 v20, v20, v21
	v_cndmask_b32_e32 v20, 0, v20, vcc_lo
	v_cmp_nlt_f32_e32 vcc_lo, 0x42b17218, v19
	s_delay_alu instid0(VALU_DEP_2) | instskip(NEXT) | instid1(VALU_DEP_1)
	v_cndmask_b32_e32 v21, 0x7f800000, v20, vcc_lo
	v_add_f32_e32 v103, 1.0, v21
	s_delay_alu instid0(VALU_DEP_1) | instskip(NEXT) | instid1(VALU_DEP_1)
	v_cvt_f64_f32_e32 v[19:20], v103
	v_frexp_exp_i32_f64_e32 v19, v[19:20]
	v_frexp_mant_f32_e32 v20, v103
	s_delay_alu instid0(VALU_DEP_1) | instskip(SKIP_1) | instid1(VALU_DEP_1)
	v_cmp_gt_f32_e32 vcc_lo, 0x3f2aaaab, v20
	v_add_f32_e32 v20, -1.0, v103
	v_dual_sub_f32 v115, v20, v103 :: v_dual_sub_f32 v20, v21, v20
	s_delay_alu instid0(VALU_DEP_1) | instskip(NEXT) | instid1(VALU_DEP_1)
	v_add_f32_e32 v115, 1.0, v115
	v_add_f32_e32 v20, v20, v115
	v_subrev_co_ci_u32_e32 v19, vcc_lo, 0, v19, vcc_lo
	v_cmp_eq_f32_e32 vcc_lo, 0x7f800000, v21
	s_delay_alu instid0(VALU_DEP_2) | instskip(SKIP_1) | instid1(VALU_DEP_2)
	v_sub_nc_u32_e32 v113, 0, v19
	v_cvt_f32_i32_e32 v19, v19
	v_ldexp_f32 v103, v103, v113
	v_ldexp_f32 v20, v20, v113
	s_delay_alu instid0(VALU_DEP_2) | instskip(NEXT) | instid1(VALU_DEP_1)
	v_add_f32_e32 v113, -1.0, v103
	v_dual_add_f32 v116, 1.0, v103 :: v_dual_add_f32 v117, 1.0, v113
	s_delay_alu instid0(VALU_DEP_1) | instskip(NEXT) | instid1(VALU_DEP_1)
	v_add_f32_e32 v115, -1.0, v116
	v_sub_f32_e32 v115, v103, v115
	s_delay_alu instid0(VALU_DEP_3) | instskip(NEXT) | instid1(VALU_DEP_2)
	v_sub_f32_e32 v103, v103, v117
	v_add_f32_e32 v115, v20, v115
	s_delay_alu instid0(VALU_DEP_1) | instskip(NEXT) | instid1(VALU_DEP_1)
	v_add_f32_e32 v117, v116, v115
	v_sub_f32_e32 v116, v116, v117
	s_delay_alu instid0(VALU_DEP_4) | instskip(SKIP_1) | instid1(VALU_DEP_2)
	v_add_f32_e32 v20, v20, v103
	v_rcp_f32_e32 v103, v117
	v_add_f32_e32 v115, v115, v116
	s_delay_alu instid0(VALU_DEP_2) | instskip(NEXT) | instid1(VALU_DEP_1)
	v_add_f32_e32 v118, v113, v20
	v_sub_f32_e32 v113, v113, v118
	s_waitcnt_depctr 0xfff
	v_dual_mul_f32 v119, v118, v103 :: v_dual_add_f32 v20, v20, v113
	s_delay_alu instid0(VALU_DEP_1) | instskip(NEXT) | instid1(VALU_DEP_1)
	v_mul_f32_e32 v128, v117, v119
	v_fma_f32 v116, v119, v117, -v128
	s_delay_alu instid0(VALU_DEP_1) | instskip(NEXT) | instid1(VALU_DEP_1)
	v_fmac_f32_e32 v116, v119, v115
	v_add_f32_e32 v129, v128, v116
	s_delay_alu instid0(VALU_DEP_1) | instskip(NEXT) | instid1(VALU_DEP_1)
	v_dual_sub_f32 v130, v118, v129 :: v_dual_sub_f32 v113, v129, v128
	v_sub_f32_e32 v118, v118, v130
	s_delay_alu instid0(VALU_DEP_1) | instskip(NEXT) | instid1(VALU_DEP_1)
	v_dual_sub_f32 v118, v118, v129 :: v_dual_sub_f32 v113, v113, v116
	v_add_f32_e32 v20, v20, v118
	s_delay_alu instid0(VALU_DEP_1) | instskip(NEXT) | instid1(VALU_DEP_1)
	v_add_f32_e32 v20, v113, v20
	v_add_f32_e32 v113, v130, v20
	s_delay_alu instid0(VALU_DEP_1) | instskip(NEXT) | instid1(VALU_DEP_1)
	v_mul_f32_e32 v116, v103, v113
	v_dual_sub_f32 v129, v130, v113 :: v_dual_mul_f32 v118, v117, v116
	s_delay_alu instid0(VALU_DEP_1) | instskip(NEXT) | instid1(VALU_DEP_1)
	v_fma_f32 v117, v116, v117, -v118
	v_fmac_f32_e32 v117, v116, v115
	s_delay_alu instid0(VALU_DEP_3) | instskip(NEXT) | instid1(VALU_DEP_2)
	v_add_f32_e32 v20, v20, v129
	v_add_f32_e32 v115, v118, v117
	s_delay_alu instid0(VALU_DEP_1) | instskip(SKIP_1) | instid1(VALU_DEP_1)
	v_sub_f32_e32 v118, v115, v118
	v_sub_f32_e32 v128, v113, v115
	;; [unrolled: 1-line block ×3, first 2 shown]
	s_delay_alu instid0(VALU_DEP_1) | instskip(NEXT) | instid1(VALU_DEP_4)
	v_sub_f32_e32 v113, v113, v115
	v_sub_f32_e32 v115, v118, v117
	s_delay_alu instid0(VALU_DEP_2) | instskip(NEXT) | instid1(VALU_DEP_1)
	v_dual_add_f32 v20, v20, v113 :: v_dual_add_f32 v113, v119, v116
	v_dual_add_f32 v20, v115, v20 :: v_dual_sub_f32 v115, v113, v119
	s_delay_alu instid0(VALU_DEP_1) | instskip(NEXT) | instid1(VALU_DEP_1)
	v_add_f32_e32 v20, v128, v20
	v_dual_sub_f32 v115, v116, v115 :: v_dual_mul_f32 v20, v103, v20
	s_delay_alu instid0(VALU_DEP_1) | instskip(NEXT) | instid1(VALU_DEP_1)
	v_add_f32_e32 v20, v115, v20
	v_add_f32_e32 v103, v113, v20
	s_delay_alu instid0(VALU_DEP_1) | instskip(NEXT) | instid1(VALU_DEP_1)
	v_mul_f32_e32 v115, v103, v103
	v_fmaak_f32 v116, s17, v115, 0x3ecc95a3
	v_mul_f32_e32 v117, v103, v115
	v_cmp_gt_f32_e64 s17, 0x33800000, |v21|
	s_delay_alu instid0(VALU_DEP_3) | instskip(SKIP_2) | instid1(VALU_DEP_4)
	v_fmaak_f32 v115, v115, v116, 0x3f2aaada
	v_ldexp_f32 v116, v103, 1
	v_sub_f32_e32 v103, v103, v113
	s_or_b32 vcc_lo, vcc_lo, s17
	s_delay_alu instid0(VALU_DEP_3) | instskip(SKIP_1) | instid1(VALU_DEP_3)
	v_mul_f32_e32 v115, v117, v115
	v_mul_f32_e32 v117, 0x3f317218, v19
	v_sub_f32_e32 v20, v20, v103
	s_delay_alu instid0(VALU_DEP_3) | instskip(NEXT) | instid1(VALU_DEP_2)
	v_add_f32_e32 v113, v116, v115
	v_ldexp_f32 v20, v20, 1
	s_delay_alu instid0(VALU_DEP_2) | instskip(SKIP_1) | instid1(VALU_DEP_2)
	v_sub_f32_e32 v103, v113, v116
	v_fma_f32 v116, 0x3f317218, v19, -v117
	v_sub_f32_e32 v103, v115, v103
	s_delay_alu instid0(VALU_DEP_1) | instskip(NEXT) | instid1(VALU_DEP_1)
	v_dual_fmamk_f32 v19, v19, 0xb102e308, v116 :: v_dual_add_f32 v20, v20, v103
	v_add_f32_e32 v103, v117, v19
	s_delay_alu instid0(VALU_DEP_2) | instskip(NEXT) | instid1(VALU_DEP_2)
	v_add_f32_e32 v115, v113, v20
	v_sub_f32_e32 v117, v103, v117
	s_delay_alu instid0(VALU_DEP_2) | instskip(NEXT) | instid1(VALU_DEP_1)
	v_add_f32_e32 v116, v103, v115
	v_dual_sub_f32 v19, v19, v117 :: v_dual_sub_f32 v118, v116, v103
	v_sub_f32_e32 v113, v115, v113
	s_delay_alu instid0(VALU_DEP_2) | instskip(NEXT) | instid1(VALU_DEP_2)
	v_sub_f32_e32 v119, v116, v118
	v_dual_sub_f32 v20, v20, v113 :: v_dual_sub_f32 v113, v115, v118
	s_delay_alu instid0(VALU_DEP_2) | instskip(NEXT) | instid1(VALU_DEP_2)
	v_sub_f32_e32 v103, v103, v119
	v_add_f32_e32 v115, v19, v20
	s_delay_alu instid0(VALU_DEP_2) | instskip(NEXT) | instid1(VALU_DEP_2)
	v_add_f32_e32 v103, v113, v103
	v_sub_f32_e32 v113, v115, v19
	s_delay_alu instid0(VALU_DEP_2) | instskip(NEXT) | instid1(VALU_DEP_2)
	v_add_f32_e32 v103, v115, v103
	v_sub_f32_e32 v115, v115, v113
	v_sub_f32_e32 v20, v20, v113
	s_delay_alu instid0(VALU_DEP_3) | instskip(NEXT) | instid1(VALU_DEP_3)
	v_add_f32_e32 v117, v116, v103
	v_sub_f32_e32 v19, v19, v115
	s_delay_alu instid0(VALU_DEP_2) | instskip(NEXT) | instid1(VALU_DEP_1)
	v_sub_f32_e32 v113, v117, v116
	v_dual_add_f32 v19, v20, v19 :: v_dual_sub_f32 v20, v103, v113
	s_delay_alu instid0(VALU_DEP_1) | instskip(NEXT) | instid1(VALU_DEP_1)
	v_add_f32_e32 v19, v19, v20
	v_add_f32_e32 v19, v117, v19
	s_delay_alu instid0(VALU_DEP_1) | instskip(NEXT) | instid1(VALU_DEP_1)
	v_cndmask_b32_e32 v19, v19, v21, vcc_lo
	v_add_f32_e32 v19, v18, v19
.LBB453_77:
	s_or_b32 exec_lo, exec_lo, s16
	s_delay_alu instid0(VALU_DEP_1) | instskip(SKIP_1) | instid1(VALU_DEP_2)
	v_bfe_u32 v18, v19, 16, 1
	v_cmp_o_f32_e32 vcc_lo, v19, v19
	v_add3_u32 v18, v19, v18, 0x7fff
	s_delay_alu instid0(VALU_DEP_1) | instskip(NEXT) | instid1(VALU_DEP_1)
	v_and_b32_e32 v18, 0xffff0000, v18
	v_cndmask_b32_e32 v19, 0x7fc00000, v18, vcc_lo
	s_delay_alu instid0(VALU_DEP_1) | instskip(NEXT) | instid1(VALU_DEP_1)
	v_dual_max_f32 v18, v19, v19 :: v_dual_lshlrev_b32 v103, 16, v32
	v_max_f32_e32 v116, v103, v103
	v_cmp_u_f32_e32 vcc_lo, v19, v19
	v_cmp_u_f32_e64 s16, v103, v103
	s_delay_alu instid0(VALU_DEP_3) | instskip(SKIP_1) | instid1(VALU_DEP_2)
	v_min_f32_e32 v20, v18, v116
	v_max_f32_e32 v18, v18, v116
	v_cndmask_b32_e32 v20, v20, v19, vcc_lo
	s_delay_alu instid0(VALU_DEP_2) | instskip(NEXT) | instid1(VALU_DEP_2)
	v_cndmask_b32_e32 v18, v18, v19, vcc_lo
	v_cndmask_b32_e64 v20, v20, v103, s16
	s_delay_alu instid0(VALU_DEP_2) | instskip(NEXT) | instid1(VALU_DEP_2)
	v_cndmask_b32_e64 v18, v18, v103, s16
	v_cmp_class_f32_e64 s17, v20, 0x1f8
	s_delay_alu instid0(VALU_DEP_2) | instskip(NEXT) | instid1(VALU_DEP_2)
	v_cmp_neq_f32_e32 vcc_lo, v20, v18
	s_or_b32 s18, vcc_lo, s17
	s_delay_alu instid0(SALU_CYCLE_1)
	s_and_saveexec_b32 s17, s18
	s_cbranch_execz .LBB453_79
; %bb.78:
	v_sub_f32_e32 v19, v20, v18
	s_mov_b32 s18, 0x3e9b6dac
	s_delay_alu instid0(VALU_DEP_1) | instskip(SKIP_1) | instid1(VALU_DEP_2)
	v_mul_f32_e32 v20, 0x3fb8aa3b, v19
	v_cmp_ngt_f32_e32 vcc_lo, 0xc2ce8ed0, v19
	v_fma_f32 v21, 0x3fb8aa3b, v19, -v20
	v_rndne_f32_e32 v113, v20
	s_delay_alu instid0(VALU_DEP_1) | instskip(NEXT) | instid1(VALU_DEP_1)
	v_dual_fmamk_f32 v21, v19, 0x32a5705f, v21 :: v_dual_sub_f32 v20, v20, v113
	v_add_f32_e32 v20, v20, v21
	v_cvt_i32_f32_e32 v21, v113
	s_delay_alu instid0(VALU_DEP_2) | instskip(SKIP_2) | instid1(VALU_DEP_1)
	v_exp_f32_e32 v20, v20
	s_waitcnt_depctr 0xfff
	v_ldexp_f32 v20, v20, v21
	v_cndmask_b32_e32 v20, 0, v20, vcc_lo
	v_cmp_nlt_f32_e32 vcc_lo, 0x42b17218, v19
	s_delay_alu instid0(VALU_DEP_2) | instskip(NEXT) | instid1(VALU_DEP_1)
	v_cndmask_b32_e32 v21, 0x7f800000, v20, vcc_lo
	v_add_f32_e32 v113, 1.0, v21
	s_delay_alu instid0(VALU_DEP_1) | instskip(NEXT) | instid1(VALU_DEP_1)
	v_cvt_f64_f32_e32 v[19:20], v113
	v_frexp_exp_i32_f64_e32 v19, v[19:20]
	v_frexp_mant_f32_e32 v20, v113
	s_delay_alu instid0(VALU_DEP_1) | instskip(SKIP_1) | instid1(VALU_DEP_1)
	v_cmp_gt_f32_e32 vcc_lo, 0x3f2aaaab, v20
	v_add_f32_e32 v20, -1.0, v113
	v_dual_sub_f32 v117, v20, v113 :: v_dual_sub_f32 v20, v21, v20
	s_delay_alu instid0(VALU_DEP_1) | instskip(SKIP_2) | instid1(VALU_DEP_2)
	v_add_f32_e32 v117, 1.0, v117
	v_subrev_co_ci_u32_e32 v19, vcc_lo, 0, v19, vcc_lo
	v_cmp_eq_f32_e32 vcc_lo, 0x7f800000, v21
	v_sub_nc_u32_e32 v115, 0, v19
	v_cvt_f32_i32_e32 v19, v19
	s_delay_alu instid0(VALU_DEP_2) | instskip(SKIP_1) | instid1(VALU_DEP_1)
	v_ldexp_f32 v113, v113, v115
	v_add_f32_e32 v20, v20, v117
	v_ldexp_f32 v20, v20, v115
	s_delay_alu instid0(VALU_DEP_3) | instskip(NEXT) | instid1(VALU_DEP_1)
	v_add_f32_e32 v115, -1.0, v113
	v_dual_add_f32 v118, 1.0, v113 :: v_dual_add_f32 v119, 1.0, v115
	s_delay_alu instid0(VALU_DEP_1) | instskip(NEXT) | instid1(VALU_DEP_1)
	v_add_f32_e32 v117, -1.0, v118
	v_sub_f32_e32 v117, v113, v117
	s_delay_alu instid0(VALU_DEP_3) | instskip(NEXT) | instid1(VALU_DEP_2)
	v_sub_f32_e32 v113, v113, v119
	v_add_f32_e32 v117, v20, v117
	s_delay_alu instid0(VALU_DEP_1) | instskip(NEXT) | instid1(VALU_DEP_1)
	v_add_f32_e32 v119, v118, v117
	v_sub_f32_e32 v118, v118, v119
	s_delay_alu instid0(VALU_DEP_4) | instskip(SKIP_1) | instid1(VALU_DEP_1)
	v_add_f32_e32 v20, v20, v113
	v_rcp_f32_e32 v113, v119
	v_dual_add_f32 v117, v117, v118 :: v_dual_add_f32 v128, v115, v20
	s_delay_alu instid0(VALU_DEP_1) | instskip(SKIP_3) | instid1(VALU_DEP_2)
	v_sub_f32_e32 v115, v115, v128
	s_waitcnt_depctr 0xfff
	v_mul_f32_e32 v129, v128, v113
	v_add_f32_e32 v20, v20, v115
	v_mul_f32_e32 v130, v119, v129
	s_delay_alu instid0(VALU_DEP_1) | instskip(NEXT) | instid1(VALU_DEP_1)
	v_fma_f32 v118, v129, v119, -v130
	v_fmac_f32_e32 v118, v129, v117
	s_delay_alu instid0(VALU_DEP_1) | instskip(NEXT) | instid1(VALU_DEP_1)
	v_add_f32_e32 v131, v130, v118
	v_sub_f32_e32 v132, v128, v131
	s_delay_alu instid0(VALU_DEP_1) | instskip(NEXT) | instid1(VALU_DEP_1)
	v_dual_sub_f32 v128, v128, v132 :: v_dual_sub_f32 v115, v131, v130
	v_dual_sub_f32 v128, v128, v131 :: v_dual_sub_f32 v115, v115, v118
	s_delay_alu instid0(VALU_DEP_1) | instskip(NEXT) | instid1(VALU_DEP_1)
	v_add_f32_e32 v20, v20, v128
	v_add_f32_e32 v20, v115, v20
	s_delay_alu instid0(VALU_DEP_1) | instskip(NEXT) | instid1(VALU_DEP_1)
	v_add_f32_e32 v115, v132, v20
	v_mul_f32_e32 v118, v113, v115
	s_delay_alu instid0(VALU_DEP_1) | instskip(NEXT) | instid1(VALU_DEP_1)
	v_dual_sub_f32 v131, v132, v115 :: v_dual_mul_f32 v128, v119, v118
	v_add_f32_e32 v20, v20, v131
	s_delay_alu instid0(VALU_DEP_2) | instskip(NEXT) | instid1(VALU_DEP_1)
	v_fma_f32 v119, v118, v119, -v128
	v_fmac_f32_e32 v119, v118, v117
	s_delay_alu instid0(VALU_DEP_1) | instskip(NEXT) | instid1(VALU_DEP_1)
	v_add_f32_e32 v117, v128, v119
	v_sub_f32_e32 v130, v115, v117
	s_delay_alu instid0(VALU_DEP_1) | instskip(NEXT) | instid1(VALU_DEP_1)
	v_dual_sub_f32 v115, v115, v130 :: v_dual_sub_f32 v128, v117, v128
	v_sub_f32_e32 v115, v115, v117
	s_delay_alu instid0(VALU_DEP_2) | instskip(NEXT) | instid1(VALU_DEP_2)
	v_sub_f32_e32 v117, v128, v119
	v_dual_add_f32 v20, v20, v115 :: v_dual_add_f32 v115, v129, v118
	s_delay_alu instid0(VALU_DEP_1) | instskip(NEXT) | instid1(VALU_DEP_1)
	v_dual_add_f32 v20, v117, v20 :: v_dual_sub_f32 v117, v115, v129
	v_add_f32_e32 v20, v130, v20
	s_delay_alu instid0(VALU_DEP_1) | instskip(NEXT) | instid1(VALU_DEP_1)
	v_dual_sub_f32 v117, v118, v117 :: v_dual_mul_f32 v20, v113, v20
	v_add_f32_e32 v20, v117, v20
	s_delay_alu instid0(VALU_DEP_1) | instskip(NEXT) | instid1(VALU_DEP_1)
	v_add_f32_e32 v113, v115, v20
	v_mul_f32_e32 v117, v113, v113
	s_delay_alu instid0(VALU_DEP_1) | instskip(SKIP_2) | instid1(VALU_DEP_3)
	v_fmaak_f32 v118, s18, v117, 0x3ecc95a3
	v_mul_f32_e32 v119, v113, v117
	v_cmp_gt_f32_e64 s18, 0x33800000, |v21|
	v_fmaak_f32 v117, v117, v118, 0x3f2aaada
	v_ldexp_f32 v118, v113, 1
	v_sub_f32_e32 v113, v113, v115
	s_delay_alu instid0(VALU_DEP_4) | instskip(NEXT) | instid1(VALU_DEP_3)
	s_or_b32 vcc_lo, vcc_lo, s18
	v_mul_f32_e32 v117, v119, v117
	s_delay_alu instid0(VALU_DEP_2) | instskip(NEXT) | instid1(VALU_DEP_2)
	v_sub_f32_e32 v20, v20, v113
	v_add_f32_e32 v115, v118, v117
	s_delay_alu instid0(VALU_DEP_2) | instskip(NEXT) | instid1(VALU_DEP_2)
	v_ldexp_f32 v20, v20, 1
	v_sub_f32_e32 v113, v115, v118
	s_delay_alu instid0(VALU_DEP_1) | instskip(NEXT) | instid1(VALU_DEP_1)
	v_sub_f32_e32 v113, v117, v113
	v_dual_mul_f32 v119, 0x3f317218, v19 :: v_dual_add_f32 v20, v20, v113
	s_delay_alu instid0(VALU_DEP_1) | instskip(NEXT) | instid1(VALU_DEP_2)
	v_fma_f32 v118, 0x3f317218, v19, -v119
	v_add_f32_e32 v117, v115, v20
	s_delay_alu instid0(VALU_DEP_2) | instskip(NEXT) | instid1(VALU_DEP_1)
	v_fmamk_f32 v19, v19, 0xb102e308, v118
	v_add_f32_e32 v113, v119, v19
	s_delay_alu instid0(VALU_DEP_1) | instskip(NEXT) | instid1(VALU_DEP_1)
	v_add_f32_e32 v118, v113, v117
	v_dual_sub_f32 v119, v113, v119 :: v_dual_sub_f32 v128, v118, v113
	v_sub_f32_e32 v115, v117, v115
	s_delay_alu instid0(VALU_DEP_2) | instskip(NEXT) | instid1(VALU_DEP_2)
	v_sub_f32_e32 v19, v19, v119
	v_dual_sub_f32 v129, v118, v128 :: v_dual_sub_f32 v20, v20, v115
	v_sub_f32_e32 v115, v117, v128
	s_delay_alu instid0(VALU_DEP_2) | instskip(NEXT) | instid1(VALU_DEP_3)
	v_sub_f32_e32 v113, v113, v129
	v_add_f32_e32 v117, v19, v20
	s_delay_alu instid0(VALU_DEP_2) | instskip(NEXT) | instid1(VALU_DEP_2)
	v_add_f32_e32 v113, v115, v113
	v_sub_f32_e32 v115, v117, v19
	s_delay_alu instid0(VALU_DEP_2) | instskip(NEXT) | instid1(VALU_DEP_2)
	v_add_f32_e32 v113, v117, v113
	v_sub_f32_e32 v117, v117, v115
	s_delay_alu instid0(VALU_DEP_2) | instskip(NEXT) | instid1(VALU_DEP_2)
	v_dual_sub_f32 v20, v20, v115 :: v_dual_add_f32 v119, v118, v113
	v_sub_f32_e32 v19, v19, v117
	s_delay_alu instid0(VALU_DEP_2) | instskip(NEXT) | instid1(VALU_DEP_2)
	v_sub_f32_e32 v115, v119, v118
	v_add_f32_e32 v19, v20, v19
	s_delay_alu instid0(VALU_DEP_2) | instskip(NEXT) | instid1(VALU_DEP_1)
	v_sub_f32_e32 v20, v113, v115
	v_add_f32_e32 v19, v19, v20
	s_delay_alu instid0(VALU_DEP_1) | instskip(NEXT) | instid1(VALU_DEP_1)
	v_add_f32_e32 v19, v119, v19
	v_cndmask_b32_e32 v19, v19, v21, vcc_lo
	s_delay_alu instid0(VALU_DEP_1)
	v_add_f32_e32 v19, v18, v19
.LBB453_79:
	s_or_b32 exec_lo, exec_lo, s17
	s_delay_alu instid0(VALU_DEP_1) | instskip(SKIP_1) | instid1(VALU_DEP_2)
	v_bfe_u32 v18, v19, 16, 1
	v_cmp_o_f32_e32 vcc_lo, v19, v19
	v_add3_u32 v18, v19, v18, 0x7fff
	s_delay_alu instid0(VALU_DEP_1) | instskip(NEXT) | instid1(VALU_DEP_1)
	v_and_b32_e32 v18, 0xffff0000, v18
	v_cndmask_b32_e32 v19, 0x7fc00000, v18, vcc_lo
	s_delay_alu instid0(VALU_DEP_1) | instskip(SKIP_1) | instid1(VALU_DEP_1)
	v_max_f32_e32 v18, v19, v19
	v_lshlrev_b32_e32 v113, 16, v31
	v_max_f32_e32 v118, v113, v113
	v_cmp_u_f32_e32 vcc_lo, v19, v19
	s_delay_alu instid0(VALU_DEP_2) | instskip(SKIP_2) | instid1(VALU_DEP_3)
	v_min_f32_e32 v20, v18, v118
	v_max_f32_e32 v18, v18, v118
	v_cmp_u_f32_e64 s17, v113, v113
	v_cndmask_b32_e32 v20, v20, v19, vcc_lo
	s_delay_alu instid0(VALU_DEP_3) | instskip(NEXT) | instid1(VALU_DEP_2)
	v_cndmask_b32_e32 v18, v18, v19, vcc_lo
	v_cndmask_b32_e64 v20, v20, v113, s17
	s_delay_alu instid0(VALU_DEP_2) | instskip(NEXT) | instid1(VALU_DEP_2)
	v_cndmask_b32_e64 v18, v18, v113, s17
	v_cmp_class_f32_e64 s18, v20, 0x1f8
	s_delay_alu instid0(VALU_DEP_2) | instskip(NEXT) | instid1(VALU_DEP_2)
	v_cmp_neq_f32_e32 vcc_lo, v20, v18
	s_or_b32 s19, vcc_lo, s18
	s_delay_alu instid0(SALU_CYCLE_1)
	s_and_saveexec_b32 s18, s19
	s_cbranch_execz .LBB453_81
; %bb.80:
	v_sub_f32_e32 v19, v20, v18
	s_mov_b32 s19, 0x3e9b6dac
	s_delay_alu instid0(VALU_DEP_1) | instskip(SKIP_1) | instid1(VALU_DEP_2)
	v_mul_f32_e32 v20, 0x3fb8aa3b, v19
	v_cmp_ngt_f32_e32 vcc_lo, 0xc2ce8ed0, v19
	v_fma_f32 v21, 0x3fb8aa3b, v19, -v20
	v_rndne_f32_e32 v115, v20
	s_delay_alu instid0(VALU_DEP_1) | instskip(NEXT) | instid1(VALU_DEP_1)
	v_dual_fmamk_f32 v21, v19, 0x32a5705f, v21 :: v_dual_sub_f32 v20, v20, v115
	v_add_f32_e32 v20, v20, v21
	v_cvt_i32_f32_e32 v21, v115
	s_delay_alu instid0(VALU_DEP_2) | instskip(SKIP_2) | instid1(VALU_DEP_1)
	v_exp_f32_e32 v20, v20
	s_waitcnt_depctr 0xfff
	v_ldexp_f32 v20, v20, v21
	v_cndmask_b32_e32 v20, 0, v20, vcc_lo
	v_cmp_nlt_f32_e32 vcc_lo, 0x42b17218, v19
	s_delay_alu instid0(VALU_DEP_2) | instskip(NEXT) | instid1(VALU_DEP_1)
	v_cndmask_b32_e32 v21, 0x7f800000, v20, vcc_lo
	v_add_f32_e32 v115, 1.0, v21
	s_delay_alu instid0(VALU_DEP_1) | instskip(NEXT) | instid1(VALU_DEP_1)
	v_cvt_f64_f32_e32 v[19:20], v115
	v_frexp_exp_i32_f64_e32 v19, v[19:20]
	v_frexp_mant_f32_e32 v20, v115
	s_delay_alu instid0(VALU_DEP_1) | instskip(SKIP_1) | instid1(VALU_DEP_1)
	v_cmp_gt_f32_e32 vcc_lo, 0x3f2aaaab, v20
	v_add_f32_e32 v20, -1.0, v115
	v_dual_sub_f32 v119, v20, v115 :: v_dual_sub_f32 v20, v21, v20
	s_delay_alu instid0(VALU_DEP_1) | instskip(NEXT) | instid1(VALU_DEP_1)
	v_add_f32_e32 v119, 1.0, v119
	v_add_f32_e32 v20, v20, v119
	v_subrev_co_ci_u32_e32 v19, vcc_lo, 0, v19, vcc_lo
	v_cmp_eq_f32_e32 vcc_lo, 0x7f800000, v21
	s_delay_alu instid0(VALU_DEP_2) | instskip(SKIP_1) | instid1(VALU_DEP_2)
	v_sub_nc_u32_e32 v117, 0, v19
	v_cvt_f32_i32_e32 v19, v19
	v_ldexp_f32 v115, v115, v117
	v_ldexp_f32 v20, v20, v117
	s_delay_alu instid0(VALU_DEP_2) | instskip(NEXT) | instid1(VALU_DEP_1)
	v_add_f32_e32 v117, -1.0, v115
	v_dual_add_f32 v128, 1.0, v115 :: v_dual_add_f32 v129, 1.0, v117
	s_delay_alu instid0(VALU_DEP_1) | instskip(NEXT) | instid1(VALU_DEP_1)
	v_add_f32_e32 v119, -1.0, v128
	v_sub_f32_e32 v119, v115, v119
	s_delay_alu instid0(VALU_DEP_3) | instskip(NEXT) | instid1(VALU_DEP_2)
	v_sub_f32_e32 v115, v115, v129
	v_add_f32_e32 v119, v20, v119
	s_delay_alu instid0(VALU_DEP_1) | instskip(NEXT) | instid1(VALU_DEP_1)
	v_add_f32_e32 v129, v128, v119
	v_sub_f32_e32 v128, v128, v129
	s_delay_alu instid0(VALU_DEP_4) | instskip(SKIP_1) | instid1(VALU_DEP_2)
	v_add_f32_e32 v20, v20, v115
	v_rcp_f32_e32 v115, v129
	v_add_f32_e32 v119, v119, v128
	s_delay_alu instid0(VALU_DEP_2) | instskip(NEXT) | instid1(VALU_DEP_1)
	v_add_f32_e32 v130, v117, v20
	v_sub_f32_e32 v117, v117, v130
	s_waitcnt_depctr 0xfff
	v_dual_mul_f32 v131, v130, v115 :: v_dual_add_f32 v20, v20, v117
	s_delay_alu instid0(VALU_DEP_1) | instskip(NEXT) | instid1(VALU_DEP_1)
	v_mul_f32_e32 v132, v129, v131
	v_fma_f32 v128, v131, v129, -v132
	s_delay_alu instid0(VALU_DEP_1) | instskip(NEXT) | instid1(VALU_DEP_1)
	v_fmac_f32_e32 v128, v131, v119
	v_add_f32_e32 v133, v132, v128
	s_delay_alu instid0(VALU_DEP_1) | instskip(NEXT) | instid1(VALU_DEP_1)
	v_dual_sub_f32 v134, v130, v133 :: v_dual_sub_f32 v117, v133, v132
	v_sub_f32_e32 v130, v130, v134
	s_delay_alu instid0(VALU_DEP_1) | instskip(NEXT) | instid1(VALU_DEP_1)
	v_dual_sub_f32 v130, v130, v133 :: v_dual_sub_f32 v117, v117, v128
	v_add_f32_e32 v20, v20, v130
	s_delay_alu instid0(VALU_DEP_1) | instskip(NEXT) | instid1(VALU_DEP_1)
	v_add_f32_e32 v20, v117, v20
	v_add_f32_e32 v117, v134, v20
	s_delay_alu instid0(VALU_DEP_1) | instskip(NEXT) | instid1(VALU_DEP_1)
	v_mul_f32_e32 v128, v115, v117
	v_dual_sub_f32 v133, v134, v117 :: v_dual_mul_f32 v130, v129, v128
	s_delay_alu instid0(VALU_DEP_1) | instskip(NEXT) | instid1(VALU_DEP_1)
	v_fma_f32 v129, v128, v129, -v130
	v_fmac_f32_e32 v129, v128, v119
	s_delay_alu instid0(VALU_DEP_3) | instskip(NEXT) | instid1(VALU_DEP_2)
	v_add_f32_e32 v20, v20, v133
	v_add_f32_e32 v119, v130, v129
	s_delay_alu instid0(VALU_DEP_1) | instskip(SKIP_1) | instid1(VALU_DEP_1)
	v_sub_f32_e32 v130, v119, v130
	v_sub_f32_e32 v132, v117, v119
	;; [unrolled: 1-line block ×3, first 2 shown]
	s_delay_alu instid0(VALU_DEP_1) | instskip(NEXT) | instid1(VALU_DEP_4)
	v_sub_f32_e32 v117, v117, v119
	v_sub_f32_e32 v119, v130, v129
	s_delay_alu instid0(VALU_DEP_2) | instskip(NEXT) | instid1(VALU_DEP_1)
	v_dual_add_f32 v20, v20, v117 :: v_dual_add_f32 v117, v131, v128
	v_dual_add_f32 v20, v119, v20 :: v_dual_sub_f32 v119, v117, v131
	s_delay_alu instid0(VALU_DEP_1) | instskip(NEXT) | instid1(VALU_DEP_1)
	v_add_f32_e32 v20, v132, v20
	v_dual_sub_f32 v119, v128, v119 :: v_dual_mul_f32 v20, v115, v20
	s_delay_alu instid0(VALU_DEP_1) | instskip(NEXT) | instid1(VALU_DEP_1)
	v_add_f32_e32 v20, v119, v20
	v_add_f32_e32 v115, v117, v20
	s_delay_alu instid0(VALU_DEP_1) | instskip(NEXT) | instid1(VALU_DEP_1)
	v_mul_f32_e32 v119, v115, v115
	v_fmaak_f32 v128, s19, v119, 0x3ecc95a3
	v_mul_f32_e32 v129, v115, v119
	v_cmp_gt_f32_e64 s19, 0x33800000, |v21|
	s_delay_alu instid0(VALU_DEP_3) | instskip(SKIP_2) | instid1(VALU_DEP_4)
	v_fmaak_f32 v119, v119, v128, 0x3f2aaada
	v_ldexp_f32 v128, v115, 1
	v_sub_f32_e32 v115, v115, v117
	s_or_b32 vcc_lo, vcc_lo, s19
	s_delay_alu instid0(VALU_DEP_3) | instskip(SKIP_1) | instid1(VALU_DEP_3)
	v_mul_f32_e32 v119, v129, v119
	v_mul_f32_e32 v129, 0x3f317218, v19
	v_sub_f32_e32 v20, v20, v115
	s_delay_alu instid0(VALU_DEP_3) | instskip(NEXT) | instid1(VALU_DEP_2)
	v_add_f32_e32 v117, v128, v119
	v_ldexp_f32 v20, v20, 1
	s_delay_alu instid0(VALU_DEP_2) | instskip(SKIP_1) | instid1(VALU_DEP_2)
	v_sub_f32_e32 v115, v117, v128
	v_fma_f32 v128, 0x3f317218, v19, -v129
	v_sub_f32_e32 v115, v119, v115
	s_delay_alu instid0(VALU_DEP_1) | instskip(NEXT) | instid1(VALU_DEP_1)
	v_dual_fmamk_f32 v19, v19, 0xb102e308, v128 :: v_dual_add_f32 v20, v20, v115
	v_add_f32_e32 v115, v129, v19
	s_delay_alu instid0(VALU_DEP_2) | instskip(NEXT) | instid1(VALU_DEP_2)
	v_add_f32_e32 v119, v117, v20
	v_sub_f32_e32 v129, v115, v129
	s_delay_alu instid0(VALU_DEP_2) | instskip(NEXT) | instid1(VALU_DEP_1)
	v_add_f32_e32 v128, v115, v119
	v_dual_sub_f32 v19, v19, v129 :: v_dual_sub_f32 v130, v128, v115
	v_sub_f32_e32 v117, v119, v117
	s_delay_alu instid0(VALU_DEP_2) | instskip(NEXT) | instid1(VALU_DEP_2)
	v_sub_f32_e32 v131, v128, v130
	v_dual_sub_f32 v20, v20, v117 :: v_dual_sub_f32 v117, v119, v130
	s_delay_alu instid0(VALU_DEP_2) | instskip(NEXT) | instid1(VALU_DEP_2)
	v_sub_f32_e32 v115, v115, v131
	v_add_f32_e32 v119, v19, v20
	s_delay_alu instid0(VALU_DEP_2) | instskip(NEXT) | instid1(VALU_DEP_2)
	v_add_f32_e32 v115, v117, v115
	v_sub_f32_e32 v117, v119, v19
	s_delay_alu instid0(VALU_DEP_2) | instskip(NEXT) | instid1(VALU_DEP_2)
	v_add_f32_e32 v115, v119, v115
	v_sub_f32_e32 v119, v119, v117
	v_sub_f32_e32 v20, v20, v117
	s_delay_alu instid0(VALU_DEP_3) | instskip(NEXT) | instid1(VALU_DEP_3)
	v_add_f32_e32 v129, v128, v115
	v_sub_f32_e32 v19, v19, v119
	s_delay_alu instid0(VALU_DEP_2) | instskip(NEXT) | instid1(VALU_DEP_1)
	v_sub_f32_e32 v117, v129, v128
	v_dual_add_f32 v19, v20, v19 :: v_dual_sub_f32 v20, v115, v117
	s_delay_alu instid0(VALU_DEP_1) | instskip(NEXT) | instid1(VALU_DEP_1)
	v_add_f32_e32 v19, v19, v20
	v_add_f32_e32 v19, v129, v19
	s_delay_alu instid0(VALU_DEP_1) | instskip(NEXT) | instid1(VALU_DEP_1)
	v_cndmask_b32_e32 v19, v19, v21, vcc_lo
	v_add_f32_e32 v19, v18, v19
.LBB453_81:
	s_or_b32 exec_lo, exec_lo, s18
	s_delay_alu instid0(VALU_DEP_1) | instskip(SKIP_1) | instid1(VALU_DEP_2)
	v_bfe_u32 v18, v19, 16, 1
	v_cmp_o_f32_e32 vcc_lo, v19, v19
	v_add3_u32 v18, v19, v18, 0x7fff
	s_delay_alu instid0(VALU_DEP_1) | instskip(NEXT) | instid1(VALU_DEP_1)
	v_and_b32_e32 v18, 0xffff0000, v18
	v_cndmask_b32_e32 v19, 0x7fc00000, v18, vcc_lo
	s_delay_alu instid0(VALU_DEP_1) | instskip(NEXT) | instid1(VALU_DEP_1)
	v_dual_max_f32 v18, v19, v19 :: v_dual_lshlrev_b32 v115, 16, v30
	v_max_f32_e32 v128, v115, v115
	v_cmp_u_f32_e32 vcc_lo, v19, v19
	v_cmp_u_f32_e64 s18, v115, v115
	s_delay_alu instid0(VALU_DEP_3) | instskip(SKIP_1) | instid1(VALU_DEP_2)
	v_min_f32_e32 v20, v18, v128
	v_max_f32_e32 v18, v18, v128
	v_cndmask_b32_e32 v20, v20, v19, vcc_lo
	s_delay_alu instid0(VALU_DEP_2) | instskip(NEXT) | instid1(VALU_DEP_2)
	v_cndmask_b32_e32 v18, v18, v19, vcc_lo
	v_cndmask_b32_e64 v20, v20, v115, s18
	s_delay_alu instid0(VALU_DEP_2) | instskip(NEXT) | instid1(VALU_DEP_2)
	v_cndmask_b32_e64 v18, v18, v115, s18
	v_cmp_class_f32_e64 s19, v20, 0x1f8
	s_delay_alu instid0(VALU_DEP_2) | instskip(NEXT) | instid1(VALU_DEP_2)
	v_cmp_neq_f32_e32 vcc_lo, v20, v18
	s_or_b32 s20, vcc_lo, s19
	s_delay_alu instid0(SALU_CYCLE_1)
	s_and_saveexec_b32 s19, s20
	s_cbranch_execz .LBB453_83
; %bb.82:
	v_sub_f32_e32 v19, v20, v18
	s_mov_b32 s20, 0x3e9b6dac
	s_delay_alu instid0(VALU_DEP_1) | instskip(SKIP_1) | instid1(VALU_DEP_2)
	v_mul_f32_e32 v20, 0x3fb8aa3b, v19
	v_cmp_ngt_f32_e32 vcc_lo, 0xc2ce8ed0, v19
	v_fma_f32 v21, 0x3fb8aa3b, v19, -v20
	v_rndne_f32_e32 v117, v20
	s_delay_alu instid0(VALU_DEP_1) | instskip(NEXT) | instid1(VALU_DEP_1)
	v_dual_fmamk_f32 v21, v19, 0x32a5705f, v21 :: v_dual_sub_f32 v20, v20, v117
	v_add_f32_e32 v20, v20, v21
	v_cvt_i32_f32_e32 v21, v117
	s_delay_alu instid0(VALU_DEP_2) | instskip(SKIP_2) | instid1(VALU_DEP_1)
	v_exp_f32_e32 v20, v20
	s_waitcnt_depctr 0xfff
	v_ldexp_f32 v20, v20, v21
	v_cndmask_b32_e32 v20, 0, v20, vcc_lo
	v_cmp_nlt_f32_e32 vcc_lo, 0x42b17218, v19
	s_delay_alu instid0(VALU_DEP_2) | instskip(NEXT) | instid1(VALU_DEP_1)
	v_cndmask_b32_e32 v21, 0x7f800000, v20, vcc_lo
	v_add_f32_e32 v117, 1.0, v21
	s_delay_alu instid0(VALU_DEP_1) | instskip(NEXT) | instid1(VALU_DEP_1)
	v_cvt_f64_f32_e32 v[19:20], v117
	v_frexp_exp_i32_f64_e32 v19, v[19:20]
	v_frexp_mant_f32_e32 v20, v117
	s_delay_alu instid0(VALU_DEP_1) | instskip(SKIP_1) | instid1(VALU_DEP_1)
	v_cmp_gt_f32_e32 vcc_lo, 0x3f2aaaab, v20
	v_add_f32_e32 v20, -1.0, v117
	v_dual_sub_f32 v129, v20, v117 :: v_dual_sub_f32 v20, v21, v20
	s_delay_alu instid0(VALU_DEP_1) | instskip(SKIP_2) | instid1(VALU_DEP_2)
	v_add_f32_e32 v129, 1.0, v129
	v_subrev_co_ci_u32_e32 v19, vcc_lo, 0, v19, vcc_lo
	v_cmp_eq_f32_e32 vcc_lo, 0x7f800000, v21
	v_sub_nc_u32_e32 v119, 0, v19
	v_cvt_f32_i32_e32 v19, v19
	s_delay_alu instid0(VALU_DEP_2) | instskip(SKIP_1) | instid1(VALU_DEP_1)
	v_ldexp_f32 v117, v117, v119
	v_add_f32_e32 v20, v20, v129
	v_ldexp_f32 v20, v20, v119
	s_delay_alu instid0(VALU_DEP_3) | instskip(NEXT) | instid1(VALU_DEP_1)
	v_add_f32_e32 v119, -1.0, v117
	v_dual_add_f32 v130, 1.0, v117 :: v_dual_add_f32 v131, 1.0, v119
	s_delay_alu instid0(VALU_DEP_1) | instskip(NEXT) | instid1(VALU_DEP_1)
	v_add_f32_e32 v129, -1.0, v130
	v_sub_f32_e32 v129, v117, v129
	s_delay_alu instid0(VALU_DEP_3) | instskip(NEXT) | instid1(VALU_DEP_2)
	v_sub_f32_e32 v117, v117, v131
	v_add_f32_e32 v129, v20, v129
	s_delay_alu instid0(VALU_DEP_2) | instskip(NEXT) | instid1(VALU_DEP_2)
	v_add_f32_e32 v20, v20, v117
	v_add_f32_e32 v131, v130, v129
	s_delay_alu instid0(VALU_DEP_1) | instskip(NEXT) | instid1(VALU_DEP_1)
	v_sub_f32_e32 v130, v130, v131
	v_dual_add_f32 v129, v129, v130 :: v_dual_add_f32 v132, v119, v20
	s_delay_alu instid0(VALU_DEP_1) | instskip(NEXT) | instid1(VALU_DEP_1)
	v_sub_f32_e32 v119, v119, v132
	v_add_f32_e32 v20, v20, v119
	v_rcp_f32_e32 v117, v131
	s_waitcnt_depctr 0xfff
	v_mul_f32_e32 v133, v132, v117
	s_delay_alu instid0(VALU_DEP_1) | instskip(NEXT) | instid1(VALU_DEP_1)
	v_mul_f32_e32 v134, v131, v133
	v_fma_f32 v130, v133, v131, -v134
	s_delay_alu instid0(VALU_DEP_1) | instskip(NEXT) | instid1(VALU_DEP_1)
	v_fmac_f32_e32 v130, v133, v129
	v_add_f32_e32 v145, v134, v130
	s_delay_alu instid0(VALU_DEP_1) | instskip(NEXT) | instid1(VALU_DEP_1)
	v_sub_f32_e32 v146, v132, v145
	v_sub_f32_e32 v132, v132, v146
	s_delay_alu instid0(VALU_DEP_1) | instskip(NEXT) | instid1(VALU_DEP_1)
	v_sub_f32_e32 v132, v132, v145
	v_dual_add_f32 v20, v20, v132 :: v_dual_sub_f32 v119, v145, v134
	s_delay_alu instid0(VALU_DEP_1) | instskip(NEXT) | instid1(VALU_DEP_1)
	v_sub_f32_e32 v119, v119, v130
	v_add_f32_e32 v20, v119, v20
	s_delay_alu instid0(VALU_DEP_1) | instskip(NEXT) | instid1(VALU_DEP_1)
	v_add_f32_e32 v119, v146, v20
	v_mul_f32_e32 v130, v117, v119
	s_delay_alu instid0(VALU_DEP_1) | instskip(NEXT) | instid1(VALU_DEP_1)
	v_dual_sub_f32 v145, v146, v119 :: v_dual_mul_f32 v132, v131, v130
	v_add_f32_e32 v20, v20, v145
	s_delay_alu instid0(VALU_DEP_2) | instskip(NEXT) | instid1(VALU_DEP_1)
	v_fma_f32 v131, v130, v131, -v132
	v_fmac_f32_e32 v131, v130, v129
	s_delay_alu instid0(VALU_DEP_1) | instskip(NEXT) | instid1(VALU_DEP_1)
	v_add_f32_e32 v129, v132, v131
	v_sub_f32_e32 v134, v119, v129
	s_delay_alu instid0(VALU_DEP_1) | instskip(NEXT) | instid1(VALU_DEP_1)
	v_dual_sub_f32 v132, v129, v132 :: v_dual_sub_f32 v119, v119, v134
	v_sub_f32_e32 v119, v119, v129
	s_delay_alu instid0(VALU_DEP_2) | instskip(NEXT) | instid1(VALU_DEP_2)
	v_sub_f32_e32 v129, v132, v131
	v_dual_add_f32 v20, v20, v119 :: v_dual_add_f32 v119, v133, v130
	s_delay_alu instid0(VALU_DEP_1) | instskip(NEXT) | instid1(VALU_DEP_1)
	v_add_f32_e32 v20, v129, v20
	v_dual_add_f32 v20, v134, v20 :: v_dual_sub_f32 v129, v119, v133
	s_delay_alu instid0(VALU_DEP_1) | instskip(NEXT) | instid1(VALU_DEP_1)
	v_dual_mul_f32 v20, v117, v20 :: v_dual_sub_f32 v129, v130, v129
	v_add_f32_e32 v20, v129, v20
	s_delay_alu instid0(VALU_DEP_1) | instskip(NEXT) | instid1(VALU_DEP_1)
	v_add_f32_e32 v117, v119, v20
	v_mul_f32_e32 v129, v117, v117
	s_delay_alu instid0(VALU_DEP_1) | instskip(SKIP_2) | instid1(VALU_DEP_3)
	v_fmaak_f32 v130, s20, v129, 0x3ecc95a3
	v_mul_f32_e32 v131, v117, v129
	v_cmp_gt_f32_e64 s20, 0x33800000, |v21|
	v_fmaak_f32 v129, v129, v130, 0x3f2aaada
	v_ldexp_f32 v130, v117, 1
	v_sub_f32_e32 v117, v117, v119
	s_delay_alu instid0(VALU_DEP_4) | instskip(NEXT) | instid1(VALU_DEP_3)
	s_or_b32 vcc_lo, vcc_lo, s20
	v_mul_f32_e32 v129, v131, v129
	s_delay_alu instid0(VALU_DEP_2) | instskip(NEXT) | instid1(VALU_DEP_2)
	v_sub_f32_e32 v20, v20, v117
	v_add_f32_e32 v119, v130, v129
	s_delay_alu instid0(VALU_DEP_2) | instskip(NEXT) | instid1(VALU_DEP_2)
	v_ldexp_f32 v20, v20, 1
	v_sub_f32_e32 v117, v119, v130
	s_delay_alu instid0(VALU_DEP_1) | instskip(NEXT) | instid1(VALU_DEP_1)
	v_sub_f32_e32 v117, v129, v117
	v_dual_mul_f32 v131, 0x3f317218, v19 :: v_dual_add_f32 v20, v20, v117
	s_delay_alu instid0(VALU_DEP_1) | instskip(NEXT) | instid1(VALU_DEP_2)
	v_fma_f32 v130, 0x3f317218, v19, -v131
	v_add_f32_e32 v129, v119, v20
	s_delay_alu instid0(VALU_DEP_2) | instskip(NEXT) | instid1(VALU_DEP_1)
	v_fmamk_f32 v19, v19, 0xb102e308, v130
	v_add_f32_e32 v117, v131, v19
	s_delay_alu instid0(VALU_DEP_1) | instskip(NEXT) | instid1(VALU_DEP_1)
	v_add_f32_e32 v130, v117, v129
	v_dual_sub_f32 v131, v117, v131 :: v_dual_sub_f32 v132, v130, v117
	v_sub_f32_e32 v119, v129, v119
	s_delay_alu instid0(VALU_DEP_2) | instskip(NEXT) | instid1(VALU_DEP_2)
	v_sub_f32_e32 v19, v19, v131
	v_dual_sub_f32 v133, v130, v132 :: v_dual_sub_f32 v20, v20, v119
	v_sub_f32_e32 v119, v129, v132
	s_delay_alu instid0(VALU_DEP_2) | instskip(NEXT) | instid1(VALU_DEP_3)
	v_sub_f32_e32 v117, v117, v133
	v_add_f32_e32 v129, v19, v20
	s_delay_alu instid0(VALU_DEP_2) | instskip(NEXT) | instid1(VALU_DEP_2)
	v_add_f32_e32 v117, v119, v117
	v_sub_f32_e32 v119, v129, v19
	s_delay_alu instid0(VALU_DEP_2) | instskip(NEXT) | instid1(VALU_DEP_2)
	v_add_f32_e32 v117, v129, v117
	v_sub_f32_e32 v129, v129, v119
	s_delay_alu instid0(VALU_DEP_2) | instskip(NEXT) | instid1(VALU_DEP_2)
	v_dual_sub_f32 v20, v20, v119 :: v_dual_add_f32 v131, v130, v117
	v_sub_f32_e32 v19, v19, v129
	s_delay_alu instid0(VALU_DEP_2) | instskip(NEXT) | instid1(VALU_DEP_2)
	v_sub_f32_e32 v119, v131, v130
	v_add_f32_e32 v19, v20, v19
	s_delay_alu instid0(VALU_DEP_2) | instskip(NEXT) | instid1(VALU_DEP_1)
	v_sub_f32_e32 v20, v117, v119
	v_add_f32_e32 v19, v19, v20
	s_delay_alu instid0(VALU_DEP_1) | instskip(NEXT) | instid1(VALU_DEP_1)
	v_add_f32_e32 v19, v131, v19
	v_cndmask_b32_e32 v19, v19, v21, vcc_lo
	s_delay_alu instid0(VALU_DEP_1)
	v_add_f32_e32 v19, v18, v19
.LBB453_83:
	s_or_b32 exec_lo, exec_lo, s19
	s_delay_alu instid0(VALU_DEP_1) | instskip(SKIP_1) | instid1(VALU_DEP_2)
	v_bfe_u32 v18, v19, 16, 1
	v_cmp_o_f32_e32 vcc_lo, v19, v19
	v_add3_u32 v18, v19, v18, 0x7fff
	s_delay_alu instid0(VALU_DEP_1) | instskip(NEXT) | instid1(VALU_DEP_1)
	v_and_b32_e32 v18, 0xffff0000, v18
	v_cndmask_b32_e32 v19, 0x7fc00000, v18, vcc_lo
	s_delay_alu instid0(VALU_DEP_1) | instskip(NEXT) | instid1(VALU_DEP_1)
	v_dual_max_f32 v18, v19, v19 :: v_dual_lshlrev_b32 v117, 16, v29
	v_max_f32_e32 v130, v117, v117
	v_cmp_u_f32_e32 vcc_lo, v19, v19
	v_cmp_u_f32_e64 s19, v117, v117
	s_delay_alu instid0(VALU_DEP_3) | instskip(SKIP_1) | instid1(VALU_DEP_2)
	v_min_f32_e32 v20, v18, v130
	v_max_f32_e32 v18, v18, v130
	v_cndmask_b32_e32 v20, v20, v19, vcc_lo
	s_delay_alu instid0(VALU_DEP_2) | instskip(NEXT) | instid1(VALU_DEP_2)
	v_cndmask_b32_e32 v18, v18, v19, vcc_lo
	v_cndmask_b32_e64 v20, v20, v117, s19
	s_delay_alu instid0(VALU_DEP_2) | instskip(NEXT) | instid1(VALU_DEP_2)
	v_cndmask_b32_e64 v18, v18, v117, s19
	v_cmp_class_f32_e64 s20, v20, 0x1f8
	s_delay_alu instid0(VALU_DEP_2) | instskip(NEXT) | instid1(VALU_DEP_2)
	v_cmp_neq_f32_e32 vcc_lo, v20, v18
	s_or_b32 s21, vcc_lo, s20
	s_delay_alu instid0(SALU_CYCLE_1)
	s_and_saveexec_b32 s20, s21
	s_cbranch_execz .LBB453_85
; %bb.84:
	v_sub_f32_e32 v19, v20, v18
	s_mov_b32 s21, 0x3e9b6dac
	s_delay_alu instid0(VALU_DEP_1) | instskip(SKIP_1) | instid1(VALU_DEP_2)
	v_mul_f32_e32 v20, 0x3fb8aa3b, v19
	v_cmp_ngt_f32_e32 vcc_lo, 0xc2ce8ed0, v19
	v_fma_f32 v21, 0x3fb8aa3b, v19, -v20
	v_rndne_f32_e32 v119, v20
	s_delay_alu instid0(VALU_DEP_1) | instskip(NEXT) | instid1(VALU_DEP_1)
	v_dual_fmamk_f32 v21, v19, 0x32a5705f, v21 :: v_dual_sub_f32 v20, v20, v119
	v_add_f32_e32 v20, v20, v21
	v_cvt_i32_f32_e32 v21, v119
	s_delay_alu instid0(VALU_DEP_2) | instskip(SKIP_2) | instid1(VALU_DEP_1)
	v_exp_f32_e32 v20, v20
	s_waitcnt_depctr 0xfff
	v_ldexp_f32 v20, v20, v21
	v_cndmask_b32_e32 v20, 0, v20, vcc_lo
	v_cmp_nlt_f32_e32 vcc_lo, 0x42b17218, v19
	s_delay_alu instid0(VALU_DEP_2) | instskip(NEXT) | instid1(VALU_DEP_1)
	v_cndmask_b32_e32 v21, 0x7f800000, v20, vcc_lo
	v_add_f32_e32 v119, 1.0, v21
	s_delay_alu instid0(VALU_DEP_1) | instskip(NEXT) | instid1(VALU_DEP_1)
	v_cvt_f64_f32_e32 v[19:20], v119
	v_frexp_exp_i32_f64_e32 v19, v[19:20]
	v_frexp_mant_f32_e32 v20, v119
	s_delay_alu instid0(VALU_DEP_1) | instskip(SKIP_1) | instid1(VALU_DEP_1)
	v_cmp_gt_f32_e32 vcc_lo, 0x3f2aaaab, v20
	v_add_f32_e32 v20, -1.0, v119
	v_dual_sub_f32 v131, v20, v119 :: v_dual_sub_f32 v20, v21, v20
	s_delay_alu instid0(VALU_DEP_1) | instskip(NEXT) | instid1(VALU_DEP_1)
	v_add_f32_e32 v131, 1.0, v131
	v_add_f32_e32 v20, v20, v131
	v_subrev_co_ci_u32_e32 v19, vcc_lo, 0, v19, vcc_lo
	v_cmp_eq_f32_e32 vcc_lo, 0x7f800000, v21
	s_delay_alu instid0(VALU_DEP_2) | instskip(SKIP_1) | instid1(VALU_DEP_2)
	v_sub_nc_u32_e32 v129, 0, v19
	v_cvt_f32_i32_e32 v19, v19
	v_ldexp_f32 v119, v119, v129
	v_ldexp_f32 v20, v20, v129
	s_delay_alu instid0(VALU_DEP_2) | instskip(NEXT) | instid1(VALU_DEP_1)
	v_add_f32_e32 v129, -1.0, v119
	v_dual_add_f32 v132, 1.0, v119 :: v_dual_add_f32 v133, 1.0, v129
	s_delay_alu instid0(VALU_DEP_1) | instskip(NEXT) | instid1(VALU_DEP_1)
	v_add_f32_e32 v131, -1.0, v132
	v_sub_f32_e32 v131, v119, v131
	s_delay_alu instid0(VALU_DEP_3) | instskip(NEXT) | instid1(VALU_DEP_2)
	v_sub_f32_e32 v119, v119, v133
	v_add_f32_e32 v131, v20, v131
	s_delay_alu instid0(VALU_DEP_1) | instskip(NEXT) | instid1(VALU_DEP_1)
	v_add_f32_e32 v133, v132, v131
	v_sub_f32_e32 v132, v132, v133
	s_delay_alu instid0(VALU_DEP_4) | instskip(SKIP_1) | instid1(VALU_DEP_1)
	v_add_f32_e32 v20, v20, v119
	v_rcp_f32_e32 v119, v133
	v_add_f32_e32 v134, v129, v20
	s_delay_alu instid0(VALU_DEP_1) | instskip(SKIP_2) | instid1(VALU_DEP_1)
	v_sub_f32_e32 v129, v129, v134
	s_waitcnt_depctr 0xfff
	v_mul_f32_e32 v145, v134, v119
	v_dual_mul_f32 v146, v133, v145 :: v_dual_add_f32 v131, v131, v132
	v_add_f32_e32 v20, v20, v129
	s_delay_alu instid0(VALU_DEP_2) | instskip(NEXT) | instid1(VALU_DEP_1)
	v_fma_f32 v132, v145, v133, -v146
	v_fmac_f32_e32 v132, v145, v131
	s_delay_alu instid0(VALU_DEP_1) | instskip(NEXT) | instid1(VALU_DEP_1)
	v_add_f32_e32 v147, v146, v132
	v_sub_f32_e32 v148, v134, v147
	s_delay_alu instid0(VALU_DEP_1) | instskip(NEXT) | instid1(VALU_DEP_1)
	v_sub_f32_e32 v134, v134, v148
	v_sub_f32_e32 v134, v134, v147
	s_delay_alu instid0(VALU_DEP_1) | instskip(SKIP_1) | instid1(VALU_DEP_1)
	v_add_f32_e32 v20, v20, v134
	v_sub_f32_e32 v129, v147, v146
	v_sub_f32_e32 v129, v129, v132
	s_delay_alu instid0(VALU_DEP_1) | instskip(NEXT) | instid1(VALU_DEP_1)
	v_add_f32_e32 v20, v129, v20
	v_add_f32_e32 v129, v148, v20
	s_delay_alu instid0(VALU_DEP_1) | instskip(NEXT) | instid1(VALU_DEP_1)
	v_mul_f32_e32 v132, v119, v129
	v_mul_f32_e32 v134, v133, v132
	s_delay_alu instid0(VALU_DEP_1) | instskip(NEXT) | instid1(VALU_DEP_1)
	v_fma_f32 v133, v132, v133, -v134
	v_fmac_f32_e32 v133, v132, v131
	s_delay_alu instid0(VALU_DEP_1) | instskip(NEXT) | instid1(VALU_DEP_1)
	v_add_f32_e32 v131, v134, v133
	v_sub_f32_e32 v134, v131, v134
	v_dual_sub_f32 v146, v129, v131 :: v_dual_sub_f32 v147, v148, v129
	s_delay_alu instid0(VALU_DEP_1) | instskip(NEXT) | instid1(VALU_DEP_1)
	v_dual_sub_f32 v129, v129, v146 :: v_dual_add_f32 v20, v20, v147
	v_sub_f32_e32 v129, v129, v131
	s_delay_alu instid0(VALU_DEP_4) | instskip(NEXT) | instid1(VALU_DEP_2)
	v_sub_f32_e32 v131, v134, v133
	v_dual_add_f32 v20, v20, v129 :: v_dual_add_f32 v129, v145, v132
	s_delay_alu instid0(VALU_DEP_1) | instskip(NEXT) | instid1(VALU_DEP_1)
	v_dual_add_f32 v20, v131, v20 :: v_dual_sub_f32 v131, v129, v145
	v_dual_add_f32 v20, v146, v20 :: v_dual_sub_f32 v131, v132, v131
	s_delay_alu instid0(VALU_DEP_1) | instskip(NEXT) | instid1(VALU_DEP_1)
	v_mul_f32_e32 v20, v119, v20
	v_add_f32_e32 v20, v131, v20
	s_delay_alu instid0(VALU_DEP_1) | instskip(NEXT) | instid1(VALU_DEP_1)
	v_add_f32_e32 v119, v129, v20
	v_mul_f32_e32 v131, v119, v119
	s_delay_alu instid0(VALU_DEP_1) | instskip(SKIP_2) | instid1(VALU_DEP_3)
	v_fmaak_f32 v132, s21, v131, 0x3ecc95a3
	v_mul_f32_e32 v133, v119, v131
	v_cmp_gt_f32_e64 s21, 0x33800000, |v21|
	v_fmaak_f32 v131, v131, v132, 0x3f2aaada
	v_ldexp_f32 v132, v119, 1
	v_sub_f32_e32 v119, v119, v129
	s_delay_alu instid0(VALU_DEP_4) | instskip(NEXT) | instid1(VALU_DEP_3)
	s_or_b32 vcc_lo, vcc_lo, s21
	v_mul_f32_e32 v131, v133, v131
	v_mul_f32_e32 v133, 0x3f317218, v19
	s_delay_alu instid0(VALU_DEP_3) | instskip(NEXT) | instid1(VALU_DEP_3)
	v_sub_f32_e32 v20, v20, v119
	v_add_f32_e32 v129, v132, v131
	s_delay_alu instid0(VALU_DEP_2) | instskip(NEXT) | instid1(VALU_DEP_2)
	v_ldexp_f32 v20, v20, 1
	v_sub_f32_e32 v119, v129, v132
	v_fma_f32 v132, 0x3f317218, v19, -v133
	s_delay_alu instid0(VALU_DEP_2) | instskip(NEXT) | instid1(VALU_DEP_1)
	v_sub_f32_e32 v119, v131, v119
	v_dual_fmamk_f32 v19, v19, 0xb102e308, v132 :: v_dual_add_f32 v20, v20, v119
	s_delay_alu instid0(VALU_DEP_1) | instskip(NEXT) | instid1(VALU_DEP_2)
	v_add_f32_e32 v119, v133, v19
	v_add_f32_e32 v131, v129, v20
	s_delay_alu instid0(VALU_DEP_2) | instskip(NEXT) | instid1(VALU_DEP_2)
	v_sub_f32_e32 v133, v119, v133
	v_add_f32_e32 v132, v119, v131
	s_delay_alu instid0(VALU_DEP_1) | instskip(SKIP_1) | instid1(VALU_DEP_2)
	v_dual_sub_f32 v19, v19, v133 :: v_dual_sub_f32 v134, v132, v119
	v_sub_f32_e32 v129, v131, v129
	v_sub_f32_e32 v145, v132, v134
	s_delay_alu instid0(VALU_DEP_2) | instskip(NEXT) | instid1(VALU_DEP_2)
	v_dual_sub_f32 v20, v20, v129 :: v_dual_sub_f32 v129, v131, v134
	v_sub_f32_e32 v119, v119, v145
	s_delay_alu instid0(VALU_DEP_2) | instskip(NEXT) | instid1(VALU_DEP_2)
	v_add_f32_e32 v131, v19, v20
	v_add_f32_e32 v119, v129, v119
	s_delay_alu instid0(VALU_DEP_2) | instskip(NEXT) | instid1(VALU_DEP_2)
	v_sub_f32_e32 v129, v131, v19
	v_add_f32_e32 v119, v131, v119
	s_delay_alu instid0(VALU_DEP_2) | instskip(SKIP_1) | instid1(VALU_DEP_3)
	v_sub_f32_e32 v131, v131, v129
	v_sub_f32_e32 v20, v20, v129
	v_add_f32_e32 v133, v132, v119
	s_delay_alu instid0(VALU_DEP_3) | instskip(NEXT) | instid1(VALU_DEP_2)
	v_sub_f32_e32 v19, v19, v131
	v_sub_f32_e32 v129, v133, v132
	s_delay_alu instid0(VALU_DEP_1) | instskip(NEXT) | instid1(VALU_DEP_1)
	v_dual_add_f32 v19, v20, v19 :: v_dual_sub_f32 v20, v119, v129
	v_add_f32_e32 v19, v19, v20
	s_delay_alu instid0(VALU_DEP_1) | instskip(NEXT) | instid1(VALU_DEP_1)
	v_add_f32_e32 v19, v133, v19
	v_cndmask_b32_e32 v19, v19, v21, vcc_lo
	s_delay_alu instid0(VALU_DEP_1)
	v_add_f32_e32 v19, v18, v19
.LBB453_85:
	s_or_b32 exec_lo, exec_lo, s20
	s_delay_alu instid0(VALU_DEP_1) | instskip(SKIP_1) | instid1(VALU_DEP_2)
	v_bfe_u32 v18, v19, 16, 1
	v_cmp_o_f32_e32 vcc_lo, v19, v19
	v_add3_u32 v18, v19, v18, 0x7fff
	s_delay_alu instid0(VALU_DEP_1) | instskip(NEXT) | instid1(VALU_DEP_1)
	v_and_b32_e32 v18, 0xffff0000, v18
	v_cndmask_b32_e32 v19, 0x7fc00000, v18, vcc_lo
	s_delay_alu instid0(VALU_DEP_1) | instskip(NEXT) | instid1(VALU_DEP_1)
	v_dual_max_f32 v18, v19, v19 :: v_dual_lshlrev_b32 v119, 16, v28
	v_max_f32_e32 v132, v119, v119
	v_cmp_u_f32_e32 vcc_lo, v19, v19
	v_cmp_u_f32_e64 s20, v119, v119
	s_delay_alu instid0(VALU_DEP_3) | instskip(SKIP_1) | instid1(VALU_DEP_2)
	v_min_f32_e32 v20, v18, v132
	v_max_f32_e32 v18, v18, v132
	v_cndmask_b32_e32 v20, v20, v19, vcc_lo
	s_delay_alu instid0(VALU_DEP_2) | instskip(NEXT) | instid1(VALU_DEP_2)
	v_cndmask_b32_e32 v18, v18, v19, vcc_lo
	v_cndmask_b32_e64 v20, v20, v119, s20
	s_delay_alu instid0(VALU_DEP_2) | instskip(NEXT) | instid1(VALU_DEP_2)
	v_cndmask_b32_e64 v18, v18, v119, s20
	v_cmp_class_f32_e64 s21, v20, 0x1f8
	s_delay_alu instid0(VALU_DEP_2) | instskip(NEXT) | instid1(VALU_DEP_2)
	v_cmp_neq_f32_e32 vcc_lo, v20, v18
	s_or_b32 s22, vcc_lo, s21
	s_delay_alu instid0(SALU_CYCLE_1)
	s_and_saveexec_b32 s21, s22
	s_cbranch_execz .LBB453_87
; %bb.86:
	v_sub_f32_e32 v19, v20, v18
	s_mov_b32 s22, 0x3e9b6dac
	s_delay_alu instid0(VALU_DEP_1) | instskip(SKIP_1) | instid1(VALU_DEP_2)
	v_mul_f32_e32 v20, 0x3fb8aa3b, v19
	v_cmp_ngt_f32_e32 vcc_lo, 0xc2ce8ed0, v19
	v_fma_f32 v21, 0x3fb8aa3b, v19, -v20
	v_rndne_f32_e32 v129, v20
	s_delay_alu instid0(VALU_DEP_1) | instskip(NEXT) | instid1(VALU_DEP_1)
	v_dual_fmamk_f32 v21, v19, 0x32a5705f, v21 :: v_dual_sub_f32 v20, v20, v129
	v_add_f32_e32 v20, v20, v21
	v_cvt_i32_f32_e32 v21, v129
	s_delay_alu instid0(VALU_DEP_2) | instskip(SKIP_2) | instid1(VALU_DEP_1)
	v_exp_f32_e32 v20, v20
	s_waitcnt_depctr 0xfff
	v_ldexp_f32 v20, v20, v21
	v_cndmask_b32_e32 v20, 0, v20, vcc_lo
	v_cmp_nlt_f32_e32 vcc_lo, 0x42b17218, v19
	s_delay_alu instid0(VALU_DEP_2) | instskip(NEXT) | instid1(VALU_DEP_1)
	v_cndmask_b32_e32 v21, 0x7f800000, v20, vcc_lo
	v_add_f32_e32 v129, 1.0, v21
	s_delay_alu instid0(VALU_DEP_1) | instskip(NEXT) | instid1(VALU_DEP_1)
	v_cvt_f64_f32_e32 v[19:20], v129
	v_frexp_exp_i32_f64_e32 v19, v[19:20]
	v_frexp_mant_f32_e32 v20, v129
	s_delay_alu instid0(VALU_DEP_1) | instskip(SKIP_1) | instid1(VALU_DEP_1)
	v_cmp_gt_f32_e32 vcc_lo, 0x3f2aaaab, v20
	v_add_f32_e32 v20, -1.0, v129
	v_dual_sub_f32 v133, v20, v129 :: v_dual_sub_f32 v20, v21, v20
	s_delay_alu instid0(VALU_DEP_1) | instskip(NEXT) | instid1(VALU_DEP_1)
	v_add_f32_e32 v133, 1.0, v133
	v_add_f32_e32 v20, v20, v133
	v_subrev_co_ci_u32_e32 v19, vcc_lo, 0, v19, vcc_lo
	v_cmp_eq_f32_e32 vcc_lo, 0x7f800000, v21
	s_delay_alu instid0(VALU_DEP_2) | instskip(SKIP_1) | instid1(VALU_DEP_2)
	v_sub_nc_u32_e32 v131, 0, v19
	v_cvt_f32_i32_e32 v19, v19
	v_ldexp_f32 v129, v129, v131
	v_ldexp_f32 v20, v20, v131
	s_delay_alu instid0(VALU_DEP_2) | instskip(NEXT) | instid1(VALU_DEP_1)
	v_add_f32_e32 v131, -1.0, v129
	v_dual_add_f32 v134, 1.0, v129 :: v_dual_add_f32 v145, 1.0, v131
	s_delay_alu instid0(VALU_DEP_1) | instskip(NEXT) | instid1(VALU_DEP_1)
	v_add_f32_e32 v133, -1.0, v134
	v_sub_f32_e32 v133, v129, v133
	s_delay_alu instid0(VALU_DEP_3) | instskip(NEXT) | instid1(VALU_DEP_2)
	v_sub_f32_e32 v129, v129, v145
	v_add_f32_e32 v133, v20, v133
	s_delay_alu instid0(VALU_DEP_2) | instskip(NEXT) | instid1(VALU_DEP_1)
	v_add_f32_e32 v20, v20, v129
	v_dual_add_f32 v145, v134, v133 :: v_dual_add_f32 v146, v131, v20
	s_delay_alu instid0(VALU_DEP_1) | instskip(SKIP_2) | instid1(VALU_DEP_1)
	v_rcp_f32_e32 v129, v145
	s_waitcnt_depctr 0xfff
	v_mul_f32_e32 v147, v146, v129
	v_mul_f32_e32 v148, v145, v147
	v_dual_sub_f32 v134, v134, v145 :: v_dual_sub_f32 v131, v131, v146
	s_delay_alu instid0(VALU_DEP_1) | instskip(NEXT) | instid1(VALU_DEP_3)
	v_add_f32_e32 v133, v133, v134
	v_fma_f32 v134, v147, v145, -v148
	s_delay_alu instid0(VALU_DEP_3) | instskip(NEXT) | instid1(VALU_DEP_2)
	v_add_f32_e32 v20, v20, v131
	v_fmac_f32_e32 v134, v147, v133
	s_delay_alu instid0(VALU_DEP_1) | instskip(NEXT) | instid1(VALU_DEP_1)
	v_add_f32_e32 v149, v148, v134
	v_dual_sub_f32 v131, v149, v148 :: v_dual_sub_f32 v150, v146, v149
	s_delay_alu instid0(VALU_DEP_1) | instskip(NEXT) | instid1(VALU_DEP_2)
	v_sub_f32_e32 v131, v131, v134
	v_sub_f32_e32 v146, v146, v150
	s_delay_alu instid0(VALU_DEP_1) | instskip(NEXT) | instid1(VALU_DEP_1)
	v_sub_f32_e32 v146, v146, v149
	v_add_f32_e32 v20, v20, v146
	s_delay_alu instid0(VALU_DEP_1) | instskip(NEXT) | instid1(VALU_DEP_1)
	v_add_f32_e32 v20, v131, v20
	v_add_f32_e32 v131, v150, v20
	s_delay_alu instid0(VALU_DEP_1) | instskip(NEXT) | instid1(VALU_DEP_1)
	v_mul_f32_e32 v134, v129, v131
	v_mul_f32_e32 v146, v145, v134
	s_delay_alu instid0(VALU_DEP_1) | instskip(NEXT) | instid1(VALU_DEP_1)
	v_fma_f32 v145, v134, v145, -v146
	v_fmac_f32_e32 v145, v134, v133
	v_sub_f32_e32 v149, v150, v131
	s_delay_alu instid0(VALU_DEP_1) | instskip(NEXT) | instid1(VALU_DEP_3)
	v_add_f32_e32 v20, v20, v149
	v_add_f32_e32 v133, v146, v145
	s_delay_alu instid0(VALU_DEP_1) | instskip(NEXT) | instid1(VALU_DEP_1)
	v_sub_f32_e32 v148, v131, v133
	v_sub_f32_e32 v131, v131, v148
	s_delay_alu instid0(VALU_DEP_1) | instskip(NEXT) | instid1(VALU_DEP_1)
	v_sub_f32_e32 v131, v131, v133
	v_add_f32_e32 v20, v20, v131
	v_sub_f32_e32 v146, v133, v146
	v_add_f32_e32 v131, v147, v134
	s_delay_alu instid0(VALU_DEP_2) | instskip(NEXT) | instid1(VALU_DEP_1)
	v_sub_f32_e32 v133, v146, v145
	v_add_f32_e32 v20, v133, v20
	s_delay_alu instid0(VALU_DEP_1) | instskip(NEXT) | instid1(VALU_DEP_1)
	v_dual_add_f32 v20, v148, v20 :: v_dual_sub_f32 v133, v131, v147
	v_dual_mul_f32 v20, v129, v20 :: v_dual_sub_f32 v133, v134, v133
	s_delay_alu instid0(VALU_DEP_1) | instskip(NEXT) | instid1(VALU_DEP_1)
	v_add_f32_e32 v20, v133, v20
	v_add_f32_e32 v129, v131, v20
	s_delay_alu instid0(VALU_DEP_1) | instskip(NEXT) | instid1(VALU_DEP_1)
	v_mul_f32_e32 v133, v129, v129
	v_fmaak_f32 v134, s22, v133, 0x3ecc95a3
	v_mul_f32_e32 v145, v129, v133
	v_cmp_gt_f32_e64 s22, 0x33800000, |v21|
	s_delay_alu instid0(VALU_DEP_3) | instskip(SKIP_2) | instid1(VALU_DEP_4)
	v_fmaak_f32 v133, v133, v134, 0x3f2aaada
	v_ldexp_f32 v134, v129, 1
	v_sub_f32_e32 v129, v129, v131
	s_or_b32 vcc_lo, vcc_lo, s22
	s_delay_alu instid0(VALU_DEP_3) | instskip(NEXT) | instid1(VALU_DEP_1)
	v_mul_f32_e32 v133, v145, v133
	v_add_f32_e32 v131, v134, v133
	s_delay_alu instid0(VALU_DEP_1) | instskip(NEXT) | instid1(VALU_DEP_1)
	v_dual_sub_f32 v20, v20, v129 :: v_dual_sub_f32 v129, v131, v134
	v_ldexp_f32 v20, v20, 1
	s_delay_alu instid0(VALU_DEP_2) | instskip(NEXT) | instid1(VALU_DEP_1)
	v_sub_f32_e32 v129, v133, v129
	v_dual_mul_f32 v145, 0x3f317218, v19 :: v_dual_add_f32 v20, v20, v129
	s_delay_alu instid0(VALU_DEP_1) | instskip(NEXT) | instid1(VALU_DEP_2)
	v_fma_f32 v134, 0x3f317218, v19, -v145
	v_add_f32_e32 v133, v131, v20
	s_delay_alu instid0(VALU_DEP_2) | instskip(NEXT) | instid1(VALU_DEP_1)
	v_fmamk_f32 v19, v19, 0xb102e308, v134
	v_add_f32_e32 v129, v145, v19
	s_delay_alu instid0(VALU_DEP_1) | instskip(SKIP_1) | instid1(VALU_DEP_2)
	v_add_f32_e32 v134, v129, v133
	v_sub_f32_e32 v145, v129, v145
	v_dual_sub_f32 v146, v134, v129 :: v_dual_sub_f32 v131, v133, v131
	s_delay_alu instid0(VALU_DEP_2) | instskip(NEXT) | instid1(VALU_DEP_2)
	v_sub_f32_e32 v19, v19, v145
	v_dual_sub_f32 v147, v134, v146 :: v_dual_sub_f32 v20, v20, v131
	v_sub_f32_e32 v131, v133, v146
	s_delay_alu instid0(VALU_DEP_2) | instskip(NEXT) | instid1(VALU_DEP_3)
	v_sub_f32_e32 v129, v129, v147
	v_add_f32_e32 v133, v19, v20
	s_delay_alu instid0(VALU_DEP_2) | instskip(NEXT) | instid1(VALU_DEP_2)
	v_add_f32_e32 v129, v131, v129
	v_sub_f32_e32 v131, v133, v19
	s_delay_alu instid0(VALU_DEP_2) | instskip(NEXT) | instid1(VALU_DEP_2)
	v_add_f32_e32 v129, v133, v129
	v_sub_f32_e32 v133, v133, v131
	s_delay_alu instid0(VALU_DEP_2) | instskip(NEXT) | instid1(VALU_DEP_2)
	v_dual_sub_f32 v20, v20, v131 :: v_dual_add_f32 v145, v134, v129
	v_sub_f32_e32 v19, v19, v133
	s_delay_alu instid0(VALU_DEP_2) | instskip(NEXT) | instid1(VALU_DEP_2)
	v_sub_f32_e32 v131, v145, v134
	v_add_f32_e32 v19, v20, v19
	s_delay_alu instid0(VALU_DEP_2) | instskip(NEXT) | instid1(VALU_DEP_1)
	v_sub_f32_e32 v20, v129, v131
	v_add_f32_e32 v19, v19, v20
	s_delay_alu instid0(VALU_DEP_1) | instskip(NEXT) | instid1(VALU_DEP_1)
	v_add_f32_e32 v19, v145, v19
	v_cndmask_b32_e32 v19, v19, v21, vcc_lo
	s_delay_alu instid0(VALU_DEP_1)
	v_add_f32_e32 v19, v18, v19
.LBB453_87:
	s_or_b32 exec_lo, exec_lo, s21
	s_delay_alu instid0(VALU_DEP_1) | instskip(SKIP_2) | instid1(VALU_DEP_3)
	v_bfe_u32 v18, v19, 16, 1
	v_lshlrev_b32_e32 v129, 16, v27
	v_cmp_o_f32_e32 vcc_lo, v19, v19
	v_add3_u32 v18, v19, v18, 0x7fff
	s_delay_alu instid0(VALU_DEP_1) | instskip(NEXT) | instid1(VALU_DEP_1)
	v_dual_max_f32 v133, v129, v129 :: v_dual_and_b32 v18, 0xffff0000, v18
	v_cndmask_b32_e32 v19, 0x7fc00000, v18, vcc_lo
	s_delay_alu instid0(VALU_DEP_1) | instskip(NEXT) | instid1(VALU_DEP_1)
	v_max_f32_e32 v18, v19, v19
	v_min_f32_e32 v20, v18, v133
	v_max_f32_e32 v18, v18, v133
	v_cmp_u_f32_e32 vcc_lo, v19, v19
	v_cmp_u_f32_e64 s21, v129, v129
	s_delay_alu instid0(VALU_DEP_4) | instskip(NEXT) | instid1(VALU_DEP_4)
	v_cndmask_b32_e32 v20, v20, v19, vcc_lo
	v_cndmask_b32_e32 v18, v18, v19, vcc_lo
	s_delay_alu instid0(VALU_DEP_2) | instskip(NEXT) | instid1(VALU_DEP_2)
	v_cndmask_b32_e64 v20, v20, v129, s21
	v_cndmask_b32_e64 v18, v18, v129, s21
	s_delay_alu instid0(VALU_DEP_2) | instskip(NEXT) | instid1(VALU_DEP_2)
	v_cmp_class_f32_e64 s22, v20, 0x1f8
	v_cmp_neq_f32_e32 vcc_lo, v20, v18
	s_delay_alu instid0(VALU_DEP_2) | instskip(NEXT) | instid1(SALU_CYCLE_1)
	s_or_b32 s24, vcc_lo, s22
	s_and_saveexec_b32 s22, s24
	s_cbranch_execz .LBB453_89
; %bb.88:
	v_sub_f32_e32 v19, v20, v18
	s_mov_b32 s24, 0x3e9b6dac
	s_delay_alu instid0(VALU_DEP_1) | instskip(SKIP_1) | instid1(VALU_DEP_2)
	v_mul_f32_e32 v20, 0x3fb8aa3b, v19
	v_cmp_ngt_f32_e32 vcc_lo, 0xc2ce8ed0, v19
	v_fma_f32 v21, 0x3fb8aa3b, v19, -v20
	v_rndne_f32_e32 v131, v20
	s_delay_alu instid0(VALU_DEP_1) | instskip(NEXT) | instid1(VALU_DEP_1)
	v_dual_fmamk_f32 v21, v19, 0x32a5705f, v21 :: v_dual_sub_f32 v20, v20, v131
	v_add_f32_e32 v20, v20, v21
	v_cvt_i32_f32_e32 v21, v131
	s_delay_alu instid0(VALU_DEP_2) | instskip(SKIP_2) | instid1(VALU_DEP_1)
	v_exp_f32_e32 v20, v20
	s_waitcnt_depctr 0xfff
	v_ldexp_f32 v20, v20, v21
	v_cndmask_b32_e32 v20, 0, v20, vcc_lo
	v_cmp_nlt_f32_e32 vcc_lo, 0x42b17218, v19
	s_delay_alu instid0(VALU_DEP_2) | instskip(NEXT) | instid1(VALU_DEP_1)
	v_cndmask_b32_e32 v21, 0x7f800000, v20, vcc_lo
	v_add_f32_e32 v131, 1.0, v21
	s_delay_alu instid0(VALU_DEP_1) | instskip(NEXT) | instid1(VALU_DEP_1)
	v_cvt_f64_f32_e32 v[19:20], v131
	v_frexp_exp_i32_f64_e32 v19, v[19:20]
	v_frexp_mant_f32_e32 v20, v131
	s_delay_alu instid0(VALU_DEP_1) | instskip(SKIP_1) | instid1(VALU_DEP_1)
	v_cmp_gt_f32_e32 vcc_lo, 0x3f2aaaab, v20
	v_add_f32_e32 v20, -1.0, v131
	v_dual_sub_f32 v145, v20, v131 :: v_dual_sub_f32 v20, v21, v20
	v_subrev_co_ci_u32_e32 v19, vcc_lo, 0, v19, vcc_lo
	v_cmp_eq_f32_e32 vcc_lo, 0x7f800000, v21
	s_delay_alu instid0(VALU_DEP_2) | instskip(SKIP_1) | instid1(VALU_DEP_2)
	v_sub_nc_u32_e32 v134, 0, v19
	v_cvt_f32_i32_e32 v19, v19
	v_ldexp_f32 v131, v131, v134
	s_delay_alu instid0(VALU_DEP_1) | instskip(NEXT) | instid1(VALU_DEP_1)
	v_dual_add_f32 v145, 1.0, v145 :: v_dual_add_f32 v146, 1.0, v131
	v_dual_add_f32 v20, v20, v145 :: v_dual_add_f32 v145, -1.0, v146
	s_delay_alu instid0(VALU_DEP_1) | instskip(NEXT) | instid1(VALU_DEP_2)
	v_ldexp_f32 v20, v20, v134
	v_dual_add_f32 v134, -1.0, v131 :: v_dual_sub_f32 v145, v131, v145
	s_delay_alu instid0(VALU_DEP_1) | instskip(NEXT) | instid1(VALU_DEP_2)
	v_add_f32_e32 v147, 1.0, v134
	v_add_f32_e32 v145, v20, v145
	s_delay_alu instid0(VALU_DEP_2) | instskip(NEXT) | instid1(VALU_DEP_1)
	v_sub_f32_e32 v131, v131, v147
	v_add_f32_e32 v20, v20, v131
	s_delay_alu instid0(VALU_DEP_1) | instskip(NEXT) | instid1(VALU_DEP_4)
	v_add_f32_e32 v148, v134, v20
	v_add_f32_e32 v147, v146, v145
	s_delay_alu instid0(VALU_DEP_2) | instskip(NEXT) | instid1(VALU_DEP_2)
	v_sub_f32_e32 v134, v134, v148
	v_rcp_f32_e32 v131, v147
	v_sub_f32_e32 v146, v146, v147
	s_delay_alu instid0(VALU_DEP_1) | instskip(NEXT) | instid1(VALU_DEP_3)
	v_add_f32_e32 v145, v145, v146
	v_add_f32_e32 v20, v20, v134
	s_waitcnt_depctr 0xfff
	v_mul_f32_e32 v149, v148, v131
	s_delay_alu instid0(VALU_DEP_1) | instskip(NEXT) | instid1(VALU_DEP_1)
	v_mul_f32_e32 v150, v147, v149
	v_fma_f32 v146, v149, v147, -v150
	s_delay_alu instid0(VALU_DEP_1) | instskip(NEXT) | instid1(VALU_DEP_1)
	v_fmac_f32_e32 v146, v149, v145
	v_add_f32_e32 v151, v150, v146
	s_delay_alu instid0(VALU_DEP_1) | instskip(NEXT) | instid1(VALU_DEP_1)
	v_sub_f32_e32 v160, v148, v151
	v_sub_f32_e32 v148, v148, v160
	;; [unrolled: 1-line block ×3, first 2 shown]
	s_delay_alu instid0(VALU_DEP_2) | instskip(NEXT) | instid1(VALU_DEP_2)
	v_sub_f32_e32 v148, v148, v151
	v_sub_f32_e32 v134, v134, v146
	s_delay_alu instid0(VALU_DEP_2) | instskip(NEXT) | instid1(VALU_DEP_1)
	v_add_f32_e32 v20, v20, v148
	v_add_f32_e32 v20, v134, v20
	s_delay_alu instid0(VALU_DEP_1) | instskip(NEXT) | instid1(VALU_DEP_1)
	v_add_f32_e32 v134, v160, v20
	v_mul_f32_e32 v146, v131, v134
	v_sub_f32_e32 v151, v160, v134
	s_delay_alu instid0(VALU_DEP_2) | instskip(NEXT) | instid1(VALU_DEP_2)
	v_mul_f32_e32 v148, v147, v146
	v_add_f32_e32 v20, v20, v151
	s_delay_alu instid0(VALU_DEP_2) | instskip(NEXT) | instid1(VALU_DEP_1)
	v_fma_f32 v147, v146, v147, -v148
	v_fmac_f32_e32 v147, v146, v145
	s_delay_alu instid0(VALU_DEP_1) | instskip(NEXT) | instid1(VALU_DEP_1)
	v_add_f32_e32 v145, v148, v147
	v_sub_f32_e32 v150, v134, v145
	v_sub_f32_e32 v148, v145, v148
	s_delay_alu instid0(VALU_DEP_2) | instskip(NEXT) | instid1(VALU_DEP_1)
	v_sub_f32_e32 v134, v134, v150
	v_dual_sub_f32 v134, v134, v145 :: v_dual_sub_f32 v145, v148, v147
	s_delay_alu instid0(VALU_DEP_1) | instskip(SKIP_1) | instid1(VALU_DEP_1)
	v_add_f32_e32 v20, v20, v134
	v_add_f32_e32 v134, v149, v146
	v_dual_add_f32 v20, v145, v20 :: v_dual_sub_f32 v145, v134, v149
	s_delay_alu instid0(VALU_DEP_1) | instskip(NEXT) | instid1(VALU_DEP_1)
	v_add_f32_e32 v20, v150, v20
	v_dual_sub_f32 v145, v146, v145 :: v_dual_mul_f32 v20, v131, v20
	s_delay_alu instid0(VALU_DEP_1) | instskip(NEXT) | instid1(VALU_DEP_1)
	v_add_f32_e32 v20, v145, v20
	v_add_f32_e32 v131, v134, v20
	s_delay_alu instid0(VALU_DEP_1) | instskip(NEXT) | instid1(VALU_DEP_1)
	v_mul_f32_e32 v145, v131, v131
	v_fmaak_f32 v146, s24, v145, 0x3ecc95a3
	v_mul_f32_e32 v147, v131, v145
	v_cmp_gt_f32_e64 s24, 0x33800000, |v21|
	s_delay_alu instid0(VALU_DEP_3) | instskip(SKIP_2) | instid1(VALU_DEP_4)
	v_fmaak_f32 v145, v145, v146, 0x3f2aaada
	v_ldexp_f32 v146, v131, 1
	v_sub_f32_e32 v131, v131, v134
	s_or_b32 vcc_lo, vcc_lo, s24
	s_delay_alu instid0(VALU_DEP_3) | instskip(SKIP_1) | instid1(VALU_DEP_3)
	v_mul_f32_e32 v145, v147, v145
	v_mul_f32_e32 v147, 0x3f317218, v19
	v_sub_f32_e32 v20, v20, v131
	s_delay_alu instid0(VALU_DEP_3) | instskip(NEXT) | instid1(VALU_DEP_2)
	v_add_f32_e32 v134, v146, v145
	v_ldexp_f32 v20, v20, 1
	s_delay_alu instid0(VALU_DEP_2) | instskip(SKIP_1) | instid1(VALU_DEP_2)
	v_sub_f32_e32 v131, v134, v146
	v_fma_f32 v146, 0x3f317218, v19, -v147
	v_sub_f32_e32 v131, v145, v131
	s_delay_alu instid0(VALU_DEP_1) | instskip(NEXT) | instid1(VALU_DEP_1)
	v_dual_fmamk_f32 v19, v19, 0xb102e308, v146 :: v_dual_add_f32 v20, v20, v131
	v_add_f32_e32 v131, v147, v19
	s_delay_alu instid0(VALU_DEP_2) | instskip(NEXT) | instid1(VALU_DEP_2)
	v_add_f32_e32 v145, v134, v20
	v_sub_f32_e32 v147, v131, v147
	s_delay_alu instid0(VALU_DEP_2) | instskip(NEXT) | instid1(VALU_DEP_2)
	v_add_f32_e32 v146, v131, v145
	v_dual_sub_f32 v19, v19, v147 :: v_dual_sub_f32 v134, v145, v134
	s_delay_alu instid0(VALU_DEP_2) | instskip(NEXT) | instid1(VALU_DEP_1)
	v_sub_f32_e32 v148, v146, v131
	v_dual_sub_f32 v20, v20, v134 :: v_dual_sub_f32 v149, v146, v148
	v_sub_f32_e32 v134, v145, v148
	s_delay_alu instid0(VALU_DEP_2) | instskip(NEXT) | instid1(VALU_DEP_3)
	v_add_f32_e32 v145, v19, v20
	v_sub_f32_e32 v131, v131, v149
	s_delay_alu instid0(VALU_DEP_1) | instskip(NEXT) | instid1(VALU_DEP_3)
	v_add_f32_e32 v131, v134, v131
	v_sub_f32_e32 v134, v145, v19
	s_delay_alu instid0(VALU_DEP_2) | instskip(NEXT) | instid1(VALU_DEP_2)
	v_add_f32_e32 v131, v145, v131
	v_sub_f32_e32 v145, v145, v134
	s_delay_alu instid0(VALU_DEP_2) | instskip(NEXT) | instid1(VALU_DEP_2)
	v_dual_sub_f32 v20, v20, v134 :: v_dual_add_f32 v147, v146, v131
	v_sub_f32_e32 v19, v19, v145
	s_delay_alu instid0(VALU_DEP_1) | instskip(NEXT) | instid1(VALU_DEP_1)
	v_dual_sub_f32 v134, v147, v146 :: v_dual_add_f32 v19, v20, v19
	v_sub_f32_e32 v20, v131, v134
	s_delay_alu instid0(VALU_DEP_1) | instskip(NEXT) | instid1(VALU_DEP_1)
	v_add_f32_e32 v19, v19, v20
	v_add_f32_e32 v19, v147, v19
	s_delay_alu instid0(VALU_DEP_1) | instskip(NEXT) | instid1(VALU_DEP_1)
	v_cndmask_b32_e32 v19, v19, v21, vcc_lo
	v_add_f32_e32 v19, v18, v19
.LBB453_89:
	s_or_b32 exec_lo, exec_lo, s22
	s_delay_alu instid0(VALU_DEP_1) | instskip(SKIP_1) | instid1(VALU_DEP_2)
	v_bfe_u32 v18, v19, 16, 1
	v_cmp_o_f32_e32 vcc_lo, v19, v19
	v_add3_u32 v18, v19, v18, 0x7fff
	s_delay_alu instid0(VALU_DEP_1) | instskip(NEXT) | instid1(VALU_DEP_1)
	v_and_b32_e32 v18, 0xffff0000, v18
	v_cndmask_b32_e32 v19, 0x7fc00000, v18, vcc_lo
	s_delay_alu instid0(VALU_DEP_1) | instskip(NEXT) | instid1(VALU_DEP_1)
	v_dual_max_f32 v18, v19, v19 :: v_dual_lshlrev_b32 v131, 16, v26
	v_max_f32_e32 v134, v131, v131
	v_cmp_u_f32_e32 vcc_lo, v19, v19
	v_cmp_u_f32_e64 s22, v131, v131
	s_delay_alu instid0(VALU_DEP_3) | instskip(SKIP_1) | instid1(VALU_DEP_2)
	v_min_f32_e32 v20, v18, v134
	v_max_f32_e32 v18, v18, v134
	v_cndmask_b32_e32 v20, v20, v19, vcc_lo
	s_delay_alu instid0(VALU_DEP_2) | instskip(NEXT) | instid1(VALU_DEP_2)
	v_cndmask_b32_e32 v18, v18, v19, vcc_lo
	v_cndmask_b32_e64 v20, v20, v131, s22
	s_delay_alu instid0(VALU_DEP_2) | instskip(NEXT) | instid1(VALU_DEP_2)
	v_cndmask_b32_e64 v18, v18, v131, s22
	v_cmp_class_f32_e64 s24, v20, 0x1f8
	s_delay_alu instid0(VALU_DEP_2) | instskip(NEXT) | instid1(VALU_DEP_2)
	v_cmp_neq_f32_e32 vcc_lo, v20, v18
	s_or_b32 s25, vcc_lo, s24
	s_delay_alu instid0(SALU_CYCLE_1)
	s_and_saveexec_b32 s24, s25
	s_cbranch_execz .LBB453_91
; %bb.90:
	v_sub_f32_e32 v19, v20, v18
	s_mov_b32 s25, 0x3e9b6dac
	s_delay_alu instid0(VALU_DEP_1) | instskip(SKIP_1) | instid1(VALU_DEP_2)
	v_mul_f32_e32 v20, 0x3fb8aa3b, v19
	v_cmp_ngt_f32_e32 vcc_lo, 0xc2ce8ed0, v19
	v_fma_f32 v21, 0x3fb8aa3b, v19, -v20
	v_rndne_f32_e32 v145, v20
	s_delay_alu instid0(VALU_DEP_1) | instskip(NEXT) | instid1(VALU_DEP_1)
	v_dual_fmamk_f32 v21, v19, 0x32a5705f, v21 :: v_dual_sub_f32 v20, v20, v145
	v_add_f32_e32 v20, v20, v21
	v_cvt_i32_f32_e32 v21, v145
	s_delay_alu instid0(VALU_DEP_2) | instskip(SKIP_2) | instid1(VALU_DEP_1)
	v_exp_f32_e32 v20, v20
	s_waitcnt_depctr 0xfff
	v_ldexp_f32 v20, v20, v21
	v_cndmask_b32_e32 v20, 0, v20, vcc_lo
	v_cmp_nlt_f32_e32 vcc_lo, 0x42b17218, v19
	s_delay_alu instid0(VALU_DEP_2) | instskip(NEXT) | instid1(VALU_DEP_1)
	v_cndmask_b32_e32 v21, 0x7f800000, v20, vcc_lo
	v_add_f32_e32 v145, 1.0, v21
	s_delay_alu instid0(VALU_DEP_1) | instskip(NEXT) | instid1(VALU_DEP_1)
	v_cvt_f64_f32_e32 v[19:20], v145
	v_frexp_exp_i32_f64_e32 v19, v[19:20]
	v_frexp_mant_f32_e32 v20, v145
	s_delay_alu instid0(VALU_DEP_1) | instskip(SKIP_1) | instid1(VALU_DEP_1)
	v_cmp_gt_f32_e32 vcc_lo, 0x3f2aaaab, v20
	v_add_f32_e32 v20, -1.0, v145
	v_dual_sub_f32 v147, v20, v145 :: v_dual_sub_f32 v20, v21, v20
	s_delay_alu instid0(VALU_DEP_1) | instskip(SKIP_2) | instid1(VALU_DEP_2)
	v_add_f32_e32 v147, 1.0, v147
	v_subrev_co_ci_u32_e32 v19, vcc_lo, 0, v19, vcc_lo
	v_cmp_eq_f32_e32 vcc_lo, 0x7f800000, v21
	v_sub_nc_u32_e32 v146, 0, v19
	v_cvt_f32_i32_e32 v19, v19
	s_delay_alu instid0(VALU_DEP_2) | instskip(NEXT) | instid1(VALU_DEP_1)
	v_ldexp_f32 v145, v145, v146
	v_add_f32_e32 v148, 1.0, v145
	s_delay_alu instid0(VALU_DEP_1) | instskip(NEXT) | instid1(VALU_DEP_1)
	v_dual_add_f32 v20, v20, v147 :: v_dual_add_f32 v147, -1.0, v148
	v_ldexp_f32 v20, v20, v146
	s_delay_alu instid0(VALU_DEP_2) | instskip(NEXT) | instid1(VALU_DEP_1)
	v_dual_sub_f32 v147, v145, v147 :: v_dual_add_f32 v146, -1.0, v145
	v_add_f32_e32 v147, v20, v147
	s_delay_alu instid0(VALU_DEP_2) | instskip(NEXT) | instid1(VALU_DEP_1)
	v_add_f32_e32 v149, 1.0, v146
	v_sub_f32_e32 v145, v145, v149
	s_delay_alu instid0(VALU_DEP_1) | instskip(NEXT) | instid1(VALU_DEP_1)
	v_add_f32_e32 v20, v20, v145
	v_dual_add_f32 v150, v146, v20 :: v_dual_add_f32 v149, v148, v147
	s_delay_alu instid0(VALU_DEP_1) | instskip(NEXT) | instid1(VALU_DEP_2)
	v_sub_f32_e32 v146, v146, v150
	v_rcp_f32_e32 v145, v149
	v_sub_f32_e32 v148, v148, v149
	s_delay_alu instid0(VALU_DEP_1) | instskip(SKIP_2) | instid1(VALU_DEP_1)
	v_dual_add_f32 v20, v20, v146 :: v_dual_add_f32 v147, v147, v148
	s_waitcnt_depctr 0xfff
	v_mul_f32_e32 v151, v150, v145
	v_mul_f32_e32 v160, v149, v151
	s_delay_alu instid0(VALU_DEP_1) | instskip(NEXT) | instid1(VALU_DEP_1)
	v_fma_f32 v148, v151, v149, -v160
	v_fmac_f32_e32 v148, v151, v147
	s_delay_alu instid0(VALU_DEP_1) | instskip(NEXT) | instid1(VALU_DEP_1)
	v_add_f32_e32 v161, v160, v148
	v_sub_f32_e32 v162, v150, v161
	s_delay_alu instid0(VALU_DEP_1) | instskip(SKIP_1) | instid1(VALU_DEP_2)
	v_sub_f32_e32 v150, v150, v162
	v_sub_f32_e32 v146, v161, v160
	;; [unrolled: 1-line block ×3, first 2 shown]
	s_delay_alu instid0(VALU_DEP_2) | instskip(NEXT) | instid1(VALU_DEP_2)
	v_sub_f32_e32 v146, v146, v148
	v_add_f32_e32 v20, v20, v150
	s_delay_alu instid0(VALU_DEP_1) | instskip(NEXT) | instid1(VALU_DEP_1)
	v_add_f32_e32 v20, v146, v20
	v_add_f32_e32 v146, v162, v20
	s_delay_alu instid0(VALU_DEP_1) | instskip(NEXT) | instid1(VALU_DEP_1)
	v_mul_f32_e32 v148, v145, v146
	v_dual_sub_f32 v161, v162, v146 :: v_dual_mul_f32 v150, v149, v148
	s_delay_alu instid0(VALU_DEP_1) | instskip(NEXT) | instid1(VALU_DEP_2)
	v_add_f32_e32 v20, v20, v161
	v_fma_f32 v149, v148, v149, -v150
	s_delay_alu instid0(VALU_DEP_1) | instskip(NEXT) | instid1(VALU_DEP_1)
	v_fmac_f32_e32 v149, v148, v147
	v_add_f32_e32 v147, v150, v149
	s_delay_alu instid0(VALU_DEP_1) | instskip(SKIP_1) | instid1(VALU_DEP_2)
	v_sub_f32_e32 v160, v146, v147
	v_sub_f32_e32 v150, v147, v150
	v_sub_f32_e32 v146, v146, v160
	s_delay_alu instid0(VALU_DEP_1) | instskip(NEXT) | instid1(VALU_DEP_1)
	v_sub_f32_e32 v146, v146, v147
	v_dual_sub_f32 v147, v150, v149 :: v_dual_add_f32 v20, v20, v146
	v_add_f32_e32 v146, v151, v148
	s_delay_alu instid0(VALU_DEP_1) | instskip(NEXT) | instid1(VALU_DEP_1)
	v_dual_add_f32 v20, v147, v20 :: v_dual_sub_f32 v147, v146, v151
	v_add_f32_e32 v20, v160, v20
	s_delay_alu instid0(VALU_DEP_1) | instskip(NEXT) | instid1(VALU_DEP_1)
	v_dual_sub_f32 v147, v148, v147 :: v_dual_mul_f32 v20, v145, v20
	v_add_f32_e32 v20, v147, v20
	s_delay_alu instid0(VALU_DEP_1) | instskip(NEXT) | instid1(VALU_DEP_1)
	v_add_f32_e32 v145, v146, v20
	v_mul_f32_e32 v147, v145, v145
	s_delay_alu instid0(VALU_DEP_1) | instskip(SKIP_2) | instid1(VALU_DEP_3)
	v_fmaak_f32 v148, s25, v147, 0x3ecc95a3
	v_mul_f32_e32 v149, v145, v147
	v_cmp_gt_f32_e64 s25, 0x33800000, |v21|
	v_fmaak_f32 v147, v147, v148, 0x3f2aaada
	v_ldexp_f32 v148, v145, 1
	v_sub_f32_e32 v145, v145, v146
	s_delay_alu instid0(VALU_DEP_4) | instskip(NEXT) | instid1(VALU_DEP_3)
	s_or_b32 vcc_lo, vcc_lo, s25
	v_mul_f32_e32 v147, v149, v147
	s_delay_alu instid0(VALU_DEP_2) | instskip(NEXT) | instid1(VALU_DEP_2)
	v_dual_mul_f32 v149, 0x3f317218, v19 :: v_dual_sub_f32 v20, v20, v145
	v_add_f32_e32 v146, v148, v147
	s_delay_alu instid0(VALU_DEP_2) | instskip(NEXT) | instid1(VALU_DEP_2)
	v_ldexp_f32 v20, v20, 1
	v_sub_f32_e32 v145, v146, v148
	s_delay_alu instid0(VALU_DEP_4) | instskip(NEXT) | instid1(VALU_DEP_2)
	v_fma_f32 v148, 0x3f317218, v19, -v149
	v_sub_f32_e32 v145, v147, v145
	s_delay_alu instid0(VALU_DEP_1) | instskip(NEXT) | instid1(VALU_DEP_1)
	v_dual_fmamk_f32 v19, v19, 0xb102e308, v148 :: v_dual_add_f32 v20, v20, v145
	v_add_f32_e32 v145, v149, v19
	s_delay_alu instid0(VALU_DEP_2) | instskip(NEXT) | instid1(VALU_DEP_2)
	v_add_f32_e32 v147, v146, v20
	v_sub_f32_e32 v149, v145, v149
	s_delay_alu instid0(VALU_DEP_2) | instskip(SKIP_1) | instid1(VALU_DEP_3)
	v_add_f32_e32 v148, v145, v147
	v_sub_f32_e32 v146, v147, v146
	v_sub_f32_e32 v19, v19, v149
	s_delay_alu instid0(VALU_DEP_3) | instskip(NEXT) | instid1(VALU_DEP_3)
	v_sub_f32_e32 v150, v148, v145
	v_sub_f32_e32 v20, v20, v146
	s_delay_alu instid0(VALU_DEP_2) | instskip(SKIP_1) | instid1(VALU_DEP_3)
	v_sub_f32_e32 v151, v148, v150
	v_sub_f32_e32 v146, v147, v150
	v_add_f32_e32 v147, v19, v20
	s_delay_alu instid0(VALU_DEP_3) | instskip(NEXT) | instid1(VALU_DEP_1)
	v_sub_f32_e32 v145, v145, v151
	v_dual_add_f32 v145, v146, v145 :: v_dual_sub_f32 v146, v147, v19
	s_delay_alu instid0(VALU_DEP_1) | instskip(NEXT) | instid1(VALU_DEP_2)
	v_add_f32_e32 v145, v147, v145
	v_sub_f32_e32 v147, v147, v146
	v_sub_f32_e32 v20, v20, v146
	s_delay_alu instid0(VALU_DEP_3) | instskip(NEXT) | instid1(VALU_DEP_1)
	v_add_f32_e32 v149, v148, v145
	v_dual_sub_f32 v19, v19, v147 :: v_dual_sub_f32 v146, v149, v148
	s_delay_alu instid0(VALU_DEP_1) | instskip(NEXT) | instid1(VALU_DEP_1)
	v_dual_add_f32 v19, v20, v19 :: v_dual_sub_f32 v20, v145, v146
	v_add_f32_e32 v19, v19, v20
	s_delay_alu instid0(VALU_DEP_1) | instskip(NEXT) | instid1(VALU_DEP_1)
	v_add_f32_e32 v19, v149, v19
	v_cndmask_b32_e32 v19, v19, v21, vcc_lo
	s_delay_alu instid0(VALU_DEP_1)
	v_add_f32_e32 v19, v18, v19
.LBB453_91:
	s_or_b32 exec_lo, exec_lo, s24
	s_delay_alu instid0(VALU_DEP_1) | instskip(SKIP_2) | instid1(VALU_DEP_3)
	v_bfe_u32 v18, v19, 16, 1
	v_lshrrev_b32_e32 v20, 5, v0
	v_cmp_o_f32_e32 vcc_lo, v19, v19
	v_add3_u32 v18, v19, v18, 0x7fff
	s_delay_alu instid0(VALU_DEP_3) | instskip(NEXT) | instid1(VALU_DEP_2)
	v_add_lshl_u32 v20, v20, v0, 1
	v_lshrrev_b32_e32 v18, 16, v18
	s_delay_alu instid0(VALU_DEP_1)
	v_cndmask_b32_e32 v145, 0x7fc0, v18, vcc_lo
	v_cmp_gt_u32_e32 vcc_lo, 32, v0
	ds_store_b16 v20, v145
	s_waitcnt lgkmcnt(0)
	s_barrier
	buffer_gl0_inv
	s_and_saveexec_b32 s26, vcc_lo
	s_cbranch_execz .LBB453_119
; %bb.92:
	v_lshrrev_b32_e32 v18, 3, v0
	s_delay_alu instid0(VALU_DEP_1) | instskip(NEXT) | instid1(VALU_DEP_1)
	v_and_b32_e32 v18, 0x7e, v18
	v_lshl_or_b32 v18, v0, 2, v18
	ds_load_u16 v19, v18 offset:2
	ds_load_u16 v20, v18
	s_waitcnt lgkmcnt(1)
	v_lshlrev_b32_e32 v21, 16, v19
	s_waitcnt lgkmcnt(0)
	s_delay_alu instid0(VALU_DEP_1) | instskip(NEXT) | instid1(VALU_DEP_1)
	v_dual_max_f32 v146, v21, v21 :: v_dual_lshlrev_b32 v19, 16, v20
	v_max_f32_e32 v20, v19, v19
	v_cmp_u_f32_e64 s24, v19, v19
	s_delay_alu instid0(VALU_DEP_2) | instskip(SKIP_2) | instid1(VALU_DEP_3)
	v_min_f32_e32 v147, v20, v146
	v_max_f32_e32 v146, v20, v146
	v_cmp_u_f32_e64 s25, v21, v21
	v_cndmask_b32_e64 v147, v147, v19, s24
	s_delay_alu instid0(VALU_DEP_3) | instskip(NEXT) | instid1(VALU_DEP_2)
	v_cndmask_b32_e64 v146, v146, v19, s24
	v_cndmask_b32_e64 v147, v147, v21, s25
	s_delay_alu instid0(VALU_DEP_2) | instskip(SKIP_1) | instid1(VALU_DEP_3)
	v_cndmask_b32_e64 v21, v146, v21, s25
	v_mov_b32_e32 v146, v19
	v_cmp_class_f32_e64 s27, v147, 0x1f8
	s_delay_alu instid0(VALU_DEP_3) | instskip(NEXT) | instid1(VALU_DEP_1)
	v_cmp_neq_f32_e64 s25, v147, v21
	s_or_b32 s25, s25, s27
	s_delay_alu instid0(SALU_CYCLE_1)
	s_and_saveexec_b32 s27, s25
	s_cbranch_execz .LBB453_94
; %bb.93:
	v_sub_f32_e32 v146, v147, v21
	s_delay_alu instid0(VALU_DEP_1) | instskip(SKIP_1) | instid1(VALU_DEP_2)
	v_mul_f32_e32 v147, 0x3fb8aa3b, v146
	v_cmp_ngt_f32_e64 s25, 0xc2ce8ed0, v146
	v_fma_f32 v148, 0x3fb8aa3b, v146, -v147
	v_rndne_f32_e32 v149, v147
	s_delay_alu instid0(VALU_DEP_1) | instskip(NEXT) | instid1(VALU_DEP_1)
	v_dual_fmamk_f32 v148, v146, 0x32a5705f, v148 :: v_dual_sub_f32 v147, v147, v149
	v_add_f32_e32 v147, v147, v148
	v_cvt_i32_f32_e32 v148, v149
	s_delay_alu instid0(VALU_DEP_2) | instskip(SKIP_2) | instid1(VALU_DEP_1)
	v_exp_f32_e32 v147, v147
	s_waitcnt_depctr 0xfff
	v_ldexp_f32 v147, v147, v148
	v_cndmask_b32_e64 v147, 0, v147, s25
	v_cmp_nlt_f32_e64 s25, 0x42b17218, v146
	s_delay_alu instid0(VALU_DEP_1) | instskip(NEXT) | instid1(VALU_DEP_1)
	v_cndmask_b32_e64 v148, 0x7f800000, v147, s25
	v_add_f32_e32 v149, 1.0, v148
	v_cmp_gt_f32_e64 vcc_hi, 0x33800000, |v148|
	s_delay_alu instid0(VALU_DEP_2) | instskip(NEXT) | instid1(VALU_DEP_1)
	v_cvt_f64_f32_e32 v[146:147], v149
	v_frexp_exp_i32_f64_e32 v146, v[146:147]
	v_frexp_mant_f32_e32 v147, v149
	s_delay_alu instid0(VALU_DEP_1) | instskip(SKIP_1) | instid1(VALU_DEP_1)
	v_cmp_gt_f32_e64 s25, 0x3f2aaaab, v147
	v_add_f32_e32 v147, -1.0, v149
	v_sub_f32_e32 v151, v147, v149
	v_sub_f32_e32 v147, v148, v147
	s_delay_alu instid0(VALU_DEP_4) | instskip(SKIP_1) | instid1(VALU_DEP_1)
	v_subrev_co_ci_u32_e64 v146, s25, 0, v146, s25
	s_mov_b32 s25, 0x3e9b6dac
	v_sub_nc_u32_e32 v150, 0, v146
	v_cvt_f32_i32_e32 v146, v146
	s_delay_alu instid0(VALU_DEP_2) | instskip(NEXT) | instid1(VALU_DEP_1)
	v_ldexp_f32 v149, v149, v150
	v_dual_add_f32 v160, 1.0, v149 :: v_dual_add_f32 v151, 1.0, v151
	s_delay_alu instid0(VALU_DEP_1) | instskip(NEXT) | instid1(VALU_DEP_2)
	v_add_f32_e32 v147, v147, v151
	v_add_f32_e32 v151, -1.0, v160
	s_delay_alu instid0(VALU_DEP_2) | instskip(NEXT) | instid1(VALU_DEP_2)
	v_ldexp_f32 v147, v147, v150
	v_dual_add_f32 v150, -1.0, v149 :: v_dual_sub_f32 v151, v149, v151
	s_delay_alu instid0(VALU_DEP_1) | instskip(NEXT) | instid1(VALU_DEP_2)
	v_add_f32_e32 v161, 1.0, v150
	v_add_f32_e32 v151, v147, v151
	s_delay_alu instid0(VALU_DEP_2) | instskip(NEXT) | instid1(VALU_DEP_2)
	v_sub_f32_e32 v149, v149, v161
	v_add_f32_e32 v161, v160, v151
	s_delay_alu instid0(VALU_DEP_2) | instskip(NEXT) | instid1(VALU_DEP_2)
	v_add_f32_e32 v147, v147, v149
	v_rcp_f32_e32 v149, v161
	v_sub_f32_e32 v160, v160, v161
	s_delay_alu instid0(VALU_DEP_1) | instskip(NEXT) | instid1(VALU_DEP_1)
	v_dual_add_f32 v162, v150, v147 :: v_dual_add_f32 v151, v151, v160
	v_sub_f32_e32 v150, v150, v162
	s_waitcnt_depctr 0xfff
	v_mul_f32_e32 v163, v162, v149
	s_delay_alu instid0(VALU_DEP_1) | instskip(NEXT) | instid1(VALU_DEP_1)
	v_dual_add_f32 v147, v147, v150 :: v_dual_mul_f32 v164, v161, v163
	v_fma_f32 v160, v163, v161, -v164
	s_delay_alu instid0(VALU_DEP_1) | instskip(NEXT) | instid1(VALU_DEP_1)
	v_fmac_f32_e32 v160, v163, v151
	v_add_f32_e32 v165, v164, v160
	s_delay_alu instid0(VALU_DEP_1) | instskip(SKIP_1) | instid1(VALU_DEP_2)
	v_sub_f32_e32 v166, v162, v165
	v_sub_f32_e32 v150, v165, v164
	;; [unrolled: 1-line block ×3, first 2 shown]
	s_delay_alu instid0(VALU_DEP_2) | instskip(NEXT) | instid1(VALU_DEP_2)
	v_sub_f32_e32 v150, v150, v160
	v_sub_f32_e32 v162, v162, v165
	s_delay_alu instid0(VALU_DEP_1) | instskip(NEXT) | instid1(VALU_DEP_1)
	v_add_f32_e32 v147, v147, v162
	v_add_f32_e32 v147, v150, v147
	s_delay_alu instid0(VALU_DEP_1) | instskip(NEXT) | instid1(VALU_DEP_1)
	v_add_f32_e32 v150, v166, v147
	v_mul_f32_e32 v160, v149, v150
	s_delay_alu instid0(VALU_DEP_1) | instskip(NEXT) | instid1(VALU_DEP_1)
	v_dual_sub_f32 v165, v166, v150 :: v_dual_mul_f32 v162, v161, v160
	v_add_f32_e32 v147, v147, v165
	s_delay_alu instid0(VALU_DEP_2) | instskip(NEXT) | instid1(VALU_DEP_1)
	v_fma_f32 v161, v160, v161, -v162
	v_fmac_f32_e32 v161, v160, v151
	s_delay_alu instid0(VALU_DEP_1) | instskip(NEXT) | instid1(VALU_DEP_1)
	v_add_f32_e32 v151, v162, v161
	v_sub_f32_e32 v164, v150, v151
	v_sub_f32_e32 v162, v151, v162
	s_delay_alu instid0(VALU_DEP_2) | instskip(NEXT) | instid1(VALU_DEP_1)
	v_sub_f32_e32 v150, v150, v164
	v_sub_f32_e32 v150, v150, v151
	s_delay_alu instid0(VALU_DEP_3) | instskip(NEXT) | instid1(VALU_DEP_2)
	v_sub_f32_e32 v151, v162, v161
	v_add_f32_e32 v147, v147, v150
	v_add_f32_e32 v150, v163, v160
	s_delay_alu instid0(VALU_DEP_2) | instskip(NEXT) | instid1(VALU_DEP_2)
	v_add_f32_e32 v147, v151, v147
	v_sub_f32_e32 v151, v150, v163
	s_delay_alu instid0(VALU_DEP_2) | instskip(NEXT) | instid1(VALU_DEP_2)
	v_add_f32_e32 v147, v164, v147
	v_sub_f32_e32 v151, v160, v151
	s_delay_alu instid0(VALU_DEP_2) | instskip(NEXT) | instid1(VALU_DEP_1)
	v_mul_f32_e32 v147, v149, v147
	v_add_f32_e32 v147, v151, v147
	s_delay_alu instid0(VALU_DEP_1) | instskip(NEXT) | instid1(VALU_DEP_1)
	v_add_f32_e32 v149, v150, v147
	v_mul_f32_e32 v151, v149, v149
	s_delay_alu instid0(VALU_DEP_1) | instskip(SKIP_2) | instid1(VALU_DEP_3)
	v_fmaak_f32 v160, s25, v151, 0x3ecc95a3
	v_mul_f32_e32 v161, v149, v151
	v_cmp_eq_f32_e64 s25, 0x7f800000, v148
	v_fmaak_f32 v151, v151, v160, 0x3f2aaada
	v_ldexp_f32 v160, v149, 1
	v_sub_f32_e32 v149, v149, v150
	s_delay_alu instid0(VALU_DEP_4) | instskip(NEXT) | instid1(VALU_DEP_3)
	s_or_b32 s25, s25, vcc_hi
	v_mul_f32_e32 v151, v161, v151
	v_mul_f32_e32 v161, 0x3f317218, v146
	s_delay_alu instid0(VALU_DEP_2) | instskip(NEXT) | instid1(VALU_DEP_1)
	v_dual_sub_f32 v147, v147, v149 :: v_dual_add_f32 v150, v160, v151
	v_ldexp_f32 v147, v147, 1
	s_delay_alu instid0(VALU_DEP_2) | instskip(NEXT) | instid1(VALU_DEP_4)
	v_sub_f32_e32 v149, v150, v160
	v_fma_f32 v160, 0x3f317218, v146, -v161
	s_delay_alu instid0(VALU_DEP_1) | instskip(NEXT) | instid1(VALU_DEP_1)
	v_dual_sub_f32 v149, v151, v149 :: v_dual_fmamk_f32 v146, v146, 0xb102e308, v160
	v_add_f32_e32 v147, v147, v149
	s_delay_alu instid0(VALU_DEP_2) | instskip(NEXT) | instid1(VALU_DEP_2)
	v_add_f32_e32 v149, v161, v146
	v_add_f32_e32 v151, v150, v147
	s_delay_alu instid0(VALU_DEP_2) | instskip(NEXT) | instid1(VALU_DEP_2)
	v_sub_f32_e32 v161, v149, v161
	v_add_f32_e32 v160, v149, v151
	v_sub_f32_e32 v150, v151, v150
	s_delay_alu instid0(VALU_DEP_3) | instskip(NEXT) | instid1(VALU_DEP_2)
	v_sub_f32_e32 v146, v146, v161
	v_dual_sub_f32 v162, v160, v149 :: v_dual_sub_f32 v147, v147, v150
	s_delay_alu instid0(VALU_DEP_1) | instskip(NEXT) | instid1(VALU_DEP_2)
	v_sub_f32_e32 v163, v160, v162
	v_dual_sub_f32 v150, v151, v162 :: v_dual_add_f32 v151, v146, v147
	s_delay_alu instid0(VALU_DEP_2) | instskip(NEXT) | instid1(VALU_DEP_1)
	v_sub_f32_e32 v149, v149, v163
	v_dual_add_f32 v149, v150, v149 :: v_dual_sub_f32 v150, v151, v146
	s_delay_alu instid0(VALU_DEP_1) | instskip(NEXT) | instid1(VALU_DEP_2)
	v_add_f32_e32 v149, v151, v149
	v_sub_f32_e32 v151, v151, v150
	v_sub_f32_e32 v147, v147, v150
	s_delay_alu instid0(VALU_DEP_2) | instskip(NEXT) | instid1(VALU_DEP_1)
	v_dual_add_f32 v161, v160, v149 :: v_dual_sub_f32 v146, v146, v151
	v_sub_f32_e32 v150, v161, v160
	s_delay_alu instid0(VALU_DEP_2) | instskip(NEXT) | instid1(VALU_DEP_2)
	v_add_f32_e32 v146, v147, v146
	v_sub_f32_e32 v147, v149, v150
	s_delay_alu instid0(VALU_DEP_1) | instskip(NEXT) | instid1(VALU_DEP_1)
	v_add_f32_e32 v146, v146, v147
	v_add_f32_e32 v146, v161, v146
	s_delay_alu instid0(VALU_DEP_1) | instskip(NEXT) | instid1(VALU_DEP_1)
	v_cndmask_b32_e64 v146, v146, v148, s25
	v_add_f32_e32 v146, v21, v146
.LBB453_94:
	s_or_b32 exec_lo, exec_lo, s27
	s_delay_alu instid0(VALU_DEP_1) | instskip(SKIP_2) | instid1(VALU_DEP_2)
	v_bfe_u32 v21, v146, 16, 1
	v_cmp_o_f32_e64 s25, v146, v146
	s_mov_b32 s27, exec_lo
	v_add3_u32 v21, v146, v21, 0x7fff
	s_delay_alu instid0(VALU_DEP_1) | instskip(NEXT) | instid1(VALU_DEP_1)
	v_lshrrev_b32_e32 v21, 16, v21
	v_cndmask_b32_e64 v147, 0x7fc0, v21, s25
	v_mbcnt_lo_u32_b32 v21, -1, 0
	s_delay_alu instid0(VALU_DEP_2) | instskip(NEXT) | instid1(VALU_DEP_2)
	v_and_b32_e32 v148, 0xffff, v147
	v_and_b32_e32 v146, 15, v21
	s_delay_alu instid0(VALU_DEP_2) | instskip(NEXT) | instid1(VALU_DEP_2)
	v_mov_b32_dpp v149, v148 row_shr:1 row_mask:0xf bank_mask:0xf
	v_cmpx_ne_u32_e32 0, v146
	s_cbranch_execz .LBB453_98
; %bb.95:
	v_lshlrev_b32_e32 v147, 16, v148
	s_delay_alu instid0(VALU_DEP_1) | instskip(NEXT) | instid1(VALU_DEP_1)
	v_dual_max_f32 v149, v147, v147 :: v_dual_lshlrev_b32 v148, 16, v149
	v_max_f32_e32 v150, v148, v148
	v_cmp_u_f32_e64 s25, v148, v148
	s_delay_alu instid0(VALU_DEP_2) | instskip(SKIP_1) | instid1(VALU_DEP_2)
	v_min_f32_e32 v151, v150, v149
	v_max_f32_e32 v149, v150, v149
	v_cndmask_b32_e64 v150, v151, v148, s25
	s_delay_alu instid0(VALU_DEP_2) | instskip(SKIP_1) | instid1(VALU_DEP_1)
	v_cndmask_b32_e64 v151, v149, v148, s25
	v_cmp_u_f32_e64 s25, v147, v147
	v_cndmask_b32_e64 v149, v150, v147, s25
	s_delay_alu instid0(VALU_DEP_3) | instskip(NEXT) | instid1(VALU_DEP_2)
	v_cndmask_b32_e64 v147, v151, v147, s25
	v_cmp_class_f32_e64 vcc_hi, v149, 0x1f8
	s_delay_alu instid0(VALU_DEP_2) | instskip(NEXT) | instid1(VALU_DEP_1)
	v_cmp_neq_f32_e64 s25, v149, v147
	s_or_b32 s25, s25, vcc_hi
	s_delay_alu instid0(SALU_CYCLE_1)
	s_and_saveexec_b32 vcc_hi, s25
	s_cbranch_execz .LBB453_97
; %bb.96:
	v_sub_f32_e32 v148, v149, v147
	s_delay_alu instid0(VALU_DEP_1) | instskip(SKIP_1) | instid1(VALU_DEP_2)
	v_mul_f32_e32 v149, 0x3fb8aa3b, v148
	v_cmp_ngt_f32_e64 s25, 0xc2ce8ed0, v148
	v_fma_f32 v150, 0x3fb8aa3b, v148, -v149
	v_rndne_f32_e32 v151, v149
	s_delay_alu instid0(VALU_DEP_1) | instskip(NEXT) | instid1(VALU_DEP_1)
	v_dual_fmamk_f32 v150, v148, 0x32a5705f, v150 :: v_dual_sub_f32 v149, v149, v151
	v_add_f32_e32 v149, v149, v150
	v_cvt_i32_f32_e32 v150, v151
	s_delay_alu instid0(VALU_DEP_2) | instskip(SKIP_2) | instid1(VALU_DEP_1)
	v_exp_f32_e32 v149, v149
	s_waitcnt_depctr 0xfff
	v_ldexp_f32 v149, v149, v150
	v_cndmask_b32_e64 v149, 0, v149, s25
	v_cmp_nlt_f32_e64 s25, 0x42b17218, v148
	s_delay_alu instid0(VALU_DEP_1) | instskip(NEXT) | instid1(VALU_DEP_1)
	v_cndmask_b32_e64 v150, 0x7f800000, v149, s25
	v_add_f32_e32 v151, 1.0, v150
	v_cmp_gt_f32_e64 s30, 0x33800000, |v150|
	s_delay_alu instid0(VALU_DEP_2) | instskip(NEXT) | instid1(VALU_DEP_1)
	v_cvt_f64_f32_e32 v[148:149], v151
	v_frexp_exp_i32_f64_e32 v148, v[148:149]
	v_frexp_mant_f32_e32 v149, v151
	s_delay_alu instid0(VALU_DEP_1) | instskip(SKIP_1) | instid1(VALU_DEP_1)
	v_cmp_gt_f32_e64 s25, 0x3f2aaaab, v149
	v_add_f32_e32 v149, -1.0, v151
	v_sub_f32_e32 v161, v149, v151
	v_sub_f32_e32 v149, v150, v149
	s_delay_alu instid0(VALU_DEP_4) | instskip(SKIP_1) | instid1(VALU_DEP_1)
	v_subrev_co_ci_u32_e64 v148, s25, 0, v148, s25
	s_mov_b32 s25, 0x3e9b6dac
	v_sub_nc_u32_e32 v160, 0, v148
	v_cvt_f32_i32_e32 v148, v148
	s_delay_alu instid0(VALU_DEP_2) | instskip(NEXT) | instid1(VALU_DEP_1)
	v_ldexp_f32 v151, v151, v160
	v_dual_add_f32 v162, 1.0, v151 :: v_dual_add_f32 v161, 1.0, v161
	s_delay_alu instid0(VALU_DEP_1) | instskip(NEXT) | instid1(VALU_DEP_2)
	v_add_f32_e32 v149, v149, v161
	v_add_f32_e32 v161, -1.0, v162
	s_delay_alu instid0(VALU_DEP_2) | instskip(NEXT) | instid1(VALU_DEP_2)
	v_ldexp_f32 v149, v149, v160
	v_dual_add_f32 v160, -1.0, v151 :: v_dual_sub_f32 v161, v151, v161
	s_delay_alu instid0(VALU_DEP_1) | instskip(NEXT) | instid1(VALU_DEP_2)
	v_add_f32_e32 v163, 1.0, v160
	v_add_f32_e32 v161, v149, v161
	s_delay_alu instid0(VALU_DEP_2) | instskip(NEXT) | instid1(VALU_DEP_2)
	v_sub_f32_e32 v151, v151, v163
	v_add_f32_e32 v163, v162, v161
	s_delay_alu instid0(VALU_DEP_2) | instskip(NEXT) | instid1(VALU_DEP_2)
	v_add_f32_e32 v149, v149, v151
	v_rcp_f32_e32 v151, v163
	v_sub_f32_e32 v162, v162, v163
	s_delay_alu instid0(VALU_DEP_1) | instskip(NEXT) | instid1(VALU_DEP_1)
	v_dual_add_f32 v164, v160, v149 :: v_dual_add_f32 v161, v161, v162
	v_sub_f32_e32 v160, v160, v164
	s_waitcnt_depctr 0xfff
	v_mul_f32_e32 v165, v164, v151
	s_delay_alu instid0(VALU_DEP_1) | instskip(NEXT) | instid1(VALU_DEP_1)
	v_dual_add_f32 v149, v149, v160 :: v_dual_mul_f32 v166, v163, v165
	v_fma_f32 v162, v165, v163, -v166
	s_delay_alu instid0(VALU_DEP_1) | instskip(NEXT) | instid1(VALU_DEP_1)
	v_fmac_f32_e32 v162, v165, v161
	v_add_f32_e32 v167, v166, v162
	s_delay_alu instid0(VALU_DEP_1) | instskip(SKIP_1) | instid1(VALU_DEP_2)
	v_sub_f32_e32 v176, v164, v167
	v_sub_f32_e32 v160, v167, v166
	v_sub_f32_e32 v164, v164, v176
	s_delay_alu instid0(VALU_DEP_2) | instskip(NEXT) | instid1(VALU_DEP_2)
	v_sub_f32_e32 v160, v160, v162
	v_sub_f32_e32 v164, v164, v167
	s_delay_alu instid0(VALU_DEP_1) | instskip(NEXT) | instid1(VALU_DEP_1)
	v_add_f32_e32 v149, v149, v164
	v_add_f32_e32 v149, v160, v149
	s_delay_alu instid0(VALU_DEP_1) | instskip(NEXT) | instid1(VALU_DEP_1)
	v_add_f32_e32 v160, v176, v149
	v_mul_f32_e32 v162, v151, v160
	s_delay_alu instid0(VALU_DEP_1) | instskip(NEXT) | instid1(VALU_DEP_1)
	v_dual_sub_f32 v167, v176, v160 :: v_dual_mul_f32 v164, v163, v162
	v_add_f32_e32 v149, v149, v167
	s_delay_alu instid0(VALU_DEP_2) | instskip(NEXT) | instid1(VALU_DEP_1)
	v_fma_f32 v163, v162, v163, -v164
	v_fmac_f32_e32 v163, v162, v161
	s_delay_alu instid0(VALU_DEP_1) | instskip(NEXT) | instid1(VALU_DEP_1)
	v_add_f32_e32 v161, v164, v163
	v_sub_f32_e32 v166, v160, v161
	v_sub_f32_e32 v164, v161, v164
	s_delay_alu instid0(VALU_DEP_2) | instskip(NEXT) | instid1(VALU_DEP_1)
	v_sub_f32_e32 v160, v160, v166
	v_sub_f32_e32 v160, v160, v161
	s_delay_alu instid0(VALU_DEP_3) | instskip(NEXT) | instid1(VALU_DEP_2)
	v_sub_f32_e32 v161, v164, v163
	v_add_f32_e32 v149, v149, v160
	v_add_f32_e32 v160, v165, v162
	s_delay_alu instid0(VALU_DEP_2) | instskip(NEXT) | instid1(VALU_DEP_2)
	v_add_f32_e32 v149, v161, v149
	v_sub_f32_e32 v161, v160, v165
	s_delay_alu instid0(VALU_DEP_2) | instskip(NEXT) | instid1(VALU_DEP_2)
	v_add_f32_e32 v149, v166, v149
	v_sub_f32_e32 v161, v162, v161
	s_delay_alu instid0(VALU_DEP_2) | instskip(NEXT) | instid1(VALU_DEP_1)
	v_mul_f32_e32 v149, v151, v149
	v_add_f32_e32 v149, v161, v149
	s_delay_alu instid0(VALU_DEP_1) | instskip(NEXT) | instid1(VALU_DEP_1)
	v_add_f32_e32 v151, v160, v149
	v_mul_f32_e32 v161, v151, v151
	s_delay_alu instid0(VALU_DEP_1) | instskip(SKIP_2) | instid1(VALU_DEP_3)
	v_fmaak_f32 v162, s25, v161, 0x3ecc95a3
	v_mul_f32_e32 v163, v151, v161
	v_cmp_eq_f32_e64 s25, 0x7f800000, v150
	v_fmaak_f32 v161, v161, v162, 0x3f2aaada
	v_ldexp_f32 v162, v151, 1
	v_sub_f32_e32 v151, v151, v160
	s_delay_alu instid0(VALU_DEP_4) | instskip(NEXT) | instid1(VALU_DEP_3)
	s_or_b32 s25, s25, s30
	v_mul_f32_e32 v161, v163, v161
	v_mul_f32_e32 v163, 0x3f317218, v148
	s_delay_alu instid0(VALU_DEP_2) | instskip(NEXT) | instid1(VALU_DEP_1)
	v_dual_sub_f32 v149, v149, v151 :: v_dual_add_f32 v160, v162, v161
	v_ldexp_f32 v149, v149, 1
	s_delay_alu instid0(VALU_DEP_2) | instskip(NEXT) | instid1(VALU_DEP_4)
	v_sub_f32_e32 v151, v160, v162
	v_fma_f32 v162, 0x3f317218, v148, -v163
	s_delay_alu instid0(VALU_DEP_1) | instskip(NEXT) | instid1(VALU_DEP_1)
	v_dual_sub_f32 v151, v161, v151 :: v_dual_fmamk_f32 v148, v148, 0xb102e308, v162
	v_add_f32_e32 v149, v149, v151
	s_delay_alu instid0(VALU_DEP_2) | instskip(NEXT) | instid1(VALU_DEP_2)
	v_add_f32_e32 v151, v163, v148
	v_add_f32_e32 v161, v160, v149
	s_delay_alu instid0(VALU_DEP_2) | instskip(NEXT) | instid1(VALU_DEP_2)
	v_sub_f32_e32 v163, v151, v163
	v_add_f32_e32 v162, v151, v161
	v_sub_f32_e32 v160, v161, v160
	s_delay_alu instid0(VALU_DEP_3) | instskip(NEXT) | instid1(VALU_DEP_2)
	v_sub_f32_e32 v148, v148, v163
	v_dual_sub_f32 v164, v162, v151 :: v_dual_sub_f32 v149, v149, v160
	s_delay_alu instid0(VALU_DEP_1) | instskip(NEXT) | instid1(VALU_DEP_2)
	v_sub_f32_e32 v165, v162, v164
	v_dual_sub_f32 v160, v161, v164 :: v_dual_add_f32 v161, v148, v149
	s_delay_alu instid0(VALU_DEP_2) | instskip(NEXT) | instid1(VALU_DEP_1)
	v_sub_f32_e32 v151, v151, v165
	v_dual_add_f32 v151, v160, v151 :: v_dual_sub_f32 v160, v161, v148
	s_delay_alu instid0(VALU_DEP_1) | instskip(NEXT) | instid1(VALU_DEP_2)
	v_add_f32_e32 v151, v161, v151
	v_sub_f32_e32 v161, v161, v160
	v_sub_f32_e32 v149, v149, v160
	s_delay_alu instid0(VALU_DEP_2) | instskip(NEXT) | instid1(VALU_DEP_1)
	v_dual_add_f32 v163, v162, v151 :: v_dual_sub_f32 v148, v148, v161
	v_sub_f32_e32 v160, v163, v162
	s_delay_alu instid0(VALU_DEP_2) | instskip(NEXT) | instid1(VALU_DEP_2)
	v_add_f32_e32 v148, v149, v148
	v_sub_f32_e32 v149, v151, v160
	s_delay_alu instid0(VALU_DEP_1) | instskip(NEXT) | instid1(VALU_DEP_1)
	v_add_f32_e32 v148, v148, v149
	v_add_f32_e32 v148, v163, v148
	s_delay_alu instid0(VALU_DEP_1) | instskip(NEXT) | instid1(VALU_DEP_1)
	v_cndmask_b32_e64 v148, v148, v150, s25
	v_add_f32_e32 v148, v147, v148
.LBB453_97:
	s_or_b32 exec_lo, exec_lo, vcc_hi
	s_delay_alu instid0(VALU_DEP_1) | instskip(SKIP_1) | instid1(VALU_DEP_2)
	v_bfe_u32 v147, v148, 16, 1
	v_cmp_o_f32_e64 s25, v148, v148
	v_add3_u32 v147, v148, v147, 0x7fff
	s_delay_alu instid0(VALU_DEP_1) | instskip(NEXT) | instid1(VALU_DEP_1)
	v_lshrrev_b32_e32 v147, 16, v147
	v_cndmask_b32_e64 v147, 0x7fc0, v147, s25
	s_delay_alu instid0(VALU_DEP_1)
	v_and_b32_e32 v148, 0xffff, v147
.LBB453_98:
	s_or_b32 exec_lo, exec_lo, s27
	s_delay_alu instid0(VALU_DEP_1)
	v_mov_b32_dpp v149, v148 row_shr:2 row_mask:0xf bank_mask:0xf
	s_mov_b32 s27, exec_lo
	v_cmpx_lt_u32_e32 1, v146
	s_cbranch_execz .LBB453_102
; %bb.99:
	v_lshlrev_b32_e32 v147, 16, v148
	s_delay_alu instid0(VALU_DEP_1) | instskip(NEXT) | instid1(VALU_DEP_1)
	v_dual_max_f32 v149, v147, v147 :: v_dual_lshlrev_b32 v148, 16, v149
	v_max_f32_e32 v150, v148, v148
	v_cmp_u_f32_e64 s25, v148, v148
	s_delay_alu instid0(VALU_DEP_2) | instskip(SKIP_1) | instid1(VALU_DEP_2)
	v_min_f32_e32 v151, v150, v149
	v_max_f32_e32 v149, v150, v149
	v_cndmask_b32_e64 v150, v151, v148, s25
	s_delay_alu instid0(VALU_DEP_2) | instskip(SKIP_1) | instid1(VALU_DEP_1)
	v_cndmask_b32_e64 v151, v149, v148, s25
	v_cmp_u_f32_e64 s25, v147, v147
	v_cndmask_b32_e64 v149, v150, v147, s25
	s_delay_alu instid0(VALU_DEP_3) | instskip(NEXT) | instid1(VALU_DEP_2)
	v_cndmask_b32_e64 v147, v151, v147, s25
	v_cmp_class_f32_e64 vcc_hi, v149, 0x1f8
	s_delay_alu instid0(VALU_DEP_2) | instskip(NEXT) | instid1(VALU_DEP_1)
	v_cmp_neq_f32_e64 s25, v149, v147
	s_or_b32 s25, s25, vcc_hi
	s_delay_alu instid0(SALU_CYCLE_1)
	s_and_saveexec_b32 vcc_hi, s25
	s_cbranch_execz .LBB453_101
; %bb.100:
	v_sub_f32_e32 v148, v149, v147
	s_delay_alu instid0(VALU_DEP_1) | instskip(SKIP_1) | instid1(VALU_DEP_2)
	v_mul_f32_e32 v149, 0x3fb8aa3b, v148
	v_cmp_ngt_f32_e64 s25, 0xc2ce8ed0, v148
	v_fma_f32 v150, 0x3fb8aa3b, v148, -v149
	v_rndne_f32_e32 v151, v149
	s_delay_alu instid0(VALU_DEP_1) | instskip(NEXT) | instid1(VALU_DEP_1)
	v_dual_fmamk_f32 v150, v148, 0x32a5705f, v150 :: v_dual_sub_f32 v149, v149, v151
	v_add_f32_e32 v149, v149, v150
	v_cvt_i32_f32_e32 v150, v151
	s_delay_alu instid0(VALU_DEP_2) | instskip(SKIP_2) | instid1(VALU_DEP_1)
	v_exp_f32_e32 v149, v149
	s_waitcnt_depctr 0xfff
	v_ldexp_f32 v149, v149, v150
	v_cndmask_b32_e64 v149, 0, v149, s25
	v_cmp_nlt_f32_e64 s25, 0x42b17218, v148
	s_delay_alu instid0(VALU_DEP_1) | instskip(NEXT) | instid1(VALU_DEP_1)
	v_cndmask_b32_e64 v150, 0x7f800000, v149, s25
	v_add_f32_e32 v151, 1.0, v150
	v_cmp_gt_f32_e64 s30, 0x33800000, |v150|
	s_delay_alu instid0(VALU_DEP_2) | instskip(NEXT) | instid1(VALU_DEP_1)
	v_cvt_f64_f32_e32 v[148:149], v151
	v_frexp_exp_i32_f64_e32 v148, v[148:149]
	v_frexp_mant_f32_e32 v149, v151
	s_delay_alu instid0(VALU_DEP_1) | instskip(SKIP_1) | instid1(VALU_DEP_1)
	v_cmp_gt_f32_e64 s25, 0x3f2aaaab, v149
	v_add_f32_e32 v149, -1.0, v151
	v_sub_f32_e32 v161, v149, v151
	v_sub_f32_e32 v149, v150, v149
	s_delay_alu instid0(VALU_DEP_4) | instskip(SKIP_1) | instid1(VALU_DEP_1)
	v_subrev_co_ci_u32_e64 v148, s25, 0, v148, s25
	s_mov_b32 s25, 0x3e9b6dac
	v_sub_nc_u32_e32 v160, 0, v148
	v_cvt_f32_i32_e32 v148, v148
	s_delay_alu instid0(VALU_DEP_2) | instskip(NEXT) | instid1(VALU_DEP_1)
	v_ldexp_f32 v151, v151, v160
	v_dual_add_f32 v162, 1.0, v151 :: v_dual_add_f32 v161, 1.0, v161
	s_delay_alu instid0(VALU_DEP_1) | instskip(NEXT) | instid1(VALU_DEP_2)
	v_add_f32_e32 v149, v149, v161
	v_add_f32_e32 v161, -1.0, v162
	s_delay_alu instid0(VALU_DEP_2) | instskip(NEXT) | instid1(VALU_DEP_2)
	v_ldexp_f32 v149, v149, v160
	v_dual_add_f32 v160, -1.0, v151 :: v_dual_sub_f32 v161, v151, v161
	s_delay_alu instid0(VALU_DEP_1) | instskip(NEXT) | instid1(VALU_DEP_2)
	v_add_f32_e32 v163, 1.0, v160
	v_add_f32_e32 v161, v149, v161
	s_delay_alu instid0(VALU_DEP_2) | instskip(NEXT) | instid1(VALU_DEP_2)
	v_sub_f32_e32 v151, v151, v163
	v_add_f32_e32 v163, v162, v161
	s_delay_alu instid0(VALU_DEP_2) | instskip(NEXT) | instid1(VALU_DEP_2)
	v_add_f32_e32 v149, v149, v151
	v_rcp_f32_e32 v151, v163
	v_sub_f32_e32 v162, v162, v163
	s_delay_alu instid0(VALU_DEP_1) | instskip(NEXT) | instid1(VALU_DEP_1)
	v_dual_add_f32 v164, v160, v149 :: v_dual_add_f32 v161, v161, v162
	v_sub_f32_e32 v160, v160, v164
	s_waitcnt_depctr 0xfff
	v_mul_f32_e32 v165, v164, v151
	s_delay_alu instid0(VALU_DEP_1) | instskip(NEXT) | instid1(VALU_DEP_1)
	v_dual_add_f32 v149, v149, v160 :: v_dual_mul_f32 v166, v163, v165
	v_fma_f32 v162, v165, v163, -v166
	s_delay_alu instid0(VALU_DEP_1) | instskip(NEXT) | instid1(VALU_DEP_1)
	v_fmac_f32_e32 v162, v165, v161
	v_add_f32_e32 v167, v166, v162
	s_delay_alu instid0(VALU_DEP_1) | instskip(SKIP_1) | instid1(VALU_DEP_2)
	v_sub_f32_e32 v176, v164, v167
	v_sub_f32_e32 v160, v167, v166
	;; [unrolled: 1-line block ×3, first 2 shown]
	s_delay_alu instid0(VALU_DEP_2) | instskip(NEXT) | instid1(VALU_DEP_2)
	v_sub_f32_e32 v160, v160, v162
	v_sub_f32_e32 v164, v164, v167
	s_delay_alu instid0(VALU_DEP_1) | instskip(NEXT) | instid1(VALU_DEP_1)
	v_add_f32_e32 v149, v149, v164
	v_add_f32_e32 v149, v160, v149
	s_delay_alu instid0(VALU_DEP_1) | instskip(NEXT) | instid1(VALU_DEP_1)
	v_add_f32_e32 v160, v176, v149
	v_mul_f32_e32 v162, v151, v160
	s_delay_alu instid0(VALU_DEP_1) | instskip(NEXT) | instid1(VALU_DEP_1)
	v_dual_sub_f32 v167, v176, v160 :: v_dual_mul_f32 v164, v163, v162
	v_add_f32_e32 v149, v149, v167
	s_delay_alu instid0(VALU_DEP_2) | instskip(NEXT) | instid1(VALU_DEP_1)
	v_fma_f32 v163, v162, v163, -v164
	v_fmac_f32_e32 v163, v162, v161
	s_delay_alu instid0(VALU_DEP_1) | instskip(NEXT) | instid1(VALU_DEP_1)
	v_add_f32_e32 v161, v164, v163
	v_sub_f32_e32 v166, v160, v161
	v_sub_f32_e32 v164, v161, v164
	s_delay_alu instid0(VALU_DEP_2) | instskip(NEXT) | instid1(VALU_DEP_1)
	v_sub_f32_e32 v160, v160, v166
	v_sub_f32_e32 v160, v160, v161
	s_delay_alu instid0(VALU_DEP_3) | instskip(NEXT) | instid1(VALU_DEP_2)
	v_sub_f32_e32 v161, v164, v163
	v_add_f32_e32 v149, v149, v160
	v_add_f32_e32 v160, v165, v162
	s_delay_alu instid0(VALU_DEP_2) | instskip(NEXT) | instid1(VALU_DEP_2)
	v_add_f32_e32 v149, v161, v149
	v_sub_f32_e32 v161, v160, v165
	s_delay_alu instid0(VALU_DEP_2) | instskip(NEXT) | instid1(VALU_DEP_2)
	v_add_f32_e32 v149, v166, v149
	v_sub_f32_e32 v161, v162, v161
	s_delay_alu instid0(VALU_DEP_2) | instskip(NEXT) | instid1(VALU_DEP_1)
	v_mul_f32_e32 v149, v151, v149
	v_add_f32_e32 v149, v161, v149
	s_delay_alu instid0(VALU_DEP_1) | instskip(NEXT) | instid1(VALU_DEP_1)
	v_add_f32_e32 v151, v160, v149
	v_mul_f32_e32 v161, v151, v151
	s_delay_alu instid0(VALU_DEP_1) | instskip(SKIP_2) | instid1(VALU_DEP_3)
	v_fmaak_f32 v162, s25, v161, 0x3ecc95a3
	v_mul_f32_e32 v163, v151, v161
	v_cmp_eq_f32_e64 s25, 0x7f800000, v150
	v_fmaak_f32 v161, v161, v162, 0x3f2aaada
	v_ldexp_f32 v162, v151, 1
	v_sub_f32_e32 v151, v151, v160
	s_delay_alu instid0(VALU_DEP_4) | instskip(NEXT) | instid1(VALU_DEP_3)
	s_or_b32 s25, s25, s30
	v_mul_f32_e32 v161, v163, v161
	v_mul_f32_e32 v163, 0x3f317218, v148
	s_delay_alu instid0(VALU_DEP_2) | instskip(NEXT) | instid1(VALU_DEP_1)
	v_dual_sub_f32 v149, v149, v151 :: v_dual_add_f32 v160, v162, v161
	v_ldexp_f32 v149, v149, 1
	s_delay_alu instid0(VALU_DEP_2) | instskip(NEXT) | instid1(VALU_DEP_4)
	v_sub_f32_e32 v151, v160, v162
	v_fma_f32 v162, 0x3f317218, v148, -v163
	s_delay_alu instid0(VALU_DEP_1) | instskip(NEXT) | instid1(VALU_DEP_1)
	v_dual_sub_f32 v151, v161, v151 :: v_dual_fmamk_f32 v148, v148, 0xb102e308, v162
	v_add_f32_e32 v149, v149, v151
	s_delay_alu instid0(VALU_DEP_2) | instskip(NEXT) | instid1(VALU_DEP_2)
	v_add_f32_e32 v151, v163, v148
	v_add_f32_e32 v161, v160, v149
	s_delay_alu instid0(VALU_DEP_2) | instskip(NEXT) | instid1(VALU_DEP_2)
	v_sub_f32_e32 v163, v151, v163
	v_add_f32_e32 v162, v151, v161
	v_sub_f32_e32 v160, v161, v160
	s_delay_alu instid0(VALU_DEP_3) | instskip(NEXT) | instid1(VALU_DEP_2)
	v_sub_f32_e32 v148, v148, v163
	v_dual_sub_f32 v164, v162, v151 :: v_dual_sub_f32 v149, v149, v160
	s_delay_alu instid0(VALU_DEP_1) | instskip(NEXT) | instid1(VALU_DEP_2)
	v_sub_f32_e32 v165, v162, v164
	v_dual_sub_f32 v160, v161, v164 :: v_dual_add_f32 v161, v148, v149
	s_delay_alu instid0(VALU_DEP_2) | instskip(NEXT) | instid1(VALU_DEP_1)
	v_sub_f32_e32 v151, v151, v165
	v_dual_add_f32 v151, v160, v151 :: v_dual_sub_f32 v160, v161, v148
	s_delay_alu instid0(VALU_DEP_1) | instskip(NEXT) | instid1(VALU_DEP_2)
	v_add_f32_e32 v151, v161, v151
	v_sub_f32_e32 v161, v161, v160
	v_sub_f32_e32 v149, v149, v160
	s_delay_alu instid0(VALU_DEP_2) | instskip(NEXT) | instid1(VALU_DEP_1)
	v_dual_add_f32 v163, v162, v151 :: v_dual_sub_f32 v148, v148, v161
	v_sub_f32_e32 v160, v163, v162
	s_delay_alu instid0(VALU_DEP_2) | instskip(NEXT) | instid1(VALU_DEP_2)
	v_add_f32_e32 v148, v149, v148
	v_sub_f32_e32 v149, v151, v160
	s_delay_alu instid0(VALU_DEP_1) | instskip(NEXT) | instid1(VALU_DEP_1)
	v_add_f32_e32 v148, v148, v149
	v_add_f32_e32 v148, v163, v148
	s_delay_alu instid0(VALU_DEP_1) | instskip(NEXT) | instid1(VALU_DEP_1)
	v_cndmask_b32_e64 v148, v148, v150, s25
	v_add_f32_e32 v148, v147, v148
.LBB453_101:
	s_or_b32 exec_lo, exec_lo, vcc_hi
	s_delay_alu instid0(VALU_DEP_1) | instskip(SKIP_1) | instid1(VALU_DEP_2)
	v_bfe_u32 v147, v148, 16, 1
	v_cmp_o_f32_e64 s25, v148, v148
	v_add3_u32 v147, v148, v147, 0x7fff
	s_delay_alu instid0(VALU_DEP_1) | instskip(NEXT) | instid1(VALU_DEP_1)
	v_lshrrev_b32_e32 v147, 16, v147
	v_cndmask_b32_e64 v147, 0x7fc0, v147, s25
	s_delay_alu instid0(VALU_DEP_1)
	v_and_b32_e32 v148, 0xffff, v147
.LBB453_102:
	s_or_b32 exec_lo, exec_lo, s27
	s_delay_alu instid0(VALU_DEP_1)
	v_mov_b32_dpp v149, v148 row_shr:4 row_mask:0xf bank_mask:0xf
	s_mov_b32 s27, exec_lo
	v_cmpx_lt_u32_e32 3, v146
	s_cbranch_execz .LBB453_106
; %bb.103:
	v_lshlrev_b32_e32 v147, 16, v148
	s_delay_alu instid0(VALU_DEP_1) | instskip(NEXT) | instid1(VALU_DEP_1)
	v_dual_max_f32 v149, v147, v147 :: v_dual_lshlrev_b32 v148, 16, v149
	v_max_f32_e32 v150, v148, v148
	v_cmp_u_f32_e64 s25, v148, v148
	s_delay_alu instid0(VALU_DEP_2) | instskip(SKIP_1) | instid1(VALU_DEP_2)
	v_min_f32_e32 v151, v150, v149
	v_max_f32_e32 v149, v150, v149
	v_cndmask_b32_e64 v150, v151, v148, s25
	s_delay_alu instid0(VALU_DEP_2) | instskip(SKIP_1) | instid1(VALU_DEP_1)
	v_cndmask_b32_e64 v151, v149, v148, s25
	v_cmp_u_f32_e64 s25, v147, v147
	v_cndmask_b32_e64 v149, v150, v147, s25
	s_delay_alu instid0(VALU_DEP_3) | instskip(NEXT) | instid1(VALU_DEP_2)
	v_cndmask_b32_e64 v147, v151, v147, s25
	v_cmp_class_f32_e64 vcc_hi, v149, 0x1f8
	s_delay_alu instid0(VALU_DEP_2) | instskip(NEXT) | instid1(VALU_DEP_1)
	v_cmp_neq_f32_e64 s25, v149, v147
	s_or_b32 s25, s25, vcc_hi
	s_delay_alu instid0(SALU_CYCLE_1)
	s_and_saveexec_b32 vcc_hi, s25
	s_cbranch_execz .LBB453_105
; %bb.104:
	v_sub_f32_e32 v148, v149, v147
	s_delay_alu instid0(VALU_DEP_1) | instskip(SKIP_1) | instid1(VALU_DEP_2)
	v_mul_f32_e32 v149, 0x3fb8aa3b, v148
	v_cmp_ngt_f32_e64 s25, 0xc2ce8ed0, v148
	v_fma_f32 v150, 0x3fb8aa3b, v148, -v149
	v_rndne_f32_e32 v151, v149
	s_delay_alu instid0(VALU_DEP_1) | instskip(NEXT) | instid1(VALU_DEP_1)
	v_dual_fmamk_f32 v150, v148, 0x32a5705f, v150 :: v_dual_sub_f32 v149, v149, v151
	v_add_f32_e32 v149, v149, v150
	v_cvt_i32_f32_e32 v150, v151
	s_delay_alu instid0(VALU_DEP_2) | instskip(SKIP_2) | instid1(VALU_DEP_1)
	v_exp_f32_e32 v149, v149
	s_waitcnt_depctr 0xfff
	v_ldexp_f32 v149, v149, v150
	v_cndmask_b32_e64 v149, 0, v149, s25
	v_cmp_nlt_f32_e64 s25, 0x42b17218, v148
	s_delay_alu instid0(VALU_DEP_1) | instskip(NEXT) | instid1(VALU_DEP_1)
	v_cndmask_b32_e64 v150, 0x7f800000, v149, s25
	v_add_f32_e32 v151, 1.0, v150
	v_cmp_gt_f32_e64 s30, 0x33800000, |v150|
	s_delay_alu instid0(VALU_DEP_2) | instskip(NEXT) | instid1(VALU_DEP_1)
	v_cvt_f64_f32_e32 v[148:149], v151
	v_frexp_exp_i32_f64_e32 v148, v[148:149]
	v_frexp_mant_f32_e32 v149, v151
	s_delay_alu instid0(VALU_DEP_1) | instskip(SKIP_1) | instid1(VALU_DEP_1)
	v_cmp_gt_f32_e64 s25, 0x3f2aaaab, v149
	v_add_f32_e32 v149, -1.0, v151
	v_sub_f32_e32 v161, v149, v151
	v_sub_f32_e32 v149, v150, v149
	s_delay_alu instid0(VALU_DEP_4) | instskip(SKIP_1) | instid1(VALU_DEP_1)
	v_subrev_co_ci_u32_e64 v148, s25, 0, v148, s25
	s_mov_b32 s25, 0x3e9b6dac
	v_sub_nc_u32_e32 v160, 0, v148
	v_cvt_f32_i32_e32 v148, v148
	s_delay_alu instid0(VALU_DEP_2) | instskip(NEXT) | instid1(VALU_DEP_1)
	v_ldexp_f32 v151, v151, v160
	v_dual_add_f32 v162, 1.0, v151 :: v_dual_add_f32 v161, 1.0, v161
	s_delay_alu instid0(VALU_DEP_1) | instskip(NEXT) | instid1(VALU_DEP_2)
	v_add_f32_e32 v149, v149, v161
	v_add_f32_e32 v161, -1.0, v162
	s_delay_alu instid0(VALU_DEP_2) | instskip(NEXT) | instid1(VALU_DEP_2)
	v_ldexp_f32 v149, v149, v160
	v_dual_add_f32 v160, -1.0, v151 :: v_dual_sub_f32 v161, v151, v161
	s_delay_alu instid0(VALU_DEP_1) | instskip(NEXT) | instid1(VALU_DEP_2)
	v_add_f32_e32 v163, 1.0, v160
	v_add_f32_e32 v161, v149, v161
	s_delay_alu instid0(VALU_DEP_2) | instskip(NEXT) | instid1(VALU_DEP_2)
	v_sub_f32_e32 v151, v151, v163
	v_add_f32_e32 v163, v162, v161
	s_delay_alu instid0(VALU_DEP_2) | instskip(NEXT) | instid1(VALU_DEP_2)
	v_add_f32_e32 v149, v149, v151
	v_rcp_f32_e32 v151, v163
	v_sub_f32_e32 v162, v162, v163
	s_delay_alu instid0(VALU_DEP_1) | instskip(NEXT) | instid1(VALU_DEP_1)
	v_dual_add_f32 v164, v160, v149 :: v_dual_add_f32 v161, v161, v162
	v_sub_f32_e32 v160, v160, v164
	s_waitcnt_depctr 0xfff
	v_mul_f32_e32 v165, v164, v151
	s_delay_alu instid0(VALU_DEP_1) | instskip(NEXT) | instid1(VALU_DEP_1)
	v_dual_add_f32 v149, v149, v160 :: v_dual_mul_f32 v166, v163, v165
	v_fma_f32 v162, v165, v163, -v166
	s_delay_alu instid0(VALU_DEP_1) | instskip(NEXT) | instid1(VALU_DEP_1)
	v_fmac_f32_e32 v162, v165, v161
	v_add_f32_e32 v167, v166, v162
	s_delay_alu instid0(VALU_DEP_1) | instskip(SKIP_1) | instid1(VALU_DEP_2)
	v_sub_f32_e32 v176, v164, v167
	v_sub_f32_e32 v160, v167, v166
	v_sub_f32_e32 v164, v164, v176
	s_delay_alu instid0(VALU_DEP_2) | instskip(NEXT) | instid1(VALU_DEP_2)
	v_sub_f32_e32 v160, v160, v162
	v_sub_f32_e32 v164, v164, v167
	s_delay_alu instid0(VALU_DEP_1) | instskip(NEXT) | instid1(VALU_DEP_1)
	v_add_f32_e32 v149, v149, v164
	v_add_f32_e32 v149, v160, v149
	s_delay_alu instid0(VALU_DEP_1) | instskip(NEXT) | instid1(VALU_DEP_1)
	v_add_f32_e32 v160, v176, v149
	v_mul_f32_e32 v162, v151, v160
	s_delay_alu instid0(VALU_DEP_1) | instskip(NEXT) | instid1(VALU_DEP_1)
	v_dual_sub_f32 v167, v176, v160 :: v_dual_mul_f32 v164, v163, v162
	v_add_f32_e32 v149, v149, v167
	s_delay_alu instid0(VALU_DEP_2) | instskip(NEXT) | instid1(VALU_DEP_1)
	v_fma_f32 v163, v162, v163, -v164
	v_fmac_f32_e32 v163, v162, v161
	s_delay_alu instid0(VALU_DEP_1) | instskip(NEXT) | instid1(VALU_DEP_1)
	v_add_f32_e32 v161, v164, v163
	v_sub_f32_e32 v166, v160, v161
	v_sub_f32_e32 v164, v161, v164
	s_delay_alu instid0(VALU_DEP_2) | instskip(NEXT) | instid1(VALU_DEP_1)
	v_sub_f32_e32 v160, v160, v166
	v_sub_f32_e32 v160, v160, v161
	s_delay_alu instid0(VALU_DEP_3) | instskip(NEXT) | instid1(VALU_DEP_2)
	v_sub_f32_e32 v161, v164, v163
	v_add_f32_e32 v149, v149, v160
	v_add_f32_e32 v160, v165, v162
	s_delay_alu instid0(VALU_DEP_2) | instskip(NEXT) | instid1(VALU_DEP_2)
	v_add_f32_e32 v149, v161, v149
	v_sub_f32_e32 v161, v160, v165
	s_delay_alu instid0(VALU_DEP_2) | instskip(NEXT) | instid1(VALU_DEP_2)
	v_add_f32_e32 v149, v166, v149
	v_sub_f32_e32 v161, v162, v161
	s_delay_alu instid0(VALU_DEP_2) | instskip(NEXT) | instid1(VALU_DEP_1)
	v_mul_f32_e32 v149, v151, v149
	v_add_f32_e32 v149, v161, v149
	s_delay_alu instid0(VALU_DEP_1) | instskip(NEXT) | instid1(VALU_DEP_1)
	v_add_f32_e32 v151, v160, v149
	v_mul_f32_e32 v161, v151, v151
	s_delay_alu instid0(VALU_DEP_1) | instskip(SKIP_2) | instid1(VALU_DEP_3)
	v_fmaak_f32 v162, s25, v161, 0x3ecc95a3
	v_mul_f32_e32 v163, v151, v161
	v_cmp_eq_f32_e64 s25, 0x7f800000, v150
	v_fmaak_f32 v161, v161, v162, 0x3f2aaada
	v_ldexp_f32 v162, v151, 1
	v_sub_f32_e32 v151, v151, v160
	s_delay_alu instid0(VALU_DEP_4) | instskip(NEXT) | instid1(VALU_DEP_3)
	s_or_b32 s25, s25, s30
	v_mul_f32_e32 v161, v163, v161
	v_mul_f32_e32 v163, 0x3f317218, v148
	s_delay_alu instid0(VALU_DEP_2) | instskip(NEXT) | instid1(VALU_DEP_1)
	v_dual_sub_f32 v149, v149, v151 :: v_dual_add_f32 v160, v162, v161
	v_ldexp_f32 v149, v149, 1
	s_delay_alu instid0(VALU_DEP_2) | instskip(NEXT) | instid1(VALU_DEP_4)
	v_sub_f32_e32 v151, v160, v162
	v_fma_f32 v162, 0x3f317218, v148, -v163
	s_delay_alu instid0(VALU_DEP_1) | instskip(NEXT) | instid1(VALU_DEP_1)
	v_dual_sub_f32 v151, v161, v151 :: v_dual_fmamk_f32 v148, v148, 0xb102e308, v162
	v_add_f32_e32 v149, v149, v151
	s_delay_alu instid0(VALU_DEP_2) | instskip(NEXT) | instid1(VALU_DEP_2)
	v_add_f32_e32 v151, v163, v148
	v_add_f32_e32 v161, v160, v149
	s_delay_alu instid0(VALU_DEP_2) | instskip(NEXT) | instid1(VALU_DEP_2)
	v_sub_f32_e32 v163, v151, v163
	v_add_f32_e32 v162, v151, v161
	v_sub_f32_e32 v160, v161, v160
	s_delay_alu instid0(VALU_DEP_3) | instskip(NEXT) | instid1(VALU_DEP_2)
	v_sub_f32_e32 v148, v148, v163
	v_dual_sub_f32 v164, v162, v151 :: v_dual_sub_f32 v149, v149, v160
	s_delay_alu instid0(VALU_DEP_1) | instskip(NEXT) | instid1(VALU_DEP_2)
	v_sub_f32_e32 v165, v162, v164
	v_dual_sub_f32 v160, v161, v164 :: v_dual_add_f32 v161, v148, v149
	s_delay_alu instid0(VALU_DEP_2) | instskip(NEXT) | instid1(VALU_DEP_1)
	v_sub_f32_e32 v151, v151, v165
	v_dual_add_f32 v151, v160, v151 :: v_dual_sub_f32 v160, v161, v148
	s_delay_alu instid0(VALU_DEP_1) | instskip(NEXT) | instid1(VALU_DEP_2)
	v_add_f32_e32 v151, v161, v151
	v_sub_f32_e32 v161, v161, v160
	v_sub_f32_e32 v149, v149, v160
	s_delay_alu instid0(VALU_DEP_2) | instskip(NEXT) | instid1(VALU_DEP_1)
	v_dual_add_f32 v163, v162, v151 :: v_dual_sub_f32 v148, v148, v161
	v_sub_f32_e32 v160, v163, v162
	s_delay_alu instid0(VALU_DEP_2) | instskip(NEXT) | instid1(VALU_DEP_2)
	v_add_f32_e32 v148, v149, v148
	v_sub_f32_e32 v149, v151, v160
	s_delay_alu instid0(VALU_DEP_1) | instskip(NEXT) | instid1(VALU_DEP_1)
	v_add_f32_e32 v148, v148, v149
	v_add_f32_e32 v148, v163, v148
	s_delay_alu instid0(VALU_DEP_1) | instskip(NEXT) | instid1(VALU_DEP_1)
	v_cndmask_b32_e64 v148, v148, v150, s25
	v_add_f32_e32 v148, v147, v148
.LBB453_105:
	s_or_b32 exec_lo, exec_lo, vcc_hi
	s_delay_alu instid0(VALU_DEP_1) | instskip(SKIP_1) | instid1(VALU_DEP_2)
	v_bfe_u32 v147, v148, 16, 1
	v_cmp_o_f32_e64 s25, v148, v148
	v_add3_u32 v147, v148, v147, 0x7fff
	s_delay_alu instid0(VALU_DEP_1) | instskip(NEXT) | instid1(VALU_DEP_1)
	v_lshrrev_b32_e32 v147, 16, v147
	v_cndmask_b32_e64 v147, 0x7fc0, v147, s25
	s_delay_alu instid0(VALU_DEP_1)
	v_and_b32_e32 v148, 0xffff, v147
.LBB453_106:
	s_or_b32 exec_lo, exec_lo, s27
	s_delay_alu instid0(VALU_DEP_1)
	v_mov_b32_dpp v149, v148 row_shr:8 row_mask:0xf bank_mask:0xf
	s_mov_b32 s27, exec_lo
	v_cmpx_lt_u32_e32 7, v146
	s_cbranch_execz .LBB453_110
; %bb.107:
	s_delay_alu instid0(VALU_DEP_2) | instskip(NEXT) | instid1(VALU_DEP_1)
	v_lshlrev_b32_e32 v147, 16, v149
	v_dual_max_f32 v149, v147, v147 :: v_dual_lshlrev_b32 v146, 16, v148
	s_delay_alu instid0(VALU_DEP_1) | instskip(SKIP_1) | instid1(VALU_DEP_2)
	v_max_f32_e32 v148, v146, v146
	v_cmp_u_f32_e64 s25, v147, v147
	v_min_f32_e32 v150, v149, v148
	v_max_f32_e32 v148, v149, v148
	s_delay_alu instid0(VALU_DEP_2) | instskip(NEXT) | instid1(VALU_DEP_2)
	v_cndmask_b32_e64 v149, v150, v147, s25
	v_cndmask_b32_e64 v150, v148, v147, s25
	v_cmp_u_f32_e64 s25, v146, v146
	s_delay_alu instid0(VALU_DEP_1) | instskip(NEXT) | instid1(VALU_DEP_3)
	v_cndmask_b32_e64 v148, v149, v146, s25
	v_cndmask_b32_e64 v146, v150, v146, s25
	s_delay_alu instid0(VALU_DEP_2) | instskip(NEXT) | instid1(VALU_DEP_2)
	v_cmp_class_f32_e64 vcc_hi, v148, 0x1f8
	v_cmp_neq_f32_e64 s25, v148, v146
	s_delay_alu instid0(VALU_DEP_1) | instskip(NEXT) | instid1(SALU_CYCLE_1)
	s_or_b32 s25, s25, vcc_hi
	s_and_saveexec_b32 vcc_hi, s25
	s_cbranch_execz .LBB453_109
; %bb.108:
	v_sub_f32_e32 v147, v148, v146
	s_delay_alu instid0(VALU_DEP_1) | instskip(SKIP_1) | instid1(VALU_DEP_2)
	v_mul_f32_e32 v148, 0x3fb8aa3b, v147
	v_cmp_ngt_f32_e64 s25, 0xc2ce8ed0, v147
	v_fma_f32 v149, 0x3fb8aa3b, v147, -v148
	v_rndne_f32_e32 v150, v148
	s_delay_alu instid0(VALU_DEP_1) | instskip(NEXT) | instid1(VALU_DEP_1)
	v_dual_fmamk_f32 v149, v147, 0x32a5705f, v149 :: v_dual_sub_f32 v148, v148, v150
	v_add_f32_e32 v148, v148, v149
	v_cvt_i32_f32_e32 v149, v150
	s_delay_alu instid0(VALU_DEP_2) | instskip(SKIP_2) | instid1(VALU_DEP_1)
	v_exp_f32_e32 v148, v148
	s_waitcnt_depctr 0xfff
	v_ldexp_f32 v148, v148, v149
	v_cndmask_b32_e64 v148, 0, v148, s25
	v_cmp_nlt_f32_e64 s25, 0x42b17218, v147
	s_delay_alu instid0(VALU_DEP_1) | instskip(NEXT) | instid1(VALU_DEP_1)
	v_cndmask_b32_e64 v149, 0x7f800000, v148, s25
	v_add_f32_e32 v150, 1.0, v149
	v_cmp_gt_f32_e64 s30, 0x33800000, |v149|
	s_delay_alu instid0(VALU_DEP_2) | instskip(NEXT) | instid1(VALU_DEP_1)
	v_cvt_f64_f32_e32 v[147:148], v150
	v_frexp_exp_i32_f64_e32 v147, v[147:148]
	v_frexp_mant_f32_e32 v148, v150
	s_delay_alu instid0(VALU_DEP_1) | instskip(SKIP_1) | instid1(VALU_DEP_1)
	v_cmp_gt_f32_e64 s25, 0x3f2aaaab, v148
	v_add_f32_e32 v148, -1.0, v150
	v_sub_f32_e32 v160, v148, v150
	v_sub_f32_e32 v148, v149, v148
	s_delay_alu instid0(VALU_DEP_4) | instskip(SKIP_1) | instid1(VALU_DEP_1)
	v_subrev_co_ci_u32_e64 v147, s25, 0, v147, s25
	s_mov_b32 s25, 0x3e9b6dac
	v_sub_nc_u32_e32 v151, 0, v147
	v_cvt_f32_i32_e32 v147, v147
	s_delay_alu instid0(VALU_DEP_2) | instskip(NEXT) | instid1(VALU_DEP_1)
	v_ldexp_f32 v150, v150, v151
	v_dual_add_f32 v161, 1.0, v150 :: v_dual_add_f32 v160, 1.0, v160
	s_delay_alu instid0(VALU_DEP_1) | instskip(NEXT) | instid1(VALU_DEP_2)
	v_add_f32_e32 v148, v148, v160
	v_add_f32_e32 v160, -1.0, v161
	s_delay_alu instid0(VALU_DEP_2) | instskip(NEXT) | instid1(VALU_DEP_2)
	v_ldexp_f32 v148, v148, v151
	v_dual_add_f32 v151, -1.0, v150 :: v_dual_sub_f32 v160, v150, v160
	s_delay_alu instid0(VALU_DEP_1) | instskip(NEXT) | instid1(VALU_DEP_2)
	v_add_f32_e32 v162, 1.0, v151
	v_add_f32_e32 v160, v148, v160
	s_delay_alu instid0(VALU_DEP_2) | instskip(NEXT) | instid1(VALU_DEP_2)
	v_sub_f32_e32 v150, v150, v162
	v_add_f32_e32 v162, v161, v160
	s_delay_alu instid0(VALU_DEP_2) | instskip(NEXT) | instid1(VALU_DEP_2)
	v_add_f32_e32 v148, v148, v150
	v_rcp_f32_e32 v150, v162
	v_sub_f32_e32 v161, v161, v162
	s_delay_alu instid0(VALU_DEP_1) | instskip(NEXT) | instid1(VALU_DEP_1)
	v_dual_add_f32 v163, v151, v148 :: v_dual_add_f32 v160, v160, v161
	v_sub_f32_e32 v151, v151, v163
	s_waitcnt_depctr 0xfff
	v_mul_f32_e32 v164, v163, v150
	s_delay_alu instid0(VALU_DEP_1) | instskip(NEXT) | instid1(VALU_DEP_1)
	v_dual_add_f32 v148, v148, v151 :: v_dual_mul_f32 v165, v162, v164
	v_fma_f32 v161, v164, v162, -v165
	s_delay_alu instid0(VALU_DEP_1) | instskip(NEXT) | instid1(VALU_DEP_1)
	v_fmac_f32_e32 v161, v164, v160
	v_add_f32_e32 v166, v165, v161
	s_delay_alu instid0(VALU_DEP_1) | instskip(SKIP_1) | instid1(VALU_DEP_2)
	v_sub_f32_e32 v167, v163, v166
	v_sub_f32_e32 v151, v166, v165
	;; [unrolled: 1-line block ×3, first 2 shown]
	s_delay_alu instid0(VALU_DEP_2) | instskip(NEXT) | instid1(VALU_DEP_2)
	v_sub_f32_e32 v151, v151, v161
	v_sub_f32_e32 v163, v163, v166
	s_delay_alu instid0(VALU_DEP_1) | instskip(NEXT) | instid1(VALU_DEP_1)
	v_add_f32_e32 v148, v148, v163
	v_add_f32_e32 v148, v151, v148
	s_delay_alu instid0(VALU_DEP_1) | instskip(NEXT) | instid1(VALU_DEP_1)
	v_add_f32_e32 v151, v167, v148
	v_mul_f32_e32 v161, v150, v151
	s_delay_alu instid0(VALU_DEP_1) | instskip(NEXT) | instid1(VALU_DEP_1)
	v_dual_sub_f32 v166, v167, v151 :: v_dual_mul_f32 v163, v162, v161
	v_add_f32_e32 v148, v148, v166
	s_delay_alu instid0(VALU_DEP_2) | instskip(NEXT) | instid1(VALU_DEP_1)
	v_fma_f32 v162, v161, v162, -v163
	v_fmac_f32_e32 v162, v161, v160
	s_delay_alu instid0(VALU_DEP_1) | instskip(NEXT) | instid1(VALU_DEP_1)
	v_add_f32_e32 v160, v163, v162
	v_sub_f32_e32 v165, v151, v160
	v_sub_f32_e32 v163, v160, v163
	s_delay_alu instid0(VALU_DEP_2) | instskip(NEXT) | instid1(VALU_DEP_1)
	v_sub_f32_e32 v151, v151, v165
	v_sub_f32_e32 v151, v151, v160
	s_delay_alu instid0(VALU_DEP_3) | instskip(NEXT) | instid1(VALU_DEP_2)
	v_sub_f32_e32 v160, v163, v162
	v_add_f32_e32 v148, v148, v151
	v_add_f32_e32 v151, v164, v161
	s_delay_alu instid0(VALU_DEP_2) | instskip(NEXT) | instid1(VALU_DEP_2)
	v_add_f32_e32 v148, v160, v148
	v_sub_f32_e32 v160, v151, v164
	s_delay_alu instid0(VALU_DEP_2) | instskip(NEXT) | instid1(VALU_DEP_2)
	v_add_f32_e32 v148, v165, v148
	v_sub_f32_e32 v160, v161, v160
	s_delay_alu instid0(VALU_DEP_2) | instskip(NEXT) | instid1(VALU_DEP_1)
	v_mul_f32_e32 v148, v150, v148
	v_add_f32_e32 v148, v160, v148
	s_delay_alu instid0(VALU_DEP_1) | instskip(NEXT) | instid1(VALU_DEP_1)
	v_add_f32_e32 v150, v151, v148
	v_mul_f32_e32 v160, v150, v150
	s_delay_alu instid0(VALU_DEP_1) | instskip(SKIP_2) | instid1(VALU_DEP_3)
	v_fmaak_f32 v161, s25, v160, 0x3ecc95a3
	v_mul_f32_e32 v162, v150, v160
	v_cmp_eq_f32_e64 s25, 0x7f800000, v149
	v_fmaak_f32 v160, v160, v161, 0x3f2aaada
	v_ldexp_f32 v161, v150, 1
	v_sub_f32_e32 v150, v150, v151
	s_delay_alu instid0(VALU_DEP_4) | instskip(NEXT) | instid1(VALU_DEP_3)
	s_or_b32 s25, s25, s30
	v_mul_f32_e32 v160, v162, v160
	v_mul_f32_e32 v162, 0x3f317218, v147
	s_delay_alu instid0(VALU_DEP_2) | instskip(NEXT) | instid1(VALU_DEP_1)
	v_dual_sub_f32 v148, v148, v150 :: v_dual_add_f32 v151, v161, v160
	v_ldexp_f32 v148, v148, 1
	s_delay_alu instid0(VALU_DEP_2) | instskip(NEXT) | instid1(VALU_DEP_4)
	v_sub_f32_e32 v150, v151, v161
	v_fma_f32 v161, 0x3f317218, v147, -v162
	s_delay_alu instid0(VALU_DEP_1) | instskip(NEXT) | instid1(VALU_DEP_1)
	v_dual_sub_f32 v150, v160, v150 :: v_dual_fmamk_f32 v147, v147, 0xb102e308, v161
	v_add_f32_e32 v148, v148, v150
	s_delay_alu instid0(VALU_DEP_2) | instskip(NEXT) | instid1(VALU_DEP_2)
	v_add_f32_e32 v150, v162, v147
	v_add_f32_e32 v160, v151, v148
	s_delay_alu instid0(VALU_DEP_2) | instskip(NEXT) | instid1(VALU_DEP_2)
	v_sub_f32_e32 v162, v150, v162
	v_add_f32_e32 v161, v150, v160
	v_sub_f32_e32 v151, v160, v151
	s_delay_alu instid0(VALU_DEP_3) | instskip(NEXT) | instid1(VALU_DEP_2)
	v_sub_f32_e32 v147, v147, v162
	v_dual_sub_f32 v163, v161, v150 :: v_dual_sub_f32 v148, v148, v151
	s_delay_alu instid0(VALU_DEP_1) | instskip(NEXT) | instid1(VALU_DEP_2)
	v_sub_f32_e32 v164, v161, v163
	v_dual_sub_f32 v151, v160, v163 :: v_dual_add_f32 v160, v147, v148
	s_delay_alu instid0(VALU_DEP_2) | instskip(NEXT) | instid1(VALU_DEP_1)
	v_sub_f32_e32 v150, v150, v164
	v_dual_add_f32 v150, v151, v150 :: v_dual_sub_f32 v151, v160, v147
	s_delay_alu instid0(VALU_DEP_1) | instskip(NEXT) | instid1(VALU_DEP_2)
	v_add_f32_e32 v150, v160, v150
	v_sub_f32_e32 v160, v160, v151
	v_sub_f32_e32 v148, v148, v151
	s_delay_alu instid0(VALU_DEP_2) | instskip(NEXT) | instid1(VALU_DEP_1)
	v_dual_add_f32 v162, v161, v150 :: v_dual_sub_f32 v147, v147, v160
	v_sub_f32_e32 v151, v162, v161
	s_delay_alu instid0(VALU_DEP_2) | instskip(NEXT) | instid1(VALU_DEP_2)
	v_add_f32_e32 v147, v148, v147
	v_sub_f32_e32 v148, v150, v151
	s_delay_alu instid0(VALU_DEP_1) | instskip(NEXT) | instid1(VALU_DEP_1)
	v_add_f32_e32 v147, v147, v148
	v_add_f32_e32 v147, v162, v147
	s_delay_alu instid0(VALU_DEP_1) | instskip(NEXT) | instid1(VALU_DEP_1)
	v_cndmask_b32_e64 v147, v147, v149, s25
	v_add_f32_e32 v147, v146, v147
.LBB453_109:
	s_or_b32 exec_lo, exec_lo, vcc_hi
	s_delay_alu instid0(VALU_DEP_1) | instskip(SKIP_1) | instid1(VALU_DEP_2)
	v_bfe_u32 v146, v147, 16, 1
	v_cmp_o_f32_e64 s25, v147, v147
	v_add3_u32 v146, v147, v146, 0x7fff
	s_delay_alu instid0(VALU_DEP_1) | instskip(NEXT) | instid1(VALU_DEP_1)
	v_lshrrev_b32_e32 v146, 16, v146
	v_cndmask_b32_e64 v147, 0x7fc0, v146, s25
	s_delay_alu instid0(VALU_DEP_1)
	v_and_b32_e32 v148, 0xffff, v147
.LBB453_110:
	s_or_b32 exec_lo, exec_lo, s27
	ds_swizzle_b32 v146, v148 offset:swizzle(BROADCAST,32,15)
	v_and_b32_e32 v149, 16, v21
	s_mov_b32 s27, exec_lo
	s_delay_alu instid0(VALU_DEP_1)
	v_cmpx_ne_u32_e32 0, v149
	s_cbranch_execz .LBB453_114
; %bb.111:
	s_waitcnt lgkmcnt(0)
	v_lshlrev_b32_e32 v147, 16, v146
	s_delay_alu instid0(VALU_DEP_1) | instskip(NEXT) | instid1(VALU_DEP_1)
	v_dual_max_f32 v148, v147, v147 :: v_dual_lshlrev_b32 v149, 16, v148
	v_max_f32_e32 v146, v149, v149
	v_cmp_u_f32_e64 s25, v147, v147
	s_delay_alu instid0(VALU_DEP_2) | instskip(SKIP_1) | instid1(VALU_DEP_2)
	v_min_f32_e32 v150, v148, v146
	v_max_f32_e32 v146, v148, v146
	v_cndmask_b32_e64 v148, v150, v147, s25
	s_delay_alu instid0(VALU_DEP_2) | instskip(SKIP_1) | instid1(VALU_DEP_1)
	v_cndmask_b32_e64 v146, v146, v147, s25
	v_cmp_u_f32_e64 s25, v149, v149
	v_cndmask_b32_e64 v148, v148, v149, s25
	s_delay_alu instid0(VALU_DEP_3) | instskip(NEXT) | instid1(VALU_DEP_2)
	v_cndmask_b32_e64 v146, v146, v149, s25
	v_cmp_class_f32_e64 vcc_hi, v148, 0x1f8
	s_delay_alu instid0(VALU_DEP_2) | instskip(NEXT) | instid1(VALU_DEP_1)
	v_cmp_neq_f32_e64 s25, v148, v146
	s_or_b32 s25, s25, vcc_hi
	s_delay_alu instid0(SALU_CYCLE_1)
	s_and_saveexec_b32 vcc_hi, s25
	s_cbranch_execz .LBB453_113
; %bb.112:
	v_sub_f32_e32 v147, v148, v146
	s_delay_alu instid0(VALU_DEP_1) | instskip(SKIP_1) | instid1(VALU_DEP_2)
	v_mul_f32_e32 v148, 0x3fb8aa3b, v147
	v_cmp_ngt_f32_e64 s25, 0xc2ce8ed0, v147
	v_fma_f32 v149, 0x3fb8aa3b, v147, -v148
	v_rndne_f32_e32 v150, v148
	s_delay_alu instid0(VALU_DEP_1) | instskip(NEXT) | instid1(VALU_DEP_1)
	v_dual_fmamk_f32 v149, v147, 0x32a5705f, v149 :: v_dual_sub_f32 v148, v148, v150
	v_add_f32_e32 v148, v148, v149
	v_cvt_i32_f32_e32 v149, v150
	s_delay_alu instid0(VALU_DEP_2) | instskip(SKIP_2) | instid1(VALU_DEP_1)
	v_exp_f32_e32 v148, v148
	s_waitcnt_depctr 0xfff
	v_ldexp_f32 v148, v148, v149
	v_cndmask_b32_e64 v148, 0, v148, s25
	v_cmp_nlt_f32_e64 s25, 0x42b17218, v147
	s_delay_alu instid0(VALU_DEP_1) | instskip(NEXT) | instid1(VALU_DEP_1)
	v_cndmask_b32_e64 v149, 0x7f800000, v148, s25
	v_add_f32_e32 v150, 1.0, v149
	v_cmp_gt_f32_e64 s30, 0x33800000, |v149|
	s_delay_alu instid0(VALU_DEP_2) | instskip(NEXT) | instid1(VALU_DEP_1)
	v_cvt_f64_f32_e32 v[147:148], v150
	v_frexp_exp_i32_f64_e32 v147, v[147:148]
	v_frexp_mant_f32_e32 v148, v150
	s_delay_alu instid0(VALU_DEP_1) | instskip(SKIP_1) | instid1(VALU_DEP_1)
	v_cmp_gt_f32_e64 s25, 0x3f2aaaab, v148
	v_add_f32_e32 v148, -1.0, v150
	v_sub_f32_e32 v160, v148, v150
	v_sub_f32_e32 v148, v149, v148
	s_delay_alu instid0(VALU_DEP_4) | instskip(SKIP_1) | instid1(VALU_DEP_1)
	v_subrev_co_ci_u32_e64 v147, s25, 0, v147, s25
	s_mov_b32 s25, 0x3e9b6dac
	v_sub_nc_u32_e32 v151, 0, v147
	v_cvt_f32_i32_e32 v147, v147
	s_delay_alu instid0(VALU_DEP_2) | instskip(NEXT) | instid1(VALU_DEP_1)
	v_ldexp_f32 v150, v150, v151
	v_dual_add_f32 v161, 1.0, v150 :: v_dual_add_f32 v160, 1.0, v160
	s_delay_alu instid0(VALU_DEP_1) | instskip(NEXT) | instid1(VALU_DEP_2)
	v_add_f32_e32 v148, v148, v160
	v_add_f32_e32 v160, -1.0, v161
	s_delay_alu instid0(VALU_DEP_2) | instskip(NEXT) | instid1(VALU_DEP_2)
	v_ldexp_f32 v148, v148, v151
	v_dual_add_f32 v151, -1.0, v150 :: v_dual_sub_f32 v160, v150, v160
	s_delay_alu instid0(VALU_DEP_1) | instskip(NEXT) | instid1(VALU_DEP_2)
	v_add_f32_e32 v162, 1.0, v151
	v_add_f32_e32 v160, v148, v160
	s_delay_alu instid0(VALU_DEP_2) | instskip(NEXT) | instid1(VALU_DEP_2)
	v_sub_f32_e32 v150, v150, v162
	v_add_f32_e32 v162, v161, v160
	s_delay_alu instid0(VALU_DEP_2) | instskip(NEXT) | instid1(VALU_DEP_2)
	v_add_f32_e32 v148, v148, v150
	v_rcp_f32_e32 v150, v162
	v_sub_f32_e32 v161, v161, v162
	s_delay_alu instid0(VALU_DEP_1) | instskip(NEXT) | instid1(VALU_DEP_1)
	v_dual_add_f32 v163, v151, v148 :: v_dual_add_f32 v160, v160, v161
	v_sub_f32_e32 v151, v151, v163
	s_waitcnt_depctr 0xfff
	v_mul_f32_e32 v164, v163, v150
	s_delay_alu instid0(VALU_DEP_1) | instskip(NEXT) | instid1(VALU_DEP_1)
	v_dual_add_f32 v148, v148, v151 :: v_dual_mul_f32 v165, v162, v164
	v_fma_f32 v161, v164, v162, -v165
	s_delay_alu instid0(VALU_DEP_1) | instskip(NEXT) | instid1(VALU_DEP_1)
	v_fmac_f32_e32 v161, v164, v160
	v_add_f32_e32 v166, v165, v161
	s_delay_alu instid0(VALU_DEP_1) | instskip(SKIP_1) | instid1(VALU_DEP_2)
	v_sub_f32_e32 v167, v163, v166
	v_sub_f32_e32 v151, v166, v165
	;; [unrolled: 1-line block ×3, first 2 shown]
	s_delay_alu instid0(VALU_DEP_2) | instskip(NEXT) | instid1(VALU_DEP_2)
	v_sub_f32_e32 v151, v151, v161
	v_sub_f32_e32 v163, v163, v166
	s_delay_alu instid0(VALU_DEP_1) | instskip(NEXT) | instid1(VALU_DEP_1)
	v_add_f32_e32 v148, v148, v163
	v_add_f32_e32 v148, v151, v148
	s_delay_alu instid0(VALU_DEP_1) | instskip(NEXT) | instid1(VALU_DEP_1)
	v_add_f32_e32 v151, v167, v148
	v_mul_f32_e32 v161, v150, v151
	s_delay_alu instid0(VALU_DEP_1) | instskip(NEXT) | instid1(VALU_DEP_1)
	v_dual_sub_f32 v166, v167, v151 :: v_dual_mul_f32 v163, v162, v161
	v_add_f32_e32 v148, v148, v166
	s_delay_alu instid0(VALU_DEP_2) | instskip(NEXT) | instid1(VALU_DEP_1)
	v_fma_f32 v162, v161, v162, -v163
	v_fmac_f32_e32 v162, v161, v160
	s_delay_alu instid0(VALU_DEP_1) | instskip(NEXT) | instid1(VALU_DEP_1)
	v_add_f32_e32 v160, v163, v162
	v_sub_f32_e32 v165, v151, v160
	v_sub_f32_e32 v163, v160, v163
	s_delay_alu instid0(VALU_DEP_2) | instskip(NEXT) | instid1(VALU_DEP_1)
	v_sub_f32_e32 v151, v151, v165
	v_sub_f32_e32 v151, v151, v160
	s_delay_alu instid0(VALU_DEP_3) | instskip(NEXT) | instid1(VALU_DEP_2)
	v_sub_f32_e32 v160, v163, v162
	v_add_f32_e32 v148, v148, v151
	v_add_f32_e32 v151, v164, v161
	s_delay_alu instid0(VALU_DEP_2) | instskip(NEXT) | instid1(VALU_DEP_2)
	v_add_f32_e32 v148, v160, v148
	v_sub_f32_e32 v160, v151, v164
	s_delay_alu instid0(VALU_DEP_2) | instskip(NEXT) | instid1(VALU_DEP_2)
	v_add_f32_e32 v148, v165, v148
	v_sub_f32_e32 v160, v161, v160
	s_delay_alu instid0(VALU_DEP_2) | instskip(NEXT) | instid1(VALU_DEP_1)
	v_mul_f32_e32 v148, v150, v148
	v_add_f32_e32 v148, v160, v148
	s_delay_alu instid0(VALU_DEP_1) | instskip(NEXT) | instid1(VALU_DEP_1)
	v_add_f32_e32 v150, v151, v148
	v_mul_f32_e32 v160, v150, v150
	s_delay_alu instid0(VALU_DEP_1) | instskip(SKIP_2) | instid1(VALU_DEP_3)
	v_fmaak_f32 v161, s25, v160, 0x3ecc95a3
	v_mul_f32_e32 v162, v150, v160
	v_cmp_eq_f32_e64 s25, 0x7f800000, v149
	v_fmaak_f32 v160, v160, v161, 0x3f2aaada
	v_ldexp_f32 v161, v150, 1
	v_sub_f32_e32 v150, v150, v151
	s_delay_alu instid0(VALU_DEP_4) | instskip(NEXT) | instid1(VALU_DEP_3)
	s_or_b32 s25, s25, s30
	v_mul_f32_e32 v160, v162, v160
	v_mul_f32_e32 v162, 0x3f317218, v147
	s_delay_alu instid0(VALU_DEP_2) | instskip(NEXT) | instid1(VALU_DEP_1)
	v_dual_sub_f32 v148, v148, v150 :: v_dual_add_f32 v151, v161, v160
	v_ldexp_f32 v148, v148, 1
	s_delay_alu instid0(VALU_DEP_2) | instskip(NEXT) | instid1(VALU_DEP_4)
	v_sub_f32_e32 v150, v151, v161
	v_fma_f32 v161, 0x3f317218, v147, -v162
	s_delay_alu instid0(VALU_DEP_1) | instskip(NEXT) | instid1(VALU_DEP_1)
	v_dual_sub_f32 v150, v160, v150 :: v_dual_fmamk_f32 v147, v147, 0xb102e308, v161
	v_add_f32_e32 v148, v148, v150
	s_delay_alu instid0(VALU_DEP_2) | instskip(NEXT) | instid1(VALU_DEP_2)
	v_add_f32_e32 v150, v162, v147
	v_add_f32_e32 v160, v151, v148
	s_delay_alu instid0(VALU_DEP_2) | instskip(NEXT) | instid1(VALU_DEP_2)
	v_sub_f32_e32 v162, v150, v162
	v_add_f32_e32 v161, v150, v160
	v_sub_f32_e32 v151, v160, v151
	s_delay_alu instid0(VALU_DEP_3) | instskip(NEXT) | instid1(VALU_DEP_2)
	v_sub_f32_e32 v147, v147, v162
	v_dual_sub_f32 v163, v161, v150 :: v_dual_sub_f32 v148, v148, v151
	s_delay_alu instid0(VALU_DEP_1) | instskip(NEXT) | instid1(VALU_DEP_2)
	v_sub_f32_e32 v164, v161, v163
	v_dual_sub_f32 v151, v160, v163 :: v_dual_add_f32 v160, v147, v148
	s_delay_alu instid0(VALU_DEP_2) | instskip(NEXT) | instid1(VALU_DEP_1)
	v_sub_f32_e32 v150, v150, v164
	v_dual_add_f32 v150, v151, v150 :: v_dual_sub_f32 v151, v160, v147
	s_delay_alu instid0(VALU_DEP_1) | instskip(NEXT) | instid1(VALU_DEP_2)
	v_add_f32_e32 v150, v160, v150
	v_sub_f32_e32 v160, v160, v151
	v_sub_f32_e32 v148, v148, v151
	s_delay_alu instid0(VALU_DEP_2) | instskip(NEXT) | instid1(VALU_DEP_1)
	v_dual_add_f32 v162, v161, v150 :: v_dual_sub_f32 v147, v147, v160
	v_sub_f32_e32 v151, v162, v161
	s_delay_alu instid0(VALU_DEP_2) | instskip(NEXT) | instid1(VALU_DEP_2)
	v_add_f32_e32 v147, v148, v147
	v_sub_f32_e32 v148, v150, v151
	s_delay_alu instid0(VALU_DEP_1) | instskip(NEXT) | instid1(VALU_DEP_1)
	v_add_f32_e32 v147, v147, v148
	v_add_f32_e32 v147, v162, v147
	s_delay_alu instid0(VALU_DEP_1) | instskip(NEXT) | instid1(VALU_DEP_1)
	v_cndmask_b32_e64 v147, v147, v149, s25
	v_add_f32_e32 v147, v146, v147
.LBB453_113:
	s_or_b32 exec_lo, exec_lo, vcc_hi
	s_delay_alu instid0(VALU_DEP_1) | instskip(SKIP_1) | instid1(VALU_DEP_2)
	v_bfe_u32 v146, v147, 16, 1
	v_cmp_o_f32_e64 s25, v147, v147
	v_add3_u32 v146, v147, v146, 0x7fff
	s_delay_alu instid0(VALU_DEP_1) | instskip(NEXT) | instid1(VALU_DEP_1)
	v_lshrrev_b32_e32 v146, 16, v146
	v_cndmask_b32_e64 v147, 0x7fc0, v146, s25
.LBB453_114:
	s_or_b32 exec_lo, exec_lo, s27
	s_waitcnt lgkmcnt(0)
	v_add_nc_u32_e32 v146, -1, v21
	s_delay_alu instid0(VALU_DEP_1) | instskip(NEXT) | instid1(VALU_DEP_1)
	v_cmp_gt_i32_e64 s25, 0, v146
	v_cndmask_b32_e64 v21, v146, v21, s25
	v_and_b32_e32 v146, 0xffff, v147
	s_delay_alu instid0(VALU_DEP_2) | instskip(SKIP_3) | instid1(VALU_DEP_1)
	v_lshlrev_b32_e32 v21, 2, v21
	ds_bpermute_b32 v21, v21, v146
	s_waitcnt lgkmcnt(0)
	v_lshlrev_b32_e32 v21, 16, v21
	v_max_f32_e32 v146, v21, v21
	v_cmp_u_f32_e64 s25, v21, v21
	s_delay_alu instid0(VALU_DEP_2) | instskip(SKIP_1) | instid1(VALU_DEP_2)
	v_min_f32_e32 v147, v146, v20
	v_max_f32_e32 v20, v146, v20
	v_cndmask_b32_e64 v146, v147, v21, s25
	s_delay_alu instid0(VALU_DEP_2) | instskip(NEXT) | instid1(VALU_DEP_2)
	v_cndmask_b32_e64 v147, v20, v21, s25
	v_cndmask_b32_e64 v20, v146, v19, s24
	s_delay_alu instid0(VALU_DEP_2) | instskip(NEXT) | instid1(VALU_DEP_2)
	v_cndmask_b32_e64 v19, v147, v19, s24
	v_cmp_class_f32_e64 s25, v20, 0x1f8
	s_delay_alu instid0(VALU_DEP_2) | instskip(NEXT) | instid1(VALU_DEP_1)
	v_cmp_neq_f32_e64 s24, v20, v19
	s_or_b32 s24, s24, s25
	s_delay_alu instid0(SALU_CYCLE_1)
	s_and_saveexec_b32 s25, s24
	s_cbranch_execz .LBB453_116
; %bb.115:
	v_sub_f32_e32 v20, v20, v19
	s_delay_alu instid0(VALU_DEP_1) | instskip(NEXT) | instid1(VALU_DEP_1)
	v_mul_f32_e32 v21, 0x3fb8aa3b, v20
	v_fma_f32 v146, 0x3fb8aa3b, v20, -v21
	v_rndne_f32_e32 v147, v21
	s_delay_alu instid0(VALU_DEP_1) | instskip(NEXT) | instid1(VALU_DEP_1)
	v_dual_fmamk_f32 v146, v20, 0x32a5705f, v146 :: v_dual_sub_f32 v21, v21, v147
	v_add_f32_e32 v21, v21, v146
	v_cvt_i32_f32_e32 v146, v147
	v_cmp_ngt_f32_e64 s24, 0xc2ce8ed0, v20
	s_delay_alu instid0(VALU_DEP_3) | instskip(SKIP_2) | instid1(VALU_DEP_1)
	v_exp_f32_e32 v21, v21
	s_waitcnt_depctr 0xfff
	v_ldexp_f32 v21, v21, v146
	v_cndmask_b32_e64 v21, 0, v21, s24
	v_cmp_nlt_f32_e64 s24, 0x42b17218, v20
	s_delay_alu instid0(VALU_DEP_1) | instskip(NEXT) | instid1(VALU_DEP_1)
	v_cndmask_b32_e64 v146, 0x7f800000, v21, s24
	v_add_f32_e32 v147, 1.0, v146
	v_cmp_gt_f32_e64 s27, 0x33800000, |v146|
	s_delay_alu instid0(VALU_DEP_2) | instskip(NEXT) | instid1(VALU_DEP_1)
	v_cvt_f64_f32_e32 v[20:21], v147
	v_frexp_exp_i32_f64_e32 v20, v[20:21]
	v_frexp_mant_f32_e32 v21, v147
	s_delay_alu instid0(VALU_DEP_1) | instskip(SKIP_1) | instid1(VALU_DEP_1)
	v_cmp_gt_f32_e64 s24, 0x3f2aaaab, v21
	v_add_f32_e32 v21, -1.0, v147
	v_sub_f32_e32 v149, v21, v147
	s_delay_alu instid0(VALU_DEP_3) | instskip(SKIP_1) | instid1(VALU_DEP_1)
	v_subrev_co_ci_u32_e64 v20, s24, 0, v20, s24
	s_mov_b32 s24, 0x3e9b6dac
	v_sub_nc_u32_e32 v148, 0, v20
	v_cvt_f32_i32_e32 v20, v20
	s_delay_alu instid0(VALU_DEP_2) | instskip(NEXT) | instid1(VALU_DEP_1)
	v_ldexp_f32 v147, v147, v148
	v_dual_sub_f32 v21, v146, v21 :: v_dual_add_f32 v150, 1.0, v147
	v_add_f32_e32 v149, 1.0, v149
	s_delay_alu instid0(VALU_DEP_1) | instskip(NEXT) | instid1(VALU_DEP_3)
	v_add_f32_e32 v21, v21, v149
	v_add_f32_e32 v149, -1.0, v150
	s_delay_alu instid0(VALU_DEP_2) | instskip(NEXT) | instid1(VALU_DEP_2)
	v_ldexp_f32 v21, v21, v148
	v_dual_add_f32 v148, -1.0, v147 :: v_dual_sub_f32 v149, v147, v149
	s_delay_alu instid0(VALU_DEP_1) | instskip(NEXT) | instid1(VALU_DEP_2)
	v_add_f32_e32 v151, 1.0, v148
	v_add_f32_e32 v149, v21, v149
	s_delay_alu instid0(VALU_DEP_2) | instskip(NEXT) | instid1(VALU_DEP_2)
	v_sub_f32_e32 v147, v147, v151
	v_add_f32_e32 v151, v150, v149
	s_delay_alu instid0(VALU_DEP_2) | instskip(NEXT) | instid1(VALU_DEP_2)
	v_add_f32_e32 v21, v21, v147
	v_rcp_f32_e32 v147, v151
	v_sub_f32_e32 v150, v150, v151
	s_delay_alu instid0(VALU_DEP_1) | instskip(NEXT) | instid1(VALU_DEP_1)
	v_dual_add_f32 v160, v148, v21 :: v_dual_add_f32 v149, v149, v150
	v_sub_f32_e32 v148, v148, v160
	s_waitcnt_depctr 0xfff
	v_mul_f32_e32 v161, v160, v147
	s_delay_alu instid0(VALU_DEP_1) | instskip(NEXT) | instid1(VALU_DEP_1)
	v_dual_add_f32 v21, v21, v148 :: v_dual_mul_f32 v162, v151, v161
	v_fma_f32 v150, v161, v151, -v162
	s_delay_alu instid0(VALU_DEP_1) | instskip(NEXT) | instid1(VALU_DEP_1)
	v_fmac_f32_e32 v150, v161, v149
	v_add_f32_e32 v163, v162, v150
	s_delay_alu instid0(VALU_DEP_1) | instskip(SKIP_1) | instid1(VALU_DEP_2)
	v_sub_f32_e32 v164, v160, v163
	v_sub_f32_e32 v148, v163, v162
	;; [unrolled: 1-line block ×3, first 2 shown]
	s_delay_alu instid0(VALU_DEP_2) | instskip(NEXT) | instid1(VALU_DEP_2)
	v_sub_f32_e32 v148, v148, v150
	v_sub_f32_e32 v160, v160, v163
	s_delay_alu instid0(VALU_DEP_1) | instskip(NEXT) | instid1(VALU_DEP_1)
	v_add_f32_e32 v21, v21, v160
	v_add_f32_e32 v21, v148, v21
	s_delay_alu instid0(VALU_DEP_1) | instskip(NEXT) | instid1(VALU_DEP_1)
	v_add_f32_e32 v148, v164, v21
	v_mul_f32_e32 v150, v147, v148
	s_delay_alu instid0(VALU_DEP_1) | instskip(NEXT) | instid1(VALU_DEP_1)
	v_dual_sub_f32 v163, v164, v148 :: v_dual_mul_f32 v160, v151, v150
	v_add_f32_e32 v21, v21, v163
	s_delay_alu instid0(VALU_DEP_2) | instskip(NEXT) | instid1(VALU_DEP_1)
	v_fma_f32 v151, v150, v151, -v160
	v_fmac_f32_e32 v151, v150, v149
	s_delay_alu instid0(VALU_DEP_1) | instskip(NEXT) | instid1(VALU_DEP_1)
	v_add_f32_e32 v149, v160, v151
	v_sub_f32_e32 v162, v148, v149
	v_sub_f32_e32 v160, v149, v160
	s_delay_alu instid0(VALU_DEP_2) | instskip(NEXT) | instid1(VALU_DEP_1)
	v_sub_f32_e32 v148, v148, v162
	v_sub_f32_e32 v148, v148, v149
	s_delay_alu instid0(VALU_DEP_3) | instskip(NEXT) | instid1(VALU_DEP_2)
	v_sub_f32_e32 v149, v160, v151
	v_add_f32_e32 v21, v21, v148
	v_add_f32_e32 v148, v161, v150
	s_delay_alu instid0(VALU_DEP_2) | instskip(NEXT) | instid1(VALU_DEP_2)
	v_add_f32_e32 v21, v149, v21
	v_sub_f32_e32 v149, v148, v161
	s_delay_alu instid0(VALU_DEP_2) | instskip(NEXT) | instid1(VALU_DEP_2)
	v_add_f32_e32 v21, v162, v21
	v_sub_f32_e32 v149, v150, v149
	s_delay_alu instid0(VALU_DEP_2) | instskip(NEXT) | instid1(VALU_DEP_1)
	v_mul_f32_e32 v21, v147, v21
	v_add_f32_e32 v21, v149, v21
	s_delay_alu instid0(VALU_DEP_1) | instskip(NEXT) | instid1(VALU_DEP_1)
	v_add_f32_e32 v147, v148, v21
	v_mul_f32_e32 v149, v147, v147
	s_delay_alu instid0(VALU_DEP_1) | instskip(SKIP_2) | instid1(VALU_DEP_3)
	v_fmaak_f32 v150, s24, v149, 0x3ecc95a3
	v_mul_f32_e32 v151, v147, v149
	v_cmp_eq_f32_e64 s24, 0x7f800000, v146
	v_fmaak_f32 v149, v149, v150, 0x3f2aaada
	v_ldexp_f32 v150, v147, 1
	v_sub_f32_e32 v147, v147, v148
	s_delay_alu instid0(VALU_DEP_4) | instskip(NEXT) | instid1(VALU_DEP_3)
	s_or_b32 s24, s24, s27
	v_mul_f32_e32 v149, v151, v149
	v_mul_f32_e32 v151, 0x3f317218, v20
	s_delay_alu instid0(VALU_DEP_2) | instskip(NEXT) | instid1(VALU_DEP_1)
	v_dual_sub_f32 v21, v21, v147 :: v_dual_add_f32 v148, v150, v149
	v_ldexp_f32 v21, v21, 1
	s_delay_alu instid0(VALU_DEP_2) | instskip(NEXT) | instid1(VALU_DEP_4)
	v_sub_f32_e32 v147, v148, v150
	v_fma_f32 v150, 0x3f317218, v20, -v151
	s_delay_alu instid0(VALU_DEP_1) | instskip(NEXT) | instid1(VALU_DEP_1)
	v_dual_sub_f32 v147, v149, v147 :: v_dual_fmamk_f32 v20, v20, 0xb102e308, v150
	v_add_f32_e32 v21, v21, v147
	s_delay_alu instid0(VALU_DEP_2) | instskip(NEXT) | instid1(VALU_DEP_2)
	v_add_f32_e32 v147, v151, v20
	v_add_f32_e32 v149, v148, v21
	s_delay_alu instid0(VALU_DEP_2) | instskip(NEXT) | instid1(VALU_DEP_2)
	v_sub_f32_e32 v151, v147, v151
	v_add_f32_e32 v150, v147, v149
	v_sub_f32_e32 v148, v149, v148
	s_delay_alu instid0(VALU_DEP_3) | instskip(NEXT) | instid1(VALU_DEP_2)
	v_sub_f32_e32 v20, v20, v151
	v_dual_sub_f32 v160, v150, v147 :: v_dual_sub_f32 v21, v21, v148
	s_delay_alu instid0(VALU_DEP_1) | instskip(NEXT) | instid1(VALU_DEP_2)
	v_sub_f32_e32 v161, v150, v160
	v_dual_sub_f32 v148, v149, v160 :: v_dual_add_f32 v149, v20, v21
	s_delay_alu instid0(VALU_DEP_2) | instskip(NEXT) | instid1(VALU_DEP_1)
	v_sub_f32_e32 v147, v147, v161
	v_dual_add_f32 v147, v148, v147 :: v_dual_sub_f32 v148, v149, v20
	s_delay_alu instid0(VALU_DEP_1) | instskip(NEXT) | instid1(VALU_DEP_2)
	v_add_f32_e32 v147, v149, v147
	v_sub_f32_e32 v149, v149, v148
	v_sub_f32_e32 v21, v21, v148
	s_delay_alu instid0(VALU_DEP_2) | instskip(NEXT) | instid1(VALU_DEP_1)
	v_dual_add_f32 v151, v150, v147 :: v_dual_sub_f32 v20, v20, v149
	v_sub_f32_e32 v148, v151, v150
	s_delay_alu instid0(VALU_DEP_2) | instskip(NEXT) | instid1(VALU_DEP_2)
	v_add_f32_e32 v20, v21, v20
	v_sub_f32_e32 v21, v147, v148
	s_delay_alu instid0(VALU_DEP_1) | instskip(NEXT) | instid1(VALU_DEP_1)
	v_add_f32_e32 v20, v20, v21
	v_add_f32_e32 v20, v151, v20
	s_delay_alu instid0(VALU_DEP_1) | instskip(NEXT) | instid1(VALU_DEP_1)
	v_cndmask_b32_e64 v20, v20, v146, s24
	v_add_f32_e32 v21, v19, v20
.LBB453_116:
	s_or_b32 exec_lo, exec_lo, s25
	s_delay_alu instid0(VALU_DEP_1) | instskip(SKIP_1) | instid1(VALU_DEP_2)
	v_bfe_u32 v19, v21, 16, 1
	v_cmp_o_f32_e64 s24, v21, v21
	; wave barrier
	v_add3_u32 v19, v21, v19, 0x7fff
	s_delay_alu instid0(VALU_DEP_1) | instskip(NEXT) | instid1(VALU_DEP_1)
	v_lshrrev_b32_e32 v19, 16, v19
	v_cndmask_b32_e64 v19, 0x7fc0, v19, s24
	v_cmp_eq_u32_e64 s24, 0, v0
	s_delay_alu instid0(VALU_DEP_1)
	v_cndmask_b32_e64 v19, v19, v145, s24
	ds_store_b16 v18, v19
	; wave barrier
	ds_load_u16 v21, v18 offset:2
	v_lshlrev_b32_e32 v20, 16, v19
	s_waitcnt lgkmcnt(0)
	v_lshlrev_b32_e32 v19, 16, v21
	s_delay_alu instid0(VALU_DEP_1) | instskip(NEXT) | instid1(VALU_DEP_1)
	v_dual_max_f32 v21, v20, v20 :: v_dual_max_f32 v146, v19, v19
	v_min_f32_e32 v147, v21, v146
	v_max_f32_e32 v21, v21, v146
	v_cmp_u_f32_e64 s24, v20, v20
	s_delay_alu instid0(VALU_DEP_1) | instskip(NEXT) | instid1(VALU_DEP_3)
	v_cndmask_b32_e64 v146, v147, v20, s24
	v_cndmask_b32_e64 v147, v21, v20, s24
	v_cmp_u_f32_e64 s24, v19, v19
	s_delay_alu instid0(VALU_DEP_1) | instskip(NEXT) | instid1(VALU_DEP_3)
	v_cndmask_b32_e64 v21, v146, v19, s24
	v_cndmask_b32_e64 v19, v147, v19, s24
	s_delay_alu instid0(VALU_DEP_2) | instskip(NEXT) | instid1(VALU_DEP_2)
	v_cmp_class_f32_e64 s25, v21, 0x1f8
	v_cmp_neq_f32_e64 s24, v21, v19
	s_delay_alu instid0(VALU_DEP_1) | instskip(NEXT) | instid1(SALU_CYCLE_1)
	s_or_b32 s24, s24, s25
	s_and_saveexec_b32 s25, s24
	s_cbranch_execz .LBB453_118
; %bb.117:
	v_sub_f32_e32 v20, v21, v19
	s_delay_alu instid0(VALU_DEP_1) | instskip(SKIP_1) | instid1(VALU_DEP_2)
	v_mul_f32_e32 v21, 0x3fb8aa3b, v20
	v_cmp_ngt_f32_e64 s24, 0xc2ce8ed0, v20
	v_fma_f32 v146, 0x3fb8aa3b, v20, -v21
	v_rndne_f32_e32 v147, v21
	s_delay_alu instid0(VALU_DEP_1) | instskip(NEXT) | instid1(VALU_DEP_1)
	v_dual_fmamk_f32 v146, v20, 0x32a5705f, v146 :: v_dual_sub_f32 v21, v21, v147
	v_add_f32_e32 v21, v21, v146
	v_cvt_i32_f32_e32 v146, v147
	s_delay_alu instid0(VALU_DEP_2) | instskip(SKIP_2) | instid1(VALU_DEP_1)
	v_exp_f32_e32 v21, v21
	s_waitcnt_depctr 0xfff
	v_ldexp_f32 v21, v21, v146
	v_cndmask_b32_e64 v21, 0, v21, s24
	v_cmp_nlt_f32_e64 s24, 0x42b17218, v20
	s_delay_alu instid0(VALU_DEP_1) | instskip(NEXT) | instid1(VALU_DEP_1)
	v_cndmask_b32_e64 v146, 0x7f800000, v21, s24
	v_add_f32_e32 v147, 1.0, v146
	v_cmp_gt_f32_e64 s27, 0x33800000, |v146|
	s_delay_alu instid0(VALU_DEP_2) | instskip(NEXT) | instid1(VALU_DEP_1)
	v_cvt_f64_f32_e32 v[20:21], v147
	v_frexp_exp_i32_f64_e32 v20, v[20:21]
	v_frexp_mant_f32_e32 v21, v147
	s_delay_alu instid0(VALU_DEP_1) | instskip(SKIP_1) | instid1(VALU_DEP_1)
	v_cmp_gt_f32_e64 s24, 0x3f2aaaab, v21
	v_add_f32_e32 v21, -1.0, v147
	v_sub_f32_e32 v149, v21, v147
	v_sub_f32_e32 v21, v146, v21
	s_delay_alu instid0(VALU_DEP_4) | instskip(SKIP_1) | instid1(VALU_DEP_1)
	v_subrev_co_ci_u32_e64 v20, s24, 0, v20, s24
	s_mov_b32 s24, 0x3e9b6dac
	v_sub_nc_u32_e32 v148, 0, v20
	v_cvt_f32_i32_e32 v20, v20
	s_delay_alu instid0(VALU_DEP_2) | instskip(NEXT) | instid1(VALU_DEP_1)
	v_ldexp_f32 v147, v147, v148
	v_dual_add_f32 v150, 1.0, v147 :: v_dual_add_f32 v149, 1.0, v149
	s_delay_alu instid0(VALU_DEP_1) | instskip(NEXT) | instid1(VALU_DEP_2)
	v_add_f32_e32 v21, v21, v149
	v_add_f32_e32 v149, -1.0, v150
	s_delay_alu instid0(VALU_DEP_2) | instskip(NEXT) | instid1(VALU_DEP_2)
	v_ldexp_f32 v21, v21, v148
	v_dual_add_f32 v148, -1.0, v147 :: v_dual_sub_f32 v149, v147, v149
	s_delay_alu instid0(VALU_DEP_1) | instskip(NEXT) | instid1(VALU_DEP_2)
	v_add_f32_e32 v151, 1.0, v148
	v_add_f32_e32 v149, v21, v149
	s_delay_alu instid0(VALU_DEP_2) | instskip(NEXT) | instid1(VALU_DEP_2)
	v_sub_f32_e32 v147, v147, v151
	v_add_f32_e32 v151, v150, v149
	s_delay_alu instid0(VALU_DEP_2) | instskip(NEXT) | instid1(VALU_DEP_2)
	v_add_f32_e32 v21, v21, v147
	v_rcp_f32_e32 v147, v151
	v_sub_f32_e32 v150, v150, v151
	s_delay_alu instid0(VALU_DEP_1) | instskip(NEXT) | instid1(VALU_DEP_1)
	v_dual_add_f32 v160, v148, v21 :: v_dual_add_f32 v149, v149, v150
	v_sub_f32_e32 v148, v148, v160
	s_waitcnt_depctr 0xfff
	v_mul_f32_e32 v161, v160, v147
	s_delay_alu instid0(VALU_DEP_1) | instskip(NEXT) | instid1(VALU_DEP_1)
	v_dual_add_f32 v21, v21, v148 :: v_dual_mul_f32 v162, v151, v161
	v_fma_f32 v150, v161, v151, -v162
	s_delay_alu instid0(VALU_DEP_1) | instskip(NEXT) | instid1(VALU_DEP_1)
	v_fmac_f32_e32 v150, v161, v149
	v_add_f32_e32 v163, v162, v150
	s_delay_alu instid0(VALU_DEP_1) | instskip(SKIP_1) | instid1(VALU_DEP_2)
	v_sub_f32_e32 v164, v160, v163
	v_sub_f32_e32 v148, v163, v162
	;; [unrolled: 1-line block ×3, first 2 shown]
	s_delay_alu instid0(VALU_DEP_2) | instskip(NEXT) | instid1(VALU_DEP_2)
	v_sub_f32_e32 v148, v148, v150
	v_sub_f32_e32 v160, v160, v163
	s_delay_alu instid0(VALU_DEP_1) | instskip(NEXT) | instid1(VALU_DEP_1)
	v_add_f32_e32 v21, v21, v160
	v_add_f32_e32 v21, v148, v21
	s_delay_alu instid0(VALU_DEP_1) | instskip(NEXT) | instid1(VALU_DEP_1)
	v_add_f32_e32 v148, v164, v21
	v_mul_f32_e32 v150, v147, v148
	s_delay_alu instid0(VALU_DEP_1) | instskip(NEXT) | instid1(VALU_DEP_1)
	v_dual_sub_f32 v163, v164, v148 :: v_dual_mul_f32 v160, v151, v150
	v_add_f32_e32 v21, v21, v163
	s_delay_alu instid0(VALU_DEP_2) | instskip(NEXT) | instid1(VALU_DEP_1)
	v_fma_f32 v151, v150, v151, -v160
	v_fmac_f32_e32 v151, v150, v149
	s_delay_alu instid0(VALU_DEP_1) | instskip(NEXT) | instid1(VALU_DEP_1)
	v_add_f32_e32 v149, v160, v151
	v_sub_f32_e32 v162, v148, v149
	v_sub_f32_e32 v160, v149, v160
	s_delay_alu instid0(VALU_DEP_2) | instskip(NEXT) | instid1(VALU_DEP_1)
	v_sub_f32_e32 v148, v148, v162
	v_sub_f32_e32 v148, v148, v149
	s_delay_alu instid0(VALU_DEP_3) | instskip(NEXT) | instid1(VALU_DEP_2)
	v_sub_f32_e32 v149, v160, v151
	v_add_f32_e32 v21, v21, v148
	v_add_f32_e32 v148, v161, v150
	s_delay_alu instid0(VALU_DEP_2) | instskip(NEXT) | instid1(VALU_DEP_2)
	v_add_f32_e32 v21, v149, v21
	v_sub_f32_e32 v149, v148, v161
	s_delay_alu instid0(VALU_DEP_2) | instskip(NEXT) | instid1(VALU_DEP_2)
	v_add_f32_e32 v21, v162, v21
	v_sub_f32_e32 v149, v150, v149
	s_delay_alu instid0(VALU_DEP_2) | instskip(NEXT) | instid1(VALU_DEP_1)
	v_mul_f32_e32 v21, v147, v21
	v_add_f32_e32 v21, v149, v21
	s_delay_alu instid0(VALU_DEP_1) | instskip(NEXT) | instid1(VALU_DEP_1)
	v_add_f32_e32 v147, v148, v21
	v_mul_f32_e32 v149, v147, v147
	s_delay_alu instid0(VALU_DEP_1) | instskip(SKIP_2) | instid1(VALU_DEP_3)
	v_fmaak_f32 v150, s24, v149, 0x3ecc95a3
	v_mul_f32_e32 v151, v147, v149
	v_cmp_eq_f32_e64 s24, 0x7f800000, v146
	v_fmaak_f32 v149, v149, v150, 0x3f2aaada
	v_ldexp_f32 v150, v147, 1
	v_sub_f32_e32 v147, v147, v148
	s_delay_alu instid0(VALU_DEP_4) | instskip(NEXT) | instid1(VALU_DEP_3)
	s_or_b32 s24, s24, s27
	v_mul_f32_e32 v149, v151, v149
	v_mul_f32_e32 v151, 0x3f317218, v20
	s_delay_alu instid0(VALU_DEP_2) | instskip(NEXT) | instid1(VALU_DEP_1)
	v_dual_sub_f32 v21, v21, v147 :: v_dual_add_f32 v148, v150, v149
	v_ldexp_f32 v21, v21, 1
	s_delay_alu instid0(VALU_DEP_2) | instskip(NEXT) | instid1(VALU_DEP_4)
	v_sub_f32_e32 v147, v148, v150
	v_fma_f32 v150, 0x3f317218, v20, -v151
	s_delay_alu instid0(VALU_DEP_1) | instskip(NEXT) | instid1(VALU_DEP_1)
	v_dual_sub_f32 v147, v149, v147 :: v_dual_fmamk_f32 v20, v20, 0xb102e308, v150
	v_add_f32_e32 v21, v21, v147
	s_delay_alu instid0(VALU_DEP_2) | instskip(NEXT) | instid1(VALU_DEP_2)
	v_add_f32_e32 v147, v151, v20
	v_add_f32_e32 v149, v148, v21
	s_delay_alu instid0(VALU_DEP_2) | instskip(NEXT) | instid1(VALU_DEP_2)
	v_sub_f32_e32 v151, v147, v151
	v_add_f32_e32 v150, v147, v149
	v_sub_f32_e32 v148, v149, v148
	s_delay_alu instid0(VALU_DEP_3) | instskip(NEXT) | instid1(VALU_DEP_2)
	v_sub_f32_e32 v20, v20, v151
	v_dual_sub_f32 v160, v150, v147 :: v_dual_sub_f32 v21, v21, v148
	s_delay_alu instid0(VALU_DEP_1) | instskip(NEXT) | instid1(VALU_DEP_2)
	v_sub_f32_e32 v161, v150, v160
	v_dual_sub_f32 v148, v149, v160 :: v_dual_add_f32 v149, v20, v21
	s_delay_alu instid0(VALU_DEP_2) | instskip(NEXT) | instid1(VALU_DEP_1)
	v_sub_f32_e32 v147, v147, v161
	v_dual_add_f32 v147, v148, v147 :: v_dual_sub_f32 v148, v149, v20
	s_delay_alu instid0(VALU_DEP_1) | instskip(NEXT) | instid1(VALU_DEP_2)
	v_add_f32_e32 v147, v149, v147
	v_sub_f32_e32 v149, v149, v148
	v_sub_f32_e32 v21, v21, v148
	s_delay_alu instid0(VALU_DEP_2) | instskip(NEXT) | instid1(VALU_DEP_1)
	v_dual_add_f32 v151, v150, v147 :: v_dual_sub_f32 v20, v20, v149
	v_sub_f32_e32 v148, v151, v150
	s_delay_alu instid0(VALU_DEP_2) | instskip(NEXT) | instid1(VALU_DEP_2)
	v_add_f32_e32 v20, v21, v20
	v_sub_f32_e32 v21, v147, v148
	s_delay_alu instid0(VALU_DEP_1) | instskip(NEXT) | instid1(VALU_DEP_1)
	v_add_f32_e32 v20, v20, v21
	v_add_f32_e32 v20, v151, v20
	s_delay_alu instid0(VALU_DEP_1) | instskip(NEXT) | instid1(VALU_DEP_1)
	v_cndmask_b32_e64 v20, v20, v146, s24
	v_add_f32_e32 v20, v19, v20
.LBB453_118:
	s_or_b32 exec_lo, exec_lo, s25
	s_delay_alu instid0(VALU_DEP_1) | instskip(SKIP_1) | instid1(VALU_DEP_2)
	v_bfe_u32 v19, v20, 16, 1
	v_cmp_o_f32_e64 s24, v20, v20
	v_add3_u32 v19, v20, v19, 0x7fff
	s_delay_alu instid0(VALU_DEP_1) | instskip(NEXT) | instid1(VALU_DEP_1)
	v_lshrrev_b32_e32 v19, 16, v19
	v_cndmask_b32_e64 v19, 0x7fc0, v19, s24
	ds_store_b16 v18, v19 offset:2
.LBB453_119:
	s_or_b32 exec_lo, exec_lo, s26
	v_cmp_eq_u32_e64 s25, 0, v0
	v_cmp_ne_u32_e64 s24, 0, v0
	s_waitcnt lgkmcnt(0)
	s_barrier
	buffer_gl0_inv
	s_and_saveexec_b32 s26, s24
	s_cbranch_execz .LBB453_121
; %bb.120:
	v_add_nc_u32_e32 v18, -1, v0
	s_delay_alu instid0(VALU_DEP_1) | instskip(NEXT) | instid1(VALU_DEP_1)
	v_lshrrev_b32_e32 v19, 5, v18
	v_add_lshl_u32 v18, v19, v18, 1
	ds_load_u16 v145, v18
.LBB453_121:
	s_or_b32 exec_lo, exec_lo, s26
	s_and_saveexec_b32 s27, vcc_lo
	s_cbranch_execz .LBB453_184
; %bb.122:
	v_mov_b32_e32 v20, 0
	v_mbcnt_lo_u32_b32 v147, -1, 0
	s_mov_b32 vcc_hi, 0
	ds_load_u16 v146, v20 offset:128
	v_cmp_eq_u32_e64 s26, 0, v147
	s_delay_alu instid0(VALU_DEP_1)
	s_and_saveexec_b32 s30, s26
	s_cbranch_execz .LBB453_124
; %bb.123:
	s_add_i32 vcc_lo, s12, 32
	s_waitcnt lgkmcnt(0)
	v_or_b32_e32 v21, 0x10000, v146
	s_lshl_b64 vcc, vcc, 2
	s_delay_alu instid0(SALU_CYCLE_1)
	v_add_co_u32 v18, vcc_lo, v14, vcc_lo
	v_add_co_ci_u32_e32 v19, vcc_lo, vcc_hi, v15, vcc_lo
	flat_store_b32 v[18:19], v21
.LBB453_124:
	s_or_b32 exec_lo, exec_lo, s30
	v_xad_u32 v18, v147, -1, s12
	s_mov_b32 vcc_hi, exec_lo
	s_delay_alu instid0(VALU_DEP_1) | instskip(NEXT) | instid1(VALU_DEP_1)
	v_add_nc_u32_e32 v19, 32, v18
	v_lshlrev_b64 v[19:20], 2, v[19:20]
	s_delay_alu instid0(VALU_DEP_1) | instskip(NEXT) | instid1(VALU_DEP_2)
	v_add_co_u32 v19, vcc_lo, v14, v19
	v_add_co_ci_u32_e32 v20, vcc_lo, v15, v20, vcc_lo
	flat_load_b32 v21, v[19:20] glc
	s_waitcnt vmcnt(0) lgkmcnt(0)
	v_lshrrev_b32_e32 v148, 16, v21
	s_delay_alu instid0(VALU_DEP_1) | instskip(NEXT) | instid1(VALU_DEP_1)
	v_and_b32_e32 v149, 0xff, v148
	v_cmpx_eq_u16_e64 0, v149
	s_cbranch_execz .LBB453_128
; %bb.125:
	s_mov_b32 s30, 0
.LBB453_126:                            ; =>This Inner Loop Header: Depth=1
	flat_load_b32 v21, v[19:20] glc
	s_waitcnt vmcnt(0) lgkmcnt(0)
	v_lshrrev_b32_e32 v148, 16, v21
	s_delay_alu instid0(VALU_DEP_1) | instskip(NEXT) | instid1(VALU_DEP_1)
	v_and_b32_e32 v149, 0xff, v148
	v_cmp_ne_u16_e64 vcc_lo, 0, v149
	s_delay_alu instid0(VALU_DEP_1) | instskip(NEXT) | instid1(SALU_CYCLE_1)
	s_or_b32 s30, vcc_lo, s30
	s_and_not1_b32 exec_lo, exec_lo, s30
	s_cbranch_execnz .LBB453_126
; %bb.127:
	s_or_b32 exec_lo, exec_lo, s30
.LBB453_128:
	s_delay_alu instid0(SALU_CYCLE_1)
	s_or_b32 exec_lo, exec_lo, vcc_hi
	v_cmp_ne_u32_e32 vcc_lo, 31, v147
	v_and_b32_e32 v20, 0xffff, v21
	v_and_b32_e32 v150, 0xff, v148
	s_mov_b32 vcc_hi, exec_lo
	v_add_co_ci_u32_e32 v19, vcc_lo, 0, v147, vcc_lo
	s_delay_alu instid0(VALU_DEP_2) | instskip(SKIP_1) | instid1(VALU_DEP_3)
	v_cmp_eq_u16_e64 vcc_lo, 2, v150
	v_lshlrev_b32_e64 v150, v147, -1
	v_lshlrev_b32_e32 v149, 2, v19
	s_delay_alu instid0(VALU_DEP_2) | instskip(SKIP_2) | instid1(VALU_DEP_1)
	v_and_or_b32 v19, vcc_lo, v150, 0x80000000
	ds_bpermute_b32 v151, v149, v20
	v_ctz_i32_b32_e32 v19, v19
	v_cmpx_lt_u32_e64 v147, v19
	s_cbranch_execz .LBB453_132
; %bb.129:
	s_waitcnt lgkmcnt(0)
	v_lshlrev_b32_e32 v21, 16, v151
	s_delay_alu instid0(VALU_DEP_1) | instskip(SKIP_2) | instid1(VALU_DEP_2)
	v_max_f32_e32 v160, v21, v21
	v_lshlrev_b32_e32 v20, 16, v20
	v_cmp_u_f32_e32 vcc_lo, v21, v21
	v_max_f32_e32 v151, v20, v20
	s_delay_alu instid0(VALU_DEP_1) | instskip(NEXT) | instid1(VALU_DEP_1)
	v_min_f32_e32 v161, v160, v151
	v_dual_max_f32 v151, v160, v151 :: v_dual_cndmask_b32 v160, v161, v21
	s_delay_alu instid0(VALU_DEP_1) | instskip(SKIP_1) | instid1(VALU_DEP_3)
	v_cndmask_b32_e32 v161, v151, v21, vcc_lo
	v_cmp_u_f32_e32 vcc_lo, v20, v20
	v_cndmask_b32_e32 v151, v160, v20, vcc_lo
	s_delay_alu instid0(VALU_DEP_3) | instskip(NEXT) | instid1(VALU_DEP_2)
	v_cndmask_b32_e32 v20, v161, v20, vcc_lo
	v_cmp_class_f32_e64 s30, v151, 0x1f8
	s_delay_alu instid0(VALU_DEP_2) | instskip(NEXT) | instid1(VALU_DEP_2)
	v_cmp_neq_f32_e32 vcc_lo, v151, v20
	s_or_b32 vcc_lo, vcc_lo, s30
	s_delay_alu instid0(SALU_CYCLE_1)
	s_and_saveexec_b32 s30, vcc_lo
	s_cbranch_execz .LBB453_131
; %bb.130:
	v_sub_f32_e32 v21, v151, v20
	s_mov_b32 s31, 0x3e9b6dac
	s_delay_alu instid0(VALU_DEP_1) | instskip(SKIP_1) | instid1(VALU_DEP_2)
	v_mul_f32_e32 v151, 0x3fb8aa3b, v21
	v_cmp_ngt_f32_e32 vcc_lo, 0xc2ce8ed0, v21
	v_fma_f32 v160, 0x3fb8aa3b, v21, -v151
	v_rndne_f32_e32 v161, v151
	s_delay_alu instid0(VALU_DEP_1) | instskip(NEXT) | instid1(VALU_DEP_1)
	v_dual_fmamk_f32 v160, v21, 0x32a5705f, v160 :: v_dual_sub_f32 v151, v151, v161
	v_add_f32_e32 v151, v151, v160
	v_cvt_i32_f32_e32 v160, v161
	s_delay_alu instid0(VALU_DEP_2) | instskip(SKIP_2) | instid1(VALU_DEP_1)
	v_exp_f32_e32 v151, v151
	s_waitcnt_depctr 0xfff
	v_ldexp_f32 v151, v151, v160
	v_cndmask_b32_e32 v151, 0, v151, vcc_lo
	v_cmp_nlt_f32_e32 vcc_lo, 0x42b17218, v21
	s_delay_alu instid0(VALU_DEP_2) | instskip(NEXT) | instid1(VALU_DEP_1)
	v_cndmask_b32_e32 v21, 0x7f800000, v151, vcc_lo
	v_add_f32_e32 v151, 1.0, v21
	s_delay_alu instid0(VALU_DEP_1) | instskip(NEXT) | instid1(VALU_DEP_1)
	v_cvt_f64_f32_e32 v[160:161], v151
	v_frexp_exp_i32_f64_e32 v160, v[160:161]
	v_frexp_mant_f32_e32 v161, v151
	s_delay_alu instid0(VALU_DEP_1) | instskip(SKIP_1) | instid1(VALU_DEP_1)
	v_cmp_gt_f32_e32 vcc_lo, 0x3f2aaaab, v161
	v_add_f32_e32 v161, -1.0, v151
	v_sub_f32_e32 v163, v161, v151
	s_delay_alu instid0(VALU_DEP_1) | instskip(SKIP_1) | instid1(VALU_DEP_1)
	v_add_f32_e32 v163, 1.0, v163
	v_subrev_co_ci_u32_e32 v160, vcc_lo, 0, v160, vcc_lo
	v_sub_nc_u32_e32 v162, 0, v160
	v_cvt_f32_i32_e32 v160, v160
	s_delay_alu instid0(VALU_DEP_2) | instskip(NEXT) | instid1(VALU_DEP_1)
	v_ldexp_f32 v151, v151, v162
	v_dual_sub_f32 v161, v21, v161 :: v_dual_add_f32 v164, 1.0, v151
	s_delay_alu instid0(VALU_DEP_1) | instskip(NEXT) | instid1(VALU_DEP_1)
	v_add_f32_e32 v161, v161, v163
	v_ldexp_f32 v161, v161, v162
	s_delay_alu instid0(VALU_DEP_3) | instskip(NEXT) | instid1(VALU_DEP_1)
	v_dual_add_f32 v162, -1.0, v151 :: v_dual_add_f32 v163, -1.0, v164
	v_add_f32_e32 v165, 1.0, v162
	s_delay_alu instid0(VALU_DEP_2) | instskip(NEXT) | instid1(VALU_DEP_2)
	v_sub_f32_e32 v163, v151, v163
	v_sub_f32_e32 v151, v151, v165
	s_delay_alu instid0(VALU_DEP_2) | instskip(NEXT) | instid1(VALU_DEP_2)
	v_add_f32_e32 v163, v161, v163
	v_add_f32_e32 v151, v161, v151
	s_delay_alu instid0(VALU_DEP_2) | instskip(NEXT) | instid1(VALU_DEP_2)
	v_add_f32_e32 v165, v164, v163
	v_add_f32_e32 v166, v162, v151
	s_delay_alu instid0(VALU_DEP_2) | instskip(SKIP_1) | instid1(VALU_DEP_2)
	v_rcp_f32_e32 v161, v165
	v_sub_f32_e32 v164, v164, v165
	v_sub_f32_e32 v162, v162, v166
	v_cmp_eq_f32_e32 vcc_lo, 0x7f800000, v21
	s_delay_alu instid0(VALU_DEP_3) | instskip(NEXT) | instid1(VALU_DEP_3)
	v_add_f32_e32 v163, v163, v164
	v_add_f32_e32 v151, v151, v162
	s_waitcnt_depctr 0xfff
	v_mul_f32_e32 v167, v166, v161
	s_delay_alu instid0(VALU_DEP_1) | instskip(NEXT) | instid1(VALU_DEP_1)
	v_mul_f32_e32 v176, v165, v167
	v_fma_f32 v164, v167, v165, -v176
	s_delay_alu instid0(VALU_DEP_1) | instskip(NEXT) | instid1(VALU_DEP_1)
	v_fmac_f32_e32 v164, v167, v163
	v_add_f32_e32 v177, v176, v164
	s_delay_alu instid0(VALU_DEP_1) | instskip(SKIP_1) | instid1(VALU_DEP_2)
	v_sub_f32_e32 v178, v166, v177
	v_sub_f32_e32 v162, v177, v176
	;; [unrolled: 1-line block ×3, first 2 shown]
	s_delay_alu instid0(VALU_DEP_2) | instskip(NEXT) | instid1(VALU_DEP_2)
	v_sub_f32_e32 v162, v162, v164
	v_sub_f32_e32 v166, v166, v177
	s_delay_alu instid0(VALU_DEP_1) | instskip(NEXT) | instid1(VALU_DEP_1)
	v_add_f32_e32 v151, v151, v166
	v_add_f32_e32 v151, v162, v151
	s_delay_alu instid0(VALU_DEP_1) | instskip(NEXT) | instid1(VALU_DEP_1)
	v_add_f32_e32 v162, v178, v151
	v_mul_f32_e32 v164, v161, v162
	s_delay_alu instid0(VALU_DEP_1) | instskip(NEXT) | instid1(VALU_DEP_1)
	v_dual_sub_f32 v177, v178, v162 :: v_dual_mul_f32 v166, v165, v164
	v_add_f32_e32 v151, v151, v177
	s_delay_alu instid0(VALU_DEP_2) | instskip(NEXT) | instid1(VALU_DEP_1)
	v_fma_f32 v165, v164, v165, -v166
	v_fmac_f32_e32 v165, v164, v163
	s_delay_alu instid0(VALU_DEP_1) | instskip(NEXT) | instid1(VALU_DEP_1)
	v_add_f32_e32 v163, v166, v165
	v_sub_f32_e32 v176, v162, v163
	v_sub_f32_e32 v166, v163, v166
	s_delay_alu instid0(VALU_DEP_2) | instskip(NEXT) | instid1(VALU_DEP_1)
	v_sub_f32_e32 v162, v162, v176
	v_sub_f32_e32 v162, v162, v163
	s_delay_alu instid0(VALU_DEP_3) | instskip(NEXT) | instid1(VALU_DEP_2)
	v_sub_f32_e32 v163, v166, v165
	v_add_f32_e32 v151, v151, v162
	v_add_f32_e32 v162, v167, v164
	s_delay_alu instid0(VALU_DEP_2) | instskip(NEXT) | instid1(VALU_DEP_2)
	v_add_f32_e32 v151, v163, v151
	v_sub_f32_e32 v163, v162, v167
	s_delay_alu instid0(VALU_DEP_2) | instskip(NEXT) | instid1(VALU_DEP_2)
	v_add_f32_e32 v151, v176, v151
	v_sub_f32_e32 v163, v164, v163
	s_delay_alu instid0(VALU_DEP_2) | instskip(NEXT) | instid1(VALU_DEP_1)
	v_mul_f32_e32 v151, v161, v151
	v_add_f32_e32 v151, v163, v151
	s_delay_alu instid0(VALU_DEP_1) | instskip(NEXT) | instid1(VALU_DEP_1)
	v_add_f32_e32 v161, v162, v151
	v_mul_f32_e32 v163, v161, v161
	s_delay_alu instid0(VALU_DEP_1) | instskip(SKIP_2) | instid1(VALU_DEP_3)
	v_fmaak_f32 v164, s31, v163, 0x3ecc95a3
	v_mul_f32_e32 v165, v161, v163
	v_cmp_gt_f32_e64 s31, 0x33800000, |v21|
	v_fmaak_f32 v163, v163, v164, 0x3f2aaada
	v_ldexp_f32 v164, v161, 1
	v_sub_f32_e32 v161, v161, v162
	s_delay_alu instid0(VALU_DEP_4) | instskip(NEXT) | instid1(VALU_DEP_3)
	s_or_b32 vcc_lo, vcc_lo, s31
	v_mul_f32_e32 v163, v165, v163
	v_mul_f32_e32 v165, 0x3f317218, v160
	s_delay_alu instid0(VALU_DEP_2) | instskip(NEXT) | instid1(VALU_DEP_1)
	v_dual_sub_f32 v151, v151, v161 :: v_dual_add_f32 v162, v164, v163
	v_ldexp_f32 v151, v151, 1
	s_delay_alu instid0(VALU_DEP_2) | instskip(NEXT) | instid1(VALU_DEP_4)
	v_sub_f32_e32 v161, v162, v164
	v_fma_f32 v164, 0x3f317218, v160, -v165
	s_delay_alu instid0(VALU_DEP_1) | instskip(NEXT) | instid1(VALU_DEP_1)
	v_dual_sub_f32 v161, v163, v161 :: v_dual_fmamk_f32 v160, v160, 0xb102e308, v164
	v_add_f32_e32 v151, v151, v161
	s_delay_alu instid0(VALU_DEP_2) | instskip(NEXT) | instid1(VALU_DEP_2)
	v_add_f32_e32 v161, v165, v160
	v_add_f32_e32 v163, v162, v151
	s_delay_alu instid0(VALU_DEP_2) | instskip(NEXT) | instid1(VALU_DEP_2)
	v_sub_f32_e32 v165, v161, v165
	v_add_f32_e32 v164, v161, v163
	v_sub_f32_e32 v162, v163, v162
	s_delay_alu instid0(VALU_DEP_3) | instskip(NEXT) | instid1(VALU_DEP_2)
	v_sub_f32_e32 v160, v160, v165
	v_dual_sub_f32 v166, v164, v161 :: v_dual_sub_f32 v151, v151, v162
	s_delay_alu instid0(VALU_DEP_1) | instskip(NEXT) | instid1(VALU_DEP_2)
	v_sub_f32_e32 v167, v164, v166
	v_dual_sub_f32 v162, v163, v166 :: v_dual_add_f32 v163, v160, v151
	s_delay_alu instid0(VALU_DEP_2) | instskip(NEXT) | instid1(VALU_DEP_1)
	v_sub_f32_e32 v161, v161, v167
	v_dual_add_f32 v161, v162, v161 :: v_dual_sub_f32 v162, v163, v160
	s_delay_alu instid0(VALU_DEP_1) | instskip(NEXT) | instid1(VALU_DEP_2)
	v_add_f32_e32 v161, v163, v161
	v_sub_f32_e32 v163, v163, v162
	v_sub_f32_e32 v151, v151, v162
	s_delay_alu instid0(VALU_DEP_3) | instskip(NEXT) | instid1(VALU_DEP_3)
	v_add_f32_e32 v165, v164, v161
	v_sub_f32_e32 v160, v160, v163
	s_delay_alu instid0(VALU_DEP_2) | instskip(NEXT) | instid1(VALU_DEP_1)
	v_sub_f32_e32 v162, v165, v164
	v_dual_add_f32 v151, v151, v160 :: v_dual_sub_f32 v160, v161, v162
	s_delay_alu instid0(VALU_DEP_1) | instskip(NEXT) | instid1(VALU_DEP_1)
	v_add_f32_e32 v151, v151, v160
	v_add_f32_e32 v151, v165, v151
	s_delay_alu instid0(VALU_DEP_1) | instskip(NEXT) | instid1(VALU_DEP_1)
	v_cndmask_b32_e32 v21, v151, v21, vcc_lo
	v_add_f32_e32 v21, v20, v21
.LBB453_131:
	s_or_b32 exec_lo, exec_lo, s30
	s_delay_alu instid0(VALU_DEP_1) | instskip(SKIP_1) | instid1(VALU_DEP_2)
	v_bfe_u32 v20, v21, 16, 1
	v_cmp_o_f32_e32 vcc_lo, v21, v21
	v_add3_u32 v20, v21, v20, 0x7fff
	s_delay_alu instid0(VALU_DEP_1) | instskip(NEXT) | instid1(VALU_DEP_1)
	v_lshrrev_b32_e32 v20, 16, v20
	v_cndmask_b32_e32 v21, 0x7fc0, v20, vcc_lo
	s_delay_alu instid0(VALU_DEP_1)
	v_and_b32_e32 v20, 0xffff, v21
.LBB453_132:
	s_or_b32 exec_lo, exec_lo, vcc_hi
	v_cmp_gt_u32_e32 vcc_lo, 30, v147
	v_add_nc_u32_e32 v160, 2, v147
	s_mov_b32 vcc_hi, exec_lo
	s_waitcnt lgkmcnt(0)
	v_cndmask_b32_e64 v151, 0, 1, vcc_lo
	s_delay_alu instid0(VALU_DEP_1) | instskip(NEXT) | instid1(VALU_DEP_1)
	v_lshlrev_b32_e32 v151, 1, v151
	v_add_lshl_u32 v151, v151, v147, 2
	ds_bpermute_b32 v161, v151, v20
	v_cmpx_le_u32_e64 v160, v19
	s_cbranch_execz .LBB453_136
; %bb.133:
	s_waitcnt lgkmcnt(0)
	v_lshlrev_b32_e32 v21, 16, v161
	s_delay_alu instid0(VALU_DEP_1) | instskip(SKIP_2) | instid1(VALU_DEP_2)
	v_max_f32_e32 v162, v21, v21
	v_lshlrev_b32_e32 v20, 16, v20
	v_cmp_u_f32_e32 vcc_lo, v21, v21
	v_max_f32_e32 v161, v20, v20
	s_delay_alu instid0(VALU_DEP_1) | instskip(SKIP_1) | instid1(VALU_DEP_2)
	v_min_f32_e32 v163, v162, v161
	v_max_f32_e32 v161, v162, v161
	v_cndmask_b32_e32 v162, v163, v21, vcc_lo
	s_delay_alu instid0(VALU_DEP_2) | instskip(SKIP_1) | instid1(VALU_DEP_3)
	v_cndmask_b32_e32 v163, v161, v21, vcc_lo
	v_cmp_u_f32_e32 vcc_lo, v20, v20
	v_cndmask_b32_e32 v161, v162, v20, vcc_lo
	s_delay_alu instid0(VALU_DEP_3) | instskip(NEXT) | instid1(VALU_DEP_2)
	v_cndmask_b32_e32 v20, v163, v20, vcc_lo
	v_cmp_class_f32_e64 s30, v161, 0x1f8
	s_delay_alu instid0(VALU_DEP_2) | instskip(NEXT) | instid1(VALU_DEP_2)
	v_cmp_neq_f32_e32 vcc_lo, v161, v20
	s_or_b32 vcc_lo, vcc_lo, s30
	s_delay_alu instid0(SALU_CYCLE_1)
	s_and_saveexec_b32 s30, vcc_lo
	s_cbranch_execz .LBB453_135
; %bb.134:
	v_sub_f32_e32 v21, v161, v20
	s_mov_b32 s31, 0x3e9b6dac
	s_delay_alu instid0(VALU_DEP_1) | instskip(SKIP_1) | instid1(VALU_DEP_2)
	v_mul_f32_e32 v161, 0x3fb8aa3b, v21
	v_cmp_ngt_f32_e32 vcc_lo, 0xc2ce8ed0, v21
	v_fma_f32 v162, 0x3fb8aa3b, v21, -v161
	v_rndne_f32_e32 v163, v161
	s_delay_alu instid0(VALU_DEP_2) | instskip(NEXT) | instid1(VALU_DEP_2)
	v_fmamk_f32 v162, v21, 0x32a5705f, v162
	v_sub_f32_e32 v161, v161, v163
	s_delay_alu instid0(VALU_DEP_1) | instskip(SKIP_1) | instid1(VALU_DEP_2)
	v_add_f32_e32 v161, v161, v162
	v_cvt_i32_f32_e32 v162, v163
	v_exp_f32_e32 v161, v161
	s_waitcnt_depctr 0xfff
	v_ldexp_f32 v161, v161, v162
	s_delay_alu instid0(VALU_DEP_1) | instskip(SKIP_1) | instid1(VALU_DEP_2)
	v_cndmask_b32_e32 v161, 0, v161, vcc_lo
	v_cmp_nlt_f32_e32 vcc_lo, 0x42b17218, v21
	v_cndmask_b32_e32 v21, 0x7f800000, v161, vcc_lo
	s_delay_alu instid0(VALU_DEP_1) | instskip(NEXT) | instid1(VALU_DEP_1)
	v_add_f32_e32 v163, 1.0, v21
	v_cvt_f64_f32_e32 v[161:162], v163
	s_delay_alu instid0(VALU_DEP_1) | instskip(SKIP_1) | instid1(VALU_DEP_1)
	v_frexp_exp_i32_f64_e32 v161, v[161:162]
	v_frexp_mant_f32_e32 v162, v163
	v_cmp_gt_f32_e32 vcc_lo, 0x3f2aaaab, v162
	v_add_f32_e32 v162, -1.0, v163
	s_delay_alu instid0(VALU_DEP_1) | instskip(NEXT) | instid1(VALU_DEP_1)
	v_dual_sub_f32 v165, v162, v163 :: v_dual_sub_f32 v162, v21, v162
	v_add_f32_e32 v165, 1.0, v165
	s_delay_alu instid0(VALU_DEP_1) | instskip(SKIP_1) | instid1(VALU_DEP_1)
	v_add_f32_e32 v162, v162, v165
	v_subrev_co_ci_u32_e32 v161, vcc_lo, 0, v161, vcc_lo
	v_sub_nc_u32_e32 v164, 0, v161
	v_cvt_f32_i32_e32 v161, v161
	s_delay_alu instid0(VALU_DEP_2) | instskip(SKIP_1) | instid1(VALU_DEP_2)
	v_ldexp_f32 v163, v163, v164
	v_ldexp_f32 v162, v162, v164
	v_add_f32_e32 v166, 1.0, v163
	v_add_f32_e32 v164, -1.0, v163
	v_cmp_eq_f32_e32 vcc_lo, 0x7f800000, v21
	s_delay_alu instid0(VALU_DEP_3) | instskip(NEXT) | instid1(VALU_DEP_3)
	v_add_f32_e32 v165, -1.0, v166
	v_add_f32_e32 v167, 1.0, v164
	s_delay_alu instid0(VALU_DEP_2) | instskip(NEXT) | instid1(VALU_DEP_2)
	v_sub_f32_e32 v165, v163, v165
	v_sub_f32_e32 v163, v163, v167
	s_delay_alu instid0(VALU_DEP_2) | instskip(NEXT) | instid1(VALU_DEP_2)
	v_add_f32_e32 v165, v162, v165
	v_add_f32_e32 v162, v162, v163
	s_delay_alu instid0(VALU_DEP_1) | instskip(NEXT) | instid1(VALU_DEP_1)
	v_add_f32_e32 v176, v164, v162
	v_dual_sub_f32 v164, v164, v176 :: v_dual_add_f32 v167, v166, v165
	s_delay_alu instid0(VALU_DEP_1) | instskip(NEXT) | instid1(VALU_DEP_2)
	v_add_f32_e32 v162, v162, v164
	v_rcp_f32_e32 v163, v167
	v_sub_f32_e32 v166, v166, v167
	s_delay_alu instid0(VALU_DEP_1) | instskip(SKIP_2) | instid1(VALU_DEP_1)
	v_add_f32_e32 v165, v165, v166
	s_waitcnt_depctr 0xfff
	v_mul_f32_e32 v177, v176, v163
	v_mul_f32_e32 v178, v167, v177
	s_delay_alu instid0(VALU_DEP_1) | instskip(NEXT) | instid1(VALU_DEP_1)
	v_fma_f32 v166, v177, v167, -v178
	v_fmac_f32_e32 v166, v177, v165
	s_delay_alu instid0(VALU_DEP_1) | instskip(NEXT) | instid1(VALU_DEP_1)
	v_add_f32_e32 v179, v178, v166
	v_sub_f32_e32 v180, v176, v179
	v_sub_f32_e32 v164, v179, v178
	s_delay_alu instid0(VALU_DEP_2) | instskip(NEXT) | instid1(VALU_DEP_1)
	v_sub_f32_e32 v176, v176, v180
	v_sub_f32_e32 v176, v176, v179
	s_delay_alu instid0(VALU_DEP_3) | instskip(NEXT) | instid1(VALU_DEP_2)
	v_sub_f32_e32 v164, v164, v166
	v_add_f32_e32 v162, v162, v176
	s_delay_alu instid0(VALU_DEP_1) | instskip(NEXT) | instid1(VALU_DEP_1)
	v_add_f32_e32 v162, v164, v162
	v_add_f32_e32 v164, v180, v162
	s_delay_alu instid0(VALU_DEP_1) | instskip(NEXT) | instid1(VALU_DEP_1)
	v_mul_f32_e32 v166, v163, v164
	v_dual_sub_f32 v179, v180, v164 :: v_dual_mul_f32 v176, v167, v166
	s_delay_alu instid0(VALU_DEP_1) | instskip(NEXT) | instid1(VALU_DEP_2)
	v_add_f32_e32 v162, v162, v179
	v_fma_f32 v167, v166, v167, -v176
	s_delay_alu instid0(VALU_DEP_1) | instskip(NEXT) | instid1(VALU_DEP_1)
	v_fmac_f32_e32 v167, v166, v165
	v_add_f32_e32 v165, v176, v167
	s_delay_alu instid0(VALU_DEP_1) | instskip(NEXT) | instid1(VALU_DEP_1)
	v_sub_f32_e32 v178, v164, v165
	v_sub_f32_e32 v164, v164, v178
	s_delay_alu instid0(VALU_DEP_1) | instskip(NEXT) | instid1(VALU_DEP_1)
	v_sub_f32_e32 v164, v164, v165
	v_add_f32_e32 v162, v162, v164
	v_add_f32_e32 v164, v177, v166
	v_sub_f32_e32 v176, v165, v176
	s_delay_alu instid0(VALU_DEP_1) | instskip(NEXT) | instid1(VALU_DEP_1)
	v_sub_f32_e32 v165, v176, v167
	v_dual_add_f32 v162, v165, v162 :: v_dual_sub_f32 v165, v164, v177
	s_delay_alu instid0(VALU_DEP_1) | instskip(NEXT) | instid1(VALU_DEP_1)
	v_add_f32_e32 v162, v178, v162
	v_dual_sub_f32 v165, v166, v165 :: v_dual_mul_f32 v162, v163, v162
	s_delay_alu instid0(VALU_DEP_1) | instskip(NEXT) | instid1(VALU_DEP_1)
	v_add_f32_e32 v162, v165, v162
	v_add_f32_e32 v163, v164, v162
	s_delay_alu instid0(VALU_DEP_1) | instskip(NEXT) | instid1(VALU_DEP_1)
	v_mul_f32_e32 v165, v163, v163
	v_fmaak_f32 v166, s31, v165, 0x3ecc95a3
	v_mul_f32_e32 v167, v163, v165
	v_cmp_gt_f32_e64 s31, 0x33800000, |v21|
	s_delay_alu instid0(VALU_DEP_3) | instskip(SKIP_1) | instid1(VALU_DEP_3)
	v_fmaak_f32 v165, v165, v166, 0x3f2aaada
	v_ldexp_f32 v166, v163, 1
	s_or_b32 vcc_lo, vcc_lo, s31
	s_delay_alu instid0(VALU_DEP_2) | instskip(SKIP_1) | instid1(VALU_DEP_2)
	v_mul_f32_e32 v165, v167, v165
	v_mul_f32_e32 v167, 0x3f317218, v161
	v_dual_sub_f32 v163, v163, v164 :: v_dual_add_f32 v164, v166, v165
	s_delay_alu instid0(VALU_DEP_1) | instskip(NEXT) | instid1(VALU_DEP_3)
	v_dual_sub_f32 v162, v162, v163 :: v_dual_sub_f32 v163, v164, v166
	v_fma_f32 v166, 0x3f317218, v161, -v167
	s_delay_alu instid0(VALU_DEP_2) | instskip(NEXT) | instid1(VALU_DEP_3)
	v_ldexp_f32 v162, v162, 1
	v_sub_f32_e32 v163, v165, v163
	s_delay_alu instid0(VALU_DEP_1) | instskip(NEXT) | instid1(VALU_DEP_1)
	v_dual_fmamk_f32 v161, v161, 0xb102e308, v166 :: v_dual_add_f32 v162, v162, v163
	v_add_f32_e32 v163, v167, v161
	s_delay_alu instid0(VALU_DEP_1) | instskip(NEXT) | instid1(VALU_DEP_3)
	v_sub_f32_e32 v167, v163, v167
	v_add_f32_e32 v165, v164, v162
	s_delay_alu instid0(VALU_DEP_1) | instskip(SKIP_1) | instid1(VALU_DEP_2)
	v_dual_sub_f32 v161, v161, v167 :: v_dual_add_f32 v166, v163, v165
	v_sub_f32_e32 v164, v165, v164
	v_sub_f32_e32 v176, v166, v163
	s_delay_alu instid0(VALU_DEP_1) | instskip(NEXT) | instid1(VALU_DEP_1)
	v_sub_f32_e32 v177, v166, v176
	v_dual_sub_f32 v163, v163, v177 :: v_dual_sub_f32 v162, v162, v164
	v_sub_f32_e32 v164, v165, v176
	s_delay_alu instid0(VALU_DEP_1) | instskip(NEXT) | instid1(VALU_DEP_3)
	v_add_f32_e32 v163, v164, v163
	v_add_f32_e32 v165, v161, v162
	s_delay_alu instid0(VALU_DEP_1) | instskip(NEXT) | instid1(VALU_DEP_1)
	v_sub_f32_e32 v164, v165, v161
	v_dual_add_f32 v163, v165, v163 :: v_dual_sub_f32 v162, v162, v164
	s_delay_alu instid0(VALU_DEP_1) | instskip(NEXT) | instid1(VALU_DEP_1)
	v_add_f32_e32 v167, v166, v163
	v_dual_sub_f32 v165, v165, v164 :: v_dual_sub_f32 v164, v167, v166
	s_delay_alu instid0(VALU_DEP_1) | instskip(NEXT) | instid1(VALU_DEP_1)
	v_sub_f32_e32 v161, v161, v165
	v_dual_add_f32 v161, v162, v161 :: v_dual_sub_f32 v162, v163, v164
	s_delay_alu instid0(VALU_DEP_1) | instskip(NEXT) | instid1(VALU_DEP_1)
	v_add_f32_e32 v161, v161, v162
	v_add_f32_e32 v161, v167, v161
	s_delay_alu instid0(VALU_DEP_1) | instskip(NEXT) | instid1(VALU_DEP_1)
	v_cndmask_b32_e32 v21, v161, v21, vcc_lo
	v_add_f32_e32 v21, v20, v21
.LBB453_135:
	s_or_b32 exec_lo, exec_lo, s30
	s_delay_alu instid0(VALU_DEP_1) | instskip(SKIP_1) | instid1(VALU_DEP_2)
	v_bfe_u32 v20, v21, 16, 1
	v_cmp_o_f32_e32 vcc_lo, v21, v21
	v_add3_u32 v20, v21, v20, 0x7fff
	s_delay_alu instid0(VALU_DEP_1) | instskip(NEXT) | instid1(VALU_DEP_1)
	v_lshrrev_b32_e32 v20, 16, v20
	v_cndmask_b32_e32 v21, 0x7fc0, v20, vcc_lo
	s_delay_alu instid0(VALU_DEP_1)
	v_and_b32_e32 v20, 0xffff, v21
.LBB453_136:
	s_or_b32 exec_lo, exec_lo, vcc_hi
	v_cmp_gt_u32_e32 vcc_lo, 28, v147
	v_add_nc_u32_e32 v162, 4, v147
	s_mov_b32 vcc_hi, exec_lo
	s_waitcnt lgkmcnt(0)
	v_cndmask_b32_e64 v161, 0, 1, vcc_lo
	s_delay_alu instid0(VALU_DEP_1) | instskip(NEXT) | instid1(VALU_DEP_1)
	v_lshlrev_b32_e32 v161, 2, v161
	v_add_lshl_u32 v161, v161, v147, 2
	ds_bpermute_b32 v163, v161, v20
	v_cmpx_le_u32_e64 v162, v19
	s_cbranch_execz .LBB453_140
; %bb.137:
	s_waitcnt lgkmcnt(0)
	v_lshlrev_b32_e32 v21, 16, v163
	s_delay_alu instid0(VALU_DEP_1) | instskip(SKIP_2) | instid1(VALU_DEP_2)
	v_max_f32_e32 v164, v21, v21
	v_lshlrev_b32_e32 v20, 16, v20
	v_cmp_u_f32_e32 vcc_lo, v21, v21
	v_max_f32_e32 v163, v20, v20
	s_delay_alu instid0(VALU_DEP_1) | instskip(NEXT) | instid1(VALU_DEP_1)
	v_min_f32_e32 v165, v164, v163
	v_dual_max_f32 v163, v164, v163 :: v_dual_cndmask_b32 v164, v165, v21
	s_delay_alu instid0(VALU_DEP_1) | instskip(SKIP_1) | instid1(VALU_DEP_3)
	v_cndmask_b32_e32 v165, v163, v21, vcc_lo
	v_cmp_u_f32_e32 vcc_lo, v20, v20
	v_cndmask_b32_e32 v163, v164, v20, vcc_lo
	s_delay_alu instid0(VALU_DEP_3) | instskip(NEXT) | instid1(VALU_DEP_2)
	v_cndmask_b32_e32 v20, v165, v20, vcc_lo
	v_cmp_class_f32_e64 s30, v163, 0x1f8
	s_delay_alu instid0(VALU_DEP_2) | instskip(NEXT) | instid1(VALU_DEP_2)
	v_cmp_neq_f32_e32 vcc_lo, v163, v20
	s_or_b32 vcc_lo, vcc_lo, s30
	s_delay_alu instid0(SALU_CYCLE_1)
	s_and_saveexec_b32 s30, vcc_lo
	s_cbranch_execz .LBB453_139
; %bb.138:
	v_sub_f32_e32 v21, v163, v20
	s_mov_b32 s31, 0x3e9b6dac
	s_delay_alu instid0(VALU_DEP_1) | instskip(SKIP_1) | instid1(VALU_DEP_2)
	v_mul_f32_e32 v163, 0x3fb8aa3b, v21
	v_cmp_ngt_f32_e32 vcc_lo, 0xc2ce8ed0, v21
	v_fma_f32 v164, 0x3fb8aa3b, v21, -v163
	v_rndne_f32_e32 v165, v163
	s_delay_alu instid0(VALU_DEP_1) | instskip(NEXT) | instid1(VALU_DEP_1)
	v_dual_fmamk_f32 v164, v21, 0x32a5705f, v164 :: v_dual_sub_f32 v163, v163, v165
	v_add_f32_e32 v163, v163, v164
	v_cvt_i32_f32_e32 v164, v165
	s_delay_alu instid0(VALU_DEP_2) | instskip(SKIP_2) | instid1(VALU_DEP_1)
	v_exp_f32_e32 v163, v163
	s_waitcnt_depctr 0xfff
	v_ldexp_f32 v163, v163, v164
	v_cndmask_b32_e32 v163, 0, v163, vcc_lo
	v_cmp_nlt_f32_e32 vcc_lo, 0x42b17218, v21
	s_delay_alu instid0(VALU_DEP_2) | instskip(NEXT) | instid1(VALU_DEP_1)
	v_cndmask_b32_e32 v21, 0x7f800000, v163, vcc_lo
	v_add_f32_e32 v165, 1.0, v21
	s_delay_alu instid0(VALU_DEP_1) | instskip(NEXT) | instid1(VALU_DEP_1)
	v_cvt_f64_f32_e32 v[163:164], v165
	v_frexp_exp_i32_f64_e32 v163, v[163:164]
	v_frexp_mant_f32_e32 v164, v165
	s_delay_alu instid0(VALU_DEP_1) | instskip(SKIP_1) | instid1(VALU_DEP_1)
	v_cmp_gt_f32_e32 vcc_lo, 0x3f2aaaab, v164
	v_add_f32_e32 v164, -1.0, v165
	v_dual_sub_f32 v167, v164, v165 :: v_dual_sub_f32 v164, v21, v164
	s_delay_alu instid0(VALU_DEP_1) | instskip(NEXT) | instid1(VALU_DEP_1)
	v_add_f32_e32 v167, 1.0, v167
	v_add_f32_e32 v164, v164, v167
	v_subrev_co_ci_u32_e32 v163, vcc_lo, 0, v163, vcc_lo
	s_delay_alu instid0(VALU_DEP_1) | instskip(SKIP_1) | instid1(VALU_DEP_2)
	v_sub_nc_u32_e32 v166, 0, v163
	v_cvt_f32_i32_e32 v163, v163
	v_ldexp_f32 v165, v165, v166
	v_ldexp_f32 v164, v164, v166
	s_delay_alu instid0(VALU_DEP_2) | instskip(NEXT) | instid1(VALU_DEP_1)
	v_add_f32_e32 v176, 1.0, v165
	v_dual_add_f32 v166, -1.0, v165 :: v_dual_add_f32 v167, -1.0, v176
	s_delay_alu instid0(VALU_DEP_1) | instskip(NEXT) | instid1(VALU_DEP_2)
	v_add_f32_e32 v177, 1.0, v166
	v_sub_f32_e32 v167, v165, v167
	s_delay_alu instid0(VALU_DEP_2) | instskip(NEXT) | instid1(VALU_DEP_2)
	v_sub_f32_e32 v165, v165, v177
	v_add_f32_e32 v167, v164, v167
	s_delay_alu instid0(VALU_DEP_2) | instskip(SKIP_1) | instid1(VALU_DEP_2)
	v_add_f32_e32 v164, v164, v165
	v_cmp_eq_f32_e32 vcc_lo, 0x7f800000, v21
	v_add_f32_e32 v178, v166, v164
	s_delay_alu instid0(VALU_DEP_1) | instskip(NEXT) | instid1(VALU_DEP_1)
	v_dual_sub_f32 v166, v166, v178 :: v_dual_add_f32 v177, v176, v167
	v_add_f32_e32 v164, v164, v166
	s_delay_alu instid0(VALU_DEP_2) | instskip(SKIP_1) | instid1(VALU_DEP_1)
	v_rcp_f32_e32 v165, v177
	v_sub_f32_e32 v176, v176, v177
	v_add_f32_e32 v167, v167, v176
	s_waitcnt_depctr 0xfff
	v_mul_f32_e32 v179, v178, v165
	s_delay_alu instid0(VALU_DEP_1) | instskip(NEXT) | instid1(VALU_DEP_1)
	v_mul_f32_e32 v180, v177, v179
	v_fma_f32 v176, v179, v177, -v180
	s_delay_alu instid0(VALU_DEP_1) | instskip(NEXT) | instid1(VALU_DEP_1)
	v_fmac_f32_e32 v176, v179, v167
	v_add_f32_e32 v181, v180, v176
	s_delay_alu instid0(VALU_DEP_1) | instskip(SKIP_1) | instid1(VALU_DEP_2)
	v_sub_f32_e32 v182, v178, v181
	v_sub_f32_e32 v166, v181, v180
	;; [unrolled: 1-line block ×3, first 2 shown]
	s_delay_alu instid0(VALU_DEP_1) | instskip(NEXT) | instid1(VALU_DEP_3)
	v_sub_f32_e32 v178, v178, v181
	v_sub_f32_e32 v166, v166, v176
	s_delay_alu instid0(VALU_DEP_2) | instskip(NEXT) | instid1(VALU_DEP_1)
	v_add_f32_e32 v164, v164, v178
	v_add_f32_e32 v164, v166, v164
	s_delay_alu instid0(VALU_DEP_1) | instskip(NEXT) | instid1(VALU_DEP_1)
	v_add_f32_e32 v166, v182, v164
	v_mul_f32_e32 v176, v165, v166
	s_delay_alu instid0(VALU_DEP_1) | instskip(NEXT) | instid1(VALU_DEP_1)
	v_dual_sub_f32 v181, v182, v166 :: v_dual_mul_f32 v178, v177, v176
	v_add_f32_e32 v164, v164, v181
	s_delay_alu instid0(VALU_DEP_2) | instskip(NEXT) | instid1(VALU_DEP_1)
	v_fma_f32 v177, v176, v177, -v178
	v_fmac_f32_e32 v177, v176, v167
	s_delay_alu instid0(VALU_DEP_1) | instskip(NEXT) | instid1(VALU_DEP_1)
	v_add_f32_e32 v167, v178, v177
	v_sub_f32_e32 v180, v166, v167
	s_delay_alu instid0(VALU_DEP_1) | instskip(NEXT) | instid1(VALU_DEP_1)
	v_sub_f32_e32 v166, v166, v180
	v_sub_f32_e32 v166, v166, v167
	s_delay_alu instid0(VALU_DEP_1) | instskip(SKIP_2) | instid1(VALU_DEP_1)
	v_add_f32_e32 v164, v164, v166
	v_add_f32_e32 v166, v179, v176
	v_sub_f32_e32 v178, v167, v178
	v_sub_f32_e32 v167, v178, v177
	s_delay_alu instid0(VALU_DEP_1) | instskip(NEXT) | instid1(VALU_DEP_1)
	v_dual_add_f32 v164, v167, v164 :: v_dual_sub_f32 v167, v166, v179
	v_add_f32_e32 v164, v180, v164
	s_delay_alu instid0(VALU_DEP_1) | instskip(NEXT) | instid1(VALU_DEP_1)
	v_dual_sub_f32 v167, v176, v167 :: v_dual_mul_f32 v164, v165, v164
	v_add_f32_e32 v164, v167, v164
	s_delay_alu instid0(VALU_DEP_1) | instskip(NEXT) | instid1(VALU_DEP_1)
	v_add_f32_e32 v165, v166, v164
	v_mul_f32_e32 v167, v165, v165
	s_delay_alu instid0(VALU_DEP_1) | instskip(SKIP_2) | instid1(VALU_DEP_3)
	v_fmaak_f32 v176, s31, v167, 0x3ecc95a3
	v_mul_f32_e32 v177, v165, v167
	v_cmp_gt_f32_e64 s31, 0x33800000, |v21|
	v_fmaak_f32 v167, v167, v176, 0x3f2aaada
	v_ldexp_f32 v176, v165, 1
	s_delay_alu instid0(VALU_DEP_3) | instskip(NEXT) | instid1(VALU_DEP_2)
	s_or_b32 vcc_lo, vcc_lo, s31
	v_mul_f32_e32 v167, v177, v167
	v_mul_f32_e32 v177, 0x3f317218, v163
	s_delay_alu instid0(VALU_DEP_2) | instskip(NEXT) | instid1(VALU_DEP_1)
	v_dual_sub_f32 v165, v165, v166 :: v_dual_add_f32 v166, v176, v167
	v_dual_sub_f32 v164, v164, v165 :: v_dual_sub_f32 v165, v166, v176
	s_delay_alu instid0(VALU_DEP_3) | instskip(NEXT) | instid1(VALU_DEP_2)
	v_fma_f32 v176, 0x3f317218, v163, -v177
	v_ldexp_f32 v164, v164, 1
	s_delay_alu instid0(VALU_DEP_3) | instskip(NEXT) | instid1(VALU_DEP_1)
	v_sub_f32_e32 v165, v167, v165
	v_dual_fmamk_f32 v163, v163, 0xb102e308, v176 :: v_dual_add_f32 v164, v164, v165
	s_delay_alu instid0(VALU_DEP_1) | instskip(NEXT) | instid1(VALU_DEP_1)
	v_add_f32_e32 v165, v177, v163
	v_sub_f32_e32 v177, v165, v177
	s_delay_alu instid0(VALU_DEP_3) | instskip(NEXT) | instid1(VALU_DEP_1)
	v_add_f32_e32 v167, v166, v164
	v_dual_sub_f32 v163, v163, v177 :: v_dual_add_f32 v176, v165, v167
	v_sub_f32_e32 v166, v167, v166
	s_delay_alu instid0(VALU_DEP_2) | instskip(NEXT) | instid1(VALU_DEP_1)
	v_sub_f32_e32 v178, v176, v165
	v_sub_f32_e32 v179, v176, v178
	s_delay_alu instid0(VALU_DEP_1) | instskip(SKIP_1) | instid1(VALU_DEP_1)
	v_dual_sub_f32 v165, v165, v179 :: v_dual_sub_f32 v164, v164, v166
	v_sub_f32_e32 v166, v167, v178
	v_add_f32_e32 v165, v166, v165
	s_delay_alu instid0(VALU_DEP_3) | instskip(NEXT) | instid1(VALU_DEP_1)
	v_add_f32_e32 v167, v163, v164
	v_sub_f32_e32 v166, v167, v163
	s_delay_alu instid0(VALU_DEP_1) | instskip(NEXT) | instid1(VALU_DEP_1)
	v_dual_add_f32 v165, v167, v165 :: v_dual_sub_f32 v164, v164, v166
	v_add_f32_e32 v177, v176, v165
	s_delay_alu instid0(VALU_DEP_1) | instskip(NEXT) | instid1(VALU_DEP_1)
	v_dual_sub_f32 v167, v167, v166 :: v_dual_sub_f32 v166, v177, v176
	v_sub_f32_e32 v163, v163, v167
	s_delay_alu instid0(VALU_DEP_1) | instskip(NEXT) | instid1(VALU_DEP_1)
	v_dual_add_f32 v163, v164, v163 :: v_dual_sub_f32 v164, v165, v166
	v_add_f32_e32 v163, v163, v164
	s_delay_alu instid0(VALU_DEP_1) | instskip(NEXT) | instid1(VALU_DEP_1)
	v_add_f32_e32 v163, v177, v163
	v_cndmask_b32_e32 v21, v163, v21, vcc_lo
	s_delay_alu instid0(VALU_DEP_1)
	v_add_f32_e32 v21, v20, v21
.LBB453_139:
	s_or_b32 exec_lo, exec_lo, s30
	s_delay_alu instid0(VALU_DEP_1) | instskip(SKIP_1) | instid1(VALU_DEP_2)
	v_bfe_u32 v20, v21, 16, 1
	v_cmp_o_f32_e32 vcc_lo, v21, v21
	v_add3_u32 v20, v21, v20, 0x7fff
	s_delay_alu instid0(VALU_DEP_1) | instskip(NEXT) | instid1(VALU_DEP_1)
	v_lshrrev_b32_e32 v20, 16, v20
	v_cndmask_b32_e32 v21, 0x7fc0, v20, vcc_lo
	s_delay_alu instid0(VALU_DEP_1)
	v_and_b32_e32 v20, 0xffff, v21
.LBB453_140:
	s_or_b32 exec_lo, exec_lo, vcc_hi
	v_cmp_gt_u32_e32 vcc_lo, 24, v147
	v_add_nc_u32_e32 v164, 8, v147
	s_mov_b32 vcc_hi, exec_lo
	s_waitcnt lgkmcnt(0)
	v_cndmask_b32_e64 v163, 0, 1, vcc_lo
	s_delay_alu instid0(VALU_DEP_1) | instskip(NEXT) | instid1(VALU_DEP_1)
	v_lshlrev_b32_e32 v163, 3, v163
	v_add_lshl_u32 v163, v163, v147, 2
	ds_bpermute_b32 v165, v163, v20
	v_cmpx_le_u32_e64 v164, v19
	s_cbranch_execz .LBB453_144
; %bb.141:
	s_waitcnt lgkmcnt(0)
	v_lshlrev_b32_e32 v21, 16, v165
	s_delay_alu instid0(VALU_DEP_1) | instskip(SKIP_2) | instid1(VALU_DEP_2)
	v_max_f32_e32 v166, v21, v21
	v_lshlrev_b32_e32 v20, 16, v20
	v_cmp_u_f32_e32 vcc_lo, v21, v21
	v_max_f32_e32 v165, v20, v20
	s_delay_alu instid0(VALU_DEP_1) | instskip(SKIP_1) | instid1(VALU_DEP_2)
	v_min_f32_e32 v167, v166, v165
	v_max_f32_e32 v165, v166, v165
	v_cndmask_b32_e32 v166, v167, v21, vcc_lo
	s_delay_alu instid0(VALU_DEP_2) | instskip(SKIP_1) | instid1(VALU_DEP_3)
	v_cndmask_b32_e32 v167, v165, v21, vcc_lo
	v_cmp_u_f32_e32 vcc_lo, v20, v20
	v_cndmask_b32_e32 v165, v166, v20, vcc_lo
	s_delay_alu instid0(VALU_DEP_3) | instskip(NEXT) | instid1(VALU_DEP_2)
	v_cndmask_b32_e32 v20, v167, v20, vcc_lo
	v_cmp_class_f32_e64 s30, v165, 0x1f8
	s_delay_alu instid0(VALU_DEP_2) | instskip(NEXT) | instid1(VALU_DEP_2)
	v_cmp_neq_f32_e32 vcc_lo, v165, v20
	s_or_b32 vcc_lo, vcc_lo, s30
	s_delay_alu instid0(SALU_CYCLE_1)
	s_and_saveexec_b32 s30, vcc_lo
	s_cbranch_execz .LBB453_143
; %bb.142:
	v_sub_f32_e32 v21, v165, v20
	s_mov_b32 s31, 0x3e9b6dac
	s_delay_alu instid0(VALU_DEP_1) | instskip(SKIP_1) | instid1(VALU_DEP_2)
	v_mul_f32_e32 v165, 0x3fb8aa3b, v21
	v_cmp_ngt_f32_e32 vcc_lo, 0xc2ce8ed0, v21
	v_fma_f32 v166, 0x3fb8aa3b, v21, -v165
	v_rndne_f32_e32 v167, v165
	s_delay_alu instid0(VALU_DEP_2) | instskip(NEXT) | instid1(VALU_DEP_2)
	v_fmamk_f32 v166, v21, 0x32a5705f, v166
	v_sub_f32_e32 v165, v165, v167
	s_delay_alu instid0(VALU_DEP_1) | instskip(SKIP_1) | instid1(VALU_DEP_2)
	v_add_f32_e32 v165, v165, v166
	v_cvt_i32_f32_e32 v166, v167
	v_exp_f32_e32 v165, v165
	s_waitcnt_depctr 0xfff
	v_ldexp_f32 v165, v165, v166
	s_delay_alu instid0(VALU_DEP_1) | instskip(SKIP_1) | instid1(VALU_DEP_2)
	v_cndmask_b32_e32 v165, 0, v165, vcc_lo
	v_cmp_nlt_f32_e32 vcc_lo, 0x42b17218, v21
	v_cndmask_b32_e32 v21, 0x7f800000, v165, vcc_lo
	s_delay_alu instid0(VALU_DEP_1) | instskip(NEXT) | instid1(VALU_DEP_1)
	v_add_f32_e32 v167, 1.0, v21
	v_cvt_f64_f32_e32 v[165:166], v167
	s_delay_alu instid0(VALU_DEP_1) | instskip(SKIP_1) | instid1(VALU_DEP_1)
	v_frexp_exp_i32_f64_e32 v165, v[165:166]
	v_frexp_mant_f32_e32 v166, v167
	v_cmp_gt_f32_e32 vcc_lo, 0x3f2aaaab, v166
	v_add_f32_e32 v166, -1.0, v167
	s_delay_alu instid0(VALU_DEP_1) | instskip(NEXT) | instid1(VALU_DEP_1)
	v_dual_sub_f32 v177, v166, v167 :: v_dual_sub_f32 v166, v21, v166
	v_add_f32_e32 v177, 1.0, v177
	s_delay_alu instid0(VALU_DEP_1) | instskip(SKIP_1) | instid1(VALU_DEP_1)
	v_add_f32_e32 v166, v166, v177
	v_subrev_co_ci_u32_e32 v165, vcc_lo, 0, v165, vcc_lo
	v_sub_nc_u32_e32 v176, 0, v165
	v_cvt_f32_i32_e32 v165, v165
	s_delay_alu instid0(VALU_DEP_2) | instskip(SKIP_1) | instid1(VALU_DEP_2)
	v_ldexp_f32 v167, v167, v176
	v_ldexp_f32 v166, v166, v176
	v_add_f32_e32 v178, 1.0, v167
	v_add_f32_e32 v176, -1.0, v167
	v_cmp_eq_f32_e32 vcc_lo, 0x7f800000, v21
	s_delay_alu instid0(VALU_DEP_3) | instskip(NEXT) | instid1(VALU_DEP_3)
	v_add_f32_e32 v177, -1.0, v178
	v_add_f32_e32 v179, 1.0, v176
	s_delay_alu instid0(VALU_DEP_2) | instskip(NEXT) | instid1(VALU_DEP_2)
	v_sub_f32_e32 v177, v167, v177
	v_sub_f32_e32 v167, v167, v179
	s_delay_alu instid0(VALU_DEP_2) | instskip(NEXT) | instid1(VALU_DEP_2)
	v_add_f32_e32 v177, v166, v177
	v_add_f32_e32 v166, v166, v167
	s_delay_alu instid0(VALU_DEP_1) | instskip(NEXT) | instid1(VALU_DEP_1)
	v_add_f32_e32 v180, v176, v166
	v_dual_sub_f32 v176, v176, v180 :: v_dual_add_f32 v179, v178, v177
	s_delay_alu instid0(VALU_DEP_1) | instskip(NEXT) | instid1(VALU_DEP_2)
	v_add_f32_e32 v166, v166, v176
	v_rcp_f32_e32 v167, v179
	v_sub_f32_e32 v178, v178, v179
	s_delay_alu instid0(VALU_DEP_1) | instskip(SKIP_2) | instid1(VALU_DEP_1)
	v_add_f32_e32 v177, v177, v178
	s_waitcnt_depctr 0xfff
	v_mul_f32_e32 v181, v180, v167
	v_mul_f32_e32 v182, v179, v181
	s_delay_alu instid0(VALU_DEP_1) | instskip(NEXT) | instid1(VALU_DEP_1)
	v_fma_f32 v178, v181, v179, -v182
	v_fmac_f32_e32 v178, v181, v177
	s_delay_alu instid0(VALU_DEP_1) | instskip(NEXT) | instid1(VALU_DEP_1)
	v_add_f32_e32 v183, v182, v178
	v_sub_f32_e32 v192, v180, v183
	v_sub_f32_e32 v176, v183, v182
	s_delay_alu instid0(VALU_DEP_2) | instskip(NEXT) | instid1(VALU_DEP_1)
	v_sub_f32_e32 v180, v180, v192
	v_sub_f32_e32 v180, v180, v183
	s_delay_alu instid0(VALU_DEP_3) | instskip(NEXT) | instid1(VALU_DEP_2)
	v_sub_f32_e32 v176, v176, v178
	v_add_f32_e32 v166, v166, v180
	s_delay_alu instid0(VALU_DEP_1) | instskip(NEXT) | instid1(VALU_DEP_1)
	v_add_f32_e32 v166, v176, v166
	v_add_f32_e32 v176, v192, v166
	s_delay_alu instid0(VALU_DEP_1) | instskip(NEXT) | instid1(VALU_DEP_1)
	v_mul_f32_e32 v178, v167, v176
	v_dual_sub_f32 v183, v192, v176 :: v_dual_mul_f32 v180, v179, v178
	s_delay_alu instid0(VALU_DEP_1) | instskip(NEXT) | instid1(VALU_DEP_2)
	v_add_f32_e32 v166, v166, v183
	v_fma_f32 v179, v178, v179, -v180
	s_delay_alu instid0(VALU_DEP_1) | instskip(NEXT) | instid1(VALU_DEP_1)
	v_fmac_f32_e32 v179, v178, v177
	v_add_f32_e32 v177, v180, v179
	s_delay_alu instid0(VALU_DEP_1) | instskip(NEXT) | instid1(VALU_DEP_1)
	v_sub_f32_e32 v182, v176, v177
	v_sub_f32_e32 v176, v176, v182
	s_delay_alu instid0(VALU_DEP_1) | instskip(NEXT) | instid1(VALU_DEP_1)
	v_sub_f32_e32 v176, v176, v177
	v_add_f32_e32 v166, v166, v176
	v_add_f32_e32 v176, v181, v178
	v_sub_f32_e32 v180, v177, v180
	s_delay_alu instid0(VALU_DEP_1) | instskip(NEXT) | instid1(VALU_DEP_1)
	v_sub_f32_e32 v177, v180, v179
	v_dual_add_f32 v166, v177, v166 :: v_dual_sub_f32 v177, v176, v181
	s_delay_alu instid0(VALU_DEP_1) | instskip(NEXT) | instid1(VALU_DEP_1)
	v_add_f32_e32 v166, v182, v166
	v_dual_sub_f32 v177, v178, v177 :: v_dual_mul_f32 v166, v167, v166
	s_delay_alu instid0(VALU_DEP_1) | instskip(NEXT) | instid1(VALU_DEP_1)
	v_add_f32_e32 v166, v177, v166
	v_add_f32_e32 v167, v176, v166
	s_delay_alu instid0(VALU_DEP_1) | instskip(NEXT) | instid1(VALU_DEP_1)
	v_mul_f32_e32 v177, v167, v167
	v_fmaak_f32 v178, s31, v177, 0x3ecc95a3
	v_mul_f32_e32 v179, v167, v177
	v_cmp_gt_f32_e64 s31, 0x33800000, |v21|
	s_delay_alu instid0(VALU_DEP_3) | instskip(SKIP_1) | instid1(VALU_DEP_3)
	v_fmaak_f32 v177, v177, v178, 0x3f2aaada
	v_ldexp_f32 v178, v167, 1
	s_or_b32 vcc_lo, vcc_lo, s31
	s_delay_alu instid0(VALU_DEP_2) | instskip(SKIP_1) | instid1(VALU_DEP_2)
	v_mul_f32_e32 v177, v179, v177
	v_mul_f32_e32 v179, 0x3f317218, v165
	v_dual_sub_f32 v167, v167, v176 :: v_dual_add_f32 v176, v178, v177
	s_delay_alu instid0(VALU_DEP_1) | instskip(NEXT) | instid1(VALU_DEP_3)
	v_dual_sub_f32 v166, v166, v167 :: v_dual_sub_f32 v167, v176, v178
	v_fma_f32 v178, 0x3f317218, v165, -v179
	s_delay_alu instid0(VALU_DEP_2) | instskip(NEXT) | instid1(VALU_DEP_3)
	v_ldexp_f32 v166, v166, 1
	v_sub_f32_e32 v167, v177, v167
	s_delay_alu instid0(VALU_DEP_1) | instskip(NEXT) | instid1(VALU_DEP_1)
	v_dual_fmamk_f32 v165, v165, 0xb102e308, v178 :: v_dual_add_f32 v166, v166, v167
	v_add_f32_e32 v167, v179, v165
	s_delay_alu instid0(VALU_DEP_1) | instskip(NEXT) | instid1(VALU_DEP_3)
	v_sub_f32_e32 v179, v167, v179
	v_add_f32_e32 v177, v176, v166
	s_delay_alu instid0(VALU_DEP_1) | instskip(SKIP_1) | instid1(VALU_DEP_2)
	v_dual_sub_f32 v165, v165, v179 :: v_dual_add_f32 v178, v167, v177
	v_sub_f32_e32 v176, v177, v176
	v_sub_f32_e32 v180, v178, v167
	s_delay_alu instid0(VALU_DEP_1) | instskip(NEXT) | instid1(VALU_DEP_1)
	v_sub_f32_e32 v181, v178, v180
	v_dual_sub_f32 v167, v167, v181 :: v_dual_sub_f32 v166, v166, v176
	v_sub_f32_e32 v176, v177, v180
	s_delay_alu instid0(VALU_DEP_1) | instskip(NEXT) | instid1(VALU_DEP_3)
	v_add_f32_e32 v167, v176, v167
	v_add_f32_e32 v177, v165, v166
	s_delay_alu instid0(VALU_DEP_1) | instskip(NEXT) | instid1(VALU_DEP_1)
	v_sub_f32_e32 v176, v177, v165
	v_dual_add_f32 v167, v177, v167 :: v_dual_sub_f32 v166, v166, v176
	s_delay_alu instid0(VALU_DEP_1) | instskip(NEXT) | instid1(VALU_DEP_1)
	v_add_f32_e32 v179, v178, v167
	v_dual_sub_f32 v177, v177, v176 :: v_dual_sub_f32 v176, v179, v178
	s_delay_alu instid0(VALU_DEP_1) | instskip(NEXT) | instid1(VALU_DEP_1)
	v_sub_f32_e32 v165, v165, v177
	v_dual_add_f32 v165, v166, v165 :: v_dual_sub_f32 v166, v167, v176
	s_delay_alu instid0(VALU_DEP_1) | instskip(NEXT) | instid1(VALU_DEP_1)
	v_add_f32_e32 v165, v165, v166
	v_add_f32_e32 v165, v179, v165
	s_delay_alu instid0(VALU_DEP_1) | instskip(NEXT) | instid1(VALU_DEP_1)
	v_cndmask_b32_e32 v21, v165, v21, vcc_lo
	v_add_f32_e32 v21, v20, v21
.LBB453_143:
	s_or_b32 exec_lo, exec_lo, s30
	s_delay_alu instid0(VALU_DEP_1) | instskip(SKIP_1) | instid1(VALU_DEP_2)
	v_bfe_u32 v20, v21, 16, 1
	v_cmp_o_f32_e32 vcc_lo, v21, v21
	v_add3_u32 v20, v21, v20, 0x7fff
	s_delay_alu instid0(VALU_DEP_1) | instskip(NEXT) | instid1(VALU_DEP_1)
	v_lshrrev_b32_e32 v20, 16, v20
	v_cndmask_b32_e32 v21, 0x7fc0, v20, vcc_lo
	s_delay_alu instid0(VALU_DEP_1)
	v_and_b32_e32 v20, 0xffff, v21
.LBB453_144:
	s_or_b32 exec_lo, exec_lo, vcc_hi
	v_cmp_gt_u32_e32 vcc_lo, 16, v147
	v_add_nc_u32_e32 v167, 16, v147
	s_mov_b32 vcc_hi, exec_lo
	s_waitcnt lgkmcnt(0)
	v_cndmask_b32_e64 v165, 0, 1, vcc_lo
	s_delay_alu instid0(VALU_DEP_1) | instskip(NEXT) | instid1(VALU_DEP_1)
	v_lshlrev_b32_e32 v165, 4, v165
	v_add_lshl_u32 v165, v165, v147, 2
	ds_bpermute_b32 v166, v165, v20
	v_cmpx_le_u32_e64 v167, v19
	s_cbranch_execz .LBB453_148
; %bb.145:
	v_lshlrev_b32_e32 v19, 16, v20
	s_waitcnt lgkmcnt(0)
	s_delay_alu instid0(VALU_DEP_1) | instskip(NEXT) | instid1(VALU_DEP_1)
	v_dual_max_f32 v21, v19, v19 :: v_dual_lshlrev_b32 v20, 16, v166
	v_max_f32_e32 v166, v20, v20
	v_cmp_u_f32_e32 vcc_lo, v20, v20
	s_delay_alu instid0(VALU_DEP_2) | instskip(NEXT) | instid1(VALU_DEP_1)
	v_min_f32_e32 v176, v166, v21
	v_dual_max_f32 v21, v166, v21 :: v_dual_cndmask_b32 v166, v176, v20
	s_delay_alu instid0(VALU_DEP_1) | instskip(SKIP_1) | instid1(VALU_DEP_3)
	v_cndmask_b32_e32 v176, v21, v20, vcc_lo
	v_cmp_u_f32_e32 vcc_lo, v19, v19
	v_cndmask_b32_e32 v21, v166, v19, vcc_lo
	s_delay_alu instid0(VALU_DEP_3) | instskip(NEXT) | instid1(VALU_DEP_2)
	v_cndmask_b32_e32 v19, v176, v19, vcc_lo
	v_cmp_class_f32_e64 s30, v21, 0x1f8
	s_delay_alu instid0(VALU_DEP_2) | instskip(NEXT) | instid1(VALU_DEP_2)
	v_cmp_neq_f32_e32 vcc_lo, v21, v19
	s_or_b32 vcc_lo, vcc_lo, s30
	s_delay_alu instid0(SALU_CYCLE_1)
	s_and_saveexec_b32 s30, vcc_lo
	s_cbranch_execz .LBB453_147
; %bb.146:
	v_sub_f32_e32 v20, v21, v19
	s_mov_b32 s31, 0x3e9b6dac
	s_delay_alu instid0(VALU_DEP_1) | instskip(SKIP_1) | instid1(VALU_DEP_2)
	v_mul_f32_e32 v21, 0x3fb8aa3b, v20
	v_cmp_ngt_f32_e32 vcc_lo, 0xc2ce8ed0, v20
	v_fma_f32 v166, 0x3fb8aa3b, v20, -v21
	v_rndne_f32_e32 v176, v21
	s_delay_alu instid0(VALU_DEP_1) | instskip(NEXT) | instid1(VALU_DEP_1)
	v_dual_fmamk_f32 v166, v20, 0x32a5705f, v166 :: v_dual_sub_f32 v21, v21, v176
	v_add_f32_e32 v21, v21, v166
	v_cvt_i32_f32_e32 v166, v176
	s_delay_alu instid0(VALU_DEP_2) | instskip(SKIP_2) | instid1(VALU_DEP_1)
	v_exp_f32_e32 v21, v21
	s_waitcnt_depctr 0xfff
	v_ldexp_f32 v21, v21, v166
	v_cndmask_b32_e32 v21, 0, v21, vcc_lo
	v_cmp_nlt_f32_e32 vcc_lo, 0x42b17218, v20
	s_delay_alu instid0(VALU_DEP_2) | instskip(NEXT) | instid1(VALU_DEP_1)
	v_cndmask_b32_e32 v166, 0x7f800000, v21, vcc_lo
	v_add_f32_e32 v176, 1.0, v166
	s_delay_alu instid0(VALU_DEP_1) | instskip(NEXT) | instid1(VALU_DEP_1)
	v_cvt_f64_f32_e32 v[20:21], v176
	v_frexp_exp_i32_f64_e32 v20, v[20:21]
	v_frexp_mant_f32_e32 v21, v176
	s_delay_alu instid0(VALU_DEP_1) | instskip(SKIP_1) | instid1(VALU_DEP_1)
	v_cmp_gt_f32_e32 vcc_lo, 0x3f2aaaab, v21
	v_add_f32_e32 v21, -1.0, v176
	v_dual_sub_f32 v178, v21, v176 :: v_dual_sub_f32 v21, v166, v21
	v_subrev_co_ci_u32_e32 v20, vcc_lo, 0, v20, vcc_lo
	v_cmp_eq_f32_e32 vcc_lo, 0x7f800000, v166
	s_delay_alu instid0(VALU_DEP_2) | instskip(SKIP_1) | instid1(VALU_DEP_2)
	v_sub_nc_u32_e32 v177, 0, v20
	v_cvt_f32_i32_e32 v20, v20
	v_ldexp_f32 v176, v176, v177
	s_delay_alu instid0(VALU_DEP_1) | instskip(NEXT) | instid1(VALU_DEP_1)
	v_dual_add_f32 v178, 1.0, v178 :: v_dual_add_f32 v179, 1.0, v176
	v_dual_add_f32 v21, v21, v178 :: v_dual_add_f32 v178, -1.0, v179
	s_delay_alu instid0(VALU_DEP_1) | instskip(NEXT) | instid1(VALU_DEP_2)
	v_ldexp_f32 v21, v21, v177
	v_dual_add_f32 v177, -1.0, v176 :: v_dual_sub_f32 v178, v176, v178
	s_delay_alu instid0(VALU_DEP_1) | instskip(NEXT) | instid1(VALU_DEP_2)
	v_add_f32_e32 v180, 1.0, v177
	v_add_f32_e32 v178, v21, v178
	s_delay_alu instid0(VALU_DEP_2) | instskip(NEXT) | instid1(VALU_DEP_1)
	v_sub_f32_e32 v176, v176, v180
	v_dual_add_f32 v180, v179, v178 :: v_dual_add_f32 v21, v21, v176
	s_delay_alu instid0(VALU_DEP_1) | instskip(SKIP_1) | instid1(VALU_DEP_1)
	v_rcp_f32_e32 v176, v180
	v_sub_f32_e32 v179, v179, v180
	v_dual_add_f32 v181, v177, v21 :: v_dual_add_f32 v178, v178, v179
	s_delay_alu instid0(VALU_DEP_1) | instskip(SKIP_3) | instid1(VALU_DEP_2)
	v_sub_f32_e32 v177, v177, v181
	s_waitcnt_depctr 0xfff
	v_mul_f32_e32 v182, v181, v176
	v_add_f32_e32 v21, v21, v177
	v_mul_f32_e32 v183, v180, v182
	s_delay_alu instid0(VALU_DEP_1) | instskip(NEXT) | instid1(VALU_DEP_1)
	v_fma_f32 v179, v182, v180, -v183
	v_fmac_f32_e32 v179, v182, v178
	s_delay_alu instid0(VALU_DEP_1) | instskip(NEXT) | instid1(VALU_DEP_1)
	v_add_f32_e32 v192, v183, v179
	v_sub_f32_e32 v193, v181, v192
	v_sub_f32_e32 v177, v192, v183
	s_delay_alu instid0(VALU_DEP_2) | instskip(NEXT) | instid1(VALU_DEP_2)
	v_sub_f32_e32 v181, v181, v193
	v_sub_f32_e32 v177, v177, v179
	s_delay_alu instid0(VALU_DEP_2) | instskip(NEXT) | instid1(VALU_DEP_1)
	v_sub_f32_e32 v181, v181, v192
	v_add_f32_e32 v21, v21, v181
	s_delay_alu instid0(VALU_DEP_1) | instskip(NEXT) | instid1(VALU_DEP_1)
	v_add_f32_e32 v21, v177, v21
	v_add_f32_e32 v177, v193, v21
	s_delay_alu instid0(VALU_DEP_1) | instskip(NEXT) | instid1(VALU_DEP_1)
	v_mul_f32_e32 v179, v176, v177
	v_mul_f32_e32 v181, v180, v179
	s_delay_alu instid0(VALU_DEP_1) | instskip(NEXT) | instid1(VALU_DEP_1)
	v_fma_f32 v180, v179, v180, -v181
	v_fmac_f32_e32 v180, v179, v178
	v_sub_f32_e32 v192, v193, v177
	s_delay_alu instid0(VALU_DEP_2) | instskip(NEXT) | instid1(VALU_DEP_2)
	v_add_f32_e32 v178, v181, v180
	v_add_f32_e32 v21, v21, v192
	s_delay_alu instid0(VALU_DEP_2) | instskip(SKIP_1) | instid1(VALU_DEP_2)
	v_sub_f32_e32 v183, v177, v178
	v_sub_f32_e32 v181, v178, v181
	;; [unrolled: 1-line block ×3, first 2 shown]
	s_delay_alu instid0(VALU_DEP_1) | instskip(NEXT) | instid1(VALU_DEP_3)
	v_sub_f32_e32 v177, v177, v178
	v_sub_f32_e32 v178, v181, v180
	s_delay_alu instid0(VALU_DEP_2) | instskip(SKIP_1) | instid1(VALU_DEP_1)
	v_add_f32_e32 v21, v21, v177
	v_add_f32_e32 v177, v182, v179
	v_dual_add_f32 v21, v178, v21 :: v_dual_sub_f32 v178, v177, v182
	s_delay_alu instid0(VALU_DEP_1) | instskip(NEXT) | instid1(VALU_DEP_1)
	v_add_f32_e32 v21, v183, v21
	v_dual_sub_f32 v178, v179, v178 :: v_dual_mul_f32 v21, v176, v21
	s_delay_alu instid0(VALU_DEP_1) | instskip(NEXT) | instid1(VALU_DEP_1)
	v_add_f32_e32 v21, v178, v21
	v_add_f32_e32 v176, v177, v21
	s_delay_alu instid0(VALU_DEP_1) | instskip(NEXT) | instid1(VALU_DEP_1)
	v_mul_f32_e32 v178, v176, v176
	v_fmaak_f32 v179, s31, v178, 0x3ecc95a3
	v_mul_f32_e32 v180, v176, v178
	v_cmp_gt_f32_e64 s31, 0x33800000, |v166|
	s_delay_alu instid0(VALU_DEP_3) | instskip(SKIP_2) | instid1(VALU_DEP_4)
	v_fmaak_f32 v178, v178, v179, 0x3f2aaada
	v_ldexp_f32 v179, v176, 1
	v_sub_f32_e32 v176, v176, v177
	s_or_b32 vcc_lo, vcc_lo, s31
	s_delay_alu instid0(VALU_DEP_3) | instskip(SKIP_1) | instid1(VALU_DEP_3)
	v_mul_f32_e32 v178, v180, v178
	v_mul_f32_e32 v180, 0x3f317218, v20
	v_sub_f32_e32 v21, v21, v176
	s_delay_alu instid0(VALU_DEP_3) | instskip(NEXT) | instid1(VALU_DEP_2)
	v_add_f32_e32 v177, v179, v178
	v_ldexp_f32 v21, v21, 1
	s_delay_alu instid0(VALU_DEP_2) | instskip(SKIP_1) | instid1(VALU_DEP_2)
	v_sub_f32_e32 v176, v177, v179
	v_fma_f32 v179, 0x3f317218, v20, -v180
	v_sub_f32_e32 v176, v178, v176
	s_delay_alu instid0(VALU_DEP_1) | instskip(NEXT) | instid1(VALU_DEP_1)
	v_dual_fmamk_f32 v20, v20, 0xb102e308, v179 :: v_dual_add_f32 v21, v21, v176
	v_add_f32_e32 v176, v180, v20
	s_delay_alu instid0(VALU_DEP_2) | instskip(NEXT) | instid1(VALU_DEP_2)
	v_add_f32_e32 v178, v177, v21
	v_sub_f32_e32 v180, v176, v180
	s_delay_alu instid0(VALU_DEP_2) | instskip(NEXT) | instid1(VALU_DEP_2)
	v_add_f32_e32 v179, v176, v178
	v_sub_f32_e32 v20, v20, v180
	s_delay_alu instid0(VALU_DEP_2) | instskip(SKIP_1) | instid1(VALU_DEP_2)
	v_sub_f32_e32 v181, v179, v176
	v_sub_f32_e32 v177, v178, v177
	;; [unrolled: 1-line block ×3, first 2 shown]
	s_delay_alu instid0(VALU_DEP_2) | instskip(NEXT) | instid1(VALU_DEP_2)
	v_sub_f32_e32 v21, v21, v177
	v_dual_sub_f32 v177, v178, v181 :: v_dual_sub_f32 v176, v176, v182
	s_delay_alu instid0(VALU_DEP_2) | instskip(NEXT) | instid1(VALU_DEP_2)
	v_add_f32_e32 v178, v20, v21
	v_add_f32_e32 v176, v177, v176
	s_delay_alu instid0(VALU_DEP_2) | instskip(NEXT) | instid1(VALU_DEP_2)
	v_sub_f32_e32 v177, v178, v20
	v_add_f32_e32 v176, v178, v176
	s_delay_alu instid0(VALU_DEP_2) | instskip(NEXT) | instid1(VALU_DEP_2)
	v_sub_f32_e32 v178, v178, v177
	v_dual_sub_f32 v21, v21, v177 :: v_dual_add_f32 v180, v179, v176
	s_delay_alu instid0(VALU_DEP_2) | instskip(NEXT) | instid1(VALU_DEP_1)
	v_sub_f32_e32 v20, v20, v178
	v_dual_sub_f32 v177, v180, v179 :: v_dual_add_f32 v20, v21, v20
	s_delay_alu instid0(VALU_DEP_1) | instskip(NEXT) | instid1(VALU_DEP_1)
	v_sub_f32_e32 v21, v176, v177
	v_add_f32_e32 v20, v20, v21
	s_delay_alu instid0(VALU_DEP_1) | instskip(NEXT) | instid1(VALU_DEP_1)
	v_add_f32_e32 v20, v180, v20
	v_cndmask_b32_e32 v20, v20, v166, vcc_lo
	s_delay_alu instid0(VALU_DEP_1)
	v_add_f32_e32 v20, v19, v20
.LBB453_147:
	s_or_b32 exec_lo, exec_lo, s30
	s_delay_alu instid0(VALU_DEP_1) | instskip(SKIP_1) | instid1(VALU_DEP_2)
	v_bfe_u32 v19, v20, 16, 1
	v_cmp_o_f32_e32 vcc_lo, v20, v20
	v_add3_u32 v19, v20, v19, 0x7fff
	s_delay_alu instid0(VALU_DEP_1) | instskip(NEXT) | instid1(VALU_DEP_1)
	v_lshrrev_b32_e32 v19, 16, v19
	v_cndmask_b32_e32 v21, 0x7fc0, v19, vcc_lo
.LBB453_148:
	s_or_b32 exec_lo, exec_lo, vcc_hi
	v_mov_b32_e32 v19, 0
	s_mov_b32 s30, 0x3e9b6dac
	s_branch .LBB453_150
.LBB453_149:                            ;   in Loop: Header=BB453_150 Depth=1
                                        ; implicit-def: $vgpr21
                                        ; implicit-def: $vgpr148
	s_cbranch_execnz .LBB453_178
.LBB453_150:                            ; =>This Loop Header: Depth=1
                                        ;     Child Loop BB453_153 Depth 2
	v_and_b32_e32 v20, 0xff, v148
	s_waitcnt lgkmcnt(0)
	s_delay_alu instid0(VALU_DEP_2) | instskip(NEXT) | instid1(VALU_DEP_2)
	v_mov_b32_e32 v166, v21
	v_cmp_ne_u16_e32 vcc_lo, 2, v20
	v_cndmask_b32_e64 v20, 0, 1, vcc_lo
	;;#ASMSTART
	;;#ASMEND
	s_delay_alu instid0(VALU_DEP_1)
	v_cmp_ne_u32_e32 vcc_lo, 0, v20
	s_cmp_lg_u32 vcc_lo, exec_lo
	s_cbranch_scc1 .LBB453_149
; %bb.151:                              ;   in Loop: Header=BB453_150 Depth=1
	v_lshlrev_b64 v[20:21], 2, v[18:19]
	s_mov_b32 vcc_hi, exec_lo
	s_delay_alu instid0(VALU_DEP_1) | instskip(NEXT) | instid1(VALU_DEP_2)
	v_add_co_u32 v20, vcc_lo, v14, v20
	v_add_co_ci_u32_e32 v21, vcc_lo, v15, v21, vcc_lo
	flat_load_b32 v176, v[20:21] glc
	s_waitcnt vmcnt(0) lgkmcnt(0)
	v_lshrrev_b32_e32 v148, 16, v176
	s_delay_alu instid0(VALU_DEP_1) | instskip(NEXT) | instid1(VALU_DEP_1)
	v_and_b32_e32 v177, 0xff, v148
	v_cmpx_eq_u16_e64 0, v177
	s_cbranch_execz .LBB453_155
; %bb.152:                              ;   in Loop: Header=BB453_150 Depth=1
	s_mov_b32 s31, 0
.LBB453_153:                            ;   Parent Loop BB453_150 Depth=1
                                        ; =>  This Inner Loop Header: Depth=2
	flat_load_b32 v176, v[20:21] glc
	s_waitcnt vmcnt(0) lgkmcnt(0)
	v_lshrrev_b32_e32 v148, 16, v176
	s_delay_alu instid0(VALU_DEP_1) | instskip(NEXT) | instid1(VALU_DEP_1)
	v_and_b32_e32 v177, 0xff, v148
	v_cmp_ne_u16_e64 vcc_lo, 0, v177
	s_delay_alu instid0(VALU_DEP_1) | instskip(NEXT) | instid1(SALU_CYCLE_1)
	s_or_b32 s31, vcc_lo, s31
	s_and_not1_b32 exec_lo, exec_lo, s31
	s_cbranch_execnz .LBB453_153
; %bb.154:                              ;   in Loop: Header=BB453_150 Depth=1
	s_or_b32 exec_lo, exec_lo, s31
.LBB453_155:                            ;   in Loop: Header=BB453_150 Depth=1
	s_delay_alu instid0(SALU_CYCLE_1)
	s_or_b32 exec_lo, exec_lo, vcc_hi
	v_and_b32_e32 v21, 0xffff, v176
	v_and_b32_e32 v20, 0xff, v148
	ds_bpermute_b32 v177, v149, v21
	v_cmp_eq_u16_e32 vcc_lo, 2, v20
	s_mov_b32 vcc_hi, exec_lo
	v_and_or_b32 v20, vcc_lo, v150, 0x80000000
	s_delay_alu instid0(VALU_DEP_1) | instskip(NEXT) | instid1(VALU_DEP_1)
	v_ctz_i32_b32_e32 v20, v20
	v_cmpx_lt_u32_e64 v147, v20
	s_cbranch_execz .LBB453_159
; %bb.156:                              ;   in Loop: Header=BB453_150 Depth=1
	s_waitcnt lgkmcnt(0)
	v_lshlrev_b32_e32 v176, 16, v177
	s_delay_alu instid0(VALU_DEP_1) | instskip(SKIP_1) | instid1(VALU_DEP_2)
	v_dual_max_f32 v178, v176, v176 :: v_dual_lshlrev_b32 v21, 16, v21
	v_cmp_u_f32_e32 vcc_lo, v176, v176
	v_max_f32_e32 v177, v21, v21
	s_delay_alu instid0(VALU_DEP_1) | instskip(NEXT) | instid1(VALU_DEP_1)
	v_min_f32_e32 v179, v178, v177
	v_dual_max_f32 v177, v178, v177 :: v_dual_cndmask_b32 v178, v179, v176
	s_delay_alu instid0(VALU_DEP_1) | instskip(SKIP_1) | instid1(VALU_DEP_3)
	v_cndmask_b32_e32 v179, v177, v176, vcc_lo
	v_cmp_u_f32_e32 vcc_lo, v21, v21
	v_cndmask_b32_e32 v177, v178, v21, vcc_lo
	s_delay_alu instid0(VALU_DEP_3) | instskip(NEXT) | instid1(VALU_DEP_2)
	v_cndmask_b32_e32 v21, v179, v21, vcc_lo
	v_cmp_class_f32_e64 s31, v177, 0x1f8
	s_delay_alu instid0(VALU_DEP_2) | instskip(NEXT) | instid1(VALU_DEP_2)
	v_cmp_neq_f32_e32 vcc_lo, v177, v21
	s_or_b32 vcc_lo, vcc_lo, s31
	s_delay_alu instid0(SALU_CYCLE_1)
	s_and_saveexec_b32 s31, vcc_lo
	s_cbranch_execz .LBB453_158
; %bb.157:                              ;   in Loop: Header=BB453_150 Depth=1
	v_sub_f32_e32 v176, v177, v21
	s_delay_alu instid0(VALU_DEP_1) | instskip(SKIP_1) | instid1(VALU_DEP_2)
	v_mul_f32_e32 v177, 0x3fb8aa3b, v176
	v_cmp_ngt_f32_e32 vcc_lo, 0xc2ce8ed0, v176
	v_fma_f32 v178, 0x3fb8aa3b, v176, -v177
	v_rndne_f32_e32 v179, v177
	s_delay_alu instid0(VALU_DEP_1) | instskip(NEXT) | instid1(VALU_DEP_1)
	v_dual_fmac_f32 v178, 0x32a5705f, v176 :: v_dual_sub_f32 v177, v177, v179
	v_add_f32_e32 v177, v177, v178
	v_cvt_i32_f32_e32 v178, v179
	s_delay_alu instid0(VALU_DEP_2) | instskip(SKIP_2) | instid1(VALU_DEP_1)
	v_exp_f32_e32 v177, v177
	s_waitcnt_depctr 0xfff
	v_ldexp_f32 v177, v177, v178
	v_cndmask_b32_e32 v177, 0, v177, vcc_lo
	v_cmp_nlt_f32_e32 vcc_lo, 0x42b17218, v176
	s_delay_alu instid0(VALU_DEP_2) | instskip(NEXT) | instid1(VALU_DEP_1)
	v_cndmask_b32_e32 v178, 0x7f800000, v177, vcc_lo
	v_add_f32_e32 v179, 1.0, v178
	s_delay_alu instid0(VALU_DEP_1) | instskip(NEXT) | instid1(VALU_DEP_1)
	v_cvt_f64_f32_e32 v[176:177], v179
	v_frexp_exp_i32_f64_e32 v176, v[176:177]
	v_frexp_mant_f32_e32 v177, v179
	s_delay_alu instid0(VALU_DEP_1) | instskip(SKIP_2) | instid1(VALU_DEP_2)
	v_cmp_gt_f32_e32 vcc_lo, 0x3f2aaaab, v177
	v_add_f32_e32 v177, -1.0, v179
	v_cmp_gt_f32_e64 s34, 0x33800000, |v178|
	v_sub_f32_e32 v181, v177, v179
	v_sub_f32_e32 v177, v178, v177
	s_delay_alu instid0(VALU_DEP_2) | instskip(NEXT) | instid1(VALU_DEP_1)
	v_add_f32_e32 v181, 1.0, v181
	v_add_f32_e32 v177, v177, v181
	v_subrev_co_ci_u32_e32 v176, vcc_lo, 0, v176, vcc_lo
	v_cmp_eq_f32_e32 vcc_lo, 0x7f800000, v178
	s_delay_alu instid0(VALU_DEP_2) | instskip(SKIP_2) | instid1(VALU_DEP_2)
	v_sub_nc_u32_e32 v180, 0, v176
	v_cvt_f32_i32_e32 v176, v176
	s_or_b32 vcc_lo, vcc_lo, s34
	v_ldexp_f32 v179, v179, v180
	v_ldexp_f32 v177, v177, v180
	s_delay_alu instid0(VALU_DEP_2) | instskip(NEXT) | instid1(VALU_DEP_1)
	v_add_f32_e32 v182, 1.0, v179
	v_dual_add_f32 v180, -1.0, v179 :: v_dual_add_f32 v181, -1.0, v182
	s_delay_alu instid0(VALU_DEP_1) | instskip(NEXT) | instid1(VALU_DEP_2)
	v_add_f32_e32 v183, 1.0, v180
	v_sub_f32_e32 v181, v179, v181
	s_delay_alu instid0(VALU_DEP_2) | instskip(NEXT) | instid1(VALU_DEP_2)
	v_sub_f32_e32 v179, v179, v183
	v_add_f32_e32 v181, v177, v181
	s_delay_alu instid0(VALU_DEP_1) | instskip(NEXT) | instid1(VALU_DEP_3)
	v_add_f32_e32 v183, v182, v181
	v_add_f32_e32 v177, v177, v179
	s_delay_alu instid0(VALU_DEP_2) | instskip(NEXT) | instid1(VALU_DEP_1)
	v_rcp_f32_e32 v179, v183
	v_add_f32_e32 v192, v180, v177
	v_sub_f32_e32 v182, v182, v183
	s_delay_alu instid0(VALU_DEP_1) | instskip(SKIP_2) | instid1(VALU_DEP_1)
	v_dual_sub_f32 v180, v180, v192 :: v_dual_add_f32 v181, v181, v182
	s_waitcnt_depctr 0xfff
	v_mul_f32_e32 v193, v192, v179
	v_dual_add_f32 v177, v177, v180 :: v_dual_mul_f32 v194, v183, v193
	s_delay_alu instid0(VALU_DEP_1) | instskip(NEXT) | instid1(VALU_DEP_1)
	v_fma_f32 v182, v193, v183, -v194
	v_fmac_f32_e32 v182, v193, v181
	s_delay_alu instid0(VALU_DEP_1) | instskip(NEXT) | instid1(VALU_DEP_1)
	v_add_f32_e32 v195, v194, v182
	v_sub_f32_e32 v196, v192, v195
	v_sub_f32_e32 v180, v195, v194
	s_delay_alu instid0(VALU_DEP_2) | instskip(NEXT) | instid1(VALU_DEP_2)
	v_sub_f32_e32 v192, v192, v196
	v_sub_f32_e32 v180, v180, v182
	s_delay_alu instid0(VALU_DEP_2) | instskip(NEXT) | instid1(VALU_DEP_1)
	v_sub_f32_e32 v192, v192, v195
	v_add_f32_e32 v177, v177, v192
	s_delay_alu instid0(VALU_DEP_1) | instskip(NEXT) | instid1(VALU_DEP_1)
	v_add_f32_e32 v177, v180, v177
	v_add_f32_e32 v180, v196, v177
	s_delay_alu instid0(VALU_DEP_1) | instskip(NEXT) | instid1(VALU_DEP_1)
	v_mul_f32_e32 v182, v179, v180
	v_dual_sub_f32 v195, v196, v180 :: v_dual_mul_f32 v192, v183, v182
	s_delay_alu instid0(VALU_DEP_1) | instskip(NEXT) | instid1(VALU_DEP_2)
	v_add_f32_e32 v177, v177, v195
	v_fma_f32 v183, v182, v183, -v192
	s_delay_alu instid0(VALU_DEP_1) | instskip(NEXT) | instid1(VALU_DEP_1)
	v_fmac_f32_e32 v183, v182, v181
	v_add_f32_e32 v181, v192, v183
	s_delay_alu instid0(VALU_DEP_1) | instskip(SKIP_1) | instid1(VALU_DEP_2)
	v_sub_f32_e32 v194, v180, v181
	v_sub_f32_e32 v192, v181, v192
	;; [unrolled: 1-line block ×3, first 2 shown]
	s_delay_alu instid0(VALU_DEP_1) | instskip(NEXT) | instid1(VALU_DEP_3)
	v_sub_f32_e32 v180, v180, v181
	v_sub_f32_e32 v181, v192, v183
	s_delay_alu instid0(VALU_DEP_2) | instskip(SKIP_1) | instid1(VALU_DEP_2)
	v_add_f32_e32 v177, v177, v180
	v_add_f32_e32 v180, v193, v182
	;; [unrolled: 1-line block ×3, first 2 shown]
	s_delay_alu instid0(VALU_DEP_2) | instskip(NEXT) | instid1(VALU_DEP_2)
	v_sub_f32_e32 v181, v180, v193
	v_add_f32_e32 v177, v194, v177
	s_delay_alu instid0(VALU_DEP_2) | instskip(NEXT) | instid1(VALU_DEP_2)
	v_sub_f32_e32 v181, v182, v181
	v_mul_f32_e32 v177, v179, v177
	s_delay_alu instid0(VALU_DEP_1) | instskip(NEXT) | instid1(VALU_DEP_1)
	v_add_f32_e32 v177, v181, v177
	v_add_f32_e32 v179, v180, v177
	s_delay_alu instid0(VALU_DEP_1) | instskip(NEXT) | instid1(VALU_DEP_1)
	v_mul_f32_e32 v181, v179, v179
	v_fmaak_f32 v182, s30, v181, 0x3ecc95a3
	v_mul_f32_e32 v183, v179, v181
	s_delay_alu instid0(VALU_DEP_2) | instskip(SKIP_2) | instid1(VALU_DEP_3)
	v_fmaak_f32 v181, v181, v182, 0x3f2aaada
	v_ldexp_f32 v182, v179, 1
	v_sub_f32_e32 v179, v179, v180
	v_mul_f32_e32 v181, v183, v181
	v_mul_f32_e32 v183, 0x3f317218, v176
	s_delay_alu instid0(VALU_DEP_2) | instskip(NEXT) | instid1(VALU_DEP_1)
	v_dual_sub_f32 v177, v177, v179 :: v_dual_add_f32 v180, v182, v181
	v_ldexp_f32 v177, v177, 1
	s_delay_alu instid0(VALU_DEP_2) | instskip(NEXT) | instid1(VALU_DEP_4)
	v_sub_f32_e32 v179, v180, v182
	v_fma_f32 v182, 0x3f317218, v176, -v183
	s_delay_alu instid0(VALU_DEP_1) | instskip(NEXT) | instid1(VALU_DEP_1)
	v_dual_sub_f32 v179, v181, v179 :: v_dual_fmac_f32 v182, 0xb102e308, v176
	v_dual_add_f32 v176, v177, v179 :: v_dual_add_f32 v177, v183, v182
	s_delay_alu instid0(VALU_DEP_1) | instskip(NEXT) | instid1(VALU_DEP_2)
	v_add_f32_e32 v179, v180, v176
	v_sub_f32_e32 v183, v177, v183
	s_delay_alu instid0(VALU_DEP_2) | instskip(NEXT) | instid1(VALU_DEP_2)
	v_dual_add_f32 v181, v177, v179 :: v_dual_sub_f32 v180, v179, v180
	v_sub_f32_e32 v182, v182, v183
	s_delay_alu instid0(VALU_DEP_2) | instskip(NEXT) | instid1(VALU_DEP_3)
	v_sub_f32_e32 v192, v181, v177
	v_sub_f32_e32 v176, v176, v180
	s_delay_alu instid0(VALU_DEP_2) | instskip(SKIP_1) | instid1(VALU_DEP_2)
	v_sub_f32_e32 v193, v181, v192
	v_sub_f32_e32 v179, v179, v192
	v_dual_add_f32 v180, v182, v176 :: v_dual_sub_f32 v177, v177, v193
	s_delay_alu instid0(VALU_DEP_1) | instskip(NEXT) | instid1(VALU_DEP_2)
	v_add_f32_e32 v177, v179, v177
	v_sub_f32_e32 v179, v180, v182
	s_delay_alu instid0(VALU_DEP_2) | instskip(NEXT) | instid1(VALU_DEP_2)
	v_add_f32_e32 v177, v180, v177
	v_sub_f32_e32 v180, v180, v179
	s_delay_alu instid0(VALU_DEP_2) | instskip(NEXT) | instid1(VALU_DEP_1)
	v_dual_sub_f32 v176, v176, v179 :: v_dual_add_f32 v183, v181, v177
	v_dual_sub_f32 v180, v182, v180 :: v_dual_sub_f32 v179, v183, v181
	s_delay_alu instid0(VALU_DEP_1) | instskip(NEXT) | instid1(VALU_DEP_1)
	v_dual_add_f32 v176, v176, v180 :: v_dual_sub_f32 v177, v177, v179
	v_add_f32_e32 v176, v176, v177
	s_delay_alu instid0(VALU_DEP_1) | instskip(NEXT) | instid1(VALU_DEP_1)
	v_add_f32_e32 v176, v183, v176
	v_cndmask_b32_e32 v176, v176, v178, vcc_lo
	s_delay_alu instid0(VALU_DEP_1)
	v_add_f32_e32 v176, v21, v176
.LBB453_158:                            ;   in Loop: Header=BB453_150 Depth=1
	s_or_b32 exec_lo, exec_lo, s31
	s_delay_alu instid0(VALU_DEP_1) | instskip(SKIP_1) | instid1(VALU_DEP_2)
	v_bfe_u32 v21, v176, 16, 1
	v_cmp_o_f32_e32 vcc_lo, v176, v176
	v_add3_u32 v21, v176, v21, 0x7fff
	s_delay_alu instid0(VALU_DEP_1) | instskip(NEXT) | instid1(VALU_DEP_1)
	v_lshrrev_b32_e32 v21, 16, v21
	v_cndmask_b32_e32 v176, 0x7fc0, v21, vcc_lo
	s_delay_alu instid0(VALU_DEP_1)
	v_and_b32_e32 v21, 0xffff, v176
.LBB453_159:                            ;   in Loop: Header=BB453_150 Depth=1
	s_or_b32 exec_lo, exec_lo, vcc_hi
	s_waitcnt lgkmcnt(0)
	ds_bpermute_b32 v177, v151, v21
	s_mov_b32 vcc_hi, exec_lo
	v_cmpx_le_u32_e64 v160, v20
	s_cbranch_execz .LBB453_163
; %bb.160:                              ;   in Loop: Header=BB453_150 Depth=1
	s_waitcnt lgkmcnt(0)
	v_lshlrev_b32_e32 v176, 16, v177
	s_delay_alu instid0(VALU_DEP_1) | instskip(SKIP_1) | instid1(VALU_DEP_2)
	v_dual_max_f32 v178, v176, v176 :: v_dual_lshlrev_b32 v21, 16, v21
	v_cmp_u_f32_e32 vcc_lo, v176, v176
	v_max_f32_e32 v177, v21, v21
	s_delay_alu instid0(VALU_DEP_1) | instskip(NEXT) | instid1(VALU_DEP_1)
	v_min_f32_e32 v179, v178, v177
	v_dual_max_f32 v177, v178, v177 :: v_dual_cndmask_b32 v178, v179, v176
	s_delay_alu instid0(VALU_DEP_1) | instskip(SKIP_1) | instid1(VALU_DEP_3)
	v_cndmask_b32_e32 v179, v177, v176, vcc_lo
	v_cmp_u_f32_e32 vcc_lo, v21, v21
	v_cndmask_b32_e32 v177, v178, v21, vcc_lo
	s_delay_alu instid0(VALU_DEP_3) | instskip(NEXT) | instid1(VALU_DEP_2)
	v_cndmask_b32_e32 v21, v179, v21, vcc_lo
	v_cmp_class_f32_e64 s31, v177, 0x1f8
	s_delay_alu instid0(VALU_DEP_2) | instskip(NEXT) | instid1(VALU_DEP_2)
	v_cmp_neq_f32_e32 vcc_lo, v177, v21
	s_or_b32 vcc_lo, vcc_lo, s31
	s_delay_alu instid0(SALU_CYCLE_1)
	s_and_saveexec_b32 s31, vcc_lo
	s_cbranch_execz .LBB453_162
; %bb.161:                              ;   in Loop: Header=BB453_150 Depth=1
	v_sub_f32_e32 v176, v177, v21
	s_delay_alu instid0(VALU_DEP_1) | instskip(SKIP_1) | instid1(VALU_DEP_2)
	v_mul_f32_e32 v177, 0x3fb8aa3b, v176
	v_cmp_ngt_f32_e32 vcc_lo, 0xc2ce8ed0, v176
	v_fma_f32 v178, 0x3fb8aa3b, v176, -v177
	v_rndne_f32_e32 v179, v177
	s_delay_alu instid0(VALU_DEP_1) | instskip(NEXT) | instid1(VALU_DEP_1)
	v_dual_fmac_f32 v178, 0x32a5705f, v176 :: v_dual_sub_f32 v177, v177, v179
	v_add_f32_e32 v177, v177, v178
	v_cvt_i32_f32_e32 v178, v179
	s_delay_alu instid0(VALU_DEP_2) | instskip(SKIP_2) | instid1(VALU_DEP_1)
	v_exp_f32_e32 v177, v177
	s_waitcnt_depctr 0xfff
	v_ldexp_f32 v177, v177, v178
	v_cndmask_b32_e32 v177, 0, v177, vcc_lo
	v_cmp_nlt_f32_e32 vcc_lo, 0x42b17218, v176
	s_delay_alu instid0(VALU_DEP_2) | instskip(NEXT) | instid1(VALU_DEP_1)
	v_cndmask_b32_e32 v178, 0x7f800000, v177, vcc_lo
	v_add_f32_e32 v179, 1.0, v178
	s_delay_alu instid0(VALU_DEP_1) | instskip(NEXT) | instid1(VALU_DEP_1)
	v_cvt_f64_f32_e32 v[176:177], v179
	v_frexp_exp_i32_f64_e32 v176, v[176:177]
	v_frexp_mant_f32_e32 v177, v179
	s_delay_alu instid0(VALU_DEP_1) | instskip(SKIP_2) | instid1(VALU_DEP_2)
	v_cmp_gt_f32_e32 vcc_lo, 0x3f2aaaab, v177
	v_add_f32_e32 v177, -1.0, v179
	v_cmp_gt_f32_e64 s34, 0x33800000, |v178|
	v_sub_f32_e32 v181, v177, v179
	v_sub_f32_e32 v177, v178, v177
	s_delay_alu instid0(VALU_DEP_2) | instskip(NEXT) | instid1(VALU_DEP_1)
	v_add_f32_e32 v181, 1.0, v181
	v_add_f32_e32 v177, v177, v181
	v_subrev_co_ci_u32_e32 v176, vcc_lo, 0, v176, vcc_lo
	v_cmp_eq_f32_e32 vcc_lo, 0x7f800000, v178
	s_delay_alu instid0(VALU_DEP_2) | instskip(SKIP_2) | instid1(VALU_DEP_2)
	v_sub_nc_u32_e32 v180, 0, v176
	v_cvt_f32_i32_e32 v176, v176
	s_or_b32 vcc_lo, vcc_lo, s34
	v_ldexp_f32 v179, v179, v180
	v_ldexp_f32 v177, v177, v180
	s_delay_alu instid0(VALU_DEP_2) | instskip(NEXT) | instid1(VALU_DEP_1)
	v_add_f32_e32 v182, 1.0, v179
	v_dual_add_f32 v180, -1.0, v179 :: v_dual_add_f32 v181, -1.0, v182
	s_delay_alu instid0(VALU_DEP_1) | instskip(NEXT) | instid1(VALU_DEP_2)
	v_add_f32_e32 v183, 1.0, v180
	v_sub_f32_e32 v181, v179, v181
	s_delay_alu instid0(VALU_DEP_2) | instskip(NEXT) | instid1(VALU_DEP_2)
	v_sub_f32_e32 v179, v179, v183
	v_add_f32_e32 v181, v177, v181
	s_delay_alu instid0(VALU_DEP_1) | instskip(NEXT) | instid1(VALU_DEP_3)
	v_add_f32_e32 v183, v182, v181
	v_add_f32_e32 v177, v177, v179
	s_delay_alu instid0(VALU_DEP_2) | instskip(NEXT) | instid1(VALU_DEP_1)
	v_rcp_f32_e32 v179, v183
	v_add_f32_e32 v192, v180, v177
	v_sub_f32_e32 v182, v182, v183
	s_delay_alu instid0(VALU_DEP_1) | instskip(SKIP_2) | instid1(VALU_DEP_1)
	v_dual_sub_f32 v180, v180, v192 :: v_dual_add_f32 v181, v181, v182
	s_waitcnt_depctr 0xfff
	v_mul_f32_e32 v193, v192, v179
	v_dual_add_f32 v177, v177, v180 :: v_dual_mul_f32 v194, v183, v193
	s_delay_alu instid0(VALU_DEP_1) | instskip(NEXT) | instid1(VALU_DEP_1)
	v_fma_f32 v182, v193, v183, -v194
	v_fmac_f32_e32 v182, v193, v181
	s_delay_alu instid0(VALU_DEP_1) | instskip(NEXT) | instid1(VALU_DEP_1)
	v_add_f32_e32 v195, v194, v182
	v_sub_f32_e32 v196, v192, v195
	v_sub_f32_e32 v180, v195, v194
	s_delay_alu instid0(VALU_DEP_2) | instskip(NEXT) | instid1(VALU_DEP_2)
	v_sub_f32_e32 v192, v192, v196
	v_sub_f32_e32 v180, v180, v182
	s_delay_alu instid0(VALU_DEP_2) | instskip(NEXT) | instid1(VALU_DEP_1)
	v_sub_f32_e32 v192, v192, v195
	v_add_f32_e32 v177, v177, v192
	s_delay_alu instid0(VALU_DEP_1) | instskip(NEXT) | instid1(VALU_DEP_1)
	v_add_f32_e32 v177, v180, v177
	v_add_f32_e32 v180, v196, v177
	s_delay_alu instid0(VALU_DEP_1) | instskip(NEXT) | instid1(VALU_DEP_1)
	v_mul_f32_e32 v182, v179, v180
	v_dual_sub_f32 v195, v196, v180 :: v_dual_mul_f32 v192, v183, v182
	s_delay_alu instid0(VALU_DEP_1) | instskip(NEXT) | instid1(VALU_DEP_2)
	v_add_f32_e32 v177, v177, v195
	v_fma_f32 v183, v182, v183, -v192
	s_delay_alu instid0(VALU_DEP_1) | instskip(NEXT) | instid1(VALU_DEP_1)
	v_fmac_f32_e32 v183, v182, v181
	v_add_f32_e32 v181, v192, v183
	s_delay_alu instid0(VALU_DEP_1) | instskip(SKIP_1) | instid1(VALU_DEP_2)
	v_sub_f32_e32 v194, v180, v181
	v_sub_f32_e32 v192, v181, v192
	;; [unrolled: 1-line block ×3, first 2 shown]
	s_delay_alu instid0(VALU_DEP_1) | instskip(NEXT) | instid1(VALU_DEP_3)
	v_sub_f32_e32 v180, v180, v181
	v_sub_f32_e32 v181, v192, v183
	s_delay_alu instid0(VALU_DEP_2) | instskip(SKIP_1) | instid1(VALU_DEP_2)
	v_add_f32_e32 v177, v177, v180
	v_add_f32_e32 v180, v193, v182
	;; [unrolled: 1-line block ×3, first 2 shown]
	s_delay_alu instid0(VALU_DEP_2) | instskip(NEXT) | instid1(VALU_DEP_2)
	v_sub_f32_e32 v181, v180, v193
	v_add_f32_e32 v177, v194, v177
	s_delay_alu instid0(VALU_DEP_2) | instskip(NEXT) | instid1(VALU_DEP_2)
	v_sub_f32_e32 v181, v182, v181
	v_mul_f32_e32 v177, v179, v177
	s_delay_alu instid0(VALU_DEP_1) | instskip(NEXT) | instid1(VALU_DEP_1)
	v_add_f32_e32 v177, v181, v177
	v_add_f32_e32 v179, v180, v177
	s_delay_alu instid0(VALU_DEP_1) | instskip(NEXT) | instid1(VALU_DEP_1)
	v_mul_f32_e32 v181, v179, v179
	v_fmaak_f32 v182, s30, v181, 0x3ecc95a3
	v_mul_f32_e32 v183, v179, v181
	s_delay_alu instid0(VALU_DEP_2) | instskip(SKIP_2) | instid1(VALU_DEP_3)
	v_fmaak_f32 v181, v181, v182, 0x3f2aaada
	v_ldexp_f32 v182, v179, 1
	v_sub_f32_e32 v179, v179, v180
	v_mul_f32_e32 v181, v183, v181
	v_mul_f32_e32 v183, 0x3f317218, v176
	s_delay_alu instid0(VALU_DEP_2) | instskip(NEXT) | instid1(VALU_DEP_1)
	v_dual_sub_f32 v177, v177, v179 :: v_dual_add_f32 v180, v182, v181
	v_ldexp_f32 v177, v177, 1
	s_delay_alu instid0(VALU_DEP_2) | instskip(NEXT) | instid1(VALU_DEP_4)
	v_sub_f32_e32 v179, v180, v182
	v_fma_f32 v182, 0x3f317218, v176, -v183
	s_delay_alu instid0(VALU_DEP_1) | instskip(NEXT) | instid1(VALU_DEP_1)
	v_dual_sub_f32 v179, v181, v179 :: v_dual_fmac_f32 v182, 0xb102e308, v176
	v_dual_add_f32 v176, v177, v179 :: v_dual_add_f32 v177, v183, v182
	s_delay_alu instid0(VALU_DEP_1) | instskip(NEXT) | instid1(VALU_DEP_2)
	v_add_f32_e32 v179, v180, v176
	v_sub_f32_e32 v183, v177, v183
	s_delay_alu instid0(VALU_DEP_2) | instskip(NEXT) | instid1(VALU_DEP_2)
	v_dual_add_f32 v181, v177, v179 :: v_dual_sub_f32 v180, v179, v180
	v_sub_f32_e32 v182, v182, v183
	s_delay_alu instid0(VALU_DEP_2) | instskip(NEXT) | instid1(VALU_DEP_3)
	v_sub_f32_e32 v192, v181, v177
	v_sub_f32_e32 v176, v176, v180
	s_delay_alu instid0(VALU_DEP_2) | instskip(SKIP_1) | instid1(VALU_DEP_2)
	v_sub_f32_e32 v193, v181, v192
	v_sub_f32_e32 v179, v179, v192
	v_dual_add_f32 v180, v182, v176 :: v_dual_sub_f32 v177, v177, v193
	s_delay_alu instid0(VALU_DEP_1) | instskip(NEXT) | instid1(VALU_DEP_2)
	v_add_f32_e32 v177, v179, v177
	v_sub_f32_e32 v179, v180, v182
	s_delay_alu instid0(VALU_DEP_2) | instskip(NEXT) | instid1(VALU_DEP_2)
	v_add_f32_e32 v177, v180, v177
	v_sub_f32_e32 v180, v180, v179
	s_delay_alu instid0(VALU_DEP_2) | instskip(NEXT) | instid1(VALU_DEP_1)
	v_dual_sub_f32 v176, v176, v179 :: v_dual_add_f32 v183, v181, v177
	v_dual_sub_f32 v180, v182, v180 :: v_dual_sub_f32 v179, v183, v181
	s_delay_alu instid0(VALU_DEP_1) | instskip(NEXT) | instid1(VALU_DEP_1)
	v_dual_add_f32 v176, v176, v180 :: v_dual_sub_f32 v177, v177, v179
	v_add_f32_e32 v176, v176, v177
	s_delay_alu instid0(VALU_DEP_1) | instskip(NEXT) | instid1(VALU_DEP_1)
	v_add_f32_e32 v176, v183, v176
	v_cndmask_b32_e32 v176, v176, v178, vcc_lo
	s_delay_alu instid0(VALU_DEP_1)
	v_add_f32_e32 v176, v21, v176
.LBB453_162:                            ;   in Loop: Header=BB453_150 Depth=1
	s_or_b32 exec_lo, exec_lo, s31
	s_delay_alu instid0(VALU_DEP_1) | instskip(SKIP_1) | instid1(VALU_DEP_2)
	v_bfe_u32 v21, v176, 16, 1
	v_cmp_o_f32_e32 vcc_lo, v176, v176
	v_add3_u32 v21, v176, v21, 0x7fff
	s_delay_alu instid0(VALU_DEP_1) | instskip(NEXT) | instid1(VALU_DEP_1)
	v_lshrrev_b32_e32 v21, 16, v21
	v_cndmask_b32_e32 v176, 0x7fc0, v21, vcc_lo
	s_delay_alu instid0(VALU_DEP_1)
	v_and_b32_e32 v21, 0xffff, v176
.LBB453_163:                            ;   in Loop: Header=BB453_150 Depth=1
	s_or_b32 exec_lo, exec_lo, vcc_hi
	s_waitcnt lgkmcnt(0)
	ds_bpermute_b32 v177, v161, v21
	s_mov_b32 vcc_hi, exec_lo
	v_cmpx_le_u32_e64 v162, v20
	s_cbranch_execz .LBB453_167
; %bb.164:                              ;   in Loop: Header=BB453_150 Depth=1
	s_waitcnt lgkmcnt(0)
	v_lshlrev_b32_e32 v176, 16, v177
	s_delay_alu instid0(VALU_DEP_1) | instskip(SKIP_1) | instid1(VALU_DEP_2)
	v_dual_max_f32 v178, v176, v176 :: v_dual_lshlrev_b32 v21, 16, v21
	v_cmp_u_f32_e32 vcc_lo, v176, v176
	v_max_f32_e32 v177, v21, v21
	s_delay_alu instid0(VALU_DEP_1) | instskip(NEXT) | instid1(VALU_DEP_1)
	v_min_f32_e32 v179, v178, v177
	v_dual_max_f32 v177, v178, v177 :: v_dual_cndmask_b32 v178, v179, v176
	s_delay_alu instid0(VALU_DEP_1) | instskip(SKIP_1) | instid1(VALU_DEP_3)
	v_cndmask_b32_e32 v179, v177, v176, vcc_lo
	v_cmp_u_f32_e32 vcc_lo, v21, v21
	v_cndmask_b32_e32 v177, v178, v21, vcc_lo
	s_delay_alu instid0(VALU_DEP_3) | instskip(NEXT) | instid1(VALU_DEP_2)
	v_cndmask_b32_e32 v21, v179, v21, vcc_lo
	v_cmp_class_f32_e64 s31, v177, 0x1f8
	s_delay_alu instid0(VALU_DEP_2) | instskip(NEXT) | instid1(VALU_DEP_2)
	v_cmp_neq_f32_e32 vcc_lo, v177, v21
	s_or_b32 vcc_lo, vcc_lo, s31
	s_delay_alu instid0(SALU_CYCLE_1)
	s_and_saveexec_b32 s31, vcc_lo
	s_cbranch_execz .LBB453_166
; %bb.165:                              ;   in Loop: Header=BB453_150 Depth=1
	v_sub_f32_e32 v176, v177, v21
	s_delay_alu instid0(VALU_DEP_1) | instskip(SKIP_1) | instid1(VALU_DEP_2)
	v_mul_f32_e32 v177, 0x3fb8aa3b, v176
	v_cmp_ngt_f32_e32 vcc_lo, 0xc2ce8ed0, v176
	v_fma_f32 v178, 0x3fb8aa3b, v176, -v177
	v_rndne_f32_e32 v179, v177
	s_delay_alu instid0(VALU_DEP_1) | instskip(NEXT) | instid1(VALU_DEP_1)
	v_dual_fmac_f32 v178, 0x32a5705f, v176 :: v_dual_sub_f32 v177, v177, v179
	v_add_f32_e32 v177, v177, v178
	v_cvt_i32_f32_e32 v178, v179
	s_delay_alu instid0(VALU_DEP_2) | instskip(SKIP_2) | instid1(VALU_DEP_1)
	v_exp_f32_e32 v177, v177
	s_waitcnt_depctr 0xfff
	v_ldexp_f32 v177, v177, v178
	v_cndmask_b32_e32 v177, 0, v177, vcc_lo
	v_cmp_nlt_f32_e32 vcc_lo, 0x42b17218, v176
	s_delay_alu instid0(VALU_DEP_2) | instskip(NEXT) | instid1(VALU_DEP_1)
	v_cndmask_b32_e32 v178, 0x7f800000, v177, vcc_lo
	v_add_f32_e32 v179, 1.0, v178
	s_delay_alu instid0(VALU_DEP_1) | instskip(NEXT) | instid1(VALU_DEP_1)
	v_cvt_f64_f32_e32 v[176:177], v179
	v_frexp_exp_i32_f64_e32 v176, v[176:177]
	v_frexp_mant_f32_e32 v177, v179
	s_delay_alu instid0(VALU_DEP_1) | instskip(SKIP_2) | instid1(VALU_DEP_2)
	v_cmp_gt_f32_e32 vcc_lo, 0x3f2aaaab, v177
	v_add_f32_e32 v177, -1.0, v179
	v_cmp_gt_f32_e64 s34, 0x33800000, |v178|
	v_sub_f32_e32 v181, v177, v179
	v_sub_f32_e32 v177, v178, v177
	s_delay_alu instid0(VALU_DEP_2) | instskip(NEXT) | instid1(VALU_DEP_1)
	v_add_f32_e32 v181, 1.0, v181
	v_add_f32_e32 v177, v177, v181
	v_subrev_co_ci_u32_e32 v176, vcc_lo, 0, v176, vcc_lo
	v_cmp_eq_f32_e32 vcc_lo, 0x7f800000, v178
	s_delay_alu instid0(VALU_DEP_2) | instskip(SKIP_2) | instid1(VALU_DEP_2)
	v_sub_nc_u32_e32 v180, 0, v176
	v_cvt_f32_i32_e32 v176, v176
	s_or_b32 vcc_lo, vcc_lo, s34
	v_ldexp_f32 v179, v179, v180
	v_ldexp_f32 v177, v177, v180
	s_delay_alu instid0(VALU_DEP_2) | instskip(NEXT) | instid1(VALU_DEP_1)
	v_add_f32_e32 v182, 1.0, v179
	v_dual_add_f32 v180, -1.0, v179 :: v_dual_add_f32 v181, -1.0, v182
	s_delay_alu instid0(VALU_DEP_1) | instskip(NEXT) | instid1(VALU_DEP_2)
	v_add_f32_e32 v183, 1.0, v180
	v_sub_f32_e32 v181, v179, v181
	s_delay_alu instid0(VALU_DEP_2) | instskip(NEXT) | instid1(VALU_DEP_2)
	v_sub_f32_e32 v179, v179, v183
	v_add_f32_e32 v181, v177, v181
	s_delay_alu instid0(VALU_DEP_1) | instskip(NEXT) | instid1(VALU_DEP_3)
	v_add_f32_e32 v183, v182, v181
	v_add_f32_e32 v177, v177, v179
	s_delay_alu instid0(VALU_DEP_2) | instskip(NEXT) | instid1(VALU_DEP_1)
	v_rcp_f32_e32 v179, v183
	v_add_f32_e32 v192, v180, v177
	v_sub_f32_e32 v182, v182, v183
	s_delay_alu instid0(VALU_DEP_1) | instskip(SKIP_2) | instid1(VALU_DEP_1)
	v_dual_sub_f32 v180, v180, v192 :: v_dual_add_f32 v181, v181, v182
	s_waitcnt_depctr 0xfff
	v_mul_f32_e32 v193, v192, v179
	v_dual_add_f32 v177, v177, v180 :: v_dual_mul_f32 v194, v183, v193
	s_delay_alu instid0(VALU_DEP_1) | instskip(NEXT) | instid1(VALU_DEP_1)
	v_fma_f32 v182, v193, v183, -v194
	v_fmac_f32_e32 v182, v193, v181
	s_delay_alu instid0(VALU_DEP_1) | instskip(NEXT) | instid1(VALU_DEP_1)
	v_add_f32_e32 v195, v194, v182
	v_sub_f32_e32 v196, v192, v195
	v_sub_f32_e32 v180, v195, v194
	s_delay_alu instid0(VALU_DEP_2) | instskip(NEXT) | instid1(VALU_DEP_2)
	v_sub_f32_e32 v192, v192, v196
	v_sub_f32_e32 v180, v180, v182
	s_delay_alu instid0(VALU_DEP_2) | instskip(NEXT) | instid1(VALU_DEP_1)
	v_sub_f32_e32 v192, v192, v195
	v_add_f32_e32 v177, v177, v192
	s_delay_alu instid0(VALU_DEP_1) | instskip(NEXT) | instid1(VALU_DEP_1)
	v_add_f32_e32 v177, v180, v177
	v_add_f32_e32 v180, v196, v177
	s_delay_alu instid0(VALU_DEP_1) | instskip(NEXT) | instid1(VALU_DEP_1)
	v_mul_f32_e32 v182, v179, v180
	v_dual_sub_f32 v195, v196, v180 :: v_dual_mul_f32 v192, v183, v182
	s_delay_alu instid0(VALU_DEP_1) | instskip(NEXT) | instid1(VALU_DEP_2)
	v_add_f32_e32 v177, v177, v195
	v_fma_f32 v183, v182, v183, -v192
	s_delay_alu instid0(VALU_DEP_1) | instskip(NEXT) | instid1(VALU_DEP_1)
	v_fmac_f32_e32 v183, v182, v181
	v_add_f32_e32 v181, v192, v183
	s_delay_alu instid0(VALU_DEP_1) | instskip(SKIP_1) | instid1(VALU_DEP_2)
	v_sub_f32_e32 v194, v180, v181
	v_sub_f32_e32 v192, v181, v192
	v_sub_f32_e32 v180, v180, v194
	s_delay_alu instid0(VALU_DEP_1) | instskip(NEXT) | instid1(VALU_DEP_3)
	v_sub_f32_e32 v180, v180, v181
	v_sub_f32_e32 v181, v192, v183
	s_delay_alu instid0(VALU_DEP_2) | instskip(SKIP_1) | instid1(VALU_DEP_2)
	v_add_f32_e32 v177, v177, v180
	v_add_f32_e32 v180, v193, v182
	;; [unrolled: 1-line block ×3, first 2 shown]
	s_delay_alu instid0(VALU_DEP_2) | instskip(NEXT) | instid1(VALU_DEP_2)
	v_sub_f32_e32 v181, v180, v193
	v_add_f32_e32 v177, v194, v177
	s_delay_alu instid0(VALU_DEP_2) | instskip(NEXT) | instid1(VALU_DEP_2)
	v_sub_f32_e32 v181, v182, v181
	v_mul_f32_e32 v177, v179, v177
	s_delay_alu instid0(VALU_DEP_1) | instskip(NEXT) | instid1(VALU_DEP_1)
	v_add_f32_e32 v177, v181, v177
	v_add_f32_e32 v179, v180, v177
	s_delay_alu instid0(VALU_DEP_1) | instskip(NEXT) | instid1(VALU_DEP_1)
	v_mul_f32_e32 v181, v179, v179
	v_fmaak_f32 v182, s30, v181, 0x3ecc95a3
	v_mul_f32_e32 v183, v179, v181
	s_delay_alu instid0(VALU_DEP_2) | instskip(SKIP_2) | instid1(VALU_DEP_3)
	v_fmaak_f32 v181, v181, v182, 0x3f2aaada
	v_ldexp_f32 v182, v179, 1
	v_sub_f32_e32 v179, v179, v180
	v_mul_f32_e32 v181, v183, v181
	v_mul_f32_e32 v183, 0x3f317218, v176
	s_delay_alu instid0(VALU_DEP_2) | instskip(NEXT) | instid1(VALU_DEP_1)
	v_dual_sub_f32 v177, v177, v179 :: v_dual_add_f32 v180, v182, v181
	v_ldexp_f32 v177, v177, 1
	s_delay_alu instid0(VALU_DEP_2) | instskip(NEXT) | instid1(VALU_DEP_4)
	v_sub_f32_e32 v179, v180, v182
	v_fma_f32 v182, 0x3f317218, v176, -v183
	s_delay_alu instid0(VALU_DEP_1) | instskip(NEXT) | instid1(VALU_DEP_1)
	v_dual_sub_f32 v179, v181, v179 :: v_dual_fmac_f32 v182, 0xb102e308, v176
	v_dual_add_f32 v176, v177, v179 :: v_dual_add_f32 v177, v183, v182
	s_delay_alu instid0(VALU_DEP_1) | instskip(NEXT) | instid1(VALU_DEP_2)
	v_add_f32_e32 v179, v180, v176
	v_sub_f32_e32 v183, v177, v183
	s_delay_alu instid0(VALU_DEP_2) | instskip(NEXT) | instid1(VALU_DEP_2)
	v_dual_add_f32 v181, v177, v179 :: v_dual_sub_f32 v180, v179, v180
	v_sub_f32_e32 v182, v182, v183
	s_delay_alu instid0(VALU_DEP_2) | instskip(NEXT) | instid1(VALU_DEP_3)
	v_sub_f32_e32 v192, v181, v177
	v_sub_f32_e32 v176, v176, v180
	s_delay_alu instid0(VALU_DEP_2) | instskip(SKIP_1) | instid1(VALU_DEP_2)
	v_sub_f32_e32 v193, v181, v192
	v_sub_f32_e32 v179, v179, v192
	v_dual_add_f32 v180, v182, v176 :: v_dual_sub_f32 v177, v177, v193
	s_delay_alu instid0(VALU_DEP_1) | instskip(NEXT) | instid1(VALU_DEP_2)
	v_add_f32_e32 v177, v179, v177
	v_sub_f32_e32 v179, v180, v182
	s_delay_alu instid0(VALU_DEP_2) | instskip(NEXT) | instid1(VALU_DEP_2)
	v_add_f32_e32 v177, v180, v177
	v_sub_f32_e32 v180, v180, v179
	s_delay_alu instid0(VALU_DEP_2) | instskip(NEXT) | instid1(VALU_DEP_1)
	v_dual_sub_f32 v176, v176, v179 :: v_dual_add_f32 v183, v181, v177
	v_dual_sub_f32 v180, v182, v180 :: v_dual_sub_f32 v179, v183, v181
	s_delay_alu instid0(VALU_DEP_1) | instskip(NEXT) | instid1(VALU_DEP_1)
	v_dual_add_f32 v176, v176, v180 :: v_dual_sub_f32 v177, v177, v179
	v_add_f32_e32 v176, v176, v177
	s_delay_alu instid0(VALU_DEP_1) | instskip(NEXT) | instid1(VALU_DEP_1)
	v_add_f32_e32 v176, v183, v176
	v_cndmask_b32_e32 v176, v176, v178, vcc_lo
	s_delay_alu instid0(VALU_DEP_1)
	v_add_f32_e32 v176, v21, v176
.LBB453_166:                            ;   in Loop: Header=BB453_150 Depth=1
	s_or_b32 exec_lo, exec_lo, s31
	s_delay_alu instid0(VALU_DEP_1) | instskip(SKIP_1) | instid1(VALU_DEP_2)
	v_bfe_u32 v21, v176, 16, 1
	v_cmp_o_f32_e32 vcc_lo, v176, v176
	v_add3_u32 v21, v176, v21, 0x7fff
	s_delay_alu instid0(VALU_DEP_1) | instskip(NEXT) | instid1(VALU_DEP_1)
	v_lshrrev_b32_e32 v21, 16, v21
	v_cndmask_b32_e32 v176, 0x7fc0, v21, vcc_lo
	s_delay_alu instid0(VALU_DEP_1)
	v_and_b32_e32 v21, 0xffff, v176
.LBB453_167:                            ;   in Loop: Header=BB453_150 Depth=1
	s_or_b32 exec_lo, exec_lo, vcc_hi
	s_waitcnt lgkmcnt(0)
	ds_bpermute_b32 v177, v163, v21
	s_mov_b32 vcc_hi, exec_lo
	v_cmpx_le_u32_e64 v164, v20
	s_cbranch_execz .LBB453_171
; %bb.168:                              ;   in Loop: Header=BB453_150 Depth=1
	s_waitcnt lgkmcnt(0)
	v_lshlrev_b32_e32 v176, 16, v177
	s_delay_alu instid0(VALU_DEP_1) | instskip(SKIP_1) | instid1(VALU_DEP_2)
	v_dual_max_f32 v178, v176, v176 :: v_dual_lshlrev_b32 v21, 16, v21
	v_cmp_u_f32_e32 vcc_lo, v176, v176
	v_max_f32_e32 v177, v21, v21
	s_delay_alu instid0(VALU_DEP_1) | instskip(NEXT) | instid1(VALU_DEP_1)
	v_min_f32_e32 v179, v178, v177
	v_dual_max_f32 v177, v178, v177 :: v_dual_cndmask_b32 v178, v179, v176
	s_delay_alu instid0(VALU_DEP_1) | instskip(SKIP_1) | instid1(VALU_DEP_3)
	v_cndmask_b32_e32 v179, v177, v176, vcc_lo
	v_cmp_u_f32_e32 vcc_lo, v21, v21
	v_cndmask_b32_e32 v177, v178, v21, vcc_lo
	s_delay_alu instid0(VALU_DEP_3) | instskip(NEXT) | instid1(VALU_DEP_2)
	v_cndmask_b32_e32 v21, v179, v21, vcc_lo
	v_cmp_class_f32_e64 s31, v177, 0x1f8
	s_delay_alu instid0(VALU_DEP_2) | instskip(NEXT) | instid1(VALU_DEP_2)
	v_cmp_neq_f32_e32 vcc_lo, v177, v21
	s_or_b32 vcc_lo, vcc_lo, s31
	s_delay_alu instid0(SALU_CYCLE_1)
	s_and_saveexec_b32 s31, vcc_lo
	s_cbranch_execz .LBB453_170
; %bb.169:                              ;   in Loop: Header=BB453_150 Depth=1
	v_sub_f32_e32 v176, v177, v21
	s_delay_alu instid0(VALU_DEP_1) | instskip(SKIP_1) | instid1(VALU_DEP_2)
	v_mul_f32_e32 v177, 0x3fb8aa3b, v176
	v_cmp_ngt_f32_e32 vcc_lo, 0xc2ce8ed0, v176
	v_fma_f32 v178, 0x3fb8aa3b, v176, -v177
	v_rndne_f32_e32 v179, v177
	s_delay_alu instid0(VALU_DEP_1) | instskip(NEXT) | instid1(VALU_DEP_1)
	v_dual_fmac_f32 v178, 0x32a5705f, v176 :: v_dual_sub_f32 v177, v177, v179
	v_add_f32_e32 v177, v177, v178
	v_cvt_i32_f32_e32 v178, v179
	s_delay_alu instid0(VALU_DEP_2) | instskip(SKIP_2) | instid1(VALU_DEP_1)
	v_exp_f32_e32 v177, v177
	s_waitcnt_depctr 0xfff
	v_ldexp_f32 v177, v177, v178
	v_cndmask_b32_e32 v177, 0, v177, vcc_lo
	v_cmp_nlt_f32_e32 vcc_lo, 0x42b17218, v176
	s_delay_alu instid0(VALU_DEP_2) | instskip(NEXT) | instid1(VALU_DEP_1)
	v_cndmask_b32_e32 v178, 0x7f800000, v177, vcc_lo
	v_add_f32_e32 v179, 1.0, v178
	s_delay_alu instid0(VALU_DEP_1) | instskip(NEXT) | instid1(VALU_DEP_1)
	v_cvt_f64_f32_e32 v[176:177], v179
	v_frexp_exp_i32_f64_e32 v176, v[176:177]
	v_frexp_mant_f32_e32 v177, v179
	s_delay_alu instid0(VALU_DEP_1) | instskip(SKIP_2) | instid1(VALU_DEP_2)
	v_cmp_gt_f32_e32 vcc_lo, 0x3f2aaaab, v177
	v_add_f32_e32 v177, -1.0, v179
	v_cmp_gt_f32_e64 s34, 0x33800000, |v178|
	v_sub_f32_e32 v181, v177, v179
	v_sub_f32_e32 v177, v178, v177
	s_delay_alu instid0(VALU_DEP_2) | instskip(NEXT) | instid1(VALU_DEP_1)
	v_add_f32_e32 v181, 1.0, v181
	v_add_f32_e32 v177, v177, v181
	v_subrev_co_ci_u32_e32 v176, vcc_lo, 0, v176, vcc_lo
	v_cmp_eq_f32_e32 vcc_lo, 0x7f800000, v178
	s_delay_alu instid0(VALU_DEP_2) | instskip(SKIP_2) | instid1(VALU_DEP_2)
	v_sub_nc_u32_e32 v180, 0, v176
	v_cvt_f32_i32_e32 v176, v176
	s_or_b32 vcc_lo, vcc_lo, s34
	v_ldexp_f32 v179, v179, v180
	v_ldexp_f32 v177, v177, v180
	s_delay_alu instid0(VALU_DEP_2) | instskip(NEXT) | instid1(VALU_DEP_1)
	v_add_f32_e32 v182, 1.0, v179
	v_dual_add_f32 v180, -1.0, v179 :: v_dual_add_f32 v181, -1.0, v182
	s_delay_alu instid0(VALU_DEP_1) | instskip(NEXT) | instid1(VALU_DEP_2)
	v_add_f32_e32 v183, 1.0, v180
	v_sub_f32_e32 v181, v179, v181
	s_delay_alu instid0(VALU_DEP_2) | instskip(NEXT) | instid1(VALU_DEP_2)
	v_sub_f32_e32 v179, v179, v183
	v_add_f32_e32 v181, v177, v181
	s_delay_alu instid0(VALU_DEP_1) | instskip(NEXT) | instid1(VALU_DEP_3)
	v_add_f32_e32 v183, v182, v181
	v_add_f32_e32 v177, v177, v179
	s_delay_alu instid0(VALU_DEP_2) | instskip(NEXT) | instid1(VALU_DEP_1)
	v_rcp_f32_e32 v179, v183
	v_add_f32_e32 v192, v180, v177
	v_sub_f32_e32 v182, v182, v183
	s_delay_alu instid0(VALU_DEP_1) | instskip(SKIP_2) | instid1(VALU_DEP_1)
	v_dual_sub_f32 v180, v180, v192 :: v_dual_add_f32 v181, v181, v182
	s_waitcnt_depctr 0xfff
	v_mul_f32_e32 v193, v192, v179
	v_dual_add_f32 v177, v177, v180 :: v_dual_mul_f32 v194, v183, v193
	s_delay_alu instid0(VALU_DEP_1) | instskip(NEXT) | instid1(VALU_DEP_1)
	v_fma_f32 v182, v193, v183, -v194
	v_fmac_f32_e32 v182, v193, v181
	s_delay_alu instid0(VALU_DEP_1) | instskip(NEXT) | instid1(VALU_DEP_1)
	v_add_f32_e32 v195, v194, v182
	v_sub_f32_e32 v196, v192, v195
	v_sub_f32_e32 v180, v195, v194
	s_delay_alu instid0(VALU_DEP_2) | instskip(NEXT) | instid1(VALU_DEP_2)
	v_sub_f32_e32 v192, v192, v196
	v_sub_f32_e32 v180, v180, v182
	s_delay_alu instid0(VALU_DEP_2) | instskip(NEXT) | instid1(VALU_DEP_1)
	v_sub_f32_e32 v192, v192, v195
	v_add_f32_e32 v177, v177, v192
	s_delay_alu instid0(VALU_DEP_1) | instskip(NEXT) | instid1(VALU_DEP_1)
	v_add_f32_e32 v177, v180, v177
	v_add_f32_e32 v180, v196, v177
	s_delay_alu instid0(VALU_DEP_1) | instskip(NEXT) | instid1(VALU_DEP_1)
	v_mul_f32_e32 v182, v179, v180
	v_dual_sub_f32 v195, v196, v180 :: v_dual_mul_f32 v192, v183, v182
	s_delay_alu instid0(VALU_DEP_1) | instskip(NEXT) | instid1(VALU_DEP_2)
	v_add_f32_e32 v177, v177, v195
	v_fma_f32 v183, v182, v183, -v192
	s_delay_alu instid0(VALU_DEP_1) | instskip(NEXT) | instid1(VALU_DEP_1)
	v_fmac_f32_e32 v183, v182, v181
	v_add_f32_e32 v181, v192, v183
	s_delay_alu instid0(VALU_DEP_1) | instskip(SKIP_1) | instid1(VALU_DEP_2)
	v_sub_f32_e32 v194, v180, v181
	v_sub_f32_e32 v192, v181, v192
	;; [unrolled: 1-line block ×3, first 2 shown]
	s_delay_alu instid0(VALU_DEP_1) | instskip(NEXT) | instid1(VALU_DEP_3)
	v_sub_f32_e32 v180, v180, v181
	v_sub_f32_e32 v181, v192, v183
	s_delay_alu instid0(VALU_DEP_2) | instskip(SKIP_1) | instid1(VALU_DEP_2)
	v_add_f32_e32 v177, v177, v180
	v_add_f32_e32 v180, v193, v182
	v_add_f32_e32 v177, v181, v177
	s_delay_alu instid0(VALU_DEP_2) | instskip(NEXT) | instid1(VALU_DEP_2)
	v_sub_f32_e32 v181, v180, v193
	v_add_f32_e32 v177, v194, v177
	s_delay_alu instid0(VALU_DEP_2) | instskip(NEXT) | instid1(VALU_DEP_2)
	v_sub_f32_e32 v181, v182, v181
	v_mul_f32_e32 v177, v179, v177
	s_delay_alu instid0(VALU_DEP_1) | instskip(NEXT) | instid1(VALU_DEP_1)
	v_add_f32_e32 v177, v181, v177
	v_add_f32_e32 v179, v180, v177
	s_delay_alu instid0(VALU_DEP_1) | instskip(NEXT) | instid1(VALU_DEP_1)
	v_mul_f32_e32 v181, v179, v179
	v_fmaak_f32 v182, s30, v181, 0x3ecc95a3
	v_mul_f32_e32 v183, v179, v181
	s_delay_alu instid0(VALU_DEP_2) | instskip(SKIP_2) | instid1(VALU_DEP_3)
	v_fmaak_f32 v181, v181, v182, 0x3f2aaada
	v_ldexp_f32 v182, v179, 1
	v_sub_f32_e32 v179, v179, v180
	v_mul_f32_e32 v181, v183, v181
	v_mul_f32_e32 v183, 0x3f317218, v176
	s_delay_alu instid0(VALU_DEP_2) | instskip(NEXT) | instid1(VALU_DEP_1)
	v_dual_sub_f32 v177, v177, v179 :: v_dual_add_f32 v180, v182, v181
	v_ldexp_f32 v177, v177, 1
	s_delay_alu instid0(VALU_DEP_2) | instskip(NEXT) | instid1(VALU_DEP_4)
	v_sub_f32_e32 v179, v180, v182
	v_fma_f32 v182, 0x3f317218, v176, -v183
	s_delay_alu instid0(VALU_DEP_1) | instskip(NEXT) | instid1(VALU_DEP_1)
	v_dual_sub_f32 v179, v181, v179 :: v_dual_fmac_f32 v182, 0xb102e308, v176
	v_dual_add_f32 v176, v177, v179 :: v_dual_add_f32 v177, v183, v182
	s_delay_alu instid0(VALU_DEP_1) | instskip(NEXT) | instid1(VALU_DEP_2)
	v_add_f32_e32 v179, v180, v176
	v_sub_f32_e32 v183, v177, v183
	s_delay_alu instid0(VALU_DEP_2) | instskip(NEXT) | instid1(VALU_DEP_2)
	v_dual_add_f32 v181, v177, v179 :: v_dual_sub_f32 v180, v179, v180
	v_sub_f32_e32 v182, v182, v183
	s_delay_alu instid0(VALU_DEP_2) | instskip(NEXT) | instid1(VALU_DEP_3)
	v_sub_f32_e32 v192, v181, v177
	v_sub_f32_e32 v176, v176, v180
	s_delay_alu instid0(VALU_DEP_2) | instskip(SKIP_1) | instid1(VALU_DEP_2)
	v_sub_f32_e32 v193, v181, v192
	v_sub_f32_e32 v179, v179, v192
	v_dual_add_f32 v180, v182, v176 :: v_dual_sub_f32 v177, v177, v193
	s_delay_alu instid0(VALU_DEP_1) | instskip(NEXT) | instid1(VALU_DEP_2)
	v_add_f32_e32 v177, v179, v177
	v_sub_f32_e32 v179, v180, v182
	s_delay_alu instid0(VALU_DEP_2) | instskip(NEXT) | instid1(VALU_DEP_2)
	v_add_f32_e32 v177, v180, v177
	v_sub_f32_e32 v180, v180, v179
	s_delay_alu instid0(VALU_DEP_2) | instskip(NEXT) | instid1(VALU_DEP_1)
	v_dual_sub_f32 v176, v176, v179 :: v_dual_add_f32 v183, v181, v177
	v_dual_sub_f32 v180, v182, v180 :: v_dual_sub_f32 v179, v183, v181
	s_delay_alu instid0(VALU_DEP_1) | instskip(NEXT) | instid1(VALU_DEP_1)
	v_dual_add_f32 v176, v176, v180 :: v_dual_sub_f32 v177, v177, v179
	v_add_f32_e32 v176, v176, v177
	s_delay_alu instid0(VALU_DEP_1) | instskip(NEXT) | instid1(VALU_DEP_1)
	v_add_f32_e32 v176, v183, v176
	v_cndmask_b32_e32 v176, v176, v178, vcc_lo
	s_delay_alu instid0(VALU_DEP_1)
	v_add_f32_e32 v176, v21, v176
.LBB453_170:                            ;   in Loop: Header=BB453_150 Depth=1
	s_or_b32 exec_lo, exec_lo, s31
	s_delay_alu instid0(VALU_DEP_1) | instskip(SKIP_1) | instid1(VALU_DEP_2)
	v_bfe_u32 v21, v176, 16, 1
	v_cmp_o_f32_e32 vcc_lo, v176, v176
	v_add3_u32 v21, v176, v21, 0x7fff
	s_delay_alu instid0(VALU_DEP_1) | instskip(NEXT) | instid1(VALU_DEP_1)
	v_lshrrev_b32_e32 v21, 16, v21
	v_cndmask_b32_e32 v176, 0x7fc0, v21, vcc_lo
	s_delay_alu instid0(VALU_DEP_1)
	v_and_b32_e32 v21, 0xffff, v176
.LBB453_171:                            ;   in Loop: Header=BB453_150 Depth=1
	s_or_b32 exec_lo, exec_lo, vcc_hi
	s_waitcnt lgkmcnt(0)
	ds_bpermute_b32 v177, v165, v21
	s_mov_b32 vcc_hi, exec_lo
	v_cmpx_le_u32_e64 v167, v20
	s_cbranch_execz .LBB453_175
; %bb.172:                              ;   in Loop: Header=BB453_150 Depth=1
	v_lshlrev_b32_e32 v20, 16, v21
	s_waitcnt lgkmcnt(0)
	s_delay_alu instid0(VALU_DEP_1) | instskip(NEXT) | instid1(VALU_DEP_1)
	v_dual_max_f32 v176, v20, v20 :: v_dual_lshlrev_b32 v21, 16, v177
	v_max_f32_e32 v177, v21, v21
	v_cmp_u_f32_e32 vcc_lo, v21, v21
	s_delay_alu instid0(VALU_DEP_2) | instskip(NEXT) | instid1(VALU_DEP_1)
	v_min_f32_e32 v178, v177, v176
	v_dual_max_f32 v176, v177, v176 :: v_dual_cndmask_b32 v177, v178, v21
	s_delay_alu instid0(VALU_DEP_1) | instskip(SKIP_1) | instid1(VALU_DEP_3)
	v_cndmask_b32_e32 v178, v176, v21, vcc_lo
	v_cmp_u_f32_e32 vcc_lo, v20, v20
	v_cndmask_b32_e32 v176, v177, v20, vcc_lo
	s_delay_alu instid0(VALU_DEP_3) | instskip(NEXT) | instid1(VALU_DEP_2)
	v_cndmask_b32_e32 v20, v178, v20, vcc_lo
	v_cmp_class_f32_e64 s31, v176, 0x1f8
	s_delay_alu instid0(VALU_DEP_2) | instskip(NEXT) | instid1(VALU_DEP_2)
	v_cmp_neq_f32_e32 vcc_lo, v176, v20
	s_or_b32 vcc_lo, vcc_lo, s31
	s_delay_alu instid0(SALU_CYCLE_1)
	s_and_saveexec_b32 s31, vcc_lo
	s_cbranch_execz .LBB453_174
; %bb.173:                              ;   in Loop: Header=BB453_150 Depth=1
	v_sub_f32_e32 v21, v176, v20
	s_delay_alu instid0(VALU_DEP_1) | instskip(SKIP_1) | instid1(VALU_DEP_2)
	v_mul_f32_e32 v176, 0x3fb8aa3b, v21
	v_cmp_ngt_f32_e32 vcc_lo, 0xc2ce8ed0, v21
	v_fma_f32 v177, 0x3fb8aa3b, v21, -v176
	v_rndne_f32_e32 v178, v176
	s_delay_alu instid0(VALU_DEP_1) | instskip(NEXT) | instid1(VALU_DEP_1)
	v_dual_fmac_f32 v177, 0x32a5705f, v21 :: v_dual_sub_f32 v176, v176, v178
	v_add_f32_e32 v176, v176, v177
	v_cvt_i32_f32_e32 v177, v178
	s_delay_alu instid0(VALU_DEP_2) | instskip(SKIP_2) | instid1(VALU_DEP_1)
	v_exp_f32_e32 v176, v176
	s_waitcnt_depctr 0xfff
	v_ldexp_f32 v176, v176, v177
	v_cndmask_b32_e32 v176, 0, v176, vcc_lo
	v_cmp_nlt_f32_e32 vcc_lo, 0x42b17218, v21
	s_delay_alu instid0(VALU_DEP_2) | instskip(NEXT) | instid1(VALU_DEP_1)
	v_cndmask_b32_e32 v21, 0x7f800000, v176, vcc_lo
	v_add_f32_e32 v178, 1.0, v21
	s_delay_alu instid0(VALU_DEP_1) | instskip(NEXT) | instid1(VALU_DEP_1)
	v_cvt_f64_f32_e32 v[176:177], v178
	v_frexp_exp_i32_f64_e32 v176, v[176:177]
	v_frexp_mant_f32_e32 v177, v178
	s_delay_alu instid0(VALU_DEP_1) | instskip(SKIP_1) | instid1(VALU_DEP_1)
	v_cmp_gt_f32_e32 vcc_lo, 0x3f2aaaab, v177
	v_add_f32_e32 v177, -1.0, v178
	v_sub_f32_e32 v180, v177, v178
	s_delay_alu instid0(VALU_DEP_1) | instskip(NEXT) | instid1(VALU_DEP_1)
	v_dual_sub_f32 v177, v21, v177 :: v_dual_add_f32 v180, 1.0, v180
	v_add_f32_e32 v177, v177, v180
	v_subrev_co_ci_u32_e32 v176, vcc_lo, 0, v176, vcc_lo
	s_delay_alu instid0(VALU_DEP_1) | instskip(SKIP_1) | instid1(VALU_DEP_2)
	v_sub_nc_u32_e32 v179, 0, v176
	v_cvt_f32_i32_e32 v176, v176
	v_ldexp_f32 v178, v178, v179
	v_ldexp_f32 v177, v177, v179
	s_delay_alu instid0(VALU_DEP_2) | instskip(NEXT) | instid1(VALU_DEP_1)
	v_add_f32_e32 v179, -1.0, v178
	v_dual_add_f32 v181, 1.0, v178 :: v_dual_add_f32 v182, 1.0, v179
	s_delay_alu instid0(VALU_DEP_1) | instskip(SKIP_2) | instid1(VALU_DEP_3)
	v_add_f32_e32 v180, -1.0, v181
	v_cmp_eq_f32_e32 vcc_lo, 0x7f800000, v21
	v_cmp_gt_f32_e64 s34, 0x33800000, |v21|
	v_sub_f32_e32 v180, v178, v180
	v_sub_f32_e32 v178, v178, v182
	s_delay_alu instid0(VALU_DEP_3) | instskip(NEXT) | instid1(VALU_DEP_2)
	s_or_b32 vcc_lo, vcc_lo, s34
	v_add_f32_e32 v180, v177, v180
	s_delay_alu instid0(VALU_DEP_2) | instskip(NEXT) | instid1(VALU_DEP_1)
	v_add_f32_e32 v177, v177, v178
	v_dual_add_f32 v183, v179, v177 :: v_dual_add_f32 v182, v181, v180
	s_delay_alu instid0(VALU_DEP_1) | instskip(NEXT) | instid1(VALU_DEP_2)
	v_sub_f32_e32 v179, v179, v183
	v_rcp_f32_e32 v178, v182
	v_sub_f32_e32 v181, v181, v182
	s_delay_alu instid0(VALU_DEP_1) | instskip(SKIP_2) | instid1(VALU_DEP_1)
	v_dual_add_f32 v177, v177, v179 :: v_dual_add_f32 v180, v180, v181
	s_waitcnt_depctr 0xfff
	v_mul_f32_e32 v192, v183, v178
	v_mul_f32_e32 v193, v182, v192
	s_delay_alu instid0(VALU_DEP_1) | instskip(NEXT) | instid1(VALU_DEP_1)
	v_fma_f32 v181, v192, v182, -v193
	v_fmac_f32_e32 v181, v192, v180
	s_delay_alu instid0(VALU_DEP_1) | instskip(NEXT) | instid1(VALU_DEP_1)
	v_add_f32_e32 v194, v193, v181
	v_sub_f32_e32 v195, v183, v194
	s_delay_alu instid0(VALU_DEP_1) | instskip(SKIP_1) | instid1(VALU_DEP_2)
	v_sub_f32_e32 v183, v183, v195
	v_sub_f32_e32 v179, v194, v193
	;; [unrolled: 1-line block ×3, first 2 shown]
	s_delay_alu instid0(VALU_DEP_2) | instskip(NEXT) | instid1(VALU_DEP_2)
	v_sub_f32_e32 v179, v179, v181
	v_add_f32_e32 v177, v177, v183
	s_delay_alu instid0(VALU_DEP_1) | instskip(NEXT) | instid1(VALU_DEP_1)
	v_add_f32_e32 v177, v179, v177
	v_add_f32_e32 v179, v195, v177
	s_delay_alu instid0(VALU_DEP_1) | instskip(NEXT) | instid1(VALU_DEP_1)
	v_mul_f32_e32 v181, v178, v179
	v_dual_sub_f32 v194, v195, v179 :: v_dual_mul_f32 v183, v182, v181
	s_delay_alu instid0(VALU_DEP_1) | instskip(NEXT) | instid1(VALU_DEP_2)
	v_add_f32_e32 v177, v177, v194
	v_fma_f32 v182, v181, v182, -v183
	s_delay_alu instid0(VALU_DEP_1) | instskip(NEXT) | instid1(VALU_DEP_1)
	v_fmac_f32_e32 v182, v181, v180
	v_add_f32_e32 v180, v183, v182
	s_delay_alu instid0(VALU_DEP_1) | instskip(SKIP_1) | instid1(VALU_DEP_2)
	v_sub_f32_e32 v193, v179, v180
	v_sub_f32_e32 v183, v180, v183
	v_sub_f32_e32 v179, v179, v193
	s_delay_alu instid0(VALU_DEP_1) | instskip(NEXT) | instid1(VALU_DEP_1)
	v_sub_f32_e32 v179, v179, v180
	v_dual_sub_f32 v180, v183, v182 :: v_dual_add_f32 v177, v177, v179
	v_add_f32_e32 v179, v192, v181
	s_delay_alu instid0(VALU_DEP_1) | instskip(NEXT) | instid1(VALU_DEP_1)
	v_dual_add_f32 v177, v180, v177 :: v_dual_sub_f32 v180, v179, v192
	v_add_f32_e32 v177, v193, v177
	s_delay_alu instid0(VALU_DEP_1) | instskip(NEXT) | instid1(VALU_DEP_1)
	v_dual_sub_f32 v180, v181, v180 :: v_dual_mul_f32 v177, v178, v177
	v_add_f32_e32 v177, v180, v177
	s_delay_alu instid0(VALU_DEP_1) | instskip(NEXT) | instid1(VALU_DEP_1)
	v_add_f32_e32 v178, v179, v177
	v_mul_f32_e32 v180, v178, v178
	s_delay_alu instid0(VALU_DEP_1) | instskip(SKIP_1) | instid1(VALU_DEP_2)
	v_fmaak_f32 v181, s30, v180, 0x3ecc95a3
	v_mul_f32_e32 v182, v178, v180
	v_fmaak_f32 v180, v180, v181, 0x3f2aaada
	v_ldexp_f32 v181, v178, 1
	v_sub_f32_e32 v178, v178, v179
	s_delay_alu instid0(VALU_DEP_3) | instskip(NEXT) | instid1(VALU_DEP_2)
	v_mul_f32_e32 v180, v182, v180
	v_dual_mul_f32 v182, 0x3f317218, v176 :: v_dual_sub_f32 v177, v177, v178
	s_delay_alu instid0(VALU_DEP_2) | instskip(NEXT) | instid1(VALU_DEP_2)
	v_add_f32_e32 v179, v181, v180
	v_ldexp_f32 v177, v177, 1
	s_delay_alu instid0(VALU_DEP_2) | instskip(NEXT) | instid1(VALU_DEP_4)
	v_sub_f32_e32 v178, v179, v181
	v_fma_f32 v181, 0x3f317218, v176, -v182
	s_delay_alu instid0(VALU_DEP_1) | instskip(NEXT) | instid1(VALU_DEP_1)
	v_dual_sub_f32 v178, v180, v178 :: v_dual_fmac_f32 v181, 0xb102e308, v176
	v_add_f32_e32 v176, v177, v178
	s_delay_alu instid0(VALU_DEP_1) | instskip(NEXT) | instid1(VALU_DEP_1)
	v_add_f32_e32 v178, v179, v176
	v_sub_f32_e32 v179, v178, v179
	s_delay_alu instid0(VALU_DEP_1) | instskip(NEXT) | instid1(VALU_DEP_1)
	v_dual_sub_f32 v176, v176, v179 :: v_dual_add_f32 v177, v182, v181
	v_add_f32_e32 v180, v177, v178
	s_delay_alu instid0(VALU_DEP_1) | instskip(NEXT) | instid1(VALU_DEP_1)
	v_dual_sub_f32 v182, v177, v182 :: v_dual_sub_f32 v183, v180, v177
	v_dual_sub_f32 v181, v181, v182 :: v_dual_sub_f32 v192, v180, v183
	s_delay_alu instid0(VALU_DEP_1) | instskip(NEXT) | instid1(VALU_DEP_2)
	v_dual_sub_f32 v178, v178, v183 :: v_dual_add_f32 v179, v181, v176
	v_sub_f32_e32 v177, v177, v192
	s_delay_alu instid0(VALU_DEP_1) | instskip(NEXT) | instid1(VALU_DEP_3)
	v_add_f32_e32 v177, v178, v177
	v_sub_f32_e32 v178, v179, v181
	s_delay_alu instid0(VALU_DEP_2) | instskip(NEXT) | instid1(VALU_DEP_2)
	v_add_f32_e32 v177, v179, v177
	v_sub_f32_e32 v179, v179, v178
	v_sub_f32_e32 v176, v176, v178
	s_delay_alu instid0(VALU_DEP_2) | instskip(NEXT) | instid1(VALU_DEP_1)
	v_dual_add_f32 v182, v180, v177 :: v_dual_sub_f32 v179, v181, v179
	v_sub_f32_e32 v178, v182, v180
	s_delay_alu instid0(VALU_DEP_1) | instskip(NEXT) | instid1(VALU_DEP_1)
	v_dual_add_f32 v176, v176, v179 :: v_dual_sub_f32 v177, v177, v178
	v_add_f32_e32 v176, v176, v177
	s_delay_alu instid0(VALU_DEP_1) | instskip(NEXT) | instid1(VALU_DEP_1)
	v_add_f32_e32 v176, v182, v176
	v_cndmask_b32_e32 v21, v176, v21, vcc_lo
	s_delay_alu instid0(VALU_DEP_1)
	v_add_f32_e32 v21, v20, v21
.LBB453_174:                            ;   in Loop: Header=BB453_150 Depth=1
	s_or_b32 exec_lo, exec_lo, s31
	s_delay_alu instid0(VALU_DEP_1) | instskip(SKIP_1) | instid1(VALU_DEP_2)
	v_bfe_u32 v20, v21, 16, 1
	v_cmp_o_f32_e32 vcc_lo, v21, v21
	v_add3_u32 v20, v21, v20, 0x7fff
	s_delay_alu instid0(VALU_DEP_1) | instskip(NEXT) | instid1(VALU_DEP_1)
	v_lshrrev_b32_e32 v20, 16, v20
	v_cndmask_b32_e32 v176, 0x7fc0, v20, vcc_lo
.LBB453_175:                            ;   in Loop: Header=BB453_150 Depth=1
	s_or_b32 exec_lo, exec_lo, vcc_hi
	s_delay_alu instid0(VALU_DEP_1) | instskip(SKIP_1) | instid1(VALU_DEP_1)
	v_lshlrev_b32_e32 v21, 16, v176
	s_waitcnt lgkmcnt(0)
	v_dual_max_f32 v177, v21, v21 :: v_dual_lshlrev_b32 v20, 16, v166
	v_cmp_u_f32_e32 vcc_lo, v21, v21
	s_delay_alu instid0(VALU_DEP_2) | instskip(NEXT) | instid1(VALU_DEP_1)
	v_max_f32_e32 v176, v20, v20
	v_min_f32_e32 v178, v177, v176
	s_delay_alu instid0(VALU_DEP_1) | instskip(NEXT) | instid1(VALU_DEP_1)
	v_dual_max_f32 v176, v177, v176 :: v_dual_cndmask_b32 v177, v178, v21
	v_cndmask_b32_e32 v178, v176, v21, vcc_lo
	v_cmp_u_f32_e32 vcc_lo, v20, v20
	s_delay_alu instid0(VALU_DEP_3) | instskip(NEXT) | instid1(VALU_DEP_3)
	v_cndmask_b32_e32 v176, v177, v20, vcc_lo
	v_cndmask_b32_e32 v20, v178, v20, vcc_lo
	s_delay_alu instid0(VALU_DEP_1) | instskip(SKIP_1) | instid1(VALU_DEP_1)
	v_cmp_neq_f32_e32 vcc_lo, v176, v20
	v_cmp_class_f32_e64 vcc_hi, v176, 0x1f8
	s_or_b32 vcc_lo, vcc_lo, vcc_hi
	s_delay_alu instid0(SALU_CYCLE_1)
	s_and_saveexec_b32 vcc_hi, vcc_lo
	s_cbranch_execz .LBB453_177
; %bb.176:                              ;   in Loop: Header=BB453_150 Depth=1
	v_sub_f32_e32 v21, v176, v20
	s_delay_alu instid0(VALU_DEP_1) | instskip(SKIP_1) | instid1(VALU_DEP_2)
	v_mul_f32_e32 v176, 0x3fb8aa3b, v21
	v_cmp_ngt_f32_e32 vcc_lo, 0xc2ce8ed0, v21
	v_fma_f32 v177, 0x3fb8aa3b, v21, -v176
	v_rndne_f32_e32 v178, v176
	s_delay_alu instid0(VALU_DEP_1) | instskip(NEXT) | instid1(VALU_DEP_1)
	v_dual_fmac_f32 v177, 0x32a5705f, v21 :: v_dual_sub_f32 v176, v176, v178
	v_add_f32_e32 v176, v176, v177
	v_cvt_i32_f32_e32 v177, v178
	s_delay_alu instid0(VALU_DEP_2) | instskip(SKIP_2) | instid1(VALU_DEP_1)
	v_exp_f32_e32 v176, v176
	s_waitcnt_depctr 0xfff
	v_ldexp_f32 v176, v176, v177
	v_cndmask_b32_e32 v176, 0, v176, vcc_lo
	v_cmp_nlt_f32_e32 vcc_lo, 0x42b17218, v21
	s_delay_alu instid0(VALU_DEP_2) | instskip(NEXT) | instid1(VALU_DEP_1)
	v_cndmask_b32_e32 v21, 0x7f800000, v176, vcc_lo
	v_add_f32_e32 v178, 1.0, v21
	s_delay_alu instid0(VALU_DEP_1) | instskip(NEXT) | instid1(VALU_DEP_1)
	v_cvt_f64_f32_e32 v[176:177], v178
	v_frexp_exp_i32_f64_e32 v176, v[176:177]
	v_frexp_mant_f32_e32 v177, v178
	s_delay_alu instid0(VALU_DEP_1) | instskip(SKIP_1) | instid1(VALU_DEP_1)
	v_cmp_gt_f32_e32 vcc_lo, 0x3f2aaaab, v177
	v_add_f32_e32 v177, -1.0, v178
	v_sub_f32_e32 v180, v177, v178
	s_delay_alu instid0(VALU_DEP_1) | instskip(NEXT) | instid1(VALU_DEP_1)
	v_dual_sub_f32 v177, v21, v177 :: v_dual_add_f32 v180, 1.0, v180
	v_add_f32_e32 v177, v177, v180
	v_subrev_co_ci_u32_e32 v176, vcc_lo, 0, v176, vcc_lo
	s_delay_alu instid0(VALU_DEP_1) | instskip(SKIP_1) | instid1(VALU_DEP_2)
	v_sub_nc_u32_e32 v179, 0, v176
	v_cvt_f32_i32_e32 v176, v176
	v_ldexp_f32 v178, v178, v179
	v_ldexp_f32 v177, v177, v179
	s_delay_alu instid0(VALU_DEP_2) | instskip(NEXT) | instid1(VALU_DEP_1)
	v_add_f32_e32 v179, -1.0, v178
	v_dual_add_f32 v181, 1.0, v178 :: v_dual_add_f32 v182, 1.0, v179
	s_delay_alu instid0(VALU_DEP_1) | instskip(SKIP_2) | instid1(VALU_DEP_3)
	v_add_f32_e32 v180, -1.0, v181
	v_cmp_eq_f32_e32 vcc_lo, 0x7f800000, v21
	v_cmp_gt_f32_e64 s31, 0x33800000, |v21|
	v_sub_f32_e32 v180, v178, v180
	v_sub_f32_e32 v178, v178, v182
	s_delay_alu instid0(VALU_DEP_3) | instskip(NEXT) | instid1(VALU_DEP_2)
	s_or_b32 vcc_lo, vcc_lo, s31
	v_add_f32_e32 v180, v177, v180
	s_delay_alu instid0(VALU_DEP_2) | instskip(NEXT) | instid1(VALU_DEP_1)
	v_add_f32_e32 v177, v177, v178
	v_dual_add_f32 v183, v179, v177 :: v_dual_add_f32 v182, v181, v180
	s_delay_alu instid0(VALU_DEP_1) | instskip(NEXT) | instid1(VALU_DEP_2)
	v_sub_f32_e32 v179, v179, v183
	v_rcp_f32_e32 v178, v182
	v_sub_f32_e32 v181, v181, v182
	s_delay_alu instid0(VALU_DEP_1) | instskip(SKIP_2) | instid1(VALU_DEP_1)
	v_dual_add_f32 v177, v177, v179 :: v_dual_add_f32 v180, v180, v181
	s_waitcnt_depctr 0xfff
	v_mul_f32_e32 v192, v183, v178
	v_mul_f32_e32 v193, v182, v192
	s_delay_alu instid0(VALU_DEP_1) | instskip(NEXT) | instid1(VALU_DEP_1)
	v_fma_f32 v181, v192, v182, -v193
	v_fmac_f32_e32 v181, v192, v180
	s_delay_alu instid0(VALU_DEP_1) | instskip(NEXT) | instid1(VALU_DEP_1)
	v_add_f32_e32 v194, v193, v181
	v_sub_f32_e32 v195, v183, v194
	s_delay_alu instid0(VALU_DEP_1) | instskip(SKIP_1) | instid1(VALU_DEP_2)
	v_sub_f32_e32 v183, v183, v195
	v_sub_f32_e32 v179, v194, v193
	;; [unrolled: 1-line block ×3, first 2 shown]
	s_delay_alu instid0(VALU_DEP_2) | instskip(NEXT) | instid1(VALU_DEP_2)
	v_sub_f32_e32 v179, v179, v181
	v_add_f32_e32 v177, v177, v183
	s_delay_alu instid0(VALU_DEP_1) | instskip(NEXT) | instid1(VALU_DEP_1)
	v_add_f32_e32 v177, v179, v177
	v_add_f32_e32 v179, v195, v177
	s_delay_alu instid0(VALU_DEP_1) | instskip(NEXT) | instid1(VALU_DEP_1)
	v_mul_f32_e32 v181, v178, v179
	v_dual_sub_f32 v194, v195, v179 :: v_dual_mul_f32 v183, v182, v181
	s_delay_alu instid0(VALU_DEP_1) | instskip(NEXT) | instid1(VALU_DEP_2)
	v_add_f32_e32 v177, v177, v194
	v_fma_f32 v182, v181, v182, -v183
	s_delay_alu instid0(VALU_DEP_1) | instskip(NEXT) | instid1(VALU_DEP_1)
	v_fmac_f32_e32 v182, v181, v180
	v_add_f32_e32 v180, v183, v182
	s_delay_alu instid0(VALU_DEP_1) | instskip(SKIP_1) | instid1(VALU_DEP_2)
	v_sub_f32_e32 v193, v179, v180
	v_sub_f32_e32 v183, v180, v183
	;; [unrolled: 1-line block ×3, first 2 shown]
	s_delay_alu instid0(VALU_DEP_1) | instskip(NEXT) | instid1(VALU_DEP_1)
	v_sub_f32_e32 v179, v179, v180
	v_dual_sub_f32 v180, v183, v182 :: v_dual_add_f32 v177, v177, v179
	v_add_f32_e32 v179, v192, v181
	s_delay_alu instid0(VALU_DEP_1) | instskip(NEXT) | instid1(VALU_DEP_1)
	v_dual_add_f32 v177, v180, v177 :: v_dual_sub_f32 v180, v179, v192
	v_add_f32_e32 v177, v193, v177
	s_delay_alu instid0(VALU_DEP_1) | instskip(NEXT) | instid1(VALU_DEP_1)
	v_dual_sub_f32 v180, v181, v180 :: v_dual_mul_f32 v177, v178, v177
	v_add_f32_e32 v177, v180, v177
	s_delay_alu instid0(VALU_DEP_1) | instskip(NEXT) | instid1(VALU_DEP_1)
	v_add_f32_e32 v178, v179, v177
	v_mul_f32_e32 v180, v178, v178
	s_delay_alu instid0(VALU_DEP_1) | instskip(SKIP_1) | instid1(VALU_DEP_2)
	v_fmaak_f32 v181, s30, v180, 0x3ecc95a3
	v_mul_f32_e32 v182, v178, v180
	v_fmaak_f32 v180, v180, v181, 0x3f2aaada
	v_ldexp_f32 v181, v178, 1
	v_sub_f32_e32 v178, v178, v179
	s_delay_alu instid0(VALU_DEP_3) | instskip(NEXT) | instid1(VALU_DEP_2)
	v_mul_f32_e32 v180, v182, v180
	v_dual_mul_f32 v182, 0x3f317218, v176 :: v_dual_sub_f32 v177, v177, v178
	s_delay_alu instid0(VALU_DEP_2) | instskip(NEXT) | instid1(VALU_DEP_2)
	v_add_f32_e32 v179, v181, v180
	v_ldexp_f32 v177, v177, 1
	s_delay_alu instid0(VALU_DEP_2) | instskip(NEXT) | instid1(VALU_DEP_4)
	v_sub_f32_e32 v178, v179, v181
	v_fma_f32 v181, 0x3f317218, v176, -v182
	s_delay_alu instid0(VALU_DEP_1) | instskip(NEXT) | instid1(VALU_DEP_1)
	v_dual_sub_f32 v178, v180, v178 :: v_dual_fmac_f32 v181, 0xb102e308, v176
	v_add_f32_e32 v176, v177, v178
	s_delay_alu instid0(VALU_DEP_1) | instskip(NEXT) | instid1(VALU_DEP_1)
	v_add_f32_e32 v178, v179, v176
	v_sub_f32_e32 v179, v178, v179
	s_delay_alu instid0(VALU_DEP_1) | instskip(NEXT) | instid1(VALU_DEP_1)
	v_dual_sub_f32 v176, v176, v179 :: v_dual_add_f32 v177, v182, v181
	v_add_f32_e32 v180, v177, v178
	s_delay_alu instid0(VALU_DEP_1) | instskip(NEXT) | instid1(VALU_DEP_1)
	v_dual_sub_f32 v182, v177, v182 :: v_dual_sub_f32 v183, v180, v177
	v_dual_sub_f32 v181, v181, v182 :: v_dual_sub_f32 v192, v180, v183
	s_delay_alu instid0(VALU_DEP_1) | instskip(NEXT) | instid1(VALU_DEP_2)
	v_dual_sub_f32 v178, v178, v183 :: v_dual_add_f32 v179, v181, v176
	v_sub_f32_e32 v177, v177, v192
	s_delay_alu instid0(VALU_DEP_1) | instskip(NEXT) | instid1(VALU_DEP_3)
	v_add_f32_e32 v177, v178, v177
	v_sub_f32_e32 v178, v179, v181
	s_delay_alu instid0(VALU_DEP_2) | instskip(NEXT) | instid1(VALU_DEP_2)
	v_add_f32_e32 v177, v179, v177
	v_sub_f32_e32 v179, v179, v178
	v_sub_f32_e32 v176, v176, v178
	s_delay_alu instid0(VALU_DEP_2) | instskip(NEXT) | instid1(VALU_DEP_1)
	v_dual_add_f32 v182, v180, v177 :: v_dual_sub_f32 v179, v181, v179
	v_sub_f32_e32 v178, v182, v180
	s_delay_alu instid0(VALU_DEP_1) | instskip(NEXT) | instid1(VALU_DEP_1)
	v_dual_add_f32 v176, v176, v179 :: v_dual_sub_f32 v177, v177, v178
	v_add_f32_e32 v176, v176, v177
	s_delay_alu instid0(VALU_DEP_1) | instskip(NEXT) | instid1(VALU_DEP_1)
	v_add_f32_e32 v176, v182, v176
	v_cndmask_b32_e32 v21, v176, v21, vcc_lo
	s_delay_alu instid0(VALU_DEP_1)
	v_add_f32_e32 v21, v20, v21
.LBB453_177:                            ;   in Loop: Header=BB453_150 Depth=1
	s_or_b32 exec_lo, exec_lo, vcc_hi
	s_delay_alu instid0(VALU_DEP_1) | instskip(SKIP_2) | instid1(VALU_DEP_3)
	v_bfe_u32 v20, v21, 16, 1
	v_cmp_o_f32_e32 vcc_lo, v21, v21
	v_subrev_nc_u32_e32 v18, 32, v18
	v_add3_u32 v20, v21, v20, 0x7fff
	s_delay_alu instid0(VALU_DEP_1) | instskip(NEXT) | instid1(VALU_DEP_1)
	v_lshrrev_b32_e32 v20, 16, v20
	v_cndmask_b32_e32 v21, 0x7fc0, v20, vcc_lo
	s_branch .LBB453_150
.LBB453_178:
	s_and_saveexec_b32 vcc_hi, s26
	s_cbranch_execz .LBB453_182
; %bb.179:
	v_lshlrev_b32_e32 v19, 16, v166
	s_delay_alu instid0(VALU_DEP_1) | instskip(NEXT) | instid1(VALU_DEP_1)
	v_dual_max_f32 v21, v19, v19 :: v_dual_lshlrev_b32 v18, 16, v146
	v_max_f32_e32 v20, v18, v18
	s_delay_alu instid0(VALU_DEP_1) | instskip(SKIP_1) | instid1(VALU_DEP_2)
	v_min_f32_e32 v146, v21, v20
	v_cmp_u_f32_e32 vcc_lo, v19, v19
	v_dual_max_f32 v20, v21, v20 :: v_dual_cndmask_b32 v21, v146, v19
	s_delay_alu instid0(VALU_DEP_1) | instskip(SKIP_1) | instid1(VALU_DEP_3)
	v_cndmask_b32_e32 v146, v20, v19, vcc_lo
	v_cmp_u_f32_e32 vcc_lo, v18, v18
	v_cndmask_b32_e32 v20, v21, v18, vcc_lo
	s_delay_alu instid0(VALU_DEP_3) | instskip(NEXT) | instid1(VALU_DEP_2)
	v_cndmask_b32_e32 v18, v146, v18, vcc_lo
	v_cmp_class_f32_e64 s26, v20, 0x1f8
	s_delay_alu instid0(VALU_DEP_2) | instskip(NEXT) | instid1(VALU_DEP_2)
	v_cmp_neq_f32_e32 vcc_lo, v20, v18
	s_or_b32 vcc_lo, vcc_lo, s26
	s_delay_alu instid0(SALU_CYCLE_1)
	s_and_saveexec_b32 s26, vcc_lo
	s_cbranch_execz .LBB453_181
; %bb.180:
	v_sub_f32_e32 v19, v20, v18
	s_mov_b32 s30, 0x3e9b6dac
	s_delay_alu instid0(VALU_DEP_1) | instskip(SKIP_1) | instid1(VALU_DEP_2)
	v_mul_f32_e32 v20, 0x3fb8aa3b, v19
	v_cmp_ngt_f32_e32 vcc_lo, 0xc2ce8ed0, v19
	v_fma_f32 v21, 0x3fb8aa3b, v19, -v20
	v_rndne_f32_e32 v146, v20
	s_delay_alu instid0(VALU_DEP_1) | instskip(NEXT) | instid1(VALU_DEP_1)
	v_dual_fmamk_f32 v21, v19, 0x32a5705f, v21 :: v_dual_sub_f32 v20, v20, v146
	v_add_f32_e32 v20, v20, v21
	v_cvt_i32_f32_e32 v21, v146
	s_delay_alu instid0(VALU_DEP_2) | instskip(SKIP_2) | instid1(VALU_DEP_1)
	v_exp_f32_e32 v20, v20
	s_waitcnt_depctr 0xfff
	v_ldexp_f32 v20, v20, v21
	v_cndmask_b32_e32 v20, 0, v20, vcc_lo
	v_cmp_nlt_f32_e32 vcc_lo, 0x42b17218, v19
	s_delay_alu instid0(VALU_DEP_2) | instskip(NEXT) | instid1(VALU_DEP_1)
	v_cndmask_b32_e32 v21, 0x7f800000, v20, vcc_lo
	v_add_f32_e32 v146, 1.0, v21
	s_delay_alu instid0(VALU_DEP_1) | instskip(NEXT) | instid1(VALU_DEP_1)
	v_cvt_f64_f32_e32 v[19:20], v146
	v_frexp_exp_i32_f64_e32 v19, v[19:20]
	v_frexp_mant_f32_e32 v20, v146
	s_delay_alu instid0(VALU_DEP_1) | instskip(SKIP_1) | instid1(VALU_DEP_1)
	v_cmp_gt_f32_e32 vcc_lo, 0x3f2aaaab, v20
	v_add_f32_e32 v20, -1.0, v146
	v_sub_f32_e32 v148, v20, v146
	v_sub_f32_e32 v20, v21, v20
	v_subrev_co_ci_u32_e32 v19, vcc_lo, 0, v19, vcc_lo
	v_cmp_eq_f32_e32 vcc_lo, 0x7f800000, v21
	s_delay_alu instid0(VALU_DEP_2) | instskip(SKIP_1) | instid1(VALU_DEP_2)
	v_sub_nc_u32_e32 v147, 0, v19
	v_cvt_f32_i32_e32 v19, v19
	v_ldexp_f32 v146, v146, v147
	s_delay_alu instid0(VALU_DEP_1) | instskip(NEXT) | instid1(VALU_DEP_1)
	v_dual_add_f32 v149, 1.0, v146 :: v_dual_add_f32 v148, 1.0, v148
	v_add_f32_e32 v20, v20, v148
	s_delay_alu instid0(VALU_DEP_2) | instskip(NEXT) | instid1(VALU_DEP_2)
	v_add_f32_e32 v148, -1.0, v149
	v_ldexp_f32 v20, v20, v147
	s_delay_alu instid0(VALU_DEP_2) | instskip(NEXT) | instid1(VALU_DEP_1)
	v_dual_add_f32 v147, -1.0, v146 :: v_dual_sub_f32 v148, v146, v148
	v_add_f32_e32 v150, 1.0, v147
	s_delay_alu instid0(VALU_DEP_2) | instskip(NEXT) | instid1(VALU_DEP_2)
	v_add_f32_e32 v148, v20, v148
	v_sub_f32_e32 v146, v146, v150
	s_delay_alu instid0(VALU_DEP_2) | instskip(NEXT) | instid1(VALU_DEP_2)
	v_add_f32_e32 v150, v149, v148
	v_add_f32_e32 v20, v20, v146
	s_delay_alu instid0(VALU_DEP_2) | instskip(SKIP_1) | instid1(VALU_DEP_1)
	v_rcp_f32_e32 v146, v150
	v_sub_f32_e32 v149, v149, v150
	v_dual_add_f32 v151, v147, v20 :: v_dual_add_f32 v148, v148, v149
	s_delay_alu instid0(VALU_DEP_1) | instskip(SKIP_2) | instid1(VALU_DEP_1)
	v_sub_f32_e32 v147, v147, v151
	s_waitcnt_depctr 0xfff
	v_mul_f32_e32 v160, v151, v146
	v_dual_add_f32 v20, v20, v147 :: v_dual_mul_f32 v161, v150, v160
	s_delay_alu instid0(VALU_DEP_1) | instskip(NEXT) | instid1(VALU_DEP_1)
	v_fma_f32 v149, v160, v150, -v161
	v_fmac_f32_e32 v149, v160, v148
	s_delay_alu instid0(VALU_DEP_1) | instskip(NEXT) | instid1(VALU_DEP_1)
	v_add_f32_e32 v162, v161, v149
	v_sub_f32_e32 v163, v151, v162
	v_sub_f32_e32 v147, v162, v161
	s_delay_alu instid0(VALU_DEP_2) | instskip(NEXT) | instid1(VALU_DEP_2)
	v_sub_f32_e32 v151, v151, v163
	v_sub_f32_e32 v147, v147, v149
	s_delay_alu instid0(VALU_DEP_2) | instskip(NEXT) | instid1(VALU_DEP_1)
	v_sub_f32_e32 v151, v151, v162
	v_add_f32_e32 v20, v20, v151
	s_delay_alu instid0(VALU_DEP_1) | instskip(NEXT) | instid1(VALU_DEP_1)
	v_add_f32_e32 v20, v147, v20
	v_add_f32_e32 v147, v163, v20
	s_delay_alu instid0(VALU_DEP_1) | instskip(NEXT) | instid1(VALU_DEP_1)
	v_mul_f32_e32 v149, v146, v147
	v_dual_sub_f32 v162, v163, v147 :: v_dual_mul_f32 v151, v150, v149
	s_delay_alu instid0(VALU_DEP_1) | instskip(NEXT) | instid1(VALU_DEP_2)
	v_add_f32_e32 v20, v20, v162
	v_fma_f32 v150, v149, v150, -v151
	s_delay_alu instid0(VALU_DEP_1) | instskip(NEXT) | instid1(VALU_DEP_1)
	v_fmac_f32_e32 v150, v149, v148
	v_add_f32_e32 v148, v151, v150
	s_delay_alu instid0(VALU_DEP_1) | instskip(SKIP_1) | instid1(VALU_DEP_2)
	v_sub_f32_e32 v161, v147, v148
	v_sub_f32_e32 v151, v148, v151
	;; [unrolled: 1-line block ×3, first 2 shown]
	s_delay_alu instid0(VALU_DEP_1) | instskip(NEXT) | instid1(VALU_DEP_3)
	v_sub_f32_e32 v147, v147, v148
	v_sub_f32_e32 v148, v151, v150
	s_delay_alu instid0(VALU_DEP_2) | instskip(SKIP_1) | instid1(VALU_DEP_2)
	v_add_f32_e32 v20, v20, v147
	v_add_f32_e32 v147, v160, v149
	v_add_f32_e32 v20, v148, v20
	s_delay_alu instid0(VALU_DEP_2) | instskip(NEXT) | instid1(VALU_DEP_2)
	v_sub_f32_e32 v148, v147, v160
	v_add_f32_e32 v20, v161, v20
	s_delay_alu instid0(VALU_DEP_2) | instskip(NEXT) | instid1(VALU_DEP_2)
	v_sub_f32_e32 v148, v149, v148
	v_mul_f32_e32 v20, v146, v20
	s_delay_alu instid0(VALU_DEP_1) | instskip(NEXT) | instid1(VALU_DEP_1)
	v_add_f32_e32 v20, v148, v20
	v_add_f32_e32 v146, v147, v20
	s_delay_alu instid0(VALU_DEP_1) | instskip(NEXT) | instid1(VALU_DEP_1)
	v_mul_f32_e32 v148, v146, v146
	v_fmaak_f32 v149, s30, v148, 0x3ecc95a3
	v_mul_f32_e32 v150, v146, v148
	v_cmp_gt_f32_e64 s30, 0x33800000, |v21|
	s_delay_alu instid0(VALU_DEP_3) | instskip(SKIP_2) | instid1(VALU_DEP_4)
	v_fmaak_f32 v148, v148, v149, 0x3f2aaada
	v_ldexp_f32 v149, v146, 1
	v_sub_f32_e32 v146, v146, v147
	s_or_b32 vcc_lo, vcc_lo, s30
	s_delay_alu instid0(VALU_DEP_3) | instskip(SKIP_1) | instid1(VALU_DEP_2)
	v_mul_f32_e32 v148, v150, v148
	v_mul_f32_e32 v150, 0x3f317218, v19
	v_dual_sub_f32 v20, v20, v146 :: v_dual_add_f32 v147, v149, v148
	s_delay_alu instid0(VALU_DEP_1) | instskip(NEXT) | instid1(VALU_DEP_2)
	v_ldexp_f32 v20, v20, 1
	v_sub_f32_e32 v146, v147, v149
	s_delay_alu instid0(VALU_DEP_4) | instskip(NEXT) | instid1(VALU_DEP_1)
	v_fma_f32 v149, 0x3f317218, v19, -v150
	v_dual_sub_f32 v146, v148, v146 :: v_dual_fmamk_f32 v19, v19, 0xb102e308, v149
	s_delay_alu instid0(VALU_DEP_1) | instskip(NEXT) | instid1(VALU_DEP_2)
	v_add_f32_e32 v20, v20, v146
	v_add_f32_e32 v146, v150, v19
	s_delay_alu instid0(VALU_DEP_2) | instskip(NEXT) | instid1(VALU_DEP_2)
	v_add_f32_e32 v148, v147, v20
	v_sub_f32_e32 v150, v146, v150
	s_delay_alu instid0(VALU_DEP_2) | instskip(SKIP_1) | instid1(VALU_DEP_3)
	v_add_f32_e32 v149, v146, v148
	v_sub_f32_e32 v147, v148, v147
	v_sub_f32_e32 v19, v19, v150
	s_delay_alu instid0(VALU_DEP_2) | instskip(NEXT) | instid1(VALU_DEP_1)
	v_dual_sub_f32 v151, v149, v146 :: v_dual_sub_f32 v20, v20, v147
	v_sub_f32_e32 v160, v149, v151
	s_delay_alu instid0(VALU_DEP_2) | instskip(NEXT) | instid1(VALU_DEP_2)
	v_dual_sub_f32 v147, v148, v151 :: v_dual_add_f32 v148, v19, v20
	v_sub_f32_e32 v146, v146, v160
	s_delay_alu instid0(VALU_DEP_1) | instskip(NEXT) | instid1(VALU_DEP_1)
	v_dual_add_f32 v146, v147, v146 :: v_dual_sub_f32 v147, v148, v19
	v_add_f32_e32 v146, v148, v146
	s_delay_alu instid0(VALU_DEP_2) | instskip(SKIP_1) | instid1(VALU_DEP_2)
	v_sub_f32_e32 v148, v148, v147
	v_sub_f32_e32 v20, v20, v147
	v_dual_add_f32 v150, v149, v146 :: v_dual_sub_f32 v19, v19, v148
	s_delay_alu instid0(VALU_DEP_1) | instskip(NEXT) | instid1(VALU_DEP_2)
	v_sub_f32_e32 v147, v150, v149
	v_add_f32_e32 v19, v20, v19
	s_delay_alu instid0(VALU_DEP_2) | instskip(NEXT) | instid1(VALU_DEP_1)
	v_sub_f32_e32 v20, v146, v147
	v_add_f32_e32 v19, v19, v20
	s_delay_alu instid0(VALU_DEP_1) | instskip(NEXT) | instid1(VALU_DEP_1)
	v_add_f32_e32 v19, v150, v19
	v_cndmask_b32_e32 v19, v19, v21, vcc_lo
	s_delay_alu instid0(VALU_DEP_1)
	v_add_f32_e32 v19, v18, v19
.LBB453_181:
	s_or_b32 exec_lo, exec_lo, s26
	s_delay_alu instid0(VALU_DEP_1) | instskip(SKIP_2) | instid1(SALU_CYCLE_1)
	v_bfe_u32 v18, v19, 16, 1
	s_add_i32 s30, s12, 32
	s_mov_b32 s31, 0
	s_lshl_b64 s[30:31], s[30:31], 2
	s_delay_alu instid0(VALU_DEP_1) | instskip(SKIP_2) | instid1(VALU_DEP_3)
	v_add3_u32 v18, v19, v18, 0x7fff
	v_add_co_u32 v20, vcc_lo, v14, s30
	v_add_co_ci_u32_e32 v21, vcc_lo, s31, v15, vcc_lo
	v_lshrrev_b32_e32 v18, 16, v18
	v_cmp_o_f32_e32 vcc_lo, v19, v19
	s_delay_alu instid0(VALU_DEP_2) | instskip(NEXT) | instid1(VALU_DEP_1)
	v_or_b32_e32 v18, 0x20000, v18
	v_cndmask_b32_e32 v18, 0x27fc0, v18, vcc_lo
	flat_store_b32 v[20:21], v18
.LBB453_182:
	s_or_b32 exec_lo, exec_lo, vcc_hi
	s_delay_alu instid0(SALU_CYCLE_1)
	s_and_b32 exec_lo, exec_lo, s25
	s_cbranch_execz .LBB453_184
; %bb.183:
	v_mov_b32_e32 v18, 0
	ds_store_b16 v18, v166
.LBB453_184:
	s_or_b32 exec_lo, exec_lo, s27
	v_mov_b32_e32 v18, 0
	s_waitcnt lgkmcnt(0)
	s_waitcnt_vscnt null, 0x0
	s_barrier
	buffer_gl0_inv
	ds_load_u16 v18, v18
	s_and_saveexec_b32 s12, s24
	s_cbranch_execz .LBB453_188
; %bb.185:
	v_lshlrev_b32_e32 v20, 16, v145
	s_delay_alu instid0(VALU_DEP_1) | instskip(NEXT) | instid1(VALU_DEP_1)
	v_max_f32_e32 v19, v20, v20
	v_min_f32_e32 v21, v19, v144
	v_max_f32_e32 v19, v19, v144
	v_cmp_u_f32_e32 vcc_lo, v20, v20
	s_delay_alu instid0(VALU_DEP_3) | instskip(NEXT) | instid1(VALU_DEP_3)
	v_cndmask_b32_e32 v21, v21, v20, vcc_lo
	v_cndmask_b32_e32 v19, v19, v20, vcc_lo
	s_delay_alu instid0(VALU_DEP_2) | instskip(NEXT) | instid1(VALU_DEP_2)
	v_cndmask_b32_e64 v21, v21, v135, s23
	v_cndmask_b32_e64 v19, v19, v135, s23
	s_delay_alu instid0(VALU_DEP_2) | instskip(NEXT) | instid1(VALU_DEP_2)
	v_cmp_class_f32_e64 s23, v21, 0x1f8
	v_cmp_neq_f32_e32 vcc_lo, v21, v19
	s_delay_alu instid0(VALU_DEP_2) | instskip(NEXT) | instid1(SALU_CYCLE_1)
	s_or_b32 s24, vcc_lo, s23
	s_and_saveexec_b32 s23, s24
	s_cbranch_execz .LBB453_187
; %bb.186:
	v_sub_f32_e32 v20, v21, v19
	s_mov_b32 s24, 0x3e9b6dac
	s_delay_alu instid0(VALU_DEP_1) | instskip(SKIP_1) | instid1(VALU_DEP_2)
	v_mul_f32_e32 v21, 0x3fb8aa3b, v20
	v_cmp_ngt_f32_e32 vcc_lo, 0xc2ce8ed0, v20
	v_fma_f32 v135, 0x3fb8aa3b, v20, -v21
	v_rndne_f32_e32 v144, v21
	s_delay_alu instid0(VALU_DEP_2) | instskip(NEXT) | instid1(VALU_DEP_2)
	v_fmamk_f32 v135, v20, 0x32a5705f, v135
	v_sub_f32_e32 v21, v21, v144
	s_delay_alu instid0(VALU_DEP_1) | instskip(SKIP_1) | instid1(VALU_DEP_2)
	v_add_f32_e32 v21, v21, v135
	v_cvt_i32_f32_e32 v135, v144
	v_exp_f32_e32 v21, v21
	s_waitcnt_depctr 0xfff
	v_ldexp_f32 v21, v21, v135
	s_delay_alu instid0(VALU_DEP_1) | instskip(SKIP_1) | instid1(VALU_DEP_2)
	v_cndmask_b32_e32 v21, 0, v21, vcc_lo
	v_cmp_nlt_f32_e32 vcc_lo, 0x42b17218, v20
	v_cndmask_b32_e32 v135, 0x7f800000, v21, vcc_lo
	s_delay_alu instid0(VALU_DEP_1) | instskip(NEXT) | instid1(VALU_DEP_1)
	v_add_f32_e32 v144, 1.0, v135
	v_cvt_f64_f32_e32 v[20:21], v144
	s_delay_alu instid0(VALU_DEP_1) | instskip(SKIP_1) | instid1(VALU_DEP_1)
	v_frexp_exp_i32_f64_e32 v20, v[20:21]
	v_frexp_mant_f32_e32 v21, v144
	v_cmp_gt_f32_e32 vcc_lo, 0x3f2aaaab, v21
	v_add_f32_e32 v21, -1.0, v144
	s_delay_alu instid0(VALU_DEP_1) | instskip(NEXT) | instid1(VALU_DEP_1)
	v_sub_f32_e32 v146, v21, v144
	v_add_f32_e32 v146, 1.0, v146
	v_subrev_co_ci_u32_e32 v20, vcc_lo, 0, v20, vcc_lo
	s_delay_alu instid0(VALU_DEP_1) | instskip(SKIP_1) | instid1(VALU_DEP_2)
	v_sub_nc_u32_e32 v145, 0, v20
	v_cvt_f32_i32_e32 v20, v20
	v_ldexp_f32 v144, v144, v145
	v_sub_f32_e32 v21, v135, v21
	s_delay_alu instid0(VALU_DEP_1) | instskip(NEXT) | instid1(VALU_DEP_1)
	v_add_f32_e32 v21, v21, v146
	v_ldexp_f32 v21, v21, v145
	s_delay_alu instid0(VALU_DEP_4) | instskip(NEXT) | instid1(VALU_DEP_1)
	v_add_f32_e32 v147, 1.0, v144
	v_add_f32_e32 v146, -1.0, v147
	v_cmp_eq_f32_e32 vcc_lo, 0x7f800000, v135
	s_delay_alu instid0(VALU_DEP_2) | instskip(NEXT) | instid1(VALU_DEP_1)
	v_sub_f32_e32 v146, v144, v146
	v_dual_add_f32 v146, v21, v146 :: v_dual_add_f32 v145, -1.0, v144
	s_delay_alu instid0(VALU_DEP_1) | instskip(NEXT) | instid1(VALU_DEP_1)
	v_add_f32_e32 v148, 1.0, v145
	v_sub_f32_e32 v144, v144, v148
	s_delay_alu instid0(VALU_DEP_1) | instskip(NEXT) | instid1(VALU_DEP_1)
	v_dual_add_f32 v148, v147, v146 :: v_dual_add_f32 v21, v21, v144
	v_rcp_f32_e32 v144, v148
	v_sub_f32_e32 v147, v147, v148
	s_delay_alu instid0(VALU_DEP_1) | instskip(SKIP_3) | instid1(VALU_DEP_2)
	v_dual_add_f32 v146, v146, v147 :: v_dual_add_f32 v149, v145, v21
	s_waitcnt_depctr 0xfff
	v_mul_f32_e32 v150, v149, v144
	v_sub_f32_e32 v145, v145, v149
	v_mul_f32_e32 v151, v148, v150
	s_delay_alu instid0(VALU_DEP_1) | instskip(NEXT) | instid1(VALU_DEP_1)
	v_fma_f32 v147, v150, v148, -v151
	v_fmac_f32_e32 v147, v150, v146
	s_delay_alu instid0(VALU_DEP_1) | instskip(NEXT) | instid1(VALU_DEP_1)
	v_dual_add_f32 v160, v151, v147 :: v_dual_add_f32 v21, v21, v145
	v_sub_f32_e32 v161, v149, v160
	v_sub_f32_e32 v145, v160, v151
	s_delay_alu instid0(VALU_DEP_2) | instskip(NEXT) | instid1(VALU_DEP_2)
	v_sub_f32_e32 v149, v149, v161
	v_sub_f32_e32 v145, v145, v147
	s_delay_alu instid0(VALU_DEP_2) | instskip(NEXT) | instid1(VALU_DEP_1)
	v_sub_f32_e32 v149, v149, v160
	v_add_f32_e32 v21, v21, v149
	s_delay_alu instid0(VALU_DEP_1) | instskip(NEXT) | instid1(VALU_DEP_1)
	v_add_f32_e32 v21, v145, v21
	v_add_f32_e32 v145, v161, v21
	s_delay_alu instid0(VALU_DEP_1) | instskip(NEXT) | instid1(VALU_DEP_1)
	v_mul_f32_e32 v147, v144, v145
	v_dual_sub_f32 v160, v161, v145 :: v_dual_mul_f32 v149, v148, v147
	s_delay_alu instid0(VALU_DEP_1) | instskip(NEXT) | instid1(VALU_DEP_2)
	v_add_f32_e32 v21, v21, v160
	v_fma_f32 v148, v147, v148, -v149
	s_delay_alu instid0(VALU_DEP_1) | instskip(NEXT) | instid1(VALU_DEP_1)
	v_fmac_f32_e32 v148, v147, v146
	v_add_f32_e32 v146, v149, v148
	s_delay_alu instid0(VALU_DEP_1) | instskip(SKIP_1) | instid1(VALU_DEP_2)
	v_sub_f32_e32 v151, v145, v146
	v_sub_f32_e32 v149, v146, v149
	;; [unrolled: 1-line block ×3, first 2 shown]
	s_delay_alu instid0(VALU_DEP_1) | instskip(NEXT) | instid1(VALU_DEP_3)
	v_sub_f32_e32 v145, v145, v146
	v_sub_f32_e32 v146, v149, v148
	s_delay_alu instid0(VALU_DEP_2) | instskip(SKIP_1) | instid1(VALU_DEP_1)
	v_add_f32_e32 v21, v21, v145
	v_add_f32_e32 v145, v150, v147
	v_dual_add_f32 v21, v146, v21 :: v_dual_sub_f32 v146, v145, v150
	s_delay_alu instid0(VALU_DEP_1) | instskip(NEXT) | instid1(VALU_DEP_1)
	v_add_f32_e32 v21, v151, v21
	v_dual_sub_f32 v146, v147, v146 :: v_dual_mul_f32 v21, v144, v21
	s_delay_alu instid0(VALU_DEP_1) | instskip(NEXT) | instid1(VALU_DEP_1)
	v_add_f32_e32 v21, v146, v21
	v_add_f32_e32 v144, v145, v21
	s_delay_alu instid0(VALU_DEP_1) | instskip(NEXT) | instid1(VALU_DEP_1)
	v_mul_f32_e32 v146, v144, v144
	v_fmaak_f32 v147, s24, v146, 0x3ecc95a3
	v_mul_f32_e32 v148, v144, v146
	v_cmp_gt_f32_e64 s24, 0x33800000, |v135|
	s_delay_alu instid0(VALU_DEP_3) | instskip(SKIP_2) | instid1(VALU_DEP_4)
	v_fmaak_f32 v146, v146, v147, 0x3f2aaada
	v_ldexp_f32 v147, v144, 1
	v_sub_f32_e32 v144, v144, v145
	s_or_b32 vcc_lo, vcc_lo, s24
	s_delay_alu instid0(VALU_DEP_3) | instskip(SKIP_1) | instid1(VALU_DEP_3)
	v_mul_f32_e32 v146, v148, v146
	v_mul_f32_e32 v148, 0x3f317218, v20
	v_sub_f32_e32 v21, v21, v144
	s_delay_alu instid0(VALU_DEP_3) | instskip(NEXT) | instid1(VALU_DEP_2)
	v_add_f32_e32 v145, v147, v146
	v_ldexp_f32 v21, v21, 1
	s_delay_alu instid0(VALU_DEP_2) | instskip(SKIP_1) | instid1(VALU_DEP_2)
	v_sub_f32_e32 v144, v145, v147
	v_fma_f32 v147, 0x3f317218, v20, -v148
	v_sub_f32_e32 v144, v146, v144
	s_delay_alu instid0(VALU_DEP_1) | instskip(NEXT) | instid1(VALU_DEP_1)
	v_dual_fmamk_f32 v20, v20, 0xb102e308, v147 :: v_dual_add_f32 v21, v21, v144
	v_add_f32_e32 v144, v148, v20
	s_delay_alu instid0(VALU_DEP_2) | instskip(NEXT) | instid1(VALU_DEP_2)
	v_add_f32_e32 v146, v145, v21
	v_sub_f32_e32 v148, v144, v148
	s_delay_alu instid0(VALU_DEP_2) | instskip(NEXT) | instid1(VALU_DEP_2)
	v_add_f32_e32 v147, v144, v146
	v_dual_sub_f32 v145, v146, v145 :: v_dual_sub_f32 v20, v20, v148
	s_delay_alu instid0(VALU_DEP_2) | instskip(NEXT) | instid1(VALU_DEP_2)
	v_sub_f32_e32 v149, v147, v144
	v_sub_f32_e32 v21, v21, v145
	s_delay_alu instid0(VALU_DEP_2) | instskip(SKIP_1) | instid1(VALU_DEP_3)
	v_sub_f32_e32 v150, v147, v149
	v_sub_f32_e32 v145, v146, v149
	v_add_f32_e32 v146, v20, v21
	s_delay_alu instid0(VALU_DEP_3) | instskip(NEXT) | instid1(VALU_DEP_1)
	v_sub_f32_e32 v144, v144, v150
	v_add_f32_e32 v144, v145, v144
	s_delay_alu instid0(VALU_DEP_3) | instskip(NEXT) | instid1(VALU_DEP_2)
	v_sub_f32_e32 v145, v146, v20
	v_add_f32_e32 v144, v146, v144
	s_delay_alu instid0(VALU_DEP_2) | instskip(NEXT) | instid1(VALU_DEP_2)
	v_sub_f32_e32 v146, v146, v145
	v_dual_sub_f32 v21, v21, v145 :: v_dual_add_f32 v148, v147, v144
	s_delay_alu instid0(VALU_DEP_2) | instskip(NEXT) | instid1(VALU_DEP_1)
	v_sub_f32_e32 v20, v20, v146
	v_dual_sub_f32 v145, v148, v147 :: v_dual_add_f32 v20, v21, v20
	s_delay_alu instid0(VALU_DEP_1) | instskip(NEXT) | instid1(VALU_DEP_1)
	v_sub_f32_e32 v21, v144, v145
	v_add_f32_e32 v20, v20, v21
	s_delay_alu instid0(VALU_DEP_1) | instskip(NEXT) | instid1(VALU_DEP_1)
	v_add_f32_e32 v20, v148, v20
	v_cndmask_b32_e32 v20, v20, v135, vcc_lo
	s_delay_alu instid0(VALU_DEP_1)
	v_add_f32_e32 v20, v19, v20
.LBB453_187:
	s_or_b32 exec_lo, exec_lo, s23
	s_delay_alu instid0(VALU_DEP_1) | instskip(SKIP_1) | instid1(VALU_DEP_2)
	v_bfe_u32 v19, v20, 16, 1
	v_cmp_o_f32_e32 vcc_lo, v20, v20
	v_add3_u32 v19, v20, v19, 0x7fff
	s_delay_alu instid0(VALU_DEP_1) | instskip(NEXT) | instid1(VALU_DEP_1)
	v_and_b32_e32 v19, 0xffff0000, v19
	v_cndmask_b32_e32 v135, 0x7fc00000, v19, vcc_lo
.LBB453_188:
	s_or_b32 exec_lo, exec_lo, s12
	s_waitcnt lgkmcnt(0)
	s_delay_alu instid0(VALU_DEP_1) | instskip(NEXT) | instid1(VALU_DEP_1)
	v_dual_max_f32 v18, v135, v135 :: v_dual_lshlrev_b32 v19, 16, v18
	v_max_f32_e32 v20, v19, v19
	v_cmp_u_f32_e32 vcc_lo, v19, v19
	s_delay_alu instid0(VALU_DEP_2) | instskip(SKIP_1) | instid1(VALU_DEP_1)
	v_min_f32_e32 v21, v20, v18
	v_max_f32_e32 v18, v20, v18
	v_cndmask_b32_e32 v18, v18, v19, vcc_lo
	s_delay_alu instid0(VALU_DEP_3) | instskip(SKIP_1) | instid1(VALU_DEP_2)
	v_cndmask_b32_e32 v20, v21, v19, vcc_lo
	v_cmp_u_f32_e32 vcc_lo, v135, v135
	v_cndmask_b32_e32 v20, v20, v135, vcc_lo
	s_delay_alu instid0(VALU_DEP_4) | instskip(NEXT) | instid1(VALU_DEP_2)
	v_cndmask_b32_e32 v18, v18, v135, vcc_lo
	v_cmp_class_f32_e64 s12, v20, 0x1f8
	s_delay_alu instid0(VALU_DEP_2) | instskip(NEXT) | instid1(VALU_DEP_2)
	v_cmp_neq_f32_e32 vcc_lo, v20, v18
	s_or_b32 s23, vcc_lo, s12
	s_delay_alu instid0(SALU_CYCLE_1)
	s_and_saveexec_b32 s12, s23
	s_cbranch_execz .LBB453_190
; %bb.189:
	v_sub_f32_e32 v19, v20, v18
	s_mov_b32 s23, 0x3e9b6dac
	s_delay_alu instid0(VALU_DEP_1) | instskip(SKIP_1) | instid1(VALU_DEP_2)
	v_mul_f32_e32 v20, 0x3fb8aa3b, v19
	v_cmp_ngt_f32_e32 vcc_lo, 0xc2ce8ed0, v19
	v_fma_f32 v21, 0x3fb8aa3b, v19, -v20
	v_rndne_f32_e32 v135, v20
	s_delay_alu instid0(VALU_DEP_1) | instskip(NEXT) | instid1(VALU_DEP_1)
	v_dual_fmamk_f32 v21, v19, 0x32a5705f, v21 :: v_dual_sub_f32 v20, v20, v135
	v_add_f32_e32 v20, v20, v21
	v_cvt_i32_f32_e32 v21, v135
	s_delay_alu instid0(VALU_DEP_2) | instskip(SKIP_2) | instid1(VALU_DEP_1)
	v_exp_f32_e32 v20, v20
	s_waitcnt_depctr 0xfff
	v_ldexp_f32 v20, v20, v21
	v_cndmask_b32_e32 v20, 0, v20, vcc_lo
	v_cmp_nlt_f32_e32 vcc_lo, 0x42b17218, v19
	s_delay_alu instid0(VALU_DEP_2) | instskip(NEXT) | instid1(VALU_DEP_1)
	v_cndmask_b32_e32 v21, 0x7f800000, v20, vcc_lo
	v_add_f32_e32 v135, 1.0, v21
	s_delay_alu instid0(VALU_DEP_1) | instskip(NEXT) | instid1(VALU_DEP_1)
	v_cvt_f64_f32_e32 v[19:20], v135
	v_frexp_exp_i32_f64_e32 v19, v[19:20]
	v_frexp_mant_f32_e32 v20, v135
	s_delay_alu instid0(VALU_DEP_1) | instskip(SKIP_1) | instid1(VALU_DEP_1)
	v_cmp_gt_f32_e32 vcc_lo, 0x3f2aaaab, v20
	v_add_f32_e32 v20, -1.0, v135
	v_dual_sub_f32 v145, v20, v135 :: v_dual_sub_f32 v20, v21, v20
	v_subrev_co_ci_u32_e32 v19, vcc_lo, 0, v19, vcc_lo
	v_cmp_eq_f32_e32 vcc_lo, 0x7f800000, v21
	s_delay_alu instid0(VALU_DEP_2) | instskip(SKIP_1) | instid1(VALU_DEP_2)
	v_sub_nc_u32_e32 v144, 0, v19
	v_cvt_f32_i32_e32 v19, v19
	v_ldexp_f32 v135, v135, v144
	s_delay_alu instid0(VALU_DEP_1) | instskip(NEXT) | instid1(VALU_DEP_1)
	v_dual_add_f32 v145, 1.0, v145 :: v_dual_add_f32 v146, 1.0, v135
	v_dual_add_f32 v20, v20, v145 :: v_dual_add_f32 v145, -1.0, v146
	s_delay_alu instid0(VALU_DEP_1) | instskip(NEXT) | instid1(VALU_DEP_2)
	v_ldexp_f32 v20, v20, v144
	v_dual_add_f32 v144, -1.0, v135 :: v_dual_sub_f32 v145, v135, v145
	s_delay_alu instid0(VALU_DEP_1) | instskip(NEXT) | instid1(VALU_DEP_2)
	v_add_f32_e32 v147, 1.0, v144
	v_add_f32_e32 v145, v20, v145
	s_delay_alu instid0(VALU_DEP_2) | instskip(NEXT) | instid1(VALU_DEP_1)
	v_sub_f32_e32 v135, v135, v147
	v_dual_add_f32 v147, v146, v145 :: v_dual_add_f32 v20, v20, v135
	s_delay_alu instid0(VALU_DEP_1) | instskip(SKIP_1) | instid1(VALU_DEP_1)
	v_rcp_f32_e32 v135, v147
	v_sub_f32_e32 v146, v146, v147
	v_dual_add_f32 v148, v144, v20 :: v_dual_add_f32 v145, v145, v146
	s_delay_alu instid0(VALU_DEP_1) | instskip(SKIP_3) | instid1(VALU_DEP_2)
	v_sub_f32_e32 v144, v144, v148
	s_waitcnt_depctr 0xfff
	v_mul_f32_e32 v149, v148, v135
	v_add_f32_e32 v20, v20, v144
	v_mul_f32_e32 v150, v147, v149
	s_delay_alu instid0(VALU_DEP_1) | instskip(NEXT) | instid1(VALU_DEP_1)
	v_fma_f32 v146, v149, v147, -v150
	v_fmac_f32_e32 v146, v149, v145
	s_delay_alu instid0(VALU_DEP_1) | instskip(NEXT) | instid1(VALU_DEP_1)
	v_add_f32_e32 v151, v150, v146
	v_sub_f32_e32 v160, v148, v151
	v_sub_f32_e32 v144, v151, v150
	s_delay_alu instid0(VALU_DEP_2) | instskip(NEXT) | instid1(VALU_DEP_2)
	v_sub_f32_e32 v148, v148, v160
	v_sub_f32_e32 v144, v144, v146
	s_delay_alu instid0(VALU_DEP_2) | instskip(NEXT) | instid1(VALU_DEP_1)
	v_sub_f32_e32 v148, v148, v151
	v_add_f32_e32 v20, v20, v148
	s_delay_alu instid0(VALU_DEP_1) | instskip(NEXT) | instid1(VALU_DEP_1)
	v_add_f32_e32 v20, v144, v20
	v_add_f32_e32 v144, v160, v20
	s_delay_alu instid0(VALU_DEP_1) | instskip(NEXT) | instid1(VALU_DEP_1)
	v_mul_f32_e32 v146, v135, v144
	v_mul_f32_e32 v148, v147, v146
	s_delay_alu instid0(VALU_DEP_1) | instskip(NEXT) | instid1(VALU_DEP_1)
	v_fma_f32 v147, v146, v147, -v148
	v_fmac_f32_e32 v147, v146, v145
	v_sub_f32_e32 v151, v160, v144
	s_delay_alu instid0(VALU_DEP_2) | instskip(NEXT) | instid1(VALU_DEP_2)
	v_add_f32_e32 v145, v148, v147
	v_add_f32_e32 v20, v20, v151
	s_delay_alu instid0(VALU_DEP_2) | instskip(SKIP_1) | instid1(VALU_DEP_2)
	v_sub_f32_e32 v150, v144, v145
	v_sub_f32_e32 v148, v145, v148
	;; [unrolled: 1-line block ×3, first 2 shown]
	s_delay_alu instid0(VALU_DEP_1) | instskip(NEXT) | instid1(VALU_DEP_3)
	v_sub_f32_e32 v144, v144, v145
	v_sub_f32_e32 v145, v148, v147
	s_delay_alu instid0(VALU_DEP_2) | instskip(SKIP_1) | instid1(VALU_DEP_1)
	v_add_f32_e32 v20, v20, v144
	v_add_f32_e32 v144, v149, v146
	v_dual_add_f32 v20, v145, v20 :: v_dual_sub_f32 v145, v144, v149
	s_delay_alu instid0(VALU_DEP_1) | instskip(NEXT) | instid1(VALU_DEP_1)
	v_add_f32_e32 v20, v150, v20
	v_dual_sub_f32 v145, v146, v145 :: v_dual_mul_f32 v20, v135, v20
	s_delay_alu instid0(VALU_DEP_1) | instskip(NEXT) | instid1(VALU_DEP_1)
	v_add_f32_e32 v20, v145, v20
	v_add_f32_e32 v135, v144, v20
	s_delay_alu instid0(VALU_DEP_1) | instskip(NEXT) | instid1(VALU_DEP_1)
	v_mul_f32_e32 v145, v135, v135
	v_fmaak_f32 v146, s23, v145, 0x3ecc95a3
	v_mul_f32_e32 v147, v135, v145
	v_cmp_gt_f32_e64 s23, 0x33800000, |v21|
	s_delay_alu instid0(VALU_DEP_3) | instskip(SKIP_2) | instid1(VALU_DEP_4)
	v_fmaak_f32 v145, v145, v146, 0x3f2aaada
	v_ldexp_f32 v146, v135, 1
	v_sub_f32_e32 v135, v135, v144
	s_or_b32 vcc_lo, vcc_lo, s23
	s_delay_alu instid0(VALU_DEP_3) | instskip(SKIP_1) | instid1(VALU_DEP_3)
	v_mul_f32_e32 v145, v147, v145
	v_mul_f32_e32 v147, 0x3f317218, v19
	v_sub_f32_e32 v20, v20, v135
	s_delay_alu instid0(VALU_DEP_3) | instskip(NEXT) | instid1(VALU_DEP_2)
	v_add_f32_e32 v144, v146, v145
	v_ldexp_f32 v20, v20, 1
	s_delay_alu instid0(VALU_DEP_2) | instskip(SKIP_1) | instid1(VALU_DEP_2)
	v_sub_f32_e32 v135, v144, v146
	v_fma_f32 v146, 0x3f317218, v19, -v147
	v_sub_f32_e32 v135, v145, v135
	s_delay_alu instid0(VALU_DEP_1) | instskip(NEXT) | instid1(VALU_DEP_1)
	v_dual_fmamk_f32 v19, v19, 0xb102e308, v146 :: v_dual_add_f32 v20, v20, v135
	v_add_f32_e32 v135, v147, v19
	s_delay_alu instid0(VALU_DEP_2) | instskip(NEXT) | instid1(VALU_DEP_2)
	v_add_f32_e32 v145, v144, v20
	v_sub_f32_e32 v147, v135, v147
	s_delay_alu instid0(VALU_DEP_2) | instskip(NEXT) | instid1(VALU_DEP_2)
	v_add_f32_e32 v146, v135, v145
	v_sub_f32_e32 v19, v19, v147
	s_delay_alu instid0(VALU_DEP_2) | instskip(SKIP_1) | instid1(VALU_DEP_2)
	v_sub_f32_e32 v148, v146, v135
	v_sub_f32_e32 v144, v145, v144
	;; [unrolled: 1-line block ×3, first 2 shown]
	s_delay_alu instid0(VALU_DEP_2) | instskip(NEXT) | instid1(VALU_DEP_2)
	v_sub_f32_e32 v20, v20, v144
	v_dual_sub_f32 v144, v145, v148 :: v_dual_sub_f32 v135, v135, v149
	s_delay_alu instid0(VALU_DEP_2) | instskip(NEXT) | instid1(VALU_DEP_2)
	v_add_f32_e32 v145, v19, v20
	v_add_f32_e32 v135, v144, v135
	s_delay_alu instid0(VALU_DEP_2) | instskip(NEXT) | instid1(VALU_DEP_2)
	v_sub_f32_e32 v144, v145, v19
	v_add_f32_e32 v135, v145, v135
	s_delay_alu instid0(VALU_DEP_2) | instskip(NEXT) | instid1(VALU_DEP_2)
	v_sub_f32_e32 v145, v145, v144
	v_dual_sub_f32 v20, v20, v144 :: v_dual_add_f32 v147, v146, v135
	s_delay_alu instid0(VALU_DEP_2) | instskip(NEXT) | instid1(VALU_DEP_1)
	v_sub_f32_e32 v19, v19, v145
	v_dual_sub_f32 v144, v147, v146 :: v_dual_add_f32 v19, v20, v19
	s_delay_alu instid0(VALU_DEP_1) | instskip(NEXT) | instid1(VALU_DEP_1)
	v_sub_f32_e32 v20, v135, v144
	v_add_f32_e32 v19, v19, v20
	s_delay_alu instid0(VALU_DEP_1) | instskip(NEXT) | instid1(VALU_DEP_1)
	v_add_f32_e32 v19, v147, v19
	v_cndmask_b32_e32 v19, v19, v21, vcc_lo
	s_delay_alu instid0(VALU_DEP_1)
	v_add_f32_e32 v19, v18, v19
.LBB453_190:
	s_or_b32 exec_lo, exec_lo, s12
	s_delay_alu instid0(VALU_DEP_1) | instskip(SKIP_1) | instid1(VALU_DEP_2)
	v_bfe_u32 v18, v19, 16, 1
	v_cmp_o_f32_e32 vcc_lo, v19, v19
	v_add3_u32 v18, v19, v18, 0x7fff
	s_delay_alu instid0(VALU_DEP_1) | instskip(NEXT) | instid1(VALU_DEP_1)
	v_lshrrev_b32_e32 v18, 16, v18
	v_cndmask_b32_e32 v18, 0x7fc0, v18, vcc_lo
	s_delay_alu instid0(VALU_DEP_1) | instskip(NEXT) | instid1(VALU_DEP_1)
	v_lshlrev_b32_e32 v20, 16, v18
	v_max_f32_e32 v19, v20, v20
	s_delay_alu instid0(VALU_DEP_1) | instskip(SKIP_2) | instid1(VALU_DEP_3)
	v_min_f32_e32 v21, v19, v55
	v_max_f32_e32 v19, v19, v55
	v_cmp_u_f32_e32 vcc_lo, v20, v20
	v_cndmask_b32_e32 v21, v21, v20, vcc_lo
	s_delay_alu instid0(VALU_DEP_3) | instskip(NEXT) | instid1(VALU_DEP_2)
	v_cndmask_b32_e32 v19, v19, v20, vcc_lo
	v_cndmask_b32_e64 v21, v21, v13, s1
	s_delay_alu instid0(VALU_DEP_2) | instskip(NEXT) | instid1(VALU_DEP_2)
	v_cndmask_b32_e64 v19, v19, v13, s1
	v_cmp_class_f32_e64 s1, v21, 0x1f8
	s_delay_alu instid0(VALU_DEP_2) | instskip(NEXT) | instid1(VALU_DEP_2)
	v_cmp_neq_f32_e32 vcc_lo, v21, v19
	s_or_b32 s12, vcc_lo, s1
	s_delay_alu instid0(SALU_CYCLE_1)
	s_and_saveexec_b32 s1, s12
	s_cbranch_execz .LBB453_192
; %bb.191:
	v_sub_f32_e32 v20, v21, v19
	s_mov_b32 s12, 0x3e9b6dac
	s_delay_alu instid0(VALU_DEP_1) | instskip(SKIP_1) | instid1(VALU_DEP_2)
	v_mul_f32_e32 v21, 0x3fb8aa3b, v20
	v_cmp_ngt_f32_e32 vcc_lo, 0xc2ce8ed0, v20
	v_fma_f32 v55, 0x3fb8aa3b, v20, -v21
	v_rndne_f32_e32 v135, v21
	s_delay_alu instid0(VALU_DEP_2) | instskip(NEXT) | instid1(VALU_DEP_2)
	v_fmamk_f32 v55, v20, 0x32a5705f, v55
	v_sub_f32_e32 v21, v21, v135
	s_delay_alu instid0(VALU_DEP_1) | instskip(SKIP_1) | instid1(VALU_DEP_2)
	v_add_f32_e32 v21, v21, v55
	v_cvt_i32_f32_e32 v55, v135
	v_exp_f32_e32 v21, v21
	s_waitcnt_depctr 0xfff
	v_ldexp_f32 v21, v21, v55
	s_delay_alu instid0(VALU_DEP_1) | instskip(SKIP_1) | instid1(VALU_DEP_2)
	v_cndmask_b32_e32 v21, 0, v21, vcc_lo
	v_cmp_nlt_f32_e32 vcc_lo, 0x42b17218, v20
	v_cndmask_b32_e32 v55, 0x7f800000, v21, vcc_lo
	s_delay_alu instid0(VALU_DEP_1) | instskip(NEXT) | instid1(VALU_DEP_1)
	v_add_f32_e32 v135, 1.0, v55
	v_cvt_f64_f32_e32 v[20:21], v135
	s_delay_alu instid0(VALU_DEP_1) | instskip(SKIP_1) | instid1(VALU_DEP_1)
	v_frexp_exp_i32_f64_e32 v20, v[20:21]
	v_frexp_mant_f32_e32 v21, v135
	v_cmp_gt_f32_e32 vcc_lo, 0x3f2aaaab, v21
	v_add_f32_e32 v21, -1.0, v135
	s_delay_alu instid0(VALU_DEP_1) | instskip(SKIP_1) | instid1(VALU_DEP_2)
	v_sub_f32_e32 v145, v21, v135
	v_sub_f32_e32 v21, v55, v21
	v_add_f32_e32 v145, 1.0, v145
	s_delay_alu instid0(VALU_DEP_1) | instskip(SKIP_1) | instid1(VALU_DEP_1)
	v_add_f32_e32 v21, v21, v145
	v_subrev_co_ci_u32_e32 v20, vcc_lo, 0, v20, vcc_lo
	v_sub_nc_u32_e32 v144, 0, v20
	v_cvt_f32_i32_e32 v20, v20
	s_delay_alu instid0(VALU_DEP_2) | instskip(SKIP_1) | instid1(VALU_DEP_2)
	v_ldexp_f32 v135, v135, v144
	v_ldexp_f32 v21, v21, v144
	v_add_f32_e32 v146, 1.0, v135
	s_delay_alu instid0(VALU_DEP_1) | instskip(NEXT) | instid1(VALU_DEP_1)
	v_dual_add_f32 v144, -1.0, v135 :: v_dual_add_f32 v145, -1.0, v146
	v_add_f32_e32 v147, 1.0, v144
	s_delay_alu instid0(VALU_DEP_2) | instskip(NEXT) | instid1(VALU_DEP_2)
	v_sub_f32_e32 v145, v135, v145
	v_sub_f32_e32 v135, v135, v147
	s_delay_alu instid0(VALU_DEP_2) | instskip(NEXT) | instid1(VALU_DEP_1)
	v_add_f32_e32 v145, v21, v145
	v_add_f32_e32 v147, v146, v145
	s_delay_alu instid0(VALU_DEP_3) | instskip(NEXT) | instid1(VALU_DEP_2)
	v_add_f32_e32 v21, v21, v135
	v_rcp_f32_e32 v135, v147
	s_delay_alu instid0(VALU_DEP_1) | instskip(SKIP_2) | instid1(VALU_DEP_2)
	v_add_f32_e32 v148, v144, v21
	v_sub_f32_e32 v146, v146, v147
	v_cmp_eq_f32_e32 vcc_lo, 0x7f800000, v55
	v_dual_sub_f32 v144, v144, v148 :: v_dual_add_f32 v145, v145, v146
	s_waitcnt_depctr 0xfff
	v_mul_f32_e32 v149, v148, v135
	s_delay_alu instid0(VALU_DEP_1) | instskip(NEXT) | instid1(VALU_DEP_1)
	v_dual_add_f32 v21, v21, v144 :: v_dual_mul_f32 v150, v147, v149
	v_fma_f32 v146, v149, v147, -v150
	s_delay_alu instid0(VALU_DEP_1) | instskip(NEXT) | instid1(VALU_DEP_1)
	v_fmac_f32_e32 v146, v149, v145
	v_add_f32_e32 v151, v150, v146
	s_delay_alu instid0(VALU_DEP_1) | instskip(SKIP_1) | instid1(VALU_DEP_2)
	v_sub_f32_e32 v160, v148, v151
	v_sub_f32_e32 v144, v151, v150
	;; [unrolled: 1-line block ×3, first 2 shown]
	s_delay_alu instid0(VALU_DEP_2) | instskip(NEXT) | instid1(VALU_DEP_2)
	v_sub_f32_e32 v144, v144, v146
	v_sub_f32_e32 v148, v148, v151
	s_delay_alu instid0(VALU_DEP_1) | instskip(NEXT) | instid1(VALU_DEP_1)
	v_add_f32_e32 v21, v21, v148
	v_add_f32_e32 v21, v144, v21
	s_delay_alu instid0(VALU_DEP_1) | instskip(NEXT) | instid1(VALU_DEP_1)
	v_add_f32_e32 v144, v160, v21
	v_mul_f32_e32 v146, v135, v144
	s_delay_alu instid0(VALU_DEP_1) | instskip(NEXT) | instid1(VALU_DEP_1)
	v_dual_sub_f32 v151, v160, v144 :: v_dual_mul_f32 v148, v147, v146
	v_add_f32_e32 v21, v21, v151
	s_delay_alu instid0(VALU_DEP_2) | instskip(NEXT) | instid1(VALU_DEP_1)
	v_fma_f32 v147, v146, v147, -v148
	v_fmac_f32_e32 v147, v146, v145
	s_delay_alu instid0(VALU_DEP_1) | instskip(NEXT) | instid1(VALU_DEP_1)
	v_add_f32_e32 v145, v148, v147
	v_sub_f32_e32 v150, v144, v145
	v_sub_f32_e32 v148, v145, v148
	s_delay_alu instid0(VALU_DEP_2) | instskip(NEXT) | instid1(VALU_DEP_1)
	v_sub_f32_e32 v144, v144, v150
	v_sub_f32_e32 v144, v144, v145
	s_delay_alu instid0(VALU_DEP_3) | instskip(NEXT) | instid1(VALU_DEP_2)
	v_sub_f32_e32 v145, v148, v147
	v_add_f32_e32 v21, v21, v144
	v_add_f32_e32 v144, v149, v146
	s_delay_alu instid0(VALU_DEP_2) | instskip(NEXT) | instid1(VALU_DEP_2)
	v_add_f32_e32 v21, v145, v21
	v_sub_f32_e32 v145, v144, v149
	s_delay_alu instid0(VALU_DEP_2) | instskip(NEXT) | instid1(VALU_DEP_2)
	v_add_f32_e32 v21, v150, v21
	v_sub_f32_e32 v145, v146, v145
	s_delay_alu instid0(VALU_DEP_2) | instskip(NEXT) | instid1(VALU_DEP_1)
	v_mul_f32_e32 v21, v135, v21
	v_add_f32_e32 v21, v145, v21
	s_delay_alu instid0(VALU_DEP_1) | instskip(NEXT) | instid1(VALU_DEP_1)
	v_add_f32_e32 v135, v144, v21
	v_mul_f32_e32 v145, v135, v135
	s_delay_alu instid0(VALU_DEP_1) | instskip(SKIP_2) | instid1(VALU_DEP_3)
	v_fmaak_f32 v146, s12, v145, 0x3ecc95a3
	v_mul_f32_e32 v147, v135, v145
	v_cmp_gt_f32_e64 s12, 0x33800000, |v55|
	v_fmaak_f32 v145, v145, v146, 0x3f2aaada
	v_ldexp_f32 v146, v135, 1
	v_sub_f32_e32 v135, v135, v144
	s_delay_alu instid0(VALU_DEP_4) | instskip(NEXT) | instid1(VALU_DEP_3)
	s_or_b32 vcc_lo, vcc_lo, s12
	v_mul_f32_e32 v145, v147, v145
	v_mul_f32_e32 v147, 0x3f317218, v20
	s_delay_alu instid0(VALU_DEP_2) | instskip(NEXT) | instid1(VALU_DEP_1)
	v_dual_sub_f32 v21, v21, v135 :: v_dual_add_f32 v144, v146, v145
	v_ldexp_f32 v21, v21, 1
	s_delay_alu instid0(VALU_DEP_2) | instskip(NEXT) | instid1(VALU_DEP_4)
	v_sub_f32_e32 v135, v144, v146
	v_fma_f32 v146, 0x3f317218, v20, -v147
	s_delay_alu instid0(VALU_DEP_1) | instskip(NEXT) | instid1(VALU_DEP_1)
	v_dual_sub_f32 v135, v145, v135 :: v_dual_fmamk_f32 v20, v20, 0xb102e308, v146
	v_add_f32_e32 v21, v21, v135
	s_delay_alu instid0(VALU_DEP_2) | instskip(NEXT) | instid1(VALU_DEP_2)
	v_add_f32_e32 v135, v147, v20
	v_add_f32_e32 v145, v144, v21
	s_delay_alu instid0(VALU_DEP_2) | instskip(NEXT) | instid1(VALU_DEP_2)
	v_sub_f32_e32 v147, v135, v147
	v_add_f32_e32 v146, v135, v145
	v_sub_f32_e32 v144, v145, v144
	s_delay_alu instid0(VALU_DEP_3) | instskip(NEXT) | instid1(VALU_DEP_2)
	v_sub_f32_e32 v20, v20, v147
	v_dual_sub_f32 v148, v146, v135 :: v_dual_sub_f32 v21, v21, v144
	s_delay_alu instid0(VALU_DEP_1) | instskip(NEXT) | instid1(VALU_DEP_2)
	v_sub_f32_e32 v149, v146, v148
	v_dual_sub_f32 v144, v145, v148 :: v_dual_add_f32 v145, v20, v21
	s_delay_alu instid0(VALU_DEP_2) | instskip(NEXT) | instid1(VALU_DEP_1)
	v_sub_f32_e32 v135, v135, v149
	v_dual_add_f32 v135, v144, v135 :: v_dual_sub_f32 v144, v145, v20
	s_delay_alu instid0(VALU_DEP_1) | instskip(NEXT) | instid1(VALU_DEP_2)
	v_add_f32_e32 v135, v145, v135
	v_sub_f32_e32 v145, v145, v144
	v_sub_f32_e32 v21, v21, v144
	s_delay_alu instid0(VALU_DEP_2) | instskip(NEXT) | instid1(VALU_DEP_1)
	v_dual_add_f32 v147, v146, v135 :: v_dual_sub_f32 v20, v20, v145
	v_sub_f32_e32 v144, v147, v146
	s_delay_alu instid0(VALU_DEP_2) | instskip(NEXT) | instid1(VALU_DEP_2)
	v_add_f32_e32 v20, v21, v20
	v_sub_f32_e32 v21, v135, v144
	s_delay_alu instid0(VALU_DEP_1) | instskip(NEXT) | instid1(VALU_DEP_1)
	v_add_f32_e32 v20, v20, v21
	v_add_f32_e32 v20, v147, v20
	s_delay_alu instid0(VALU_DEP_1) | instskip(NEXT) | instid1(VALU_DEP_1)
	v_cndmask_b32_e32 v20, v20, v55, vcc_lo
	v_add_f32_e32 v20, v19, v20
.LBB453_192:
	s_or_b32 exec_lo, exec_lo, s1
	s_delay_alu instid0(VALU_DEP_1) | instskip(SKIP_1) | instid1(VALU_DEP_2)
	v_bfe_u32 v19, v20, 16, 1
	v_cmp_o_f32_e32 vcc_lo, v20, v20
	v_add3_u32 v19, v20, v19, 0x7fff
	s_delay_alu instid0(VALU_DEP_1) | instskip(NEXT) | instid1(VALU_DEP_1)
	v_lshrrev_b32_e32 v19, 16, v19
	v_cndmask_b32_e32 v19, 0x7fc0, v19, vcc_lo
	s_delay_alu instid0(VALU_DEP_1) | instskip(NEXT) | instid1(VALU_DEP_1)
	v_lshlrev_b32_e32 v21, 16, v19
	v_max_f32_e32 v20, v21, v21
	s_delay_alu instid0(VALU_DEP_1) | instskip(SKIP_2) | instid1(VALU_DEP_3)
	v_min_f32_e32 v55, v20, v66
	v_max_f32_e32 v20, v20, v66
	v_cmp_u_f32_e32 vcc_lo, v21, v21
	v_cndmask_b32_e32 v55, v55, v21, vcc_lo
	s_delay_alu instid0(VALU_DEP_3) | instskip(NEXT) | instid1(VALU_DEP_2)
	v_cndmask_b32_e32 v20, v20, v21, vcc_lo
	v_cndmask_b32_e64 v55, v55, v54, s2
	s_delay_alu instid0(VALU_DEP_2) | instskip(NEXT) | instid1(VALU_DEP_2)
	v_cndmask_b32_e64 v20, v20, v54, s2
	v_cmp_class_f32_e64 s1, v55, 0x1f8
	s_delay_alu instid0(VALU_DEP_2) | instskip(NEXT) | instid1(VALU_DEP_2)
	v_cmp_neq_f32_e32 vcc_lo, v55, v20
	s_or_b32 s2, vcc_lo, s1
	s_delay_alu instid0(SALU_CYCLE_1)
	s_and_saveexec_b32 s1, s2
	s_cbranch_execz .LBB453_194
; %bb.193:
	v_sub_f32_e32 v21, v55, v20
	s_mov_b32 s2, 0x3e9b6dac
	s_delay_alu instid0(VALU_DEP_1) | instskip(NEXT) | instid1(VALU_DEP_1)
	v_mul_f32_e32 v54, 0x3fb8aa3b, v21
	v_fma_f32 v55, 0x3fb8aa3b, v21, -v54
	v_rndne_f32_e32 v66, v54
	s_delay_alu instid0(VALU_DEP_1) | instskip(SKIP_1) | instid1(VALU_DEP_4)
	v_sub_f32_e32 v54, v54, v66
	v_cmp_ngt_f32_e32 vcc_lo, 0xc2ce8ed0, v21
	v_fmamk_f32 v55, v21, 0x32a5705f, v55
	s_delay_alu instid0(VALU_DEP_1) | instskip(SKIP_1) | instid1(VALU_DEP_2)
	v_add_f32_e32 v54, v54, v55
	v_cvt_i32_f32_e32 v55, v66
	v_exp_f32_e32 v54, v54
	s_waitcnt_depctr 0xfff
	v_ldexp_f32 v54, v54, v55
	s_delay_alu instid0(VALU_DEP_1) | instskip(SKIP_1) | instid1(VALU_DEP_2)
	v_cndmask_b32_e32 v54, 0, v54, vcc_lo
	v_cmp_nlt_f32_e32 vcc_lo, 0x42b17218, v21
	v_cndmask_b32_e32 v21, 0x7f800000, v54, vcc_lo
	s_delay_alu instid0(VALU_DEP_1) | instskip(NEXT) | instid1(VALU_DEP_1)
	v_add_f32_e32 v66, 1.0, v21
	v_cvt_f64_f32_e32 v[54:55], v66
	s_delay_alu instid0(VALU_DEP_1) | instskip(SKIP_1) | instid1(VALU_DEP_1)
	v_frexp_exp_i32_f64_e32 v54, v[54:55]
	v_frexp_mant_f32_e32 v55, v66
	v_cmp_gt_f32_e32 vcc_lo, 0x3f2aaaab, v55
	v_add_f32_e32 v55, -1.0, v66
	s_delay_alu instid0(VALU_DEP_1) | instskip(NEXT) | instid1(VALU_DEP_1)
	v_sub_f32_e32 v144, v55, v66
	v_dual_add_f32 v144, 1.0, v144 :: v_dual_sub_f32 v55, v21, v55
	v_subrev_co_ci_u32_e32 v54, vcc_lo, 0, v54, vcc_lo
	v_cmp_eq_f32_e32 vcc_lo, 0x7f800000, v21
	s_delay_alu instid0(VALU_DEP_2) | instskip(SKIP_1) | instid1(VALU_DEP_2)
	v_sub_nc_u32_e32 v135, 0, v54
	v_cvt_f32_i32_e32 v54, v54
	v_ldexp_f32 v66, v66, v135
	s_delay_alu instid0(VALU_DEP_1) | instskip(NEXT) | instid1(VALU_DEP_1)
	v_add_f32_e32 v145, 1.0, v66
	v_dual_add_f32 v55, v55, v144 :: v_dual_add_f32 v144, -1.0, v145
	s_delay_alu instid0(VALU_DEP_1) | instskip(NEXT) | instid1(VALU_DEP_2)
	v_ldexp_f32 v55, v55, v135
	v_dual_add_f32 v135, -1.0, v66 :: v_dual_sub_f32 v144, v66, v144
	s_delay_alu instid0(VALU_DEP_1) | instskip(NEXT) | instid1(VALU_DEP_2)
	v_add_f32_e32 v146, 1.0, v135
	v_add_f32_e32 v144, v55, v144
	s_delay_alu instid0(VALU_DEP_2) | instskip(NEXT) | instid1(VALU_DEP_1)
	v_sub_f32_e32 v66, v66, v146
	v_add_f32_e32 v55, v55, v66
	s_delay_alu instid0(VALU_DEP_1) | instskip(NEXT) | instid1(VALU_DEP_1)
	v_dual_add_f32 v147, v135, v55 :: v_dual_add_f32 v146, v145, v144
	v_sub_f32_e32 v135, v135, v147
	s_delay_alu instid0(VALU_DEP_2) | instskip(SKIP_1) | instid1(VALU_DEP_1)
	v_rcp_f32_e32 v66, v146
	v_sub_f32_e32 v145, v145, v146
	v_dual_add_f32 v144, v144, v145 :: v_dual_add_f32 v55, v55, v135
	s_waitcnt_depctr 0xfff
	v_mul_f32_e32 v148, v147, v66
	s_delay_alu instid0(VALU_DEP_1) | instskip(NEXT) | instid1(VALU_DEP_1)
	v_mul_f32_e32 v149, v146, v148
	v_fma_f32 v145, v148, v146, -v149
	s_delay_alu instid0(VALU_DEP_1) | instskip(NEXT) | instid1(VALU_DEP_1)
	v_fmac_f32_e32 v145, v148, v144
	v_add_f32_e32 v150, v149, v145
	s_delay_alu instid0(VALU_DEP_1) | instskip(NEXT) | instid1(VALU_DEP_1)
	v_sub_f32_e32 v151, v147, v150
	v_sub_f32_e32 v147, v147, v151
	;; [unrolled: 1-line block ×3, first 2 shown]
	s_delay_alu instid0(VALU_DEP_2) | instskip(NEXT) | instid1(VALU_DEP_2)
	v_sub_f32_e32 v147, v147, v150
	v_sub_f32_e32 v135, v135, v145
	s_delay_alu instid0(VALU_DEP_2) | instskip(NEXT) | instid1(VALU_DEP_1)
	v_add_f32_e32 v55, v55, v147
	v_add_f32_e32 v55, v135, v55
	s_delay_alu instid0(VALU_DEP_1) | instskip(NEXT) | instid1(VALU_DEP_1)
	v_add_f32_e32 v135, v151, v55
	v_mul_f32_e32 v145, v66, v135
	s_delay_alu instid0(VALU_DEP_1) | instskip(NEXT) | instid1(VALU_DEP_1)
	v_dual_sub_f32 v150, v151, v135 :: v_dual_mul_f32 v147, v146, v145
	v_add_f32_e32 v55, v55, v150
	s_delay_alu instid0(VALU_DEP_2) | instskip(NEXT) | instid1(VALU_DEP_1)
	v_fma_f32 v146, v145, v146, -v147
	v_fmac_f32_e32 v146, v145, v144
	s_delay_alu instid0(VALU_DEP_1) | instskip(NEXT) | instid1(VALU_DEP_1)
	v_add_f32_e32 v144, v147, v146
	v_sub_f32_e32 v149, v135, v144
	v_sub_f32_e32 v147, v144, v147
	s_delay_alu instid0(VALU_DEP_2) | instskip(NEXT) | instid1(VALU_DEP_1)
	v_sub_f32_e32 v135, v135, v149
	v_sub_f32_e32 v135, v135, v144
	s_delay_alu instid0(VALU_DEP_3) | instskip(NEXT) | instid1(VALU_DEP_2)
	v_sub_f32_e32 v144, v147, v146
	v_add_f32_e32 v55, v55, v135
	v_add_f32_e32 v135, v148, v145
	s_delay_alu instid0(VALU_DEP_1) | instskip(NEXT) | instid1(VALU_DEP_1)
	v_dual_add_f32 v55, v144, v55 :: v_dual_sub_f32 v144, v135, v148
	v_add_f32_e32 v55, v149, v55
	s_delay_alu instid0(VALU_DEP_1) | instskip(NEXT) | instid1(VALU_DEP_1)
	v_dual_sub_f32 v144, v145, v144 :: v_dual_mul_f32 v55, v66, v55
	v_add_f32_e32 v55, v144, v55
	s_delay_alu instid0(VALU_DEP_1) | instskip(NEXT) | instid1(VALU_DEP_1)
	v_add_f32_e32 v66, v135, v55
	v_mul_f32_e32 v144, v66, v66
	s_delay_alu instid0(VALU_DEP_1) | instskip(SKIP_2) | instid1(VALU_DEP_3)
	v_fmaak_f32 v145, s2, v144, 0x3ecc95a3
	v_mul_f32_e32 v146, v66, v144
	v_cmp_gt_f32_e64 s2, 0x33800000, |v21|
	v_fmaak_f32 v144, v144, v145, 0x3f2aaada
	v_ldexp_f32 v145, v66, 1
	v_sub_f32_e32 v66, v66, v135
	s_delay_alu instid0(VALU_DEP_4) | instskip(NEXT) | instid1(VALU_DEP_3)
	s_or_b32 vcc_lo, vcc_lo, s2
	v_mul_f32_e32 v144, v146, v144
	v_mul_f32_e32 v146, 0x3f317218, v54
	s_delay_alu instid0(VALU_DEP_3) | instskip(NEXT) | instid1(VALU_DEP_3)
	v_sub_f32_e32 v55, v55, v66
	v_add_f32_e32 v135, v145, v144
	s_delay_alu instid0(VALU_DEP_2) | instskip(NEXT) | instid1(VALU_DEP_2)
	v_ldexp_f32 v55, v55, 1
	v_sub_f32_e32 v66, v135, v145
	v_fma_f32 v145, 0x3f317218, v54, -v146
	s_delay_alu instid0(VALU_DEP_2) | instskip(NEXT) | instid1(VALU_DEP_1)
	v_sub_f32_e32 v66, v144, v66
	v_dual_fmamk_f32 v54, v54, 0xb102e308, v145 :: v_dual_add_f32 v55, v55, v66
	s_delay_alu instid0(VALU_DEP_1) | instskip(NEXT) | instid1(VALU_DEP_2)
	v_add_f32_e32 v66, v146, v54
	v_add_f32_e32 v144, v135, v55
	s_delay_alu instid0(VALU_DEP_2) | instskip(NEXT) | instid1(VALU_DEP_2)
	v_sub_f32_e32 v146, v66, v146
	v_add_f32_e32 v145, v66, v144
	s_delay_alu instid0(VALU_DEP_2) | instskip(NEXT) | instid1(VALU_DEP_2)
	v_sub_f32_e32 v54, v54, v146
	v_sub_f32_e32 v147, v145, v66
	;; [unrolled: 1-line block ×3, first 2 shown]
	s_delay_alu instid0(VALU_DEP_2) | instskip(NEXT) | instid1(VALU_DEP_2)
	v_sub_f32_e32 v148, v145, v147
	v_sub_f32_e32 v55, v55, v135
	s_delay_alu instid0(VALU_DEP_2) | instskip(NEXT) | instid1(VALU_DEP_2)
	v_dual_sub_f32 v135, v144, v147 :: v_dual_sub_f32 v66, v66, v148
	v_add_f32_e32 v144, v54, v55
	s_delay_alu instid0(VALU_DEP_2) | instskip(NEXT) | instid1(VALU_DEP_2)
	v_add_f32_e32 v66, v135, v66
	v_sub_f32_e32 v135, v144, v54
	s_delay_alu instid0(VALU_DEP_2) | instskip(NEXT) | instid1(VALU_DEP_2)
	v_add_f32_e32 v66, v144, v66
	v_sub_f32_e32 v144, v144, v135
	s_delay_alu instid0(VALU_DEP_2) | instskip(NEXT) | instid1(VALU_DEP_2)
	v_add_f32_e32 v146, v145, v66
	v_dual_sub_f32 v54, v54, v144 :: v_dual_sub_f32 v55, v55, v135
	s_delay_alu instid0(VALU_DEP_1) | instskip(NEXT) | instid1(VALU_DEP_1)
	v_dual_sub_f32 v135, v146, v145 :: v_dual_add_f32 v54, v55, v54
	v_sub_f32_e32 v55, v66, v135
	s_delay_alu instid0(VALU_DEP_1) | instskip(NEXT) | instid1(VALU_DEP_1)
	v_add_f32_e32 v54, v54, v55
	v_add_f32_e32 v54, v146, v54
	s_delay_alu instid0(VALU_DEP_1) | instskip(NEXT) | instid1(VALU_DEP_1)
	v_cndmask_b32_e32 v21, v54, v21, vcc_lo
	v_add_f32_e32 v21, v20, v21
.LBB453_194:
	s_or_b32 exec_lo, exec_lo, s1
	s_delay_alu instid0(VALU_DEP_1) | instskip(SKIP_1) | instid1(VALU_DEP_2)
	v_bfe_u32 v20, v21, 16, 1
	v_cmp_o_f32_e32 vcc_lo, v21, v21
	v_add3_u32 v20, v21, v20, 0x7fff
	s_delay_alu instid0(VALU_DEP_1) | instskip(NEXT) | instid1(VALU_DEP_1)
	v_lshrrev_b32_e32 v20, 16, v20
	v_cndmask_b32_e32 v20, 0x7fc0, v20, vcc_lo
	s_delay_alu instid0(VALU_DEP_1) | instskip(NEXT) | instid1(VALU_DEP_1)
	v_lshlrev_b32_e32 v54, 16, v20
	v_max_f32_e32 v21, v54, v54
	v_cmp_u_f32_e32 vcc_lo, v54, v54
	s_delay_alu instid0(VALU_DEP_2) | instskip(SKIP_1) | instid1(VALU_DEP_2)
	v_min_f32_e32 v55, v21, v68
	v_max_f32_e32 v21, v21, v68
	v_cndmask_b32_e32 v55, v55, v54, vcc_lo
	s_delay_alu instid0(VALU_DEP_2) | instskip(NEXT) | instid1(VALU_DEP_2)
	v_cndmask_b32_e32 v21, v21, v54, vcc_lo
	v_cndmask_b32_e64 v55, v55, v64, s3
	s_delay_alu instid0(VALU_DEP_2) | instskip(NEXT) | instid1(VALU_DEP_2)
	v_cndmask_b32_e64 v21, v21, v64, s3
	v_cmp_class_f32_e64 s1, v55, 0x1f8
	s_delay_alu instid0(VALU_DEP_2) | instskip(NEXT) | instid1(VALU_DEP_2)
	v_cmp_neq_f32_e32 vcc_lo, v55, v21
	s_or_b32 s2, vcc_lo, s1
	s_delay_alu instid0(SALU_CYCLE_1)
	s_and_saveexec_b32 s1, s2
	s_cbranch_execz .LBB453_196
; %bb.195:
	v_sub_f32_e32 v54, v55, v21
	s_mov_b32 s2, 0x3e9b6dac
	s_delay_alu instid0(VALU_DEP_1) | instskip(SKIP_1) | instid1(VALU_DEP_2)
	v_mul_f32_e32 v55, 0x3fb8aa3b, v54
	v_cmp_ngt_f32_e32 vcc_lo, 0xc2ce8ed0, v54
	v_fma_f32 v64, 0x3fb8aa3b, v54, -v55
	v_rndne_f32_e32 v66, v55
	s_delay_alu instid0(VALU_DEP_1) | instskip(NEXT) | instid1(VALU_DEP_1)
	v_dual_fmamk_f32 v64, v54, 0x32a5705f, v64 :: v_dual_sub_f32 v55, v55, v66
	v_add_f32_e32 v55, v55, v64
	v_cvt_i32_f32_e32 v64, v66
	s_delay_alu instid0(VALU_DEP_2) | instskip(SKIP_2) | instid1(VALU_DEP_1)
	v_exp_f32_e32 v55, v55
	s_waitcnt_depctr 0xfff
	v_ldexp_f32 v55, v55, v64
	v_cndmask_b32_e32 v55, 0, v55, vcc_lo
	v_cmp_nlt_f32_e32 vcc_lo, 0x42b17218, v54
	s_delay_alu instid0(VALU_DEP_2) | instskip(NEXT) | instid1(VALU_DEP_1)
	v_cndmask_b32_e32 v64, 0x7f800000, v55, vcc_lo
	v_add_f32_e32 v66, 1.0, v64
	s_delay_alu instid0(VALU_DEP_1) | instskip(NEXT) | instid1(VALU_DEP_1)
	v_cvt_f64_f32_e32 v[54:55], v66
	v_frexp_exp_i32_f64_e32 v54, v[54:55]
	v_frexp_mant_f32_e32 v55, v66
	s_delay_alu instid0(VALU_DEP_1) | instskip(SKIP_1) | instid1(VALU_DEP_1)
	v_cmp_gt_f32_e32 vcc_lo, 0x3f2aaaab, v55
	v_add_f32_e32 v55, -1.0, v66
	v_sub_f32_e32 v135, v55, v66
	v_subrev_co_ci_u32_e32 v54, vcc_lo, 0, v54, vcc_lo
	v_cmp_eq_f32_e32 vcc_lo, 0x7f800000, v64
	s_delay_alu instid0(VALU_DEP_2) | instskip(SKIP_1) | instid1(VALU_DEP_2)
	v_sub_nc_u32_e32 v68, 0, v54
	v_cvt_f32_i32_e32 v54, v54
	v_ldexp_f32 v66, v66, v68
	s_delay_alu instid0(VALU_DEP_1) | instskip(SKIP_1) | instid1(VALU_DEP_1)
	v_dual_sub_f32 v55, v64, v55 :: v_dual_add_f32 v144, 1.0, v66
	v_add_f32_e32 v135, 1.0, v135
	v_add_f32_e32 v55, v55, v135
	s_delay_alu instid0(VALU_DEP_1) | instskip(NEXT) | instid1(VALU_DEP_4)
	v_ldexp_f32 v55, v55, v68
	v_dual_add_f32 v68, -1.0, v66 :: v_dual_add_f32 v135, -1.0, v144
	s_delay_alu instid0(VALU_DEP_1) | instskip(NEXT) | instid1(VALU_DEP_2)
	v_add_f32_e32 v145, 1.0, v68
	v_sub_f32_e32 v135, v66, v135
	s_delay_alu instid0(VALU_DEP_1) | instskip(NEXT) | instid1(VALU_DEP_1)
	v_dual_sub_f32 v66, v66, v145 :: v_dual_add_f32 v135, v55, v135
	v_add_f32_e32 v145, v144, v135
	s_delay_alu instid0(VALU_DEP_2) | instskip(NEXT) | instid1(VALU_DEP_2)
	v_add_f32_e32 v55, v55, v66
	v_rcp_f32_e32 v66, v145
	s_delay_alu instid0(VALU_DEP_1) | instskip(SKIP_1) | instid1(VALU_DEP_1)
	v_add_f32_e32 v146, v68, v55
	v_sub_f32_e32 v144, v144, v145
	v_dual_sub_f32 v68, v68, v146 :: v_dual_add_f32 v135, v135, v144
	s_waitcnt_depctr 0xfff
	v_mul_f32_e32 v147, v146, v66
	s_delay_alu instid0(VALU_DEP_1) | instskip(NEXT) | instid1(VALU_DEP_1)
	v_dual_mul_f32 v148, v145, v147 :: v_dual_add_f32 v55, v55, v68
	v_fma_f32 v144, v147, v145, -v148
	s_delay_alu instid0(VALU_DEP_1) | instskip(NEXT) | instid1(VALU_DEP_1)
	v_fmac_f32_e32 v144, v147, v135
	v_add_f32_e32 v149, v148, v144
	s_delay_alu instid0(VALU_DEP_1) | instskip(SKIP_1) | instid1(VALU_DEP_2)
	v_sub_f32_e32 v150, v146, v149
	v_sub_f32_e32 v68, v149, v148
	;; [unrolled: 1-line block ×3, first 2 shown]
	s_delay_alu instid0(VALU_DEP_2) | instskip(NEXT) | instid1(VALU_DEP_2)
	v_sub_f32_e32 v68, v68, v144
	v_sub_f32_e32 v146, v146, v149
	s_delay_alu instid0(VALU_DEP_1) | instskip(NEXT) | instid1(VALU_DEP_1)
	v_add_f32_e32 v55, v55, v146
	v_add_f32_e32 v55, v68, v55
	s_delay_alu instid0(VALU_DEP_1) | instskip(NEXT) | instid1(VALU_DEP_1)
	v_add_f32_e32 v68, v150, v55
	v_mul_f32_e32 v144, v66, v68
	s_delay_alu instid0(VALU_DEP_1) | instskip(NEXT) | instid1(VALU_DEP_1)
	v_mul_f32_e32 v146, v145, v144
	v_fma_f32 v145, v144, v145, -v146
	s_delay_alu instid0(VALU_DEP_1) | instskip(NEXT) | instid1(VALU_DEP_1)
	v_fmac_f32_e32 v145, v144, v135
	v_add_f32_e32 v135, v146, v145
	s_delay_alu instid0(VALU_DEP_1) | instskip(NEXT) | instid1(VALU_DEP_1)
	v_dual_sub_f32 v149, v150, v68 :: v_dual_sub_f32 v148, v68, v135
	v_sub_f32_e32 v68, v68, v148
	v_sub_f32_e32 v146, v135, v146
	s_delay_alu instid0(VALU_DEP_2) | instskip(NEXT) | instid1(VALU_DEP_2)
	v_dual_sub_f32 v68, v68, v135 :: v_dual_add_f32 v55, v55, v149
	v_sub_f32_e32 v135, v146, v145
	s_delay_alu instid0(VALU_DEP_2) | instskip(SKIP_1) | instid1(VALU_DEP_2)
	v_add_f32_e32 v55, v55, v68
	v_add_f32_e32 v68, v147, v144
	;; [unrolled: 1-line block ×3, first 2 shown]
	s_delay_alu instid0(VALU_DEP_2) | instskip(NEXT) | instid1(VALU_DEP_2)
	v_sub_f32_e32 v135, v68, v147
	v_add_f32_e32 v55, v148, v55
	s_delay_alu instid0(VALU_DEP_2) | instskip(NEXT) | instid1(VALU_DEP_2)
	v_sub_f32_e32 v135, v144, v135
	v_mul_f32_e32 v55, v66, v55
	s_delay_alu instid0(VALU_DEP_1) | instskip(NEXT) | instid1(VALU_DEP_1)
	v_add_f32_e32 v55, v135, v55
	v_add_f32_e32 v66, v68, v55
	s_delay_alu instid0(VALU_DEP_1) | instskip(NEXT) | instid1(VALU_DEP_1)
	v_mul_f32_e32 v135, v66, v66
	v_fmaak_f32 v144, s2, v135, 0x3ecc95a3
	v_mul_f32_e32 v145, v66, v135
	v_cmp_gt_f32_e64 s2, 0x33800000, |v64|
	s_delay_alu instid0(VALU_DEP_3) | instskip(SKIP_2) | instid1(VALU_DEP_4)
	v_fmaak_f32 v135, v135, v144, 0x3f2aaada
	v_ldexp_f32 v144, v66, 1
	v_sub_f32_e32 v66, v66, v68
	s_or_b32 vcc_lo, vcc_lo, s2
	s_delay_alu instid0(VALU_DEP_3) | instskip(NEXT) | instid1(VALU_DEP_1)
	v_mul_f32_e32 v135, v145, v135
	v_dual_sub_f32 v55, v55, v66 :: v_dual_add_f32 v68, v144, v135
	s_delay_alu instid0(VALU_DEP_1) | instskip(NEXT) | instid1(VALU_DEP_2)
	v_ldexp_f32 v55, v55, 1
	v_sub_f32_e32 v66, v68, v144
	s_delay_alu instid0(VALU_DEP_1) | instskip(NEXT) | instid1(VALU_DEP_1)
	v_sub_f32_e32 v66, v135, v66
	v_add_f32_e32 v55, v55, v66
	s_delay_alu instid0(VALU_DEP_1) | instskip(NEXT) | instid1(VALU_DEP_1)
	v_add_f32_e32 v135, v68, v55
	v_dual_mul_f32 v145, 0x3f317218, v54 :: v_dual_sub_f32 v68, v135, v68
	s_delay_alu instid0(VALU_DEP_1) | instskip(NEXT) | instid1(VALU_DEP_1)
	v_fma_f32 v144, 0x3f317218, v54, -v145
	v_fmamk_f32 v54, v54, 0xb102e308, v144
	s_delay_alu instid0(VALU_DEP_1) | instskip(NEXT) | instid1(VALU_DEP_1)
	v_add_f32_e32 v66, v145, v54
	v_add_f32_e32 v144, v66, v135
	s_delay_alu instid0(VALU_DEP_1) | instskip(NEXT) | instid1(VALU_DEP_1)
	v_dual_sub_f32 v146, v144, v66 :: v_dual_sub_f32 v145, v66, v145
	v_sub_f32_e32 v147, v144, v146
	s_delay_alu instid0(VALU_DEP_1) | instskip(SKIP_1) | instid1(VALU_DEP_4)
	v_dual_sub_f32 v66, v66, v147 :: v_dual_sub_f32 v55, v55, v68
	v_sub_f32_e32 v68, v135, v146
	v_sub_f32_e32 v54, v54, v145
	s_delay_alu instid0(VALU_DEP_1) | instskip(NEXT) | instid1(VALU_DEP_1)
	v_dual_add_f32 v66, v68, v66 :: v_dual_add_f32 v135, v54, v55
	v_sub_f32_e32 v68, v135, v54
	s_delay_alu instid0(VALU_DEP_2) | instskip(NEXT) | instid1(VALU_DEP_2)
	v_add_f32_e32 v66, v135, v66
	v_sub_f32_e32 v135, v135, v68
	s_delay_alu instid0(VALU_DEP_2) | instskip(NEXT) | instid1(VALU_DEP_2)
	v_add_f32_e32 v145, v144, v66
	v_dual_sub_f32 v55, v55, v68 :: v_dual_sub_f32 v54, v54, v135
	s_delay_alu instid0(VALU_DEP_2) | instskip(NEXT) | instid1(VALU_DEP_1)
	v_sub_f32_e32 v68, v145, v144
	v_dual_add_f32 v54, v55, v54 :: v_dual_sub_f32 v55, v66, v68
	s_delay_alu instid0(VALU_DEP_1) | instskip(NEXT) | instid1(VALU_DEP_1)
	v_add_f32_e32 v54, v54, v55
	v_add_f32_e32 v54, v145, v54
	s_delay_alu instid0(VALU_DEP_1) | instskip(NEXT) | instid1(VALU_DEP_1)
	v_cndmask_b32_e32 v54, v54, v64, vcc_lo
	v_add_f32_e32 v54, v21, v54
.LBB453_196:
	s_or_b32 exec_lo, exec_lo, s1
	s_delay_alu instid0(VALU_DEP_1) | instskip(SKIP_1) | instid1(VALU_DEP_2)
	v_bfe_u32 v21, v54, 16, 1
	v_cmp_o_f32_e32 vcc_lo, v54, v54
	v_add3_u32 v21, v54, v21, 0x7fff
	s_delay_alu instid0(VALU_DEP_1) | instskip(NEXT) | instid1(VALU_DEP_1)
	v_lshrrev_b32_e32 v21, 16, v21
	v_cndmask_b32_e32 v21, 0x7fc0, v21, vcc_lo
	s_delay_alu instid0(VALU_DEP_1) | instskip(NEXT) | instid1(VALU_DEP_1)
	v_lshlrev_b32_e32 v55, 16, v21
	v_max_f32_e32 v54, v55, v55
	s_delay_alu instid0(VALU_DEP_1) | instskip(SKIP_2) | instid1(VALU_DEP_3)
	v_min_f32_e32 v64, v54, v70
	v_max_f32_e32 v54, v54, v70
	v_cmp_u_f32_e32 vcc_lo, v55, v55
	v_cndmask_b32_e32 v64, v64, v55, vcc_lo
	s_delay_alu instid0(VALU_DEP_3) | instskip(NEXT) | instid1(VALU_DEP_2)
	v_cndmask_b32_e32 v54, v54, v55, vcc_lo
	v_cndmask_b32_e64 v64, v64, v65, s4
	s_delay_alu instid0(VALU_DEP_2) | instskip(NEXT) | instid1(VALU_DEP_2)
	v_cndmask_b32_e64 v54, v54, v65, s4
	v_cmp_class_f32_e64 s1, v64, 0x1f8
	s_delay_alu instid0(VALU_DEP_2) | instskip(NEXT) | instid1(VALU_DEP_2)
	v_cmp_neq_f32_e32 vcc_lo, v64, v54
	s_or_b32 s2, vcc_lo, s1
	s_delay_alu instid0(SALU_CYCLE_1)
	s_and_saveexec_b32 s1, s2
	s_cbranch_execz .LBB453_198
; %bb.197:
	v_sub_f32_e32 v55, v64, v54
	s_mov_b32 s2, 0x3e9b6dac
	s_delay_alu instid0(VALU_DEP_1) | instskip(SKIP_1) | instid1(VALU_DEP_2)
	v_mul_f32_e32 v64, 0x3fb8aa3b, v55
	v_cmp_ngt_f32_e32 vcc_lo, 0xc2ce8ed0, v55
	v_fma_f32 v65, 0x3fb8aa3b, v55, -v64
	v_rndne_f32_e32 v66, v64
	s_delay_alu instid0(VALU_DEP_1) | instskip(NEXT) | instid1(VALU_DEP_1)
	v_dual_fmamk_f32 v65, v55, 0x32a5705f, v65 :: v_dual_sub_f32 v64, v64, v66
	v_add_f32_e32 v64, v64, v65
	v_cvt_i32_f32_e32 v65, v66
	s_delay_alu instid0(VALU_DEP_2) | instskip(SKIP_2) | instid1(VALU_DEP_1)
	v_exp_f32_e32 v64, v64
	s_waitcnt_depctr 0xfff
	v_ldexp_f32 v64, v64, v65
	v_cndmask_b32_e32 v64, 0, v64, vcc_lo
	v_cmp_nlt_f32_e32 vcc_lo, 0x42b17218, v55
	s_delay_alu instid0(VALU_DEP_2) | instskip(NEXT) | instid1(VALU_DEP_1)
	v_cndmask_b32_e32 v55, 0x7f800000, v64, vcc_lo
	v_add_f32_e32 v66, 1.0, v55
	s_delay_alu instid0(VALU_DEP_1) | instskip(NEXT) | instid1(VALU_DEP_1)
	v_cvt_f64_f32_e32 v[64:65], v66
	v_frexp_exp_i32_f64_e32 v64, v[64:65]
	v_frexp_mant_f32_e32 v65, v66
	s_delay_alu instid0(VALU_DEP_1) | instskip(SKIP_1) | instid1(VALU_DEP_1)
	v_cmp_gt_f32_e32 vcc_lo, 0x3f2aaaab, v65
	v_add_f32_e32 v65, -1.0, v66
	v_dual_sub_f32 v70, v65, v66 :: v_dual_sub_f32 v65, v55, v65
	s_delay_alu instid0(VALU_DEP_1) | instskip(SKIP_2) | instid1(VALU_DEP_2)
	v_add_f32_e32 v70, 1.0, v70
	v_subrev_co_ci_u32_e32 v64, vcc_lo, 0, v64, vcc_lo
	v_cmp_eq_f32_e32 vcc_lo, 0x7f800000, v55
	v_sub_nc_u32_e32 v68, 0, v64
	v_cvt_f32_i32_e32 v64, v64
	s_delay_alu instid0(VALU_DEP_2) | instskip(NEXT) | instid1(VALU_DEP_1)
	v_ldexp_f32 v66, v66, v68
	v_add_f32_e32 v135, 1.0, v66
	s_delay_alu instid0(VALU_DEP_1) | instskip(NEXT) | instid1(VALU_DEP_1)
	v_dual_add_f32 v65, v65, v70 :: v_dual_add_f32 v70, -1.0, v135
	v_ldexp_f32 v65, v65, v68
	v_add_f32_e32 v68, -1.0, v66
	s_delay_alu instid0(VALU_DEP_3) | instskip(NEXT) | instid1(VALU_DEP_2)
	v_sub_f32_e32 v70, v66, v70
	v_add_f32_e32 v144, 1.0, v68
	s_delay_alu instid0(VALU_DEP_2) | instskip(NEXT) | instid1(VALU_DEP_2)
	v_add_f32_e32 v70, v65, v70
	v_sub_f32_e32 v66, v66, v144
	s_delay_alu instid0(VALU_DEP_2) | instskip(NEXT) | instid1(VALU_DEP_2)
	v_add_f32_e32 v144, v135, v70
	v_add_f32_e32 v65, v65, v66
	s_delay_alu instid0(VALU_DEP_2) | instskip(SKIP_1) | instid1(VALU_DEP_2)
	v_rcp_f32_e32 v66, v144
	v_sub_f32_e32 v135, v135, v144
	v_add_f32_e32 v145, v68, v65
	s_delay_alu instid0(VALU_DEP_1) | instskip(NEXT) | instid1(VALU_DEP_3)
	v_sub_f32_e32 v68, v68, v145
	v_add_f32_e32 v70, v70, v135
	s_waitcnt_depctr 0xfff
	v_mul_f32_e32 v146, v145, v66
	v_add_f32_e32 v65, v65, v68
	s_delay_alu instid0(VALU_DEP_2) | instskip(NEXT) | instid1(VALU_DEP_1)
	v_mul_f32_e32 v147, v144, v146
	v_fma_f32 v135, v146, v144, -v147
	s_delay_alu instid0(VALU_DEP_1) | instskip(NEXT) | instid1(VALU_DEP_1)
	v_fmac_f32_e32 v135, v146, v70
	v_add_f32_e32 v148, v147, v135
	s_delay_alu instid0(VALU_DEP_1) | instskip(NEXT) | instid1(VALU_DEP_1)
	v_sub_f32_e32 v149, v145, v148
	v_sub_f32_e32 v145, v145, v149
	s_delay_alu instid0(VALU_DEP_1) | instskip(NEXT) | instid1(VALU_DEP_1)
	v_sub_f32_e32 v145, v145, v148
	v_dual_add_f32 v65, v65, v145 :: v_dual_sub_f32 v68, v148, v147
	s_delay_alu instid0(VALU_DEP_1) | instskip(NEXT) | instid1(VALU_DEP_1)
	v_sub_f32_e32 v68, v68, v135
	v_add_f32_e32 v65, v68, v65
	s_delay_alu instid0(VALU_DEP_1) | instskip(NEXT) | instid1(VALU_DEP_1)
	v_add_f32_e32 v68, v149, v65
	v_mul_f32_e32 v135, v66, v68
	s_delay_alu instid0(VALU_DEP_1) | instskip(NEXT) | instid1(VALU_DEP_1)
	v_dual_mul_f32 v145, v144, v135 :: v_dual_sub_f32 v148, v149, v68
	v_fma_f32 v144, v135, v144, -v145
	s_delay_alu instid0(VALU_DEP_1) | instskip(NEXT) | instid1(VALU_DEP_1)
	v_dual_add_f32 v65, v65, v148 :: v_dual_fmac_f32 v144, v135, v70
	v_add_f32_e32 v70, v145, v144
	s_delay_alu instid0(VALU_DEP_1) | instskip(NEXT) | instid1(VALU_DEP_1)
	v_sub_f32_e32 v147, v68, v70
	v_dual_sub_f32 v145, v70, v145 :: v_dual_sub_f32 v68, v68, v147
	s_delay_alu instid0(VALU_DEP_1) | instskip(NEXT) | instid1(VALU_DEP_2)
	v_sub_f32_e32 v68, v68, v70
	v_sub_f32_e32 v70, v145, v144
	s_delay_alu instid0(VALU_DEP_2) | instskip(NEXT) | instid1(VALU_DEP_1)
	v_dual_add_f32 v65, v65, v68 :: v_dual_add_f32 v68, v146, v135
	v_dual_add_f32 v65, v70, v65 :: v_dual_sub_f32 v70, v68, v146
	s_delay_alu instid0(VALU_DEP_1) | instskip(NEXT) | instid1(VALU_DEP_1)
	v_add_f32_e32 v65, v147, v65
	v_dual_sub_f32 v70, v135, v70 :: v_dual_mul_f32 v65, v66, v65
	s_delay_alu instid0(VALU_DEP_1) | instskip(NEXT) | instid1(VALU_DEP_1)
	v_add_f32_e32 v65, v70, v65
	v_add_f32_e32 v66, v68, v65
	s_delay_alu instid0(VALU_DEP_1) | instskip(NEXT) | instid1(VALU_DEP_1)
	v_mul_f32_e32 v70, v66, v66
	v_fmaak_f32 v135, s2, v70, 0x3ecc95a3
	v_mul_f32_e32 v144, v66, v70
	v_cmp_gt_f32_e64 s2, 0x33800000, |v55|
	s_delay_alu instid0(VALU_DEP_3) | instskip(SKIP_2) | instid1(VALU_DEP_4)
	v_fmaak_f32 v70, v70, v135, 0x3f2aaada
	v_ldexp_f32 v135, v66, 1
	v_sub_f32_e32 v66, v66, v68
	s_or_b32 vcc_lo, vcc_lo, s2
	s_delay_alu instid0(VALU_DEP_3) | instskip(NEXT) | instid1(VALU_DEP_2)
	v_mul_f32_e32 v70, v144, v70
	v_sub_f32_e32 v65, v65, v66
	s_delay_alu instid0(VALU_DEP_2) | instskip(NEXT) | instid1(VALU_DEP_2)
	v_add_f32_e32 v68, v135, v70
	v_ldexp_f32 v65, v65, 1
	s_delay_alu instid0(VALU_DEP_2) | instskip(NEXT) | instid1(VALU_DEP_1)
	v_sub_f32_e32 v66, v68, v135
	v_sub_f32_e32 v66, v70, v66
	s_delay_alu instid0(VALU_DEP_1) | instskip(NEXT) | instid1(VALU_DEP_1)
	v_dual_mul_f32 v144, 0x3f317218, v64 :: v_dual_add_f32 v65, v65, v66
	v_fma_f32 v135, 0x3f317218, v64, -v144
	s_delay_alu instid0(VALU_DEP_2) | instskip(NEXT) | instid1(VALU_DEP_2)
	v_add_f32_e32 v70, v68, v65
	v_fmamk_f32 v64, v64, 0xb102e308, v135
	s_delay_alu instid0(VALU_DEP_2) | instskip(NEXT) | instid1(VALU_DEP_2)
	v_sub_f32_e32 v68, v70, v68
	v_add_f32_e32 v66, v144, v64
	s_delay_alu instid0(VALU_DEP_2) | instskip(NEXT) | instid1(VALU_DEP_2)
	v_sub_f32_e32 v65, v65, v68
	v_add_f32_e32 v135, v66, v70
	s_delay_alu instid0(VALU_DEP_1) | instskip(NEXT) | instid1(VALU_DEP_1)
	v_dual_sub_f32 v144, v66, v144 :: v_dual_sub_f32 v145, v135, v66
	v_sub_f32_e32 v64, v64, v144
	s_delay_alu instid0(VALU_DEP_2) | instskip(SKIP_1) | instid1(VALU_DEP_3)
	v_sub_f32_e32 v146, v135, v145
	v_sub_f32_e32 v68, v70, v145
	v_add_f32_e32 v70, v64, v65
	s_delay_alu instid0(VALU_DEP_3) | instskip(NEXT) | instid1(VALU_DEP_1)
	v_sub_f32_e32 v66, v66, v146
	v_add_f32_e32 v66, v68, v66
	s_delay_alu instid0(VALU_DEP_3) | instskip(NEXT) | instid1(VALU_DEP_2)
	v_sub_f32_e32 v68, v70, v64
	v_add_f32_e32 v66, v70, v66
	s_delay_alu instid0(VALU_DEP_2) | instskip(NEXT) | instid1(VALU_DEP_2)
	v_sub_f32_e32 v70, v70, v68
	v_dual_sub_f32 v65, v65, v68 :: v_dual_add_f32 v144, v135, v66
	s_delay_alu instid0(VALU_DEP_2) | instskip(NEXT) | instid1(VALU_DEP_2)
	v_sub_f32_e32 v64, v64, v70
	v_sub_f32_e32 v68, v144, v135
	s_delay_alu instid0(VALU_DEP_2) | instskip(NEXT) | instid1(VALU_DEP_2)
	v_add_f32_e32 v64, v65, v64
	v_sub_f32_e32 v65, v66, v68
	s_delay_alu instid0(VALU_DEP_1) | instskip(NEXT) | instid1(VALU_DEP_1)
	v_add_f32_e32 v64, v64, v65
	v_add_f32_e32 v64, v144, v64
	s_delay_alu instid0(VALU_DEP_1) | instskip(NEXT) | instid1(VALU_DEP_1)
	v_cndmask_b32_e32 v55, v64, v55, vcc_lo
	v_add_f32_e32 v55, v54, v55
.LBB453_198:
	s_or_b32 exec_lo, exec_lo, s1
	s_delay_alu instid0(VALU_DEP_1) | instskip(SKIP_1) | instid1(VALU_DEP_2)
	v_bfe_u32 v54, v55, 16, 1
	v_cmp_o_f32_e32 vcc_lo, v55, v55
	v_add3_u32 v54, v55, v54, 0x7fff
	s_delay_alu instid0(VALU_DEP_1) | instskip(NEXT) | instid1(VALU_DEP_1)
	v_lshrrev_b32_e32 v54, 16, v54
	v_cndmask_b32_e32 v54, 0x7fc0, v54, vcc_lo
	s_delay_alu instid0(VALU_DEP_1) | instskip(NEXT) | instid1(VALU_DEP_1)
	v_lshlrev_b32_e32 v64, 16, v54
	v_max_f32_e32 v55, v64, v64
	s_delay_alu instid0(VALU_DEP_1) | instskip(SKIP_2) | instid1(VALU_DEP_3)
	v_min_f32_e32 v65, v55, v80
	v_max_f32_e32 v55, v55, v80
	v_cmp_u_f32_e32 vcc_lo, v64, v64
	v_cndmask_b32_e32 v65, v65, v64, vcc_lo
	s_delay_alu instid0(VALU_DEP_3) | instskip(NEXT) | instid1(VALU_DEP_2)
	v_cndmask_b32_e32 v55, v55, v64, vcc_lo
	v_cndmask_b32_e64 v65, v65, v67, s5
	s_delay_alu instid0(VALU_DEP_2) | instskip(NEXT) | instid1(VALU_DEP_2)
	v_cndmask_b32_e64 v55, v55, v67, s5
	v_cmp_class_f32_e64 s1, v65, 0x1f8
	s_delay_alu instid0(VALU_DEP_2) | instskip(NEXT) | instid1(VALU_DEP_2)
	v_cmp_neq_f32_e32 vcc_lo, v65, v55
	s_or_b32 s2, vcc_lo, s1
	s_delay_alu instid0(SALU_CYCLE_1)
	s_and_saveexec_b32 s1, s2
	s_cbranch_execz .LBB453_200
; %bb.199:
	v_sub_f32_e32 v64, v65, v55
	s_mov_b32 s2, 0x3e9b6dac
	s_delay_alu instid0(VALU_DEP_1) | instskip(SKIP_1) | instid1(VALU_DEP_2)
	v_mul_f32_e32 v65, 0x3fb8aa3b, v64
	v_cmp_ngt_f32_e32 vcc_lo, 0xc2ce8ed0, v64
	v_fma_f32 v66, 0x3fb8aa3b, v64, -v65
	v_rndne_f32_e32 v67, v65
	s_delay_alu instid0(VALU_DEP_1) | instskip(NEXT) | instid1(VALU_DEP_1)
	v_dual_fmamk_f32 v66, v64, 0x32a5705f, v66 :: v_dual_sub_f32 v65, v65, v67
	v_add_f32_e32 v65, v65, v66
	v_cvt_i32_f32_e32 v66, v67
	s_delay_alu instid0(VALU_DEP_2) | instskip(SKIP_2) | instid1(VALU_DEP_1)
	v_exp_f32_e32 v65, v65
	s_waitcnt_depctr 0xfff
	v_ldexp_f32 v65, v65, v66
	v_cndmask_b32_e32 v65, 0, v65, vcc_lo
	v_cmp_nlt_f32_e32 vcc_lo, 0x42b17218, v64
	s_delay_alu instid0(VALU_DEP_2) | instskip(NEXT) | instid1(VALU_DEP_1)
	v_cndmask_b32_e32 v66, 0x7f800000, v65, vcc_lo
	v_add_f32_e32 v67, 1.0, v66
	s_delay_alu instid0(VALU_DEP_1) | instskip(NEXT) | instid1(VALU_DEP_1)
	v_cvt_f64_f32_e32 v[64:65], v67
	v_frexp_exp_i32_f64_e32 v64, v[64:65]
	v_frexp_mant_f32_e32 v65, v67
	s_delay_alu instid0(VALU_DEP_1) | instskip(SKIP_1) | instid1(VALU_DEP_1)
	v_cmp_gt_f32_e32 vcc_lo, 0x3f2aaaab, v65
	v_add_f32_e32 v65, -1.0, v67
	v_dual_sub_f32 v70, v65, v67 :: v_dual_sub_f32 v65, v66, v65
	s_delay_alu instid0(VALU_DEP_1) | instskip(SKIP_2) | instid1(VALU_DEP_2)
	v_add_f32_e32 v70, 1.0, v70
	v_subrev_co_ci_u32_e32 v64, vcc_lo, 0, v64, vcc_lo
	v_cmp_eq_f32_e32 vcc_lo, 0x7f800000, v66
	v_sub_nc_u32_e32 v68, 0, v64
	v_cvt_f32_i32_e32 v64, v64
	s_delay_alu instid0(VALU_DEP_2) | instskip(NEXT) | instid1(VALU_DEP_1)
	v_ldexp_f32 v67, v67, v68
	v_dual_add_f32 v65, v65, v70 :: v_dual_add_f32 v80, 1.0, v67
	s_delay_alu instid0(VALU_DEP_1) | instskip(SKIP_1) | instid1(VALU_DEP_3)
	v_ldexp_f32 v65, v65, v68
	v_add_f32_e32 v68, -1.0, v67
	v_add_f32_e32 v70, -1.0, v80
	s_delay_alu instid0(VALU_DEP_1) | instskip(NEXT) | instid1(VALU_DEP_1)
	v_dual_add_f32 v135, 1.0, v68 :: v_dual_sub_f32 v70, v67, v70
	v_dual_sub_f32 v67, v67, v135 :: v_dual_add_f32 v70, v65, v70
	s_delay_alu instid0(VALU_DEP_1) | instskip(NEXT) | instid1(VALU_DEP_1)
	v_add_f32_e32 v135, v80, v70
	v_sub_f32_e32 v80, v80, v135
	s_delay_alu instid0(VALU_DEP_1) | instskip(SKIP_1) | instid1(VALU_DEP_1)
	v_dual_add_f32 v70, v70, v80 :: v_dual_add_f32 v65, v65, v67
	v_rcp_f32_e32 v67, v135
	v_add_f32_e32 v144, v68, v65
	s_waitcnt_depctr 0xfff
	v_mul_f32_e32 v145, v144, v67
	s_delay_alu instid0(VALU_DEP_1) | instskip(NEXT) | instid1(VALU_DEP_1)
	v_mul_f32_e32 v146, v135, v145
	v_fma_f32 v80, v145, v135, -v146
	s_delay_alu instid0(VALU_DEP_1) | instskip(NEXT) | instid1(VALU_DEP_1)
	v_fmac_f32_e32 v80, v145, v70
	v_add_f32_e32 v147, v146, v80
	v_sub_f32_e32 v68, v68, v144
	s_delay_alu instid0(VALU_DEP_1) | instskip(SKIP_1) | instid1(VALU_DEP_2)
	v_dual_add_f32 v65, v65, v68 :: v_dual_sub_f32 v148, v144, v147
	v_sub_f32_e32 v68, v147, v146
	v_sub_f32_e32 v144, v144, v148
	s_delay_alu instid0(VALU_DEP_2) | instskip(NEXT) | instid1(VALU_DEP_2)
	v_sub_f32_e32 v68, v68, v80
	v_sub_f32_e32 v144, v144, v147
	s_delay_alu instid0(VALU_DEP_1) | instskip(NEXT) | instid1(VALU_DEP_1)
	v_add_f32_e32 v65, v65, v144
	v_add_f32_e32 v65, v68, v65
	s_delay_alu instid0(VALU_DEP_1) | instskip(NEXT) | instid1(VALU_DEP_1)
	v_add_f32_e32 v68, v148, v65
	v_mul_f32_e32 v80, v67, v68
	v_sub_f32_e32 v147, v148, v68
	s_delay_alu instid0(VALU_DEP_1) | instskip(NEXT) | instid1(VALU_DEP_1)
	v_dual_mul_f32 v144, v135, v80 :: v_dual_add_f32 v65, v65, v147
	v_fma_f32 v135, v80, v135, -v144
	s_delay_alu instid0(VALU_DEP_1) | instskip(NEXT) | instid1(VALU_DEP_1)
	v_fmac_f32_e32 v135, v80, v70
	v_add_f32_e32 v70, v144, v135
	s_delay_alu instid0(VALU_DEP_1) | instskip(NEXT) | instid1(VALU_DEP_1)
	v_sub_f32_e32 v146, v68, v70
	v_sub_f32_e32 v68, v68, v146
	s_delay_alu instid0(VALU_DEP_1) | instskip(NEXT) | instid1(VALU_DEP_1)
	v_sub_f32_e32 v68, v68, v70
	v_add_f32_e32 v65, v65, v68
	v_add_f32_e32 v68, v145, v80
	v_sub_f32_e32 v144, v70, v144
	s_delay_alu instid0(VALU_DEP_1) | instskip(NEXT) | instid1(VALU_DEP_1)
	v_sub_f32_e32 v70, v144, v135
	v_add_f32_e32 v65, v70, v65
	s_delay_alu instid0(VALU_DEP_4) | instskip(NEXT) | instid1(VALU_DEP_1)
	v_sub_f32_e32 v70, v68, v145
	v_dual_add_f32 v65, v146, v65 :: v_dual_sub_f32 v70, v80, v70
	s_delay_alu instid0(VALU_DEP_1) | instskip(NEXT) | instid1(VALU_DEP_1)
	v_mul_f32_e32 v65, v67, v65
	v_add_f32_e32 v65, v70, v65
	s_delay_alu instid0(VALU_DEP_1) | instskip(NEXT) | instid1(VALU_DEP_1)
	v_add_f32_e32 v67, v68, v65
	v_mul_f32_e32 v70, v67, v67
	s_delay_alu instid0(VALU_DEP_1) | instskip(SKIP_2) | instid1(VALU_DEP_3)
	v_fmaak_f32 v80, s2, v70, 0x3ecc95a3
	v_mul_f32_e32 v135, v67, v70
	v_cmp_gt_f32_e64 s2, 0x33800000, |v66|
	v_fmaak_f32 v70, v70, v80, 0x3f2aaada
	v_ldexp_f32 v80, v67, 1
	v_sub_f32_e32 v67, v67, v68
	s_delay_alu instid0(VALU_DEP_4) | instskip(NEXT) | instid1(VALU_DEP_3)
	s_or_b32 vcc_lo, vcc_lo, s2
	v_dual_mul_f32 v70, v135, v70 :: v_dual_mul_f32 v135, 0x3f317218, v64
	s_delay_alu instid0(VALU_DEP_1) | instskip(NEXT) | instid1(VALU_DEP_1)
	v_dual_sub_f32 v65, v65, v67 :: v_dual_add_f32 v68, v80, v70
	v_ldexp_f32 v65, v65, 1
	s_delay_alu instid0(VALU_DEP_2) | instskip(NEXT) | instid1(VALU_DEP_4)
	v_sub_f32_e32 v67, v68, v80
	v_fma_f32 v80, 0x3f317218, v64, -v135
	s_delay_alu instid0(VALU_DEP_2) | instskip(NEXT) | instid1(VALU_DEP_1)
	v_sub_f32_e32 v67, v70, v67
	v_add_f32_e32 v65, v65, v67
	s_delay_alu instid0(VALU_DEP_1) | instskip(NEXT) | instid1(VALU_DEP_1)
	v_add_f32_e32 v70, v68, v65
	v_sub_f32_e32 v68, v70, v68
	s_delay_alu instid0(VALU_DEP_1) | instskip(NEXT) | instid1(VALU_DEP_1)
	v_dual_sub_f32 v65, v65, v68 :: v_dual_fmamk_f32 v64, v64, 0xb102e308, v80
	v_add_f32_e32 v67, v135, v64
	s_delay_alu instid0(VALU_DEP_1) | instskip(SKIP_1) | instid1(VALU_DEP_2)
	v_add_f32_e32 v80, v67, v70
	v_sub_f32_e32 v135, v67, v135
	v_sub_f32_e32 v144, v80, v67
	s_delay_alu instid0(VALU_DEP_2) | instskip(NEXT) | instid1(VALU_DEP_2)
	v_sub_f32_e32 v64, v64, v135
	v_sub_f32_e32 v145, v80, v144
	;; [unrolled: 1-line block ×3, first 2 shown]
	s_delay_alu instid0(VALU_DEP_3) | instskip(NEXT) | instid1(VALU_DEP_3)
	v_add_f32_e32 v70, v64, v65
	v_sub_f32_e32 v67, v67, v145
	s_delay_alu instid0(VALU_DEP_1) | instskip(NEXT) | instid1(VALU_DEP_1)
	v_dual_add_f32 v67, v68, v67 :: v_dual_sub_f32 v68, v70, v64
	v_add_f32_e32 v67, v70, v67
	s_delay_alu instid0(VALU_DEP_2) | instskip(SKIP_1) | instid1(VALU_DEP_3)
	v_sub_f32_e32 v70, v70, v68
	v_sub_f32_e32 v65, v65, v68
	v_add_f32_e32 v135, v80, v67
	s_delay_alu instid0(VALU_DEP_3) | instskip(NEXT) | instid1(VALU_DEP_2)
	v_sub_f32_e32 v64, v64, v70
	v_sub_f32_e32 v68, v135, v80
	s_delay_alu instid0(VALU_DEP_2) | instskip(NEXT) | instid1(VALU_DEP_2)
	v_add_f32_e32 v64, v65, v64
	v_sub_f32_e32 v65, v67, v68
	s_delay_alu instid0(VALU_DEP_1) | instskip(NEXT) | instid1(VALU_DEP_1)
	v_add_f32_e32 v64, v64, v65
	v_add_f32_e32 v64, v135, v64
	s_delay_alu instid0(VALU_DEP_1) | instskip(NEXT) | instid1(VALU_DEP_1)
	v_cndmask_b32_e32 v64, v64, v66, vcc_lo
	v_add_f32_e32 v64, v55, v64
.LBB453_200:
	s_or_b32 exec_lo, exec_lo, s1
	s_delay_alu instid0(VALU_DEP_1) | instskip(SKIP_1) | instid1(VALU_DEP_2)
	v_bfe_u32 v55, v64, 16, 1
	v_cmp_o_f32_e32 vcc_lo, v64, v64
	v_add3_u32 v55, v64, v55, 0x7fff
	s_delay_alu instid0(VALU_DEP_1) | instskip(NEXT) | instid1(VALU_DEP_1)
	v_lshrrev_b32_e32 v55, 16, v55
	v_cndmask_b32_e32 v55, 0x7fc0, v55, vcc_lo
	s_delay_alu instid0(VALU_DEP_1) | instskip(NEXT) | instid1(VALU_DEP_1)
	v_lshlrev_b32_e32 v65, 16, v55
	v_max_f32_e32 v64, v65, v65
	s_delay_alu instid0(VALU_DEP_1) | instskip(SKIP_2) | instid1(VALU_DEP_3)
	v_min_f32_e32 v66, v64, v82
	v_max_f32_e32 v64, v64, v82
	v_cmp_u_f32_e32 vcc_lo, v65, v65
	v_cndmask_b32_e32 v66, v66, v65, vcc_lo
	s_delay_alu instid0(VALU_DEP_3) | instskip(NEXT) | instid1(VALU_DEP_2)
	v_cndmask_b32_e32 v64, v64, v65, vcc_lo
	v_cndmask_b32_e64 v66, v66, v69, s6
	s_delay_alu instid0(VALU_DEP_2) | instskip(NEXT) | instid1(VALU_DEP_2)
	v_cndmask_b32_e64 v64, v64, v69, s6
	v_cmp_class_f32_e64 s1, v66, 0x1f8
	s_delay_alu instid0(VALU_DEP_2) | instskip(NEXT) | instid1(VALU_DEP_2)
	v_cmp_neq_f32_e32 vcc_lo, v66, v64
	s_or_b32 s2, vcc_lo, s1
	s_delay_alu instid0(SALU_CYCLE_1)
	s_and_saveexec_b32 s1, s2
	s_cbranch_execz .LBB453_202
; %bb.201:
	v_sub_f32_e32 v65, v66, v64
	s_mov_b32 s2, 0x3e9b6dac
	s_delay_alu instid0(VALU_DEP_1) | instskip(SKIP_1) | instid1(VALU_DEP_2)
	v_mul_f32_e32 v66, 0x3fb8aa3b, v65
	v_cmp_ngt_f32_e32 vcc_lo, 0xc2ce8ed0, v65
	v_fma_f32 v67, 0x3fb8aa3b, v65, -v66
	v_rndne_f32_e32 v68, v66
	s_delay_alu instid0(VALU_DEP_1) | instskip(NEXT) | instid1(VALU_DEP_1)
	v_dual_fmamk_f32 v67, v65, 0x32a5705f, v67 :: v_dual_sub_f32 v66, v66, v68
	v_add_f32_e32 v66, v66, v67
	v_cvt_i32_f32_e32 v67, v68
	s_delay_alu instid0(VALU_DEP_2) | instskip(SKIP_2) | instid1(VALU_DEP_1)
	v_exp_f32_e32 v66, v66
	s_waitcnt_depctr 0xfff
	v_ldexp_f32 v66, v66, v67
	v_cndmask_b32_e32 v66, 0, v66, vcc_lo
	v_cmp_nlt_f32_e32 vcc_lo, 0x42b17218, v65
	s_delay_alu instid0(VALU_DEP_2) | instskip(NEXT) | instid1(VALU_DEP_1)
	v_cndmask_b32_e32 v67, 0x7f800000, v66, vcc_lo
	v_add_f32_e32 v68, 1.0, v67
	s_delay_alu instid0(VALU_DEP_1) | instskip(NEXT) | instid1(VALU_DEP_1)
	v_cvt_f64_f32_e32 v[65:66], v68
	v_frexp_exp_i32_f64_e32 v65, v[65:66]
	v_frexp_mant_f32_e32 v66, v68
	s_delay_alu instid0(VALU_DEP_1) | instskip(SKIP_1) | instid1(VALU_DEP_1)
	v_cmp_gt_f32_e32 vcc_lo, 0x3f2aaaab, v66
	v_add_f32_e32 v66, -1.0, v68
	v_sub_f32_e32 v70, v66, v68
	v_sub_f32_e32 v66, v67, v66
	s_delay_alu instid0(VALU_DEP_2) | instskip(NEXT) | instid1(VALU_DEP_1)
	v_add_f32_e32 v70, 1.0, v70
	v_add_f32_e32 v66, v66, v70
	v_subrev_co_ci_u32_e32 v65, vcc_lo, 0, v65, vcc_lo
	v_cmp_eq_f32_e32 vcc_lo, 0x7f800000, v67
	s_delay_alu instid0(VALU_DEP_2) | instskip(SKIP_1) | instid1(VALU_DEP_2)
	v_sub_nc_u32_e32 v69, 0, v65
	v_cvt_f32_i32_e32 v65, v65
	v_ldexp_f32 v68, v68, v69
	v_ldexp_f32 v66, v66, v69
	s_delay_alu instid0(VALU_DEP_2) | instskip(SKIP_1) | instid1(VALU_DEP_2)
	v_add_f32_e32 v80, 1.0, v68
	v_add_f32_e32 v69, -1.0, v68
	v_add_f32_e32 v70, -1.0, v80
	s_delay_alu instid0(VALU_DEP_2) | instskip(NEXT) | instid1(VALU_DEP_2)
	v_add_f32_e32 v82, 1.0, v69
	v_sub_f32_e32 v70, v68, v70
	s_delay_alu instid0(VALU_DEP_2) | instskip(NEXT) | instid1(VALU_DEP_2)
	v_sub_f32_e32 v68, v68, v82
	v_add_f32_e32 v70, v66, v70
	s_delay_alu instid0(VALU_DEP_2) | instskip(NEXT) | instid1(VALU_DEP_2)
	v_add_f32_e32 v66, v66, v68
	v_add_f32_e32 v82, v80, v70
	s_delay_alu instid0(VALU_DEP_2) | instskip(NEXT) | instid1(VALU_DEP_2)
	v_add_f32_e32 v135, v69, v66
	v_rcp_f32_e32 v68, v82
	s_delay_alu instid0(VALU_DEP_1) | instskip(NEXT) | instid1(VALU_DEP_1)
	v_dual_sub_f32 v80, v80, v82 :: v_dual_sub_f32 v69, v69, v135
	v_add_f32_e32 v70, v70, v80
	s_waitcnt_depctr 0xfff
	v_mul_f32_e32 v144, v135, v68
	v_add_f32_e32 v66, v66, v69
	s_delay_alu instid0(VALU_DEP_2) | instskip(NEXT) | instid1(VALU_DEP_1)
	v_mul_f32_e32 v145, v82, v144
	v_fma_f32 v80, v144, v82, -v145
	s_delay_alu instid0(VALU_DEP_1) | instskip(NEXT) | instid1(VALU_DEP_1)
	v_fmac_f32_e32 v80, v144, v70
	v_add_f32_e32 v146, v145, v80
	s_delay_alu instid0(VALU_DEP_1) | instskip(SKIP_1) | instid1(VALU_DEP_2)
	v_sub_f32_e32 v147, v135, v146
	v_sub_f32_e32 v69, v146, v145
	;; [unrolled: 1-line block ×3, first 2 shown]
	s_delay_alu instid0(VALU_DEP_2) | instskip(NEXT) | instid1(VALU_DEP_2)
	v_sub_f32_e32 v69, v69, v80
	v_sub_f32_e32 v135, v135, v146
	s_delay_alu instid0(VALU_DEP_1) | instskip(NEXT) | instid1(VALU_DEP_1)
	v_add_f32_e32 v66, v66, v135
	v_add_f32_e32 v66, v69, v66
	s_delay_alu instid0(VALU_DEP_1) | instskip(NEXT) | instid1(VALU_DEP_1)
	v_add_f32_e32 v69, v147, v66
	v_mul_f32_e32 v80, v68, v69
	s_delay_alu instid0(VALU_DEP_1) | instskip(NEXT) | instid1(VALU_DEP_1)
	v_dual_sub_f32 v146, v147, v69 :: v_dual_mul_f32 v135, v82, v80
	v_add_f32_e32 v66, v66, v146
	s_delay_alu instid0(VALU_DEP_2) | instskip(NEXT) | instid1(VALU_DEP_1)
	v_fma_f32 v82, v80, v82, -v135
	v_fmac_f32_e32 v82, v80, v70
	s_delay_alu instid0(VALU_DEP_1) | instskip(NEXT) | instid1(VALU_DEP_1)
	v_add_f32_e32 v70, v135, v82
	v_sub_f32_e32 v145, v69, v70
	v_sub_f32_e32 v135, v70, v135
	s_delay_alu instid0(VALU_DEP_2) | instskip(NEXT) | instid1(VALU_DEP_1)
	v_sub_f32_e32 v69, v69, v145
	v_sub_f32_e32 v69, v69, v70
	s_delay_alu instid0(VALU_DEP_3) | instskip(NEXT) | instid1(VALU_DEP_2)
	v_sub_f32_e32 v70, v135, v82
	v_dual_add_f32 v66, v66, v69 :: v_dual_add_f32 v69, v144, v80
	s_delay_alu instid0(VALU_DEP_1) | instskip(NEXT) | instid1(VALU_DEP_2)
	v_add_f32_e32 v66, v70, v66
	v_sub_f32_e32 v70, v69, v144
	s_delay_alu instid0(VALU_DEP_2) | instskip(NEXT) | instid1(VALU_DEP_2)
	v_add_f32_e32 v66, v145, v66
	v_sub_f32_e32 v70, v80, v70
	s_delay_alu instid0(VALU_DEP_2) | instskip(NEXT) | instid1(VALU_DEP_1)
	v_mul_f32_e32 v66, v68, v66
	v_add_f32_e32 v66, v70, v66
	s_delay_alu instid0(VALU_DEP_1) | instskip(NEXT) | instid1(VALU_DEP_1)
	v_add_f32_e32 v68, v69, v66
	v_mul_f32_e32 v70, v68, v68
	s_delay_alu instid0(VALU_DEP_1) | instskip(SKIP_2) | instid1(VALU_DEP_3)
	v_fmaak_f32 v80, s2, v70, 0x3ecc95a3
	v_mul_f32_e32 v82, v68, v70
	v_cmp_gt_f32_e64 s2, 0x33800000, |v67|
	v_fmaak_f32 v70, v70, v80, 0x3f2aaada
	v_ldexp_f32 v80, v68, 1
	v_sub_f32_e32 v68, v68, v69
	s_delay_alu instid0(VALU_DEP_4) | instskip(NEXT) | instid1(VALU_DEP_3)
	s_or_b32 vcc_lo, vcc_lo, s2
	v_mul_f32_e32 v70, v82, v70
	v_mul_f32_e32 v82, 0x3f317218, v65
	s_delay_alu instid0(VALU_DEP_2) | instskip(NEXT) | instid1(VALU_DEP_1)
	v_dual_sub_f32 v66, v66, v68 :: v_dual_add_f32 v69, v80, v70
	v_ldexp_f32 v66, v66, 1
	s_delay_alu instid0(VALU_DEP_2) | instskip(NEXT) | instid1(VALU_DEP_4)
	v_sub_f32_e32 v68, v69, v80
	v_fma_f32 v80, 0x3f317218, v65, -v82
	s_delay_alu instid0(VALU_DEP_1) | instskip(NEXT) | instid1(VALU_DEP_1)
	v_dual_sub_f32 v68, v70, v68 :: v_dual_fmamk_f32 v65, v65, 0xb102e308, v80
	v_add_f32_e32 v66, v66, v68
	s_delay_alu instid0(VALU_DEP_2) | instskip(NEXT) | instid1(VALU_DEP_2)
	v_add_f32_e32 v68, v82, v65
	v_add_f32_e32 v70, v69, v66
	s_delay_alu instid0(VALU_DEP_2) | instskip(NEXT) | instid1(VALU_DEP_2)
	v_sub_f32_e32 v82, v68, v82
	v_dual_add_f32 v80, v68, v70 :: v_dual_sub_f32 v69, v70, v69
	s_delay_alu instid0(VALU_DEP_2) | instskip(NEXT) | instid1(VALU_DEP_2)
	v_sub_f32_e32 v65, v65, v82
	v_dual_sub_f32 v135, v80, v68 :: v_dual_sub_f32 v66, v66, v69
	s_delay_alu instid0(VALU_DEP_1) | instskip(NEXT) | instid1(VALU_DEP_2)
	v_sub_f32_e32 v144, v80, v135
	v_dual_sub_f32 v69, v70, v135 :: v_dual_add_f32 v70, v65, v66
	s_delay_alu instid0(VALU_DEP_2) | instskip(NEXT) | instid1(VALU_DEP_1)
	v_sub_f32_e32 v68, v68, v144
	v_dual_add_f32 v68, v69, v68 :: v_dual_sub_f32 v69, v70, v65
	s_delay_alu instid0(VALU_DEP_1) | instskip(NEXT) | instid1(VALU_DEP_2)
	v_add_f32_e32 v68, v70, v68
	v_sub_f32_e32 v70, v70, v69
	v_sub_f32_e32 v66, v66, v69
	s_delay_alu instid0(VALU_DEP_2) | instskip(NEXT) | instid1(VALU_DEP_1)
	v_dual_add_f32 v82, v80, v68 :: v_dual_sub_f32 v65, v65, v70
	v_sub_f32_e32 v69, v82, v80
	s_delay_alu instid0(VALU_DEP_2) | instskip(NEXT) | instid1(VALU_DEP_2)
	v_add_f32_e32 v65, v66, v65
	v_sub_f32_e32 v66, v68, v69
	s_delay_alu instid0(VALU_DEP_1) | instskip(NEXT) | instid1(VALU_DEP_1)
	v_add_f32_e32 v65, v65, v66
	v_add_f32_e32 v65, v82, v65
	s_delay_alu instid0(VALU_DEP_1) | instskip(NEXT) | instid1(VALU_DEP_1)
	v_cndmask_b32_e32 v65, v65, v67, vcc_lo
	v_add_f32_e32 v65, v64, v65
.LBB453_202:
	s_or_b32 exec_lo, exec_lo, s1
	s_delay_alu instid0(VALU_DEP_1) | instskip(SKIP_1) | instid1(VALU_DEP_2)
	v_bfe_u32 v64, v65, 16, 1
	v_cmp_o_f32_e32 vcc_lo, v65, v65
	v_add3_u32 v64, v65, v64, 0x7fff
	s_delay_alu instid0(VALU_DEP_1) | instskip(NEXT) | instid1(VALU_DEP_1)
	v_lshrrev_b32_e32 v64, 16, v64
	v_cndmask_b32_e32 v135, 0x7fc0, v64, vcc_lo
	s_delay_alu instid0(VALU_DEP_1) | instskip(NEXT) | instid1(VALU_DEP_1)
	v_lshlrev_b32_e32 v65, 16, v135
	v_max_f32_e32 v64, v65, v65
	s_delay_alu instid0(VALU_DEP_1) | instskip(SKIP_2) | instid1(VALU_DEP_3)
	v_min_f32_e32 v66, v64, v84
	v_max_f32_e32 v64, v64, v84
	v_cmp_u_f32_e32 vcc_lo, v65, v65
	v_cndmask_b32_e32 v66, v66, v65, vcc_lo
	s_delay_alu instid0(VALU_DEP_3) | instskip(NEXT) | instid1(VALU_DEP_2)
	v_cndmask_b32_e32 v64, v64, v65, vcc_lo
	v_cndmask_b32_e64 v66, v66, v71, s7
	s_delay_alu instid0(VALU_DEP_2) | instskip(NEXT) | instid1(VALU_DEP_2)
	v_cndmask_b32_e64 v64, v64, v71, s7
	v_cmp_class_f32_e64 s1, v66, 0x1f8
	s_delay_alu instid0(VALU_DEP_2) | instskip(NEXT) | instid1(VALU_DEP_2)
	v_cmp_neq_f32_e32 vcc_lo, v66, v64
	s_or_b32 s2, vcc_lo, s1
	s_delay_alu instid0(SALU_CYCLE_1)
	s_and_saveexec_b32 s1, s2
	s_cbranch_execz .LBB453_204
; %bb.203:
	v_sub_f32_e32 v65, v66, v64
	s_mov_b32 s2, 0x3e9b6dac
	s_delay_alu instid0(VALU_DEP_1) | instskip(SKIP_1) | instid1(VALU_DEP_2)
	v_mul_f32_e32 v66, 0x3fb8aa3b, v65
	v_cmp_ngt_f32_e32 vcc_lo, 0xc2ce8ed0, v65
	v_fma_f32 v67, 0x3fb8aa3b, v65, -v66
	v_rndne_f32_e32 v68, v66
	s_delay_alu instid0(VALU_DEP_1) | instskip(NEXT) | instid1(VALU_DEP_1)
	v_dual_fmamk_f32 v67, v65, 0x32a5705f, v67 :: v_dual_sub_f32 v66, v66, v68
	v_add_f32_e32 v66, v66, v67
	v_cvt_i32_f32_e32 v67, v68
	s_delay_alu instid0(VALU_DEP_2) | instskip(SKIP_2) | instid1(VALU_DEP_1)
	v_exp_f32_e32 v66, v66
	s_waitcnt_depctr 0xfff
	v_ldexp_f32 v66, v66, v67
	v_cndmask_b32_e32 v66, 0, v66, vcc_lo
	v_cmp_nlt_f32_e32 vcc_lo, 0x42b17218, v65
	s_delay_alu instid0(VALU_DEP_2) | instskip(NEXT) | instid1(VALU_DEP_1)
	v_cndmask_b32_e32 v67, 0x7f800000, v66, vcc_lo
	v_add_f32_e32 v68, 1.0, v67
	s_delay_alu instid0(VALU_DEP_1) | instskip(NEXT) | instid1(VALU_DEP_1)
	v_cvt_f64_f32_e32 v[65:66], v68
	v_frexp_exp_i32_f64_e32 v65, v[65:66]
	v_frexp_mant_f32_e32 v66, v68
	s_delay_alu instid0(VALU_DEP_1) | instskip(SKIP_1) | instid1(VALU_DEP_1)
	v_cmp_gt_f32_e32 vcc_lo, 0x3f2aaaab, v66
	v_add_f32_e32 v66, -1.0, v68
	v_sub_f32_e32 v70, v66, v68
	v_sub_f32_e32 v66, v67, v66
	s_delay_alu instid0(VALU_DEP_2) | instskip(NEXT) | instid1(VALU_DEP_1)
	v_add_f32_e32 v70, 1.0, v70
	v_add_f32_e32 v66, v66, v70
	v_subrev_co_ci_u32_e32 v65, vcc_lo, 0, v65, vcc_lo
	v_cmp_eq_f32_e32 vcc_lo, 0x7f800000, v67
	s_delay_alu instid0(VALU_DEP_2) | instskip(SKIP_1) | instid1(VALU_DEP_2)
	v_sub_nc_u32_e32 v69, 0, v65
	v_cvt_f32_i32_e32 v65, v65
	v_ldexp_f32 v68, v68, v69
	v_ldexp_f32 v66, v66, v69
	s_delay_alu instid0(VALU_DEP_2) | instskip(NEXT) | instid1(VALU_DEP_1)
	v_add_f32_e32 v71, 1.0, v68
	v_dual_add_f32 v69, -1.0, v68 :: v_dual_add_f32 v70, -1.0, v71
	s_delay_alu instid0(VALU_DEP_1) | instskip(NEXT) | instid1(VALU_DEP_2)
	v_add_f32_e32 v80, 1.0, v69
	v_sub_f32_e32 v70, v68, v70
	s_delay_alu instid0(VALU_DEP_2) | instskip(NEXT) | instid1(VALU_DEP_2)
	v_sub_f32_e32 v68, v68, v80
	v_add_f32_e32 v70, v66, v70
	s_delay_alu instid0(VALU_DEP_2) | instskip(NEXT) | instid1(VALU_DEP_2)
	v_add_f32_e32 v66, v66, v68
	v_add_f32_e32 v80, v71, v70
	s_delay_alu instid0(VALU_DEP_2) | instskip(NEXT) | instid1(VALU_DEP_2)
	v_add_f32_e32 v82, v69, v66
	v_rcp_f32_e32 v68, v80
	v_sub_f32_e32 v71, v71, v80
	s_delay_alu instid0(VALU_DEP_1) | instskip(NEXT) | instid1(VALU_DEP_1)
	v_dual_sub_f32 v69, v69, v82 :: v_dual_add_f32 v70, v70, v71
	v_add_f32_e32 v66, v66, v69
	s_waitcnt_depctr 0xfff
	v_mul_f32_e32 v84, v82, v68
	s_delay_alu instid0(VALU_DEP_1) | instskip(NEXT) | instid1(VALU_DEP_1)
	v_mul_f32_e32 v144, v80, v84
	v_fma_f32 v71, v84, v80, -v144
	s_delay_alu instid0(VALU_DEP_1) | instskip(NEXT) | instid1(VALU_DEP_1)
	v_fmac_f32_e32 v71, v84, v70
	v_add_f32_e32 v145, v144, v71
	s_delay_alu instid0(VALU_DEP_1) | instskip(NEXT) | instid1(VALU_DEP_1)
	v_dual_sub_f32 v146, v82, v145 :: v_dual_sub_f32 v69, v145, v144
	v_dual_sub_f32 v82, v82, v146 :: v_dual_sub_f32 v69, v69, v71
	s_delay_alu instid0(VALU_DEP_1) | instskip(NEXT) | instid1(VALU_DEP_1)
	v_sub_f32_e32 v82, v82, v145
	v_add_f32_e32 v66, v66, v82
	s_delay_alu instid0(VALU_DEP_1) | instskip(NEXT) | instid1(VALU_DEP_1)
	v_add_f32_e32 v66, v69, v66
	v_add_f32_e32 v69, v146, v66
	s_delay_alu instid0(VALU_DEP_1) | instskip(NEXT) | instid1(VALU_DEP_1)
	v_mul_f32_e32 v71, v68, v69
	v_dual_sub_f32 v145, v146, v69 :: v_dual_mul_f32 v82, v80, v71
	s_delay_alu instid0(VALU_DEP_1) | instskip(NEXT) | instid1(VALU_DEP_2)
	v_add_f32_e32 v66, v66, v145
	v_fma_f32 v80, v71, v80, -v82
	s_delay_alu instid0(VALU_DEP_1) | instskip(NEXT) | instid1(VALU_DEP_1)
	v_fmac_f32_e32 v80, v71, v70
	v_add_f32_e32 v70, v82, v80
	s_delay_alu instid0(VALU_DEP_1) | instskip(NEXT) | instid1(VALU_DEP_1)
	v_sub_f32_e32 v144, v69, v70
	v_dual_sub_f32 v82, v70, v82 :: v_dual_sub_f32 v69, v69, v144
	s_delay_alu instid0(VALU_DEP_1) | instskip(NEXT) | instid1(VALU_DEP_1)
	v_dual_sub_f32 v69, v69, v70 :: v_dual_sub_f32 v70, v82, v80
	v_dual_add_f32 v66, v66, v69 :: v_dual_add_f32 v69, v84, v71
	s_delay_alu instid0(VALU_DEP_1) | instskip(NEXT) | instid1(VALU_DEP_2)
	v_add_f32_e32 v66, v70, v66
	v_sub_f32_e32 v70, v69, v84
	s_delay_alu instid0(VALU_DEP_2) | instskip(NEXT) | instid1(VALU_DEP_2)
	v_add_f32_e32 v66, v144, v66
	v_sub_f32_e32 v70, v71, v70
	s_delay_alu instid0(VALU_DEP_2) | instskip(NEXT) | instid1(VALU_DEP_1)
	v_mul_f32_e32 v66, v68, v66
	v_add_f32_e32 v66, v70, v66
	s_delay_alu instid0(VALU_DEP_1) | instskip(NEXT) | instid1(VALU_DEP_1)
	v_add_f32_e32 v68, v69, v66
	v_mul_f32_e32 v70, v68, v68
	s_delay_alu instid0(VALU_DEP_1) | instskip(SKIP_2) | instid1(VALU_DEP_3)
	v_fmaak_f32 v71, s2, v70, 0x3ecc95a3
	v_mul_f32_e32 v80, v68, v70
	v_cmp_gt_f32_e64 s2, 0x33800000, |v67|
	v_fmaak_f32 v70, v70, v71, 0x3f2aaada
	v_ldexp_f32 v71, v68, 1
	v_sub_f32_e32 v68, v68, v69
	s_delay_alu instid0(VALU_DEP_4) | instskip(NEXT) | instid1(VALU_DEP_3)
	s_or_b32 vcc_lo, vcc_lo, s2
	v_mul_f32_e32 v70, v80, v70
	v_mul_f32_e32 v80, 0x3f317218, v65
	s_delay_alu instid0(VALU_DEP_2) | instskip(NEXT) | instid1(VALU_DEP_1)
	v_dual_sub_f32 v66, v66, v68 :: v_dual_add_f32 v69, v71, v70
	v_ldexp_f32 v66, v66, 1
	s_delay_alu instid0(VALU_DEP_2) | instskip(NEXT) | instid1(VALU_DEP_4)
	v_sub_f32_e32 v68, v69, v71
	v_fma_f32 v71, 0x3f317218, v65, -v80
	s_delay_alu instid0(VALU_DEP_1) | instskip(NEXT) | instid1(VALU_DEP_1)
	v_dual_sub_f32 v68, v70, v68 :: v_dual_fmamk_f32 v65, v65, 0xb102e308, v71
	v_add_f32_e32 v66, v66, v68
	s_delay_alu instid0(VALU_DEP_2) | instskip(NEXT) | instid1(VALU_DEP_2)
	v_add_f32_e32 v68, v80, v65
	v_add_f32_e32 v70, v69, v66
	s_delay_alu instid0(VALU_DEP_2) | instskip(NEXT) | instid1(VALU_DEP_2)
	v_sub_f32_e32 v80, v68, v80
	v_add_f32_e32 v71, v68, v70
	v_sub_f32_e32 v69, v70, v69
	s_delay_alu instid0(VALU_DEP_3) | instskip(NEXT) | instid1(VALU_DEP_3)
	v_sub_f32_e32 v65, v65, v80
	v_sub_f32_e32 v82, v71, v68
	s_delay_alu instid0(VALU_DEP_3) | instskip(NEXT) | instid1(VALU_DEP_2)
	v_sub_f32_e32 v66, v66, v69
	v_sub_f32_e32 v69, v70, v82
	;; [unrolled: 1-line block ×3, first 2 shown]
	s_delay_alu instid0(VALU_DEP_3) | instskip(NEXT) | instid1(VALU_DEP_2)
	v_add_f32_e32 v70, v65, v66
	v_sub_f32_e32 v68, v68, v84
	s_delay_alu instid0(VALU_DEP_1) | instskip(NEXT) | instid1(VALU_DEP_1)
	v_dual_add_f32 v68, v69, v68 :: v_dual_sub_f32 v69, v70, v65
	v_add_f32_e32 v68, v70, v68
	s_delay_alu instid0(VALU_DEP_2) | instskip(SKIP_1) | instid1(VALU_DEP_2)
	v_sub_f32_e32 v70, v70, v69
	v_sub_f32_e32 v66, v66, v69
	v_dual_add_f32 v80, v71, v68 :: v_dual_sub_f32 v65, v65, v70
	s_delay_alu instid0(VALU_DEP_1) | instskip(NEXT) | instid1(VALU_DEP_2)
	v_sub_f32_e32 v69, v80, v71
	v_add_f32_e32 v65, v66, v65
	s_delay_alu instid0(VALU_DEP_2) | instskip(NEXT) | instid1(VALU_DEP_1)
	v_sub_f32_e32 v66, v68, v69
	v_add_f32_e32 v65, v65, v66
	s_delay_alu instid0(VALU_DEP_1) | instskip(NEXT) | instid1(VALU_DEP_1)
	v_add_f32_e32 v65, v80, v65
	v_cndmask_b32_e32 v65, v65, v67, vcc_lo
	s_delay_alu instid0(VALU_DEP_1)
	v_add_f32_e32 v65, v64, v65
.LBB453_204:
	s_or_b32 exec_lo, exec_lo, s1
	s_delay_alu instid0(VALU_DEP_1) | instskip(SKIP_1) | instid1(VALU_DEP_2)
	v_bfe_u32 v64, v65, 16, 1
	v_cmp_o_f32_e32 vcc_lo, v65, v65
	v_add3_u32 v64, v65, v64, 0x7fff
	s_delay_alu instid0(VALU_DEP_1) | instskip(NEXT) | instid1(VALU_DEP_1)
	v_lshrrev_b32_e32 v64, 16, v64
	v_cndmask_b32_e32 v144, 0x7fc0, v64, vcc_lo
	s_delay_alu instid0(VALU_DEP_1) | instskip(NEXT) | instid1(VALU_DEP_1)
	v_lshlrev_b32_e32 v65, 16, v144
	v_max_f32_e32 v64, v65, v65
	s_delay_alu instid0(VALU_DEP_1) | instskip(SKIP_2) | instid1(VALU_DEP_3)
	v_min_f32_e32 v66, v64, v86
	v_max_f32_e32 v64, v64, v86
	v_cmp_u_f32_e32 vcc_lo, v65, v65
	v_cndmask_b32_e32 v66, v66, v65, vcc_lo
	s_delay_alu instid0(VALU_DEP_3) | instskip(NEXT) | instid1(VALU_DEP_2)
	v_cndmask_b32_e32 v64, v64, v65, vcc_lo
	v_cndmask_b32_e64 v66, v66, v81, s8
	s_delay_alu instid0(VALU_DEP_2) | instskip(NEXT) | instid1(VALU_DEP_2)
	v_cndmask_b32_e64 v64, v64, v81, s8
	v_cmp_class_f32_e64 s1, v66, 0x1f8
	s_delay_alu instid0(VALU_DEP_2) | instskip(NEXT) | instid1(VALU_DEP_2)
	v_cmp_neq_f32_e32 vcc_lo, v66, v64
	s_or_b32 s2, vcc_lo, s1
	s_delay_alu instid0(SALU_CYCLE_1)
	s_and_saveexec_b32 s1, s2
	s_cbranch_execz .LBB453_206
; %bb.205:
	v_sub_f32_e32 v65, v66, v64
	s_mov_b32 s2, 0x3e9b6dac
	s_delay_alu instid0(VALU_DEP_1) | instskip(SKIP_1) | instid1(VALU_DEP_2)
	v_mul_f32_e32 v66, 0x3fb8aa3b, v65
	v_cmp_ngt_f32_e32 vcc_lo, 0xc2ce8ed0, v65
	v_fma_f32 v67, 0x3fb8aa3b, v65, -v66
	v_rndne_f32_e32 v68, v66
	s_delay_alu instid0(VALU_DEP_1) | instskip(NEXT) | instid1(VALU_DEP_1)
	v_dual_fmamk_f32 v67, v65, 0x32a5705f, v67 :: v_dual_sub_f32 v66, v66, v68
	v_add_f32_e32 v66, v66, v67
	v_cvt_i32_f32_e32 v67, v68
	s_delay_alu instid0(VALU_DEP_2) | instskip(SKIP_2) | instid1(VALU_DEP_1)
	v_exp_f32_e32 v66, v66
	s_waitcnt_depctr 0xfff
	v_ldexp_f32 v66, v66, v67
	v_cndmask_b32_e32 v66, 0, v66, vcc_lo
	v_cmp_nlt_f32_e32 vcc_lo, 0x42b17218, v65
	s_delay_alu instid0(VALU_DEP_2) | instskip(NEXT) | instid1(VALU_DEP_1)
	v_cndmask_b32_e32 v67, 0x7f800000, v66, vcc_lo
	v_add_f32_e32 v68, 1.0, v67
	s_delay_alu instid0(VALU_DEP_1) | instskip(NEXT) | instid1(VALU_DEP_1)
	v_cvt_f64_f32_e32 v[65:66], v68
	v_frexp_exp_i32_f64_e32 v65, v[65:66]
	v_frexp_mant_f32_e32 v66, v68
	s_delay_alu instid0(VALU_DEP_1) | instskip(SKIP_1) | instid1(VALU_DEP_1)
	v_cmp_gt_f32_e32 vcc_lo, 0x3f2aaaab, v66
	v_add_f32_e32 v66, -1.0, v68
	v_sub_f32_e32 v70, v66, v68
	v_sub_f32_e32 v66, v67, v66
	v_subrev_co_ci_u32_e32 v65, vcc_lo, 0, v65, vcc_lo
	v_cmp_eq_f32_e32 vcc_lo, 0x7f800000, v67
	s_delay_alu instid0(VALU_DEP_2) | instskip(SKIP_1) | instid1(VALU_DEP_2)
	v_sub_nc_u32_e32 v69, 0, v65
	v_cvt_f32_i32_e32 v65, v65
	v_ldexp_f32 v68, v68, v69
	s_delay_alu instid0(VALU_DEP_1) | instskip(NEXT) | instid1(VALU_DEP_1)
	v_dual_add_f32 v71, 1.0, v68 :: v_dual_add_f32 v70, 1.0, v70
	v_add_f32_e32 v66, v66, v70
	s_delay_alu instid0(VALU_DEP_2) | instskip(NEXT) | instid1(VALU_DEP_2)
	v_add_f32_e32 v70, -1.0, v71
	v_ldexp_f32 v66, v66, v69
	s_delay_alu instid0(VALU_DEP_2) | instskip(NEXT) | instid1(VALU_DEP_1)
	v_dual_add_f32 v69, -1.0, v68 :: v_dual_sub_f32 v70, v68, v70
	v_add_f32_e32 v80, 1.0, v69
	s_delay_alu instid0(VALU_DEP_2) | instskip(NEXT) | instid1(VALU_DEP_2)
	v_add_f32_e32 v70, v66, v70
	v_sub_f32_e32 v68, v68, v80
	s_delay_alu instid0(VALU_DEP_2) | instskip(NEXT) | instid1(VALU_DEP_2)
	v_add_f32_e32 v80, v71, v70
	v_add_f32_e32 v66, v66, v68
	s_delay_alu instid0(VALU_DEP_2) | instskip(SKIP_1) | instid1(VALU_DEP_1)
	v_rcp_f32_e32 v68, v80
	v_sub_f32_e32 v71, v71, v80
	v_dual_add_f32 v81, v69, v66 :: v_dual_add_f32 v70, v70, v71
	s_delay_alu instid0(VALU_DEP_1) | instskip(SKIP_3) | instid1(VALU_DEP_2)
	v_sub_f32_e32 v69, v69, v81
	s_waitcnt_depctr 0xfff
	v_mul_f32_e32 v82, v81, v68
	v_add_f32_e32 v66, v66, v69
	v_mul_f32_e32 v84, v80, v82
	s_delay_alu instid0(VALU_DEP_1) | instskip(NEXT) | instid1(VALU_DEP_1)
	v_fma_f32 v71, v82, v80, -v84
	v_fmac_f32_e32 v71, v82, v70
	s_delay_alu instid0(VALU_DEP_1) | instskip(NEXT) | instid1(VALU_DEP_1)
	v_add_f32_e32 v86, v84, v71
	v_sub_f32_e32 v145, v81, v86
	v_sub_f32_e32 v69, v86, v84
	s_delay_alu instid0(VALU_DEP_2) | instskip(NEXT) | instid1(VALU_DEP_2)
	v_sub_f32_e32 v81, v81, v145
	v_sub_f32_e32 v69, v69, v71
	s_delay_alu instid0(VALU_DEP_2) | instskip(NEXT) | instid1(VALU_DEP_1)
	v_sub_f32_e32 v81, v81, v86
	v_add_f32_e32 v66, v66, v81
	s_delay_alu instid0(VALU_DEP_1) | instskip(NEXT) | instid1(VALU_DEP_1)
	v_add_f32_e32 v66, v69, v66
	v_add_f32_e32 v69, v145, v66
	s_delay_alu instid0(VALU_DEP_1) | instskip(NEXT) | instid1(VALU_DEP_1)
	v_mul_f32_e32 v71, v68, v69
	v_dual_sub_f32 v86, v145, v69 :: v_dual_mul_f32 v81, v80, v71
	s_delay_alu instid0(VALU_DEP_1) | instskip(NEXT) | instid1(VALU_DEP_2)
	v_add_f32_e32 v66, v66, v86
	v_fma_f32 v80, v71, v80, -v81
	s_delay_alu instid0(VALU_DEP_1) | instskip(NEXT) | instid1(VALU_DEP_1)
	v_fmac_f32_e32 v80, v71, v70
	v_add_f32_e32 v70, v81, v80
	s_delay_alu instid0(VALU_DEP_1) | instskip(NEXT) | instid1(VALU_DEP_1)
	v_dual_sub_f32 v84, v69, v70 :: v_dual_sub_f32 v81, v70, v81
	v_sub_f32_e32 v69, v69, v84
	s_delay_alu instid0(VALU_DEP_1) | instskip(NEXT) | instid1(VALU_DEP_3)
	v_sub_f32_e32 v69, v69, v70
	v_sub_f32_e32 v70, v81, v80
	s_delay_alu instid0(VALU_DEP_2) | instskip(SKIP_1) | instid1(VALU_DEP_2)
	v_add_f32_e32 v66, v66, v69
	v_add_f32_e32 v69, v82, v71
	;; [unrolled: 1-line block ×3, first 2 shown]
	s_delay_alu instid0(VALU_DEP_2) | instskip(NEXT) | instid1(VALU_DEP_2)
	v_sub_f32_e32 v70, v69, v82
	v_add_f32_e32 v66, v84, v66
	s_delay_alu instid0(VALU_DEP_2) | instskip(NEXT) | instid1(VALU_DEP_2)
	v_sub_f32_e32 v70, v71, v70
	v_mul_f32_e32 v66, v68, v66
	s_delay_alu instid0(VALU_DEP_1) | instskip(NEXT) | instid1(VALU_DEP_1)
	v_add_f32_e32 v66, v70, v66
	v_add_f32_e32 v68, v69, v66
	s_delay_alu instid0(VALU_DEP_1) | instskip(NEXT) | instid1(VALU_DEP_1)
	v_mul_f32_e32 v70, v68, v68
	v_fmaak_f32 v71, s2, v70, 0x3ecc95a3
	v_mul_f32_e32 v80, v68, v70
	v_cmp_gt_f32_e64 s2, 0x33800000, |v67|
	s_delay_alu instid0(VALU_DEP_3) | instskip(SKIP_2) | instid1(VALU_DEP_4)
	v_fmaak_f32 v70, v70, v71, 0x3f2aaada
	v_ldexp_f32 v71, v68, 1
	v_sub_f32_e32 v68, v68, v69
	s_or_b32 vcc_lo, vcc_lo, s2
	s_delay_alu instid0(VALU_DEP_3) | instskip(SKIP_1) | instid1(VALU_DEP_2)
	v_mul_f32_e32 v70, v80, v70
	v_mul_f32_e32 v80, 0x3f317218, v65
	v_dual_sub_f32 v66, v66, v68 :: v_dual_add_f32 v69, v71, v70
	s_delay_alu instid0(VALU_DEP_1) | instskip(NEXT) | instid1(VALU_DEP_2)
	v_ldexp_f32 v66, v66, 1
	v_sub_f32_e32 v68, v69, v71
	s_delay_alu instid0(VALU_DEP_4) | instskip(NEXT) | instid1(VALU_DEP_1)
	v_fma_f32 v71, 0x3f317218, v65, -v80
	v_dual_sub_f32 v68, v70, v68 :: v_dual_fmamk_f32 v65, v65, 0xb102e308, v71
	s_delay_alu instid0(VALU_DEP_1) | instskip(NEXT) | instid1(VALU_DEP_2)
	v_add_f32_e32 v66, v66, v68
	v_add_f32_e32 v68, v80, v65
	s_delay_alu instid0(VALU_DEP_2) | instskip(NEXT) | instid1(VALU_DEP_2)
	v_add_f32_e32 v70, v69, v66
	v_sub_f32_e32 v80, v68, v80
	s_delay_alu instid0(VALU_DEP_2) | instskip(SKIP_1) | instid1(VALU_DEP_3)
	v_add_f32_e32 v71, v68, v70
	v_sub_f32_e32 v69, v70, v69
	v_sub_f32_e32 v65, v65, v80
	s_delay_alu instid0(VALU_DEP_2) | instskip(NEXT) | instid1(VALU_DEP_1)
	v_dual_sub_f32 v81, v71, v68 :: v_dual_sub_f32 v66, v66, v69
	v_sub_f32_e32 v82, v71, v81
	s_delay_alu instid0(VALU_DEP_2) | instskip(NEXT) | instid1(VALU_DEP_2)
	v_dual_sub_f32 v69, v70, v81 :: v_dual_add_f32 v70, v65, v66
	v_sub_f32_e32 v68, v68, v82
	s_delay_alu instid0(VALU_DEP_1) | instskip(NEXT) | instid1(VALU_DEP_1)
	v_dual_add_f32 v68, v69, v68 :: v_dual_sub_f32 v69, v70, v65
	v_add_f32_e32 v68, v70, v68
	s_delay_alu instid0(VALU_DEP_2) | instskip(SKIP_1) | instid1(VALU_DEP_2)
	v_sub_f32_e32 v70, v70, v69
	v_sub_f32_e32 v66, v66, v69
	v_dual_add_f32 v80, v71, v68 :: v_dual_sub_f32 v65, v65, v70
	s_delay_alu instid0(VALU_DEP_1) | instskip(NEXT) | instid1(VALU_DEP_2)
	v_sub_f32_e32 v69, v80, v71
	v_add_f32_e32 v65, v66, v65
	s_delay_alu instid0(VALU_DEP_2) | instskip(NEXT) | instid1(VALU_DEP_1)
	v_sub_f32_e32 v66, v68, v69
	v_add_f32_e32 v65, v65, v66
	s_delay_alu instid0(VALU_DEP_1) | instskip(NEXT) | instid1(VALU_DEP_1)
	v_add_f32_e32 v65, v80, v65
	v_cndmask_b32_e32 v65, v65, v67, vcc_lo
	s_delay_alu instid0(VALU_DEP_1)
	v_add_f32_e32 v65, v64, v65
.LBB453_206:
	s_or_b32 exec_lo, exec_lo, s1
	s_delay_alu instid0(VALU_DEP_1) | instskip(SKIP_1) | instid1(VALU_DEP_2)
	v_bfe_u32 v64, v65, 16, 1
	v_cmp_o_f32_e32 vcc_lo, v65, v65
	v_add3_u32 v64, v65, v64, 0x7fff
	s_delay_alu instid0(VALU_DEP_1) | instskip(NEXT) | instid1(VALU_DEP_1)
	v_lshrrev_b32_e32 v64, 16, v64
	v_cndmask_b32_e32 v64, 0x7fc0, v64, vcc_lo
	s_delay_alu instid0(VALU_DEP_1) | instskip(NEXT) | instid1(VALU_DEP_1)
	v_lshlrev_b32_e32 v66, 16, v64
	v_max_f32_e32 v65, v66, v66
	v_cmp_u_f32_e32 vcc_lo, v66, v66
	s_delay_alu instid0(VALU_DEP_2) | instskip(SKIP_1) | instid1(VALU_DEP_2)
	v_min_f32_e32 v67, v65, v96
	v_max_f32_e32 v65, v65, v96
	v_cndmask_b32_e32 v67, v67, v66, vcc_lo
	s_delay_alu instid0(VALU_DEP_2) | instskip(NEXT) | instid1(VALU_DEP_2)
	v_cndmask_b32_e32 v65, v65, v66, vcc_lo
	v_cndmask_b32_e64 v67, v67, v83, s9
	s_delay_alu instid0(VALU_DEP_2) | instskip(NEXT) | instid1(VALU_DEP_2)
	v_cndmask_b32_e64 v65, v65, v83, s9
	v_cmp_class_f32_e64 s1, v67, 0x1f8
	s_delay_alu instid0(VALU_DEP_2) | instskip(NEXT) | instid1(VALU_DEP_2)
	v_cmp_neq_f32_e32 vcc_lo, v67, v65
	s_or_b32 s2, vcc_lo, s1
	s_delay_alu instid0(SALU_CYCLE_1)
	s_and_saveexec_b32 s1, s2
	s_cbranch_execz .LBB453_208
; %bb.207:
	v_sub_f32_e32 v66, v67, v65
	s_mov_b32 s2, 0x3e9b6dac
	s_delay_alu instid0(VALU_DEP_1) | instskip(SKIP_1) | instid1(VALU_DEP_2)
	v_mul_f32_e32 v67, 0x3fb8aa3b, v66
	v_cmp_ngt_f32_e32 vcc_lo, 0xc2ce8ed0, v66
	v_fma_f32 v68, 0x3fb8aa3b, v66, -v67
	v_rndne_f32_e32 v69, v67
	s_delay_alu instid0(VALU_DEP_1) | instskip(NEXT) | instid1(VALU_DEP_1)
	v_dual_fmamk_f32 v68, v66, 0x32a5705f, v68 :: v_dual_sub_f32 v67, v67, v69
	v_add_f32_e32 v67, v67, v68
	v_cvt_i32_f32_e32 v68, v69
	s_delay_alu instid0(VALU_DEP_2) | instskip(SKIP_2) | instid1(VALU_DEP_1)
	v_exp_f32_e32 v67, v67
	s_waitcnt_depctr 0xfff
	v_ldexp_f32 v67, v67, v68
	v_cndmask_b32_e32 v67, 0, v67, vcc_lo
	v_cmp_nlt_f32_e32 vcc_lo, 0x42b17218, v66
	s_delay_alu instid0(VALU_DEP_2) | instskip(NEXT) | instid1(VALU_DEP_1)
	v_cndmask_b32_e32 v68, 0x7f800000, v67, vcc_lo
	v_add_f32_e32 v69, 1.0, v68
	s_delay_alu instid0(VALU_DEP_1) | instskip(NEXT) | instid1(VALU_DEP_1)
	v_cvt_f64_f32_e32 v[66:67], v69
	v_frexp_exp_i32_f64_e32 v66, v[66:67]
	v_frexp_mant_f32_e32 v67, v69
	s_delay_alu instid0(VALU_DEP_1) | instskip(SKIP_1) | instid1(VALU_DEP_1)
	v_cmp_gt_f32_e32 vcc_lo, 0x3f2aaaab, v67
	v_add_f32_e32 v67, -1.0, v69
	v_sub_f32_e32 v71, v67, v69
	v_sub_f32_e32 v67, v68, v67
	v_subrev_co_ci_u32_e32 v66, vcc_lo, 0, v66, vcc_lo
	v_cmp_eq_f32_e32 vcc_lo, 0x7f800000, v68
	s_delay_alu instid0(VALU_DEP_2) | instskip(SKIP_1) | instid1(VALU_DEP_2)
	v_sub_nc_u32_e32 v70, 0, v66
	v_cvt_f32_i32_e32 v66, v66
	v_ldexp_f32 v69, v69, v70
	s_delay_alu instid0(VALU_DEP_1) | instskip(NEXT) | instid1(VALU_DEP_1)
	v_dual_add_f32 v80, 1.0, v69 :: v_dual_add_f32 v71, 1.0, v71
	v_add_f32_e32 v67, v67, v71
	s_delay_alu instid0(VALU_DEP_1) | instskip(NEXT) | instid1(VALU_DEP_3)
	v_ldexp_f32 v67, v67, v70
	v_dual_add_f32 v70, -1.0, v69 :: v_dual_add_f32 v71, -1.0, v80
	s_delay_alu instid0(VALU_DEP_1) | instskip(NEXT) | instid1(VALU_DEP_2)
	v_add_f32_e32 v81, 1.0, v70
	v_sub_f32_e32 v71, v69, v71
	s_delay_alu instid0(VALU_DEP_2) | instskip(NEXT) | instid1(VALU_DEP_2)
	v_sub_f32_e32 v69, v69, v81
	v_add_f32_e32 v71, v67, v71
	s_delay_alu instid0(VALU_DEP_2) | instskip(NEXT) | instid1(VALU_DEP_2)
	v_add_f32_e32 v67, v67, v69
	v_add_f32_e32 v81, v80, v71
	s_delay_alu instid0(VALU_DEP_2) | instskip(NEXT) | instid1(VALU_DEP_2)
	v_add_f32_e32 v82, v70, v67
	v_rcp_f32_e32 v69, v81
	v_sub_f32_e32 v80, v80, v81
	s_delay_alu instid0(VALU_DEP_1) | instskip(NEXT) | instid1(VALU_DEP_1)
	v_dual_sub_f32 v70, v70, v82 :: v_dual_add_f32 v71, v71, v80
	v_add_f32_e32 v67, v67, v70
	s_waitcnt_depctr 0xfff
	v_mul_f32_e32 v83, v82, v69
	s_delay_alu instid0(VALU_DEP_1) | instskip(NEXT) | instid1(VALU_DEP_1)
	v_mul_f32_e32 v84, v81, v83
	v_fma_f32 v80, v83, v81, -v84
	s_delay_alu instid0(VALU_DEP_1) | instskip(NEXT) | instid1(VALU_DEP_1)
	v_fmac_f32_e32 v80, v83, v71
	v_add_f32_e32 v86, v84, v80
	s_delay_alu instid0(VALU_DEP_1) | instskip(SKIP_1) | instid1(VALU_DEP_2)
	v_sub_f32_e32 v96, v82, v86
	v_sub_f32_e32 v70, v86, v84
	;; [unrolled: 1-line block ×3, first 2 shown]
	s_delay_alu instid0(VALU_DEP_2) | instskip(NEXT) | instid1(VALU_DEP_2)
	v_sub_f32_e32 v70, v70, v80
	v_sub_f32_e32 v82, v82, v86
	s_delay_alu instid0(VALU_DEP_1) | instskip(NEXT) | instid1(VALU_DEP_1)
	v_add_f32_e32 v67, v67, v82
	v_add_f32_e32 v67, v70, v67
	s_delay_alu instid0(VALU_DEP_1) | instskip(NEXT) | instid1(VALU_DEP_1)
	v_add_f32_e32 v70, v96, v67
	v_mul_f32_e32 v80, v69, v70
	v_sub_f32_e32 v86, v96, v70
	s_delay_alu instid0(VALU_DEP_2) | instskip(NEXT) | instid1(VALU_DEP_1)
	v_mul_f32_e32 v82, v81, v80
	v_fma_f32 v81, v80, v81, -v82
	s_delay_alu instid0(VALU_DEP_1) | instskip(NEXT) | instid1(VALU_DEP_1)
	v_fmac_f32_e32 v81, v80, v71
	v_add_f32_e32 v71, v82, v81
	s_delay_alu instid0(VALU_DEP_1) | instskip(SKIP_1) | instid1(VALU_DEP_2)
	v_sub_f32_e32 v84, v70, v71
	v_sub_f32_e32 v82, v71, v82
	v_dual_sub_f32 v70, v70, v84 :: v_dual_add_f32 v67, v67, v86
	s_delay_alu instid0(VALU_DEP_1) | instskip(NEXT) | instid1(VALU_DEP_3)
	v_sub_f32_e32 v70, v70, v71
	v_sub_f32_e32 v71, v82, v81
	s_delay_alu instid0(VALU_DEP_2) | instskip(SKIP_1) | instid1(VALU_DEP_2)
	v_add_f32_e32 v67, v67, v70
	v_add_f32_e32 v70, v83, v80
	;; [unrolled: 1-line block ×3, first 2 shown]
	s_delay_alu instid0(VALU_DEP_2) | instskip(NEXT) | instid1(VALU_DEP_2)
	v_sub_f32_e32 v71, v70, v83
	v_add_f32_e32 v67, v84, v67
	s_delay_alu instid0(VALU_DEP_2) | instskip(NEXT) | instid1(VALU_DEP_2)
	v_sub_f32_e32 v71, v80, v71
	v_mul_f32_e32 v67, v69, v67
	s_delay_alu instid0(VALU_DEP_1) | instskip(NEXT) | instid1(VALU_DEP_1)
	v_add_f32_e32 v67, v71, v67
	v_add_f32_e32 v69, v70, v67
	s_delay_alu instid0(VALU_DEP_1) | instskip(NEXT) | instid1(VALU_DEP_1)
	v_mul_f32_e32 v71, v69, v69
	v_fmaak_f32 v80, s2, v71, 0x3ecc95a3
	v_cmp_gt_f32_e64 s2, 0x33800000, |v68|
	s_delay_alu instid0(VALU_DEP_1) | instskip(SKIP_1) | instid1(VALU_DEP_3)
	s_or_b32 vcc_lo, vcc_lo, s2
	v_mul_f32_e32 v81, v69, v71
	v_fmaak_f32 v71, v71, v80, 0x3f2aaada
	v_ldexp_f32 v80, v69, 1
	s_delay_alu instid0(VALU_DEP_2) | instskip(NEXT) | instid1(VALU_DEP_1)
	v_mul_f32_e32 v71, v81, v71
	v_dual_sub_f32 v69, v69, v70 :: v_dual_add_f32 v70, v80, v71
	s_delay_alu instid0(VALU_DEP_1) | instskip(NEXT) | instid1(VALU_DEP_2)
	v_sub_f32_e32 v67, v67, v69
	v_sub_f32_e32 v69, v70, v80
	s_delay_alu instid0(VALU_DEP_2) | instskip(NEXT) | instid1(VALU_DEP_2)
	v_ldexp_f32 v67, v67, 1
	v_sub_f32_e32 v69, v71, v69
	s_delay_alu instid0(VALU_DEP_1) | instskip(NEXT) | instid1(VALU_DEP_1)
	v_add_f32_e32 v67, v67, v69
	v_add_f32_e32 v71, v70, v67
	v_mul_f32_e32 v81, 0x3f317218, v66
	s_delay_alu instid0(VALU_DEP_2) | instskip(NEXT) | instid1(VALU_DEP_2)
	v_sub_f32_e32 v70, v71, v70
	v_fma_f32 v80, 0x3f317218, v66, -v81
	s_delay_alu instid0(VALU_DEP_1) | instskip(NEXT) | instid1(VALU_DEP_1)
	v_dual_sub_f32 v67, v67, v70 :: v_dual_fmamk_f32 v66, v66, 0xb102e308, v80
	v_add_f32_e32 v69, v81, v66
	s_delay_alu instid0(VALU_DEP_1) | instskip(SKIP_1) | instid1(VALU_DEP_2)
	v_add_f32_e32 v80, v69, v71
	v_sub_f32_e32 v81, v69, v81
	v_sub_f32_e32 v82, v80, v69
	s_delay_alu instid0(VALU_DEP_1) | instskip(NEXT) | instid1(VALU_DEP_1)
	v_dual_sub_f32 v66, v66, v81 :: v_dual_sub_f32 v83, v80, v82
	v_dual_sub_f32 v70, v71, v82 :: v_dual_add_f32 v71, v66, v67
	s_delay_alu instid0(VALU_DEP_2) | instskip(NEXT) | instid1(VALU_DEP_1)
	v_sub_f32_e32 v69, v69, v83
	v_dual_add_f32 v69, v70, v69 :: v_dual_sub_f32 v70, v71, v66
	s_delay_alu instid0(VALU_DEP_1) | instskip(NEXT) | instid1(VALU_DEP_2)
	v_add_f32_e32 v69, v71, v69
	v_sub_f32_e32 v71, v71, v70
	v_sub_f32_e32 v67, v67, v70
	s_delay_alu instid0(VALU_DEP_2) | instskip(NEXT) | instid1(VALU_DEP_1)
	v_dual_add_f32 v81, v80, v69 :: v_dual_sub_f32 v66, v66, v71
	v_sub_f32_e32 v70, v81, v80
	s_delay_alu instid0(VALU_DEP_2) | instskip(NEXT) | instid1(VALU_DEP_2)
	v_add_f32_e32 v66, v67, v66
	v_sub_f32_e32 v67, v69, v70
	s_delay_alu instid0(VALU_DEP_1) | instskip(NEXT) | instid1(VALU_DEP_1)
	v_add_f32_e32 v66, v66, v67
	v_add_f32_e32 v66, v81, v66
	s_delay_alu instid0(VALU_DEP_1) | instskip(NEXT) | instid1(VALU_DEP_1)
	v_cndmask_b32_e32 v66, v66, v68, vcc_lo
	v_add_f32_e32 v66, v65, v66
.LBB453_208:
	s_or_b32 exec_lo, exec_lo, s1
	s_delay_alu instid0(VALU_DEP_1) | instskip(SKIP_1) | instid1(VALU_DEP_2)
	v_bfe_u32 v65, v66, 16, 1
	v_cmp_o_f32_e32 vcc_lo, v66, v66
	v_add3_u32 v65, v66, v65, 0x7fff
	s_delay_alu instid0(VALU_DEP_1) | instskip(NEXT) | instid1(VALU_DEP_1)
	v_lshrrev_b32_e32 v65, 16, v65
	v_cndmask_b32_e32 v65, 0x7fc0, v65, vcc_lo
	s_delay_alu instid0(VALU_DEP_1) | instskip(NEXT) | instid1(VALU_DEP_1)
	v_lshlrev_b32_e32 v67, 16, v65
	v_max_f32_e32 v66, v67, v67
	s_delay_alu instid0(VALU_DEP_1) | instskip(SKIP_2) | instid1(VALU_DEP_3)
	v_min_f32_e32 v68, v66, v98
	v_max_f32_e32 v66, v66, v98
	v_cmp_u_f32_e32 vcc_lo, v67, v67
	v_cndmask_b32_e32 v68, v68, v67, vcc_lo
	s_delay_alu instid0(VALU_DEP_3) | instskip(NEXT) | instid1(VALU_DEP_2)
	v_cndmask_b32_e32 v66, v66, v67, vcc_lo
	v_cndmask_b32_e64 v68, v68, v85, s10
	s_delay_alu instid0(VALU_DEP_2) | instskip(NEXT) | instid1(VALU_DEP_2)
	v_cndmask_b32_e64 v66, v66, v85, s10
	v_cmp_class_f32_e64 s1, v68, 0x1f8
	s_delay_alu instid0(VALU_DEP_2) | instskip(NEXT) | instid1(VALU_DEP_2)
	v_cmp_neq_f32_e32 vcc_lo, v68, v66
	s_or_b32 s2, vcc_lo, s1
	s_delay_alu instid0(SALU_CYCLE_1)
	s_and_saveexec_b32 s1, s2
	s_cbranch_execz .LBB453_210
; %bb.209:
	v_sub_f32_e32 v67, v68, v66
	s_mov_b32 s2, 0x3e9b6dac
	s_delay_alu instid0(VALU_DEP_1) | instskip(SKIP_1) | instid1(VALU_DEP_2)
	v_mul_f32_e32 v68, 0x3fb8aa3b, v67
	v_cmp_ngt_f32_e32 vcc_lo, 0xc2ce8ed0, v67
	v_fma_f32 v69, 0x3fb8aa3b, v67, -v68
	v_rndne_f32_e32 v70, v68
	s_delay_alu instid0(VALU_DEP_1) | instskip(NEXT) | instid1(VALU_DEP_1)
	v_dual_fmamk_f32 v69, v67, 0x32a5705f, v69 :: v_dual_sub_f32 v68, v68, v70
	v_add_f32_e32 v68, v68, v69
	v_cvt_i32_f32_e32 v69, v70
	s_delay_alu instid0(VALU_DEP_2) | instskip(SKIP_2) | instid1(VALU_DEP_1)
	v_exp_f32_e32 v68, v68
	s_waitcnt_depctr 0xfff
	v_ldexp_f32 v68, v68, v69
	v_cndmask_b32_e32 v68, 0, v68, vcc_lo
	v_cmp_nlt_f32_e32 vcc_lo, 0x42b17218, v67
	s_delay_alu instid0(VALU_DEP_2) | instskip(NEXT) | instid1(VALU_DEP_1)
	v_cndmask_b32_e32 v69, 0x7f800000, v68, vcc_lo
	v_add_f32_e32 v70, 1.0, v69
	s_delay_alu instid0(VALU_DEP_1) | instskip(NEXT) | instid1(VALU_DEP_1)
	v_cvt_f64_f32_e32 v[67:68], v70
	v_frexp_exp_i32_f64_e32 v67, v[67:68]
	v_frexp_mant_f32_e32 v68, v70
	s_delay_alu instid0(VALU_DEP_1) | instskip(SKIP_1) | instid1(VALU_DEP_1)
	v_cmp_gt_f32_e32 vcc_lo, 0x3f2aaaab, v68
	v_add_f32_e32 v68, -1.0, v70
	v_sub_f32_e32 v80, v68, v70
	v_sub_f32_e32 v68, v69, v68
	v_subrev_co_ci_u32_e32 v67, vcc_lo, 0, v67, vcc_lo
	v_cmp_eq_f32_e32 vcc_lo, 0x7f800000, v69
	s_delay_alu instid0(VALU_DEP_2) | instskip(SKIP_1) | instid1(VALU_DEP_2)
	v_sub_nc_u32_e32 v71, 0, v67
	v_cvt_f32_i32_e32 v67, v67
	v_ldexp_f32 v70, v70, v71
	s_delay_alu instid0(VALU_DEP_1) | instskip(NEXT) | instid1(VALU_DEP_1)
	v_dual_add_f32 v81, 1.0, v70 :: v_dual_add_f32 v80, 1.0, v80
	v_add_f32_e32 v68, v68, v80
	s_delay_alu instid0(VALU_DEP_2) | instskip(NEXT) | instid1(VALU_DEP_2)
	v_add_f32_e32 v80, -1.0, v81
	v_ldexp_f32 v68, v68, v71
	s_delay_alu instid0(VALU_DEP_2) | instskip(NEXT) | instid1(VALU_DEP_1)
	v_dual_add_f32 v71, -1.0, v70 :: v_dual_sub_f32 v80, v70, v80
	v_add_f32_e32 v82, 1.0, v71
	s_delay_alu instid0(VALU_DEP_2) | instskip(NEXT) | instid1(VALU_DEP_2)
	v_add_f32_e32 v80, v68, v80
	v_sub_f32_e32 v70, v70, v82
	s_delay_alu instid0(VALU_DEP_2) | instskip(NEXT) | instid1(VALU_DEP_2)
	v_add_f32_e32 v82, v81, v80
	v_add_f32_e32 v68, v68, v70
	s_delay_alu instid0(VALU_DEP_2) | instskip(SKIP_1) | instid1(VALU_DEP_1)
	v_rcp_f32_e32 v70, v82
	v_sub_f32_e32 v81, v81, v82
	v_dual_add_f32 v83, v71, v68 :: v_dual_add_f32 v80, v80, v81
	s_delay_alu instid0(VALU_DEP_1) | instskip(SKIP_2) | instid1(VALU_DEP_1)
	v_sub_f32_e32 v71, v71, v83
	s_waitcnt_depctr 0xfff
	v_mul_f32_e32 v84, v83, v70
	v_dual_add_f32 v68, v68, v71 :: v_dual_mul_f32 v85, v82, v84
	s_delay_alu instid0(VALU_DEP_1) | instskip(NEXT) | instid1(VALU_DEP_1)
	v_fma_f32 v81, v84, v82, -v85
	v_fmac_f32_e32 v81, v84, v80
	s_delay_alu instid0(VALU_DEP_1) | instskip(NEXT) | instid1(VALU_DEP_1)
	v_add_f32_e32 v86, v85, v81
	v_dual_sub_f32 v96, v83, v86 :: v_dual_sub_f32 v71, v86, v85
	s_delay_alu instid0(VALU_DEP_1) | instskip(NEXT) | instid1(VALU_DEP_2)
	v_sub_f32_e32 v83, v83, v96
	v_sub_f32_e32 v71, v71, v81
	s_delay_alu instid0(VALU_DEP_2) | instskip(NEXT) | instid1(VALU_DEP_1)
	v_sub_f32_e32 v83, v83, v86
	v_add_f32_e32 v68, v68, v83
	s_delay_alu instid0(VALU_DEP_1) | instskip(NEXT) | instid1(VALU_DEP_1)
	v_add_f32_e32 v68, v71, v68
	v_add_f32_e32 v71, v96, v68
	s_delay_alu instid0(VALU_DEP_1) | instskip(NEXT) | instid1(VALU_DEP_1)
	v_mul_f32_e32 v81, v70, v71
	v_dual_sub_f32 v86, v96, v71 :: v_dual_mul_f32 v83, v82, v81
	s_delay_alu instid0(VALU_DEP_1) | instskip(NEXT) | instid1(VALU_DEP_2)
	v_add_f32_e32 v68, v68, v86
	v_fma_f32 v82, v81, v82, -v83
	s_delay_alu instid0(VALU_DEP_1) | instskip(NEXT) | instid1(VALU_DEP_1)
	v_fmac_f32_e32 v82, v81, v80
	v_add_f32_e32 v80, v83, v82
	s_delay_alu instid0(VALU_DEP_1) | instskip(SKIP_1) | instid1(VALU_DEP_2)
	v_sub_f32_e32 v85, v71, v80
	v_sub_f32_e32 v83, v80, v83
	;; [unrolled: 1-line block ×3, first 2 shown]
	s_delay_alu instid0(VALU_DEP_1) | instskip(NEXT) | instid1(VALU_DEP_3)
	v_sub_f32_e32 v71, v71, v80
	v_sub_f32_e32 v80, v83, v82
	s_delay_alu instid0(VALU_DEP_2) | instskip(SKIP_1) | instid1(VALU_DEP_2)
	v_add_f32_e32 v68, v68, v71
	v_add_f32_e32 v71, v84, v81
	;; [unrolled: 1-line block ×3, first 2 shown]
	s_delay_alu instid0(VALU_DEP_2) | instskip(NEXT) | instid1(VALU_DEP_2)
	v_sub_f32_e32 v80, v71, v84
	v_add_f32_e32 v68, v85, v68
	s_delay_alu instid0(VALU_DEP_2) | instskip(NEXT) | instid1(VALU_DEP_2)
	v_sub_f32_e32 v80, v81, v80
	v_mul_f32_e32 v68, v70, v68
	s_delay_alu instid0(VALU_DEP_1) | instskip(NEXT) | instid1(VALU_DEP_1)
	v_add_f32_e32 v68, v80, v68
	v_add_f32_e32 v70, v71, v68
	s_delay_alu instid0(VALU_DEP_1) | instskip(NEXT) | instid1(VALU_DEP_1)
	v_mul_f32_e32 v80, v70, v70
	v_fmaak_f32 v81, s2, v80, 0x3ecc95a3
	v_mul_f32_e32 v82, v70, v80
	v_cmp_gt_f32_e64 s2, 0x33800000, |v69|
	s_delay_alu instid0(VALU_DEP_3) | instskip(SKIP_2) | instid1(VALU_DEP_4)
	v_fmaak_f32 v80, v80, v81, 0x3f2aaada
	v_ldexp_f32 v81, v70, 1
	v_sub_f32_e32 v70, v70, v71
	s_or_b32 vcc_lo, vcc_lo, s2
	s_delay_alu instid0(VALU_DEP_3) | instskip(SKIP_1) | instid1(VALU_DEP_2)
	v_mul_f32_e32 v80, v82, v80
	v_mul_f32_e32 v82, 0x3f317218, v67
	v_dual_sub_f32 v68, v68, v70 :: v_dual_add_f32 v71, v81, v80
	s_delay_alu instid0(VALU_DEP_1) | instskip(NEXT) | instid1(VALU_DEP_2)
	v_ldexp_f32 v68, v68, 1
	v_sub_f32_e32 v70, v71, v81
	s_delay_alu instid0(VALU_DEP_4) | instskip(NEXT) | instid1(VALU_DEP_1)
	v_fma_f32 v81, 0x3f317218, v67, -v82
	v_dual_sub_f32 v70, v80, v70 :: v_dual_fmamk_f32 v67, v67, 0xb102e308, v81
	s_delay_alu instid0(VALU_DEP_1) | instskip(NEXT) | instid1(VALU_DEP_2)
	v_add_f32_e32 v68, v68, v70
	v_add_f32_e32 v70, v82, v67
	s_delay_alu instid0(VALU_DEP_2) | instskip(NEXT) | instid1(VALU_DEP_2)
	v_add_f32_e32 v80, v71, v68
	v_sub_f32_e32 v82, v70, v82
	s_delay_alu instid0(VALU_DEP_2) | instskip(SKIP_1) | instid1(VALU_DEP_3)
	v_add_f32_e32 v81, v70, v80
	v_sub_f32_e32 v71, v80, v71
	v_sub_f32_e32 v67, v67, v82
	s_delay_alu instid0(VALU_DEP_2) | instskip(NEXT) | instid1(VALU_DEP_1)
	v_dual_sub_f32 v83, v81, v70 :: v_dual_sub_f32 v68, v68, v71
	v_sub_f32_e32 v84, v81, v83
	s_delay_alu instid0(VALU_DEP_2) | instskip(NEXT) | instid1(VALU_DEP_2)
	v_dual_sub_f32 v71, v80, v83 :: v_dual_add_f32 v80, v67, v68
	v_sub_f32_e32 v70, v70, v84
	s_delay_alu instid0(VALU_DEP_1) | instskip(NEXT) | instid1(VALU_DEP_1)
	v_dual_add_f32 v70, v71, v70 :: v_dual_sub_f32 v71, v80, v67
	v_add_f32_e32 v70, v80, v70
	s_delay_alu instid0(VALU_DEP_2) | instskip(SKIP_1) | instid1(VALU_DEP_2)
	v_sub_f32_e32 v80, v80, v71
	v_sub_f32_e32 v68, v68, v71
	v_dual_add_f32 v82, v81, v70 :: v_dual_sub_f32 v67, v67, v80
	s_delay_alu instid0(VALU_DEP_1) | instskip(NEXT) | instid1(VALU_DEP_2)
	v_sub_f32_e32 v71, v82, v81
	v_add_f32_e32 v67, v68, v67
	s_delay_alu instid0(VALU_DEP_2) | instskip(NEXT) | instid1(VALU_DEP_1)
	v_sub_f32_e32 v68, v70, v71
	v_add_f32_e32 v67, v67, v68
	s_delay_alu instid0(VALU_DEP_1) | instskip(NEXT) | instid1(VALU_DEP_1)
	v_add_f32_e32 v67, v82, v67
	v_cndmask_b32_e32 v67, v67, v69, vcc_lo
	s_delay_alu instid0(VALU_DEP_1)
	v_add_f32_e32 v67, v66, v67
.LBB453_210:
	s_or_b32 exec_lo, exec_lo, s1
	s_delay_alu instid0(VALU_DEP_1) | instskip(SKIP_1) | instid1(VALU_DEP_2)
	v_bfe_u32 v66, v67, 16, 1
	v_cmp_o_f32_e32 vcc_lo, v67, v67
	v_add3_u32 v66, v67, v66, 0x7fff
	s_delay_alu instid0(VALU_DEP_1) | instskip(NEXT) | instid1(VALU_DEP_1)
	v_lshrrev_b32_e32 v66, 16, v66
	v_cndmask_b32_e32 v66, 0x7fc0, v66, vcc_lo
	s_delay_alu instid0(VALU_DEP_1) | instskip(NEXT) | instid1(VALU_DEP_1)
	v_lshlrev_b32_e32 v68, 16, v66
	v_max_f32_e32 v67, v68, v68
	s_delay_alu instid0(VALU_DEP_1) | instskip(SKIP_2) | instid1(VALU_DEP_3)
	v_min_f32_e32 v69, v67, v100
	v_max_f32_e32 v67, v67, v100
	v_cmp_u_f32_e32 vcc_lo, v68, v68
	v_cndmask_b32_e32 v69, v69, v68, vcc_lo
	s_delay_alu instid0(VALU_DEP_3) | instskip(NEXT) | instid1(VALU_DEP_2)
	v_cndmask_b32_e32 v67, v67, v68, vcc_lo
	v_cndmask_b32_e64 v69, v69, v87, s11
	s_delay_alu instid0(VALU_DEP_2) | instskip(NEXT) | instid1(VALU_DEP_2)
	v_cndmask_b32_e64 v67, v67, v87, s11
	v_cmp_class_f32_e64 s1, v69, 0x1f8
	s_delay_alu instid0(VALU_DEP_2) | instskip(NEXT) | instid1(VALU_DEP_2)
	v_cmp_neq_f32_e32 vcc_lo, v69, v67
	s_or_b32 s2, vcc_lo, s1
	s_delay_alu instid0(SALU_CYCLE_1)
	s_and_saveexec_b32 s1, s2
	s_cbranch_execz .LBB453_212
; %bb.211:
	v_sub_f32_e32 v68, v69, v67
	s_mov_b32 s2, 0x3e9b6dac
	s_delay_alu instid0(VALU_DEP_1) | instskip(SKIP_1) | instid1(VALU_DEP_2)
	v_mul_f32_e32 v69, 0x3fb8aa3b, v68
	v_cmp_ngt_f32_e32 vcc_lo, 0xc2ce8ed0, v68
	v_fma_f32 v70, 0x3fb8aa3b, v68, -v69
	v_rndne_f32_e32 v71, v69
	s_delay_alu instid0(VALU_DEP_1) | instskip(NEXT) | instid1(VALU_DEP_1)
	v_dual_fmamk_f32 v70, v68, 0x32a5705f, v70 :: v_dual_sub_f32 v69, v69, v71
	v_add_f32_e32 v69, v69, v70
	v_cvt_i32_f32_e32 v70, v71
	s_delay_alu instid0(VALU_DEP_2) | instskip(SKIP_2) | instid1(VALU_DEP_1)
	v_exp_f32_e32 v69, v69
	s_waitcnt_depctr 0xfff
	v_ldexp_f32 v69, v69, v70
	v_cndmask_b32_e32 v69, 0, v69, vcc_lo
	v_cmp_nlt_f32_e32 vcc_lo, 0x42b17218, v68
	s_delay_alu instid0(VALU_DEP_2) | instskip(NEXT) | instid1(VALU_DEP_1)
	v_cndmask_b32_e32 v70, 0x7f800000, v69, vcc_lo
	v_add_f32_e32 v71, 1.0, v70
	s_delay_alu instid0(VALU_DEP_1) | instskip(NEXT) | instid1(VALU_DEP_1)
	v_cvt_f64_f32_e32 v[68:69], v71
	v_frexp_exp_i32_f64_e32 v68, v[68:69]
	v_frexp_mant_f32_e32 v69, v71
	s_delay_alu instid0(VALU_DEP_1) | instskip(SKIP_1) | instid1(VALU_DEP_1)
	v_cmp_gt_f32_e32 vcc_lo, 0x3f2aaaab, v69
	v_add_f32_e32 v69, -1.0, v71
	v_sub_f32_e32 v81, v69, v71
	v_sub_f32_e32 v69, v70, v69
	v_subrev_co_ci_u32_e32 v68, vcc_lo, 0, v68, vcc_lo
	v_cmp_eq_f32_e32 vcc_lo, 0x7f800000, v70
	s_delay_alu instid0(VALU_DEP_2) | instskip(SKIP_1) | instid1(VALU_DEP_2)
	v_sub_nc_u32_e32 v80, 0, v68
	v_cvt_f32_i32_e32 v68, v68
	v_ldexp_f32 v71, v71, v80
	s_delay_alu instid0(VALU_DEP_1) | instskip(NEXT) | instid1(VALU_DEP_1)
	v_dual_add_f32 v82, 1.0, v71 :: v_dual_add_f32 v81, 1.0, v81
	v_add_f32_e32 v69, v69, v81
	s_delay_alu instid0(VALU_DEP_2) | instskip(NEXT) | instid1(VALU_DEP_2)
	v_add_f32_e32 v81, -1.0, v82
	v_ldexp_f32 v69, v69, v80
	s_delay_alu instid0(VALU_DEP_2) | instskip(NEXT) | instid1(VALU_DEP_1)
	v_dual_add_f32 v80, -1.0, v71 :: v_dual_sub_f32 v81, v71, v81
	v_add_f32_e32 v83, 1.0, v80
	s_delay_alu instid0(VALU_DEP_2) | instskip(NEXT) | instid1(VALU_DEP_2)
	v_add_f32_e32 v81, v69, v81
	v_sub_f32_e32 v71, v71, v83
	s_delay_alu instid0(VALU_DEP_2) | instskip(NEXT) | instid1(VALU_DEP_2)
	v_add_f32_e32 v83, v82, v81
	v_add_f32_e32 v69, v69, v71
	s_delay_alu instid0(VALU_DEP_2) | instskip(SKIP_1) | instid1(VALU_DEP_1)
	v_rcp_f32_e32 v71, v83
	v_sub_f32_e32 v82, v82, v83
	v_dual_add_f32 v84, v80, v69 :: v_dual_add_f32 v81, v81, v82
	s_delay_alu instid0(VALU_DEP_1) | instskip(SKIP_2) | instid1(VALU_DEP_1)
	v_sub_f32_e32 v80, v80, v84
	s_waitcnt_depctr 0xfff
	v_mul_f32_e32 v85, v84, v71
	v_dual_add_f32 v69, v69, v80 :: v_dual_mul_f32 v86, v83, v85
	s_delay_alu instid0(VALU_DEP_1) | instskip(NEXT) | instid1(VALU_DEP_1)
	v_fma_f32 v82, v85, v83, -v86
	v_fmac_f32_e32 v82, v85, v81
	s_delay_alu instid0(VALU_DEP_1) | instskip(NEXT) | instid1(VALU_DEP_1)
	v_add_f32_e32 v87, v86, v82
	v_sub_f32_e32 v96, v84, v87
	v_sub_f32_e32 v80, v87, v86
	s_delay_alu instid0(VALU_DEP_2) | instskip(NEXT) | instid1(VALU_DEP_2)
	v_sub_f32_e32 v84, v84, v96
	v_sub_f32_e32 v80, v80, v82
	s_delay_alu instid0(VALU_DEP_2) | instskip(NEXT) | instid1(VALU_DEP_1)
	v_sub_f32_e32 v84, v84, v87
	v_add_f32_e32 v69, v69, v84
	s_delay_alu instid0(VALU_DEP_1) | instskip(NEXT) | instid1(VALU_DEP_1)
	v_add_f32_e32 v69, v80, v69
	v_add_f32_e32 v80, v96, v69
	s_delay_alu instid0(VALU_DEP_1) | instskip(NEXT) | instid1(VALU_DEP_1)
	v_mul_f32_e32 v82, v71, v80
	v_dual_sub_f32 v87, v96, v80 :: v_dual_mul_f32 v84, v83, v82
	s_delay_alu instid0(VALU_DEP_1) | instskip(NEXT) | instid1(VALU_DEP_2)
	v_add_f32_e32 v69, v69, v87
	v_fma_f32 v83, v82, v83, -v84
	s_delay_alu instid0(VALU_DEP_1) | instskip(NEXT) | instid1(VALU_DEP_1)
	v_fmac_f32_e32 v83, v82, v81
	v_add_f32_e32 v81, v84, v83
	s_delay_alu instid0(VALU_DEP_1) | instskip(SKIP_1) | instid1(VALU_DEP_2)
	v_sub_f32_e32 v86, v80, v81
	v_sub_f32_e32 v84, v81, v84
	;; [unrolled: 1-line block ×3, first 2 shown]
	s_delay_alu instid0(VALU_DEP_1) | instskip(NEXT) | instid1(VALU_DEP_3)
	v_sub_f32_e32 v80, v80, v81
	v_sub_f32_e32 v81, v84, v83
	s_delay_alu instid0(VALU_DEP_2) | instskip(SKIP_1) | instid1(VALU_DEP_2)
	v_add_f32_e32 v69, v69, v80
	v_add_f32_e32 v80, v85, v82
	;; [unrolled: 1-line block ×3, first 2 shown]
	s_delay_alu instid0(VALU_DEP_2) | instskip(NEXT) | instid1(VALU_DEP_2)
	v_sub_f32_e32 v81, v80, v85
	v_add_f32_e32 v69, v86, v69
	s_delay_alu instid0(VALU_DEP_2) | instskip(NEXT) | instid1(VALU_DEP_2)
	v_sub_f32_e32 v81, v82, v81
	v_mul_f32_e32 v69, v71, v69
	s_delay_alu instid0(VALU_DEP_1) | instskip(NEXT) | instid1(VALU_DEP_1)
	v_add_f32_e32 v69, v81, v69
	v_add_f32_e32 v71, v80, v69
	s_delay_alu instid0(VALU_DEP_1) | instskip(NEXT) | instid1(VALU_DEP_1)
	v_mul_f32_e32 v81, v71, v71
	v_fmaak_f32 v82, s2, v81, 0x3ecc95a3
	v_mul_f32_e32 v83, v71, v81
	v_cmp_gt_f32_e64 s2, 0x33800000, |v70|
	s_delay_alu instid0(VALU_DEP_3) | instskip(SKIP_2) | instid1(VALU_DEP_4)
	v_fmaak_f32 v81, v81, v82, 0x3f2aaada
	v_ldexp_f32 v82, v71, 1
	v_sub_f32_e32 v71, v71, v80
	s_or_b32 vcc_lo, vcc_lo, s2
	s_delay_alu instid0(VALU_DEP_3) | instskip(SKIP_1) | instid1(VALU_DEP_2)
	v_mul_f32_e32 v81, v83, v81
	v_mul_f32_e32 v83, 0x3f317218, v68
	v_dual_sub_f32 v69, v69, v71 :: v_dual_add_f32 v80, v82, v81
	s_delay_alu instid0(VALU_DEP_1) | instskip(NEXT) | instid1(VALU_DEP_2)
	v_ldexp_f32 v69, v69, 1
	v_sub_f32_e32 v71, v80, v82
	s_delay_alu instid0(VALU_DEP_4) | instskip(NEXT) | instid1(VALU_DEP_1)
	v_fma_f32 v82, 0x3f317218, v68, -v83
	v_dual_sub_f32 v71, v81, v71 :: v_dual_fmamk_f32 v68, v68, 0xb102e308, v82
	s_delay_alu instid0(VALU_DEP_1) | instskip(NEXT) | instid1(VALU_DEP_2)
	v_add_f32_e32 v69, v69, v71
	v_add_f32_e32 v71, v83, v68
	s_delay_alu instid0(VALU_DEP_2) | instskip(NEXT) | instid1(VALU_DEP_2)
	v_add_f32_e32 v81, v80, v69
	v_sub_f32_e32 v83, v71, v83
	s_delay_alu instid0(VALU_DEP_2) | instskip(SKIP_1) | instid1(VALU_DEP_3)
	v_add_f32_e32 v82, v71, v81
	v_sub_f32_e32 v80, v81, v80
	v_sub_f32_e32 v68, v68, v83
	s_delay_alu instid0(VALU_DEP_2) | instskip(NEXT) | instid1(VALU_DEP_1)
	v_dual_sub_f32 v84, v82, v71 :: v_dual_sub_f32 v69, v69, v80
	v_sub_f32_e32 v85, v82, v84
	s_delay_alu instid0(VALU_DEP_2) | instskip(NEXT) | instid1(VALU_DEP_2)
	v_dual_sub_f32 v80, v81, v84 :: v_dual_add_f32 v81, v68, v69
	v_sub_f32_e32 v71, v71, v85
	s_delay_alu instid0(VALU_DEP_1) | instskip(NEXT) | instid1(VALU_DEP_1)
	v_dual_add_f32 v71, v80, v71 :: v_dual_sub_f32 v80, v81, v68
	v_add_f32_e32 v71, v81, v71
	s_delay_alu instid0(VALU_DEP_2) | instskip(SKIP_1) | instid1(VALU_DEP_2)
	v_sub_f32_e32 v81, v81, v80
	v_sub_f32_e32 v69, v69, v80
	v_dual_add_f32 v83, v82, v71 :: v_dual_sub_f32 v68, v68, v81
	s_delay_alu instid0(VALU_DEP_1) | instskip(NEXT) | instid1(VALU_DEP_2)
	v_sub_f32_e32 v80, v83, v82
	v_add_f32_e32 v68, v69, v68
	s_delay_alu instid0(VALU_DEP_2) | instskip(NEXT) | instid1(VALU_DEP_1)
	v_sub_f32_e32 v69, v71, v80
	v_add_f32_e32 v68, v68, v69
	s_delay_alu instid0(VALU_DEP_1) | instskip(NEXT) | instid1(VALU_DEP_1)
	v_add_f32_e32 v68, v83, v68
	v_cndmask_b32_e32 v68, v68, v70, vcc_lo
	s_delay_alu instid0(VALU_DEP_1)
	v_add_f32_e32 v68, v67, v68
.LBB453_212:
	s_or_b32 exec_lo, exec_lo, s1
	s_delay_alu instid0(VALU_DEP_1) | instskip(SKIP_1) | instid1(VALU_DEP_2)
	v_bfe_u32 v67, v68, 16, 1
	v_cmp_o_f32_e32 vcc_lo, v68, v68
	v_add3_u32 v67, v68, v67, 0x7fff
	s_delay_alu instid0(VALU_DEP_1) | instskip(NEXT) | instid1(VALU_DEP_1)
	v_lshrrev_b32_e32 v67, 16, v67
	v_cndmask_b32_e32 v67, 0x7fc0, v67, vcc_lo
	s_delay_alu instid0(VALU_DEP_1) | instskip(NEXT) | instid1(VALU_DEP_1)
	v_lshlrev_b32_e32 v69, 16, v67
	v_max_f32_e32 v68, v69, v69
	s_delay_alu instid0(VALU_DEP_1) | instskip(SKIP_2) | instid1(VALU_DEP_3)
	v_min_f32_e32 v70, v68, v102
	v_max_f32_e32 v68, v68, v102
	v_cmp_u_f32_e32 vcc_lo, v69, v69
	v_cndmask_b32_e32 v70, v70, v69, vcc_lo
	s_delay_alu instid0(VALU_DEP_3) | instskip(NEXT) | instid1(VALU_DEP_2)
	v_cndmask_b32_e32 v68, v68, v69, vcc_lo
	v_cndmask_b32_e64 v70, v70, v97, s13
	s_delay_alu instid0(VALU_DEP_2) | instskip(NEXT) | instid1(VALU_DEP_2)
	v_cndmask_b32_e64 v68, v68, v97, s13
	v_cmp_class_f32_e64 s1, v70, 0x1f8
	s_delay_alu instid0(VALU_DEP_2) | instskip(NEXT) | instid1(VALU_DEP_2)
	v_cmp_neq_f32_e32 vcc_lo, v70, v68
	s_or_b32 s2, vcc_lo, s1
	s_delay_alu instid0(SALU_CYCLE_1)
	s_and_saveexec_b32 s1, s2
	s_cbranch_execz .LBB453_214
; %bb.213:
	v_sub_f32_e32 v69, v70, v68
	s_mov_b32 s2, 0x3e9b6dac
	s_delay_alu instid0(VALU_DEP_1) | instskip(SKIP_1) | instid1(VALU_DEP_2)
	v_mul_f32_e32 v70, 0x3fb8aa3b, v69
	v_cmp_ngt_f32_e32 vcc_lo, 0xc2ce8ed0, v69
	v_fma_f32 v71, 0x3fb8aa3b, v69, -v70
	v_rndne_f32_e32 v80, v70
	s_delay_alu instid0(VALU_DEP_1) | instskip(NEXT) | instid1(VALU_DEP_1)
	v_dual_fmamk_f32 v71, v69, 0x32a5705f, v71 :: v_dual_sub_f32 v70, v70, v80
	v_add_f32_e32 v70, v70, v71
	v_cvt_i32_f32_e32 v71, v80
	s_delay_alu instid0(VALU_DEP_2) | instskip(SKIP_2) | instid1(VALU_DEP_1)
	v_exp_f32_e32 v70, v70
	s_waitcnt_depctr 0xfff
	v_ldexp_f32 v70, v70, v71
	v_cndmask_b32_e32 v70, 0, v70, vcc_lo
	v_cmp_nlt_f32_e32 vcc_lo, 0x42b17218, v69
	s_delay_alu instid0(VALU_DEP_2) | instskip(NEXT) | instid1(VALU_DEP_1)
	v_cndmask_b32_e32 v71, 0x7f800000, v70, vcc_lo
	v_add_f32_e32 v80, 1.0, v71
	s_delay_alu instid0(VALU_DEP_1) | instskip(NEXT) | instid1(VALU_DEP_1)
	v_cvt_f64_f32_e32 v[69:70], v80
	v_frexp_exp_i32_f64_e32 v69, v[69:70]
	v_frexp_mant_f32_e32 v70, v80
	s_delay_alu instid0(VALU_DEP_1) | instskip(SKIP_1) | instid1(VALU_DEP_1)
	v_cmp_gt_f32_e32 vcc_lo, 0x3f2aaaab, v70
	v_add_f32_e32 v70, -1.0, v80
	v_sub_f32_e32 v82, v70, v80
	v_sub_f32_e32 v70, v71, v70
	v_subrev_co_ci_u32_e32 v69, vcc_lo, 0, v69, vcc_lo
	v_cmp_eq_f32_e32 vcc_lo, 0x7f800000, v71
	s_delay_alu instid0(VALU_DEP_2) | instskip(SKIP_1) | instid1(VALU_DEP_2)
	v_sub_nc_u32_e32 v81, 0, v69
	v_cvt_f32_i32_e32 v69, v69
	v_ldexp_f32 v80, v80, v81
	s_delay_alu instid0(VALU_DEP_1) | instskip(NEXT) | instid1(VALU_DEP_1)
	v_dual_add_f32 v83, 1.0, v80 :: v_dual_add_f32 v82, 1.0, v82
	v_add_f32_e32 v70, v70, v82
	s_delay_alu instid0(VALU_DEP_2) | instskip(NEXT) | instid1(VALU_DEP_2)
	v_add_f32_e32 v82, -1.0, v83
	v_ldexp_f32 v70, v70, v81
	s_delay_alu instid0(VALU_DEP_2) | instskip(NEXT) | instid1(VALU_DEP_1)
	v_dual_add_f32 v81, -1.0, v80 :: v_dual_sub_f32 v82, v80, v82
	v_add_f32_e32 v84, 1.0, v81
	s_delay_alu instid0(VALU_DEP_2) | instskip(NEXT) | instid1(VALU_DEP_2)
	v_add_f32_e32 v82, v70, v82
	v_sub_f32_e32 v80, v80, v84
	s_delay_alu instid0(VALU_DEP_2) | instskip(NEXT) | instid1(VALU_DEP_2)
	v_add_f32_e32 v84, v83, v82
	v_add_f32_e32 v70, v70, v80
	s_delay_alu instid0(VALU_DEP_2) | instskip(SKIP_1) | instid1(VALU_DEP_1)
	v_rcp_f32_e32 v80, v84
	v_sub_f32_e32 v83, v83, v84
	v_dual_add_f32 v85, v81, v70 :: v_dual_add_f32 v82, v82, v83
	s_delay_alu instid0(VALU_DEP_1) | instskip(SKIP_2) | instid1(VALU_DEP_1)
	v_sub_f32_e32 v81, v81, v85
	s_waitcnt_depctr 0xfff
	v_mul_f32_e32 v86, v85, v80
	v_dual_add_f32 v70, v70, v81 :: v_dual_mul_f32 v87, v84, v86
	s_delay_alu instid0(VALU_DEP_1) | instskip(NEXT) | instid1(VALU_DEP_1)
	v_fma_f32 v83, v86, v84, -v87
	v_fmac_f32_e32 v83, v86, v82
	s_delay_alu instid0(VALU_DEP_1) | instskip(NEXT) | instid1(VALU_DEP_1)
	v_add_f32_e32 v96, v87, v83
	v_sub_f32_e32 v97, v85, v96
	v_sub_f32_e32 v81, v96, v87
	s_delay_alu instid0(VALU_DEP_2) | instskip(NEXT) | instid1(VALU_DEP_2)
	v_sub_f32_e32 v85, v85, v97
	v_sub_f32_e32 v81, v81, v83
	s_delay_alu instid0(VALU_DEP_2) | instskip(NEXT) | instid1(VALU_DEP_1)
	v_sub_f32_e32 v85, v85, v96
	v_add_f32_e32 v70, v70, v85
	s_delay_alu instid0(VALU_DEP_1) | instskip(NEXT) | instid1(VALU_DEP_1)
	v_add_f32_e32 v70, v81, v70
	v_add_f32_e32 v81, v97, v70
	s_delay_alu instid0(VALU_DEP_1) | instskip(NEXT) | instid1(VALU_DEP_1)
	v_mul_f32_e32 v83, v80, v81
	v_dual_sub_f32 v96, v97, v81 :: v_dual_mul_f32 v85, v84, v83
	s_delay_alu instid0(VALU_DEP_1) | instskip(NEXT) | instid1(VALU_DEP_2)
	v_add_f32_e32 v70, v70, v96
	v_fma_f32 v84, v83, v84, -v85
	s_delay_alu instid0(VALU_DEP_1) | instskip(NEXT) | instid1(VALU_DEP_1)
	v_fmac_f32_e32 v84, v83, v82
	v_add_f32_e32 v82, v85, v84
	s_delay_alu instid0(VALU_DEP_1) | instskip(SKIP_1) | instid1(VALU_DEP_2)
	v_sub_f32_e32 v87, v81, v82
	v_sub_f32_e32 v85, v82, v85
	;; [unrolled: 1-line block ×3, first 2 shown]
	s_delay_alu instid0(VALU_DEP_1) | instskip(NEXT) | instid1(VALU_DEP_3)
	v_sub_f32_e32 v81, v81, v82
	v_sub_f32_e32 v82, v85, v84
	s_delay_alu instid0(VALU_DEP_2) | instskip(SKIP_1) | instid1(VALU_DEP_2)
	v_add_f32_e32 v70, v70, v81
	v_add_f32_e32 v81, v86, v83
	;; [unrolled: 1-line block ×3, first 2 shown]
	s_delay_alu instid0(VALU_DEP_2) | instskip(NEXT) | instid1(VALU_DEP_2)
	v_sub_f32_e32 v82, v81, v86
	v_add_f32_e32 v70, v87, v70
	s_delay_alu instid0(VALU_DEP_2) | instskip(NEXT) | instid1(VALU_DEP_2)
	v_sub_f32_e32 v82, v83, v82
	v_mul_f32_e32 v70, v80, v70
	s_delay_alu instid0(VALU_DEP_1) | instskip(NEXT) | instid1(VALU_DEP_1)
	v_add_f32_e32 v70, v82, v70
	v_add_f32_e32 v80, v81, v70
	s_delay_alu instid0(VALU_DEP_1) | instskip(NEXT) | instid1(VALU_DEP_1)
	v_mul_f32_e32 v82, v80, v80
	v_fmaak_f32 v83, s2, v82, 0x3ecc95a3
	v_mul_f32_e32 v84, v80, v82
	v_cmp_gt_f32_e64 s2, 0x33800000, |v71|
	s_delay_alu instid0(VALU_DEP_3) | instskip(SKIP_2) | instid1(VALU_DEP_4)
	v_fmaak_f32 v82, v82, v83, 0x3f2aaada
	v_ldexp_f32 v83, v80, 1
	v_sub_f32_e32 v80, v80, v81
	s_or_b32 vcc_lo, vcc_lo, s2
	s_delay_alu instid0(VALU_DEP_3) | instskip(SKIP_1) | instid1(VALU_DEP_2)
	v_mul_f32_e32 v82, v84, v82
	v_mul_f32_e32 v84, 0x3f317218, v69
	v_dual_sub_f32 v70, v70, v80 :: v_dual_add_f32 v81, v83, v82
	s_delay_alu instid0(VALU_DEP_1) | instskip(NEXT) | instid1(VALU_DEP_2)
	v_ldexp_f32 v70, v70, 1
	v_sub_f32_e32 v80, v81, v83
	s_delay_alu instid0(VALU_DEP_4) | instskip(NEXT) | instid1(VALU_DEP_1)
	v_fma_f32 v83, 0x3f317218, v69, -v84
	v_dual_sub_f32 v80, v82, v80 :: v_dual_fmamk_f32 v69, v69, 0xb102e308, v83
	s_delay_alu instid0(VALU_DEP_1) | instskip(NEXT) | instid1(VALU_DEP_2)
	v_add_f32_e32 v70, v70, v80
	v_add_f32_e32 v80, v84, v69
	s_delay_alu instid0(VALU_DEP_2) | instskip(NEXT) | instid1(VALU_DEP_2)
	v_add_f32_e32 v82, v81, v70
	v_sub_f32_e32 v84, v80, v84
	s_delay_alu instid0(VALU_DEP_2) | instskip(SKIP_1) | instid1(VALU_DEP_3)
	v_add_f32_e32 v83, v80, v82
	v_sub_f32_e32 v81, v82, v81
	v_sub_f32_e32 v69, v69, v84
	s_delay_alu instid0(VALU_DEP_2) | instskip(NEXT) | instid1(VALU_DEP_1)
	v_dual_sub_f32 v85, v83, v80 :: v_dual_sub_f32 v70, v70, v81
	v_sub_f32_e32 v86, v83, v85
	s_delay_alu instid0(VALU_DEP_2) | instskip(NEXT) | instid1(VALU_DEP_2)
	v_dual_sub_f32 v81, v82, v85 :: v_dual_add_f32 v82, v69, v70
	v_sub_f32_e32 v80, v80, v86
	s_delay_alu instid0(VALU_DEP_1) | instskip(NEXT) | instid1(VALU_DEP_1)
	v_dual_add_f32 v80, v81, v80 :: v_dual_sub_f32 v81, v82, v69
	v_add_f32_e32 v80, v82, v80
	s_delay_alu instid0(VALU_DEP_2) | instskip(SKIP_1) | instid1(VALU_DEP_2)
	v_sub_f32_e32 v82, v82, v81
	v_sub_f32_e32 v70, v70, v81
	v_dual_add_f32 v84, v83, v80 :: v_dual_sub_f32 v69, v69, v82
	s_delay_alu instid0(VALU_DEP_1) | instskip(NEXT) | instid1(VALU_DEP_2)
	v_sub_f32_e32 v81, v84, v83
	v_add_f32_e32 v69, v70, v69
	s_delay_alu instid0(VALU_DEP_2) | instskip(NEXT) | instid1(VALU_DEP_1)
	v_sub_f32_e32 v70, v80, v81
	v_add_f32_e32 v69, v69, v70
	s_delay_alu instid0(VALU_DEP_1) | instskip(NEXT) | instid1(VALU_DEP_1)
	v_add_f32_e32 v69, v84, v69
	v_cndmask_b32_e32 v69, v69, v71, vcc_lo
	s_delay_alu instid0(VALU_DEP_1)
	v_add_f32_e32 v69, v68, v69
.LBB453_214:
	s_or_b32 exec_lo, exec_lo, s1
	s_delay_alu instid0(VALU_DEP_1) | instskip(SKIP_1) | instid1(VALU_DEP_2)
	v_bfe_u32 v68, v69, 16, 1
	v_cmp_o_f32_e32 vcc_lo, v69, v69
	v_add3_u32 v68, v69, v68, 0x7fff
	s_delay_alu instid0(VALU_DEP_1) | instskip(NEXT) | instid1(VALU_DEP_1)
	v_lshrrev_b32_e32 v68, 16, v68
	v_cndmask_b32_e32 v68, 0x7fc0, v68, vcc_lo
	s_delay_alu instid0(VALU_DEP_1) | instskip(NEXT) | instid1(VALU_DEP_1)
	v_lshlrev_b32_e32 v70, 16, v68
	v_max_f32_e32 v69, v70, v70
	v_cmp_u_f32_e32 vcc_lo, v70, v70
	s_delay_alu instid0(VALU_DEP_2) | instskip(SKIP_1) | instid1(VALU_DEP_2)
	v_min_f32_e32 v71, v69, v112
	v_max_f32_e32 v69, v69, v112
	v_cndmask_b32_e32 v71, v71, v70, vcc_lo
	s_delay_alu instid0(VALU_DEP_2) | instskip(NEXT) | instid1(VALU_DEP_2)
	v_cndmask_b32_e32 v69, v69, v70, vcc_lo
	v_cndmask_b32_e64 v71, v71, v99, s14
	s_delay_alu instid0(VALU_DEP_2) | instskip(NEXT) | instid1(VALU_DEP_2)
	v_cndmask_b32_e64 v69, v69, v99, s14
	v_cmp_class_f32_e64 s1, v71, 0x1f8
	s_delay_alu instid0(VALU_DEP_2) | instskip(NEXT) | instid1(VALU_DEP_2)
	v_cmp_neq_f32_e32 vcc_lo, v71, v69
	s_or_b32 s2, vcc_lo, s1
	s_delay_alu instid0(SALU_CYCLE_1)
	s_and_saveexec_b32 s1, s2
	s_cbranch_execz .LBB453_216
; %bb.215:
	v_sub_f32_e32 v70, v71, v69
	s_mov_b32 s2, 0x3e9b6dac
	s_delay_alu instid0(VALU_DEP_1) | instskip(SKIP_1) | instid1(VALU_DEP_2)
	v_mul_f32_e32 v71, 0x3fb8aa3b, v70
	v_cmp_ngt_f32_e32 vcc_lo, 0xc2ce8ed0, v70
	v_fma_f32 v80, 0x3fb8aa3b, v70, -v71
	v_rndne_f32_e32 v81, v71
	s_delay_alu instid0(VALU_DEP_1) | instskip(NEXT) | instid1(VALU_DEP_1)
	v_dual_fmamk_f32 v80, v70, 0x32a5705f, v80 :: v_dual_sub_f32 v71, v71, v81
	v_add_f32_e32 v71, v71, v80
	v_cvt_i32_f32_e32 v80, v81
	s_delay_alu instid0(VALU_DEP_2) | instskip(SKIP_2) | instid1(VALU_DEP_1)
	v_exp_f32_e32 v71, v71
	s_waitcnt_depctr 0xfff
	v_ldexp_f32 v71, v71, v80
	v_cndmask_b32_e32 v71, 0, v71, vcc_lo
	v_cmp_nlt_f32_e32 vcc_lo, 0x42b17218, v70
	s_delay_alu instid0(VALU_DEP_2) | instskip(NEXT) | instid1(VALU_DEP_1)
	v_cndmask_b32_e32 v80, 0x7f800000, v71, vcc_lo
	v_add_f32_e32 v81, 1.0, v80
	s_delay_alu instid0(VALU_DEP_1) | instskip(NEXT) | instid1(VALU_DEP_1)
	v_cvt_f64_f32_e32 v[70:71], v81
	v_frexp_exp_i32_f64_e32 v70, v[70:71]
	v_frexp_mant_f32_e32 v71, v81
	s_delay_alu instid0(VALU_DEP_1) | instskip(SKIP_1) | instid1(VALU_DEP_1)
	v_cmp_gt_f32_e32 vcc_lo, 0x3f2aaaab, v71
	v_add_f32_e32 v71, -1.0, v81
	v_sub_f32_e32 v83, v71, v81
	v_sub_f32_e32 v71, v80, v71
	v_subrev_co_ci_u32_e32 v70, vcc_lo, 0, v70, vcc_lo
	v_cmp_eq_f32_e32 vcc_lo, 0x7f800000, v80
	s_delay_alu instid0(VALU_DEP_2) | instskip(SKIP_1) | instid1(VALU_DEP_2)
	v_sub_nc_u32_e32 v82, 0, v70
	v_cvt_f32_i32_e32 v70, v70
	v_ldexp_f32 v81, v81, v82
	s_delay_alu instid0(VALU_DEP_1) | instskip(NEXT) | instid1(VALU_DEP_1)
	v_dual_add_f32 v84, 1.0, v81 :: v_dual_add_f32 v83, 1.0, v83
	v_add_f32_e32 v71, v71, v83
	s_delay_alu instid0(VALU_DEP_2) | instskip(NEXT) | instid1(VALU_DEP_2)
	v_add_f32_e32 v83, -1.0, v84
	v_ldexp_f32 v71, v71, v82
	s_delay_alu instid0(VALU_DEP_2) | instskip(NEXT) | instid1(VALU_DEP_1)
	v_dual_add_f32 v82, -1.0, v81 :: v_dual_sub_f32 v83, v81, v83
	v_add_f32_e32 v85, 1.0, v82
	s_delay_alu instid0(VALU_DEP_2) | instskip(NEXT) | instid1(VALU_DEP_2)
	v_add_f32_e32 v83, v71, v83
	v_sub_f32_e32 v81, v81, v85
	s_delay_alu instid0(VALU_DEP_2) | instskip(NEXT) | instid1(VALU_DEP_2)
	v_add_f32_e32 v85, v84, v83
	v_add_f32_e32 v71, v71, v81
	s_delay_alu instid0(VALU_DEP_2) | instskip(SKIP_1) | instid1(VALU_DEP_1)
	v_rcp_f32_e32 v81, v85
	v_sub_f32_e32 v84, v84, v85
	v_dual_add_f32 v86, v82, v71 :: v_dual_add_f32 v83, v83, v84
	s_delay_alu instid0(VALU_DEP_1) | instskip(SKIP_2) | instid1(VALU_DEP_1)
	v_sub_f32_e32 v82, v82, v86
	s_waitcnt_depctr 0xfff
	v_mul_f32_e32 v87, v86, v81
	v_dual_add_f32 v71, v71, v82 :: v_dual_mul_f32 v96, v85, v87
	s_delay_alu instid0(VALU_DEP_1) | instskip(NEXT) | instid1(VALU_DEP_1)
	v_fma_f32 v84, v87, v85, -v96
	v_fmac_f32_e32 v84, v87, v83
	s_delay_alu instid0(VALU_DEP_1) | instskip(NEXT) | instid1(VALU_DEP_1)
	v_add_f32_e32 v97, v96, v84
	v_sub_f32_e32 v98, v86, v97
	v_sub_f32_e32 v82, v97, v96
	s_delay_alu instid0(VALU_DEP_2) | instskip(NEXT) | instid1(VALU_DEP_2)
	v_sub_f32_e32 v86, v86, v98
	v_sub_f32_e32 v82, v82, v84
	s_delay_alu instid0(VALU_DEP_2) | instskip(NEXT) | instid1(VALU_DEP_1)
	v_sub_f32_e32 v86, v86, v97
	v_add_f32_e32 v71, v71, v86
	s_delay_alu instid0(VALU_DEP_1) | instskip(NEXT) | instid1(VALU_DEP_1)
	v_add_f32_e32 v71, v82, v71
	v_add_f32_e32 v82, v98, v71
	s_delay_alu instid0(VALU_DEP_1) | instskip(NEXT) | instid1(VALU_DEP_1)
	v_mul_f32_e32 v84, v81, v82
	v_dual_sub_f32 v97, v98, v82 :: v_dual_mul_f32 v86, v85, v84
	s_delay_alu instid0(VALU_DEP_1) | instskip(NEXT) | instid1(VALU_DEP_2)
	v_add_f32_e32 v71, v71, v97
	v_fma_f32 v85, v84, v85, -v86
	s_delay_alu instid0(VALU_DEP_1) | instskip(NEXT) | instid1(VALU_DEP_1)
	v_fmac_f32_e32 v85, v84, v83
	v_add_f32_e32 v83, v86, v85
	s_delay_alu instid0(VALU_DEP_1) | instskip(SKIP_1) | instid1(VALU_DEP_2)
	v_sub_f32_e32 v96, v82, v83
	v_sub_f32_e32 v86, v83, v86
	;; [unrolled: 1-line block ×3, first 2 shown]
	s_delay_alu instid0(VALU_DEP_1) | instskip(NEXT) | instid1(VALU_DEP_3)
	v_sub_f32_e32 v82, v82, v83
	v_sub_f32_e32 v83, v86, v85
	s_delay_alu instid0(VALU_DEP_2) | instskip(SKIP_1) | instid1(VALU_DEP_2)
	v_add_f32_e32 v71, v71, v82
	v_add_f32_e32 v82, v87, v84
	;; [unrolled: 1-line block ×3, first 2 shown]
	s_delay_alu instid0(VALU_DEP_2) | instskip(NEXT) | instid1(VALU_DEP_2)
	v_sub_f32_e32 v83, v82, v87
	v_add_f32_e32 v71, v96, v71
	s_delay_alu instid0(VALU_DEP_2) | instskip(NEXT) | instid1(VALU_DEP_2)
	v_sub_f32_e32 v83, v84, v83
	v_mul_f32_e32 v71, v81, v71
	s_delay_alu instid0(VALU_DEP_1) | instskip(NEXT) | instid1(VALU_DEP_1)
	v_add_f32_e32 v71, v83, v71
	v_add_f32_e32 v81, v82, v71
	s_delay_alu instid0(VALU_DEP_1) | instskip(NEXT) | instid1(VALU_DEP_1)
	v_mul_f32_e32 v83, v81, v81
	v_fmaak_f32 v84, s2, v83, 0x3ecc95a3
	v_mul_f32_e32 v85, v81, v83
	v_cmp_gt_f32_e64 s2, 0x33800000, |v80|
	s_delay_alu instid0(VALU_DEP_3) | instskip(SKIP_2) | instid1(VALU_DEP_4)
	v_fmaak_f32 v83, v83, v84, 0x3f2aaada
	v_ldexp_f32 v84, v81, 1
	v_sub_f32_e32 v81, v81, v82
	s_or_b32 vcc_lo, vcc_lo, s2
	s_delay_alu instid0(VALU_DEP_3) | instskip(SKIP_1) | instid1(VALU_DEP_2)
	v_mul_f32_e32 v83, v85, v83
	v_mul_f32_e32 v85, 0x3f317218, v70
	v_dual_sub_f32 v71, v71, v81 :: v_dual_add_f32 v82, v84, v83
	s_delay_alu instid0(VALU_DEP_1) | instskip(NEXT) | instid1(VALU_DEP_2)
	v_ldexp_f32 v71, v71, 1
	v_sub_f32_e32 v81, v82, v84
	s_delay_alu instid0(VALU_DEP_4) | instskip(NEXT) | instid1(VALU_DEP_1)
	v_fma_f32 v84, 0x3f317218, v70, -v85
	v_dual_sub_f32 v81, v83, v81 :: v_dual_fmamk_f32 v70, v70, 0xb102e308, v84
	s_delay_alu instid0(VALU_DEP_1) | instskip(NEXT) | instid1(VALU_DEP_2)
	v_add_f32_e32 v71, v71, v81
	v_add_f32_e32 v81, v85, v70
	s_delay_alu instid0(VALU_DEP_2) | instskip(NEXT) | instid1(VALU_DEP_2)
	v_add_f32_e32 v83, v82, v71
	v_sub_f32_e32 v85, v81, v85
	s_delay_alu instid0(VALU_DEP_2) | instskip(SKIP_1) | instid1(VALU_DEP_3)
	v_add_f32_e32 v84, v81, v83
	v_sub_f32_e32 v82, v83, v82
	v_sub_f32_e32 v70, v70, v85
	s_delay_alu instid0(VALU_DEP_2) | instskip(NEXT) | instid1(VALU_DEP_1)
	v_dual_sub_f32 v86, v84, v81 :: v_dual_sub_f32 v71, v71, v82
	v_sub_f32_e32 v87, v84, v86
	s_delay_alu instid0(VALU_DEP_2) | instskip(NEXT) | instid1(VALU_DEP_2)
	v_dual_sub_f32 v82, v83, v86 :: v_dual_add_f32 v83, v70, v71
	v_sub_f32_e32 v81, v81, v87
	s_delay_alu instid0(VALU_DEP_1) | instskip(NEXT) | instid1(VALU_DEP_1)
	v_dual_add_f32 v81, v82, v81 :: v_dual_sub_f32 v82, v83, v70
	v_add_f32_e32 v81, v83, v81
	s_delay_alu instid0(VALU_DEP_2) | instskip(SKIP_1) | instid1(VALU_DEP_2)
	v_sub_f32_e32 v83, v83, v82
	v_sub_f32_e32 v71, v71, v82
	v_dual_add_f32 v85, v84, v81 :: v_dual_sub_f32 v70, v70, v83
	s_delay_alu instid0(VALU_DEP_1) | instskip(NEXT) | instid1(VALU_DEP_2)
	v_sub_f32_e32 v82, v85, v84
	v_add_f32_e32 v70, v71, v70
	s_delay_alu instid0(VALU_DEP_2) | instskip(NEXT) | instid1(VALU_DEP_1)
	v_sub_f32_e32 v71, v81, v82
	v_add_f32_e32 v70, v70, v71
	s_delay_alu instid0(VALU_DEP_1) | instskip(NEXT) | instid1(VALU_DEP_1)
	v_add_f32_e32 v70, v85, v70
	v_cndmask_b32_e32 v70, v70, v80, vcc_lo
	s_delay_alu instid0(VALU_DEP_1)
	v_add_f32_e32 v70, v69, v70
.LBB453_216:
	s_or_b32 exec_lo, exec_lo, s1
	s_delay_alu instid0(VALU_DEP_1) | instskip(SKIP_1) | instid1(VALU_DEP_2)
	v_bfe_u32 v69, v70, 16, 1
	v_cmp_o_f32_e32 vcc_lo, v70, v70
	v_add3_u32 v69, v70, v69, 0x7fff
	s_delay_alu instid0(VALU_DEP_1) | instskip(NEXT) | instid1(VALU_DEP_1)
	v_lshrrev_b32_e32 v69, 16, v69
	v_cndmask_b32_e32 v69, 0x7fc0, v69, vcc_lo
	s_delay_alu instid0(VALU_DEP_1) | instskip(NEXT) | instid1(VALU_DEP_1)
	v_lshlrev_b32_e32 v71, 16, v69
	v_max_f32_e32 v70, v71, v71
	s_delay_alu instid0(VALU_DEP_1) | instskip(SKIP_2) | instid1(VALU_DEP_3)
	v_min_f32_e32 v80, v70, v114
	v_max_f32_e32 v70, v70, v114
	v_cmp_u_f32_e32 vcc_lo, v71, v71
	v_cndmask_b32_e32 v80, v80, v71, vcc_lo
	s_delay_alu instid0(VALU_DEP_3) | instskip(NEXT) | instid1(VALU_DEP_2)
	v_cndmask_b32_e32 v70, v70, v71, vcc_lo
	v_cndmask_b32_e64 v80, v80, v101, s15
	s_delay_alu instid0(VALU_DEP_2) | instskip(NEXT) | instid1(VALU_DEP_2)
	v_cndmask_b32_e64 v70, v70, v101, s15
	v_cmp_class_f32_e64 s1, v80, 0x1f8
	s_delay_alu instid0(VALU_DEP_2) | instskip(NEXT) | instid1(VALU_DEP_2)
	v_cmp_neq_f32_e32 vcc_lo, v80, v70
	s_or_b32 s2, vcc_lo, s1
	s_delay_alu instid0(SALU_CYCLE_1)
	s_and_saveexec_b32 s1, s2
	s_cbranch_execz .LBB453_218
; %bb.217:
	v_sub_f32_e32 v71, v80, v70
	s_mov_b32 s2, 0x3e9b6dac
	s_delay_alu instid0(VALU_DEP_1) | instskip(SKIP_1) | instid1(VALU_DEP_2)
	v_mul_f32_e32 v80, 0x3fb8aa3b, v71
	v_cmp_ngt_f32_e32 vcc_lo, 0xc2ce8ed0, v71
	v_fma_f32 v81, 0x3fb8aa3b, v71, -v80
	v_rndne_f32_e32 v82, v80
	s_delay_alu instid0(VALU_DEP_1) | instskip(NEXT) | instid1(VALU_DEP_1)
	v_dual_fmamk_f32 v81, v71, 0x32a5705f, v81 :: v_dual_sub_f32 v80, v80, v82
	v_add_f32_e32 v80, v80, v81
	v_cvt_i32_f32_e32 v81, v82
	s_delay_alu instid0(VALU_DEP_2) | instskip(SKIP_2) | instid1(VALU_DEP_1)
	v_exp_f32_e32 v80, v80
	s_waitcnt_depctr 0xfff
	v_ldexp_f32 v80, v80, v81
	v_cndmask_b32_e32 v80, 0, v80, vcc_lo
	v_cmp_nlt_f32_e32 vcc_lo, 0x42b17218, v71
	s_delay_alu instid0(VALU_DEP_2) | instskip(NEXT) | instid1(VALU_DEP_1)
	v_cndmask_b32_e32 v71, 0x7f800000, v80, vcc_lo
	v_add_f32_e32 v82, 1.0, v71
	s_delay_alu instid0(VALU_DEP_1) | instskip(NEXT) | instid1(VALU_DEP_1)
	v_cvt_f64_f32_e32 v[80:81], v82
	v_frexp_exp_i32_f64_e32 v80, v[80:81]
	v_frexp_mant_f32_e32 v81, v82
	s_delay_alu instid0(VALU_DEP_1) | instskip(SKIP_1) | instid1(VALU_DEP_1)
	v_cmp_gt_f32_e32 vcc_lo, 0x3f2aaaab, v81
	v_add_f32_e32 v81, -1.0, v82
	v_dual_sub_f32 v84, v81, v82 :: v_dual_sub_f32 v81, v71, v81
	v_subrev_co_ci_u32_e32 v80, vcc_lo, 0, v80, vcc_lo
	v_cmp_eq_f32_e32 vcc_lo, 0x7f800000, v71
	s_delay_alu instid0(VALU_DEP_2) | instskip(SKIP_1) | instid1(VALU_DEP_2)
	v_sub_nc_u32_e32 v83, 0, v80
	v_cvt_f32_i32_e32 v80, v80
	v_ldexp_f32 v82, v82, v83
	s_delay_alu instid0(VALU_DEP_1) | instskip(NEXT) | instid1(VALU_DEP_1)
	v_dual_add_f32 v84, 1.0, v84 :: v_dual_add_f32 v85, 1.0, v82
	v_dual_add_f32 v81, v81, v84 :: v_dual_add_f32 v84, -1.0, v85
	s_delay_alu instid0(VALU_DEP_1) | instskip(NEXT) | instid1(VALU_DEP_2)
	v_ldexp_f32 v81, v81, v83
	v_dual_add_f32 v83, -1.0, v82 :: v_dual_sub_f32 v84, v82, v84
	s_delay_alu instid0(VALU_DEP_1) | instskip(NEXT) | instid1(VALU_DEP_2)
	v_add_f32_e32 v86, 1.0, v83
	v_add_f32_e32 v84, v81, v84
	s_delay_alu instid0(VALU_DEP_2) | instskip(NEXT) | instid1(VALU_DEP_1)
	v_sub_f32_e32 v82, v82, v86
	v_add_f32_e32 v81, v81, v82
	s_delay_alu instid0(VALU_DEP_1) | instskip(NEXT) | instid1(VALU_DEP_1)
	v_dual_add_f32 v87, v83, v81 :: v_dual_add_f32 v86, v85, v84
	v_sub_f32_e32 v83, v83, v87
	s_delay_alu instid0(VALU_DEP_2) | instskip(SKIP_1) | instid1(VALU_DEP_1)
	v_rcp_f32_e32 v82, v86
	v_sub_f32_e32 v85, v85, v86
	v_dual_add_f32 v81, v81, v83 :: v_dual_add_f32 v84, v84, v85
	s_waitcnt_depctr 0xfff
	v_mul_f32_e32 v96, v87, v82
	s_delay_alu instid0(VALU_DEP_1) | instskip(NEXT) | instid1(VALU_DEP_1)
	v_mul_f32_e32 v97, v86, v96
	v_fma_f32 v85, v96, v86, -v97
	s_delay_alu instid0(VALU_DEP_1) | instskip(NEXT) | instid1(VALU_DEP_1)
	v_fmac_f32_e32 v85, v96, v84
	v_add_f32_e32 v98, v97, v85
	s_delay_alu instid0(VALU_DEP_1) | instskip(NEXT) | instid1(VALU_DEP_1)
	v_sub_f32_e32 v99, v87, v98
	v_sub_f32_e32 v87, v87, v99
	v_sub_f32_e32 v83, v98, v97
	s_delay_alu instid0(VALU_DEP_2) | instskip(NEXT) | instid1(VALU_DEP_2)
	v_sub_f32_e32 v87, v87, v98
	v_sub_f32_e32 v83, v83, v85
	s_delay_alu instid0(VALU_DEP_2) | instskip(NEXT) | instid1(VALU_DEP_1)
	v_add_f32_e32 v81, v81, v87
	v_add_f32_e32 v81, v83, v81
	s_delay_alu instid0(VALU_DEP_1) | instskip(NEXT) | instid1(VALU_DEP_1)
	v_add_f32_e32 v83, v99, v81
	v_mul_f32_e32 v85, v82, v83
	s_delay_alu instid0(VALU_DEP_1) | instskip(NEXT) | instid1(VALU_DEP_1)
	v_dual_sub_f32 v98, v99, v83 :: v_dual_mul_f32 v87, v86, v85
	v_add_f32_e32 v81, v81, v98
	s_delay_alu instid0(VALU_DEP_2) | instskip(NEXT) | instid1(VALU_DEP_1)
	v_fma_f32 v86, v85, v86, -v87
	v_fmac_f32_e32 v86, v85, v84
	s_delay_alu instid0(VALU_DEP_1) | instskip(NEXT) | instid1(VALU_DEP_1)
	v_add_f32_e32 v84, v87, v86
	v_sub_f32_e32 v97, v83, v84
	v_sub_f32_e32 v87, v84, v87
	s_delay_alu instid0(VALU_DEP_2) | instskip(NEXT) | instid1(VALU_DEP_1)
	v_sub_f32_e32 v83, v83, v97
	v_sub_f32_e32 v83, v83, v84
	s_delay_alu instid0(VALU_DEP_1) | instskip(SKIP_1) | instid1(VALU_DEP_1)
	v_dual_sub_f32 v84, v87, v86 :: v_dual_add_f32 v81, v81, v83
	v_add_f32_e32 v83, v96, v85
	v_dual_add_f32 v81, v84, v81 :: v_dual_sub_f32 v84, v83, v96
	s_delay_alu instid0(VALU_DEP_1) | instskip(NEXT) | instid1(VALU_DEP_1)
	v_add_f32_e32 v81, v97, v81
	v_dual_sub_f32 v84, v85, v84 :: v_dual_mul_f32 v81, v82, v81
	s_delay_alu instid0(VALU_DEP_1) | instskip(NEXT) | instid1(VALU_DEP_1)
	v_add_f32_e32 v81, v84, v81
	v_add_f32_e32 v82, v83, v81
	s_delay_alu instid0(VALU_DEP_1) | instskip(NEXT) | instid1(VALU_DEP_1)
	v_mul_f32_e32 v84, v82, v82
	v_fmaak_f32 v85, s2, v84, 0x3ecc95a3
	v_mul_f32_e32 v86, v82, v84
	v_cmp_gt_f32_e64 s2, 0x33800000, |v71|
	s_delay_alu instid0(VALU_DEP_3) | instskip(SKIP_2) | instid1(VALU_DEP_4)
	v_fmaak_f32 v84, v84, v85, 0x3f2aaada
	v_ldexp_f32 v85, v82, 1
	v_sub_f32_e32 v82, v82, v83
	s_or_b32 vcc_lo, vcc_lo, s2
	s_delay_alu instid0(VALU_DEP_3) | instskip(NEXT) | instid1(VALU_DEP_2)
	v_mul_f32_e32 v84, v86, v84
	v_dual_mul_f32 v86, 0x3f317218, v80 :: v_dual_sub_f32 v81, v81, v82
	s_delay_alu instid0(VALU_DEP_2) | instskip(NEXT) | instid1(VALU_DEP_2)
	v_add_f32_e32 v83, v85, v84
	v_ldexp_f32 v81, v81, 1
	s_delay_alu instid0(VALU_DEP_2) | instskip(NEXT) | instid1(VALU_DEP_4)
	v_sub_f32_e32 v82, v83, v85
	v_fma_f32 v85, 0x3f317218, v80, -v86
	s_delay_alu instid0(VALU_DEP_2) | instskip(NEXT) | instid1(VALU_DEP_1)
	v_sub_f32_e32 v82, v84, v82
	v_dual_fmamk_f32 v80, v80, 0xb102e308, v85 :: v_dual_add_f32 v81, v81, v82
	s_delay_alu instid0(VALU_DEP_1) | instskip(NEXT) | instid1(VALU_DEP_1)
	v_add_f32_e32 v82, v86, v80
	v_sub_f32_e32 v86, v82, v86
	s_delay_alu instid0(VALU_DEP_1) | instskip(NEXT) | instid1(VALU_DEP_4)
	v_sub_f32_e32 v80, v80, v86
	v_add_f32_e32 v84, v83, v81
	s_delay_alu instid0(VALU_DEP_1) | instskip(NEXT) | instid1(VALU_DEP_1)
	v_sub_f32_e32 v83, v84, v83
	v_sub_f32_e32 v81, v81, v83
	v_add_f32_e32 v85, v82, v84
	s_delay_alu instid0(VALU_DEP_1) | instskip(NEXT) | instid1(VALU_DEP_1)
	v_sub_f32_e32 v87, v85, v82
	v_sub_f32_e32 v83, v84, v87
	s_delay_alu instid0(VALU_DEP_4) | instskip(SKIP_1) | instid1(VALU_DEP_1)
	v_add_f32_e32 v84, v80, v81
	v_sub_f32_e32 v96, v85, v87
	v_sub_f32_e32 v82, v82, v96
	s_delay_alu instid0(VALU_DEP_1) | instskip(NEXT) | instid1(VALU_DEP_1)
	v_dual_add_f32 v82, v83, v82 :: v_dual_sub_f32 v83, v84, v80
	v_dual_add_f32 v82, v84, v82 :: v_dual_sub_f32 v81, v81, v83
	v_sub_f32_e32 v84, v84, v83
	s_delay_alu instid0(VALU_DEP_2) | instskip(NEXT) | instid1(VALU_DEP_1)
	v_add_f32_e32 v86, v85, v82
	v_dual_sub_f32 v80, v80, v84 :: v_dual_sub_f32 v83, v86, v85
	s_delay_alu instid0(VALU_DEP_1) | instskip(NEXT) | instid1(VALU_DEP_1)
	v_dual_add_f32 v80, v81, v80 :: v_dual_sub_f32 v81, v82, v83
	v_add_f32_e32 v80, v80, v81
	s_delay_alu instid0(VALU_DEP_1) | instskip(NEXT) | instid1(VALU_DEP_1)
	v_add_f32_e32 v80, v86, v80
	v_cndmask_b32_e32 v71, v80, v71, vcc_lo
	s_delay_alu instid0(VALU_DEP_1)
	v_add_f32_e32 v71, v70, v71
.LBB453_218:
	s_or_b32 exec_lo, exec_lo, s1
	s_delay_alu instid0(VALU_DEP_1) | instskip(SKIP_1) | instid1(VALU_DEP_2)
	v_bfe_u32 v70, v71, 16, 1
	v_cmp_o_f32_e32 vcc_lo, v71, v71
	v_add3_u32 v70, v71, v70, 0x7fff
	s_delay_alu instid0(VALU_DEP_1) | instskip(NEXT) | instid1(VALU_DEP_1)
	v_lshrrev_b32_e32 v70, 16, v70
	v_cndmask_b32_e32 v70, 0x7fc0, v70, vcc_lo
	s_delay_alu instid0(VALU_DEP_1) | instskip(NEXT) | instid1(VALU_DEP_1)
	v_lshlrev_b32_e32 v80, 16, v70
	v_max_f32_e32 v71, v80, v80
	s_delay_alu instid0(VALU_DEP_1) | instskip(SKIP_2) | instid1(VALU_DEP_3)
	v_min_f32_e32 v81, v71, v116
	v_max_f32_e32 v71, v71, v116
	v_cmp_u_f32_e32 vcc_lo, v80, v80
	v_cndmask_b32_e32 v81, v81, v80, vcc_lo
	s_delay_alu instid0(VALU_DEP_3) | instskip(NEXT) | instid1(VALU_DEP_2)
	v_cndmask_b32_e32 v71, v71, v80, vcc_lo
	v_cndmask_b32_e64 v81, v81, v103, s16
	s_delay_alu instid0(VALU_DEP_2) | instskip(NEXT) | instid1(VALU_DEP_2)
	v_cndmask_b32_e64 v71, v71, v103, s16
	v_cmp_class_f32_e64 s1, v81, 0x1f8
	s_delay_alu instid0(VALU_DEP_2) | instskip(NEXT) | instid1(VALU_DEP_2)
	v_cmp_neq_f32_e32 vcc_lo, v81, v71
	s_or_b32 s2, vcc_lo, s1
	s_delay_alu instid0(SALU_CYCLE_1)
	s_and_saveexec_b32 s1, s2
	s_cbranch_execz .LBB453_220
; %bb.219:
	v_sub_f32_e32 v80, v81, v71
	s_mov_b32 s2, 0x3e9b6dac
	s_delay_alu instid0(VALU_DEP_1) | instskip(SKIP_1) | instid1(VALU_DEP_2)
	v_mul_f32_e32 v81, 0x3fb8aa3b, v80
	v_cmp_ngt_f32_e32 vcc_lo, 0xc2ce8ed0, v80
	v_fma_f32 v82, 0x3fb8aa3b, v80, -v81
	v_rndne_f32_e32 v83, v81
	s_delay_alu instid0(VALU_DEP_1) | instskip(NEXT) | instid1(VALU_DEP_1)
	v_dual_fmamk_f32 v82, v80, 0x32a5705f, v82 :: v_dual_sub_f32 v81, v81, v83
	v_add_f32_e32 v81, v81, v82
	v_cvt_i32_f32_e32 v82, v83
	s_delay_alu instid0(VALU_DEP_2) | instskip(SKIP_2) | instid1(VALU_DEP_1)
	v_exp_f32_e32 v81, v81
	s_waitcnt_depctr 0xfff
	v_ldexp_f32 v81, v81, v82
	v_cndmask_b32_e32 v81, 0, v81, vcc_lo
	v_cmp_nlt_f32_e32 vcc_lo, 0x42b17218, v80
	s_delay_alu instid0(VALU_DEP_2) | instskip(NEXT) | instid1(VALU_DEP_1)
	v_cndmask_b32_e32 v82, 0x7f800000, v81, vcc_lo
	v_add_f32_e32 v83, 1.0, v82
	s_delay_alu instid0(VALU_DEP_1) | instskip(NEXT) | instid1(VALU_DEP_1)
	v_cvt_f64_f32_e32 v[80:81], v83
	v_frexp_exp_i32_f64_e32 v80, v[80:81]
	v_frexp_mant_f32_e32 v81, v83
	s_delay_alu instid0(VALU_DEP_1) | instskip(SKIP_1) | instid1(VALU_DEP_1)
	v_cmp_gt_f32_e32 vcc_lo, 0x3f2aaaab, v81
	v_add_f32_e32 v81, -1.0, v83
	v_sub_f32_e32 v85, v81, v83
	v_sub_f32_e32 v81, v82, v81
	v_subrev_co_ci_u32_e32 v80, vcc_lo, 0, v80, vcc_lo
	v_cmp_eq_f32_e32 vcc_lo, 0x7f800000, v82
	s_delay_alu instid0(VALU_DEP_2) | instskip(SKIP_1) | instid1(VALU_DEP_2)
	v_sub_nc_u32_e32 v84, 0, v80
	v_cvt_f32_i32_e32 v80, v80
	v_ldexp_f32 v83, v83, v84
	s_delay_alu instid0(VALU_DEP_1) | instskip(NEXT) | instid1(VALU_DEP_1)
	v_dual_add_f32 v86, 1.0, v83 :: v_dual_add_f32 v85, 1.0, v85
	v_add_f32_e32 v81, v81, v85
	s_delay_alu instid0(VALU_DEP_2) | instskip(NEXT) | instid1(VALU_DEP_2)
	v_add_f32_e32 v85, -1.0, v86
	v_ldexp_f32 v81, v81, v84
	s_delay_alu instid0(VALU_DEP_2) | instskip(NEXT) | instid1(VALU_DEP_1)
	v_dual_add_f32 v84, -1.0, v83 :: v_dual_sub_f32 v85, v83, v85
	v_add_f32_e32 v87, 1.0, v84
	s_delay_alu instid0(VALU_DEP_2) | instskip(NEXT) | instid1(VALU_DEP_2)
	v_add_f32_e32 v85, v81, v85
	v_sub_f32_e32 v83, v83, v87
	s_delay_alu instid0(VALU_DEP_2) | instskip(NEXT) | instid1(VALU_DEP_2)
	v_add_f32_e32 v87, v86, v85
	v_add_f32_e32 v81, v81, v83
	s_delay_alu instid0(VALU_DEP_2) | instskip(SKIP_1) | instid1(VALU_DEP_1)
	v_rcp_f32_e32 v83, v87
	v_sub_f32_e32 v86, v86, v87
	v_dual_add_f32 v96, v84, v81 :: v_dual_add_f32 v85, v85, v86
	s_delay_alu instid0(VALU_DEP_1) | instskip(SKIP_2) | instid1(VALU_DEP_1)
	v_sub_f32_e32 v84, v84, v96
	s_waitcnt_depctr 0xfff
	v_mul_f32_e32 v97, v96, v83
	v_dual_add_f32 v81, v81, v84 :: v_dual_mul_f32 v98, v87, v97
	s_delay_alu instid0(VALU_DEP_1) | instskip(NEXT) | instid1(VALU_DEP_1)
	v_fma_f32 v86, v97, v87, -v98
	v_fmac_f32_e32 v86, v97, v85
	s_delay_alu instid0(VALU_DEP_1) | instskip(NEXT) | instid1(VALU_DEP_1)
	v_add_f32_e32 v99, v98, v86
	v_sub_f32_e32 v100, v96, v99
	v_sub_f32_e32 v84, v99, v98
	s_delay_alu instid0(VALU_DEP_2) | instskip(NEXT) | instid1(VALU_DEP_2)
	v_sub_f32_e32 v96, v96, v100
	v_sub_f32_e32 v84, v84, v86
	s_delay_alu instid0(VALU_DEP_2) | instskip(NEXT) | instid1(VALU_DEP_1)
	v_sub_f32_e32 v96, v96, v99
	v_add_f32_e32 v81, v81, v96
	s_delay_alu instid0(VALU_DEP_1) | instskip(NEXT) | instid1(VALU_DEP_1)
	v_add_f32_e32 v81, v84, v81
	v_add_f32_e32 v84, v100, v81
	s_delay_alu instid0(VALU_DEP_1) | instskip(NEXT) | instid1(VALU_DEP_1)
	v_mul_f32_e32 v86, v83, v84
	v_dual_sub_f32 v99, v100, v84 :: v_dual_mul_f32 v96, v87, v86
	s_delay_alu instid0(VALU_DEP_1) | instskip(NEXT) | instid1(VALU_DEP_2)
	v_add_f32_e32 v81, v81, v99
	v_fma_f32 v87, v86, v87, -v96
	s_delay_alu instid0(VALU_DEP_1) | instskip(NEXT) | instid1(VALU_DEP_1)
	v_fmac_f32_e32 v87, v86, v85
	v_add_f32_e32 v85, v96, v87
	s_delay_alu instid0(VALU_DEP_1) | instskip(SKIP_1) | instid1(VALU_DEP_2)
	v_sub_f32_e32 v98, v84, v85
	v_sub_f32_e32 v96, v85, v96
	;; [unrolled: 1-line block ×3, first 2 shown]
	s_delay_alu instid0(VALU_DEP_1) | instskip(NEXT) | instid1(VALU_DEP_3)
	v_sub_f32_e32 v84, v84, v85
	v_sub_f32_e32 v85, v96, v87
	s_delay_alu instid0(VALU_DEP_2) | instskip(SKIP_1) | instid1(VALU_DEP_2)
	v_add_f32_e32 v81, v81, v84
	v_add_f32_e32 v84, v97, v86
	v_add_f32_e32 v81, v85, v81
	s_delay_alu instid0(VALU_DEP_2) | instskip(NEXT) | instid1(VALU_DEP_2)
	v_sub_f32_e32 v85, v84, v97
	v_add_f32_e32 v81, v98, v81
	s_delay_alu instid0(VALU_DEP_2) | instskip(NEXT) | instid1(VALU_DEP_2)
	v_sub_f32_e32 v85, v86, v85
	v_mul_f32_e32 v81, v83, v81
	s_delay_alu instid0(VALU_DEP_1) | instskip(NEXT) | instid1(VALU_DEP_1)
	v_add_f32_e32 v81, v85, v81
	v_add_f32_e32 v83, v84, v81
	s_delay_alu instid0(VALU_DEP_1) | instskip(NEXT) | instid1(VALU_DEP_1)
	v_mul_f32_e32 v85, v83, v83
	v_fmaak_f32 v86, s2, v85, 0x3ecc95a3
	v_mul_f32_e32 v87, v83, v85
	v_cmp_gt_f32_e64 s2, 0x33800000, |v82|
	s_delay_alu instid0(VALU_DEP_3) | instskip(SKIP_2) | instid1(VALU_DEP_4)
	v_fmaak_f32 v85, v85, v86, 0x3f2aaada
	v_ldexp_f32 v86, v83, 1
	v_sub_f32_e32 v83, v83, v84
	s_or_b32 vcc_lo, vcc_lo, s2
	s_delay_alu instid0(VALU_DEP_3) | instskip(SKIP_1) | instid1(VALU_DEP_2)
	v_mul_f32_e32 v85, v87, v85
	v_mul_f32_e32 v87, 0x3f317218, v80
	v_dual_sub_f32 v81, v81, v83 :: v_dual_add_f32 v84, v86, v85
	s_delay_alu instid0(VALU_DEP_1) | instskip(NEXT) | instid1(VALU_DEP_2)
	v_ldexp_f32 v81, v81, 1
	v_sub_f32_e32 v83, v84, v86
	s_delay_alu instid0(VALU_DEP_4) | instskip(NEXT) | instid1(VALU_DEP_1)
	v_fma_f32 v86, 0x3f317218, v80, -v87
	v_dual_sub_f32 v83, v85, v83 :: v_dual_fmamk_f32 v80, v80, 0xb102e308, v86
	s_delay_alu instid0(VALU_DEP_1) | instskip(NEXT) | instid1(VALU_DEP_2)
	v_add_f32_e32 v81, v81, v83
	v_add_f32_e32 v83, v87, v80
	s_delay_alu instid0(VALU_DEP_2) | instskip(NEXT) | instid1(VALU_DEP_2)
	v_add_f32_e32 v85, v84, v81
	v_sub_f32_e32 v87, v83, v87
	s_delay_alu instid0(VALU_DEP_2) | instskip(SKIP_1) | instid1(VALU_DEP_3)
	v_add_f32_e32 v86, v83, v85
	v_sub_f32_e32 v84, v85, v84
	v_sub_f32_e32 v80, v80, v87
	s_delay_alu instid0(VALU_DEP_2) | instskip(NEXT) | instid1(VALU_DEP_1)
	v_dual_sub_f32 v96, v86, v83 :: v_dual_sub_f32 v81, v81, v84
	v_sub_f32_e32 v97, v86, v96
	s_delay_alu instid0(VALU_DEP_2) | instskip(NEXT) | instid1(VALU_DEP_2)
	v_dual_sub_f32 v84, v85, v96 :: v_dual_add_f32 v85, v80, v81
	v_sub_f32_e32 v83, v83, v97
	s_delay_alu instid0(VALU_DEP_1) | instskip(NEXT) | instid1(VALU_DEP_1)
	v_dual_add_f32 v83, v84, v83 :: v_dual_sub_f32 v84, v85, v80
	v_add_f32_e32 v83, v85, v83
	s_delay_alu instid0(VALU_DEP_2) | instskip(SKIP_1) | instid1(VALU_DEP_2)
	v_sub_f32_e32 v85, v85, v84
	v_sub_f32_e32 v81, v81, v84
	v_dual_add_f32 v87, v86, v83 :: v_dual_sub_f32 v80, v80, v85
	s_delay_alu instid0(VALU_DEP_1) | instskip(NEXT) | instid1(VALU_DEP_2)
	v_sub_f32_e32 v84, v87, v86
	v_add_f32_e32 v80, v81, v80
	s_delay_alu instid0(VALU_DEP_2) | instskip(NEXT) | instid1(VALU_DEP_1)
	v_sub_f32_e32 v81, v83, v84
	v_add_f32_e32 v80, v80, v81
	s_delay_alu instid0(VALU_DEP_1) | instskip(NEXT) | instid1(VALU_DEP_1)
	v_add_f32_e32 v80, v87, v80
	v_cndmask_b32_e32 v80, v80, v82, vcc_lo
	s_delay_alu instid0(VALU_DEP_1)
	v_add_f32_e32 v80, v71, v80
.LBB453_220:
	s_or_b32 exec_lo, exec_lo, s1
	s_delay_alu instid0(VALU_DEP_1) | instskip(SKIP_1) | instid1(VALU_DEP_2)
	v_bfe_u32 v71, v80, 16, 1
	v_cmp_o_f32_e32 vcc_lo, v80, v80
	v_add3_u32 v71, v80, v71, 0x7fff
	s_delay_alu instid0(VALU_DEP_1) | instskip(NEXT) | instid1(VALU_DEP_1)
	v_lshrrev_b32_e32 v71, 16, v71
	v_cndmask_b32_e32 v71, 0x7fc0, v71, vcc_lo
	s_delay_alu instid0(VALU_DEP_1) | instskip(NEXT) | instid1(VALU_DEP_1)
	v_lshlrev_b32_e32 v81, 16, v71
	v_max_f32_e32 v80, v81, v81
	s_delay_alu instid0(VALU_DEP_1) | instskip(SKIP_2) | instid1(VALU_DEP_3)
	v_min_f32_e32 v82, v80, v118
	v_max_f32_e32 v80, v80, v118
	v_cmp_u_f32_e32 vcc_lo, v81, v81
	v_cndmask_b32_e32 v82, v82, v81, vcc_lo
	s_delay_alu instid0(VALU_DEP_3) | instskip(NEXT) | instid1(VALU_DEP_2)
	v_cndmask_b32_e32 v80, v80, v81, vcc_lo
	v_cndmask_b32_e64 v82, v82, v113, s17
	s_delay_alu instid0(VALU_DEP_2) | instskip(NEXT) | instid1(VALU_DEP_2)
	v_cndmask_b32_e64 v80, v80, v113, s17
	v_cmp_class_f32_e64 s1, v82, 0x1f8
	s_delay_alu instid0(VALU_DEP_2) | instskip(NEXT) | instid1(VALU_DEP_2)
	v_cmp_neq_f32_e32 vcc_lo, v82, v80
	s_or_b32 s2, vcc_lo, s1
	s_delay_alu instid0(SALU_CYCLE_1)
	s_and_saveexec_b32 s1, s2
	s_cbranch_execz .LBB453_222
; %bb.221:
	v_sub_f32_e32 v81, v82, v80
	s_mov_b32 s2, 0x3e9b6dac
	s_delay_alu instid0(VALU_DEP_1) | instskip(SKIP_1) | instid1(VALU_DEP_2)
	v_mul_f32_e32 v82, 0x3fb8aa3b, v81
	v_cmp_ngt_f32_e32 vcc_lo, 0xc2ce8ed0, v81
	v_fma_f32 v83, 0x3fb8aa3b, v81, -v82
	v_rndne_f32_e32 v84, v82
	s_delay_alu instid0(VALU_DEP_1) | instskip(NEXT) | instid1(VALU_DEP_1)
	v_dual_fmamk_f32 v83, v81, 0x32a5705f, v83 :: v_dual_sub_f32 v82, v82, v84
	v_add_f32_e32 v82, v82, v83
	v_cvt_i32_f32_e32 v83, v84
	s_delay_alu instid0(VALU_DEP_2) | instskip(SKIP_2) | instid1(VALU_DEP_1)
	v_exp_f32_e32 v82, v82
	s_waitcnt_depctr 0xfff
	v_ldexp_f32 v82, v82, v83
	v_cndmask_b32_e32 v82, 0, v82, vcc_lo
	v_cmp_nlt_f32_e32 vcc_lo, 0x42b17218, v81
	s_delay_alu instid0(VALU_DEP_2) | instskip(NEXT) | instid1(VALU_DEP_1)
	v_cndmask_b32_e32 v83, 0x7f800000, v82, vcc_lo
	v_add_f32_e32 v84, 1.0, v83
	s_delay_alu instid0(VALU_DEP_1) | instskip(NEXT) | instid1(VALU_DEP_1)
	v_cvt_f64_f32_e32 v[81:82], v84
	v_frexp_exp_i32_f64_e32 v81, v[81:82]
	v_frexp_mant_f32_e32 v82, v84
	s_delay_alu instid0(VALU_DEP_1) | instskip(SKIP_1) | instid1(VALU_DEP_1)
	v_cmp_gt_f32_e32 vcc_lo, 0x3f2aaaab, v82
	v_add_f32_e32 v82, -1.0, v84
	v_sub_f32_e32 v86, v82, v84
	v_sub_f32_e32 v82, v83, v82
	v_subrev_co_ci_u32_e32 v81, vcc_lo, 0, v81, vcc_lo
	v_cmp_eq_f32_e32 vcc_lo, 0x7f800000, v83
	s_delay_alu instid0(VALU_DEP_2) | instskip(SKIP_1) | instid1(VALU_DEP_2)
	v_sub_nc_u32_e32 v85, 0, v81
	v_cvt_f32_i32_e32 v81, v81
	v_ldexp_f32 v84, v84, v85
	s_delay_alu instid0(VALU_DEP_1) | instskip(NEXT) | instid1(VALU_DEP_1)
	v_dual_add_f32 v87, 1.0, v84 :: v_dual_add_f32 v86, 1.0, v86
	v_add_f32_e32 v82, v82, v86
	s_delay_alu instid0(VALU_DEP_2) | instskip(NEXT) | instid1(VALU_DEP_2)
	v_add_f32_e32 v86, -1.0, v87
	v_ldexp_f32 v82, v82, v85
	s_delay_alu instid0(VALU_DEP_2) | instskip(NEXT) | instid1(VALU_DEP_1)
	v_dual_add_f32 v85, -1.0, v84 :: v_dual_sub_f32 v86, v84, v86
	v_add_f32_e32 v96, 1.0, v85
	s_delay_alu instid0(VALU_DEP_2) | instskip(NEXT) | instid1(VALU_DEP_2)
	v_add_f32_e32 v86, v82, v86
	v_sub_f32_e32 v84, v84, v96
	s_delay_alu instid0(VALU_DEP_2) | instskip(NEXT) | instid1(VALU_DEP_2)
	v_add_f32_e32 v96, v87, v86
	v_add_f32_e32 v82, v82, v84
	s_delay_alu instid0(VALU_DEP_2) | instskip(SKIP_1) | instid1(VALU_DEP_1)
	v_rcp_f32_e32 v84, v96
	v_sub_f32_e32 v87, v87, v96
	v_dual_add_f32 v97, v85, v82 :: v_dual_add_f32 v86, v86, v87
	s_delay_alu instid0(VALU_DEP_1) | instskip(SKIP_2) | instid1(VALU_DEP_1)
	v_sub_f32_e32 v85, v85, v97
	s_waitcnt_depctr 0xfff
	v_mul_f32_e32 v98, v97, v84
	v_dual_add_f32 v82, v82, v85 :: v_dual_mul_f32 v99, v96, v98
	s_delay_alu instid0(VALU_DEP_1) | instskip(NEXT) | instid1(VALU_DEP_1)
	v_fma_f32 v87, v98, v96, -v99
	v_fmac_f32_e32 v87, v98, v86
	s_delay_alu instid0(VALU_DEP_1) | instskip(NEXT) | instid1(VALU_DEP_1)
	v_add_f32_e32 v100, v99, v87
	v_sub_f32_e32 v101, v97, v100
	v_sub_f32_e32 v85, v100, v99
	s_delay_alu instid0(VALU_DEP_2) | instskip(NEXT) | instid1(VALU_DEP_2)
	v_sub_f32_e32 v97, v97, v101
	v_sub_f32_e32 v85, v85, v87
	s_delay_alu instid0(VALU_DEP_2) | instskip(NEXT) | instid1(VALU_DEP_1)
	v_sub_f32_e32 v97, v97, v100
	v_add_f32_e32 v82, v82, v97
	s_delay_alu instid0(VALU_DEP_1) | instskip(NEXT) | instid1(VALU_DEP_1)
	v_add_f32_e32 v82, v85, v82
	v_add_f32_e32 v85, v101, v82
	s_delay_alu instid0(VALU_DEP_1) | instskip(NEXT) | instid1(VALU_DEP_1)
	v_mul_f32_e32 v87, v84, v85
	v_dual_sub_f32 v100, v101, v85 :: v_dual_mul_f32 v97, v96, v87
	s_delay_alu instid0(VALU_DEP_1) | instskip(NEXT) | instid1(VALU_DEP_2)
	v_add_f32_e32 v82, v82, v100
	v_fma_f32 v96, v87, v96, -v97
	s_delay_alu instid0(VALU_DEP_1) | instskip(NEXT) | instid1(VALU_DEP_1)
	v_fmac_f32_e32 v96, v87, v86
	v_add_f32_e32 v86, v97, v96
	s_delay_alu instid0(VALU_DEP_1) | instskip(SKIP_1) | instid1(VALU_DEP_2)
	v_sub_f32_e32 v99, v85, v86
	v_sub_f32_e32 v97, v86, v97
	;; [unrolled: 1-line block ×3, first 2 shown]
	s_delay_alu instid0(VALU_DEP_1) | instskip(NEXT) | instid1(VALU_DEP_3)
	v_sub_f32_e32 v85, v85, v86
	v_sub_f32_e32 v86, v97, v96
	s_delay_alu instid0(VALU_DEP_2) | instskip(SKIP_1) | instid1(VALU_DEP_2)
	v_add_f32_e32 v82, v82, v85
	v_add_f32_e32 v85, v98, v87
	;; [unrolled: 1-line block ×3, first 2 shown]
	s_delay_alu instid0(VALU_DEP_2) | instskip(NEXT) | instid1(VALU_DEP_2)
	v_sub_f32_e32 v86, v85, v98
	v_add_f32_e32 v82, v99, v82
	s_delay_alu instid0(VALU_DEP_2) | instskip(NEXT) | instid1(VALU_DEP_2)
	v_sub_f32_e32 v86, v87, v86
	v_mul_f32_e32 v82, v84, v82
	s_delay_alu instid0(VALU_DEP_1) | instskip(NEXT) | instid1(VALU_DEP_1)
	v_add_f32_e32 v82, v86, v82
	v_add_f32_e32 v84, v85, v82
	s_delay_alu instid0(VALU_DEP_1) | instskip(NEXT) | instid1(VALU_DEP_1)
	v_mul_f32_e32 v86, v84, v84
	v_fmaak_f32 v87, s2, v86, 0x3ecc95a3
	v_mul_f32_e32 v96, v84, v86
	v_cmp_gt_f32_e64 s2, 0x33800000, |v83|
	s_delay_alu instid0(VALU_DEP_3) | instskip(SKIP_2) | instid1(VALU_DEP_4)
	v_fmaak_f32 v86, v86, v87, 0x3f2aaada
	v_ldexp_f32 v87, v84, 1
	v_sub_f32_e32 v84, v84, v85
	s_or_b32 vcc_lo, vcc_lo, s2
	s_delay_alu instid0(VALU_DEP_3) | instskip(SKIP_1) | instid1(VALU_DEP_2)
	v_mul_f32_e32 v86, v96, v86
	v_mul_f32_e32 v96, 0x3f317218, v81
	v_dual_sub_f32 v82, v82, v84 :: v_dual_add_f32 v85, v87, v86
	s_delay_alu instid0(VALU_DEP_1) | instskip(NEXT) | instid1(VALU_DEP_2)
	v_ldexp_f32 v82, v82, 1
	v_sub_f32_e32 v84, v85, v87
	s_delay_alu instid0(VALU_DEP_4) | instskip(NEXT) | instid1(VALU_DEP_1)
	v_fma_f32 v87, 0x3f317218, v81, -v96
	v_dual_sub_f32 v84, v86, v84 :: v_dual_fmamk_f32 v81, v81, 0xb102e308, v87
	s_delay_alu instid0(VALU_DEP_1) | instskip(NEXT) | instid1(VALU_DEP_2)
	v_add_f32_e32 v82, v82, v84
	v_add_f32_e32 v84, v96, v81
	s_delay_alu instid0(VALU_DEP_2) | instskip(NEXT) | instid1(VALU_DEP_2)
	v_add_f32_e32 v86, v85, v82
	v_sub_f32_e32 v96, v84, v96
	s_delay_alu instid0(VALU_DEP_2) | instskip(SKIP_1) | instid1(VALU_DEP_3)
	v_add_f32_e32 v87, v84, v86
	v_sub_f32_e32 v85, v86, v85
	v_sub_f32_e32 v81, v81, v96
	s_delay_alu instid0(VALU_DEP_2) | instskip(NEXT) | instid1(VALU_DEP_1)
	v_dual_sub_f32 v97, v87, v84 :: v_dual_sub_f32 v82, v82, v85
	v_sub_f32_e32 v98, v87, v97
	s_delay_alu instid0(VALU_DEP_2) | instskip(NEXT) | instid1(VALU_DEP_2)
	v_dual_sub_f32 v85, v86, v97 :: v_dual_add_f32 v86, v81, v82
	v_sub_f32_e32 v84, v84, v98
	s_delay_alu instid0(VALU_DEP_1) | instskip(NEXT) | instid1(VALU_DEP_1)
	v_dual_add_f32 v84, v85, v84 :: v_dual_sub_f32 v85, v86, v81
	v_add_f32_e32 v84, v86, v84
	s_delay_alu instid0(VALU_DEP_2) | instskip(SKIP_1) | instid1(VALU_DEP_2)
	v_sub_f32_e32 v86, v86, v85
	v_sub_f32_e32 v82, v82, v85
	v_dual_add_f32 v96, v87, v84 :: v_dual_sub_f32 v81, v81, v86
	s_delay_alu instid0(VALU_DEP_1) | instskip(NEXT) | instid1(VALU_DEP_2)
	v_sub_f32_e32 v85, v96, v87
	v_add_f32_e32 v81, v82, v81
	s_delay_alu instid0(VALU_DEP_2) | instskip(NEXT) | instid1(VALU_DEP_1)
	v_sub_f32_e32 v82, v84, v85
	v_add_f32_e32 v81, v81, v82
	s_delay_alu instid0(VALU_DEP_1) | instskip(NEXT) | instid1(VALU_DEP_1)
	v_add_f32_e32 v81, v96, v81
	v_cndmask_b32_e32 v81, v81, v83, vcc_lo
	s_delay_alu instid0(VALU_DEP_1)
	v_add_f32_e32 v81, v80, v81
.LBB453_222:
	s_or_b32 exec_lo, exec_lo, s1
	s_delay_alu instid0(VALU_DEP_1) | instskip(SKIP_1) | instid1(VALU_DEP_2)
	v_bfe_u32 v80, v81, 16, 1
	v_cmp_o_f32_e32 vcc_lo, v81, v81
	v_add3_u32 v80, v81, v80, 0x7fff
	s_delay_alu instid0(VALU_DEP_1) | instskip(NEXT) | instid1(VALU_DEP_1)
	v_lshrrev_b32_e32 v80, 16, v80
	v_cndmask_b32_e32 v80, 0x7fc0, v80, vcc_lo
	s_delay_alu instid0(VALU_DEP_1) | instskip(NEXT) | instid1(VALU_DEP_1)
	v_lshlrev_b32_e32 v82, 16, v80
	v_max_f32_e32 v81, v82, v82
	v_cmp_u_f32_e32 vcc_lo, v82, v82
	s_delay_alu instid0(VALU_DEP_2) | instskip(SKIP_1) | instid1(VALU_DEP_2)
	v_min_f32_e32 v83, v81, v128
	v_max_f32_e32 v81, v81, v128
	v_cndmask_b32_e32 v83, v83, v82, vcc_lo
	s_delay_alu instid0(VALU_DEP_2) | instskip(NEXT) | instid1(VALU_DEP_2)
	v_cndmask_b32_e32 v81, v81, v82, vcc_lo
	v_cndmask_b32_e64 v83, v83, v115, s18
	s_delay_alu instid0(VALU_DEP_2) | instskip(NEXT) | instid1(VALU_DEP_2)
	v_cndmask_b32_e64 v81, v81, v115, s18
	v_cmp_class_f32_e64 s1, v83, 0x1f8
	s_delay_alu instid0(VALU_DEP_2) | instskip(NEXT) | instid1(VALU_DEP_2)
	v_cmp_neq_f32_e32 vcc_lo, v83, v81
	s_or_b32 s2, vcc_lo, s1
	s_delay_alu instid0(SALU_CYCLE_1)
	s_and_saveexec_b32 s1, s2
	s_cbranch_execz .LBB453_224
; %bb.223:
	v_sub_f32_e32 v82, v83, v81
	s_mov_b32 s2, 0x3e9b6dac
	s_delay_alu instid0(VALU_DEP_1) | instskip(SKIP_1) | instid1(VALU_DEP_2)
	v_mul_f32_e32 v83, 0x3fb8aa3b, v82
	v_cmp_ngt_f32_e32 vcc_lo, 0xc2ce8ed0, v82
	v_fma_f32 v84, 0x3fb8aa3b, v82, -v83
	v_rndne_f32_e32 v85, v83
	s_delay_alu instid0(VALU_DEP_1) | instskip(NEXT) | instid1(VALU_DEP_1)
	v_dual_fmamk_f32 v84, v82, 0x32a5705f, v84 :: v_dual_sub_f32 v83, v83, v85
	v_add_f32_e32 v83, v83, v84
	v_cvt_i32_f32_e32 v84, v85
	s_delay_alu instid0(VALU_DEP_2) | instskip(SKIP_2) | instid1(VALU_DEP_1)
	v_exp_f32_e32 v83, v83
	s_waitcnt_depctr 0xfff
	v_ldexp_f32 v83, v83, v84
	v_cndmask_b32_e32 v83, 0, v83, vcc_lo
	v_cmp_nlt_f32_e32 vcc_lo, 0x42b17218, v82
	s_delay_alu instid0(VALU_DEP_2) | instskip(NEXT) | instid1(VALU_DEP_1)
	v_cndmask_b32_e32 v84, 0x7f800000, v83, vcc_lo
	v_add_f32_e32 v85, 1.0, v84
	s_delay_alu instid0(VALU_DEP_1) | instskip(NEXT) | instid1(VALU_DEP_1)
	v_cvt_f64_f32_e32 v[82:83], v85
	v_frexp_exp_i32_f64_e32 v82, v[82:83]
	v_frexp_mant_f32_e32 v83, v85
	s_delay_alu instid0(VALU_DEP_1) | instskip(SKIP_1) | instid1(VALU_DEP_1)
	v_cmp_gt_f32_e32 vcc_lo, 0x3f2aaaab, v83
	v_add_f32_e32 v83, -1.0, v85
	v_sub_f32_e32 v87, v83, v85
	v_sub_f32_e32 v83, v84, v83
	v_subrev_co_ci_u32_e32 v82, vcc_lo, 0, v82, vcc_lo
	v_cmp_eq_f32_e32 vcc_lo, 0x7f800000, v84
	s_delay_alu instid0(VALU_DEP_2) | instskip(SKIP_1) | instid1(VALU_DEP_2)
	v_sub_nc_u32_e32 v86, 0, v82
	v_cvt_f32_i32_e32 v82, v82
	v_ldexp_f32 v85, v85, v86
	s_delay_alu instid0(VALU_DEP_1) | instskip(NEXT) | instid1(VALU_DEP_1)
	v_dual_add_f32 v96, 1.0, v85 :: v_dual_add_f32 v87, 1.0, v87
	v_add_f32_e32 v83, v83, v87
	s_delay_alu instid0(VALU_DEP_2) | instskip(NEXT) | instid1(VALU_DEP_2)
	v_add_f32_e32 v87, -1.0, v96
	v_ldexp_f32 v83, v83, v86
	s_delay_alu instid0(VALU_DEP_2) | instskip(NEXT) | instid1(VALU_DEP_1)
	v_dual_add_f32 v86, -1.0, v85 :: v_dual_sub_f32 v87, v85, v87
	v_add_f32_e32 v97, 1.0, v86
	s_delay_alu instid0(VALU_DEP_2) | instskip(NEXT) | instid1(VALU_DEP_2)
	v_add_f32_e32 v87, v83, v87
	v_sub_f32_e32 v85, v85, v97
	s_delay_alu instid0(VALU_DEP_2) | instskip(NEXT) | instid1(VALU_DEP_2)
	v_add_f32_e32 v97, v96, v87
	v_add_f32_e32 v83, v83, v85
	s_delay_alu instid0(VALU_DEP_2) | instskip(SKIP_1) | instid1(VALU_DEP_1)
	v_rcp_f32_e32 v85, v97
	v_sub_f32_e32 v96, v96, v97
	v_dual_add_f32 v98, v86, v83 :: v_dual_add_f32 v87, v87, v96
	s_delay_alu instid0(VALU_DEP_1) | instskip(SKIP_2) | instid1(VALU_DEP_1)
	v_sub_f32_e32 v86, v86, v98
	s_waitcnt_depctr 0xfff
	v_mul_f32_e32 v99, v98, v85
	v_dual_add_f32 v83, v83, v86 :: v_dual_mul_f32 v100, v97, v99
	s_delay_alu instid0(VALU_DEP_1) | instskip(NEXT) | instid1(VALU_DEP_1)
	v_fma_f32 v96, v99, v97, -v100
	v_fmac_f32_e32 v96, v99, v87
	s_delay_alu instid0(VALU_DEP_1) | instskip(NEXT) | instid1(VALU_DEP_1)
	v_add_f32_e32 v101, v100, v96
	v_sub_f32_e32 v102, v98, v101
	v_sub_f32_e32 v86, v101, v100
	s_delay_alu instid0(VALU_DEP_2) | instskip(NEXT) | instid1(VALU_DEP_2)
	v_sub_f32_e32 v98, v98, v102
	v_sub_f32_e32 v86, v86, v96
	s_delay_alu instid0(VALU_DEP_2) | instskip(NEXT) | instid1(VALU_DEP_1)
	v_sub_f32_e32 v98, v98, v101
	v_add_f32_e32 v83, v83, v98
	s_delay_alu instid0(VALU_DEP_1) | instskip(NEXT) | instid1(VALU_DEP_1)
	v_add_f32_e32 v83, v86, v83
	v_add_f32_e32 v86, v102, v83
	s_delay_alu instid0(VALU_DEP_1) | instskip(NEXT) | instid1(VALU_DEP_1)
	v_mul_f32_e32 v96, v85, v86
	v_dual_sub_f32 v101, v102, v86 :: v_dual_mul_f32 v98, v97, v96
	s_delay_alu instid0(VALU_DEP_1) | instskip(NEXT) | instid1(VALU_DEP_2)
	v_add_f32_e32 v83, v83, v101
	v_fma_f32 v97, v96, v97, -v98
	s_delay_alu instid0(VALU_DEP_1) | instskip(NEXT) | instid1(VALU_DEP_1)
	v_fmac_f32_e32 v97, v96, v87
	v_add_f32_e32 v87, v98, v97
	s_delay_alu instid0(VALU_DEP_1) | instskip(SKIP_1) | instid1(VALU_DEP_2)
	v_sub_f32_e32 v100, v86, v87
	v_sub_f32_e32 v98, v87, v98
	;; [unrolled: 1-line block ×3, first 2 shown]
	s_delay_alu instid0(VALU_DEP_1) | instskip(NEXT) | instid1(VALU_DEP_3)
	v_sub_f32_e32 v86, v86, v87
	v_sub_f32_e32 v87, v98, v97
	s_delay_alu instid0(VALU_DEP_2) | instskip(SKIP_1) | instid1(VALU_DEP_2)
	v_add_f32_e32 v83, v83, v86
	v_add_f32_e32 v86, v99, v96
	v_add_f32_e32 v83, v87, v83
	s_delay_alu instid0(VALU_DEP_2) | instskip(NEXT) | instid1(VALU_DEP_2)
	v_sub_f32_e32 v87, v86, v99
	v_add_f32_e32 v83, v100, v83
	s_delay_alu instid0(VALU_DEP_2) | instskip(NEXT) | instid1(VALU_DEP_2)
	v_sub_f32_e32 v87, v96, v87
	v_mul_f32_e32 v83, v85, v83
	s_delay_alu instid0(VALU_DEP_1) | instskip(NEXT) | instid1(VALU_DEP_1)
	v_add_f32_e32 v83, v87, v83
	v_add_f32_e32 v85, v86, v83
	s_delay_alu instid0(VALU_DEP_1) | instskip(NEXT) | instid1(VALU_DEP_1)
	v_mul_f32_e32 v87, v85, v85
	v_fmaak_f32 v96, s2, v87, 0x3ecc95a3
	v_mul_f32_e32 v97, v85, v87
	v_cmp_gt_f32_e64 s2, 0x33800000, |v84|
	s_delay_alu instid0(VALU_DEP_3) | instskip(SKIP_2) | instid1(VALU_DEP_4)
	v_fmaak_f32 v87, v87, v96, 0x3f2aaada
	v_ldexp_f32 v96, v85, 1
	v_sub_f32_e32 v85, v85, v86
	s_or_b32 vcc_lo, vcc_lo, s2
	s_delay_alu instid0(VALU_DEP_3) | instskip(SKIP_1) | instid1(VALU_DEP_2)
	v_mul_f32_e32 v87, v97, v87
	v_mul_f32_e32 v97, 0x3f317218, v82
	v_dual_sub_f32 v83, v83, v85 :: v_dual_add_f32 v86, v96, v87
	s_delay_alu instid0(VALU_DEP_1) | instskip(NEXT) | instid1(VALU_DEP_2)
	v_ldexp_f32 v83, v83, 1
	v_sub_f32_e32 v85, v86, v96
	s_delay_alu instid0(VALU_DEP_4) | instskip(NEXT) | instid1(VALU_DEP_1)
	v_fma_f32 v96, 0x3f317218, v82, -v97
	v_dual_sub_f32 v85, v87, v85 :: v_dual_fmamk_f32 v82, v82, 0xb102e308, v96
	s_delay_alu instid0(VALU_DEP_1) | instskip(NEXT) | instid1(VALU_DEP_2)
	v_add_f32_e32 v83, v83, v85
	v_add_f32_e32 v85, v97, v82
	s_delay_alu instid0(VALU_DEP_2) | instskip(NEXT) | instid1(VALU_DEP_2)
	v_add_f32_e32 v87, v86, v83
	v_sub_f32_e32 v97, v85, v97
	s_delay_alu instid0(VALU_DEP_2) | instskip(SKIP_1) | instid1(VALU_DEP_3)
	v_add_f32_e32 v96, v85, v87
	v_sub_f32_e32 v86, v87, v86
	v_sub_f32_e32 v82, v82, v97
	s_delay_alu instid0(VALU_DEP_2) | instskip(NEXT) | instid1(VALU_DEP_1)
	v_dual_sub_f32 v98, v96, v85 :: v_dual_sub_f32 v83, v83, v86
	v_sub_f32_e32 v99, v96, v98
	s_delay_alu instid0(VALU_DEP_2) | instskip(NEXT) | instid1(VALU_DEP_2)
	v_dual_sub_f32 v86, v87, v98 :: v_dual_add_f32 v87, v82, v83
	v_sub_f32_e32 v85, v85, v99
	s_delay_alu instid0(VALU_DEP_1) | instskip(NEXT) | instid1(VALU_DEP_1)
	v_dual_add_f32 v85, v86, v85 :: v_dual_sub_f32 v86, v87, v82
	v_add_f32_e32 v85, v87, v85
	s_delay_alu instid0(VALU_DEP_2) | instskip(SKIP_1) | instid1(VALU_DEP_2)
	v_sub_f32_e32 v87, v87, v86
	v_sub_f32_e32 v83, v83, v86
	v_dual_add_f32 v97, v96, v85 :: v_dual_sub_f32 v82, v82, v87
	s_delay_alu instid0(VALU_DEP_1) | instskip(NEXT) | instid1(VALU_DEP_2)
	v_sub_f32_e32 v86, v97, v96
	v_add_f32_e32 v82, v83, v82
	s_delay_alu instid0(VALU_DEP_2) | instskip(NEXT) | instid1(VALU_DEP_1)
	v_sub_f32_e32 v83, v85, v86
	v_add_f32_e32 v82, v82, v83
	s_delay_alu instid0(VALU_DEP_1) | instskip(NEXT) | instid1(VALU_DEP_1)
	v_add_f32_e32 v82, v97, v82
	v_cndmask_b32_e32 v82, v82, v84, vcc_lo
	s_delay_alu instid0(VALU_DEP_1)
	v_add_f32_e32 v82, v81, v82
.LBB453_224:
	s_or_b32 exec_lo, exec_lo, s1
	s_delay_alu instid0(VALU_DEP_1) | instskip(SKIP_1) | instid1(VALU_DEP_2)
	v_bfe_u32 v81, v82, 16, 1
	v_cmp_o_f32_e32 vcc_lo, v82, v82
	v_add3_u32 v81, v82, v81, 0x7fff
	s_delay_alu instid0(VALU_DEP_1) | instskip(NEXT) | instid1(VALU_DEP_1)
	v_lshrrev_b32_e32 v81, 16, v81
	v_cndmask_b32_e32 v81, 0x7fc0, v81, vcc_lo
	s_delay_alu instid0(VALU_DEP_1) | instskip(NEXT) | instid1(VALU_DEP_1)
	v_lshlrev_b32_e32 v83, 16, v81
	v_max_f32_e32 v82, v83, v83
	s_delay_alu instid0(VALU_DEP_1) | instskip(SKIP_2) | instid1(VALU_DEP_3)
	v_min_f32_e32 v84, v82, v130
	v_max_f32_e32 v82, v82, v130
	v_cmp_u_f32_e32 vcc_lo, v83, v83
	v_cndmask_b32_e32 v84, v84, v83, vcc_lo
	s_delay_alu instid0(VALU_DEP_3) | instskip(NEXT) | instid1(VALU_DEP_2)
	v_cndmask_b32_e32 v82, v82, v83, vcc_lo
	v_cndmask_b32_e64 v84, v84, v117, s19
	s_delay_alu instid0(VALU_DEP_2) | instskip(NEXT) | instid1(VALU_DEP_2)
	v_cndmask_b32_e64 v82, v82, v117, s19
	v_cmp_class_f32_e64 s1, v84, 0x1f8
	s_delay_alu instid0(VALU_DEP_2) | instskip(NEXT) | instid1(VALU_DEP_2)
	v_cmp_neq_f32_e32 vcc_lo, v84, v82
	s_or_b32 s2, vcc_lo, s1
	s_delay_alu instid0(SALU_CYCLE_1)
	s_and_saveexec_b32 s1, s2
	s_cbranch_execz .LBB453_226
; %bb.225:
	v_sub_f32_e32 v83, v84, v82
	s_mov_b32 s2, 0x3e9b6dac
	s_delay_alu instid0(VALU_DEP_1) | instskip(SKIP_1) | instid1(VALU_DEP_2)
	v_mul_f32_e32 v84, 0x3fb8aa3b, v83
	v_cmp_ngt_f32_e32 vcc_lo, 0xc2ce8ed0, v83
	v_fma_f32 v85, 0x3fb8aa3b, v83, -v84
	v_rndne_f32_e32 v86, v84
	s_delay_alu instid0(VALU_DEP_1) | instskip(NEXT) | instid1(VALU_DEP_1)
	v_dual_fmamk_f32 v85, v83, 0x32a5705f, v85 :: v_dual_sub_f32 v84, v84, v86
	v_add_f32_e32 v84, v84, v85
	v_cvt_i32_f32_e32 v85, v86
	s_delay_alu instid0(VALU_DEP_2) | instskip(SKIP_2) | instid1(VALU_DEP_1)
	v_exp_f32_e32 v84, v84
	s_waitcnt_depctr 0xfff
	v_ldexp_f32 v84, v84, v85
	v_cndmask_b32_e32 v84, 0, v84, vcc_lo
	v_cmp_nlt_f32_e32 vcc_lo, 0x42b17218, v83
	s_delay_alu instid0(VALU_DEP_2) | instskip(NEXT) | instid1(VALU_DEP_1)
	v_cndmask_b32_e32 v85, 0x7f800000, v84, vcc_lo
	v_add_f32_e32 v86, 1.0, v85
	s_delay_alu instid0(VALU_DEP_1) | instskip(NEXT) | instid1(VALU_DEP_1)
	v_cvt_f64_f32_e32 v[83:84], v86
	v_frexp_exp_i32_f64_e32 v83, v[83:84]
	v_frexp_mant_f32_e32 v84, v86
	s_delay_alu instid0(VALU_DEP_1) | instskip(SKIP_1) | instid1(VALU_DEP_1)
	v_cmp_gt_f32_e32 vcc_lo, 0x3f2aaaab, v84
	v_add_f32_e32 v84, -1.0, v86
	v_sub_f32_e32 v96, v84, v86
	v_sub_f32_e32 v84, v85, v84
	v_subrev_co_ci_u32_e32 v83, vcc_lo, 0, v83, vcc_lo
	v_cmp_eq_f32_e32 vcc_lo, 0x7f800000, v85
	s_delay_alu instid0(VALU_DEP_2) | instskip(SKIP_1) | instid1(VALU_DEP_2)
	v_sub_nc_u32_e32 v87, 0, v83
	v_cvt_f32_i32_e32 v83, v83
	v_ldexp_f32 v86, v86, v87
	s_delay_alu instid0(VALU_DEP_1) | instskip(NEXT) | instid1(VALU_DEP_1)
	v_dual_add_f32 v97, 1.0, v86 :: v_dual_add_f32 v96, 1.0, v96
	v_add_f32_e32 v84, v84, v96
	s_delay_alu instid0(VALU_DEP_2) | instskip(NEXT) | instid1(VALU_DEP_2)
	v_add_f32_e32 v96, -1.0, v97
	v_ldexp_f32 v84, v84, v87
	s_delay_alu instid0(VALU_DEP_2) | instskip(NEXT) | instid1(VALU_DEP_1)
	v_dual_add_f32 v87, -1.0, v86 :: v_dual_sub_f32 v96, v86, v96
	v_add_f32_e32 v98, 1.0, v87
	s_delay_alu instid0(VALU_DEP_2) | instskip(NEXT) | instid1(VALU_DEP_2)
	v_add_f32_e32 v96, v84, v96
	v_sub_f32_e32 v86, v86, v98
	s_delay_alu instid0(VALU_DEP_2) | instskip(NEXT) | instid1(VALU_DEP_2)
	v_add_f32_e32 v98, v97, v96
	v_add_f32_e32 v84, v84, v86
	s_delay_alu instid0(VALU_DEP_2) | instskip(SKIP_1) | instid1(VALU_DEP_1)
	v_rcp_f32_e32 v86, v98
	v_sub_f32_e32 v97, v97, v98
	v_dual_add_f32 v99, v87, v84 :: v_dual_add_f32 v96, v96, v97
	s_delay_alu instid0(VALU_DEP_1) | instskip(SKIP_2) | instid1(VALU_DEP_1)
	v_sub_f32_e32 v87, v87, v99
	s_waitcnt_depctr 0xfff
	v_mul_f32_e32 v100, v99, v86
	v_dual_add_f32 v84, v84, v87 :: v_dual_mul_f32 v101, v98, v100
	s_delay_alu instid0(VALU_DEP_1) | instskip(NEXT) | instid1(VALU_DEP_1)
	v_fma_f32 v97, v100, v98, -v101
	v_fmac_f32_e32 v97, v100, v96
	s_delay_alu instid0(VALU_DEP_1) | instskip(NEXT) | instid1(VALU_DEP_1)
	v_add_f32_e32 v102, v101, v97
	v_sub_f32_e32 v103, v99, v102
	v_sub_f32_e32 v87, v102, v101
	s_delay_alu instid0(VALU_DEP_2) | instskip(NEXT) | instid1(VALU_DEP_2)
	v_sub_f32_e32 v99, v99, v103
	v_sub_f32_e32 v87, v87, v97
	s_delay_alu instid0(VALU_DEP_2) | instskip(NEXT) | instid1(VALU_DEP_1)
	v_sub_f32_e32 v99, v99, v102
	v_add_f32_e32 v84, v84, v99
	s_delay_alu instid0(VALU_DEP_1) | instskip(NEXT) | instid1(VALU_DEP_1)
	v_add_f32_e32 v84, v87, v84
	v_add_f32_e32 v87, v103, v84
	s_delay_alu instid0(VALU_DEP_1) | instskip(NEXT) | instid1(VALU_DEP_1)
	v_mul_f32_e32 v97, v86, v87
	v_dual_sub_f32 v102, v103, v87 :: v_dual_mul_f32 v99, v98, v97
	s_delay_alu instid0(VALU_DEP_1) | instskip(NEXT) | instid1(VALU_DEP_2)
	v_add_f32_e32 v84, v84, v102
	v_fma_f32 v98, v97, v98, -v99
	s_delay_alu instid0(VALU_DEP_1) | instskip(NEXT) | instid1(VALU_DEP_1)
	v_fmac_f32_e32 v98, v97, v96
	v_add_f32_e32 v96, v99, v98
	s_delay_alu instid0(VALU_DEP_1) | instskip(SKIP_1) | instid1(VALU_DEP_2)
	v_sub_f32_e32 v101, v87, v96
	v_sub_f32_e32 v99, v96, v99
	;; [unrolled: 1-line block ×3, first 2 shown]
	s_delay_alu instid0(VALU_DEP_1) | instskip(NEXT) | instid1(VALU_DEP_3)
	v_sub_f32_e32 v87, v87, v96
	v_sub_f32_e32 v96, v99, v98
	s_delay_alu instid0(VALU_DEP_2) | instskip(SKIP_1) | instid1(VALU_DEP_2)
	v_add_f32_e32 v84, v84, v87
	v_add_f32_e32 v87, v100, v97
	;; [unrolled: 1-line block ×3, first 2 shown]
	s_delay_alu instid0(VALU_DEP_2) | instskip(NEXT) | instid1(VALU_DEP_2)
	v_sub_f32_e32 v96, v87, v100
	v_add_f32_e32 v84, v101, v84
	s_delay_alu instid0(VALU_DEP_2) | instskip(NEXT) | instid1(VALU_DEP_2)
	v_sub_f32_e32 v96, v97, v96
	v_mul_f32_e32 v84, v86, v84
	s_delay_alu instid0(VALU_DEP_1) | instskip(NEXT) | instid1(VALU_DEP_1)
	v_add_f32_e32 v84, v96, v84
	v_add_f32_e32 v86, v87, v84
	s_delay_alu instid0(VALU_DEP_1) | instskip(NEXT) | instid1(VALU_DEP_1)
	v_mul_f32_e32 v96, v86, v86
	v_fmaak_f32 v97, s2, v96, 0x3ecc95a3
	v_mul_f32_e32 v98, v86, v96
	v_cmp_gt_f32_e64 s2, 0x33800000, |v85|
	s_delay_alu instid0(VALU_DEP_3) | instskip(SKIP_2) | instid1(VALU_DEP_4)
	v_fmaak_f32 v96, v96, v97, 0x3f2aaada
	v_ldexp_f32 v97, v86, 1
	v_sub_f32_e32 v86, v86, v87
	s_or_b32 vcc_lo, vcc_lo, s2
	s_delay_alu instid0(VALU_DEP_3) | instskip(SKIP_1) | instid1(VALU_DEP_2)
	v_mul_f32_e32 v96, v98, v96
	v_mul_f32_e32 v98, 0x3f317218, v83
	v_dual_sub_f32 v84, v84, v86 :: v_dual_add_f32 v87, v97, v96
	s_delay_alu instid0(VALU_DEP_1) | instskip(NEXT) | instid1(VALU_DEP_2)
	v_ldexp_f32 v84, v84, 1
	v_sub_f32_e32 v86, v87, v97
	s_delay_alu instid0(VALU_DEP_4) | instskip(NEXT) | instid1(VALU_DEP_1)
	v_fma_f32 v97, 0x3f317218, v83, -v98
	v_dual_sub_f32 v86, v96, v86 :: v_dual_fmamk_f32 v83, v83, 0xb102e308, v97
	s_delay_alu instid0(VALU_DEP_1) | instskip(NEXT) | instid1(VALU_DEP_2)
	v_add_f32_e32 v84, v84, v86
	v_add_f32_e32 v86, v98, v83
	s_delay_alu instid0(VALU_DEP_2) | instskip(NEXT) | instid1(VALU_DEP_2)
	v_add_f32_e32 v96, v87, v84
	v_sub_f32_e32 v98, v86, v98
	s_delay_alu instid0(VALU_DEP_2) | instskip(SKIP_1) | instid1(VALU_DEP_3)
	v_add_f32_e32 v97, v86, v96
	v_sub_f32_e32 v87, v96, v87
	v_sub_f32_e32 v83, v83, v98
	s_delay_alu instid0(VALU_DEP_2) | instskip(NEXT) | instid1(VALU_DEP_1)
	v_dual_sub_f32 v99, v97, v86 :: v_dual_sub_f32 v84, v84, v87
	v_sub_f32_e32 v100, v97, v99
	s_delay_alu instid0(VALU_DEP_2) | instskip(NEXT) | instid1(VALU_DEP_2)
	v_dual_sub_f32 v87, v96, v99 :: v_dual_add_f32 v96, v83, v84
	v_sub_f32_e32 v86, v86, v100
	s_delay_alu instid0(VALU_DEP_1) | instskip(NEXT) | instid1(VALU_DEP_1)
	v_dual_add_f32 v86, v87, v86 :: v_dual_sub_f32 v87, v96, v83
	v_add_f32_e32 v86, v96, v86
	s_delay_alu instid0(VALU_DEP_2) | instskip(SKIP_1) | instid1(VALU_DEP_2)
	v_sub_f32_e32 v96, v96, v87
	v_sub_f32_e32 v84, v84, v87
	v_dual_add_f32 v98, v97, v86 :: v_dual_sub_f32 v83, v83, v96
	s_delay_alu instid0(VALU_DEP_1) | instskip(NEXT) | instid1(VALU_DEP_2)
	v_sub_f32_e32 v87, v98, v97
	v_add_f32_e32 v83, v84, v83
	s_delay_alu instid0(VALU_DEP_2) | instskip(NEXT) | instid1(VALU_DEP_1)
	v_sub_f32_e32 v84, v86, v87
	v_add_f32_e32 v83, v83, v84
	s_delay_alu instid0(VALU_DEP_1) | instskip(NEXT) | instid1(VALU_DEP_1)
	v_add_f32_e32 v83, v98, v83
	v_cndmask_b32_e32 v83, v83, v85, vcc_lo
	s_delay_alu instid0(VALU_DEP_1)
	v_add_f32_e32 v83, v82, v83
.LBB453_226:
	s_or_b32 exec_lo, exec_lo, s1
	s_delay_alu instid0(VALU_DEP_1) | instskip(SKIP_1) | instid1(VALU_DEP_2)
	v_bfe_u32 v82, v83, 16, 1
	v_cmp_o_f32_e32 vcc_lo, v83, v83
	v_add3_u32 v82, v83, v82, 0x7fff
	s_delay_alu instid0(VALU_DEP_1) | instskip(NEXT) | instid1(VALU_DEP_1)
	v_lshrrev_b32_e32 v82, 16, v82
	v_cndmask_b32_e32 v82, 0x7fc0, v82, vcc_lo
	s_delay_alu instid0(VALU_DEP_1) | instskip(NEXT) | instid1(VALU_DEP_1)
	v_lshlrev_b32_e32 v84, 16, v82
	v_max_f32_e32 v83, v84, v84
	s_delay_alu instid0(VALU_DEP_1) | instskip(SKIP_2) | instid1(VALU_DEP_3)
	v_min_f32_e32 v85, v83, v132
	v_max_f32_e32 v83, v83, v132
	v_cmp_u_f32_e32 vcc_lo, v84, v84
	v_cndmask_b32_e32 v85, v85, v84, vcc_lo
	s_delay_alu instid0(VALU_DEP_3) | instskip(NEXT) | instid1(VALU_DEP_2)
	v_cndmask_b32_e32 v83, v83, v84, vcc_lo
	v_cndmask_b32_e64 v85, v85, v119, s20
	s_delay_alu instid0(VALU_DEP_2) | instskip(NEXT) | instid1(VALU_DEP_2)
	v_cndmask_b32_e64 v83, v83, v119, s20
	v_cmp_class_f32_e64 s1, v85, 0x1f8
	s_delay_alu instid0(VALU_DEP_2) | instskip(NEXT) | instid1(VALU_DEP_2)
	v_cmp_neq_f32_e32 vcc_lo, v85, v83
	s_or_b32 s2, vcc_lo, s1
	s_delay_alu instid0(SALU_CYCLE_1)
	s_and_saveexec_b32 s1, s2
	s_cbranch_execz .LBB453_228
; %bb.227:
	v_sub_f32_e32 v84, v85, v83
	s_mov_b32 s2, 0x3e9b6dac
	s_delay_alu instid0(VALU_DEP_1) | instskip(SKIP_1) | instid1(VALU_DEP_2)
	v_mul_f32_e32 v85, 0x3fb8aa3b, v84
	v_cmp_ngt_f32_e32 vcc_lo, 0xc2ce8ed0, v84
	v_fma_f32 v86, 0x3fb8aa3b, v84, -v85
	v_rndne_f32_e32 v87, v85
	s_delay_alu instid0(VALU_DEP_1) | instskip(NEXT) | instid1(VALU_DEP_1)
	v_dual_fmamk_f32 v86, v84, 0x32a5705f, v86 :: v_dual_sub_f32 v85, v85, v87
	v_add_f32_e32 v85, v85, v86
	v_cvt_i32_f32_e32 v86, v87
	s_delay_alu instid0(VALU_DEP_2) | instskip(SKIP_2) | instid1(VALU_DEP_1)
	v_exp_f32_e32 v85, v85
	s_waitcnt_depctr 0xfff
	v_ldexp_f32 v85, v85, v86
	v_cndmask_b32_e32 v85, 0, v85, vcc_lo
	v_cmp_nlt_f32_e32 vcc_lo, 0x42b17218, v84
	s_delay_alu instid0(VALU_DEP_2) | instskip(NEXT) | instid1(VALU_DEP_1)
	v_cndmask_b32_e32 v86, 0x7f800000, v85, vcc_lo
	v_add_f32_e32 v87, 1.0, v86
	s_delay_alu instid0(VALU_DEP_1) | instskip(NEXT) | instid1(VALU_DEP_1)
	v_cvt_f64_f32_e32 v[84:85], v87
	v_frexp_exp_i32_f64_e32 v84, v[84:85]
	v_frexp_mant_f32_e32 v85, v87
	s_delay_alu instid0(VALU_DEP_1) | instskip(SKIP_1) | instid1(VALU_DEP_1)
	v_cmp_gt_f32_e32 vcc_lo, 0x3f2aaaab, v85
	v_add_f32_e32 v85, -1.0, v87
	v_sub_f32_e32 v97, v85, v87
	v_sub_f32_e32 v85, v86, v85
	v_subrev_co_ci_u32_e32 v84, vcc_lo, 0, v84, vcc_lo
	v_cmp_eq_f32_e32 vcc_lo, 0x7f800000, v86
	s_delay_alu instid0(VALU_DEP_2) | instskip(SKIP_1) | instid1(VALU_DEP_2)
	v_sub_nc_u32_e32 v96, 0, v84
	v_cvt_f32_i32_e32 v84, v84
	v_ldexp_f32 v87, v87, v96
	s_delay_alu instid0(VALU_DEP_1) | instskip(NEXT) | instid1(VALU_DEP_1)
	v_dual_add_f32 v98, 1.0, v87 :: v_dual_add_f32 v97, 1.0, v97
	v_add_f32_e32 v85, v85, v97
	s_delay_alu instid0(VALU_DEP_2) | instskip(NEXT) | instid1(VALU_DEP_2)
	v_add_f32_e32 v97, -1.0, v98
	v_ldexp_f32 v85, v85, v96
	s_delay_alu instid0(VALU_DEP_2) | instskip(NEXT) | instid1(VALU_DEP_1)
	v_dual_add_f32 v96, -1.0, v87 :: v_dual_sub_f32 v97, v87, v97
	v_add_f32_e32 v99, 1.0, v96
	s_delay_alu instid0(VALU_DEP_2) | instskip(NEXT) | instid1(VALU_DEP_2)
	v_add_f32_e32 v97, v85, v97
	v_sub_f32_e32 v87, v87, v99
	s_delay_alu instid0(VALU_DEP_2) | instskip(NEXT) | instid1(VALU_DEP_2)
	v_add_f32_e32 v99, v98, v97
	v_add_f32_e32 v85, v85, v87
	s_delay_alu instid0(VALU_DEP_2) | instskip(SKIP_1) | instid1(VALU_DEP_1)
	v_rcp_f32_e32 v87, v99
	v_sub_f32_e32 v98, v98, v99
	v_dual_add_f32 v100, v96, v85 :: v_dual_add_f32 v97, v97, v98
	s_delay_alu instid0(VALU_DEP_1) | instskip(SKIP_2) | instid1(VALU_DEP_1)
	v_sub_f32_e32 v96, v96, v100
	s_waitcnt_depctr 0xfff
	v_mul_f32_e32 v101, v100, v87
	v_dual_add_f32 v85, v85, v96 :: v_dual_mul_f32 v102, v99, v101
	s_delay_alu instid0(VALU_DEP_1) | instskip(NEXT) | instid1(VALU_DEP_1)
	v_fma_f32 v98, v101, v99, -v102
	v_fmac_f32_e32 v98, v101, v97
	s_delay_alu instid0(VALU_DEP_1) | instskip(NEXT) | instid1(VALU_DEP_1)
	v_add_f32_e32 v103, v102, v98
	v_sub_f32_e32 v112, v100, v103
	v_sub_f32_e32 v96, v103, v102
	s_delay_alu instid0(VALU_DEP_2) | instskip(NEXT) | instid1(VALU_DEP_2)
	v_sub_f32_e32 v100, v100, v112
	v_sub_f32_e32 v96, v96, v98
	s_delay_alu instid0(VALU_DEP_2) | instskip(NEXT) | instid1(VALU_DEP_1)
	v_sub_f32_e32 v100, v100, v103
	v_add_f32_e32 v85, v85, v100
	s_delay_alu instid0(VALU_DEP_1) | instskip(NEXT) | instid1(VALU_DEP_1)
	v_add_f32_e32 v85, v96, v85
	v_add_f32_e32 v96, v112, v85
	s_delay_alu instid0(VALU_DEP_1) | instskip(NEXT) | instid1(VALU_DEP_1)
	v_mul_f32_e32 v98, v87, v96
	v_dual_sub_f32 v103, v112, v96 :: v_dual_mul_f32 v100, v99, v98
	s_delay_alu instid0(VALU_DEP_1) | instskip(NEXT) | instid1(VALU_DEP_2)
	v_add_f32_e32 v85, v85, v103
	v_fma_f32 v99, v98, v99, -v100
	s_delay_alu instid0(VALU_DEP_1) | instskip(NEXT) | instid1(VALU_DEP_1)
	v_fmac_f32_e32 v99, v98, v97
	v_add_f32_e32 v97, v100, v99
	s_delay_alu instid0(VALU_DEP_1) | instskip(SKIP_1) | instid1(VALU_DEP_2)
	v_sub_f32_e32 v102, v96, v97
	v_sub_f32_e32 v100, v97, v100
	;; [unrolled: 1-line block ×3, first 2 shown]
	s_delay_alu instid0(VALU_DEP_1) | instskip(NEXT) | instid1(VALU_DEP_3)
	v_sub_f32_e32 v96, v96, v97
	v_sub_f32_e32 v97, v100, v99
	s_delay_alu instid0(VALU_DEP_2) | instskip(SKIP_1) | instid1(VALU_DEP_2)
	v_add_f32_e32 v85, v85, v96
	v_add_f32_e32 v96, v101, v98
	;; [unrolled: 1-line block ×3, first 2 shown]
	s_delay_alu instid0(VALU_DEP_2) | instskip(NEXT) | instid1(VALU_DEP_2)
	v_sub_f32_e32 v97, v96, v101
	v_add_f32_e32 v85, v102, v85
	s_delay_alu instid0(VALU_DEP_2) | instskip(NEXT) | instid1(VALU_DEP_2)
	v_sub_f32_e32 v97, v98, v97
	v_mul_f32_e32 v85, v87, v85
	s_delay_alu instid0(VALU_DEP_1) | instskip(NEXT) | instid1(VALU_DEP_1)
	v_add_f32_e32 v85, v97, v85
	v_add_f32_e32 v87, v96, v85
	s_delay_alu instid0(VALU_DEP_1) | instskip(NEXT) | instid1(VALU_DEP_1)
	v_mul_f32_e32 v97, v87, v87
	v_fmaak_f32 v98, s2, v97, 0x3ecc95a3
	v_mul_f32_e32 v99, v87, v97
	v_cmp_gt_f32_e64 s2, 0x33800000, |v86|
	s_delay_alu instid0(VALU_DEP_3) | instskip(SKIP_2) | instid1(VALU_DEP_4)
	v_fmaak_f32 v97, v97, v98, 0x3f2aaada
	v_ldexp_f32 v98, v87, 1
	v_sub_f32_e32 v87, v87, v96
	s_or_b32 vcc_lo, vcc_lo, s2
	s_delay_alu instid0(VALU_DEP_3) | instskip(SKIP_1) | instid1(VALU_DEP_2)
	v_mul_f32_e32 v97, v99, v97
	v_mul_f32_e32 v99, 0x3f317218, v84
	v_dual_sub_f32 v85, v85, v87 :: v_dual_add_f32 v96, v98, v97
	s_delay_alu instid0(VALU_DEP_1) | instskip(NEXT) | instid1(VALU_DEP_2)
	v_ldexp_f32 v85, v85, 1
	v_sub_f32_e32 v87, v96, v98
	s_delay_alu instid0(VALU_DEP_4) | instskip(NEXT) | instid1(VALU_DEP_1)
	v_fma_f32 v98, 0x3f317218, v84, -v99
	v_dual_sub_f32 v87, v97, v87 :: v_dual_fmamk_f32 v84, v84, 0xb102e308, v98
	s_delay_alu instid0(VALU_DEP_1) | instskip(NEXT) | instid1(VALU_DEP_2)
	v_add_f32_e32 v85, v85, v87
	v_add_f32_e32 v87, v99, v84
	s_delay_alu instid0(VALU_DEP_2) | instskip(NEXT) | instid1(VALU_DEP_2)
	v_add_f32_e32 v97, v96, v85
	v_sub_f32_e32 v99, v87, v99
	s_delay_alu instid0(VALU_DEP_2) | instskip(SKIP_1) | instid1(VALU_DEP_3)
	v_add_f32_e32 v98, v87, v97
	v_sub_f32_e32 v96, v97, v96
	v_sub_f32_e32 v84, v84, v99
	s_delay_alu instid0(VALU_DEP_2) | instskip(NEXT) | instid1(VALU_DEP_1)
	v_dual_sub_f32 v100, v98, v87 :: v_dual_sub_f32 v85, v85, v96
	v_sub_f32_e32 v101, v98, v100
	s_delay_alu instid0(VALU_DEP_2) | instskip(NEXT) | instid1(VALU_DEP_2)
	v_dual_sub_f32 v96, v97, v100 :: v_dual_add_f32 v97, v84, v85
	v_sub_f32_e32 v87, v87, v101
	s_delay_alu instid0(VALU_DEP_1) | instskip(NEXT) | instid1(VALU_DEP_1)
	v_dual_add_f32 v87, v96, v87 :: v_dual_sub_f32 v96, v97, v84
	v_add_f32_e32 v87, v97, v87
	s_delay_alu instid0(VALU_DEP_2) | instskip(SKIP_1) | instid1(VALU_DEP_2)
	v_sub_f32_e32 v97, v97, v96
	v_sub_f32_e32 v85, v85, v96
	v_dual_add_f32 v99, v98, v87 :: v_dual_sub_f32 v84, v84, v97
	s_delay_alu instid0(VALU_DEP_1) | instskip(NEXT) | instid1(VALU_DEP_2)
	v_sub_f32_e32 v96, v99, v98
	v_add_f32_e32 v84, v85, v84
	s_delay_alu instid0(VALU_DEP_2) | instskip(NEXT) | instid1(VALU_DEP_1)
	v_sub_f32_e32 v85, v87, v96
	v_add_f32_e32 v84, v84, v85
	s_delay_alu instid0(VALU_DEP_1) | instskip(NEXT) | instid1(VALU_DEP_1)
	v_add_f32_e32 v84, v99, v84
	v_cndmask_b32_e32 v84, v84, v86, vcc_lo
	s_delay_alu instid0(VALU_DEP_1)
	v_add_f32_e32 v84, v83, v84
.LBB453_228:
	s_or_b32 exec_lo, exec_lo, s1
	s_delay_alu instid0(VALU_DEP_1) | instskip(SKIP_1) | instid1(VALU_DEP_2)
	v_bfe_u32 v83, v84, 16, 1
	v_cmp_o_f32_e32 vcc_lo, v84, v84
	v_add3_u32 v83, v84, v83, 0x7fff
	s_delay_alu instid0(VALU_DEP_1) | instskip(NEXT) | instid1(VALU_DEP_1)
	v_lshrrev_b32_e32 v83, 16, v83
	v_cndmask_b32_e32 v83, 0x7fc0, v83, vcc_lo
	s_delay_alu instid0(VALU_DEP_1) | instskip(NEXT) | instid1(VALU_DEP_1)
	v_lshlrev_b32_e32 v85, 16, v83
	v_max_f32_e32 v84, v85, v85
	s_delay_alu instid0(VALU_DEP_1) | instskip(SKIP_2) | instid1(VALU_DEP_3)
	v_min_f32_e32 v86, v84, v133
	v_max_f32_e32 v84, v84, v133
	v_cmp_u_f32_e32 vcc_lo, v85, v85
	v_cndmask_b32_e32 v86, v86, v85, vcc_lo
	s_delay_alu instid0(VALU_DEP_3) | instskip(NEXT) | instid1(VALU_DEP_2)
	v_cndmask_b32_e32 v84, v84, v85, vcc_lo
	v_cndmask_b32_e64 v86, v86, v129, s21
	s_delay_alu instid0(VALU_DEP_2) | instskip(NEXT) | instid1(VALU_DEP_2)
	v_cndmask_b32_e64 v84, v84, v129, s21
	v_cmp_class_f32_e64 s1, v86, 0x1f8
	s_delay_alu instid0(VALU_DEP_2) | instskip(NEXT) | instid1(VALU_DEP_2)
	v_cmp_neq_f32_e32 vcc_lo, v86, v84
	s_or_b32 s2, vcc_lo, s1
	s_delay_alu instid0(SALU_CYCLE_1)
	s_and_saveexec_b32 s1, s2
	s_cbranch_execz .LBB453_230
; %bb.229:
	v_sub_f32_e32 v85, v86, v84
	s_mov_b32 s2, 0x3e9b6dac
	s_delay_alu instid0(VALU_DEP_1) | instskip(SKIP_1) | instid1(VALU_DEP_2)
	v_mul_f32_e32 v86, 0x3fb8aa3b, v85
	v_cmp_ngt_f32_e32 vcc_lo, 0xc2ce8ed0, v85
	v_fma_f32 v87, 0x3fb8aa3b, v85, -v86
	v_rndne_f32_e32 v96, v86
	s_delay_alu instid0(VALU_DEP_1) | instskip(NEXT) | instid1(VALU_DEP_1)
	v_dual_fmamk_f32 v87, v85, 0x32a5705f, v87 :: v_dual_sub_f32 v86, v86, v96
	v_add_f32_e32 v86, v86, v87
	v_cvt_i32_f32_e32 v87, v96
	s_delay_alu instid0(VALU_DEP_2) | instskip(SKIP_2) | instid1(VALU_DEP_1)
	v_exp_f32_e32 v86, v86
	s_waitcnt_depctr 0xfff
	v_ldexp_f32 v86, v86, v87
	v_cndmask_b32_e32 v86, 0, v86, vcc_lo
	v_cmp_nlt_f32_e32 vcc_lo, 0x42b17218, v85
	s_delay_alu instid0(VALU_DEP_2) | instskip(NEXT) | instid1(VALU_DEP_1)
	v_cndmask_b32_e32 v87, 0x7f800000, v86, vcc_lo
	v_add_f32_e32 v96, 1.0, v87
	s_delay_alu instid0(VALU_DEP_1) | instskip(NEXT) | instid1(VALU_DEP_1)
	v_cvt_f64_f32_e32 v[85:86], v96
	v_frexp_exp_i32_f64_e32 v85, v[85:86]
	v_frexp_mant_f32_e32 v86, v96
	s_delay_alu instid0(VALU_DEP_1) | instskip(SKIP_1) | instid1(VALU_DEP_1)
	v_cmp_gt_f32_e32 vcc_lo, 0x3f2aaaab, v86
	v_add_f32_e32 v86, -1.0, v96
	v_sub_f32_e32 v98, v86, v96
	v_sub_f32_e32 v86, v87, v86
	v_subrev_co_ci_u32_e32 v85, vcc_lo, 0, v85, vcc_lo
	v_cmp_eq_f32_e32 vcc_lo, 0x7f800000, v87
	s_delay_alu instid0(VALU_DEP_2) | instskip(SKIP_1) | instid1(VALU_DEP_2)
	v_sub_nc_u32_e32 v97, 0, v85
	v_cvt_f32_i32_e32 v85, v85
	v_ldexp_f32 v96, v96, v97
	s_delay_alu instid0(VALU_DEP_1) | instskip(NEXT) | instid1(VALU_DEP_1)
	v_dual_add_f32 v99, 1.0, v96 :: v_dual_add_f32 v98, 1.0, v98
	v_add_f32_e32 v86, v86, v98
	s_delay_alu instid0(VALU_DEP_2) | instskip(NEXT) | instid1(VALU_DEP_2)
	v_add_f32_e32 v98, -1.0, v99
	v_ldexp_f32 v86, v86, v97
	s_delay_alu instid0(VALU_DEP_2) | instskip(NEXT) | instid1(VALU_DEP_1)
	v_dual_add_f32 v97, -1.0, v96 :: v_dual_sub_f32 v98, v96, v98
	v_add_f32_e32 v100, 1.0, v97
	s_delay_alu instid0(VALU_DEP_2) | instskip(NEXT) | instid1(VALU_DEP_2)
	v_add_f32_e32 v98, v86, v98
	v_sub_f32_e32 v96, v96, v100
	s_delay_alu instid0(VALU_DEP_2) | instskip(NEXT) | instid1(VALU_DEP_2)
	v_add_f32_e32 v100, v99, v98
	v_add_f32_e32 v86, v86, v96
	s_delay_alu instid0(VALU_DEP_2) | instskip(SKIP_1) | instid1(VALU_DEP_1)
	v_rcp_f32_e32 v96, v100
	v_sub_f32_e32 v99, v99, v100
	v_dual_add_f32 v101, v97, v86 :: v_dual_add_f32 v98, v98, v99
	s_delay_alu instid0(VALU_DEP_1) | instskip(SKIP_2) | instid1(VALU_DEP_1)
	v_sub_f32_e32 v97, v97, v101
	s_waitcnt_depctr 0xfff
	v_mul_f32_e32 v102, v101, v96
	v_dual_add_f32 v86, v86, v97 :: v_dual_mul_f32 v103, v100, v102
	s_delay_alu instid0(VALU_DEP_1) | instskip(NEXT) | instid1(VALU_DEP_1)
	v_fma_f32 v99, v102, v100, -v103
	v_fmac_f32_e32 v99, v102, v98
	s_delay_alu instid0(VALU_DEP_1) | instskip(NEXT) | instid1(VALU_DEP_1)
	v_add_f32_e32 v112, v103, v99
	v_sub_f32_e32 v113, v101, v112
	v_sub_f32_e32 v97, v112, v103
	s_delay_alu instid0(VALU_DEP_2) | instskip(NEXT) | instid1(VALU_DEP_2)
	v_sub_f32_e32 v101, v101, v113
	v_sub_f32_e32 v97, v97, v99
	s_delay_alu instid0(VALU_DEP_2) | instskip(NEXT) | instid1(VALU_DEP_1)
	v_sub_f32_e32 v101, v101, v112
	v_add_f32_e32 v86, v86, v101
	s_delay_alu instid0(VALU_DEP_1) | instskip(NEXT) | instid1(VALU_DEP_1)
	v_add_f32_e32 v86, v97, v86
	v_add_f32_e32 v97, v113, v86
	s_delay_alu instid0(VALU_DEP_1) | instskip(NEXT) | instid1(VALU_DEP_1)
	v_mul_f32_e32 v99, v96, v97
	v_dual_sub_f32 v112, v113, v97 :: v_dual_mul_f32 v101, v100, v99
	s_delay_alu instid0(VALU_DEP_1) | instskip(NEXT) | instid1(VALU_DEP_2)
	v_add_f32_e32 v86, v86, v112
	v_fma_f32 v100, v99, v100, -v101
	s_delay_alu instid0(VALU_DEP_1) | instskip(NEXT) | instid1(VALU_DEP_1)
	v_fmac_f32_e32 v100, v99, v98
	v_add_f32_e32 v98, v101, v100
	s_delay_alu instid0(VALU_DEP_1) | instskip(SKIP_1) | instid1(VALU_DEP_2)
	v_sub_f32_e32 v103, v97, v98
	v_sub_f32_e32 v101, v98, v101
	;; [unrolled: 1-line block ×3, first 2 shown]
	s_delay_alu instid0(VALU_DEP_1) | instskip(NEXT) | instid1(VALU_DEP_3)
	v_sub_f32_e32 v97, v97, v98
	v_sub_f32_e32 v98, v101, v100
	s_delay_alu instid0(VALU_DEP_2) | instskip(SKIP_1) | instid1(VALU_DEP_2)
	v_add_f32_e32 v86, v86, v97
	v_add_f32_e32 v97, v102, v99
	;; [unrolled: 1-line block ×3, first 2 shown]
	s_delay_alu instid0(VALU_DEP_2) | instskip(NEXT) | instid1(VALU_DEP_2)
	v_sub_f32_e32 v98, v97, v102
	v_add_f32_e32 v86, v103, v86
	s_delay_alu instid0(VALU_DEP_2) | instskip(NEXT) | instid1(VALU_DEP_2)
	v_sub_f32_e32 v98, v99, v98
	v_mul_f32_e32 v86, v96, v86
	s_delay_alu instid0(VALU_DEP_1) | instskip(NEXT) | instid1(VALU_DEP_1)
	v_add_f32_e32 v86, v98, v86
	v_add_f32_e32 v96, v97, v86
	s_delay_alu instid0(VALU_DEP_1) | instskip(NEXT) | instid1(VALU_DEP_1)
	v_mul_f32_e32 v98, v96, v96
	v_fmaak_f32 v99, s2, v98, 0x3ecc95a3
	v_mul_f32_e32 v100, v96, v98
	v_cmp_gt_f32_e64 s2, 0x33800000, |v87|
	s_delay_alu instid0(VALU_DEP_3) | instskip(SKIP_2) | instid1(VALU_DEP_4)
	v_fmaak_f32 v98, v98, v99, 0x3f2aaada
	v_ldexp_f32 v99, v96, 1
	v_sub_f32_e32 v96, v96, v97
	s_or_b32 vcc_lo, vcc_lo, s2
	s_delay_alu instid0(VALU_DEP_3) | instskip(SKIP_1) | instid1(VALU_DEP_2)
	v_mul_f32_e32 v98, v100, v98
	v_mul_f32_e32 v100, 0x3f317218, v85
	v_dual_sub_f32 v86, v86, v96 :: v_dual_add_f32 v97, v99, v98
	s_delay_alu instid0(VALU_DEP_1) | instskip(NEXT) | instid1(VALU_DEP_2)
	v_ldexp_f32 v86, v86, 1
	v_sub_f32_e32 v96, v97, v99
	s_delay_alu instid0(VALU_DEP_4) | instskip(NEXT) | instid1(VALU_DEP_1)
	v_fma_f32 v99, 0x3f317218, v85, -v100
	v_dual_sub_f32 v96, v98, v96 :: v_dual_fmamk_f32 v85, v85, 0xb102e308, v99
	s_delay_alu instid0(VALU_DEP_1) | instskip(NEXT) | instid1(VALU_DEP_2)
	v_add_f32_e32 v86, v86, v96
	v_add_f32_e32 v96, v100, v85
	s_delay_alu instid0(VALU_DEP_2) | instskip(NEXT) | instid1(VALU_DEP_2)
	v_add_f32_e32 v98, v97, v86
	v_sub_f32_e32 v100, v96, v100
	s_delay_alu instid0(VALU_DEP_2) | instskip(SKIP_1) | instid1(VALU_DEP_3)
	v_add_f32_e32 v99, v96, v98
	v_sub_f32_e32 v97, v98, v97
	v_sub_f32_e32 v85, v85, v100
	s_delay_alu instid0(VALU_DEP_2) | instskip(NEXT) | instid1(VALU_DEP_1)
	v_dual_sub_f32 v101, v99, v96 :: v_dual_sub_f32 v86, v86, v97
	v_sub_f32_e32 v102, v99, v101
	s_delay_alu instid0(VALU_DEP_2) | instskip(NEXT) | instid1(VALU_DEP_2)
	v_dual_sub_f32 v97, v98, v101 :: v_dual_add_f32 v98, v85, v86
	v_sub_f32_e32 v96, v96, v102
	s_delay_alu instid0(VALU_DEP_1) | instskip(NEXT) | instid1(VALU_DEP_1)
	v_dual_add_f32 v96, v97, v96 :: v_dual_sub_f32 v97, v98, v85
	v_add_f32_e32 v96, v98, v96
	s_delay_alu instid0(VALU_DEP_2) | instskip(SKIP_1) | instid1(VALU_DEP_2)
	v_sub_f32_e32 v98, v98, v97
	v_sub_f32_e32 v86, v86, v97
	v_dual_add_f32 v100, v99, v96 :: v_dual_sub_f32 v85, v85, v98
	s_delay_alu instid0(VALU_DEP_1) | instskip(NEXT) | instid1(VALU_DEP_2)
	v_sub_f32_e32 v97, v100, v99
	v_add_f32_e32 v85, v86, v85
	s_delay_alu instid0(VALU_DEP_2) | instskip(NEXT) | instid1(VALU_DEP_1)
	v_sub_f32_e32 v86, v96, v97
	v_add_f32_e32 v85, v85, v86
	s_delay_alu instid0(VALU_DEP_1) | instskip(NEXT) | instid1(VALU_DEP_1)
	v_add_f32_e32 v85, v100, v85
	v_cndmask_b32_e32 v85, v85, v87, vcc_lo
	s_delay_alu instid0(VALU_DEP_1)
	v_add_f32_e32 v85, v84, v85
.LBB453_230:
	s_or_b32 exec_lo, exec_lo, s1
	s_delay_alu instid0(VALU_DEP_1) | instskip(SKIP_1) | instid1(VALU_DEP_2)
	v_bfe_u32 v84, v85, 16, 1
	v_cmp_o_f32_e32 vcc_lo, v85, v85
	v_add3_u32 v84, v85, v84, 0x7fff
	s_delay_alu instid0(VALU_DEP_1) | instskip(NEXT) | instid1(VALU_DEP_1)
	v_lshrrev_b32_e32 v84, 16, v84
	v_cndmask_b32_e32 v84, 0x7fc0, v84, vcc_lo
	s_delay_alu instid0(VALU_DEP_1) | instskip(NEXT) | instid1(VALU_DEP_1)
	v_lshlrev_b32_e32 v86, 16, v84
	v_max_f32_e32 v85, v86, v86
	s_delay_alu instid0(VALU_DEP_1) | instskip(SKIP_2) | instid1(VALU_DEP_3)
	v_min_f32_e32 v87, v85, v134
	v_max_f32_e32 v85, v85, v134
	v_cmp_u_f32_e32 vcc_lo, v86, v86
	v_cndmask_b32_e32 v87, v87, v86, vcc_lo
	s_delay_alu instid0(VALU_DEP_3) | instskip(NEXT) | instid1(VALU_DEP_2)
	v_cndmask_b32_e32 v85, v85, v86, vcc_lo
	v_cndmask_b32_e64 v87, v87, v131, s22
	s_delay_alu instid0(VALU_DEP_2) | instskip(NEXT) | instid1(VALU_DEP_2)
	v_cndmask_b32_e64 v85, v85, v131, s22
	v_cmp_class_f32_e64 s1, v87, 0x1f8
	s_delay_alu instid0(VALU_DEP_2) | instskip(NEXT) | instid1(VALU_DEP_2)
	v_cmp_neq_f32_e32 vcc_lo, v87, v85
	s_or_b32 s2, vcc_lo, s1
	s_delay_alu instid0(SALU_CYCLE_1)
	s_and_saveexec_b32 s1, s2
	s_cbranch_execz .LBB453_232
; %bb.231:
	v_sub_f32_e32 v86, v87, v85
	s_mov_b32 s2, 0x3e9b6dac
	s_delay_alu instid0(VALU_DEP_1) | instskip(SKIP_1) | instid1(VALU_DEP_2)
	v_mul_f32_e32 v87, 0x3fb8aa3b, v86
	v_cmp_ngt_f32_e32 vcc_lo, 0xc2ce8ed0, v86
	v_fma_f32 v96, 0x3fb8aa3b, v86, -v87
	v_rndne_f32_e32 v97, v87
	s_delay_alu instid0(VALU_DEP_1) | instskip(NEXT) | instid1(VALU_DEP_1)
	v_dual_fmamk_f32 v96, v86, 0x32a5705f, v96 :: v_dual_sub_f32 v87, v87, v97
	v_add_f32_e32 v87, v87, v96
	v_cvt_i32_f32_e32 v96, v97
	s_delay_alu instid0(VALU_DEP_2) | instskip(SKIP_2) | instid1(VALU_DEP_1)
	v_exp_f32_e32 v87, v87
	s_waitcnt_depctr 0xfff
	v_ldexp_f32 v87, v87, v96
	v_cndmask_b32_e32 v87, 0, v87, vcc_lo
	v_cmp_nlt_f32_e32 vcc_lo, 0x42b17218, v86
	s_delay_alu instid0(VALU_DEP_2) | instskip(NEXT) | instid1(VALU_DEP_1)
	v_cndmask_b32_e32 v96, 0x7f800000, v87, vcc_lo
	v_add_f32_e32 v97, 1.0, v96
	s_delay_alu instid0(VALU_DEP_1) | instskip(NEXT) | instid1(VALU_DEP_1)
	v_cvt_f64_f32_e32 v[86:87], v97
	v_frexp_exp_i32_f64_e32 v86, v[86:87]
	v_frexp_mant_f32_e32 v87, v97
	s_delay_alu instid0(VALU_DEP_1) | instskip(SKIP_1) | instid1(VALU_DEP_1)
	v_cmp_gt_f32_e32 vcc_lo, 0x3f2aaaab, v87
	v_add_f32_e32 v87, -1.0, v97
	v_sub_f32_e32 v99, v87, v97
	v_sub_f32_e32 v87, v96, v87
	v_subrev_co_ci_u32_e32 v86, vcc_lo, 0, v86, vcc_lo
	v_cmp_eq_f32_e32 vcc_lo, 0x7f800000, v96
	s_delay_alu instid0(VALU_DEP_2) | instskip(SKIP_1) | instid1(VALU_DEP_2)
	v_sub_nc_u32_e32 v98, 0, v86
	v_cvt_f32_i32_e32 v86, v86
	v_ldexp_f32 v97, v97, v98
	s_delay_alu instid0(VALU_DEP_1) | instskip(NEXT) | instid1(VALU_DEP_1)
	v_dual_add_f32 v100, 1.0, v97 :: v_dual_add_f32 v99, 1.0, v99
	v_add_f32_e32 v87, v87, v99
	s_delay_alu instid0(VALU_DEP_2) | instskip(NEXT) | instid1(VALU_DEP_2)
	v_add_f32_e32 v99, -1.0, v100
	v_ldexp_f32 v87, v87, v98
	s_delay_alu instid0(VALU_DEP_2) | instskip(NEXT) | instid1(VALU_DEP_1)
	v_dual_add_f32 v98, -1.0, v97 :: v_dual_sub_f32 v99, v97, v99
	v_add_f32_e32 v101, 1.0, v98
	s_delay_alu instid0(VALU_DEP_2) | instskip(NEXT) | instid1(VALU_DEP_2)
	v_add_f32_e32 v99, v87, v99
	v_sub_f32_e32 v97, v97, v101
	s_delay_alu instid0(VALU_DEP_2) | instskip(NEXT) | instid1(VALU_DEP_2)
	v_add_f32_e32 v101, v100, v99
	v_add_f32_e32 v87, v87, v97
	s_delay_alu instid0(VALU_DEP_2) | instskip(SKIP_1) | instid1(VALU_DEP_1)
	v_rcp_f32_e32 v97, v101
	v_sub_f32_e32 v100, v100, v101
	v_dual_add_f32 v102, v98, v87 :: v_dual_add_f32 v99, v99, v100
	s_delay_alu instid0(VALU_DEP_1) | instskip(SKIP_2) | instid1(VALU_DEP_1)
	v_sub_f32_e32 v98, v98, v102
	s_waitcnt_depctr 0xfff
	v_mul_f32_e32 v103, v102, v97
	v_dual_add_f32 v87, v87, v98 :: v_dual_mul_f32 v112, v101, v103
	s_delay_alu instid0(VALU_DEP_1) | instskip(NEXT) | instid1(VALU_DEP_1)
	v_fma_f32 v100, v103, v101, -v112
	v_fmac_f32_e32 v100, v103, v99
	s_delay_alu instid0(VALU_DEP_1) | instskip(NEXT) | instid1(VALU_DEP_1)
	v_add_f32_e32 v113, v112, v100
	v_sub_f32_e32 v114, v102, v113
	v_sub_f32_e32 v98, v113, v112
	s_delay_alu instid0(VALU_DEP_2) | instskip(NEXT) | instid1(VALU_DEP_2)
	v_sub_f32_e32 v102, v102, v114
	v_sub_f32_e32 v98, v98, v100
	s_delay_alu instid0(VALU_DEP_2) | instskip(NEXT) | instid1(VALU_DEP_1)
	v_sub_f32_e32 v102, v102, v113
	v_add_f32_e32 v87, v87, v102
	s_delay_alu instid0(VALU_DEP_1) | instskip(NEXT) | instid1(VALU_DEP_1)
	v_add_f32_e32 v87, v98, v87
	v_add_f32_e32 v98, v114, v87
	s_delay_alu instid0(VALU_DEP_1) | instskip(NEXT) | instid1(VALU_DEP_1)
	v_mul_f32_e32 v100, v97, v98
	v_dual_sub_f32 v113, v114, v98 :: v_dual_mul_f32 v102, v101, v100
	s_delay_alu instid0(VALU_DEP_1) | instskip(NEXT) | instid1(VALU_DEP_2)
	v_add_f32_e32 v87, v87, v113
	v_fma_f32 v101, v100, v101, -v102
	s_delay_alu instid0(VALU_DEP_1) | instskip(NEXT) | instid1(VALU_DEP_1)
	v_fmac_f32_e32 v101, v100, v99
	v_add_f32_e32 v99, v102, v101
	s_delay_alu instid0(VALU_DEP_1) | instskip(SKIP_1) | instid1(VALU_DEP_2)
	v_sub_f32_e32 v112, v98, v99
	v_sub_f32_e32 v102, v99, v102
	;; [unrolled: 1-line block ×3, first 2 shown]
	s_delay_alu instid0(VALU_DEP_1) | instskip(NEXT) | instid1(VALU_DEP_3)
	v_sub_f32_e32 v98, v98, v99
	v_sub_f32_e32 v99, v102, v101
	s_delay_alu instid0(VALU_DEP_2) | instskip(SKIP_1) | instid1(VALU_DEP_2)
	v_add_f32_e32 v87, v87, v98
	v_add_f32_e32 v98, v103, v100
	;; [unrolled: 1-line block ×3, first 2 shown]
	s_delay_alu instid0(VALU_DEP_2) | instskip(NEXT) | instid1(VALU_DEP_2)
	v_sub_f32_e32 v99, v98, v103
	v_add_f32_e32 v87, v112, v87
	s_delay_alu instid0(VALU_DEP_2) | instskip(NEXT) | instid1(VALU_DEP_2)
	v_sub_f32_e32 v99, v100, v99
	v_mul_f32_e32 v87, v97, v87
	s_delay_alu instid0(VALU_DEP_1) | instskip(NEXT) | instid1(VALU_DEP_1)
	v_add_f32_e32 v87, v99, v87
	v_add_f32_e32 v97, v98, v87
	s_delay_alu instid0(VALU_DEP_1) | instskip(NEXT) | instid1(VALU_DEP_1)
	v_mul_f32_e32 v99, v97, v97
	v_fmaak_f32 v100, s2, v99, 0x3ecc95a3
	v_mul_f32_e32 v101, v97, v99
	v_cmp_gt_f32_e64 s2, 0x33800000, |v96|
	s_delay_alu instid0(VALU_DEP_3) | instskip(SKIP_2) | instid1(VALU_DEP_4)
	v_fmaak_f32 v99, v99, v100, 0x3f2aaada
	v_ldexp_f32 v100, v97, 1
	v_sub_f32_e32 v97, v97, v98
	s_or_b32 vcc_lo, vcc_lo, s2
	s_delay_alu instid0(VALU_DEP_3) | instskip(SKIP_1) | instid1(VALU_DEP_2)
	v_mul_f32_e32 v99, v101, v99
	v_mul_f32_e32 v101, 0x3f317218, v86
	v_dual_sub_f32 v87, v87, v97 :: v_dual_add_f32 v98, v100, v99
	s_delay_alu instid0(VALU_DEP_1) | instskip(NEXT) | instid1(VALU_DEP_2)
	v_ldexp_f32 v87, v87, 1
	v_sub_f32_e32 v97, v98, v100
	s_delay_alu instid0(VALU_DEP_4) | instskip(NEXT) | instid1(VALU_DEP_1)
	v_fma_f32 v100, 0x3f317218, v86, -v101
	v_dual_sub_f32 v97, v99, v97 :: v_dual_fmamk_f32 v86, v86, 0xb102e308, v100
	s_delay_alu instid0(VALU_DEP_1) | instskip(NEXT) | instid1(VALU_DEP_2)
	v_add_f32_e32 v87, v87, v97
	v_add_f32_e32 v97, v101, v86
	s_delay_alu instid0(VALU_DEP_2) | instskip(NEXT) | instid1(VALU_DEP_2)
	v_add_f32_e32 v99, v98, v87
	v_sub_f32_e32 v101, v97, v101
	s_delay_alu instid0(VALU_DEP_2) | instskip(SKIP_1) | instid1(VALU_DEP_3)
	v_add_f32_e32 v100, v97, v99
	v_sub_f32_e32 v98, v99, v98
	v_sub_f32_e32 v86, v86, v101
	s_delay_alu instid0(VALU_DEP_2) | instskip(NEXT) | instid1(VALU_DEP_1)
	v_dual_sub_f32 v102, v100, v97 :: v_dual_sub_f32 v87, v87, v98
	v_sub_f32_e32 v103, v100, v102
	s_delay_alu instid0(VALU_DEP_2) | instskip(NEXT) | instid1(VALU_DEP_2)
	v_dual_sub_f32 v98, v99, v102 :: v_dual_add_f32 v99, v86, v87
	v_sub_f32_e32 v97, v97, v103
	s_delay_alu instid0(VALU_DEP_1) | instskip(NEXT) | instid1(VALU_DEP_1)
	v_dual_add_f32 v97, v98, v97 :: v_dual_sub_f32 v98, v99, v86
	v_add_f32_e32 v97, v99, v97
	s_delay_alu instid0(VALU_DEP_2) | instskip(SKIP_1) | instid1(VALU_DEP_2)
	v_sub_f32_e32 v99, v99, v98
	v_sub_f32_e32 v87, v87, v98
	v_dual_add_f32 v101, v100, v97 :: v_dual_sub_f32 v86, v86, v99
	s_delay_alu instid0(VALU_DEP_1) | instskip(NEXT) | instid1(VALU_DEP_2)
	v_sub_f32_e32 v98, v101, v100
	v_add_f32_e32 v86, v87, v86
	s_delay_alu instid0(VALU_DEP_2) | instskip(NEXT) | instid1(VALU_DEP_1)
	v_sub_f32_e32 v87, v97, v98
	v_add_f32_e32 v86, v86, v87
	s_delay_alu instid0(VALU_DEP_1) | instskip(NEXT) | instid1(VALU_DEP_1)
	v_add_f32_e32 v86, v101, v86
	v_cndmask_b32_e32 v86, v86, v96, vcc_lo
	s_delay_alu instid0(VALU_DEP_1)
	v_add_f32_e32 v86, v85, v86
.LBB453_232:
	s_or_b32 exec_lo, exec_lo, s1
	s_delay_alu instid0(VALU_DEP_1) | instskip(SKIP_1) | instid1(VALU_DEP_2)
	v_bfe_u32 v85, v86, 16, 1
	v_cmp_o_f32_e32 vcc_lo, v86, v86
	v_add3_u32 v85, v86, v85, 0x7fff
	s_delay_alu instid0(VALU_DEP_1) | instskip(NEXT) | instid1(VALU_DEP_1)
	v_lshrrev_b32_e32 v85, 16, v85
	v_cndmask_b32_e32 v85, 0x7fc0, v85, vcc_lo
	s_branch .LBB453_359
.LBB453_233:
                                        ; implicit-def: $vgpr18
                                        ; implicit-def: $vgpr19
                                        ; implicit-def: $vgpr20
                                        ; implicit-def: $vgpr21
                                        ; implicit-def: $vgpr54
                                        ; implicit-def: $vgpr55
                                        ; implicit-def: $vgpr135
                                        ; implicit-def: $vgpr144
                                        ; implicit-def: $vgpr64
                                        ; implicit-def: $vgpr65
                                        ; implicit-def: $vgpr66
                                        ; implicit-def: $vgpr67
                                        ; implicit-def: $vgpr68
                                        ; implicit-def: $vgpr69
                                        ; implicit-def: $vgpr70
                                        ; implicit-def: $vgpr71
                                        ; implicit-def: $vgpr80
                                        ; implicit-def: $vgpr81
                                        ; implicit-def: $vgpr82
                                        ; implicit-def: $vgpr83
                                        ; implicit-def: $vgpr84
                                        ; implicit-def: $vgpr85
	s_cbranch_execz .LBB453_359
; %bb.234:
	v_cmp_ne_u64_e64 s1, 0, v[6:7]
	v_cmp_eq_u32_e64 s23, 0, v0
	v_cmp_ne_u32_e32 vcc_lo, 0, v0
	v_mov_b32_e32 v18, v12
	s_delay_alu instid0(VALU_DEP_3) | instskip(NEXT) | instid1(SALU_CYCLE_1)
	s_and_b32 s1, s23, s1
	s_and_saveexec_b32 s2, s1
	s_cbranch_execz .LBB453_238
; %bb.235:
	flat_load_u16 v2, v[2:3]
	s_waitcnt vmcnt(0) lgkmcnt(0)
	v_lshlrev_b32_e32 v3, 16, v2
	s_delay_alu instid0(VALU_DEP_1) | instskip(NEXT) | instid1(VALU_DEP_1)
	v_dual_max_f32 v6, v3, v3 :: v_dual_lshlrev_b32 v7, 16, v12
	v_max_f32_e32 v2, v7, v7
	v_cmp_u_f32_e64 s1, v3, v3
	s_delay_alu instid0(VALU_DEP_2) | instskip(SKIP_1) | instid1(VALU_DEP_2)
	v_min_f32_e32 v12, v6, v2
	v_max_f32_e32 v2, v6, v2
	v_cndmask_b32_e64 v6, v12, v3, s1
	s_delay_alu instid0(VALU_DEP_2) | instskip(SKIP_1) | instid1(VALU_DEP_1)
	v_cndmask_b32_e64 v2, v2, v3, s1
	v_cmp_u_f32_e64 s1, v7, v7
	v_cndmask_b32_e64 v6, v6, v7, s1
	s_delay_alu instid0(VALU_DEP_3) | instskip(NEXT) | instid1(VALU_DEP_2)
	v_cndmask_b32_e64 v2, v2, v7, s1
	v_cmp_class_f32_e64 s3, v6, 0x1f8
	s_delay_alu instid0(VALU_DEP_2) | instskip(NEXT) | instid1(VALU_DEP_1)
	v_cmp_neq_f32_e64 s1, v6, v2
	s_or_b32 s1, s1, s3
	s_delay_alu instid0(SALU_CYCLE_1)
	s_and_saveexec_b32 s3, s1
	s_cbranch_execz .LBB453_237
; %bb.236:
	v_sub_f32_e32 v3, v6, v2
	s_delay_alu instid0(VALU_DEP_1) | instskip(SKIP_1) | instid1(VALU_DEP_2)
	v_mul_f32_e32 v6, 0x3fb8aa3b, v3
	v_cmp_ngt_f32_e64 s1, 0xc2ce8ed0, v3
	v_fma_f32 v7, 0x3fb8aa3b, v3, -v6
	v_rndne_f32_e32 v12, v6
	s_delay_alu instid0(VALU_DEP_1) | instskip(NEXT) | instid1(VALU_DEP_1)
	v_dual_fmamk_f32 v7, v3, 0x32a5705f, v7 :: v_dual_sub_f32 v6, v6, v12
	v_add_f32_e32 v6, v6, v7
	v_cvt_i32_f32_e32 v7, v12
	s_delay_alu instid0(VALU_DEP_2) | instskip(SKIP_2) | instid1(VALU_DEP_1)
	v_exp_f32_e32 v6, v6
	s_waitcnt_depctr 0xfff
	v_ldexp_f32 v6, v6, v7
	v_cndmask_b32_e64 v6, 0, v6, s1
	v_cmp_nlt_f32_e64 s1, 0x42b17218, v3
	s_delay_alu instid0(VALU_DEP_1) | instskip(NEXT) | instid1(VALU_DEP_1)
	v_cndmask_b32_e64 v3, 0x7f800000, v6, s1
	v_add_f32_e32 v12, 1.0, v3
	v_cmp_gt_f32_e64 s4, 0x33800000, |v3|
	s_delay_alu instid0(VALU_DEP_2) | instskip(NEXT) | instid1(VALU_DEP_1)
	v_cvt_f64_f32_e32 v[6:7], v12
	v_frexp_exp_i32_f64_e32 v6, v[6:7]
	v_frexp_mant_f32_e32 v7, v12
	s_delay_alu instid0(VALU_DEP_1) | instskip(SKIP_1) | instid1(VALU_DEP_1)
	v_cmp_gt_f32_e64 s1, 0x3f2aaaab, v7
	v_add_f32_e32 v7, -1.0, v12
	v_sub_f32_e32 v19, v7, v12
	s_delay_alu instid0(VALU_DEP_3) | instskip(SKIP_1) | instid1(VALU_DEP_1)
	v_subrev_co_ci_u32_e64 v6, s1, 0, v6, s1
	s_mov_b32 s1, 0x3e9b6dac
	v_sub_nc_u32_e32 v18, 0, v6
	v_cvt_f32_i32_e32 v6, v6
	s_delay_alu instid0(VALU_DEP_2) | instskip(SKIP_1) | instid1(VALU_DEP_2)
	v_ldexp_f32 v12, v12, v18
	v_sub_f32_e32 v7, v3, v7
	v_dual_add_f32 v19, 1.0, v19 :: v_dual_add_f32 v20, 1.0, v12
	s_delay_alu instid0(VALU_DEP_1) | instskip(NEXT) | instid1(VALU_DEP_2)
	v_add_f32_e32 v7, v7, v19
	v_add_f32_e32 v19, -1.0, v20
	s_delay_alu instid0(VALU_DEP_2) | instskip(NEXT) | instid1(VALU_DEP_2)
	v_ldexp_f32 v7, v7, v18
	v_dual_add_f32 v18, -1.0, v12 :: v_dual_sub_f32 v19, v12, v19
	s_delay_alu instid0(VALU_DEP_1) | instskip(NEXT) | instid1(VALU_DEP_1)
	v_add_f32_e32 v21, 1.0, v18
	v_dual_add_f32 v19, v7, v19 :: v_dual_sub_f32 v12, v12, v21
	s_delay_alu instid0(VALU_DEP_1) | instskip(NEXT) | instid1(VALU_DEP_1)
	v_add_f32_e32 v7, v7, v12
	v_add_f32_e32 v54, v18, v7
	s_delay_alu instid0(VALU_DEP_1) | instskip(NEXT) | instid1(VALU_DEP_1)
	v_dual_sub_f32 v18, v18, v54 :: v_dual_add_f32 v21, v20, v19
	v_rcp_f32_e32 v12, v21
	v_sub_f32_e32 v20, v20, v21
	s_delay_alu instid0(VALU_DEP_1) | instskip(SKIP_2) | instid1(VALU_DEP_1)
	v_add_f32_e32 v19, v19, v20
	s_waitcnt_depctr 0xfff
	v_mul_f32_e32 v55, v54, v12
	v_mul_f32_e32 v64, v21, v55
	s_delay_alu instid0(VALU_DEP_1) | instskip(NEXT) | instid1(VALU_DEP_1)
	v_fma_f32 v20, v55, v21, -v64
	v_fmac_f32_e32 v20, v55, v19
	s_delay_alu instid0(VALU_DEP_1) | instskip(NEXT) | instid1(VALU_DEP_1)
	v_add_f32_e32 v65, v64, v20
	v_dual_add_f32 v7, v7, v18 :: v_dual_sub_f32 v18, v65, v64
	v_sub_f32_e32 v66, v54, v65
	s_delay_alu instid0(VALU_DEP_1) | instskip(NEXT) | instid1(VALU_DEP_1)
	v_sub_f32_e32 v54, v54, v66
	v_sub_f32_e32 v54, v54, v65
	s_delay_alu instid0(VALU_DEP_1) | instskip(NEXT) | instid1(VALU_DEP_1)
	v_dual_sub_f32 v18, v18, v20 :: v_dual_add_f32 v7, v7, v54
	v_add_f32_e32 v7, v18, v7
	s_delay_alu instid0(VALU_DEP_1) | instskip(NEXT) | instid1(VALU_DEP_1)
	v_add_f32_e32 v18, v66, v7
	v_mul_f32_e32 v20, v12, v18
	s_delay_alu instid0(VALU_DEP_1) | instskip(NEXT) | instid1(VALU_DEP_1)
	v_dual_sub_f32 v65, v66, v18 :: v_dual_mul_f32 v54, v21, v20
	v_add_f32_e32 v7, v7, v65
	s_delay_alu instid0(VALU_DEP_2) | instskip(NEXT) | instid1(VALU_DEP_1)
	v_fma_f32 v21, v20, v21, -v54
	v_fmac_f32_e32 v21, v20, v19
	s_delay_alu instid0(VALU_DEP_1) | instskip(NEXT) | instid1(VALU_DEP_1)
	v_add_f32_e32 v19, v54, v21
	v_sub_f32_e32 v64, v18, v19
	s_delay_alu instid0(VALU_DEP_1) | instskip(NEXT) | instid1(VALU_DEP_1)
	v_sub_f32_e32 v18, v18, v64
	v_sub_f32_e32 v18, v18, v19
	s_delay_alu instid0(VALU_DEP_1) | instskip(SKIP_2) | instid1(VALU_DEP_1)
	v_add_f32_e32 v7, v7, v18
	v_add_f32_e32 v18, v55, v20
	v_sub_f32_e32 v54, v19, v54
	v_sub_f32_e32 v19, v54, v21
	s_delay_alu instid0(VALU_DEP_1) | instskip(NEXT) | instid1(VALU_DEP_4)
	v_add_f32_e32 v7, v19, v7
	v_sub_f32_e32 v19, v18, v55
	s_delay_alu instid0(VALU_DEP_2) | instskip(NEXT) | instid1(VALU_DEP_2)
	v_add_f32_e32 v7, v64, v7
	v_sub_f32_e32 v19, v20, v19
	s_delay_alu instid0(VALU_DEP_2) | instskip(NEXT) | instid1(VALU_DEP_1)
	v_mul_f32_e32 v7, v12, v7
	v_add_f32_e32 v7, v19, v7
	s_delay_alu instid0(VALU_DEP_1) | instskip(NEXT) | instid1(VALU_DEP_1)
	v_add_f32_e32 v12, v18, v7
	v_mul_f32_e32 v19, v12, v12
	s_delay_alu instid0(VALU_DEP_1) | instskip(SKIP_2) | instid1(VALU_DEP_3)
	v_fmaak_f32 v20, s1, v19, 0x3ecc95a3
	v_mul_f32_e32 v21, v12, v19
	v_cmp_eq_f32_e64 s1, 0x7f800000, v3
	v_fmaak_f32 v19, v19, v20, 0x3f2aaada
	v_ldexp_f32 v20, v12, 1
	v_sub_f32_e32 v12, v12, v18
	s_delay_alu instid0(VALU_DEP_4) | instskip(NEXT) | instid1(VALU_DEP_3)
	s_or_b32 s1, s1, s4
	v_mul_f32_e32 v19, v21, v19
	v_mul_f32_e32 v21, 0x3f317218, v6
	s_delay_alu instid0(VALU_DEP_2) | instskip(NEXT) | instid1(VALU_DEP_1)
	v_dual_sub_f32 v7, v7, v12 :: v_dual_add_f32 v18, v20, v19
	v_ldexp_f32 v7, v7, 1
	s_delay_alu instid0(VALU_DEP_2) | instskip(NEXT) | instid1(VALU_DEP_4)
	v_sub_f32_e32 v12, v18, v20
	v_fma_f32 v20, 0x3f317218, v6, -v21
	s_delay_alu instid0(VALU_DEP_2) | instskip(NEXT) | instid1(VALU_DEP_1)
	v_sub_f32_e32 v12, v19, v12
	v_dual_fmamk_f32 v6, v6, 0xb102e308, v20 :: v_dual_add_f32 v7, v7, v12
	s_delay_alu instid0(VALU_DEP_1) | instskip(NEXT) | instid1(VALU_DEP_1)
	v_dual_add_f32 v12, v21, v6 :: v_dual_add_f32 v19, v18, v7
	v_add_f32_e32 v20, v12, v19
	v_sub_f32_e32 v18, v19, v18
	s_delay_alu instid0(VALU_DEP_2) | instskip(SKIP_1) | instid1(VALU_DEP_2)
	v_sub_f32_e32 v54, v20, v12
	v_sub_f32_e32 v21, v12, v21
	;; [unrolled: 1-line block ×3, first 2 shown]
	s_delay_alu instid0(VALU_DEP_1) | instskip(SKIP_1) | instid1(VALU_DEP_4)
	v_dual_sub_f32 v12, v12, v55 :: v_dual_sub_f32 v7, v7, v18
	v_sub_f32_e32 v18, v19, v54
	v_sub_f32_e32 v6, v6, v21
	s_delay_alu instid0(VALU_DEP_2) | instskip(NEXT) | instid1(VALU_DEP_2)
	v_add_f32_e32 v12, v18, v12
	v_add_f32_e32 v19, v6, v7
	s_delay_alu instid0(VALU_DEP_1) | instskip(NEXT) | instid1(VALU_DEP_1)
	v_add_f32_e32 v12, v19, v12
	v_dual_sub_f32 v18, v19, v6 :: v_dual_add_f32 v21, v20, v12
	s_delay_alu instid0(VALU_DEP_1) | instskip(NEXT) | instid1(VALU_DEP_1)
	v_sub_f32_e32 v19, v19, v18
	v_dual_sub_f32 v6, v6, v19 :: v_dual_sub_f32 v7, v7, v18
	s_delay_alu instid0(VALU_DEP_3) | instskip(NEXT) | instid1(VALU_DEP_2)
	v_sub_f32_e32 v18, v21, v20
	v_add_f32_e32 v6, v7, v6
	s_delay_alu instid0(VALU_DEP_2) | instskip(NEXT) | instid1(VALU_DEP_1)
	v_sub_f32_e32 v7, v12, v18
	v_add_f32_e32 v6, v6, v7
	s_delay_alu instid0(VALU_DEP_1) | instskip(NEXT) | instid1(VALU_DEP_1)
	v_add_f32_e32 v6, v21, v6
	v_cndmask_b32_e64 v3, v6, v3, s1
	s_delay_alu instid0(VALU_DEP_1)
	v_add_f32_e32 v3, v2, v3
.LBB453_237:
	s_or_b32 exec_lo, exec_lo, s3
	s_delay_alu instid0(VALU_DEP_1) | instskip(SKIP_1) | instid1(VALU_DEP_2)
	v_bfe_u32 v2, v3, 16, 1
	v_cmp_o_f32_e64 s1, v3, v3
	v_add3_u32 v2, v3, v2, 0x7fff
	s_delay_alu instid0(VALU_DEP_1) | instskip(NEXT) | instid1(VALU_DEP_1)
	v_lshrrev_b32_e32 v2, 16, v2
	v_cndmask_b32_e64 v18, 0x7fc0, v2, s1
.LBB453_238:
	s_or_b32 exec_lo, exec_lo, s2
	s_delay_alu instid0(VALU_DEP_1) | instskip(SKIP_1) | instid1(VALU_DEP_2)
	v_dual_max_f32 v19, v13, v13 :: v_dual_lshlrev_b32 v20, 16, v18
	v_cmp_u_f32_e64 s1, v13, v13
	v_max_f32_e32 v86, v20, v20
	v_cmp_u_f32_e64 s22, v20, v20
	s_delay_alu instid0(VALU_DEP_2) | instskip(SKIP_1) | instid1(VALU_DEP_2)
	v_min_f32_e32 v54, v86, v19
	v_max_f32_e32 v55, v86, v19
	v_cndmask_b32_e64 v2, v54, v20, s22
	s_delay_alu instid0(VALU_DEP_2) | instskip(NEXT) | instid1(VALU_DEP_2)
	v_cndmask_b32_e64 v3, v55, v20, s22
	v_cndmask_b32_e64 v6, v2, v13, s1
	s_delay_alu instid0(VALU_DEP_2) | instskip(SKIP_1) | instid1(VALU_DEP_3)
	v_cndmask_b32_e64 v2, v3, v13, s1
	v_mov_b32_e32 v3, v20
	v_cmp_class_f32_e64 s3, v6, 0x1f8
	s_delay_alu instid0(VALU_DEP_3) | instskip(NEXT) | instid1(VALU_DEP_1)
	v_cmp_neq_f32_e64 s2, v6, v2
	s_or_b32 s2, s2, s3
	s_delay_alu instid0(SALU_CYCLE_1)
	s_and_saveexec_b32 s3, s2
	s_cbranch_execz .LBB453_240
; %bb.239:
	v_sub_f32_e32 v3, v6, v2
	s_delay_alu instid0(VALU_DEP_1) | instskip(SKIP_1) | instid1(VALU_DEP_2)
	v_mul_f32_e32 v6, 0x3fb8aa3b, v3
	v_cmp_ngt_f32_e64 s2, 0xc2ce8ed0, v3
	v_fma_f32 v7, 0x3fb8aa3b, v3, -v6
	v_rndne_f32_e32 v12, v6
	s_delay_alu instid0(VALU_DEP_1) | instskip(NEXT) | instid1(VALU_DEP_1)
	v_dual_fmamk_f32 v7, v3, 0x32a5705f, v7 :: v_dual_sub_f32 v6, v6, v12
	v_add_f32_e32 v6, v6, v7
	v_cvt_i32_f32_e32 v7, v12
	s_delay_alu instid0(VALU_DEP_2) | instskip(SKIP_2) | instid1(VALU_DEP_1)
	v_exp_f32_e32 v6, v6
	s_waitcnt_depctr 0xfff
	v_ldexp_f32 v6, v6, v7
	v_cndmask_b32_e64 v6, 0, v6, s2
	v_cmp_nlt_f32_e64 s2, 0x42b17218, v3
	s_delay_alu instid0(VALU_DEP_1) | instskip(NEXT) | instid1(VALU_DEP_1)
	v_cndmask_b32_e64 v3, 0x7f800000, v6, s2
	v_add_f32_e32 v12, 1.0, v3
	v_cmp_gt_f32_e64 s4, 0x33800000, |v3|
	s_delay_alu instid0(VALU_DEP_2) | instskip(NEXT) | instid1(VALU_DEP_1)
	v_cvt_f64_f32_e32 v[6:7], v12
	v_frexp_exp_i32_f64_e32 v6, v[6:7]
	v_frexp_mant_f32_e32 v7, v12
	s_delay_alu instid0(VALU_DEP_1) | instskip(SKIP_1) | instid1(VALU_DEP_1)
	v_cmp_gt_f32_e64 s2, 0x3f2aaaab, v7
	v_add_f32_e32 v7, -1.0, v12
	v_sub_f32_e32 v64, v7, v12
	s_delay_alu instid0(VALU_DEP_1) | instskip(NEXT) | instid1(VALU_DEP_1)
	v_dual_sub_f32 v7, v3, v7 :: v_dual_add_f32 v64, 1.0, v64
	v_add_f32_e32 v7, v7, v64
	v_subrev_co_ci_u32_e64 v6, s2, 0, v6, s2
	s_mov_b32 s2, 0x3e9b6dac
	s_delay_alu instid0(VALU_DEP_1) | instskip(SKIP_1) | instid1(VALU_DEP_2)
	v_sub_nc_u32_e32 v21, 0, v6
	v_cvt_f32_i32_e32 v6, v6
	v_ldexp_f32 v12, v12, v21
	v_ldexp_f32 v7, v7, v21
	s_delay_alu instid0(VALU_DEP_2) | instskip(NEXT) | instid1(VALU_DEP_1)
	v_add_f32_e32 v65, 1.0, v12
	v_dual_add_f32 v21, -1.0, v12 :: v_dual_add_f32 v64, -1.0, v65
	s_delay_alu instid0(VALU_DEP_1) | instskip(NEXT) | instid1(VALU_DEP_2)
	v_add_f32_e32 v66, 1.0, v21
	v_sub_f32_e32 v64, v12, v64
	s_delay_alu instid0(VALU_DEP_2) | instskip(NEXT) | instid1(VALU_DEP_2)
	v_sub_f32_e32 v12, v12, v66
	v_add_f32_e32 v64, v7, v64
	s_delay_alu instid0(VALU_DEP_2) | instskip(NEXT) | instid1(VALU_DEP_1)
	v_add_f32_e32 v7, v7, v12
	v_add_f32_e32 v67, v21, v7
	s_delay_alu instid0(VALU_DEP_3) | instskip(NEXT) | instid1(VALU_DEP_2)
	v_add_f32_e32 v66, v65, v64
	v_sub_f32_e32 v21, v21, v67
	s_delay_alu instid0(VALU_DEP_2) | instskip(SKIP_1) | instid1(VALU_DEP_1)
	v_rcp_f32_e32 v12, v66
	v_sub_f32_e32 v65, v65, v66
	v_add_f32_e32 v64, v64, v65
	s_delay_alu instid0(VALU_DEP_3) | instskip(SKIP_2) | instid1(VALU_DEP_1)
	v_add_f32_e32 v7, v7, v21
	s_waitcnt_depctr 0xfff
	v_mul_f32_e32 v68, v67, v12
	v_mul_f32_e32 v69, v66, v68
	s_delay_alu instid0(VALU_DEP_1) | instskip(NEXT) | instid1(VALU_DEP_1)
	v_fma_f32 v65, v68, v66, -v69
	v_fmac_f32_e32 v65, v68, v64
	s_delay_alu instid0(VALU_DEP_1) | instskip(NEXT) | instid1(VALU_DEP_1)
	v_add_f32_e32 v70, v69, v65
	v_sub_f32_e32 v71, v67, v70
	s_delay_alu instid0(VALU_DEP_1) | instskip(NEXT) | instid1(VALU_DEP_1)
	v_sub_f32_e32 v67, v67, v71
	v_sub_f32_e32 v67, v67, v70
	s_delay_alu instid0(VALU_DEP_1) | instskip(SKIP_1) | instid1(VALU_DEP_1)
	v_add_f32_e32 v7, v7, v67
	v_sub_f32_e32 v21, v70, v69
	v_sub_f32_e32 v21, v21, v65
	s_delay_alu instid0(VALU_DEP_1) | instskip(NEXT) | instid1(VALU_DEP_1)
	v_add_f32_e32 v7, v21, v7
	v_add_f32_e32 v21, v71, v7
	s_delay_alu instid0(VALU_DEP_1) | instskip(SKIP_1) | instid1(VALU_DEP_2)
	v_mul_f32_e32 v65, v12, v21
	v_sub_f32_e32 v70, v71, v21
	v_mul_f32_e32 v67, v66, v65
	s_delay_alu instid0(VALU_DEP_2) | instskip(NEXT) | instid1(VALU_DEP_2)
	v_add_f32_e32 v7, v7, v70
	v_fma_f32 v66, v65, v66, -v67
	s_delay_alu instid0(VALU_DEP_1) | instskip(NEXT) | instid1(VALU_DEP_1)
	v_fmac_f32_e32 v66, v65, v64
	v_add_f32_e32 v64, v67, v66
	s_delay_alu instid0(VALU_DEP_1) | instskip(SKIP_1) | instid1(VALU_DEP_2)
	v_sub_f32_e32 v69, v21, v64
	v_sub_f32_e32 v67, v64, v67
	;; [unrolled: 1-line block ×3, first 2 shown]
	s_delay_alu instid0(VALU_DEP_1) | instskip(NEXT) | instid1(VALU_DEP_1)
	v_dual_sub_f32 v21, v21, v64 :: v_dual_sub_f32 v64, v67, v66
	v_add_f32_e32 v7, v7, v21
	v_add_f32_e32 v21, v68, v65
	s_delay_alu instid0(VALU_DEP_1) | instskip(NEXT) | instid1(VALU_DEP_1)
	v_dual_add_f32 v7, v64, v7 :: v_dual_sub_f32 v64, v21, v68
	v_add_f32_e32 v7, v69, v7
	s_delay_alu instid0(VALU_DEP_1) | instskip(NEXT) | instid1(VALU_DEP_1)
	v_dual_sub_f32 v64, v65, v64 :: v_dual_mul_f32 v7, v12, v7
	v_add_f32_e32 v7, v64, v7
	s_delay_alu instid0(VALU_DEP_1) | instskip(NEXT) | instid1(VALU_DEP_1)
	v_add_f32_e32 v12, v21, v7
	v_mul_f32_e32 v64, v12, v12
	s_delay_alu instid0(VALU_DEP_1) | instskip(SKIP_2) | instid1(VALU_DEP_3)
	v_fmaak_f32 v65, s2, v64, 0x3ecc95a3
	v_mul_f32_e32 v66, v12, v64
	v_cmp_eq_f32_e64 s2, 0x7f800000, v3
	v_fmaak_f32 v64, v64, v65, 0x3f2aaada
	v_ldexp_f32 v65, v12, 1
	v_sub_f32_e32 v12, v12, v21
	s_delay_alu instid0(VALU_DEP_4) | instskip(NEXT) | instid1(VALU_DEP_3)
	s_or_b32 s2, s2, s4
	v_mul_f32_e32 v64, v66, v64
	s_delay_alu instid0(VALU_DEP_2) | instskip(NEXT) | instid1(VALU_DEP_2)
	v_dual_mul_f32 v66, 0x3f317218, v6 :: v_dual_sub_f32 v7, v7, v12
	v_add_f32_e32 v21, v65, v64
	s_delay_alu instid0(VALU_DEP_2) | instskip(NEXT) | instid1(VALU_DEP_2)
	v_ldexp_f32 v7, v7, 1
	v_sub_f32_e32 v12, v21, v65
	s_delay_alu instid0(VALU_DEP_4) | instskip(NEXT) | instid1(VALU_DEP_2)
	v_fma_f32 v65, 0x3f317218, v6, -v66
	v_sub_f32_e32 v12, v64, v12
	s_delay_alu instid0(VALU_DEP_1) | instskip(NEXT) | instid1(VALU_DEP_1)
	v_dual_fmamk_f32 v6, v6, 0xb102e308, v65 :: v_dual_add_f32 v7, v7, v12
	v_add_f32_e32 v12, v66, v6
	s_delay_alu instid0(VALU_DEP_2) | instskip(NEXT) | instid1(VALU_DEP_2)
	v_add_f32_e32 v64, v21, v7
	v_sub_f32_e32 v66, v12, v66
	s_delay_alu instid0(VALU_DEP_2) | instskip(NEXT) | instid1(VALU_DEP_2)
	v_add_f32_e32 v65, v12, v64
	v_dual_sub_f32 v21, v64, v21 :: v_dual_sub_f32 v6, v6, v66
	s_delay_alu instid0(VALU_DEP_2) | instskip(NEXT) | instid1(VALU_DEP_1)
	v_sub_f32_e32 v67, v65, v12
	v_dual_sub_f32 v68, v65, v67 :: v_dual_sub_f32 v7, v7, v21
	v_sub_f32_e32 v21, v64, v67
	s_delay_alu instid0(VALU_DEP_2) | instskip(NEXT) | instid1(VALU_DEP_3)
	v_sub_f32_e32 v12, v12, v68
	v_add_f32_e32 v64, v6, v7
	s_delay_alu instid0(VALU_DEP_1) | instskip(NEXT) | instid1(VALU_DEP_1)
	v_dual_add_f32 v12, v21, v12 :: v_dual_sub_f32 v21, v64, v6
	v_dual_add_f32 v12, v64, v12 :: v_dual_sub_f32 v7, v7, v21
	v_sub_f32_e32 v64, v64, v21
	s_delay_alu instid0(VALU_DEP_1) | instskip(NEXT) | instid1(VALU_DEP_1)
	v_sub_f32_e32 v6, v6, v64
	v_add_f32_e32 v6, v7, v6
	s_delay_alu instid0(VALU_DEP_4) | instskip(NEXT) | instid1(VALU_DEP_1)
	v_add_f32_e32 v66, v65, v12
	v_sub_f32_e32 v21, v66, v65
	s_delay_alu instid0(VALU_DEP_1) | instskip(NEXT) | instid1(VALU_DEP_1)
	v_sub_f32_e32 v7, v12, v21
	v_add_f32_e32 v6, v6, v7
	s_delay_alu instid0(VALU_DEP_1) | instskip(NEXT) | instid1(VALU_DEP_1)
	v_add_f32_e32 v6, v66, v6
	v_cndmask_b32_e64 v3, v6, v3, s2
	s_delay_alu instid0(VALU_DEP_1)
	v_add_f32_e32 v3, v2, v3
.LBB453_240:
	s_or_b32 exec_lo, exec_lo, s3
	s_delay_alu instid0(VALU_DEP_1) | instskip(SKIP_1) | instid1(VALU_DEP_2)
	v_bfe_u32 v2, v3, 16, 1
	v_cmp_o_f32_e64 s2, v3, v3
	v_add3_u32 v2, v3, v2, 0x7fff
	s_delay_alu instid0(VALU_DEP_1) | instskip(NEXT) | instid1(VALU_DEP_1)
	v_and_b32_e32 v6, 0xffff0000, v2
	v_cndmask_b32_e64 v6, 0x7fc00000, v6, s2
	s_delay_alu instid0(VALU_DEP_1) | instskip(NEXT) | instid1(VALU_DEP_1)
	v_dual_max_f32 v3, v6, v6 :: v_dual_lshlrev_b32 v2, 16, v53
	v_max_f32_e32 v7, v2, v2
	v_cmp_u_f32_e64 s2, v6, v6
	s_delay_alu instid0(VALU_DEP_2) | instskip(SKIP_1) | instid1(VALU_DEP_2)
	v_min_f32_e32 v12, v3, v7
	v_max_f32_e32 v3, v3, v7
	v_cndmask_b32_e64 v12, v12, v6, s2
	s_delay_alu instid0(VALU_DEP_2) | instskip(SKIP_1) | instid1(VALU_DEP_1)
	v_cndmask_b32_e64 v3, v3, v6, s2
	v_cmp_u_f32_e64 s2, v2, v2
	v_cndmask_b32_e64 v12, v12, v2, s2
	s_delay_alu instid0(VALU_DEP_3) | instskip(NEXT) | instid1(VALU_DEP_2)
	v_cndmask_b32_e64 v3, v3, v2, s2
	v_cmp_class_f32_e64 s4, v12, 0x1f8
	s_delay_alu instid0(VALU_DEP_2) | instskip(NEXT) | instid1(VALU_DEP_1)
	v_cmp_neq_f32_e64 s3, v12, v3
	s_or_b32 s3, s3, s4
	s_delay_alu instid0(SALU_CYCLE_1)
	s_and_saveexec_b32 s4, s3
	s_cbranch_execz .LBB453_242
; %bb.241:
	v_sub_f32_e32 v6, v12, v3
	s_delay_alu instid0(VALU_DEP_1) | instskip(SKIP_1) | instid1(VALU_DEP_2)
	v_mul_f32_e32 v12, 0x3fb8aa3b, v6
	v_cmp_ngt_f32_e64 s3, 0xc2ce8ed0, v6
	v_fma_f32 v21, 0x3fb8aa3b, v6, -v12
	v_rndne_f32_e32 v53, v12
	s_delay_alu instid0(VALU_DEP_1) | instskip(NEXT) | instid1(VALU_DEP_1)
	v_dual_fmamk_f32 v21, v6, 0x32a5705f, v21 :: v_dual_sub_f32 v12, v12, v53
	v_add_f32_e32 v12, v12, v21
	v_cvt_i32_f32_e32 v21, v53
	s_delay_alu instid0(VALU_DEP_2) | instskip(SKIP_2) | instid1(VALU_DEP_1)
	v_exp_f32_e32 v12, v12
	s_waitcnt_depctr 0xfff
	v_ldexp_f32 v12, v12, v21
	v_cndmask_b32_e64 v12, 0, v12, s3
	v_cmp_nlt_f32_e64 s3, 0x42b17218, v6
	s_delay_alu instid0(VALU_DEP_1) | instskip(NEXT) | instid1(VALU_DEP_1)
	v_cndmask_b32_e64 v6, 0x7f800000, v12, s3
	v_add_f32_e32 v12, 1.0, v6
	v_cmp_gt_f32_e64 s5, 0x33800000, |v6|
	s_delay_alu instid0(VALU_DEP_2) | instskip(SKIP_1) | instid1(VALU_DEP_1)
	v_cvt_f64_f32_e32 v[64:65], v12
	v_frexp_mant_f32_e32 v53, v12
	v_cmp_gt_f32_e64 s3, 0x3f2aaaab, v53
	v_add_f32_e32 v53, -1.0, v12
	s_delay_alu instid0(VALU_DEP_4) | instskip(NEXT) | instid1(VALU_DEP_2)
	v_frexp_exp_i32_f64_e32 v21, v[64:65]
	v_sub_f32_e32 v65, v53, v12
	v_sub_f32_e32 v53, v6, v53
	s_delay_alu instid0(VALU_DEP_2) | instskip(NEXT) | instid1(VALU_DEP_1)
	v_add_f32_e32 v65, 1.0, v65
	v_add_f32_e32 v53, v53, v65
	v_subrev_co_ci_u32_e64 v21, s3, 0, v21, s3
	s_mov_b32 s3, 0x3e9b6dac
	s_delay_alu instid0(VALU_DEP_1) | instskip(SKIP_1) | instid1(VALU_DEP_2)
	v_sub_nc_u32_e32 v64, 0, v21
	v_cvt_f32_i32_e32 v21, v21
	v_ldexp_f32 v12, v12, v64
	v_ldexp_f32 v53, v53, v64
	s_delay_alu instid0(VALU_DEP_2) | instskip(NEXT) | instid1(VALU_DEP_1)
	v_add_f32_e32 v66, 1.0, v12
	v_dual_add_f32 v65, -1.0, v66 :: v_dual_add_f32 v64, -1.0, v12
	s_delay_alu instid0(VALU_DEP_1) | instskip(NEXT) | instid1(VALU_DEP_2)
	v_sub_f32_e32 v65, v12, v65
	v_add_f32_e32 v67, 1.0, v64
	s_delay_alu instid0(VALU_DEP_1) | instskip(NEXT) | instid1(VALU_DEP_1)
	v_sub_f32_e32 v12, v12, v67
	v_add_f32_e32 v12, v53, v12
	s_delay_alu instid0(VALU_DEP_1) | instskip(NEXT) | instid1(VALU_DEP_1)
	v_dual_add_f32 v65, v53, v65 :: v_dual_add_f32 v68, v64, v12
	v_dual_add_f32 v67, v66, v65 :: v_dual_sub_f32 v64, v64, v68
	s_delay_alu instid0(VALU_DEP_1) | instskip(SKIP_1) | instid1(VALU_DEP_1)
	v_rcp_f32_e32 v53, v67
	v_sub_f32_e32 v66, v66, v67
	v_add_f32_e32 v65, v65, v66
	s_waitcnt_depctr 0xfff
	v_mul_f32_e32 v69, v68, v53
	v_add_f32_e32 v12, v12, v64
	s_delay_alu instid0(VALU_DEP_2) | instskip(NEXT) | instid1(VALU_DEP_1)
	v_mul_f32_e32 v70, v67, v69
	v_fma_f32 v66, v69, v67, -v70
	s_delay_alu instid0(VALU_DEP_1) | instskip(NEXT) | instid1(VALU_DEP_1)
	v_fmac_f32_e32 v66, v69, v65
	v_add_f32_e32 v71, v70, v66
	s_delay_alu instid0(VALU_DEP_1) | instskip(SKIP_1) | instid1(VALU_DEP_2)
	v_sub_f32_e32 v80, v68, v71
	v_sub_f32_e32 v64, v71, v70
	v_sub_f32_e32 v68, v68, v80
	s_delay_alu instid0(VALU_DEP_2) | instskip(NEXT) | instid1(VALU_DEP_2)
	v_sub_f32_e32 v64, v64, v66
	v_sub_f32_e32 v68, v68, v71
	s_delay_alu instid0(VALU_DEP_1) | instskip(NEXT) | instid1(VALU_DEP_1)
	v_add_f32_e32 v12, v12, v68
	v_add_f32_e32 v12, v64, v12
	s_delay_alu instid0(VALU_DEP_1) | instskip(NEXT) | instid1(VALU_DEP_1)
	v_add_f32_e32 v64, v80, v12
	v_mul_f32_e32 v66, v53, v64
	s_delay_alu instid0(VALU_DEP_1) | instskip(NEXT) | instid1(VALU_DEP_1)
	v_dual_sub_f32 v71, v80, v64 :: v_dual_mul_f32 v68, v67, v66
	v_add_f32_e32 v12, v12, v71
	s_delay_alu instid0(VALU_DEP_2) | instskip(NEXT) | instid1(VALU_DEP_1)
	v_fma_f32 v67, v66, v67, -v68
	v_fmac_f32_e32 v67, v66, v65
	s_delay_alu instid0(VALU_DEP_1) | instskip(NEXT) | instid1(VALU_DEP_1)
	v_add_f32_e32 v65, v68, v67
	v_sub_f32_e32 v70, v64, v65
	v_sub_f32_e32 v68, v65, v68
	s_delay_alu instid0(VALU_DEP_2) | instskip(NEXT) | instid1(VALU_DEP_1)
	v_sub_f32_e32 v64, v64, v70
	v_sub_f32_e32 v64, v64, v65
	s_delay_alu instid0(VALU_DEP_3) | instskip(NEXT) | instid1(VALU_DEP_2)
	v_sub_f32_e32 v65, v68, v67
	v_add_f32_e32 v12, v12, v64
	v_add_f32_e32 v64, v69, v66
	s_delay_alu instid0(VALU_DEP_1) | instskip(NEXT) | instid1(VALU_DEP_1)
	v_dual_add_f32 v12, v65, v12 :: v_dual_sub_f32 v65, v64, v69
	v_add_f32_e32 v12, v70, v12
	s_delay_alu instid0(VALU_DEP_1) | instskip(NEXT) | instid1(VALU_DEP_1)
	v_dual_sub_f32 v65, v66, v65 :: v_dual_mul_f32 v12, v53, v12
	v_add_f32_e32 v12, v65, v12
	s_delay_alu instid0(VALU_DEP_1) | instskip(NEXT) | instid1(VALU_DEP_1)
	v_add_f32_e32 v53, v64, v12
	v_mul_f32_e32 v65, v53, v53
	s_delay_alu instid0(VALU_DEP_1) | instskip(SKIP_2) | instid1(VALU_DEP_3)
	v_fmaak_f32 v66, s3, v65, 0x3ecc95a3
	v_mul_f32_e32 v67, v53, v65
	v_cmp_eq_f32_e64 s3, 0x7f800000, v6
	v_fmaak_f32 v65, v65, v66, 0x3f2aaada
	v_ldexp_f32 v66, v53, 1
	v_sub_f32_e32 v53, v53, v64
	s_delay_alu instid0(VALU_DEP_4) | instskip(NEXT) | instid1(VALU_DEP_3)
	s_or_b32 s3, s3, s5
	v_mul_f32_e32 v65, v67, v65
	v_mul_f32_e32 v67, 0x3f317218, v21
	s_delay_alu instid0(VALU_DEP_3) | instskip(NEXT) | instid1(VALU_DEP_3)
	v_sub_f32_e32 v12, v12, v53
	v_add_f32_e32 v64, v66, v65
	s_delay_alu instid0(VALU_DEP_2) | instskip(NEXT) | instid1(VALU_DEP_2)
	v_ldexp_f32 v12, v12, 1
	v_sub_f32_e32 v53, v64, v66
	v_fma_f32 v66, 0x3f317218, v21, -v67
	s_delay_alu instid0(VALU_DEP_2) | instskip(NEXT) | instid1(VALU_DEP_1)
	v_sub_f32_e32 v53, v65, v53
	v_dual_fmamk_f32 v21, v21, 0xb102e308, v66 :: v_dual_add_f32 v12, v12, v53
	s_delay_alu instid0(VALU_DEP_1) | instskip(NEXT) | instid1(VALU_DEP_2)
	v_add_f32_e32 v53, v67, v21
	v_add_f32_e32 v65, v64, v12
	s_delay_alu instid0(VALU_DEP_2) | instskip(NEXT) | instid1(VALU_DEP_2)
	v_sub_f32_e32 v67, v53, v67
	v_add_f32_e32 v66, v53, v65
	s_delay_alu instid0(VALU_DEP_1) | instskip(SKIP_1) | instid1(VALU_DEP_2)
	v_dual_sub_f32 v21, v21, v67 :: v_dual_sub_f32 v68, v66, v53
	v_sub_f32_e32 v64, v65, v64
	v_sub_f32_e32 v69, v66, v68
	s_delay_alu instid0(VALU_DEP_2) | instskip(SKIP_1) | instid1(VALU_DEP_3)
	v_sub_f32_e32 v12, v12, v64
	v_sub_f32_e32 v64, v65, v68
	;; [unrolled: 1-line block ×3, first 2 shown]
	s_delay_alu instid0(VALU_DEP_3) | instskip(NEXT) | instid1(VALU_DEP_2)
	v_add_f32_e32 v65, v21, v12
	v_add_f32_e32 v53, v64, v53
	s_delay_alu instid0(VALU_DEP_2) | instskip(NEXT) | instid1(VALU_DEP_1)
	v_sub_f32_e32 v64, v65, v21
	v_dual_add_f32 v53, v65, v53 :: v_dual_sub_f32 v12, v12, v64
	v_sub_f32_e32 v65, v65, v64
	s_delay_alu instid0(VALU_DEP_2) | instskip(NEXT) | instid1(VALU_DEP_1)
	v_add_f32_e32 v67, v66, v53
	v_dual_sub_f32 v21, v21, v65 :: v_dual_sub_f32 v64, v67, v66
	s_delay_alu instid0(VALU_DEP_1) | instskip(NEXT) | instid1(VALU_DEP_1)
	v_dual_add_f32 v12, v12, v21 :: v_dual_sub_f32 v21, v53, v64
	v_add_f32_e32 v12, v12, v21
	s_delay_alu instid0(VALU_DEP_1) | instskip(NEXT) | instid1(VALU_DEP_1)
	v_add_f32_e32 v12, v67, v12
	v_cndmask_b32_e64 v6, v12, v6, s3
	s_delay_alu instid0(VALU_DEP_1)
	v_add_f32_e32 v6, v3, v6
.LBB453_242:
	s_or_b32 exec_lo, exec_lo, s4
	s_delay_alu instid0(VALU_DEP_1) | instskip(SKIP_1) | instid1(VALU_DEP_2)
	v_bfe_u32 v3, v6, 16, 1
	v_cmp_o_f32_e64 s3, v6, v6
	v_add3_u32 v3, v6, v3, 0x7fff
	s_delay_alu instid0(VALU_DEP_1) | instskip(NEXT) | instid1(VALU_DEP_1)
	v_and_b32_e32 v12, 0xffff0000, v3
	v_cndmask_b32_e64 v12, 0x7fc00000, v12, s3
	s_delay_alu instid0(VALU_DEP_1) | instskip(SKIP_2) | instid1(VALU_DEP_2)
	v_max_f32_e32 v6, v12, v12
	v_lshlrev_b32_e32 v3, 16, v52
	v_cmp_u_f32_e64 s3, v12, v12
	v_max_f32_e32 v21, v3, v3
	s_delay_alu instid0(VALU_DEP_1) | instskip(SKIP_1) | instid1(VALU_DEP_2)
	v_min_f32_e32 v52, v6, v21
	v_max_f32_e32 v6, v6, v21
	v_cndmask_b32_e64 v52, v52, v12, s3
	s_delay_alu instid0(VALU_DEP_2) | instskip(SKIP_1) | instid1(VALU_DEP_1)
	v_cndmask_b32_e64 v6, v6, v12, s3
	v_cmp_u_f32_e64 s3, v3, v3
	v_cndmask_b32_e64 v52, v52, v3, s3
	s_delay_alu instid0(VALU_DEP_3) | instskip(NEXT) | instid1(VALU_DEP_2)
	v_cndmask_b32_e64 v6, v6, v3, s3
	v_cmp_class_f32_e64 s5, v52, 0x1f8
	s_delay_alu instid0(VALU_DEP_2) | instskip(NEXT) | instid1(VALU_DEP_1)
	v_cmp_neq_f32_e64 s4, v52, v6
	s_or_b32 s4, s4, s5
	s_delay_alu instid0(SALU_CYCLE_1)
	s_and_saveexec_b32 s5, s4
	s_cbranch_execz .LBB453_244
; %bb.243:
	v_sub_f32_e32 v12, v52, v6
	s_delay_alu instid0(VALU_DEP_1) | instskip(SKIP_1) | instid1(VALU_DEP_2)
	v_mul_f32_e32 v52, 0x3fb8aa3b, v12
	v_cmp_ngt_f32_e64 s4, 0xc2ce8ed0, v12
	v_fma_f32 v53, 0x3fb8aa3b, v12, -v52
	v_rndne_f32_e32 v64, v52
	s_delay_alu instid0(VALU_DEP_2) | instskip(NEXT) | instid1(VALU_DEP_2)
	v_fmamk_f32 v53, v12, 0x32a5705f, v53
	v_sub_f32_e32 v52, v52, v64
	s_delay_alu instid0(VALU_DEP_1) | instskip(SKIP_1) | instid1(VALU_DEP_2)
	v_add_f32_e32 v52, v52, v53
	v_cvt_i32_f32_e32 v53, v64
	v_exp_f32_e32 v52, v52
	s_waitcnt_depctr 0xfff
	v_ldexp_f32 v52, v52, v53
	s_delay_alu instid0(VALU_DEP_1) | instskip(SKIP_1) | instid1(VALU_DEP_1)
	v_cndmask_b32_e64 v52, 0, v52, s4
	v_cmp_nlt_f32_e64 s4, 0x42b17218, v12
	v_cndmask_b32_e64 v12, 0x7f800000, v52, s4
	s_delay_alu instid0(VALU_DEP_1) | instskip(SKIP_1) | instid1(VALU_DEP_2)
	v_add_f32_e32 v64, 1.0, v12
	v_cmp_gt_f32_e64 s6, 0x33800000, |v12|
	v_cvt_f64_f32_e32 v[52:53], v64
	s_delay_alu instid0(VALU_DEP_1) | instskip(SKIP_1) | instid1(VALU_DEP_1)
	v_frexp_exp_i32_f64_e32 v52, v[52:53]
	v_frexp_mant_f32_e32 v53, v64
	v_cmp_gt_f32_e64 s4, 0x3f2aaaab, v53
	v_add_f32_e32 v53, -1.0, v64
	s_delay_alu instid0(VALU_DEP_1) | instskip(NEXT) | instid1(VALU_DEP_3)
	v_dual_sub_f32 v66, v53, v64 :: v_dual_sub_f32 v53, v12, v53
	v_subrev_co_ci_u32_e64 v52, s4, 0, v52, s4
	s_mov_b32 s4, 0x3e9b6dac
	s_delay_alu instid0(VALU_DEP_1) | instskip(SKIP_1) | instid1(VALU_DEP_2)
	v_sub_nc_u32_e32 v65, 0, v52
	v_cvt_f32_i32_e32 v52, v52
	v_ldexp_f32 v64, v64, v65
	s_delay_alu instid0(VALU_DEP_1) | instskip(NEXT) | instid1(VALU_DEP_1)
	v_dual_add_f32 v66, 1.0, v66 :: v_dual_add_f32 v67, 1.0, v64
	v_add_f32_e32 v53, v53, v66
	s_delay_alu instid0(VALU_DEP_1) | instskip(NEXT) | instid1(VALU_DEP_3)
	v_ldexp_f32 v53, v53, v65
	v_dual_add_f32 v65, -1.0, v64 :: v_dual_add_f32 v66, -1.0, v67
	s_delay_alu instid0(VALU_DEP_1) | instskip(NEXT) | instid1(VALU_DEP_2)
	v_add_f32_e32 v68, 1.0, v65
	v_sub_f32_e32 v66, v64, v66
	s_delay_alu instid0(VALU_DEP_2) | instskip(NEXT) | instid1(VALU_DEP_2)
	v_sub_f32_e32 v64, v64, v68
	v_add_f32_e32 v66, v53, v66
	s_delay_alu instid0(VALU_DEP_2) | instskip(NEXT) | instid1(VALU_DEP_1)
	v_add_f32_e32 v53, v53, v64
	v_dual_add_f32 v69, v65, v53 :: v_dual_add_f32 v68, v67, v66
	s_delay_alu instid0(VALU_DEP_1) | instskip(NEXT) | instid1(VALU_DEP_2)
	v_sub_f32_e32 v65, v65, v69
	v_rcp_f32_e32 v64, v68
	v_sub_f32_e32 v67, v67, v68
	s_delay_alu instid0(VALU_DEP_1) | instskip(SKIP_2) | instid1(VALU_DEP_1)
	v_dual_add_f32 v53, v53, v65 :: v_dual_add_f32 v66, v66, v67
	s_waitcnt_depctr 0xfff
	v_mul_f32_e32 v70, v69, v64
	v_mul_f32_e32 v71, v68, v70
	s_delay_alu instid0(VALU_DEP_1) | instskip(NEXT) | instid1(VALU_DEP_1)
	v_fma_f32 v67, v70, v68, -v71
	v_fmac_f32_e32 v67, v70, v66
	s_delay_alu instid0(VALU_DEP_1) | instskip(NEXT) | instid1(VALU_DEP_1)
	v_add_f32_e32 v80, v71, v67
	v_sub_f32_e32 v81, v69, v80
	v_sub_f32_e32 v65, v80, v71
	s_delay_alu instid0(VALU_DEP_2) | instskip(NEXT) | instid1(VALU_DEP_2)
	v_sub_f32_e32 v69, v69, v81
	v_sub_f32_e32 v65, v65, v67
	s_delay_alu instid0(VALU_DEP_2) | instskip(NEXT) | instid1(VALU_DEP_1)
	v_sub_f32_e32 v69, v69, v80
	v_add_f32_e32 v53, v53, v69
	s_delay_alu instid0(VALU_DEP_1) | instskip(NEXT) | instid1(VALU_DEP_1)
	v_add_f32_e32 v53, v65, v53
	v_add_f32_e32 v65, v81, v53
	s_delay_alu instid0(VALU_DEP_1) | instskip(NEXT) | instid1(VALU_DEP_1)
	v_mul_f32_e32 v67, v64, v65
	v_dual_sub_f32 v80, v81, v65 :: v_dual_mul_f32 v69, v68, v67
	s_delay_alu instid0(VALU_DEP_1) | instskip(NEXT) | instid1(VALU_DEP_2)
	v_add_f32_e32 v53, v53, v80
	v_fma_f32 v68, v67, v68, -v69
	s_delay_alu instid0(VALU_DEP_1) | instskip(NEXT) | instid1(VALU_DEP_1)
	v_fmac_f32_e32 v68, v67, v66
	v_add_f32_e32 v66, v69, v68
	s_delay_alu instid0(VALU_DEP_1) | instskip(NEXT) | instid1(VALU_DEP_1)
	v_sub_f32_e32 v71, v65, v66
	v_sub_f32_e32 v65, v65, v71
	s_delay_alu instid0(VALU_DEP_1) | instskip(NEXT) | instid1(VALU_DEP_1)
	v_sub_f32_e32 v65, v65, v66
	v_add_f32_e32 v53, v53, v65
	v_add_f32_e32 v65, v70, v67
	v_sub_f32_e32 v69, v66, v69
	s_delay_alu instid0(VALU_DEP_1) | instskip(NEXT) | instid1(VALU_DEP_1)
	v_sub_f32_e32 v66, v69, v68
	v_dual_add_f32 v53, v66, v53 :: v_dual_sub_f32 v66, v65, v70
	s_delay_alu instid0(VALU_DEP_1) | instskip(NEXT) | instid1(VALU_DEP_1)
	v_add_f32_e32 v53, v71, v53
	v_dual_sub_f32 v66, v67, v66 :: v_dual_mul_f32 v53, v64, v53
	s_delay_alu instid0(VALU_DEP_1) | instskip(NEXT) | instid1(VALU_DEP_1)
	v_add_f32_e32 v53, v66, v53
	v_add_f32_e32 v64, v65, v53
	s_delay_alu instid0(VALU_DEP_1) | instskip(NEXT) | instid1(VALU_DEP_1)
	v_mul_f32_e32 v66, v64, v64
	v_fmaak_f32 v67, s4, v66, 0x3ecc95a3
	v_mul_f32_e32 v68, v64, v66
	v_cmp_eq_f32_e64 s4, 0x7f800000, v12
	s_delay_alu instid0(VALU_DEP_3) | instskip(SKIP_2) | instid1(VALU_DEP_4)
	v_fmaak_f32 v66, v66, v67, 0x3f2aaada
	v_ldexp_f32 v67, v64, 1
	v_sub_f32_e32 v64, v64, v65
	s_or_b32 s4, s4, s6
	s_delay_alu instid0(VALU_DEP_3) | instskip(SKIP_1) | instid1(VALU_DEP_3)
	v_mul_f32_e32 v66, v68, v66
	v_mul_f32_e32 v68, 0x3f317218, v52
	v_sub_f32_e32 v53, v53, v64
	s_delay_alu instid0(VALU_DEP_3) | instskip(NEXT) | instid1(VALU_DEP_2)
	v_add_f32_e32 v65, v67, v66
	v_ldexp_f32 v53, v53, 1
	s_delay_alu instid0(VALU_DEP_2) | instskip(SKIP_1) | instid1(VALU_DEP_2)
	v_sub_f32_e32 v64, v65, v67
	v_fma_f32 v67, 0x3f317218, v52, -v68
	v_sub_f32_e32 v64, v66, v64
	s_delay_alu instid0(VALU_DEP_1) | instskip(NEXT) | instid1(VALU_DEP_1)
	v_dual_fmamk_f32 v52, v52, 0xb102e308, v67 :: v_dual_add_f32 v53, v53, v64
	v_add_f32_e32 v64, v68, v52
	s_delay_alu instid0(VALU_DEP_1) | instskip(NEXT) | instid1(VALU_DEP_1)
	v_sub_f32_e32 v68, v64, v68
	v_sub_f32_e32 v52, v52, v68
	s_delay_alu instid0(VALU_DEP_4) | instskip(NEXT) | instid1(VALU_DEP_1)
	v_add_f32_e32 v66, v65, v53
	v_add_f32_e32 v67, v64, v66
	s_delay_alu instid0(VALU_DEP_1) | instskip(SKIP_1) | instid1(VALU_DEP_2)
	v_sub_f32_e32 v69, v67, v64
	v_sub_f32_e32 v65, v66, v65
	;; [unrolled: 1-line block ×3, first 2 shown]
	s_delay_alu instid0(VALU_DEP_1) | instskip(SKIP_1) | instid1(VALU_DEP_2)
	v_dual_sub_f32 v64, v64, v70 :: v_dual_sub_f32 v53, v53, v65
	v_sub_f32_e32 v65, v66, v69
	v_add_f32_e32 v66, v52, v53
	s_delay_alu instid0(VALU_DEP_2) | instskip(NEXT) | instid1(VALU_DEP_2)
	v_add_f32_e32 v64, v65, v64
	v_sub_f32_e32 v65, v66, v52
	s_delay_alu instid0(VALU_DEP_2) | instskip(NEXT) | instid1(VALU_DEP_1)
	v_add_f32_e32 v64, v66, v64
	v_add_f32_e32 v68, v67, v64
	s_delay_alu instid0(VALU_DEP_3) | instskip(NEXT) | instid1(VALU_DEP_1)
	v_sub_f32_e32 v66, v66, v65
	v_dual_sub_f32 v52, v52, v66 :: v_dual_sub_f32 v53, v53, v65
	s_delay_alu instid0(VALU_DEP_1) | instskip(NEXT) | instid1(VALU_DEP_1)
	v_dual_sub_f32 v65, v68, v67 :: v_dual_add_f32 v52, v53, v52
	v_sub_f32_e32 v53, v64, v65
	s_delay_alu instid0(VALU_DEP_1) | instskip(NEXT) | instid1(VALU_DEP_1)
	v_add_f32_e32 v52, v52, v53
	v_add_f32_e32 v52, v68, v52
	s_delay_alu instid0(VALU_DEP_1) | instskip(NEXT) | instid1(VALU_DEP_1)
	v_cndmask_b32_e64 v12, v52, v12, s4
	v_add_f32_e32 v12, v6, v12
.LBB453_244:
	s_or_b32 exec_lo, exec_lo, s5
	s_delay_alu instid0(VALU_DEP_1) | instskip(SKIP_1) | instid1(VALU_DEP_2)
	v_bfe_u32 v6, v12, 16, 1
	v_cmp_o_f32_e64 s4, v12, v12
	v_add3_u32 v6, v12, v6, 0x7fff
	s_delay_alu instid0(VALU_DEP_1) | instskip(SKIP_1) | instid1(VALU_DEP_2)
	v_and_b32_e32 v52, 0xffff0000, v6
	v_lshlrev_b32_e32 v6, 16, v51
	v_cndmask_b32_e64 v52, 0x7fc00000, v52, s4
	s_delay_alu instid0(VALU_DEP_1) | instskip(SKIP_1) | instid1(VALU_DEP_2)
	v_dual_max_f32 v51, v6, v6 :: v_dual_max_f32 v12, v52, v52
	v_cmp_u_f32_e64 s4, v52, v52
	v_min_f32_e32 v53, v12, v51
	v_max_f32_e32 v12, v12, v51
	s_delay_alu instid0(VALU_DEP_2) | instskip(NEXT) | instid1(VALU_DEP_2)
	v_cndmask_b32_e64 v53, v53, v52, s4
	v_cndmask_b32_e64 v12, v12, v52, s4
	v_cmp_u_f32_e64 s4, v6, v6
	s_delay_alu instid0(VALU_DEP_1) | instskip(NEXT) | instid1(VALU_DEP_3)
	v_cndmask_b32_e64 v53, v53, v6, s4
	v_cndmask_b32_e64 v12, v12, v6, s4
	s_delay_alu instid0(VALU_DEP_2) | instskip(NEXT) | instid1(VALU_DEP_2)
	v_cmp_class_f32_e64 s6, v53, 0x1f8
	v_cmp_neq_f32_e64 s5, v53, v12
	s_delay_alu instid0(VALU_DEP_1) | instskip(NEXT) | instid1(SALU_CYCLE_1)
	s_or_b32 s5, s5, s6
	s_and_saveexec_b32 s6, s5
	s_cbranch_execz .LBB453_246
; %bb.245:
	v_sub_f32_e32 v52, v53, v12
	s_delay_alu instid0(VALU_DEP_1) | instskip(SKIP_1) | instid1(VALU_DEP_2)
	v_mul_f32_e32 v53, 0x3fb8aa3b, v52
	v_cmp_ngt_f32_e64 s5, 0xc2ce8ed0, v52
	v_fma_f32 v64, 0x3fb8aa3b, v52, -v53
	v_rndne_f32_e32 v65, v53
	s_delay_alu instid0(VALU_DEP_1) | instskip(NEXT) | instid1(VALU_DEP_1)
	v_dual_fmamk_f32 v64, v52, 0x32a5705f, v64 :: v_dual_sub_f32 v53, v53, v65
	v_add_f32_e32 v53, v53, v64
	v_cvt_i32_f32_e32 v64, v65
	s_delay_alu instid0(VALU_DEP_2) | instskip(SKIP_2) | instid1(VALU_DEP_1)
	v_exp_f32_e32 v53, v53
	s_waitcnt_depctr 0xfff
	v_ldexp_f32 v53, v53, v64
	v_cndmask_b32_e64 v53, 0, v53, s5
	v_cmp_nlt_f32_e64 s5, 0x42b17218, v52
	s_delay_alu instid0(VALU_DEP_1) | instskip(NEXT) | instid1(VALU_DEP_1)
	v_cndmask_b32_e64 v64, 0x7f800000, v53, s5
	v_add_f32_e32 v65, 1.0, v64
	v_cmp_gt_f32_e64 s7, 0x33800000, |v64|
	s_delay_alu instid0(VALU_DEP_2) | instskip(NEXT) | instid1(VALU_DEP_1)
	v_cvt_f64_f32_e32 v[52:53], v65
	v_frexp_exp_i32_f64_e32 v52, v[52:53]
	v_frexp_mant_f32_e32 v53, v65
	s_delay_alu instid0(VALU_DEP_1) | instskip(SKIP_1) | instid1(VALU_DEP_1)
	v_cmp_gt_f32_e64 s5, 0x3f2aaaab, v53
	v_add_f32_e32 v53, -1.0, v65
	v_sub_f32_e32 v67, v53, v65
	v_sub_f32_e32 v53, v64, v53
	s_delay_alu instid0(VALU_DEP_4) | instskip(SKIP_1) | instid1(VALU_DEP_1)
	v_subrev_co_ci_u32_e64 v52, s5, 0, v52, s5
	s_mov_b32 s5, 0x3e9b6dac
	v_sub_nc_u32_e32 v66, 0, v52
	v_cvt_f32_i32_e32 v52, v52
	s_delay_alu instid0(VALU_DEP_2) | instskip(NEXT) | instid1(VALU_DEP_1)
	v_ldexp_f32 v65, v65, v66
	v_dual_add_f32 v68, 1.0, v65 :: v_dual_add_f32 v67, 1.0, v67
	s_delay_alu instid0(VALU_DEP_1) | instskip(NEXT) | instid1(VALU_DEP_2)
	v_add_f32_e32 v53, v53, v67
	v_add_f32_e32 v67, -1.0, v68
	s_delay_alu instid0(VALU_DEP_2) | instskip(NEXT) | instid1(VALU_DEP_2)
	v_ldexp_f32 v53, v53, v66
	v_dual_add_f32 v66, -1.0, v65 :: v_dual_sub_f32 v67, v65, v67
	s_delay_alu instid0(VALU_DEP_1) | instskip(NEXT) | instid1(VALU_DEP_2)
	v_add_f32_e32 v69, 1.0, v66
	v_add_f32_e32 v67, v53, v67
	s_delay_alu instid0(VALU_DEP_2) | instskip(NEXT) | instid1(VALU_DEP_2)
	v_sub_f32_e32 v65, v65, v69
	v_add_f32_e32 v69, v68, v67
	s_delay_alu instid0(VALU_DEP_2) | instskip(NEXT) | instid1(VALU_DEP_2)
	v_add_f32_e32 v53, v53, v65
	v_rcp_f32_e32 v65, v69
	v_sub_f32_e32 v68, v68, v69
	s_delay_alu instid0(VALU_DEP_1) | instskip(NEXT) | instid1(VALU_DEP_1)
	v_dual_add_f32 v70, v66, v53 :: v_dual_add_f32 v67, v67, v68
	v_sub_f32_e32 v66, v66, v70
	s_waitcnt_depctr 0xfff
	v_mul_f32_e32 v71, v70, v65
	v_add_f32_e32 v53, v53, v66
	s_delay_alu instid0(VALU_DEP_2) | instskip(NEXT) | instid1(VALU_DEP_1)
	v_mul_f32_e32 v80, v69, v71
	v_fma_f32 v68, v71, v69, -v80
	s_delay_alu instid0(VALU_DEP_1) | instskip(NEXT) | instid1(VALU_DEP_1)
	v_fmac_f32_e32 v68, v71, v67
	v_add_f32_e32 v81, v80, v68
	s_delay_alu instid0(VALU_DEP_1) | instskip(SKIP_1) | instid1(VALU_DEP_2)
	v_sub_f32_e32 v82, v70, v81
	v_sub_f32_e32 v66, v81, v80
	;; [unrolled: 1-line block ×3, first 2 shown]
	s_delay_alu instid0(VALU_DEP_2) | instskip(NEXT) | instid1(VALU_DEP_2)
	v_sub_f32_e32 v66, v66, v68
	v_sub_f32_e32 v70, v70, v81
	s_delay_alu instid0(VALU_DEP_1) | instskip(NEXT) | instid1(VALU_DEP_1)
	v_add_f32_e32 v53, v53, v70
	v_add_f32_e32 v53, v66, v53
	s_delay_alu instid0(VALU_DEP_1) | instskip(NEXT) | instid1(VALU_DEP_1)
	v_add_f32_e32 v66, v82, v53
	v_mul_f32_e32 v68, v65, v66
	s_delay_alu instid0(VALU_DEP_1) | instskip(NEXT) | instid1(VALU_DEP_1)
	v_dual_sub_f32 v81, v82, v66 :: v_dual_mul_f32 v70, v69, v68
	v_add_f32_e32 v53, v53, v81
	s_delay_alu instid0(VALU_DEP_2) | instskip(NEXT) | instid1(VALU_DEP_1)
	v_fma_f32 v69, v68, v69, -v70
	v_fmac_f32_e32 v69, v68, v67
	s_delay_alu instid0(VALU_DEP_1) | instskip(NEXT) | instid1(VALU_DEP_1)
	v_add_f32_e32 v67, v70, v69
	v_sub_f32_e32 v80, v66, v67
	v_sub_f32_e32 v70, v67, v70
	s_delay_alu instid0(VALU_DEP_2) | instskip(NEXT) | instid1(VALU_DEP_1)
	v_sub_f32_e32 v66, v66, v80
	v_sub_f32_e32 v66, v66, v67
	s_delay_alu instid0(VALU_DEP_3) | instskip(NEXT) | instid1(VALU_DEP_2)
	v_sub_f32_e32 v67, v70, v69
	v_dual_add_f32 v53, v53, v66 :: v_dual_add_f32 v66, v71, v68
	s_delay_alu instid0(VALU_DEP_1) | instskip(NEXT) | instid1(VALU_DEP_2)
	v_add_f32_e32 v53, v67, v53
	v_sub_f32_e32 v67, v66, v71
	s_delay_alu instid0(VALU_DEP_2) | instskip(NEXT) | instid1(VALU_DEP_2)
	v_add_f32_e32 v53, v80, v53
	v_sub_f32_e32 v67, v68, v67
	s_delay_alu instid0(VALU_DEP_2) | instskip(NEXT) | instid1(VALU_DEP_1)
	v_mul_f32_e32 v53, v65, v53
	v_add_f32_e32 v53, v67, v53
	s_delay_alu instid0(VALU_DEP_1) | instskip(NEXT) | instid1(VALU_DEP_1)
	v_add_f32_e32 v65, v66, v53
	v_mul_f32_e32 v67, v65, v65
	s_delay_alu instid0(VALU_DEP_1) | instskip(SKIP_2) | instid1(VALU_DEP_3)
	v_fmaak_f32 v68, s5, v67, 0x3ecc95a3
	v_mul_f32_e32 v69, v65, v67
	v_cmp_eq_f32_e64 s5, 0x7f800000, v64
	v_fmaak_f32 v67, v67, v68, 0x3f2aaada
	v_ldexp_f32 v68, v65, 1
	v_sub_f32_e32 v65, v65, v66
	s_delay_alu instid0(VALU_DEP_4) | instskip(NEXT) | instid1(VALU_DEP_3)
	s_or_b32 s5, s5, s7
	v_mul_f32_e32 v67, v69, v67
	v_mul_f32_e32 v69, 0x3f317218, v52
	s_delay_alu instid0(VALU_DEP_2) | instskip(NEXT) | instid1(VALU_DEP_1)
	v_dual_sub_f32 v53, v53, v65 :: v_dual_add_f32 v66, v68, v67
	v_ldexp_f32 v53, v53, 1
	s_delay_alu instid0(VALU_DEP_2) | instskip(NEXT) | instid1(VALU_DEP_4)
	v_sub_f32_e32 v65, v66, v68
	v_fma_f32 v68, 0x3f317218, v52, -v69
	s_delay_alu instid0(VALU_DEP_1) | instskip(NEXT) | instid1(VALU_DEP_1)
	v_dual_sub_f32 v65, v67, v65 :: v_dual_fmamk_f32 v52, v52, 0xb102e308, v68
	v_add_f32_e32 v53, v53, v65
	s_delay_alu instid0(VALU_DEP_2) | instskip(NEXT) | instid1(VALU_DEP_2)
	v_add_f32_e32 v65, v69, v52
	v_add_f32_e32 v67, v66, v53
	s_delay_alu instid0(VALU_DEP_2) | instskip(NEXT) | instid1(VALU_DEP_2)
	v_sub_f32_e32 v69, v65, v69
	v_add_f32_e32 v68, v65, v67
	v_sub_f32_e32 v66, v67, v66
	s_delay_alu instid0(VALU_DEP_3) | instskip(NEXT) | instid1(VALU_DEP_2)
	v_sub_f32_e32 v52, v52, v69
	v_dual_sub_f32 v70, v68, v65 :: v_dual_sub_f32 v53, v53, v66
	s_delay_alu instid0(VALU_DEP_1) | instskip(NEXT) | instid1(VALU_DEP_2)
	v_sub_f32_e32 v71, v68, v70
	v_dual_sub_f32 v66, v67, v70 :: v_dual_add_f32 v67, v52, v53
	s_delay_alu instid0(VALU_DEP_2) | instskip(NEXT) | instid1(VALU_DEP_1)
	v_sub_f32_e32 v65, v65, v71
	v_dual_add_f32 v65, v66, v65 :: v_dual_sub_f32 v66, v67, v52
	s_delay_alu instid0(VALU_DEP_1) | instskip(NEXT) | instid1(VALU_DEP_2)
	v_add_f32_e32 v65, v67, v65
	v_sub_f32_e32 v67, v67, v66
	v_sub_f32_e32 v53, v53, v66
	s_delay_alu instid0(VALU_DEP_3) | instskip(NEXT) | instid1(VALU_DEP_3)
	v_add_f32_e32 v69, v68, v65
	v_sub_f32_e32 v52, v52, v67
	s_delay_alu instid0(VALU_DEP_2) | instskip(NEXT) | instid1(VALU_DEP_2)
	v_sub_f32_e32 v66, v69, v68
	v_add_f32_e32 v52, v53, v52
	s_delay_alu instid0(VALU_DEP_2) | instskip(NEXT) | instid1(VALU_DEP_1)
	v_sub_f32_e32 v53, v65, v66
	v_add_f32_e32 v52, v52, v53
	s_delay_alu instid0(VALU_DEP_1) | instskip(NEXT) | instid1(VALU_DEP_1)
	v_add_f32_e32 v52, v69, v52
	v_cndmask_b32_e64 v52, v52, v64, s5
	s_delay_alu instid0(VALU_DEP_1)
	v_add_f32_e32 v52, v12, v52
.LBB453_246:
	s_or_b32 exec_lo, exec_lo, s6
	s_delay_alu instid0(VALU_DEP_1) | instskip(SKIP_1) | instid1(VALU_DEP_2)
	v_bfe_u32 v12, v52, 16, 1
	v_cmp_o_f32_e64 s5, v52, v52
	v_add3_u32 v12, v52, v12, 0x7fff
	s_delay_alu instid0(VALU_DEP_1) | instskip(SKIP_1) | instid1(VALU_DEP_2)
	v_and_b32_e32 v53, 0xffff0000, v12
	v_lshlrev_b32_e32 v12, 16, v50
	v_cndmask_b32_e64 v53, 0x7fc00000, v53, s5
	s_delay_alu instid0(VALU_DEP_2) | instskip(NEXT) | instid1(VALU_DEP_2)
	v_max_f32_e32 v50, v12, v12
	v_max_f32_e32 v52, v53, v53
	v_cmp_u_f32_e64 s5, v53, v53
	s_delay_alu instid0(VALU_DEP_2) | instskip(SKIP_1) | instid1(VALU_DEP_2)
	v_min_f32_e32 v64, v52, v50
	v_max_f32_e32 v52, v52, v50
	v_cndmask_b32_e64 v64, v64, v53, s5
	s_delay_alu instid0(VALU_DEP_2) | instskip(SKIP_1) | instid1(VALU_DEP_1)
	v_cndmask_b32_e64 v52, v52, v53, s5
	v_cmp_u_f32_e64 s5, v12, v12
	v_cndmask_b32_e64 v64, v64, v12, s5
	s_delay_alu instid0(VALU_DEP_3) | instskip(NEXT) | instid1(VALU_DEP_2)
	v_cndmask_b32_e64 v52, v52, v12, s5
	v_cmp_class_f32_e64 s7, v64, 0x1f8
	s_delay_alu instid0(VALU_DEP_2) | instskip(NEXT) | instid1(VALU_DEP_1)
	v_cmp_neq_f32_e64 s6, v64, v52
	s_or_b32 s6, s6, s7
	s_delay_alu instid0(SALU_CYCLE_1)
	s_and_saveexec_b32 s7, s6
	s_cbranch_execz .LBB453_248
; %bb.247:
	v_sub_f32_e32 v53, v64, v52
	s_delay_alu instid0(VALU_DEP_1) | instskip(SKIP_1) | instid1(VALU_DEP_2)
	v_mul_f32_e32 v64, 0x3fb8aa3b, v53
	v_cmp_ngt_f32_e64 s6, 0xc2ce8ed0, v53
	v_fma_f32 v65, 0x3fb8aa3b, v53, -v64
	v_rndne_f32_e32 v66, v64
	s_delay_alu instid0(VALU_DEP_1) | instskip(NEXT) | instid1(VALU_DEP_1)
	v_dual_fmamk_f32 v65, v53, 0x32a5705f, v65 :: v_dual_sub_f32 v64, v64, v66
	v_add_f32_e32 v64, v64, v65
	v_cvt_i32_f32_e32 v65, v66
	s_delay_alu instid0(VALU_DEP_2) | instskip(SKIP_2) | instid1(VALU_DEP_1)
	v_exp_f32_e32 v64, v64
	s_waitcnt_depctr 0xfff
	v_ldexp_f32 v64, v64, v65
	v_cndmask_b32_e64 v64, 0, v64, s6
	v_cmp_nlt_f32_e64 s6, 0x42b17218, v53
	s_delay_alu instid0(VALU_DEP_1) | instskip(NEXT) | instid1(VALU_DEP_1)
	v_cndmask_b32_e64 v53, 0x7f800000, v64, s6
	v_add_f32_e32 v66, 1.0, v53
	v_cmp_gt_f32_e64 s8, 0x33800000, |v53|
	s_delay_alu instid0(VALU_DEP_2) | instskip(NEXT) | instid1(VALU_DEP_1)
	v_cvt_f64_f32_e32 v[64:65], v66
	v_frexp_exp_i32_f64_e32 v64, v[64:65]
	v_frexp_mant_f32_e32 v65, v66
	s_delay_alu instid0(VALU_DEP_1) | instskip(SKIP_1) | instid1(VALU_DEP_1)
	v_cmp_gt_f32_e64 s6, 0x3f2aaaab, v65
	v_add_f32_e32 v65, -1.0, v66
	v_sub_f32_e32 v68, v65, v66
	s_delay_alu instid0(VALU_DEP_1) | instskip(NEXT) | instid1(VALU_DEP_1)
	v_dual_sub_f32 v65, v53, v65 :: v_dual_add_f32 v68, 1.0, v68
	v_add_f32_e32 v65, v65, v68
	v_subrev_co_ci_u32_e64 v64, s6, 0, v64, s6
	s_mov_b32 s6, 0x3e9b6dac
	s_delay_alu instid0(VALU_DEP_1) | instskip(SKIP_1) | instid1(VALU_DEP_2)
	v_sub_nc_u32_e32 v67, 0, v64
	v_cvt_f32_i32_e32 v64, v64
	v_ldexp_f32 v66, v66, v67
	v_ldexp_f32 v65, v65, v67
	s_delay_alu instid0(VALU_DEP_2) | instskip(NEXT) | instid1(VALU_DEP_1)
	v_add_f32_e32 v69, 1.0, v66
	v_dual_add_f32 v67, -1.0, v66 :: v_dual_add_f32 v68, -1.0, v69
	s_delay_alu instid0(VALU_DEP_1) | instskip(NEXT) | instid1(VALU_DEP_2)
	v_add_f32_e32 v70, 1.0, v67
	v_sub_f32_e32 v68, v66, v68
	s_delay_alu instid0(VALU_DEP_2) | instskip(NEXT) | instid1(VALU_DEP_2)
	v_sub_f32_e32 v66, v66, v70
	v_add_f32_e32 v68, v65, v68
	s_delay_alu instid0(VALU_DEP_2) | instskip(NEXT) | instid1(VALU_DEP_1)
	v_add_f32_e32 v65, v65, v66
	v_dual_add_f32 v71, v67, v65 :: v_dual_add_f32 v70, v69, v68
	s_delay_alu instid0(VALU_DEP_1) | instskip(NEXT) | instid1(VALU_DEP_2)
	v_sub_f32_e32 v67, v67, v71
	v_rcp_f32_e32 v66, v70
	v_sub_f32_e32 v69, v69, v70
	s_delay_alu instid0(VALU_DEP_1) | instskip(SKIP_2) | instid1(VALU_DEP_1)
	v_dual_add_f32 v65, v65, v67 :: v_dual_add_f32 v68, v68, v69
	s_waitcnt_depctr 0xfff
	v_mul_f32_e32 v80, v71, v66
	v_mul_f32_e32 v81, v70, v80
	s_delay_alu instid0(VALU_DEP_1) | instskip(NEXT) | instid1(VALU_DEP_1)
	v_fma_f32 v69, v80, v70, -v81
	v_fmac_f32_e32 v69, v80, v68
	s_delay_alu instid0(VALU_DEP_1) | instskip(NEXT) | instid1(VALU_DEP_1)
	v_add_f32_e32 v82, v81, v69
	v_sub_f32_e32 v83, v71, v82
	s_delay_alu instid0(VALU_DEP_1) | instskip(SKIP_1) | instid1(VALU_DEP_2)
	v_sub_f32_e32 v71, v71, v83
	v_sub_f32_e32 v67, v82, v81
	;; [unrolled: 1-line block ×3, first 2 shown]
	s_delay_alu instid0(VALU_DEP_2) | instskip(NEXT) | instid1(VALU_DEP_2)
	v_sub_f32_e32 v67, v67, v69
	v_add_f32_e32 v65, v65, v71
	s_delay_alu instid0(VALU_DEP_1) | instskip(NEXT) | instid1(VALU_DEP_1)
	v_add_f32_e32 v65, v67, v65
	v_add_f32_e32 v67, v83, v65
	s_delay_alu instid0(VALU_DEP_1) | instskip(NEXT) | instid1(VALU_DEP_1)
	v_mul_f32_e32 v69, v66, v67
	v_dual_sub_f32 v82, v83, v67 :: v_dual_mul_f32 v71, v70, v69
	s_delay_alu instid0(VALU_DEP_1) | instskip(NEXT) | instid1(VALU_DEP_2)
	v_add_f32_e32 v65, v65, v82
	v_fma_f32 v70, v69, v70, -v71
	s_delay_alu instid0(VALU_DEP_1) | instskip(NEXT) | instid1(VALU_DEP_1)
	v_fmac_f32_e32 v70, v69, v68
	v_add_f32_e32 v68, v71, v70
	s_delay_alu instid0(VALU_DEP_1) | instskip(SKIP_1) | instid1(VALU_DEP_2)
	v_sub_f32_e32 v81, v67, v68
	v_sub_f32_e32 v71, v68, v71
	;; [unrolled: 1-line block ×3, first 2 shown]
	s_delay_alu instid0(VALU_DEP_1) | instskip(NEXT) | instid1(VALU_DEP_1)
	v_sub_f32_e32 v67, v67, v68
	v_dual_sub_f32 v68, v71, v70 :: v_dual_add_f32 v65, v65, v67
	v_add_f32_e32 v67, v80, v69
	s_delay_alu instid0(VALU_DEP_1) | instskip(NEXT) | instid1(VALU_DEP_1)
	v_dual_add_f32 v65, v68, v65 :: v_dual_sub_f32 v68, v67, v80
	v_add_f32_e32 v65, v81, v65
	s_delay_alu instid0(VALU_DEP_1) | instskip(NEXT) | instid1(VALU_DEP_1)
	v_dual_sub_f32 v68, v69, v68 :: v_dual_mul_f32 v65, v66, v65
	v_add_f32_e32 v65, v68, v65
	s_delay_alu instid0(VALU_DEP_1) | instskip(NEXT) | instid1(VALU_DEP_1)
	v_add_f32_e32 v66, v67, v65
	v_mul_f32_e32 v68, v66, v66
	s_delay_alu instid0(VALU_DEP_1) | instskip(SKIP_2) | instid1(VALU_DEP_3)
	v_fmaak_f32 v69, s6, v68, 0x3ecc95a3
	v_mul_f32_e32 v70, v66, v68
	v_cmp_eq_f32_e64 s6, 0x7f800000, v53
	v_fmaak_f32 v68, v68, v69, 0x3f2aaada
	v_ldexp_f32 v69, v66, 1
	v_sub_f32_e32 v66, v66, v67
	s_delay_alu instid0(VALU_DEP_4) | instskip(NEXT) | instid1(VALU_DEP_3)
	s_or_b32 s6, s6, s8
	v_mul_f32_e32 v68, v70, v68
	s_delay_alu instid0(VALU_DEP_2) | instskip(NEXT) | instid1(VALU_DEP_2)
	v_dual_mul_f32 v70, 0x3f317218, v64 :: v_dual_sub_f32 v65, v65, v66
	v_add_f32_e32 v67, v69, v68
	s_delay_alu instid0(VALU_DEP_2) | instskip(NEXT) | instid1(VALU_DEP_2)
	v_ldexp_f32 v65, v65, 1
	v_sub_f32_e32 v66, v67, v69
	s_delay_alu instid0(VALU_DEP_4) | instskip(NEXT) | instid1(VALU_DEP_2)
	v_fma_f32 v69, 0x3f317218, v64, -v70
	v_sub_f32_e32 v66, v68, v66
	s_delay_alu instid0(VALU_DEP_1) | instskip(NEXT) | instid1(VALU_DEP_1)
	v_dual_fmamk_f32 v64, v64, 0xb102e308, v69 :: v_dual_add_f32 v65, v65, v66
	v_add_f32_e32 v66, v70, v64
	s_delay_alu instid0(VALU_DEP_1) | instskip(NEXT) | instid1(VALU_DEP_1)
	v_sub_f32_e32 v70, v66, v70
	v_sub_f32_e32 v64, v64, v70
	s_delay_alu instid0(VALU_DEP_4) | instskip(NEXT) | instid1(VALU_DEP_1)
	v_add_f32_e32 v68, v67, v65
	v_sub_f32_e32 v67, v68, v67
	s_delay_alu instid0(VALU_DEP_1) | instskip(SKIP_1) | instid1(VALU_DEP_1)
	v_sub_f32_e32 v65, v65, v67
	v_add_f32_e32 v69, v66, v68
	v_sub_f32_e32 v71, v69, v66
	s_delay_alu instid0(VALU_DEP_1) | instskip(NEXT) | instid1(VALU_DEP_4)
	v_sub_f32_e32 v67, v68, v71
	v_add_f32_e32 v68, v64, v65
	v_sub_f32_e32 v80, v69, v71
	s_delay_alu instid0(VALU_DEP_1) | instskip(NEXT) | instid1(VALU_DEP_1)
	v_sub_f32_e32 v66, v66, v80
	v_dual_add_f32 v66, v67, v66 :: v_dual_sub_f32 v67, v68, v64
	s_delay_alu instid0(VALU_DEP_1) | instskip(SKIP_1) | instid1(VALU_DEP_2)
	v_dual_add_f32 v66, v68, v66 :: v_dual_sub_f32 v65, v65, v67
	v_sub_f32_e32 v68, v68, v67
	v_add_f32_e32 v70, v69, v66
	s_delay_alu instid0(VALU_DEP_1) | instskip(NEXT) | instid1(VALU_DEP_1)
	v_dual_sub_f32 v64, v64, v68 :: v_dual_sub_f32 v67, v70, v69
	v_dual_add_f32 v64, v65, v64 :: v_dual_sub_f32 v65, v66, v67
	s_delay_alu instid0(VALU_DEP_1) | instskip(NEXT) | instid1(VALU_DEP_1)
	v_add_f32_e32 v64, v64, v65
	v_add_f32_e32 v64, v70, v64
	s_delay_alu instid0(VALU_DEP_1) | instskip(NEXT) | instid1(VALU_DEP_1)
	v_cndmask_b32_e64 v53, v64, v53, s6
	v_add_f32_e32 v53, v52, v53
.LBB453_248:
	s_or_b32 exec_lo, exec_lo, s7
	s_delay_alu instid0(VALU_DEP_1) | instskip(SKIP_2) | instid1(VALU_DEP_3)
	v_bfe_u32 v52, v53, 16, 1
	v_cmp_o_f32_e64 s6, v53, v53
	v_lshlrev_b32_e32 v49, 16, v49
	v_add3_u32 v52, v53, v52, 0x7fff
	s_delay_alu instid0(VALU_DEP_1) | instskip(NEXT) | instid1(VALU_DEP_1)
	v_and_b32_e32 v52, 0xffff0000, v52
	v_cndmask_b32_e64 v64, 0x7fc00000, v52, s6
	s_delay_alu instid0(VALU_DEP_1) | instskip(SKIP_1) | instid1(VALU_DEP_2)
	v_dual_max_f32 v52, v49, v49 :: v_dual_max_f32 v53, v64, v64
	v_cmp_u_f32_e64 s6, v64, v64
	v_min_f32_e32 v65, v53, v52
	v_max_f32_e32 v53, v53, v52
	s_delay_alu instid0(VALU_DEP_2) | instskip(NEXT) | instid1(VALU_DEP_2)
	v_cndmask_b32_e64 v65, v65, v64, s6
	v_cndmask_b32_e64 v53, v53, v64, s6
	v_cmp_u_f32_e64 s6, v49, v49
	s_delay_alu instid0(VALU_DEP_1) | instskip(NEXT) | instid1(VALU_DEP_3)
	v_cndmask_b32_e64 v65, v65, v49, s6
	v_cndmask_b32_e64 v53, v53, v49, s6
	s_delay_alu instid0(VALU_DEP_2) | instskip(NEXT) | instid1(VALU_DEP_2)
	v_cmp_class_f32_e64 s8, v65, 0x1f8
	v_cmp_neq_f32_e64 s7, v65, v53
	s_delay_alu instid0(VALU_DEP_1) | instskip(NEXT) | instid1(SALU_CYCLE_1)
	s_or_b32 s7, s7, s8
	s_and_saveexec_b32 s8, s7
	s_cbranch_execz .LBB453_250
; %bb.249:
	v_sub_f32_e32 v64, v65, v53
	s_delay_alu instid0(VALU_DEP_1) | instskip(SKIP_1) | instid1(VALU_DEP_2)
	v_mul_f32_e32 v65, 0x3fb8aa3b, v64
	v_cmp_ngt_f32_e64 s7, 0xc2ce8ed0, v64
	v_fma_f32 v66, 0x3fb8aa3b, v64, -v65
	v_rndne_f32_e32 v67, v65
	s_delay_alu instid0(VALU_DEP_1) | instskip(NEXT) | instid1(VALU_DEP_1)
	v_dual_fmamk_f32 v66, v64, 0x32a5705f, v66 :: v_dual_sub_f32 v65, v65, v67
	v_add_f32_e32 v65, v65, v66
	v_cvt_i32_f32_e32 v66, v67
	s_delay_alu instid0(VALU_DEP_2) | instskip(SKIP_2) | instid1(VALU_DEP_1)
	v_exp_f32_e32 v65, v65
	s_waitcnt_depctr 0xfff
	v_ldexp_f32 v65, v65, v66
	v_cndmask_b32_e64 v65, 0, v65, s7
	v_cmp_nlt_f32_e64 s7, 0x42b17218, v64
	s_delay_alu instid0(VALU_DEP_1) | instskip(NEXT) | instid1(VALU_DEP_1)
	v_cndmask_b32_e64 v66, 0x7f800000, v65, s7
	v_add_f32_e32 v67, 1.0, v66
	v_cmp_gt_f32_e64 s9, 0x33800000, |v66|
	s_delay_alu instid0(VALU_DEP_2) | instskip(NEXT) | instid1(VALU_DEP_1)
	v_cvt_f64_f32_e32 v[64:65], v67
	v_frexp_exp_i32_f64_e32 v64, v[64:65]
	v_frexp_mant_f32_e32 v65, v67
	s_delay_alu instid0(VALU_DEP_1) | instskip(SKIP_1) | instid1(VALU_DEP_1)
	v_cmp_gt_f32_e64 s7, 0x3f2aaaab, v65
	v_add_f32_e32 v65, -1.0, v67
	v_sub_f32_e32 v69, v65, v67
	v_sub_f32_e32 v65, v66, v65
	s_delay_alu instid0(VALU_DEP_4) | instskip(SKIP_1) | instid1(VALU_DEP_1)
	v_subrev_co_ci_u32_e64 v64, s7, 0, v64, s7
	s_mov_b32 s7, 0x3e9b6dac
	v_sub_nc_u32_e32 v68, 0, v64
	v_cvt_f32_i32_e32 v64, v64
	s_delay_alu instid0(VALU_DEP_2) | instskip(NEXT) | instid1(VALU_DEP_1)
	v_ldexp_f32 v67, v67, v68
	v_dual_add_f32 v70, 1.0, v67 :: v_dual_add_f32 v69, 1.0, v69
	s_delay_alu instid0(VALU_DEP_1) | instskip(NEXT) | instid1(VALU_DEP_2)
	v_add_f32_e32 v65, v65, v69
	v_add_f32_e32 v69, -1.0, v70
	s_delay_alu instid0(VALU_DEP_2) | instskip(NEXT) | instid1(VALU_DEP_2)
	v_ldexp_f32 v65, v65, v68
	v_dual_add_f32 v68, -1.0, v67 :: v_dual_sub_f32 v69, v67, v69
	s_delay_alu instid0(VALU_DEP_1) | instskip(NEXT) | instid1(VALU_DEP_2)
	v_add_f32_e32 v71, 1.0, v68
	v_add_f32_e32 v69, v65, v69
	s_delay_alu instid0(VALU_DEP_2) | instskip(NEXT) | instid1(VALU_DEP_2)
	v_sub_f32_e32 v67, v67, v71
	v_add_f32_e32 v71, v70, v69
	s_delay_alu instid0(VALU_DEP_2) | instskip(NEXT) | instid1(VALU_DEP_2)
	v_add_f32_e32 v65, v65, v67
	v_rcp_f32_e32 v67, v71
	v_sub_f32_e32 v70, v70, v71
	s_delay_alu instid0(VALU_DEP_1) | instskip(NEXT) | instid1(VALU_DEP_1)
	v_dual_add_f32 v80, v68, v65 :: v_dual_add_f32 v69, v69, v70
	v_sub_f32_e32 v68, v68, v80
	s_waitcnt_depctr 0xfff
	v_mul_f32_e32 v81, v80, v67
	s_delay_alu instid0(VALU_DEP_1) | instskip(NEXT) | instid1(VALU_DEP_1)
	v_dual_add_f32 v65, v65, v68 :: v_dual_mul_f32 v82, v71, v81
	v_fma_f32 v70, v81, v71, -v82
	s_delay_alu instid0(VALU_DEP_1) | instskip(NEXT) | instid1(VALU_DEP_1)
	v_fmac_f32_e32 v70, v81, v69
	v_add_f32_e32 v83, v82, v70
	s_delay_alu instid0(VALU_DEP_1) | instskip(SKIP_1) | instid1(VALU_DEP_2)
	v_sub_f32_e32 v84, v80, v83
	v_sub_f32_e32 v68, v83, v82
	;; [unrolled: 1-line block ×3, first 2 shown]
	s_delay_alu instid0(VALU_DEP_2) | instskip(NEXT) | instid1(VALU_DEP_2)
	v_sub_f32_e32 v68, v68, v70
	v_sub_f32_e32 v80, v80, v83
	s_delay_alu instid0(VALU_DEP_1) | instskip(NEXT) | instid1(VALU_DEP_1)
	v_add_f32_e32 v65, v65, v80
	v_add_f32_e32 v65, v68, v65
	s_delay_alu instid0(VALU_DEP_1) | instskip(NEXT) | instid1(VALU_DEP_1)
	v_add_f32_e32 v68, v84, v65
	v_mul_f32_e32 v70, v67, v68
	s_delay_alu instid0(VALU_DEP_1) | instskip(NEXT) | instid1(VALU_DEP_1)
	v_dual_sub_f32 v83, v84, v68 :: v_dual_mul_f32 v80, v71, v70
	v_add_f32_e32 v65, v65, v83
	s_delay_alu instid0(VALU_DEP_2) | instskip(NEXT) | instid1(VALU_DEP_1)
	v_fma_f32 v71, v70, v71, -v80
	v_fmac_f32_e32 v71, v70, v69
	s_delay_alu instid0(VALU_DEP_1) | instskip(NEXT) | instid1(VALU_DEP_1)
	v_add_f32_e32 v69, v80, v71
	v_sub_f32_e32 v82, v68, v69
	v_sub_f32_e32 v80, v69, v80
	s_delay_alu instid0(VALU_DEP_2) | instskip(NEXT) | instid1(VALU_DEP_1)
	v_sub_f32_e32 v68, v68, v82
	v_sub_f32_e32 v68, v68, v69
	s_delay_alu instid0(VALU_DEP_3) | instskip(NEXT) | instid1(VALU_DEP_2)
	v_sub_f32_e32 v69, v80, v71
	v_add_f32_e32 v65, v65, v68
	v_add_f32_e32 v68, v81, v70
	s_delay_alu instid0(VALU_DEP_2) | instskip(NEXT) | instid1(VALU_DEP_2)
	v_add_f32_e32 v65, v69, v65
	v_sub_f32_e32 v69, v68, v81
	s_delay_alu instid0(VALU_DEP_2) | instskip(NEXT) | instid1(VALU_DEP_2)
	v_add_f32_e32 v65, v82, v65
	v_sub_f32_e32 v69, v70, v69
	s_delay_alu instid0(VALU_DEP_2) | instskip(NEXT) | instid1(VALU_DEP_1)
	v_mul_f32_e32 v65, v67, v65
	v_add_f32_e32 v65, v69, v65
	s_delay_alu instid0(VALU_DEP_1) | instskip(NEXT) | instid1(VALU_DEP_1)
	v_add_f32_e32 v67, v68, v65
	v_mul_f32_e32 v69, v67, v67
	s_delay_alu instid0(VALU_DEP_1) | instskip(SKIP_2) | instid1(VALU_DEP_3)
	v_fmaak_f32 v70, s7, v69, 0x3ecc95a3
	v_mul_f32_e32 v71, v67, v69
	v_cmp_eq_f32_e64 s7, 0x7f800000, v66
	v_fmaak_f32 v69, v69, v70, 0x3f2aaada
	v_ldexp_f32 v70, v67, 1
	v_sub_f32_e32 v67, v67, v68
	s_delay_alu instid0(VALU_DEP_4) | instskip(NEXT) | instid1(VALU_DEP_3)
	s_or_b32 s7, s7, s9
	v_mul_f32_e32 v69, v71, v69
	v_mul_f32_e32 v71, 0x3f317218, v64
	s_delay_alu instid0(VALU_DEP_2) | instskip(NEXT) | instid1(VALU_DEP_1)
	v_dual_sub_f32 v65, v65, v67 :: v_dual_add_f32 v68, v70, v69
	v_ldexp_f32 v65, v65, 1
	s_delay_alu instid0(VALU_DEP_2) | instskip(NEXT) | instid1(VALU_DEP_4)
	v_sub_f32_e32 v67, v68, v70
	v_fma_f32 v70, 0x3f317218, v64, -v71
	s_delay_alu instid0(VALU_DEP_1) | instskip(NEXT) | instid1(VALU_DEP_1)
	v_dual_sub_f32 v67, v69, v67 :: v_dual_fmamk_f32 v64, v64, 0xb102e308, v70
	v_add_f32_e32 v65, v65, v67
	s_delay_alu instid0(VALU_DEP_2) | instskip(NEXT) | instid1(VALU_DEP_2)
	v_add_f32_e32 v67, v71, v64
	v_add_f32_e32 v69, v68, v65
	s_delay_alu instid0(VALU_DEP_2) | instskip(NEXT) | instid1(VALU_DEP_2)
	v_sub_f32_e32 v71, v67, v71
	v_add_f32_e32 v70, v67, v69
	v_sub_f32_e32 v68, v69, v68
	s_delay_alu instid0(VALU_DEP_3) | instskip(NEXT) | instid1(VALU_DEP_2)
	v_sub_f32_e32 v64, v64, v71
	v_dual_sub_f32 v80, v70, v67 :: v_dual_sub_f32 v65, v65, v68
	s_delay_alu instid0(VALU_DEP_1) | instskip(NEXT) | instid1(VALU_DEP_2)
	v_sub_f32_e32 v81, v70, v80
	v_dual_sub_f32 v68, v69, v80 :: v_dual_add_f32 v69, v64, v65
	s_delay_alu instid0(VALU_DEP_2) | instskip(NEXT) | instid1(VALU_DEP_1)
	v_sub_f32_e32 v67, v67, v81
	v_dual_add_f32 v67, v68, v67 :: v_dual_sub_f32 v68, v69, v64
	s_delay_alu instid0(VALU_DEP_1) | instskip(NEXT) | instid1(VALU_DEP_2)
	v_add_f32_e32 v67, v69, v67
	v_sub_f32_e32 v69, v69, v68
	v_sub_f32_e32 v65, v65, v68
	s_delay_alu instid0(VALU_DEP_2) | instskip(NEXT) | instid1(VALU_DEP_1)
	v_dual_add_f32 v71, v70, v67 :: v_dual_sub_f32 v64, v64, v69
	v_sub_f32_e32 v68, v71, v70
	s_delay_alu instid0(VALU_DEP_2) | instskip(NEXT) | instid1(VALU_DEP_2)
	v_add_f32_e32 v64, v65, v64
	v_sub_f32_e32 v65, v67, v68
	s_delay_alu instid0(VALU_DEP_1) | instskip(NEXT) | instid1(VALU_DEP_1)
	v_add_f32_e32 v64, v64, v65
	v_add_f32_e32 v64, v71, v64
	s_delay_alu instid0(VALU_DEP_1) | instskip(NEXT) | instid1(VALU_DEP_1)
	v_cndmask_b32_e64 v64, v64, v66, s7
	v_add_f32_e32 v64, v53, v64
.LBB453_250:
	s_or_b32 exec_lo, exec_lo, s8
	s_delay_alu instid0(VALU_DEP_1) | instskip(SKIP_2) | instid1(VALU_DEP_3)
	v_bfe_u32 v53, v64, 16, 1
	v_cmp_o_f32_e64 s7, v64, v64
	v_lshlrev_b32_e32 v48, 16, v48
	v_add3_u32 v53, v64, v53, 0x7fff
	s_delay_alu instid0(VALU_DEP_1) | instskip(NEXT) | instid1(VALU_DEP_1)
	v_and_b32_e32 v53, 0xffff0000, v53
	v_cndmask_b32_e64 v65, 0x7fc00000, v53, s7
	s_delay_alu instid0(VALU_DEP_1) | instskip(SKIP_1) | instid1(VALU_DEP_2)
	v_dual_max_f32 v53, v48, v48 :: v_dual_max_f32 v64, v65, v65
	v_cmp_u_f32_e64 s7, v65, v65
	v_min_f32_e32 v66, v64, v53
	v_max_f32_e32 v64, v64, v53
	s_delay_alu instid0(VALU_DEP_2) | instskip(NEXT) | instid1(VALU_DEP_2)
	v_cndmask_b32_e64 v66, v66, v65, s7
	v_cndmask_b32_e64 v64, v64, v65, s7
	v_cmp_u_f32_e64 s7, v48, v48
	s_delay_alu instid0(VALU_DEP_1) | instskip(NEXT) | instid1(VALU_DEP_3)
	v_cndmask_b32_e64 v66, v66, v48, s7
	v_cndmask_b32_e64 v64, v64, v48, s7
	s_delay_alu instid0(VALU_DEP_2) | instskip(NEXT) | instid1(VALU_DEP_2)
	v_cmp_class_f32_e64 s9, v66, 0x1f8
	v_cmp_neq_f32_e64 s8, v66, v64
	s_delay_alu instid0(VALU_DEP_1) | instskip(NEXT) | instid1(SALU_CYCLE_1)
	s_or_b32 s8, s8, s9
	s_and_saveexec_b32 s9, s8
	s_cbranch_execz .LBB453_252
; %bb.251:
	v_sub_f32_e32 v65, v66, v64
	s_delay_alu instid0(VALU_DEP_1) | instskip(SKIP_1) | instid1(VALU_DEP_2)
	v_mul_f32_e32 v66, 0x3fb8aa3b, v65
	v_cmp_ngt_f32_e64 s8, 0xc2ce8ed0, v65
	v_fma_f32 v67, 0x3fb8aa3b, v65, -v66
	v_rndne_f32_e32 v68, v66
	s_delay_alu instid0(VALU_DEP_1) | instskip(NEXT) | instid1(VALU_DEP_1)
	v_dual_fmamk_f32 v67, v65, 0x32a5705f, v67 :: v_dual_sub_f32 v66, v66, v68
	v_add_f32_e32 v66, v66, v67
	v_cvt_i32_f32_e32 v67, v68
	s_delay_alu instid0(VALU_DEP_2) | instskip(SKIP_2) | instid1(VALU_DEP_1)
	v_exp_f32_e32 v66, v66
	s_waitcnt_depctr 0xfff
	v_ldexp_f32 v66, v66, v67
	v_cndmask_b32_e64 v66, 0, v66, s8
	v_cmp_nlt_f32_e64 s8, 0x42b17218, v65
	s_delay_alu instid0(VALU_DEP_1) | instskip(NEXT) | instid1(VALU_DEP_1)
	v_cndmask_b32_e64 v67, 0x7f800000, v66, s8
	v_add_f32_e32 v68, 1.0, v67
	v_cmp_gt_f32_e64 s10, 0x33800000, |v67|
	s_delay_alu instid0(VALU_DEP_2) | instskip(NEXT) | instid1(VALU_DEP_1)
	v_cvt_f64_f32_e32 v[65:66], v68
	v_frexp_exp_i32_f64_e32 v65, v[65:66]
	v_frexp_mant_f32_e32 v66, v68
	s_delay_alu instid0(VALU_DEP_1) | instskip(SKIP_1) | instid1(VALU_DEP_1)
	v_cmp_gt_f32_e64 s8, 0x3f2aaaab, v66
	v_add_f32_e32 v66, -1.0, v68
	v_sub_f32_e32 v70, v66, v68
	v_sub_f32_e32 v66, v67, v66
	s_delay_alu instid0(VALU_DEP_4) | instskip(SKIP_1) | instid1(VALU_DEP_1)
	v_subrev_co_ci_u32_e64 v65, s8, 0, v65, s8
	s_mov_b32 s8, 0x3e9b6dac
	v_sub_nc_u32_e32 v69, 0, v65
	v_cvt_f32_i32_e32 v65, v65
	s_delay_alu instid0(VALU_DEP_2) | instskip(NEXT) | instid1(VALU_DEP_1)
	v_ldexp_f32 v68, v68, v69
	v_dual_add_f32 v71, 1.0, v68 :: v_dual_add_f32 v70, 1.0, v70
	s_delay_alu instid0(VALU_DEP_1) | instskip(NEXT) | instid1(VALU_DEP_2)
	v_add_f32_e32 v66, v66, v70
	v_add_f32_e32 v70, -1.0, v71
	s_delay_alu instid0(VALU_DEP_2) | instskip(NEXT) | instid1(VALU_DEP_2)
	v_ldexp_f32 v66, v66, v69
	v_dual_add_f32 v69, -1.0, v68 :: v_dual_sub_f32 v70, v68, v70
	s_delay_alu instid0(VALU_DEP_1) | instskip(NEXT) | instid1(VALU_DEP_2)
	v_add_f32_e32 v80, 1.0, v69
	v_add_f32_e32 v70, v66, v70
	s_delay_alu instid0(VALU_DEP_2) | instskip(NEXT) | instid1(VALU_DEP_2)
	v_sub_f32_e32 v68, v68, v80
	v_add_f32_e32 v80, v71, v70
	s_delay_alu instid0(VALU_DEP_2) | instskip(NEXT) | instid1(VALU_DEP_2)
	v_add_f32_e32 v66, v66, v68
	v_rcp_f32_e32 v68, v80
	v_sub_f32_e32 v71, v71, v80
	s_delay_alu instid0(VALU_DEP_1) | instskip(NEXT) | instid1(VALU_DEP_1)
	v_dual_add_f32 v81, v69, v66 :: v_dual_add_f32 v70, v70, v71
	v_sub_f32_e32 v69, v69, v81
	s_waitcnt_depctr 0xfff
	v_mul_f32_e32 v82, v81, v68
	s_delay_alu instid0(VALU_DEP_1) | instskip(NEXT) | instid1(VALU_DEP_1)
	v_dual_add_f32 v66, v66, v69 :: v_dual_mul_f32 v83, v80, v82
	v_fma_f32 v71, v82, v80, -v83
	s_delay_alu instid0(VALU_DEP_1) | instskip(NEXT) | instid1(VALU_DEP_1)
	v_fmac_f32_e32 v71, v82, v70
	v_add_f32_e32 v84, v83, v71
	s_delay_alu instid0(VALU_DEP_1) | instskip(SKIP_1) | instid1(VALU_DEP_2)
	v_sub_f32_e32 v85, v81, v84
	v_sub_f32_e32 v69, v84, v83
	;; [unrolled: 1-line block ×3, first 2 shown]
	s_delay_alu instid0(VALU_DEP_2) | instskip(NEXT) | instid1(VALU_DEP_2)
	v_sub_f32_e32 v69, v69, v71
	v_sub_f32_e32 v81, v81, v84
	s_delay_alu instid0(VALU_DEP_1) | instskip(NEXT) | instid1(VALU_DEP_1)
	v_add_f32_e32 v66, v66, v81
	v_add_f32_e32 v66, v69, v66
	s_delay_alu instid0(VALU_DEP_1) | instskip(NEXT) | instid1(VALU_DEP_1)
	v_add_f32_e32 v69, v85, v66
	v_mul_f32_e32 v71, v68, v69
	s_delay_alu instid0(VALU_DEP_1) | instskip(NEXT) | instid1(VALU_DEP_1)
	v_dual_sub_f32 v84, v85, v69 :: v_dual_mul_f32 v81, v80, v71
	v_add_f32_e32 v66, v66, v84
	s_delay_alu instid0(VALU_DEP_2) | instskip(NEXT) | instid1(VALU_DEP_1)
	v_fma_f32 v80, v71, v80, -v81
	v_fmac_f32_e32 v80, v71, v70
	s_delay_alu instid0(VALU_DEP_1) | instskip(NEXT) | instid1(VALU_DEP_1)
	v_add_f32_e32 v70, v81, v80
	v_sub_f32_e32 v83, v69, v70
	v_sub_f32_e32 v81, v70, v81
	s_delay_alu instid0(VALU_DEP_2) | instskip(NEXT) | instid1(VALU_DEP_1)
	v_sub_f32_e32 v69, v69, v83
	v_sub_f32_e32 v69, v69, v70
	s_delay_alu instid0(VALU_DEP_3) | instskip(NEXT) | instid1(VALU_DEP_2)
	v_sub_f32_e32 v70, v81, v80
	v_add_f32_e32 v66, v66, v69
	v_add_f32_e32 v69, v82, v71
	s_delay_alu instid0(VALU_DEP_2) | instskip(NEXT) | instid1(VALU_DEP_2)
	v_add_f32_e32 v66, v70, v66
	v_sub_f32_e32 v70, v69, v82
	s_delay_alu instid0(VALU_DEP_2) | instskip(NEXT) | instid1(VALU_DEP_2)
	v_add_f32_e32 v66, v83, v66
	v_sub_f32_e32 v70, v71, v70
	s_delay_alu instid0(VALU_DEP_2) | instskip(NEXT) | instid1(VALU_DEP_1)
	v_mul_f32_e32 v66, v68, v66
	v_add_f32_e32 v66, v70, v66
	s_delay_alu instid0(VALU_DEP_1) | instskip(NEXT) | instid1(VALU_DEP_1)
	v_add_f32_e32 v68, v69, v66
	v_mul_f32_e32 v70, v68, v68
	s_delay_alu instid0(VALU_DEP_1) | instskip(SKIP_2) | instid1(VALU_DEP_3)
	v_fmaak_f32 v71, s8, v70, 0x3ecc95a3
	v_mul_f32_e32 v80, v68, v70
	v_cmp_eq_f32_e64 s8, 0x7f800000, v67
	v_fmaak_f32 v70, v70, v71, 0x3f2aaada
	v_ldexp_f32 v71, v68, 1
	v_sub_f32_e32 v68, v68, v69
	s_delay_alu instid0(VALU_DEP_4) | instskip(NEXT) | instid1(VALU_DEP_3)
	s_or_b32 s8, s8, s10
	v_mul_f32_e32 v70, v80, v70
	v_mul_f32_e32 v80, 0x3f317218, v65
	s_delay_alu instid0(VALU_DEP_2) | instskip(NEXT) | instid1(VALU_DEP_1)
	v_dual_sub_f32 v66, v66, v68 :: v_dual_add_f32 v69, v71, v70
	v_ldexp_f32 v66, v66, 1
	s_delay_alu instid0(VALU_DEP_2) | instskip(NEXT) | instid1(VALU_DEP_4)
	v_sub_f32_e32 v68, v69, v71
	v_fma_f32 v71, 0x3f317218, v65, -v80
	s_delay_alu instid0(VALU_DEP_1) | instskip(NEXT) | instid1(VALU_DEP_1)
	v_dual_sub_f32 v68, v70, v68 :: v_dual_fmamk_f32 v65, v65, 0xb102e308, v71
	v_add_f32_e32 v66, v66, v68
	s_delay_alu instid0(VALU_DEP_2) | instskip(NEXT) | instid1(VALU_DEP_2)
	v_add_f32_e32 v68, v80, v65
	v_add_f32_e32 v70, v69, v66
	s_delay_alu instid0(VALU_DEP_2) | instskip(NEXT) | instid1(VALU_DEP_2)
	v_sub_f32_e32 v80, v68, v80
	v_add_f32_e32 v71, v68, v70
	v_sub_f32_e32 v69, v70, v69
	s_delay_alu instid0(VALU_DEP_3) | instskip(NEXT) | instid1(VALU_DEP_2)
	v_sub_f32_e32 v65, v65, v80
	v_dual_sub_f32 v81, v71, v68 :: v_dual_sub_f32 v66, v66, v69
	s_delay_alu instid0(VALU_DEP_1) | instskip(NEXT) | instid1(VALU_DEP_2)
	v_sub_f32_e32 v82, v71, v81
	v_dual_sub_f32 v69, v70, v81 :: v_dual_add_f32 v70, v65, v66
	s_delay_alu instid0(VALU_DEP_2) | instskip(NEXT) | instid1(VALU_DEP_1)
	v_sub_f32_e32 v68, v68, v82
	v_dual_add_f32 v68, v69, v68 :: v_dual_sub_f32 v69, v70, v65
	s_delay_alu instid0(VALU_DEP_1) | instskip(NEXT) | instid1(VALU_DEP_2)
	v_add_f32_e32 v68, v70, v68
	v_sub_f32_e32 v70, v70, v69
	v_sub_f32_e32 v66, v66, v69
	s_delay_alu instid0(VALU_DEP_2) | instskip(NEXT) | instid1(VALU_DEP_1)
	v_dual_add_f32 v80, v71, v68 :: v_dual_sub_f32 v65, v65, v70
	v_sub_f32_e32 v69, v80, v71
	s_delay_alu instid0(VALU_DEP_2) | instskip(NEXT) | instid1(VALU_DEP_2)
	v_add_f32_e32 v65, v66, v65
	v_sub_f32_e32 v66, v68, v69
	s_delay_alu instid0(VALU_DEP_1) | instskip(NEXT) | instid1(VALU_DEP_1)
	v_add_f32_e32 v65, v65, v66
	v_add_f32_e32 v65, v80, v65
	s_delay_alu instid0(VALU_DEP_1) | instskip(NEXT) | instid1(VALU_DEP_1)
	v_cndmask_b32_e64 v65, v65, v67, s8
	v_add_f32_e32 v65, v64, v65
.LBB453_252:
	s_or_b32 exec_lo, exec_lo, s9
	s_delay_alu instid0(VALU_DEP_1) | instskip(SKIP_2) | instid1(VALU_DEP_3)
	v_bfe_u32 v64, v65, 16, 1
	v_cmp_o_f32_e64 s8, v65, v65
	v_lshlrev_b32_e32 v39, 16, v39
	v_add3_u32 v64, v65, v64, 0x7fff
	s_delay_alu instid0(VALU_DEP_1) | instskip(NEXT) | instid1(VALU_DEP_1)
	v_and_b32_e32 v64, 0xffff0000, v64
	v_cndmask_b32_e64 v66, 0x7fc00000, v64, s8
	s_delay_alu instid0(VALU_DEP_1) | instskip(SKIP_1) | instid1(VALU_DEP_2)
	v_dual_max_f32 v64, v39, v39 :: v_dual_max_f32 v65, v66, v66
	v_cmp_u_f32_e64 s8, v66, v66
	v_min_f32_e32 v67, v65, v64
	v_max_f32_e32 v65, v65, v64
	s_delay_alu instid0(VALU_DEP_2) | instskip(NEXT) | instid1(VALU_DEP_2)
	v_cndmask_b32_e64 v67, v67, v66, s8
	v_cndmask_b32_e64 v65, v65, v66, s8
	v_cmp_u_f32_e64 s8, v39, v39
	s_delay_alu instid0(VALU_DEP_1) | instskip(NEXT) | instid1(VALU_DEP_3)
	v_cndmask_b32_e64 v67, v67, v39, s8
	v_cndmask_b32_e64 v65, v65, v39, s8
	s_delay_alu instid0(VALU_DEP_2) | instskip(NEXT) | instid1(VALU_DEP_2)
	v_cmp_class_f32_e64 s10, v67, 0x1f8
	v_cmp_neq_f32_e64 s9, v67, v65
	s_delay_alu instid0(VALU_DEP_1) | instskip(NEXT) | instid1(SALU_CYCLE_1)
	s_or_b32 s9, s9, s10
	s_and_saveexec_b32 s10, s9
	s_cbranch_execz .LBB453_254
; %bb.253:
	v_sub_f32_e32 v66, v67, v65
	s_delay_alu instid0(VALU_DEP_1) | instskip(SKIP_1) | instid1(VALU_DEP_2)
	v_mul_f32_e32 v67, 0x3fb8aa3b, v66
	v_cmp_ngt_f32_e64 s9, 0xc2ce8ed0, v66
	v_fma_f32 v68, 0x3fb8aa3b, v66, -v67
	v_rndne_f32_e32 v69, v67
	s_delay_alu instid0(VALU_DEP_1) | instskip(NEXT) | instid1(VALU_DEP_1)
	v_dual_fmamk_f32 v68, v66, 0x32a5705f, v68 :: v_dual_sub_f32 v67, v67, v69
	v_add_f32_e32 v67, v67, v68
	v_cvt_i32_f32_e32 v68, v69
	s_delay_alu instid0(VALU_DEP_2) | instskip(SKIP_2) | instid1(VALU_DEP_1)
	v_exp_f32_e32 v67, v67
	s_waitcnt_depctr 0xfff
	v_ldexp_f32 v67, v67, v68
	v_cndmask_b32_e64 v67, 0, v67, s9
	v_cmp_nlt_f32_e64 s9, 0x42b17218, v66
	s_delay_alu instid0(VALU_DEP_1) | instskip(NEXT) | instid1(VALU_DEP_1)
	v_cndmask_b32_e64 v68, 0x7f800000, v67, s9
	v_add_f32_e32 v69, 1.0, v68
	v_cmp_gt_f32_e64 s11, 0x33800000, |v68|
	s_delay_alu instid0(VALU_DEP_2) | instskip(NEXT) | instid1(VALU_DEP_1)
	v_cvt_f64_f32_e32 v[66:67], v69
	v_frexp_exp_i32_f64_e32 v66, v[66:67]
	v_frexp_mant_f32_e32 v67, v69
	s_delay_alu instid0(VALU_DEP_1) | instskip(SKIP_1) | instid1(VALU_DEP_1)
	v_cmp_gt_f32_e64 s9, 0x3f2aaaab, v67
	v_add_f32_e32 v67, -1.0, v69
	v_sub_f32_e32 v71, v67, v69
	v_sub_f32_e32 v67, v68, v67
	s_delay_alu instid0(VALU_DEP_4) | instskip(SKIP_1) | instid1(VALU_DEP_1)
	v_subrev_co_ci_u32_e64 v66, s9, 0, v66, s9
	s_mov_b32 s9, 0x3e9b6dac
	v_sub_nc_u32_e32 v70, 0, v66
	v_cvt_f32_i32_e32 v66, v66
	s_delay_alu instid0(VALU_DEP_2) | instskip(NEXT) | instid1(VALU_DEP_1)
	v_ldexp_f32 v69, v69, v70
	v_dual_add_f32 v80, 1.0, v69 :: v_dual_add_f32 v71, 1.0, v71
	s_delay_alu instid0(VALU_DEP_1) | instskip(NEXT) | instid1(VALU_DEP_2)
	v_add_f32_e32 v67, v67, v71
	v_add_f32_e32 v71, -1.0, v80
	s_delay_alu instid0(VALU_DEP_2) | instskip(NEXT) | instid1(VALU_DEP_2)
	v_ldexp_f32 v67, v67, v70
	v_dual_add_f32 v70, -1.0, v69 :: v_dual_sub_f32 v71, v69, v71
	s_delay_alu instid0(VALU_DEP_1) | instskip(NEXT) | instid1(VALU_DEP_2)
	v_add_f32_e32 v81, 1.0, v70
	v_add_f32_e32 v71, v67, v71
	s_delay_alu instid0(VALU_DEP_2) | instskip(NEXT) | instid1(VALU_DEP_2)
	v_sub_f32_e32 v69, v69, v81
	v_add_f32_e32 v81, v80, v71
	s_delay_alu instid0(VALU_DEP_2) | instskip(NEXT) | instid1(VALU_DEP_2)
	v_add_f32_e32 v67, v67, v69
	v_rcp_f32_e32 v69, v81
	v_sub_f32_e32 v80, v80, v81
	s_delay_alu instid0(VALU_DEP_1) | instskip(NEXT) | instid1(VALU_DEP_1)
	v_dual_add_f32 v82, v70, v67 :: v_dual_add_f32 v71, v71, v80
	v_sub_f32_e32 v70, v70, v82
	s_waitcnt_depctr 0xfff
	v_mul_f32_e32 v83, v82, v69
	s_delay_alu instid0(VALU_DEP_1) | instskip(NEXT) | instid1(VALU_DEP_1)
	v_dual_add_f32 v67, v67, v70 :: v_dual_mul_f32 v84, v81, v83
	v_fma_f32 v80, v83, v81, -v84
	s_delay_alu instid0(VALU_DEP_1) | instskip(NEXT) | instid1(VALU_DEP_1)
	v_fmac_f32_e32 v80, v83, v71
	v_add_f32_e32 v85, v84, v80
	s_delay_alu instid0(VALU_DEP_1) | instskip(NEXT) | instid1(VALU_DEP_1)
	v_dual_sub_f32 v87, v82, v85 :: v_dual_sub_f32 v70, v85, v84
	v_sub_f32_e32 v82, v82, v87
	s_delay_alu instid0(VALU_DEP_2) | instskip(NEXT) | instid1(VALU_DEP_2)
	v_sub_f32_e32 v70, v70, v80
	v_sub_f32_e32 v82, v82, v85
	s_delay_alu instid0(VALU_DEP_1) | instskip(NEXT) | instid1(VALU_DEP_1)
	v_add_f32_e32 v67, v67, v82
	v_add_f32_e32 v67, v70, v67
	s_delay_alu instid0(VALU_DEP_1) | instskip(NEXT) | instid1(VALU_DEP_1)
	v_add_f32_e32 v70, v87, v67
	v_mul_f32_e32 v80, v69, v70
	s_delay_alu instid0(VALU_DEP_1) | instskip(NEXT) | instid1(VALU_DEP_1)
	v_dual_sub_f32 v85, v87, v70 :: v_dual_mul_f32 v82, v81, v80
	v_add_f32_e32 v67, v67, v85
	s_delay_alu instid0(VALU_DEP_2) | instskip(NEXT) | instid1(VALU_DEP_1)
	v_fma_f32 v81, v80, v81, -v82
	v_fmac_f32_e32 v81, v80, v71
	s_delay_alu instid0(VALU_DEP_1) | instskip(NEXT) | instid1(VALU_DEP_1)
	v_add_f32_e32 v71, v82, v81
	v_sub_f32_e32 v84, v70, v71
	v_sub_f32_e32 v82, v71, v82
	s_delay_alu instid0(VALU_DEP_2) | instskip(NEXT) | instid1(VALU_DEP_1)
	v_sub_f32_e32 v70, v70, v84
	v_sub_f32_e32 v70, v70, v71
	s_delay_alu instid0(VALU_DEP_3) | instskip(NEXT) | instid1(VALU_DEP_2)
	v_sub_f32_e32 v71, v82, v81
	v_add_f32_e32 v67, v67, v70
	v_add_f32_e32 v70, v83, v80
	s_delay_alu instid0(VALU_DEP_2) | instskip(NEXT) | instid1(VALU_DEP_2)
	v_add_f32_e32 v67, v71, v67
	v_sub_f32_e32 v71, v70, v83
	s_delay_alu instid0(VALU_DEP_2) | instskip(NEXT) | instid1(VALU_DEP_2)
	v_add_f32_e32 v67, v84, v67
	v_sub_f32_e32 v71, v80, v71
	s_delay_alu instid0(VALU_DEP_2) | instskip(NEXT) | instid1(VALU_DEP_1)
	v_mul_f32_e32 v67, v69, v67
	v_add_f32_e32 v67, v71, v67
	s_delay_alu instid0(VALU_DEP_1) | instskip(NEXT) | instid1(VALU_DEP_1)
	v_add_f32_e32 v69, v70, v67
	v_mul_f32_e32 v71, v69, v69
	s_delay_alu instid0(VALU_DEP_1) | instskip(SKIP_2) | instid1(VALU_DEP_3)
	v_fmaak_f32 v80, s9, v71, 0x3ecc95a3
	v_mul_f32_e32 v81, v69, v71
	v_cmp_eq_f32_e64 s9, 0x7f800000, v68
	v_fmaak_f32 v71, v71, v80, 0x3f2aaada
	v_ldexp_f32 v80, v69, 1
	v_sub_f32_e32 v69, v69, v70
	s_delay_alu instid0(VALU_DEP_4) | instskip(NEXT) | instid1(VALU_DEP_3)
	s_or_b32 s9, s9, s11
	v_mul_f32_e32 v71, v81, v71
	v_mul_f32_e32 v81, 0x3f317218, v66
	s_delay_alu instid0(VALU_DEP_2) | instskip(NEXT) | instid1(VALU_DEP_1)
	v_dual_sub_f32 v67, v67, v69 :: v_dual_add_f32 v70, v80, v71
	v_ldexp_f32 v67, v67, 1
	s_delay_alu instid0(VALU_DEP_2) | instskip(NEXT) | instid1(VALU_DEP_4)
	v_sub_f32_e32 v69, v70, v80
	v_fma_f32 v80, 0x3f317218, v66, -v81
	s_delay_alu instid0(VALU_DEP_1) | instskip(NEXT) | instid1(VALU_DEP_1)
	v_dual_sub_f32 v69, v71, v69 :: v_dual_fmamk_f32 v66, v66, 0xb102e308, v80
	v_add_f32_e32 v67, v67, v69
	s_delay_alu instid0(VALU_DEP_2) | instskip(NEXT) | instid1(VALU_DEP_2)
	v_add_f32_e32 v69, v81, v66
	v_add_f32_e32 v71, v70, v67
	s_delay_alu instid0(VALU_DEP_2) | instskip(NEXT) | instid1(VALU_DEP_2)
	v_sub_f32_e32 v81, v69, v81
	v_add_f32_e32 v80, v69, v71
	v_sub_f32_e32 v70, v71, v70
	s_delay_alu instid0(VALU_DEP_3) | instskip(NEXT) | instid1(VALU_DEP_2)
	v_sub_f32_e32 v66, v66, v81
	v_dual_sub_f32 v82, v80, v69 :: v_dual_sub_f32 v67, v67, v70
	s_delay_alu instid0(VALU_DEP_1) | instskip(NEXT) | instid1(VALU_DEP_2)
	v_sub_f32_e32 v83, v80, v82
	v_dual_sub_f32 v70, v71, v82 :: v_dual_add_f32 v71, v66, v67
	s_delay_alu instid0(VALU_DEP_2) | instskip(NEXT) | instid1(VALU_DEP_1)
	v_sub_f32_e32 v69, v69, v83
	v_dual_add_f32 v69, v70, v69 :: v_dual_sub_f32 v70, v71, v66
	s_delay_alu instid0(VALU_DEP_1) | instskip(NEXT) | instid1(VALU_DEP_2)
	v_add_f32_e32 v69, v71, v69
	v_sub_f32_e32 v71, v71, v70
	v_sub_f32_e32 v67, v67, v70
	s_delay_alu instid0(VALU_DEP_2) | instskip(NEXT) | instid1(VALU_DEP_1)
	v_dual_add_f32 v81, v80, v69 :: v_dual_sub_f32 v66, v66, v71
	v_sub_f32_e32 v70, v81, v80
	s_delay_alu instid0(VALU_DEP_2) | instskip(NEXT) | instid1(VALU_DEP_2)
	v_add_f32_e32 v66, v67, v66
	v_sub_f32_e32 v67, v69, v70
	s_delay_alu instid0(VALU_DEP_1) | instskip(NEXT) | instid1(VALU_DEP_1)
	v_add_f32_e32 v66, v66, v67
	v_add_f32_e32 v66, v81, v66
	s_delay_alu instid0(VALU_DEP_1) | instskip(NEXT) | instid1(VALU_DEP_1)
	v_cndmask_b32_e64 v66, v66, v68, s9
	v_add_f32_e32 v66, v65, v66
.LBB453_254:
	s_or_b32 exec_lo, exec_lo, s10
	s_delay_alu instid0(VALU_DEP_1) | instskip(SKIP_2) | instid1(VALU_DEP_3)
	v_bfe_u32 v65, v66, 16, 1
	v_cmp_o_f32_e64 s9, v66, v66
	v_lshlrev_b32_e32 v38, 16, v38
	v_add3_u32 v65, v66, v65, 0x7fff
	s_delay_alu instid0(VALU_DEP_1) | instskip(NEXT) | instid1(VALU_DEP_1)
	v_and_b32_e32 v65, 0xffff0000, v65
	v_cndmask_b32_e64 v67, 0x7fc00000, v65, s9
	s_delay_alu instid0(VALU_DEP_1) | instskip(SKIP_1) | instid1(VALU_DEP_2)
	v_dual_max_f32 v65, v38, v38 :: v_dual_max_f32 v66, v67, v67
	v_cmp_u_f32_e64 s9, v67, v67
	v_min_f32_e32 v68, v66, v65
	v_max_f32_e32 v66, v66, v65
	s_delay_alu instid0(VALU_DEP_2) | instskip(NEXT) | instid1(VALU_DEP_2)
	v_cndmask_b32_e64 v68, v68, v67, s9
	v_cndmask_b32_e64 v66, v66, v67, s9
	v_cmp_u_f32_e64 s9, v38, v38
	s_delay_alu instid0(VALU_DEP_1) | instskip(NEXT) | instid1(VALU_DEP_3)
	v_cndmask_b32_e64 v68, v68, v38, s9
	v_cndmask_b32_e64 v66, v66, v38, s9
	s_delay_alu instid0(VALU_DEP_2) | instskip(NEXT) | instid1(VALU_DEP_2)
	v_cmp_class_f32_e64 s11, v68, 0x1f8
	v_cmp_neq_f32_e64 s10, v68, v66
	s_delay_alu instid0(VALU_DEP_1) | instskip(NEXT) | instid1(SALU_CYCLE_1)
	s_or_b32 s10, s10, s11
	s_and_saveexec_b32 s11, s10
	s_cbranch_execz .LBB453_256
; %bb.255:
	v_sub_f32_e32 v67, v68, v66
	s_delay_alu instid0(VALU_DEP_1) | instskip(SKIP_1) | instid1(VALU_DEP_2)
	v_mul_f32_e32 v68, 0x3fb8aa3b, v67
	v_cmp_ngt_f32_e64 s10, 0xc2ce8ed0, v67
	v_fma_f32 v69, 0x3fb8aa3b, v67, -v68
	v_rndne_f32_e32 v70, v68
	s_delay_alu instid0(VALU_DEP_1) | instskip(NEXT) | instid1(VALU_DEP_1)
	v_dual_fmamk_f32 v69, v67, 0x32a5705f, v69 :: v_dual_sub_f32 v68, v68, v70
	v_add_f32_e32 v68, v68, v69
	v_cvt_i32_f32_e32 v69, v70
	s_delay_alu instid0(VALU_DEP_2) | instskip(SKIP_2) | instid1(VALU_DEP_1)
	v_exp_f32_e32 v68, v68
	s_waitcnt_depctr 0xfff
	v_ldexp_f32 v68, v68, v69
	v_cndmask_b32_e64 v68, 0, v68, s10
	v_cmp_nlt_f32_e64 s10, 0x42b17218, v67
	s_delay_alu instid0(VALU_DEP_1) | instskip(NEXT) | instid1(VALU_DEP_1)
	v_cndmask_b32_e64 v69, 0x7f800000, v68, s10
	v_add_f32_e32 v70, 1.0, v69
	v_cmp_gt_f32_e64 s12, 0x33800000, |v69|
	s_delay_alu instid0(VALU_DEP_2) | instskip(NEXT) | instid1(VALU_DEP_1)
	v_cvt_f64_f32_e32 v[67:68], v70
	v_frexp_exp_i32_f64_e32 v67, v[67:68]
	v_frexp_mant_f32_e32 v68, v70
	s_delay_alu instid0(VALU_DEP_1) | instskip(SKIP_1) | instid1(VALU_DEP_1)
	v_cmp_gt_f32_e64 s10, 0x3f2aaaab, v68
	v_add_f32_e32 v68, -1.0, v70
	v_sub_f32_e32 v80, v68, v70
	v_sub_f32_e32 v68, v69, v68
	s_delay_alu instid0(VALU_DEP_4) | instskip(SKIP_1) | instid1(VALU_DEP_1)
	v_subrev_co_ci_u32_e64 v67, s10, 0, v67, s10
	s_mov_b32 s10, 0x3e9b6dac
	v_sub_nc_u32_e32 v71, 0, v67
	v_cvt_f32_i32_e32 v67, v67
	s_delay_alu instid0(VALU_DEP_2) | instskip(NEXT) | instid1(VALU_DEP_1)
	v_ldexp_f32 v70, v70, v71
	v_dual_add_f32 v81, 1.0, v70 :: v_dual_add_f32 v80, 1.0, v80
	s_delay_alu instid0(VALU_DEP_1) | instskip(NEXT) | instid1(VALU_DEP_2)
	v_add_f32_e32 v68, v68, v80
	v_add_f32_e32 v80, -1.0, v81
	s_delay_alu instid0(VALU_DEP_2) | instskip(NEXT) | instid1(VALU_DEP_2)
	v_ldexp_f32 v68, v68, v71
	v_dual_add_f32 v71, -1.0, v70 :: v_dual_sub_f32 v80, v70, v80
	s_delay_alu instid0(VALU_DEP_1) | instskip(NEXT) | instid1(VALU_DEP_2)
	v_add_f32_e32 v82, 1.0, v71
	v_add_f32_e32 v80, v68, v80
	s_delay_alu instid0(VALU_DEP_2) | instskip(NEXT) | instid1(VALU_DEP_2)
	v_sub_f32_e32 v70, v70, v82
	v_add_f32_e32 v82, v81, v80
	s_delay_alu instid0(VALU_DEP_2) | instskip(NEXT) | instid1(VALU_DEP_2)
	v_add_f32_e32 v68, v68, v70
	v_rcp_f32_e32 v70, v82
	v_sub_f32_e32 v81, v81, v82
	s_delay_alu instid0(VALU_DEP_1) | instskip(NEXT) | instid1(VALU_DEP_1)
	v_dual_add_f32 v83, v71, v68 :: v_dual_add_f32 v80, v80, v81
	v_sub_f32_e32 v71, v71, v83
	s_waitcnt_depctr 0xfff
	v_mul_f32_e32 v84, v83, v70
	s_delay_alu instid0(VALU_DEP_1) | instskip(NEXT) | instid1(VALU_DEP_1)
	v_dual_add_f32 v68, v68, v71 :: v_dual_mul_f32 v85, v82, v84
	v_fma_f32 v81, v84, v82, -v85
	s_delay_alu instid0(VALU_DEP_1) | instskip(NEXT) | instid1(VALU_DEP_1)
	v_fmac_f32_e32 v81, v84, v80
	v_add_f32_e32 v87, v85, v81
	s_delay_alu instid0(VALU_DEP_1) | instskip(SKIP_1) | instid1(VALU_DEP_2)
	v_sub_f32_e32 v96, v83, v87
	v_sub_f32_e32 v71, v87, v85
	;; [unrolled: 1-line block ×3, first 2 shown]
	s_delay_alu instid0(VALU_DEP_2) | instskip(NEXT) | instid1(VALU_DEP_2)
	v_sub_f32_e32 v71, v71, v81
	v_sub_f32_e32 v83, v83, v87
	s_delay_alu instid0(VALU_DEP_1) | instskip(NEXT) | instid1(VALU_DEP_1)
	v_add_f32_e32 v68, v68, v83
	v_add_f32_e32 v68, v71, v68
	s_delay_alu instid0(VALU_DEP_1) | instskip(NEXT) | instid1(VALU_DEP_1)
	v_add_f32_e32 v71, v96, v68
	v_sub_f32_e32 v87, v96, v71
	v_mul_f32_e32 v81, v70, v71
	s_delay_alu instid0(VALU_DEP_1) | instskip(NEXT) | instid1(VALU_DEP_1)
	v_mul_f32_e32 v83, v82, v81
	v_fma_f32 v82, v81, v82, -v83
	s_delay_alu instid0(VALU_DEP_1) | instskip(NEXT) | instid1(VALU_DEP_1)
	v_fmac_f32_e32 v82, v81, v80
	v_add_f32_e32 v80, v83, v82
	s_delay_alu instid0(VALU_DEP_1) | instskip(SKIP_1) | instid1(VALU_DEP_2)
	v_sub_f32_e32 v85, v71, v80
	v_sub_f32_e32 v83, v80, v83
	v_dual_sub_f32 v71, v71, v85 :: v_dual_add_f32 v68, v68, v87
	s_delay_alu instid0(VALU_DEP_1) | instskip(NEXT) | instid1(VALU_DEP_3)
	v_sub_f32_e32 v71, v71, v80
	v_sub_f32_e32 v80, v83, v82
	s_delay_alu instid0(VALU_DEP_2) | instskip(SKIP_1) | instid1(VALU_DEP_2)
	v_add_f32_e32 v68, v68, v71
	v_add_f32_e32 v71, v84, v81
	;; [unrolled: 1-line block ×3, first 2 shown]
	s_delay_alu instid0(VALU_DEP_2) | instskip(NEXT) | instid1(VALU_DEP_2)
	v_sub_f32_e32 v80, v71, v84
	v_add_f32_e32 v68, v85, v68
	s_delay_alu instid0(VALU_DEP_2) | instskip(NEXT) | instid1(VALU_DEP_2)
	v_sub_f32_e32 v80, v81, v80
	v_mul_f32_e32 v68, v70, v68
	s_delay_alu instid0(VALU_DEP_1) | instskip(NEXT) | instid1(VALU_DEP_1)
	v_add_f32_e32 v68, v80, v68
	v_add_f32_e32 v70, v71, v68
	s_delay_alu instid0(VALU_DEP_1) | instskip(NEXT) | instid1(VALU_DEP_1)
	v_mul_f32_e32 v80, v70, v70
	v_fmaak_f32 v81, s10, v80, 0x3ecc95a3
	v_mul_f32_e32 v82, v70, v80
	v_cmp_eq_f32_e64 s10, 0x7f800000, v69
	s_delay_alu instid0(VALU_DEP_3) | instskip(SKIP_1) | instid1(VALU_DEP_3)
	v_fmaak_f32 v80, v80, v81, 0x3f2aaada
	v_ldexp_f32 v81, v70, 1
	s_or_b32 s10, s10, s12
	s_delay_alu instid0(VALU_DEP_2) | instskip(NEXT) | instid1(VALU_DEP_1)
	v_mul_f32_e32 v80, v82, v80
	v_dual_sub_f32 v70, v70, v71 :: v_dual_add_f32 v71, v81, v80
	s_delay_alu instid0(VALU_DEP_1) | instskip(NEXT) | instid1(VALU_DEP_2)
	v_sub_f32_e32 v68, v68, v70
	v_sub_f32_e32 v70, v71, v81
	s_delay_alu instid0(VALU_DEP_2) | instskip(NEXT) | instid1(VALU_DEP_2)
	v_ldexp_f32 v68, v68, 1
	v_sub_f32_e32 v70, v80, v70
	s_delay_alu instid0(VALU_DEP_1) | instskip(NEXT) | instid1(VALU_DEP_1)
	v_add_f32_e32 v68, v68, v70
	v_add_f32_e32 v80, v71, v68
	v_mul_f32_e32 v82, 0x3f317218, v67
	s_delay_alu instid0(VALU_DEP_2) | instskip(NEXT) | instid1(VALU_DEP_2)
	v_sub_f32_e32 v71, v80, v71
	v_fma_f32 v81, 0x3f317218, v67, -v82
	s_delay_alu instid0(VALU_DEP_1) | instskip(NEXT) | instid1(VALU_DEP_1)
	v_dual_sub_f32 v68, v68, v71 :: v_dual_fmamk_f32 v67, v67, 0xb102e308, v81
	v_add_f32_e32 v70, v82, v67
	s_delay_alu instid0(VALU_DEP_1) | instskip(SKIP_1) | instid1(VALU_DEP_2)
	v_add_f32_e32 v81, v70, v80
	v_sub_f32_e32 v82, v70, v82
	v_sub_f32_e32 v83, v81, v70
	s_delay_alu instid0(VALU_DEP_1) | instskip(NEXT) | instid1(VALU_DEP_1)
	v_dual_sub_f32 v67, v67, v82 :: v_dual_sub_f32 v84, v81, v83
	v_dual_sub_f32 v71, v80, v83 :: v_dual_add_f32 v80, v67, v68
	s_delay_alu instid0(VALU_DEP_2) | instskip(NEXT) | instid1(VALU_DEP_1)
	v_sub_f32_e32 v70, v70, v84
	v_dual_add_f32 v70, v71, v70 :: v_dual_sub_f32 v71, v80, v67
	s_delay_alu instid0(VALU_DEP_1) | instskip(NEXT) | instid1(VALU_DEP_2)
	v_add_f32_e32 v70, v80, v70
	v_sub_f32_e32 v80, v80, v71
	v_sub_f32_e32 v68, v68, v71
	s_delay_alu instid0(VALU_DEP_2) | instskip(NEXT) | instid1(VALU_DEP_1)
	v_dual_add_f32 v82, v81, v70 :: v_dual_sub_f32 v67, v67, v80
	v_sub_f32_e32 v71, v82, v81
	s_delay_alu instid0(VALU_DEP_2) | instskip(NEXT) | instid1(VALU_DEP_2)
	v_add_f32_e32 v67, v68, v67
	v_sub_f32_e32 v68, v70, v71
	s_delay_alu instid0(VALU_DEP_1) | instskip(NEXT) | instid1(VALU_DEP_1)
	v_add_f32_e32 v67, v67, v68
	v_add_f32_e32 v67, v82, v67
	s_delay_alu instid0(VALU_DEP_1) | instskip(NEXT) | instid1(VALU_DEP_1)
	v_cndmask_b32_e64 v67, v67, v69, s10
	v_add_f32_e32 v67, v66, v67
.LBB453_256:
	s_or_b32 exec_lo, exec_lo, s11
	s_delay_alu instid0(VALU_DEP_1) | instskip(SKIP_2) | instid1(VALU_DEP_3)
	v_bfe_u32 v66, v67, 16, 1
	v_cmp_o_f32_e64 s10, v67, v67
	v_lshlrev_b32_e32 v37, 16, v37
	v_add3_u32 v66, v67, v66, 0x7fff
	s_delay_alu instid0(VALU_DEP_1) | instskip(NEXT) | instid1(VALU_DEP_1)
	v_and_b32_e32 v66, 0xffff0000, v66
	v_cndmask_b32_e64 v68, 0x7fc00000, v66, s10
	s_delay_alu instid0(VALU_DEP_1) | instskip(SKIP_1) | instid1(VALU_DEP_2)
	v_dual_max_f32 v66, v37, v37 :: v_dual_max_f32 v67, v68, v68
	v_cmp_u_f32_e64 s10, v68, v68
	v_min_f32_e32 v69, v67, v66
	v_max_f32_e32 v67, v67, v66
	s_delay_alu instid0(VALU_DEP_2) | instskip(NEXT) | instid1(VALU_DEP_2)
	v_cndmask_b32_e64 v69, v69, v68, s10
	v_cndmask_b32_e64 v67, v67, v68, s10
	v_cmp_u_f32_e64 s10, v37, v37
	s_delay_alu instid0(VALU_DEP_1) | instskip(NEXT) | instid1(VALU_DEP_3)
	v_cndmask_b32_e64 v69, v69, v37, s10
	v_cndmask_b32_e64 v67, v67, v37, s10
	s_delay_alu instid0(VALU_DEP_2) | instskip(NEXT) | instid1(VALU_DEP_2)
	v_cmp_class_f32_e64 s12, v69, 0x1f8
	v_cmp_neq_f32_e64 s11, v69, v67
	s_delay_alu instid0(VALU_DEP_1) | instskip(NEXT) | instid1(SALU_CYCLE_1)
	s_or_b32 s11, s11, s12
	s_and_saveexec_b32 s12, s11
	s_cbranch_execz .LBB453_258
; %bb.257:
	v_sub_f32_e32 v68, v69, v67
	s_delay_alu instid0(VALU_DEP_1) | instskip(SKIP_1) | instid1(VALU_DEP_2)
	v_mul_f32_e32 v69, 0x3fb8aa3b, v68
	v_cmp_ngt_f32_e64 s11, 0xc2ce8ed0, v68
	v_fma_f32 v70, 0x3fb8aa3b, v68, -v69
	v_rndne_f32_e32 v71, v69
	s_delay_alu instid0(VALU_DEP_1) | instskip(NEXT) | instid1(VALU_DEP_1)
	v_dual_fmamk_f32 v70, v68, 0x32a5705f, v70 :: v_dual_sub_f32 v69, v69, v71
	v_add_f32_e32 v69, v69, v70
	v_cvt_i32_f32_e32 v70, v71
	s_delay_alu instid0(VALU_DEP_2) | instskip(SKIP_2) | instid1(VALU_DEP_1)
	v_exp_f32_e32 v69, v69
	s_waitcnt_depctr 0xfff
	v_ldexp_f32 v69, v69, v70
	v_cndmask_b32_e64 v69, 0, v69, s11
	v_cmp_nlt_f32_e64 s11, 0x42b17218, v68
	s_delay_alu instid0(VALU_DEP_1) | instskip(NEXT) | instid1(VALU_DEP_1)
	v_cndmask_b32_e64 v70, 0x7f800000, v69, s11
	v_add_f32_e32 v71, 1.0, v70
	v_cmp_gt_f32_e64 s13, 0x33800000, |v70|
	s_delay_alu instid0(VALU_DEP_2) | instskip(NEXT) | instid1(VALU_DEP_1)
	v_cvt_f64_f32_e32 v[68:69], v71
	v_frexp_exp_i32_f64_e32 v68, v[68:69]
	v_frexp_mant_f32_e32 v69, v71
	s_delay_alu instid0(VALU_DEP_1) | instskip(SKIP_1) | instid1(VALU_DEP_1)
	v_cmp_gt_f32_e64 s11, 0x3f2aaaab, v69
	v_add_f32_e32 v69, -1.0, v71
	v_sub_f32_e32 v81, v69, v71
	v_sub_f32_e32 v69, v70, v69
	s_delay_alu instid0(VALU_DEP_4) | instskip(SKIP_1) | instid1(VALU_DEP_1)
	v_subrev_co_ci_u32_e64 v68, s11, 0, v68, s11
	s_mov_b32 s11, 0x3e9b6dac
	v_sub_nc_u32_e32 v80, 0, v68
	v_cvt_f32_i32_e32 v68, v68
	s_delay_alu instid0(VALU_DEP_2) | instskip(NEXT) | instid1(VALU_DEP_1)
	v_ldexp_f32 v71, v71, v80
	v_dual_add_f32 v82, 1.0, v71 :: v_dual_add_f32 v81, 1.0, v81
	s_delay_alu instid0(VALU_DEP_1) | instskip(NEXT) | instid1(VALU_DEP_2)
	v_add_f32_e32 v69, v69, v81
	v_add_f32_e32 v81, -1.0, v82
	s_delay_alu instid0(VALU_DEP_2) | instskip(NEXT) | instid1(VALU_DEP_2)
	v_ldexp_f32 v69, v69, v80
	v_dual_add_f32 v80, -1.0, v71 :: v_dual_sub_f32 v81, v71, v81
	s_delay_alu instid0(VALU_DEP_1) | instskip(NEXT) | instid1(VALU_DEP_2)
	v_add_f32_e32 v83, 1.0, v80
	v_add_f32_e32 v81, v69, v81
	s_delay_alu instid0(VALU_DEP_2) | instskip(NEXT) | instid1(VALU_DEP_2)
	v_sub_f32_e32 v71, v71, v83
	v_add_f32_e32 v83, v82, v81
	s_delay_alu instid0(VALU_DEP_2) | instskip(NEXT) | instid1(VALU_DEP_2)
	v_add_f32_e32 v69, v69, v71
	v_rcp_f32_e32 v71, v83
	v_sub_f32_e32 v82, v82, v83
	s_delay_alu instid0(VALU_DEP_1) | instskip(NEXT) | instid1(VALU_DEP_1)
	v_dual_add_f32 v84, v80, v69 :: v_dual_add_f32 v81, v81, v82
	v_sub_f32_e32 v80, v80, v84
	s_waitcnt_depctr 0xfff
	v_mul_f32_e32 v85, v84, v71
	v_add_f32_e32 v69, v69, v80
	s_delay_alu instid0(VALU_DEP_2) | instskip(NEXT) | instid1(VALU_DEP_1)
	v_mul_f32_e32 v87, v83, v85
	v_fma_f32 v82, v85, v83, -v87
	s_delay_alu instid0(VALU_DEP_1) | instskip(NEXT) | instid1(VALU_DEP_1)
	v_fmac_f32_e32 v82, v85, v81
	v_add_f32_e32 v96, v87, v82
	s_delay_alu instid0(VALU_DEP_1) | instskip(SKIP_1) | instid1(VALU_DEP_2)
	v_sub_f32_e32 v97, v84, v96
	v_sub_f32_e32 v80, v96, v87
	;; [unrolled: 1-line block ×3, first 2 shown]
	s_delay_alu instid0(VALU_DEP_2) | instskip(NEXT) | instid1(VALU_DEP_2)
	v_sub_f32_e32 v80, v80, v82
	v_sub_f32_e32 v84, v84, v96
	s_delay_alu instid0(VALU_DEP_1) | instskip(NEXT) | instid1(VALU_DEP_1)
	v_add_f32_e32 v69, v69, v84
	v_add_f32_e32 v69, v80, v69
	s_delay_alu instid0(VALU_DEP_1) | instskip(NEXT) | instid1(VALU_DEP_1)
	v_add_f32_e32 v80, v97, v69
	v_mul_f32_e32 v82, v71, v80
	v_sub_f32_e32 v96, v97, v80
	s_delay_alu instid0(VALU_DEP_1) | instskip(NEXT) | instid1(VALU_DEP_1)
	v_dual_mul_f32 v84, v83, v82 :: v_dual_add_f32 v69, v69, v96
	v_fma_f32 v83, v82, v83, -v84
	s_delay_alu instid0(VALU_DEP_1) | instskip(NEXT) | instid1(VALU_DEP_1)
	v_fmac_f32_e32 v83, v82, v81
	v_add_f32_e32 v81, v84, v83
	s_delay_alu instid0(VALU_DEP_1) | instskip(NEXT) | instid1(VALU_DEP_1)
	v_dual_sub_f32 v87, v80, v81 :: v_dual_sub_f32 v84, v81, v84
	v_sub_f32_e32 v80, v80, v87
	s_delay_alu instid0(VALU_DEP_1) | instskip(NEXT) | instid1(VALU_DEP_3)
	v_sub_f32_e32 v80, v80, v81
	v_sub_f32_e32 v81, v84, v83
	s_delay_alu instid0(VALU_DEP_2) | instskip(SKIP_1) | instid1(VALU_DEP_2)
	v_add_f32_e32 v69, v69, v80
	v_add_f32_e32 v80, v85, v82
	;; [unrolled: 1-line block ×3, first 2 shown]
	s_delay_alu instid0(VALU_DEP_2) | instskip(NEXT) | instid1(VALU_DEP_2)
	v_sub_f32_e32 v81, v80, v85
	v_add_f32_e32 v69, v87, v69
	s_delay_alu instid0(VALU_DEP_2) | instskip(NEXT) | instid1(VALU_DEP_2)
	v_sub_f32_e32 v81, v82, v81
	v_mul_f32_e32 v69, v71, v69
	s_delay_alu instid0(VALU_DEP_1) | instskip(NEXT) | instid1(VALU_DEP_1)
	v_add_f32_e32 v69, v81, v69
	v_add_f32_e32 v71, v80, v69
	s_delay_alu instid0(VALU_DEP_1) | instskip(NEXT) | instid1(VALU_DEP_1)
	v_mul_f32_e32 v81, v71, v71
	v_fmaak_f32 v82, s11, v81, 0x3ecc95a3
	v_mul_f32_e32 v83, v71, v81
	v_cmp_eq_f32_e64 s11, 0x7f800000, v70
	s_delay_alu instid0(VALU_DEP_3) | instskip(SKIP_2) | instid1(VALU_DEP_4)
	v_fmaak_f32 v81, v81, v82, 0x3f2aaada
	v_ldexp_f32 v82, v71, 1
	v_sub_f32_e32 v71, v71, v80
	s_or_b32 s11, s11, s13
	s_delay_alu instid0(VALU_DEP_3) | instskip(SKIP_1) | instid1(VALU_DEP_2)
	v_mul_f32_e32 v81, v83, v81
	v_mul_f32_e32 v83, 0x3f317218, v68
	v_dual_sub_f32 v69, v69, v71 :: v_dual_add_f32 v80, v82, v81
	s_delay_alu instid0(VALU_DEP_1) | instskip(NEXT) | instid1(VALU_DEP_2)
	v_ldexp_f32 v69, v69, 1
	v_sub_f32_e32 v71, v80, v82
	s_delay_alu instid0(VALU_DEP_4) | instskip(NEXT) | instid1(VALU_DEP_1)
	v_fma_f32 v82, 0x3f317218, v68, -v83
	v_dual_sub_f32 v71, v81, v71 :: v_dual_fmamk_f32 v68, v68, 0xb102e308, v82
	s_delay_alu instid0(VALU_DEP_1) | instskip(NEXT) | instid1(VALU_DEP_2)
	v_add_f32_e32 v69, v69, v71
	v_add_f32_e32 v71, v83, v68
	s_delay_alu instid0(VALU_DEP_2) | instskip(NEXT) | instid1(VALU_DEP_2)
	v_add_f32_e32 v81, v80, v69
	v_sub_f32_e32 v83, v71, v83
	s_delay_alu instid0(VALU_DEP_2) | instskip(SKIP_1) | instid1(VALU_DEP_3)
	v_add_f32_e32 v82, v71, v81
	v_sub_f32_e32 v80, v81, v80
	v_sub_f32_e32 v68, v68, v83
	s_delay_alu instid0(VALU_DEP_2) | instskip(NEXT) | instid1(VALU_DEP_1)
	v_dual_sub_f32 v84, v82, v71 :: v_dual_sub_f32 v69, v69, v80
	v_sub_f32_e32 v85, v82, v84
	s_delay_alu instid0(VALU_DEP_2) | instskip(NEXT) | instid1(VALU_DEP_2)
	v_dual_sub_f32 v80, v81, v84 :: v_dual_add_f32 v81, v68, v69
	v_sub_f32_e32 v71, v71, v85
	s_delay_alu instid0(VALU_DEP_1) | instskip(NEXT) | instid1(VALU_DEP_1)
	v_dual_add_f32 v71, v80, v71 :: v_dual_sub_f32 v80, v81, v68
	v_add_f32_e32 v71, v81, v71
	s_delay_alu instid0(VALU_DEP_2) | instskip(SKIP_1) | instid1(VALU_DEP_2)
	v_sub_f32_e32 v81, v81, v80
	v_sub_f32_e32 v69, v69, v80
	v_dual_add_f32 v83, v82, v71 :: v_dual_sub_f32 v68, v68, v81
	s_delay_alu instid0(VALU_DEP_1) | instskip(NEXT) | instid1(VALU_DEP_2)
	v_sub_f32_e32 v80, v83, v82
	v_add_f32_e32 v68, v69, v68
	s_delay_alu instid0(VALU_DEP_2) | instskip(NEXT) | instid1(VALU_DEP_1)
	v_sub_f32_e32 v69, v71, v80
	v_add_f32_e32 v68, v68, v69
	s_delay_alu instid0(VALU_DEP_1) | instskip(NEXT) | instid1(VALU_DEP_1)
	v_add_f32_e32 v68, v83, v68
	v_cndmask_b32_e64 v68, v68, v70, s11
	s_delay_alu instid0(VALU_DEP_1)
	v_add_f32_e32 v68, v67, v68
.LBB453_258:
	s_or_b32 exec_lo, exec_lo, s12
	s_delay_alu instid0(VALU_DEP_1) | instskip(SKIP_2) | instid1(VALU_DEP_3)
	v_bfe_u32 v67, v68, 16, 1
	v_cmp_o_f32_e64 s11, v68, v68
	v_lshlrev_b32_e32 v36, 16, v36
	v_add3_u32 v67, v68, v67, 0x7fff
	s_delay_alu instid0(VALU_DEP_1) | instskip(NEXT) | instid1(VALU_DEP_1)
	v_and_b32_e32 v67, 0xffff0000, v67
	v_cndmask_b32_e64 v69, 0x7fc00000, v67, s11
	s_delay_alu instid0(VALU_DEP_1) | instskip(SKIP_1) | instid1(VALU_DEP_2)
	v_dual_max_f32 v67, v36, v36 :: v_dual_max_f32 v68, v69, v69
	v_cmp_u_f32_e64 s11, v69, v69
	v_min_f32_e32 v70, v68, v67
	v_max_f32_e32 v68, v68, v67
	s_delay_alu instid0(VALU_DEP_2) | instskip(NEXT) | instid1(VALU_DEP_2)
	v_cndmask_b32_e64 v70, v70, v69, s11
	v_cndmask_b32_e64 v68, v68, v69, s11
	v_cmp_u_f32_e64 s11, v36, v36
	s_delay_alu instid0(VALU_DEP_1) | instskip(NEXT) | instid1(VALU_DEP_3)
	v_cndmask_b32_e64 v70, v70, v36, s11
	v_cndmask_b32_e64 v68, v68, v36, s11
	s_delay_alu instid0(VALU_DEP_2) | instskip(NEXT) | instid1(VALU_DEP_2)
	v_cmp_class_f32_e64 s13, v70, 0x1f8
	v_cmp_neq_f32_e64 s12, v70, v68
	s_delay_alu instid0(VALU_DEP_1) | instskip(NEXT) | instid1(SALU_CYCLE_1)
	s_or_b32 s12, s12, s13
	s_and_saveexec_b32 s13, s12
	s_cbranch_execz .LBB453_260
; %bb.259:
	v_sub_f32_e32 v69, v70, v68
	s_delay_alu instid0(VALU_DEP_1) | instskip(SKIP_1) | instid1(VALU_DEP_2)
	v_mul_f32_e32 v70, 0x3fb8aa3b, v69
	v_cmp_ngt_f32_e64 s12, 0xc2ce8ed0, v69
	v_fma_f32 v71, 0x3fb8aa3b, v69, -v70
	v_rndne_f32_e32 v80, v70
	s_delay_alu instid0(VALU_DEP_1) | instskip(NEXT) | instid1(VALU_DEP_1)
	v_dual_fmamk_f32 v71, v69, 0x32a5705f, v71 :: v_dual_sub_f32 v70, v70, v80
	v_add_f32_e32 v70, v70, v71
	v_cvt_i32_f32_e32 v71, v80
	s_delay_alu instid0(VALU_DEP_2) | instskip(SKIP_2) | instid1(VALU_DEP_1)
	v_exp_f32_e32 v70, v70
	s_waitcnt_depctr 0xfff
	v_ldexp_f32 v70, v70, v71
	v_cndmask_b32_e64 v70, 0, v70, s12
	v_cmp_nlt_f32_e64 s12, 0x42b17218, v69
	s_delay_alu instid0(VALU_DEP_1) | instskip(NEXT) | instid1(VALU_DEP_1)
	v_cndmask_b32_e64 v71, 0x7f800000, v70, s12
	v_add_f32_e32 v80, 1.0, v71
	v_cmp_gt_f32_e64 s14, 0x33800000, |v71|
	s_delay_alu instid0(VALU_DEP_2) | instskip(NEXT) | instid1(VALU_DEP_1)
	v_cvt_f64_f32_e32 v[69:70], v80
	v_frexp_exp_i32_f64_e32 v69, v[69:70]
	v_frexp_mant_f32_e32 v70, v80
	s_delay_alu instid0(VALU_DEP_1) | instskip(SKIP_1) | instid1(VALU_DEP_1)
	v_cmp_gt_f32_e64 s12, 0x3f2aaaab, v70
	v_add_f32_e32 v70, -1.0, v80
	v_sub_f32_e32 v82, v70, v80
	v_sub_f32_e32 v70, v71, v70
	s_delay_alu instid0(VALU_DEP_4) | instskip(SKIP_1) | instid1(VALU_DEP_1)
	v_subrev_co_ci_u32_e64 v69, s12, 0, v69, s12
	s_mov_b32 s12, 0x3e9b6dac
	v_sub_nc_u32_e32 v81, 0, v69
	v_cvt_f32_i32_e32 v69, v69
	s_delay_alu instid0(VALU_DEP_2) | instskip(NEXT) | instid1(VALU_DEP_1)
	v_ldexp_f32 v80, v80, v81
	v_dual_add_f32 v83, 1.0, v80 :: v_dual_add_f32 v82, 1.0, v82
	s_delay_alu instid0(VALU_DEP_1) | instskip(NEXT) | instid1(VALU_DEP_1)
	v_add_f32_e32 v70, v70, v82
	v_ldexp_f32 v70, v70, v81
	s_delay_alu instid0(VALU_DEP_3) | instskip(NEXT) | instid1(VALU_DEP_1)
	v_dual_add_f32 v81, -1.0, v80 :: v_dual_add_f32 v82, -1.0, v83
	v_add_f32_e32 v84, 1.0, v81
	s_delay_alu instid0(VALU_DEP_2) | instskip(NEXT) | instid1(VALU_DEP_2)
	v_sub_f32_e32 v82, v80, v82
	v_sub_f32_e32 v80, v80, v84
	s_delay_alu instid0(VALU_DEP_2) | instskip(NEXT) | instid1(VALU_DEP_1)
	v_add_f32_e32 v82, v70, v82
	v_add_f32_e32 v84, v83, v82
	s_delay_alu instid0(VALU_DEP_3) | instskip(NEXT) | instid1(VALU_DEP_2)
	v_add_f32_e32 v70, v70, v80
	v_rcp_f32_e32 v80, v84
	s_delay_alu instid0(VALU_DEP_1) | instskip(SKIP_1) | instid1(VALU_DEP_1)
	v_add_f32_e32 v85, v81, v70
	v_sub_f32_e32 v83, v83, v84
	v_dual_sub_f32 v81, v81, v85 :: v_dual_add_f32 v82, v82, v83
	s_waitcnt_depctr 0xfff
	v_dual_mul_f32 v87, v85, v80 :: v_dual_add_f32 v70, v70, v81
	s_delay_alu instid0(VALU_DEP_1) | instskip(NEXT) | instid1(VALU_DEP_1)
	v_mul_f32_e32 v96, v84, v87
	v_fma_f32 v83, v87, v84, -v96
	s_delay_alu instid0(VALU_DEP_1) | instskip(NEXT) | instid1(VALU_DEP_1)
	v_fmac_f32_e32 v83, v87, v82
	v_add_f32_e32 v97, v96, v83
	s_delay_alu instid0(VALU_DEP_1) | instskip(SKIP_1) | instid1(VALU_DEP_2)
	v_sub_f32_e32 v98, v85, v97
	v_sub_f32_e32 v81, v97, v96
	;; [unrolled: 1-line block ×3, first 2 shown]
	s_delay_alu instid0(VALU_DEP_2) | instskip(NEXT) | instid1(VALU_DEP_2)
	v_sub_f32_e32 v81, v81, v83
	v_sub_f32_e32 v85, v85, v97
	s_delay_alu instid0(VALU_DEP_1) | instskip(NEXT) | instid1(VALU_DEP_1)
	v_add_f32_e32 v70, v70, v85
	v_add_f32_e32 v70, v81, v70
	s_delay_alu instid0(VALU_DEP_1) | instskip(NEXT) | instid1(VALU_DEP_1)
	v_add_f32_e32 v81, v98, v70
	v_sub_f32_e32 v97, v98, v81
	v_mul_f32_e32 v83, v80, v81
	s_delay_alu instid0(VALU_DEP_1) | instskip(NEXT) | instid1(VALU_DEP_1)
	v_dual_add_f32 v70, v70, v97 :: v_dual_mul_f32 v85, v84, v83
	v_fma_f32 v84, v83, v84, -v85
	s_delay_alu instid0(VALU_DEP_1) | instskip(NEXT) | instid1(VALU_DEP_1)
	v_fmac_f32_e32 v84, v83, v82
	v_add_f32_e32 v82, v85, v84
	s_delay_alu instid0(VALU_DEP_1) | instskip(NEXT) | instid1(VALU_DEP_1)
	v_dual_sub_f32 v96, v81, v82 :: v_dual_sub_f32 v85, v82, v85
	v_sub_f32_e32 v81, v81, v96
	s_delay_alu instid0(VALU_DEP_1) | instskip(NEXT) | instid1(VALU_DEP_3)
	v_sub_f32_e32 v81, v81, v82
	v_sub_f32_e32 v82, v85, v84
	s_delay_alu instid0(VALU_DEP_2) | instskip(NEXT) | instid1(VALU_DEP_1)
	v_dual_add_f32 v70, v70, v81 :: v_dual_add_f32 v81, v87, v83
	v_add_f32_e32 v70, v82, v70
	s_delay_alu instid0(VALU_DEP_2) | instskip(NEXT) | instid1(VALU_DEP_2)
	v_sub_f32_e32 v82, v81, v87
	v_add_f32_e32 v70, v96, v70
	s_delay_alu instid0(VALU_DEP_2) | instskip(NEXT) | instid1(VALU_DEP_2)
	v_sub_f32_e32 v82, v83, v82
	v_mul_f32_e32 v70, v80, v70
	s_delay_alu instid0(VALU_DEP_1) | instskip(NEXT) | instid1(VALU_DEP_1)
	v_add_f32_e32 v70, v82, v70
	v_add_f32_e32 v80, v81, v70
	s_delay_alu instid0(VALU_DEP_1) | instskip(NEXT) | instid1(VALU_DEP_1)
	v_mul_f32_e32 v82, v80, v80
	v_fmaak_f32 v83, s12, v82, 0x3ecc95a3
	v_mul_f32_e32 v84, v80, v82
	v_cmp_eq_f32_e64 s12, 0x7f800000, v71
	s_delay_alu instid0(VALU_DEP_3) | instskip(SKIP_2) | instid1(VALU_DEP_4)
	v_fmaak_f32 v82, v82, v83, 0x3f2aaada
	v_ldexp_f32 v83, v80, 1
	v_sub_f32_e32 v80, v80, v81
	s_or_b32 s12, s12, s14
	s_delay_alu instid0(VALU_DEP_3) | instskip(NEXT) | instid1(VALU_DEP_1)
	v_mul_f32_e32 v82, v84, v82
	v_dual_sub_f32 v70, v70, v80 :: v_dual_add_f32 v81, v83, v82
	s_delay_alu instid0(VALU_DEP_1) | instskip(NEXT) | instid1(VALU_DEP_2)
	v_ldexp_f32 v70, v70, 1
	v_sub_f32_e32 v80, v81, v83
	s_delay_alu instid0(VALU_DEP_1) | instskip(NEXT) | instid1(VALU_DEP_1)
	v_sub_f32_e32 v80, v82, v80
	v_add_f32_e32 v70, v70, v80
	s_delay_alu instid0(VALU_DEP_1) | instskip(SKIP_1) | instid1(VALU_DEP_2)
	v_add_f32_e32 v82, v81, v70
	v_mul_f32_e32 v84, 0x3f317218, v69
	v_sub_f32_e32 v81, v82, v81
	s_delay_alu instid0(VALU_DEP_2) | instskip(NEXT) | instid1(VALU_DEP_1)
	v_fma_f32 v83, 0x3f317218, v69, -v84
	v_dual_sub_f32 v70, v70, v81 :: v_dual_fmamk_f32 v69, v69, 0xb102e308, v83
	s_delay_alu instid0(VALU_DEP_1) | instskip(NEXT) | instid1(VALU_DEP_1)
	v_add_f32_e32 v80, v84, v69
	v_add_f32_e32 v83, v80, v82
	v_sub_f32_e32 v84, v80, v84
	s_delay_alu instid0(VALU_DEP_2) | instskip(NEXT) | instid1(VALU_DEP_2)
	v_sub_f32_e32 v85, v83, v80
	v_sub_f32_e32 v69, v69, v84
	s_delay_alu instid0(VALU_DEP_2) | instskip(NEXT) | instid1(VALU_DEP_2)
	v_sub_f32_e32 v87, v83, v85
	v_dual_sub_f32 v81, v82, v85 :: v_dual_add_f32 v82, v69, v70
	s_delay_alu instid0(VALU_DEP_2) | instskip(NEXT) | instid1(VALU_DEP_1)
	v_sub_f32_e32 v80, v80, v87
	v_dual_add_f32 v80, v81, v80 :: v_dual_sub_f32 v81, v82, v69
	s_delay_alu instid0(VALU_DEP_1) | instskip(NEXT) | instid1(VALU_DEP_2)
	v_add_f32_e32 v80, v82, v80
	v_sub_f32_e32 v82, v82, v81
	v_sub_f32_e32 v70, v70, v81
	s_delay_alu instid0(VALU_DEP_2) | instskip(NEXT) | instid1(VALU_DEP_1)
	v_dual_add_f32 v84, v83, v80 :: v_dual_sub_f32 v69, v69, v82
	v_sub_f32_e32 v81, v84, v83
	s_delay_alu instid0(VALU_DEP_2) | instskip(NEXT) | instid1(VALU_DEP_2)
	v_add_f32_e32 v69, v70, v69
	v_sub_f32_e32 v70, v80, v81
	s_delay_alu instid0(VALU_DEP_1) | instskip(NEXT) | instid1(VALU_DEP_1)
	v_add_f32_e32 v69, v69, v70
	v_add_f32_e32 v69, v84, v69
	s_delay_alu instid0(VALU_DEP_1) | instskip(NEXT) | instid1(VALU_DEP_1)
	v_cndmask_b32_e64 v69, v69, v71, s12
	v_add_f32_e32 v69, v68, v69
.LBB453_260:
	s_or_b32 exec_lo, exec_lo, s13
	s_delay_alu instid0(VALU_DEP_1) | instskip(SKIP_2) | instid1(VALU_DEP_3)
	v_bfe_u32 v68, v69, 16, 1
	v_cmp_o_f32_e64 s12, v69, v69
	v_lshlrev_b32_e32 v35, 16, v35
	v_add3_u32 v68, v69, v68, 0x7fff
	s_delay_alu instid0(VALU_DEP_1) | instskip(NEXT) | instid1(VALU_DEP_1)
	v_and_b32_e32 v68, 0xffff0000, v68
	v_cndmask_b32_e64 v70, 0x7fc00000, v68, s12
	s_delay_alu instid0(VALU_DEP_1) | instskip(SKIP_1) | instid1(VALU_DEP_2)
	v_dual_max_f32 v68, v35, v35 :: v_dual_max_f32 v69, v70, v70
	v_cmp_u_f32_e64 s12, v70, v70
	v_min_f32_e32 v71, v69, v68
	v_max_f32_e32 v69, v69, v68
	s_delay_alu instid0(VALU_DEP_2) | instskip(NEXT) | instid1(VALU_DEP_2)
	v_cndmask_b32_e64 v71, v71, v70, s12
	v_cndmask_b32_e64 v69, v69, v70, s12
	v_cmp_u_f32_e64 s12, v35, v35
	s_delay_alu instid0(VALU_DEP_1) | instskip(NEXT) | instid1(VALU_DEP_3)
	v_cndmask_b32_e64 v71, v71, v35, s12
	v_cndmask_b32_e64 v69, v69, v35, s12
	s_delay_alu instid0(VALU_DEP_2) | instskip(NEXT) | instid1(VALU_DEP_2)
	v_cmp_class_f32_e64 s14, v71, 0x1f8
	v_cmp_neq_f32_e64 s13, v71, v69
	s_delay_alu instid0(VALU_DEP_1) | instskip(NEXT) | instid1(SALU_CYCLE_1)
	s_or_b32 s13, s13, s14
	s_and_saveexec_b32 s14, s13
	s_cbranch_execz .LBB453_262
; %bb.261:
	v_sub_f32_e32 v70, v71, v69
	s_delay_alu instid0(VALU_DEP_1) | instskip(SKIP_1) | instid1(VALU_DEP_2)
	v_mul_f32_e32 v71, 0x3fb8aa3b, v70
	v_cmp_ngt_f32_e64 s13, 0xc2ce8ed0, v70
	v_fma_f32 v80, 0x3fb8aa3b, v70, -v71
	v_rndne_f32_e32 v81, v71
	s_delay_alu instid0(VALU_DEP_1) | instskip(NEXT) | instid1(VALU_DEP_1)
	v_dual_fmamk_f32 v80, v70, 0x32a5705f, v80 :: v_dual_sub_f32 v71, v71, v81
	v_add_f32_e32 v71, v71, v80
	v_cvt_i32_f32_e32 v80, v81
	s_delay_alu instid0(VALU_DEP_2) | instskip(SKIP_2) | instid1(VALU_DEP_1)
	v_exp_f32_e32 v71, v71
	s_waitcnt_depctr 0xfff
	v_ldexp_f32 v71, v71, v80
	v_cndmask_b32_e64 v71, 0, v71, s13
	v_cmp_nlt_f32_e64 s13, 0x42b17218, v70
	s_delay_alu instid0(VALU_DEP_1) | instskip(NEXT) | instid1(VALU_DEP_1)
	v_cndmask_b32_e64 v80, 0x7f800000, v71, s13
	v_add_f32_e32 v81, 1.0, v80
	v_cmp_gt_f32_e64 s15, 0x33800000, |v80|
	s_delay_alu instid0(VALU_DEP_2) | instskip(NEXT) | instid1(VALU_DEP_1)
	v_cvt_f64_f32_e32 v[70:71], v81
	v_frexp_exp_i32_f64_e32 v70, v[70:71]
	v_frexp_mant_f32_e32 v71, v81
	s_delay_alu instid0(VALU_DEP_1) | instskip(SKIP_1) | instid1(VALU_DEP_1)
	v_cmp_gt_f32_e64 s13, 0x3f2aaaab, v71
	v_add_f32_e32 v71, -1.0, v81
	v_sub_f32_e32 v83, v71, v81
	v_sub_f32_e32 v71, v80, v71
	s_delay_alu instid0(VALU_DEP_4) | instskip(SKIP_1) | instid1(VALU_DEP_1)
	v_subrev_co_ci_u32_e64 v70, s13, 0, v70, s13
	s_mov_b32 s13, 0x3e9b6dac
	v_sub_nc_u32_e32 v82, 0, v70
	v_cvt_f32_i32_e32 v70, v70
	s_delay_alu instid0(VALU_DEP_2) | instskip(NEXT) | instid1(VALU_DEP_1)
	v_ldexp_f32 v81, v81, v82
	v_dual_add_f32 v84, 1.0, v81 :: v_dual_add_f32 v83, 1.0, v83
	s_delay_alu instid0(VALU_DEP_1) | instskip(NEXT) | instid1(VALU_DEP_1)
	v_add_f32_e32 v71, v71, v83
	v_ldexp_f32 v71, v71, v82
	s_delay_alu instid0(VALU_DEP_3) | instskip(NEXT) | instid1(VALU_DEP_1)
	v_dual_add_f32 v82, -1.0, v81 :: v_dual_add_f32 v83, -1.0, v84
	v_add_f32_e32 v85, 1.0, v82
	s_delay_alu instid0(VALU_DEP_2) | instskip(NEXT) | instid1(VALU_DEP_2)
	v_sub_f32_e32 v83, v81, v83
	v_sub_f32_e32 v81, v81, v85
	s_delay_alu instid0(VALU_DEP_2) | instskip(NEXT) | instid1(VALU_DEP_2)
	v_add_f32_e32 v83, v71, v83
	v_add_f32_e32 v71, v71, v81
	s_delay_alu instid0(VALU_DEP_2) | instskip(NEXT) | instid1(VALU_DEP_2)
	v_add_f32_e32 v85, v84, v83
	v_add_f32_e32 v87, v82, v71
	s_delay_alu instid0(VALU_DEP_2) | instskip(SKIP_1) | instid1(VALU_DEP_1)
	v_rcp_f32_e32 v81, v85
	v_sub_f32_e32 v84, v84, v85
	v_dual_sub_f32 v82, v82, v87 :: v_dual_add_f32 v83, v83, v84
	s_delay_alu instid0(VALU_DEP_1) | instskip(SKIP_2) | instid1(VALU_DEP_1)
	v_add_f32_e32 v71, v71, v82
	s_waitcnt_depctr 0xfff
	v_mul_f32_e32 v96, v87, v81
	v_mul_f32_e32 v97, v85, v96
	s_delay_alu instid0(VALU_DEP_1) | instskip(NEXT) | instid1(VALU_DEP_1)
	v_fma_f32 v84, v96, v85, -v97
	v_fmac_f32_e32 v84, v96, v83
	s_delay_alu instid0(VALU_DEP_1) | instskip(NEXT) | instid1(VALU_DEP_1)
	v_add_f32_e32 v98, v97, v84
	v_dual_sub_f32 v99, v87, v98 :: v_dual_sub_f32 v82, v98, v97
	s_delay_alu instid0(VALU_DEP_1) | instskip(NEXT) | instid1(VALU_DEP_1)
	v_dual_sub_f32 v87, v87, v99 :: v_dual_sub_f32 v82, v82, v84
	v_sub_f32_e32 v87, v87, v98
	s_delay_alu instid0(VALU_DEP_1) | instskip(NEXT) | instid1(VALU_DEP_1)
	v_add_f32_e32 v71, v71, v87
	v_add_f32_e32 v71, v82, v71
	s_delay_alu instid0(VALU_DEP_1) | instskip(NEXT) | instid1(VALU_DEP_1)
	v_add_f32_e32 v82, v99, v71
	v_mul_f32_e32 v84, v81, v82
	s_delay_alu instid0(VALU_DEP_1) | instskip(NEXT) | instid1(VALU_DEP_1)
	v_dual_sub_f32 v98, v99, v82 :: v_dual_mul_f32 v87, v85, v84
	v_add_f32_e32 v71, v71, v98
	s_delay_alu instid0(VALU_DEP_2) | instskip(NEXT) | instid1(VALU_DEP_1)
	v_fma_f32 v85, v84, v85, -v87
	v_fmac_f32_e32 v85, v84, v83
	s_delay_alu instid0(VALU_DEP_1) | instskip(NEXT) | instid1(VALU_DEP_1)
	v_add_f32_e32 v83, v87, v85
	v_sub_f32_e32 v97, v82, v83
	s_delay_alu instid0(VALU_DEP_1) | instskip(NEXT) | instid1(VALU_DEP_1)
	v_dual_sub_f32 v87, v83, v87 :: v_dual_sub_f32 v82, v82, v97
	v_dual_sub_f32 v82, v82, v83 :: v_dual_sub_f32 v83, v87, v85
	s_delay_alu instid0(VALU_DEP_1) | instskip(NEXT) | instid1(VALU_DEP_1)
	v_dual_add_f32 v71, v71, v82 :: v_dual_add_f32 v82, v96, v84
	v_add_f32_e32 v71, v83, v71
	s_delay_alu instid0(VALU_DEP_2) | instskip(NEXT) | instid1(VALU_DEP_2)
	v_sub_f32_e32 v83, v82, v96
	v_add_f32_e32 v71, v97, v71
	s_delay_alu instid0(VALU_DEP_2) | instskip(NEXT) | instid1(VALU_DEP_2)
	v_sub_f32_e32 v83, v84, v83
	v_mul_f32_e32 v71, v81, v71
	s_delay_alu instid0(VALU_DEP_1) | instskip(NEXT) | instid1(VALU_DEP_1)
	v_add_f32_e32 v71, v83, v71
	v_add_f32_e32 v81, v82, v71
	s_delay_alu instid0(VALU_DEP_1) | instskip(NEXT) | instid1(VALU_DEP_1)
	v_mul_f32_e32 v83, v81, v81
	v_fmaak_f32 v84, s13, v83, 0x3ecc95a3
	v_mul_f32_e32 v85, v81, v83
	v_cmp_eq_f32_e64 s13, 0x7f800000, v80
	s_delay_alu instid0(VALU_DEP_3) | instskip(SKIP_2) | instid1(VALU_DEP_4)
	v_fmaak_f32 v83, v83, v84, 0x3f2aaada
	v_ldexp_f32 v84, v81, 1
	v_sub_f32_e32 v81, v81, v82
	s_or_b32 s13, s13, s15
	s_delay_alu instid0(VALU_DEP_3) | instskip(SKIP_1) | instid1(VALU_DEP_2)
	v_mul_f32_e32 v83, v85, v83
	v_mul_f32_e32 v85, 0x3f317218, v70
	v_dual_sub_f32 v71, v71, v81 :: v_dual_add_f32 v82, v84, v83
	s_delay_alu instid0(VALU_DEP_1) | instskip(NEXT) | instid1(VALU_DEP_2)
	v_ldexp_f32 v71, v71, 1
	v_sub_f32_e32 v81, v82, v84
	s_delay_alu instid0(VALU_DEP_4) | instskip(NEXT) | instid1(VALU_DEP_1)
	v_fma_f32 v84, 0x3f317218, v70, -v85
	v_dual_sub_f32 v81, v83, v81 :: v_dual_fmamk_f32 v70, v70, 0xb102e308, v84
	s_delay_alu instid0(VALU_DEP_1) | instskip(NEXT) | instid1(VALU_DEP_2)
	v_add_f32_e32 v71, v71, v81
	v_add_f32_e32 v81, v85, v70
	s_delay_alu instid0(VALU_DEP_2) | instskip(NEXT) | instid1(VALU_DEP_2)
	v_add_f32_e32 v83, v82, v71
	v_sub_f32_e32 v85, v81, v85
	s_delay_alu instid0(VALU_DEP_2) | instskip(SKIP_1) | instid1(VALU_DEP_3)
	v_add_f32_e32 v84, v81, v83
	v_sub_f32_e32 v82, v83, v82
	v_sub_f32_e32 v70, v70, v85
	s_delay_alu instid0(VALU_DEP_3) | instskip(NEXT) | instid1(VALU_DEP_3)
	v_sub_f32_e32 v87, v84, v81
	v_sub_f32_e32 v71, v71, v82
	s_delay_alu instid0(VALU_DEP_2) | instskip(SKIP_1) | instid1(VALU_DEP_3)
	v_sub_f32_e32 v82, v83, v87
	v_sub_f32_e32 v96, v84, v87
	v_add_f32_e32 v83, v70, v71
	s_delay_alu instid0(VALU_DEP_2) | instskip(NEXT) | instid1(VALU_DEP_1)
	v_sub_f32_e32 v81, v81, v96
	v_dual_add_f32 v81, v82, v81 :: v_dual_sub_f32 v82, v83, v70
	s_delay_alu instid0(VALU_DEP_1) | instskip(NEXT) | instid1(VALU_DEP_2)
	v_add_f32_e32 v81, v83, v81
	v_sub_f32_e32 v83, v83, v82
	v_sub_f32_e32 v71, v71, v82
	s_delay_alu instid0(VALU_DEP_2) | instskip(NEXT) | instid1(VALU_DEP_1)
	v_dual_add_f32 v85, v84, v81 :: v_dual_sub_f32 v70, v70, v83
	v_sub_f32_e32 v82, v85, v84
	s_delay_alu instid0(VALU_DEP_2) | instskip(NEXT) | instid1(VALU_DEP_2)
	v_add_f32_e32 v70, v71, v70
	v_sub_f32_e32 v71, v81, v82
	s_delay_alu instid0(VALU_DEP_1) | instskip(NEXT) | instid1(VALU_DEP_1)
	v_add_f32_e32 v70, v70, v71
	v_add_f32_e32 v70, v85, v70
	s_delay_alu instid0(VALU_DEP_1) | instskip(NEXT) | instid1(VALU_DEP_1)
	v_cndmask_b32_e64 v70, v70, v80, s13
	v_add_f32_e32 v70, v69, v70
.LBB453_262:
	s_or_b32 exec_lo, exec_lo, s14
	s_delay_alu instid0(VALU_DEP_1) | instskip(SKIP_2) | instid1(VALU_DEP_3)
	v_bfe_u32 v69, v70, 16, 1
	v_cmp_o_f32_e64 s13, v70, v70
	v_lshlrev_b32_e32 v34, 16, v34
	v_add3_u32 v69, v70, v69, 0x7fff
	s_delay_alu instid0(VALU_DEP_1) | instskip(NEXT) | instid1(VALU_DEP_1)
	v_and_b32_e32 v69, 0xffff0000, v69
	v_cndmask_b32_e64 v71, 0x7fc00000, v69, s13
	s_delay_alu instid0(VALU_DEP_1) | instskip(SKIP_1) | instid1(VALU_DEP_2)
	v_dual_max_f32 v69, v34, v34 :: v_dual_max_f32 v70, v71, v71
	v_cmp_u_f32_e64 s13, v71, v71
	v_min_f32_e32 v80, v70, v69
	v_max_f32_e32 v70, v70, v69
	s_delay_alu instid0(VALU_DEP_2) | instskip(NEXT) | instid1(VALU_DEP_2)
	v_cndmask_b32_e64 v80, v80, v71, s13
	v_cndmask_b32_e64 v70, v70, v71, s13
	v_cmp_u_f32_e64 s13, v34, v34
	s_delay_alu instid0(VALU_DEP_1) | instskip(NEXT) | instid1(VALU_DEP_3)
	v_cndmask_b32_e64 v80, v80, v34, s13
	v_cndmask_b32_e64 v70, v70, v34, s13
	s_delay_alu instid0(VALU_DEP_2) | instskip(NEXT) | instid1(VALU_DEP_2)
	v_cmp_class_f32_e64 s15, v80, 0x1f8
	v_cmp_neq_f32_e64 s14, v80, v70
	s_delay_alu instid0(VALU_DEP_1) | instskip(NEXT) | instid1(SALU_CYCLE_1)
	s_or_b32 s14, s14, s15
	s_and_saveexec_b32 s15, s14
	s_cbranch_execz .LBB453_264
; %bb.263:
	v_sub_f32_e32 v71, v80, v70
	s_delay_alu instid0(VALU_DEP_1) | instskip(SKIP_1) | instid1(VALU_DEP_2)
	v_mul_f32_e32 v80, 0x3fb8aa3b, v71
	v_cmp_ngt_f32_e64 s14, 0xc2ce8ed0, v71
	v_fma_f32 v81, 0x3fb8aa3b, v71, -v80
	v_rndne_f32_e32 v82, v80
	s_delay_alu instid0(VALU_DEP_1) | instskip(NEXT) | instid1(VALU_DEP_1)
	v_dual_fmamk_f32 v81, v71, 0x32a5705f, v81 :: v_dual_sub_f32 v80, v80, v82
	v_add_f32_e32 v80, v80, v81
	v_cvt_i32_f32_e32 v81, v82
	s_delay_alu instid0(VALU_DEP_2) | instskip(SKIP_2) | instid1(VALU_DEP_1)
	v_exp_f32_e32 v80, v80
	s_waitcnt_depctr 0xfff
	v_ldexp_f32 v80, v80, v81
	v_cndmask_b32_e64 v80, 0, v80, s14
	v_cmp_nlt_f32_e64 s14, 0x42b17218, v71
	s_delay_alu instid0(VALU_DEP_1) | instskip(NEXT) | instid1(VALU_DEP_1)
	v_cndmask_b32_e64 v71, 0x7f800000, v80, s14
	v_add_f32_e32 v82, 1.0, v71
	v_cmp_gt_f32_e64 s16, 0x33800000, |v71|
	s_delay_alu instid0(VALU_DEP_2) | instskip(NEXT) | instid1(VALU_DEP_1)
	v_cvt_f64_f32_e32 v[80:81], v82
	v_frexp_exp_i32_f64_e32 v80, v[80:81]
	v_frexp_mant_f32_e32 v81, v82
	s_delay_alu instid0(VALU_DEP_1) | instskip(SKIP_1) | instid1(VALU_DEP_1)
	v_cmp_gt_f32_e64 s14, 0x3f2aaaab, v81
	v_add_f32_e32 v81, -1.0, v82
	v_dual_sub_f32 v84, v81, v82 :: v_dual_sub_f32 v81, v71, v81
	s_delay_alu instid0(VALU_DEP_1) | instskip(NEXT) | instid1(VALU_DEP_4)
	v_add_f32_e32 v84, 1.0, v84
	v_subrev_co_ci_u32_e64 v80, s14, 0, v80, s14
	s_mov_b32 s14, 0x3e9b6dac
	s_delay_alu instid0(VALU_DEP_1) | instskip(SKIP_1) | instid1(VALU_DEP_2)
	v_sub_nc_u32_e32 v83, 0, v80
	v_cvt_f32_i32_e32 v80, v80
	v_ldexp_f32 v82, v82, v83
	s_delay_alu instid0(VALU_DEP_1) | instskip(NEXT) | instid1(VALU_DEP_1)
	v_add_f32_e32 v85, 1.0, v82
	v_dual_add_f32 v81, v81, v84 :: v_dual_add_f32 v84, -1.0, v85
	s_delay_alu instid0(VALU_DEP_1) | instskip(NEXT) | instid1(VALU_DEP_2)
	v_ldexp_f32 v81, v81, v83
	v_dual_add_f32 v83, -1.0, v82 :: v_dual_sub_f32 v84, v82, v84
	s_delay_alu instid0(VALU_DEP_1) | instskip(NEXT) | instid1(VALU_DEP_1)
	v_dual_add_f32 v87, 1.0, v83 :: v_dual_add_f32 v84, v81, v84
	v_dual_sub_f32 v82, v82, v87 :: v_dual_add_f32 v87, v85, v84
	s_delay_alu instid0(VALU_DEP_1) | instskip(NEXT) | instid1(VALU_DEP_2)
	v_add_f32_e32 v81, v81, v82
	v_rcp_f32_e32 v82, v87
	s_delay_alu instid0(VALU_DEP_1) | instskip(NEXT) | instid1(VALU_DEP_1)
	v_dual_sub_f32 v85, v85, v87 :: v_dual_add_f32 v96, v83, v81
	v_sub_f32_e32 v83, v83, v96
	s_waitcnt_depctr 0xfff
	v_mul_f32_e32 v97, v96, v82
	v_add_f32_e32 v84, v84, v85
	s_delay_alu instid0(VALU_DEP_2) | instskip(NEXT) | instid1(VALU_DEP_1)
	v_dual_mul_f32 v98, v87, v97 :: v_dual_add_f32 v81, v81, v83
	v_fma_f32 v85, v97, v87, -v98
	s_delay_alu instid0(VALU_DEP_1) | instskip(NEXT) | instid1(VALU_DEP_1)
	v_fmac_f32_e32 v85, v97, v84
	v_add_f32_e32 v99, v98, v85
	s_delay_alu instid0(VALU_DEP_1) | instskip(NEXT) | instid1(VALU_DEP_1)
	v_sub_f32_e32 v100, v96, v99
	v_dual_sub_f32 v96, v96, v100 :: v_dual_sub_f32 v83, v99, v98
	s_delay_alu instid0(VALU_DEP_1) | instskip(NEXT) | instid1(VALU_DEP_1)
	v_dual_sub_f32 v96, v96, v99 :: v_dual_sub_f32 v83, v83, v85
	v_add_f32_e32 v81, v81, v96
	s_delay_alu instid0(VALU_DEP_1) | instskip(NEXT) | instid1(VALU_DEP_1)
	v_add_f32_e32 v81, v83, v81
	v_add_f32_e32 v83, v100, v81
	s_delay_alu instid0(VALU_DEP_1) | instskip(NEXT) | instid1(VALU_DEP_1)
	v_mul_f32_e32 v85, v82, v83
	v_dual_sub_f32 v99, v100, v83 :: v_dual_mul_f32 v96, v87, v85
	s_delay_alu instid0(VALU_DEP_1) | instskip(NEXT) | instid1(VALU_DEP_1)
	v_fma_f32 v87, v85, v87, -v96
	v_fmac_f32_e32 v87, v85, v84
	s_delay_alu instid0(VALU_DEP_1) | instskip(NEXT) | instid1(VALU_DEP_1)
	v_add_f32_e32 v84, v96, v87
	v_sub_f32_e32 v98, v83, v84
	v_dual_sub_f32 v96, v84, v96 :: v_dual_add_f32 v81, v81, v99
	s_delay_alu instid0(VALU_DEP_2) | instskip(NEXT) | instid1(VALU_DEP_1)
	v_sub_f32_e32 v83, v83, v98
	v_dual_sub_f32 v83, v83, v84 :: v_dual_sub_f32 v84, v96, v87
	s_delay_alu instid0(VALU_DEP_1) | instskip(SKIP_1) | instid1(VALU_DEP_2)
	v_add_f32_e32 v81, v81, v83
	v_add_f32_e32 v83, v97, v85
	;; [unrolled: 1-line block ×3, first 2 shown]
	s_delay_alu instid0(VALU_DEP_2) | instskip(NEXT) | instid1(VALU_DEP_1)
	v_sub_f32_e32 v84, v83, v97
	v_dual_add_f32 v81, v98, v81 :: v_dual_sub_f32 v84, v85, v84
	s_delay_alu instid0(VALU_DEP_1) | instskip(NEXT) | instid1(VALU_DEP_1)
	v_mul_f32_e32 v81, v82, v81
	v_add_f32_e32 v81, v84, v81
	s_delay_alu instid0(VALU_DEP_1) | instskip(NEXT) | instid1(VALU_DEP_1)
	v_add_f32_e32 v82, v83, v81
	v_mul_f32_e32 v84, v82, v82
	s_delay_alu instid0(VALU_DEP_1) | instskip(SKIP_2) | instid1(VALU_DEP_3)
	v_fmaak_f32 v85, s14, v84, 0x3ecc95a3
	v_mul_f32_e32 v87, v82, v84
	v_cmp_eq_f32_e64 s14, 0x7f800000, v71
	v_fmaak_f32 v84, v84, v85, 0x3f2aaada
	v_ldexp_f32 v85, v82, 1
	v_sub_f32_e32 v82, v82, v83
	s_delay_alu instid0(VALU_DEP_4) | instskip(NEXT) | instid1(VALU_DEP_3)
	s_or_b32 s14, s14, s16
	v_mul_f32_e32 v84, v87, v84
	v_mul_f32_e32 v87, 0x3f317218, v80
	s_delay_alu instid0(VALU_DEP_3) | instskip(NEXT) | instid1(VALU_DEP_3)
	v_sub_f32_e32 v81, v81, v82
	v_add_f32_e32 v83, v85, v84
	s_delay_alu instid0(VALU_DEP_2) | instskip(NEXT) | instid1(VALU_DEP_2)
	v_ldexp_f32 v81, v81, 1
	v_sub_f32_e32 v82, v83, v85
	v_fma_f32 v85, 0x3f317218, v80, -v87
	s_delay_alu instid0(VALU_DEP_2) | instskip(NEXT) | instid1(VALU_DEP_1)
	v_sub_f32_e32 v82, v84, v82
	v_dual_fmamk_f32 v80, v80, 0xb102e308, v85 :: v_dual_add_f32 v81, v81, v82
	s_delay_alu instid0(VALU_DEP_1) | instskip(NEXT) | instid1(VALU_DEP_1)
	v_add_f32_e32 v82, v87, v80
	v_sub_f32_e32 v87, v82, v87
	s_delay_alu instid0(VALU_DEP_1) | instskip(NEXT) | instid1(VALU_DEP_4)
	v_sub_f32_e32 v80, v80, v87
	v_add_f32_e32 v84, v83, v81
	s_delay_alu instid0(VALU_DEP_1) | instskip(NEXT) | instid1(VALU_DEP_1)
	v_sub_f32_e32 v83, v84, v83
	v_sub_f32_e32 v81, v81, v83
	v_add_f32_e32 v85, v82, v84
	s_delay_alu instid0(VALU_DEP_1) | instskip(NEXT) | instid1(VALU_DEP_1)
	v_sub_f32_e32 v96, v85, v82
	v_sub_f32_e32 v83, v84, v96
	s_delay_alu instid0(VALU_DEP_4) | instskip(NEXT) | instid1(VALU_DEP_1)
	v_dual_add_f32 v84, v80, v81 :: v_dual_sub_f32 v97, v85, v96
	v_sub_f32_e32 v82, v82, v97
	s_delay_alu instid0(VALU_DEP_1) | instskip(NEXT) | instid1(VALU_DEP_1)
	v_dual_add_f32 v82, v83, v82 :: v_dual_sub_f32 v83, v84, v80
	v_add_f32_e32 v82, v84, v82
	s_delay_alu instid0(VALU_DEP_2) | instskip(SKIP_1) | instid1(VALU_DEP_2)
	v_sub_f32_e32 v84, v84, v83
	v_sub_f32_e32 v81, v81, v83
	v_dual_add_f32 v87, v85, v82 :: v_dual_sub_f32 v80, v80, v84
	s_delay_alu instid0(VALU_DEP_1) | instskip(NEXT) | instid1(VALU_DEP_1)
	v_dual_sub_f32 v83, v87, v85 :: v_dual_add_f32 v80, v81, v80
	v_sub_f32_e32 v81, v82, v83
	s_delay_alu instid0(VALU_DEP_1) | instskip(NEXT) | instid1(VALU_DEP_1)
	v_add_f32_e32 v80, v80, v81
	v_add_f32_e32 v80, v87, v80
	s_delay_alu instid0(VALU_DEP_1) | instskip(NEXT) | instid1(VALU_DEP_1)
	v_cndmask_b32_e64 v71, v80, v71, s14
	v_add_f32_e32 v71, v70, v71
.LBB453_264:
	s_or_b32 exec_lo, exec_lo, s15
	s_delay_alu instid0(VALU_DEP_1) | instskip(SKIP_2) | instid1(VALU_DEP_3)
	v_bfe_u32 v70, v71, 16, 1
	v_cmp_o_f32_e64 s14, v71, v71
	v_lshlrev_b32_e32 v33, 16, v33
	v_add3_u32 v70, v71, v70, 0x7fff
	s_delay_alu instid0(VALU_DEP_1) | instskip(NEXT) | instid1(VALU_DEP_1)
	v_and_b32_e32 v70, 0xffff0000, v70
	v_cndmask_b32_e64 v80, 0x7fc00000, v70, s14
	s_delay_alu instid0(VALU_DEP_1) | instskip(SKIP_1) | instid1(VALU_DEP_2)
	v_dual_max_f32 v70, v33, v33 :: v_dual_max_f32 v71, v80, v80
	v_cmp_u_f32_e64 s14, v80, v80
	v_min_f32_e32 v81, v71, v70
	v_max_f32_e32 v71, v71, v70
	s_delay_alu instid0(VALU_DEP_2) | instskip(NEXT) | instid1(VALU_DEP_2)
	v_cndmask_b32_e64 v81, v81, v80, s14
	v_cndmask_b32_e64 v71, v71, v80, s14
	v_cmp_u_f32_e64 s14, v33, v33
	s_delay_alu instid0(VALU_DEP_1) | instskip(NEXT) | instid1(VALU_DEP_3)
	v_cndmask_b32_e64 v81, v81, v33, s14
	v_cndmask_b32_e64 v71, v71, v33, s14
	s_delay_alu instid0(VALU_DEP_2) | instskip(NEXT) | instid1(VALU_DEP_2)
	v_cmp_class_f32_e64 s16, v81, 0x1f8
	v_cmp_neq_f32_e64 s15, v81, v71
	s_delay_alu instid0(VALU_DEP_1) | instskip(NEXT) | instid1(SALU_CYCLE_1)
	s_or_b32 s15, s15, s16
	s_and_saveexec_b32 s16, s15
	s_cbranch_execz .LBB453_266
; %bb.265:
	v_sub_f32_e32 v80, v81, v71
	s_delay_alu instid0(VALU_DEP_1) | instskip(SKIP_1) | instid1(VALU_DEP_2)
	v_mul_f32_e32 v81, 0x3fb8aa3b, v80
	v_cmp_ngt_f32_e64 s15, 0xc2ce8ed0, v80
	v_fma_f32 v82, 0x3fb8aa3b, v80, -v81
	v_rndne_f32_e32 v83, v81
	s_delay_alu instid0(VALU_DEP_1) | instskip(NEXT) | instid1(VALU_DEP_1)
	v_dual_fmamk_f32 v82, v80, 0x32a5705f, v82 :: v_dual_sub_f32 v81, v81, v83
	v_add_f32_e32 v81, v81, v82
	v_cvt_i32_f32_e32 v82, v83
	s_delay_alu instid0(VALU_DEP_2) | instskip(SKIP_2) | instid1(VALU_DEP_1)
	v_exp_f32_e32 v81, v81
	s_waitcnt_depctr 0xfff
	v_ldexp_f32 v81, v81, v82
	v_cndmask_b32_e64 v81, 0, v81, s15
	v_cmp_nlt_f32_e64 s15, 0x42b17218, v80
	s_delay_alu instid0(VALU_DEP_1) | instskip(NEXT) | instid1(VALU_DEP_1)
	v_cndmask_b32_e64 v82, 0x7f800000, v81, s15
	v_add_f32_e32 v83, 1.0, v82
	v_cmp_gt_f32_e64 s17, 0x33800000, |v82|
	s_delay_alu instid0(VALU_DEP_2) | instskip(NEXT) | instid1(VALU_DEP_1)
	v_cvt_f64_f32_e32 v[80:81], v83
	v_frexp_exp_i32_f64_e32 v80, v[80:81]
	v_frexp_mant_f32_e32 v81, v83
	s_delay_alu instid0(VALU_DEP_1) | instskip(SKIP_1) | instid1(VALU_DEP_1)
	v_cmp_gt_f32_e64 s15, 0x3f2aaaab, v81
	v_add_f32_e32 v81, -1.0, v83
	v_sub_f32_e32 v85, v81, v83
	v_sub_f32_e32 v81, v82, v81
	s_delay_alu instid0(VALU_DEP_2) | instskip(NEXT) | instid1(VALU_DEP_1)
	v_add_f32_e32 v85, 1.0, v85
	v_add_f32_e32 v81, v81, v85
	v_subrev_co_ci_u32_e64 v80, s15, 0, v80, s15
	s_mov_b32 s15, 0x3e9b6dac
	s_delay_alu instid0(VALU_DEP_1) | instskip(SKIP_1) | instid1(VALU_DEP_2)
	v_sub_nc_u32_e32 v84, 0, v80
	v_cvt_f32_i32_e32 v80, v80
	v_ldexp_f32 v83, v83, v84
	v_ldexp_f32 v81, v81, v84
	s_delay_alu instid0(VALU_DEP_2) | instskip(SKIP_1) | instid1(VALU_DEP_1)
	v_add_f32_e32 v87, 1.0, v83
	v_add_f32_e32 v84, -1.0, v83
	v_dual_add_f32 v85, -1.0, v87 :: v_dual_add_f32 v96, 1.0, v84
	s_delay_alu instid0(VALU_DEP_1) | instskip(NEXT) | instid1(VALU_DEP_2)
	v_sub_f32_e32 v85, v83, v85
	v_sub_f32_e32 v83, v83, v96
	s_delay_alu instid0(VALU_DEP_2) | instskip(NEXT) | instid1(VALU_DEP_1)
	v_add_f32_e32 v85, v81, v85
	v_add_f32_e32 v96, v87, v85
	s_delay_alu instid0(VALU_DEP_1) | instskip(NEXT) | instid1(VALU_DEP_1)
	v_sub_f32_e32 v87, v87, v96
	v_add_f32_e32 v85, v85, v87
	v_add_f32_e32 v81, v81, v83
	v_rcp_f32_e32 v83, v96
	s_delay_alu instid0(VALU_DEP_1) | instskip(NEXT) | instid1(VALU_DEP_1)
	v_add_f32_e32 v97, v84, v81
	v_sub_f32_e32 v84, v84, v97
	s_waitcnt_depctr 0xfff
	v_mul_f32_e32 v98, v97, v83
	v_add_f32_e32 v81, v81, v84
	s_delay_alu instid0(VALU_DEP_2) | instskip(NEXT) | instid1(VALU_DEP_1)
	v_mul_f32_e32 v99, v96, v98
	v_fma_f32 v87, v98, v96, -v99
	s_delay_alu instid0(VALU_DEP_1) | instskip(NEXT) | instid1(VALU_DEP_1)
	v_fmac_f32_e32 v87, v98, v85
	v_add_f32_e32 v100, v99, v87
	s_delay_alu instid0(VALU_DEP_1) | instskip(NEXT) | instid1(VALU_DEP_1)
	v_dual_sub_f32 v101, v97, v100 :: v_dual_sub_f32 v84, v100, v99
	v_dual_sub_f32 v97, v97, v101 :: v_dual_sub_f32 v84, v84, v87
	s_delay_alu instid0(VALU_DEP_1) | instskip(NEXT) | instid1(VALU_DEP_1)
	v_sub_f32_e32 v97, v97, v100
	v_add_f32_e32 v81, v81, v97
	s_delay_alu instid0(VALU_DEP_1) | instskip(NEXT) | instid1(VALU_DEP_1)
	v_add_f32_e32 v81, v84, v81
	v_add_f32_e32 v84, v101, v81
	s_delay_alu instid0(VALU_DEP_1) | instskip(NEXT) | instid1(VALU_DEP_1)
	v_mul_f32_e32 v87, v83, v84
	v_dual_sub_f32 v100, v101, v84 :: v_dual_mul_f32 v97, v96, v87
	s_delay_alu instid0(VALU_DEP_1) | instskip(NEXT) | instid1(VALU_DEP_2)
	v_add_f32_e32 v81, v81, v100
	v_fma_f32 v96, v87, v96, -v97
	s_delay_alu instid0(VALU_DEP_1) | instskip(NEXT) | instid1(VALU_DEP_1)
	v_fmac_f32_e32 v96, v87, v85
	v_add_f32_e32 v85, v97, v96
	s_delay_alu instid0(VALU_DEP_1) | instskip(NEXT) | instid1(VALU_DEP_1)
	v_sub_f32_e32 v99, v84, v85
	v_dual_sub_f32 v97, v85, v97 :: v_dual_sub_f32 v84, v84, v99
	s_delay_alu instid0(VALU_DEP_1) | instskip(NEXT) | instid1(VALU_DEP_1)
	v_dual_sub_f32 v84, v84, v85 :: v_dual_sub_f32 v85, v97, v96
	v_dual_add_f32 v81, v81, v84 :: v_dual_add_f32 v84, v98, v87
	s_delay_alu instid0(VALU_DEP_1) | instskip(NEXT) | instid1(VALU_DEP_2)
	v_add_f32_e32 v81, v85, v81
	v_sub_f32_e32 v85, v84, v98
	s_delay_alu instid0(VALU_DEP_2) | instskip(NEXT) | instid1(VALU_DEP_2)
	v_add_f32_e32 v81, v99, v81
	v_sub_f32_e32 v85, v87, v85
	s_delay_alu instid0(VALU_DEP_2) | instskip(NEXT) | instid1(VALU_DEP_1)
	v_mul_f32_e32 v81, v83, v81
	v_add_f32_e32 v81, v85, v81
	s_delay_alu instid0(VALU_DEP_1) | instskip(NEXT) | instid1(VALU_DEP_1)
	v_add_f32_e32 v83, v84, v81
	v_mul_f32_e32 v85, v83, v83
	s_delay_alu instid0(VALU_DEP_1) | instskip(SKIP_2) | instid1(VALU_DEP_3)
	v_fmaak_f32 v87, s15, v85, 0x3ecc95a3
	v_mul_f32_e32 v96, v83, v85
	v_cmp_eq_f32_e64 s15, 0x7f800000, v82
	v_fmaak_f32 v85, v85, v87, 0x3f2aaada
	v_ldexp_f32 v87, v83, 1
	v_sub_f32_e32 v83, v83, v84
	s_delay_alu instid0(VALU_DEP_4) | instskip(NEXT) | instid1(VALU_DEP_3)
	s_or_b32 s15, s15, s17
	v_dual_mul_f32 v85, v96, v85 :: v_dual_mul_f32 v96, 0x3f317218, v80
	s_delay_alu instid0(VALU_DEP_1) | instskip(NEXT) | instid1(VALU_DEP_1)
	v_dual_sub_f32 v81, v81, v83 :: v_dual_add_f32 v84, v87, v85
	v_ldexp_f32 v81, v81, 1
	s_delay_alu instid0(VALU_DEP_2) | instskip(NEXT) | instid1(VALU_DEP_4)
	v_sub_f32_e32 v83, v84, v87
	v_fma_f32 v87, 0x3f317218, v80, -v96
	s_delay_alu instid0(VALU_DEP_1) | instskip(NEXT) | instid1(VALU_DEP_1)
	v_dual_sub_f32 v83, v85, v83 :: v_dual_fmamk_f32 v80, v80, 0xb102e308, v87
	v_add_f32_e32 v81, v81, v83
	s_delay_alu instid0(VALU_DEP_2) | instskip(NEXT) | instid1(VALU_DEP_1)
	v_add_f32_e32 v83, v96, v80
	v_dual_add_f32 v85, v84, v81 :: v_dual_sub_f32 v96, v83, v96
	s_delay_alu instid0(VALU_DEP_1) | instskip(NEXT) | instid1(VALU_DEP_1)
	v_dual_add_f32 v87, v83, v85 :: v_dual_sub_f32 v84, v85, v84
	v_dual_sub_f32 v80, v80, v96 :: v_dual_sub_f32 v97, v87, v83
	s_delay_alu instid0(VALU_DEP_1) | instskip(SKIP_1) | instid1(VALU_DEP_2)
	v_dual_sub_f32 v81, v81, v84 :: v_dual_sub_f32 v98, v87, v97
	v_sub_f32_e32 v84, v85, v97
	v_add_f32_e32 v85, v80, v81
	s_delay_alu instid0(VALU_DEP_3) | instskip(NEXT) | instid1(VALU_DEP_1)
	v_sub_f32_e32 v83, v83, v98
	v_dual_add_f32 v83, v84, v83 :: v_dual_sub_f32 v84, v85, v80
	s_delay_alu instid0(VALU_DEP_1) | instskip(NEXT) | instid1(VALU_DEP_2)
	v_add_f32_e32 v83, v85, v83
	v_sub_f32_e32 v85, v85, v84
	s_delay_alu instid0(VALU_DEP_2) | instskip(NEXT) | instid1(VALU_DEP_2)
	v_dual_sub_f32 v81, v81, v84 :: v_dual_add_f32 v96, v87, v83
	v_sub_f32_e32 v80, v80, v85
	s_delay_alu instid0(VALU_DEP_2) | instskip(NEXT) | instid1(VALU_DEP_2)
	v_sub_f32_e32 v84, v96, v87
	v_add_f32_e32 v80, v81, v80
	s_delay_alu instid0(VALU_DEP_2) | instskip(NEXT) | instid1(VALU_DEP_1)
	v_sub_f32_e32 v81, v83, v84
	v_add_f32_e32 v80, v80, v81
	s_delay_alu instid0(VALU_DEP_1) | instskip(NEXT) | instid1(VALU_DEP_1)
	v_add_f32_e32 v80, v96, v80
	v_cndmask_b32_e64 v80, v80, v82, s15
	s_delay_alu instid0(VALU_DEP_1)
	v_add_f32_e32 v80, v71, v80
.LBB453_266:
	s_or_b32 exec_lo, exec_lo, s16
	s_delay_alu instid0(VALU_DEP_1) | instskip(SKIP_2) | instid1(VALU_DEP_3)
	v_bfe_u32 v71, v80, 16, 1
	v_cmp_o_f32_e64 s15, v80, v80
	v_lshlrev_b32_e32 v32, 16, v32
	v_add3_u32 v71, v80, v71, 0x7fff
	s_delay_alu instid0(VALU_DEP_1) | instskip(NEXT) | instid1(VALU_DEP_1)
	v_and_b32_e32 v71, 0xffff0000, v71
	v_cndmask_b32_e64 v81, 0x7fc00000, v71, s15
	s_delay_alu instid0(VALU_DEP_1) | instskip(SKIP_1) | instid1(VALU_DEP_2)
	v_dual_max_f32 v71, v32, v32 :: v_dual_max_f32 v80, v81, v81
	v_cmp_u_f32_e64 s15, v81, v81
	v_min_f32_e32 v82, v80, v71
	v_max_f32_e32 v80, v80, v71
	s_delay_alu instid0(VALU_DEP_2) | instskip(NEXT) | instid1(VALU_DEP_2)
	v_cndmask_b32_e64 v82, v82, v81, s15
	v_cndmask_b32_e64 v80, v80, v81, s15
	v_cmp_u_f32_e64 s15, v32, v32
	s_delay_alu instid0(VALU_DEP_1) | instskip(NEXT) | instid1(VALU_DEP_3)
	v_cndmask_b32_e64 v82, v82, v32, s15
	v_cndmask_b32_e64 v80, v80, v32, s15
	s_delay_alu instid0(VALU_DEP_2) | instskip(NEXT) | instid1(VALU_DEP_2)
	v_cmp_class_f32_e64 s17, v82, 0x1f8
	v_cmp_neq_f32_e64 s16, v82, v80
	s_delay_alu instid0(VALU_DEP_1) | instskip(NEXT) | instid1(SALU_CYCLE_1)
	s_or_b32 s16, s16, s17
	s_and_saveexec_b32 s17, s16
	s_cbranch_execz .LBB453_268
; %bb.267:
	v_sub_f32_e32 v81, v82, v80
	s_delay_alu instid0(VALU_DEP_1) | instskip(SKIP_1) | instid1(VALU_DEP_2)
	v_mul_f32_e32 v82, 0x3fb8aa3b, v81
	v_cmp_ngt_f32_e64 s16, 0xc2ce8ed0, v81
	v_fma_f32 v83, 0x3fb8aa3b, v81, -v82
	v_rndne_f32_e32 v84, v82
	s_delay_alu instid0(VALU_DEP_1) | instskip(NEXT) | instid1(VALU_DEP_1)
	v_dual_fmamk_f32 v83, v81, 0x32a5705f, v83 :: v_dual_sub_f32 v82, v82, v84
	v_add_f32_e32 v82, v82, v83
	v_cvt_i32_f32_e32 v83, v84
	s_delay_alu instid0(VALU_DEP_2) | instskip(SKIP_2) | instid1(VALU_DEP_1)
	v_exp_f32_e32 v82, v82
	s_waitcnt_depctr 0xfff
	v_ldexp_f32 v82, v82, v83
	v_cndmask_b32_e64 v82, 0, v82, s16
	v_cmp_nlt_f32_e64 s16, 0x42b17218, v81
	s_delay_alu instid0(VALU_DEP_1) | instskip(NEXT) | instid1(VALU_DEP_1)
	v_cndmask_b32_e64 v83, 0x7f800000, v82, s16
	v_add_f32_e32 v84, 1.0, v83
	v_cmp_gt_f32_e64 s18, 0x33800000, |v83|
	s_delay_alu instid0(VALU_DEP_2) | instskip(NEXT) | instid1(VALU_DEP_1)
	v_cvt_f64_f32_e32 v[81:82], v84
	v_frexp_exp_i32_f64_e32 v81, v[81:82]
	v_frexp_mant_f32_e32 v82, v84
	s_delay_alu instid0(VALU_DEP_1) | instskip(SKIP_1) | instid1(VALU_DEP_1)
	v_cmp_gt_f32_e64 s16, 0x3f2aaaab, v82
	v_add_f32_e32 v82, -1.0, v84
	v_dual_sub_f32 v87, v82, v84 :: v_dual_sub_f32 v82, v83, v82
	s_delay_alu instid0(VALU_DEP_1) | instskip(NEXT) | instid1(VALU_DEP_4)
	v_add_f32_e32 v87, 1.0, v87
	v_subrev_co_ci_u32_e64 v81, s16, 0, v81, s16
	s_mov_b32 s16, 0x3e9b6dac
	s_delay_alu instid0(VALU_DEP_1) | instskip(SKIP_1) | instid1(VALU_DEP_2)
	v_sub_nc_u32_e32 v85, 0, v81
	v_cvt_f32_i32_e32 v81, v81
	v_ldexp_f32 v84, v84, v85
	v_add_f32_e32 v82, v82, v87
	s_delay_alu instid0(VALU_DEP_1) | instskip(NEXT) | instid1(VALU_DEP_3)
	v_ldexp_f32 v82, v82, v85
	v_add_f32_e32 v85, -1.0, v84
	s_delay_alu instid0(VALU_DEP_1) | instskip(NEXT) | instid1(VALU_DEP_1)
	v_dual_add_f32 v96, 1.0, v84 :: v_dual_add_f32 v97, 1.0, v85
	v_add_f32_e32 v87, -1.0, v96
	s_delay_alu instid0(VALU_DEP_1) | instskip(NEXT) | instid1(VALU_DEP_1)
	v_sub_f32_e32 v87, v84, v87
	v_dual_sub_f32 v84, v84, v97 :: v_dual_add_f32 v87, v82, v87
	s_delay_alu instid0(VALU_DEP_1) | instskip(NEXT) | instid1(VALU_DEP_1)
	v_dual_add_f32 v82, v82, v84 :: v_dual_add_f32 v97, v96, v87
	v_rcp_f32_e32 v84, v97
	v_sub_f32_e32 v96, v96, v97
	s_delay_alu instid0(VALU_DEP_1) | instskip(NEXT) | instid1(VALU_DEP_1)
	v_dual_add_f32 v98, v85, v82 :: v_dual_add_f32 v87, v87, v96
	v_sub_f32_e32 v85, v85, v98
	s_waitcnt_depctr 0xfff
	v_mul_f32_e32 v99, v98, v84
	v_add_f32_e32 v82, v82, v85
	s_delay_alu instid0(VALU_DEP_2) | instskip(NEXT) | instid1(VALU_DEP_1)
	v_mul_f32_e32 v100, v97, v99
	v_fma_f32 v96, v99, v97, -v100
	s_delay_alu instid0(VALU_DEP_1) | instskip(NEXT) | instid1(VALU_DEP_1)
	v_fmac_f32_e32 v96, v99, v87
	v_add_f32_e32 v101, v100, v96
	s_delay_alu instid0(VALU_DEP_1) | instskip(NEXT) | instid1(VALU_DEP_1)
	v_sub_f32_e32 v102, v98, v101
	v_dual_sub_f32 v98, v98, v102 :: v_dual_sub_f32 v85, v101, v100
	s_delay_alu instid0(VALU_DEP_1) | instskip(NEXT) | instid1(VALU_DEP_1)
	v_dual_sub_f32 v98, v98, v101 :: v_dual_sub_f32 v85, v85, v96
	v_add_f32_e32 v82, v82, v98
	s_delay_alu instid0(VALU_DEP_1) | instskip(NEXT) | instid1(VALU_DEP_1)
	v_add_f32_e32 v82, v85, v82
	v_add_f32_e32 v85, v102, v82
	s_delay_alu instid0(VALU_DEP_1) | instskip(NEXT) | instid1(VALU_DEP_1)
	v_mul_f32_e32 v96, v84, v85
	v_dual_sub_f32 v101, v102, v85 :: v_dual_mul_f32 v98, v97, v96
	s_delay_alu instid0(VALU_DEP_1) | instskip(NEXT) | instid1(VALU_DEP_2)
	v_add_f32_e32 v82, v82, v101
	v_fma_f32 v97, v96, v97, -v98
	s_delay_alu instid0(VALU_DEP_1) | instskip(NEXT) | instid1(VALU_DEP_1)
	v_fmac_f32_e32 v97, v96, v87
	v_add_f32_e32 v87, v98, v97
	s_delay_alu instid0(VALU_DEP_1) | instskip(SKIP_1) | instid1(VALU_DEP_1)
	v_sub_f32_e32 v98, v87, v98
	v_sub_f32_e32 v100, v85, v87
	;; [unrolled: 1-line block ×3, first 2 shown]
	s_delay_alu instid0(VALU_DEP_1) | instskip(NEXT) | instid1(VALU_DEP_4)
	v_sub_f32_e32 v85, v85, v87
	v_sub_f32_e32 v87, v98, v97
	s_delay_alu instid0(VALU_DEP_2) | instskip(NEXT) | instid1(VALU_DEP_1)
	v_dual_add_f32 v82, v82, v85 :: v_dual_add_f32 v85, v99, v96
	v_dual_add_f32 v82, v87, v82 :: v_dual_sub_f32 v87, v85, v99
	s_delay_alu instid0(VALU_DEP_1) | instskip(NEXT) | instid1(VALU_DEP_2)
	v_add_f32_e32 v82, v100, v82
	v_sub_f32_e32 v87, v96, v87
	s_delay_alu instid0(VALU_DEP_2) | instskip(NEXT) | instid1(VALU_DEP_1)
	v_mul_f32_e32 v82, v84, v82
	v_add_f32_e32 v82, v87, v82
	s_delay_alu instid0(VALU_DEP_1) | instskip(NEXT) | instid1(VALU_DEP_1)
	v_add_f32_e32 v84, v85, v82
	v_mul_f32_e32 v87, v84, v84
	s_delay_alu instid0(VALU_DEP_1) | instskip(SKIP_2) | instid1(VALU_DEP_3)
	v_fmaak_f32 v96, s16, v87, 0x3ecc95a3
	v_mul_f32_e32 v97, v84, v87
	v_cmp_eq_f32_e64 s16, 0x7f800000, v83
	v_fmaak_f32 v87, v87, v96, 0x3f2aaada
	v_ldexp_f32 v96, v84, 1
	v_sub_f32_e32 v84, v84, v85
	s_delay_alu instid0(VALU_DEP_4) | instskip(NEXT) | instid1(VALU_DEP_3)
	s_or_b32 s16, s16, s18
	v_mul_f32_e32 v87, v97, v87
	s_delay_alu instid0(VALU_DEP_2) | instskip(NEXT) | instid1(VALU_DEP_2)
	v_dual_mul_f32 v97, 0x3f317218, v81 :: v_dual_sub_f32 v82, v82, v84
	v_add_f32_e32 v85, v96, v87
	s_delay_alu instid0(VALU_DEP_2) | instskip(NEXT) | instid1(VALU_DEP_2)
	v_ldexp_f32 v82, v82, 1
	v_sub_f32_e32 v84, v85, v96
	s_delay_alu instid0(VALU_DEP_4) | instskip(NEXT) | instid1(VALU_DEP_1)
	v_fma_f32 v96, 0x3f317218, v81, -v97
	v_dual_sub_f32 v84, v87, v84 :: v_dual_fmamk_f32 v81, v81, 0xb102e308, v96
	s_delay_alu instid0(VALU_DEP_1) | instskip(NEXT) | instid1(VALU_DEP_2)
	v_add_f32_e32 v82, v82, v84
	v_add_f32_e32 v84, v97, v81
	s_delay_alu instid0(VALU_DEP_1) | instskip(NEXT) | instid1(VALU_DEP_3)
	v_sub_f32_e32 v97, v84, v97
	v_add_f32_e32 v87, v85, v82
	s_delay_alu instid0(VALU_DEP_1) | instskip(SKIP_1) | instid1(VALU_DEP_1)
	v_dual_sub_f32 v81, v81, v97 :: v_dual_add_f32 v96, v84, v87
	v_sub_f32_e32 v85, v87, v85
	v_sub_f32_e32 v82, v82, v85
	s_delay_alu instid0(VALU_DEP_3) | instskip(NEXT) | instid1(VALU_DEP_1)
	v_sub_f32_e32 v98, v96, v84
	v_sub_f32_e32 v85, v87, v98
	s_delay_alu instid0(VALU_DEP_3) | instskip(SKIP_1) | instid1(VALU_DEP_1)
	v_add_f32_e32 v87, v81, v82
	v_sub_f32_e32 v99, v96, v98
	v_sub_f32_e32 v84, v84, v99
	s_delay_alu instid0(VALU_DEP_1) | instskip(NEXT) | instid1(VALU_DEP_1)
	v_dual_add_f32 v84, v85, v84 :: v_dual_sub_f32 v85, v87, v81
	v_add_f32_e32 v84, v87, v84
	s_delay_alu instid0(VALU_DEP_2) | instskip(NEXT) | instid1(VALU_DEP_1)
	v_sub_f32_e32 v87, v87, v85
	v_sub_f32_e32 v81, v81, v87
	s_delay_alu instid0(VALU_DEP_3) | instskip(NEXT) | instid1(VALU_DEP_1)
	v_dual_add_f32 v97, v96, v84 :: v_dual_sub_f32 v82, v82, v85
	v_sub_f32_e32 v85, v97, v96
	s_delay_alu instid0(VALU_DEP_2) | instskip(NEXT) | instid1(VALU_DEP_2)
	v_add_f32_e32 v81, v82, v81
	v_sub_f32_e32 v82, v84, v85
	s_delay_alu instid0(VALU_DEP_1) | instskip(NEXT) | instid1(VALU_DEP_1)
	v_add_f32_e32 v81, v81, v82
	v_add_f32_e32 v81, v97, v81
	s_delay_alu instid0(VALU_DEP_1) | instskip(NEXT) | instid1(VALU_DEP_1)
	v_cndmask_b32_e64 v81, v81, v83, s16
	v_add_f32_e32 v81, v80, v81
.LBB453_268:
	s_or_b32 exec_lo, exec_lo, s17
	s_delay_alu instid0(VALU_DEP_1) | instskip(SKIP_2) | instid1(VALU_DEP_3)
	v_bfe_u32 v80, v81, 16, 1
	v_cmp_o_f32_e64 s16, v81, v81
	v_lshlrev_b32_e32 v31, 16, v31
	v_add3_u32 v80, v81, v80, 0x7fff
	s_delay_alu instid0(VALU_DEP_1) | instskip(NEXT) | instid1(VALU_DEP_1)
	v_and_b32_e32 v80, 0xffff0000, v80
	v_cndmask_b32_e64 v82, 0x7fc00000, v80, s16
	s_delay_alu instid0(VALU_DEP_1) | instskip(SKIP_1) | instid1(VALU_DEP_2)
	v_dual_max_f32 v80, v31, v31 :: v_dual_max_f32 v81, v82, v82
	v_cmp_u_f32_e64 s16, v82, v82
	v_min_f32_e32 v83, v81, v80
	v_max_f32_e32 v81, v81, v80
	s_delay_alu instid0(VALU_DEP_2) | instskip(NEXT) | instid1(VALU_DEP_2)
	v_cndmask_b32_e64 v83, v83, v82, s16
	v_cndmask_b32_e64 v81, v81, v82, s16
	v_cmp_u_f32_e64 s16, v31, v31
	s_delay_alu instid0(VALU_DEP_1) | instskip(NEXT) | instid1(VALU_DEP_3)
	v_cndmask_b32_e64 v83, v83, v31, s16
	v_cndmask_b32_e64 v81, v81, v31, s16
	s_delay_alu instid0(VALU_DEP_2) | instskip(NEXT) | instid1(VALU_DEP_2)
	v_cmp_class_f32_e64 s18, v83, 0x1f8
	v_cmp_neq_f32_e64 s17, v83, v81
	s_delay_alu instid0(VALU_DEP_1) | instskip(NEXT) | instid1(SALU_CYCLE_1)
	s_or_b32 s17, s17, s18
	s_and_saveexec_b32 s18, s17
	s_cbranch_execz .LBB453_270
; %bb.269:
	v_sub_f32_e32 v82, v83, v81
	s_delay_alu instid0(VALU_DEP_1) | instskip(SKIP_1) | instid1(VALU_DEP_2)
	v_mul_f32_e32 v83, 0x3fb8aa3b, v82
	v_cmp_ngt_f32_e64 s17, 0xc2ce8ed0, v82
	v_fma_f32 v84, 0x3fb8aa3b, v82, -v83
	v_rndne_f32_e32 v85, v83
	s_delay_alu instid0(VALU_DEP_1) | instskip(NEXT) | instid1(VALU_DEP_1)
	v_dual_fmamk_f32 v84, v82, 0x32a5705f, v84 :: v_dual_sub_f32 v83, v83, v85
	v_add_f32_e32 v83, v83, v84
	v_cvt_i32_f32_e32 v84, v85
	s_delay_alu instid0(VALU_DEP_2) | instskip(SKIP_2) | instid1(VALU_DEP_1)
	v_exp_f32_e32 v83, v83
	s_waitcnt_depctr 0xfff
	v_ldexp_f32 v83, v83, v84
	v_cndmask_b32_e64 v83, 0, v83, s17
	v_cmp_nlt_f32_e64 s17, 0x42b17218, v82
	s_delay_alu instid0(VALU_DEP_1) | instskip(NEXT) | instid1(VALU_DEP_1)
	v_cndmask_b32_e64 v84, 0x7f800000, v83, s17
	v_add_f32_e32 v85, 1.0, v84
	v_cmp_gt_f32_e64 s19, 0x33800000, |v84|
	s_delay_alu instid0(VALU_DEP_2) | instskip(NEXT) | instid1(VALU_DEP_1)
	v_cvt_f64_f32_e32 v[82:83], v85
	v_frexp_exp_i32_f64_e32 v82, v[82:83]
	v_frexp_mant_f32_e32 v83, v85
	s_delay_alu instid0(VALU_DEP_1) | instskip(SKIP_1) | instid1(VALU_DEP_1)
	v_cmp_gt_f32_e64 s17, 0x3f2aaaab, v83
	v_add_f32_e32 v83, -1.0, v85
	v_dual_sub_f32 v96, v83, v85 :: v_dual_sub_f32 v83, v84, v83
	s_delay_alu instid0(VALU_DEP_1) | instskip(NEXT) | instid1(VALU_DEP_1)
	v_add_f32_e32 v96, 1.0, v96
	v_add_f32_e32 v83, v83, v96
	v_subrev_co_ci_u32_e64 v82, s17, 0, v82, s17
	s_mov_b32 s17, 0x3e9b6dac
	s_delay_alu instid0(VALU_DEP_1) | instskip(SKIP_1) | instid1(VALU_DEP_2)
	v_sub_nc_u32_e32 v87, 0, v82
	v_cvt_f32_i32_e32 v82, v82
	v_ldexp_f32 v85, v85, v87
	v_ldexp_f32 v83, v83, v87
	s_delay_alu instid0(VALU_DEP_2) | instskip(NEXT) | instid1(VALU_DEP_1)
	v_add_f32_e32 v87, -1.0, v85
	v_dual_add_f32 v97, 1.0, v85 :: v_dual_add_f32 v98, 1.0, v87
	s_delay_alu instid0(VALU_DEP_1) | instskip(NEXT) | instid1(VALU_DEP_1)
	v_add_f32_e32 v96, -1.0, v97
	v_sub_f32_e32 v96, v85, v96
	s_delay_alu instid0(VALU_DEP_1) | instskip(NEXT) | instid1(VALU_DEP_1)
	v_dual_sub_f32 v85, v85, v98 :: v_dual_add_f32 v96, v83, v96
	v_dual_add_f32 v83, v83, v85 :: v_dual_add_f32 v98, v97, v96
	s_delay_alu instid0(VALU_DEP_1) | instskip(NEXT) | instid1(VALU_DEP_2)
	v_add_f32_e32 v99, v87, v83
	v_rcp_f32_e32 v85, v98
	v_sub_f32_e32 v97, v97, v98
	s_delay_alu instid0(VALU_DEP_1) | instskip(SKIP_2) | instid1(VALU_DEP_1)
	v_add_f32_e32 v96, v96, v97
	s_waitcnt_depctr 0xfff
	v_mul_f32_e32 v100, v99, v85
	v_mul_f32_e32 v101, v98, v100
	s_delay_alu instid0(VALU_DEP_1) | instskip(NEXT) | instid1(VALU_DEP_1)
	v_fma_f32 v97, v100, v98, -v101
	v_fmac_f32_e32 v97, v100, v96
	s_delay_alu instid0(VALU_DEP_1) | instskip(NEXT) | instid1(VALU_DEP_1)
	v_dual_add_f32 v102, v101, v97 :: v_dual_sub_f32 v87, v87, v99
	v_sub_f32_e32 v103, v99, v102
	s_delay_alu instid0(VALU_DEP_2) | instskip(SKIP_1) | instid1(VALU_DEP_3)
	v_add_f32_e32 v83, v83, v87
	v_sub_f32_e32 v87, v102, v101
	v_sub_f32_e32 v99, v99, v103
	s_delay_alu instid0(VALU_DEP_2) | instskip(NEXT) | instid1(VALU_DEP_2)
	v_sub_f32_e32 v87, v87, v97
	v_sub_f32_e32 v99, v99, v102
	s_delay_alu instid0(VALU_DEP_1) | instskip(NEXT) | instid1(VALU_DEP_1)
	v_add_f32_e32 v83, v83, v99
	v_add_f32_e32 v83, v87, v83
	s_delay_alu instid0(VALU_DEP_1) | instskip(NEXT) | instid1(VALU_DEP_1)
	v_add_f32_e32 v87, v103, v83
	v_mul_f32_e32 v97, v85, v87
	s_delay_alu instid0(VALU_DEP_1) | instskip(NEXT) | instid1(VALU_DEP_1)
	v_mul_f32_e32 v99, v98, v97
	v_fma_f32 v98, v97, v98, -v99
	s_delay_alu instid0(VALU_DEP_1) | instskip(SKIP_1) | instid1(VALU_DEP_2)
	v_fmac_f32_e32 v98, v97, v96
	v_sub_f32_e32 v102, v103, v87
	v_add_f32_e32 v96, v99, v98
	s_delay_alu instid0(VALU_DEP_2) | instskip(NEXT) | instid1(VALU_DEP_2)
	v_add_f32_e32 v83, v83, v102
	v_sub_f32_e32 v101, v87, v96
	v_sub_f32_e32 v99, v96, v99
	s_delay_alu instid0(VALU_DEP_2) | instskip(NEXT) | instid1(VALU_DEP_1)
	v_sub_f32_e32 v87, v87, v101
	v_sub_f32_e32 v87, v87, v96
	s_delay_alu instid0(VALU_DEP_3) | instskip(NEXT) | instid1(VALU_DEP_2)
	v_sub_f32_e32 v96, v99, v98
	v_add_f32_e32 v83, v83, v87
	v_add_f32_e32 v87, v100, v97
	s_delay_alu instid0(VALU_DEP_1) | instskip(NEXT) | instid1(VALU_DEP_1)
	v_dual_add_f32 v83, v96, v83 :: v_dual_sub_f32 v96, v87, v100
	v_add_f32_e32 v83, v101, v83
	s_delay_alu instid0(VALU_DEP_2) | instskip(NEXT) | instid1(VALU_DEP_2)
	v_sub_f32_e32 v96, v97, v96
	v_mul_f32_e32 v83, v85, v83
	s_delay_alu instid0(VALU_DEP_1) | instskip(NEXT) | instid1(VALU_DEP_1)
	v_add_f32_e32 v83, v96, v83
	v_add_f32_e32 v85, v87, v83
	s_delay_alu instid0(VALU_DEP_1) | instskip(NEXT) | instid1(VALU_DEP_1)
	v_mul_f32_e32 v96, v85, v85
	v_fmaak_f32 v97, s17, v96, 0x3ecc95a3
	v_mul_f32_e32 v98, v85, v96
	v_cmp_eq_f32_e64 s17, 0x7f800000, v84
	s_delay_alu instid0(VALU_DEP_3) | instskip(SKIP_2) | instid1(VALU_DEP_4)
	v_fmaak_f32 v96, v96, v97, 0x3f2aaada
	v_ldexp_f32 v97, v85, 1
	v_sub_f32_e32 v85, v85, v87
	s_or_b32 s17, s17, s19
	s_delay_alu instid0(VALU_DEP_3) | instskip(NEXT) | instid1(VALU_DEP_2)
	v_mul_f32_e32 v96, v98, v96
	v_dual_mul_f32 v98, 0x3f317218, v82 :: v_dual_sub_f32 v83, v83, v85
	s_delay_alu instid0(VALU_DEP_2) | instskip(NEXT) | instid1(VALU_DEP_2)
	v_add_f32_e32 v87, v97, v96
	v_ldexp_f32 v83, v83, 1
	s_delay_alu instid0(VALU_DEP_2) | instskip(NEXT) | instid1(VALU_DEP_4)
	v_sub_f32_e32 v85, v87, v97
	v_fma_f32 v97, 0x3f317218, v82, -v98
	s_delay_alu instid0(VALU_DEP_1) | instskip(NEXT) | instid1(VALU_DEP_1)
	v_dual_sub_f32 v85, v96, v85 :: v_dual_fmamk_f32 v82, v82, 0xb102e308, v97
	v_add_f32_e32 v83, v83, v85
	s_delay_alu instid0(VALU_DEP_1) | instskip(NEXT) | instid1(VALU_DEP_1)
	v_dual_add_f32 v85, v98, v82 :: v_dual_add_f32 v96, v87, v83
	v_sub_f32_e32 v98, v85, v98
	s_delay_alu instid0(VALU_DEP_2) | instskip(NEXT) | instid1(VALU_DEP_2)
	v_add_f32_e32 v97, v85, v96
	v_dual_sub_f32 v87, v96, v87 :: v_dual_sub_f32 v82, v82, v98
	s_delay_alu instid0(VALU_DEP_2) | instskip(NEXT) | instid1(VALU_DEP_2)
	v_sub_f32_e32 v99, v97, v85
	v_sub_f32_e32 v83, v83, v87
	s_delay_alu instid0(VALU_DEP_2) | instskip(SKIP_1) | instid1(VALU_DEP_2)
	v_sub_f32_e32 v100, v97, v99
	v_sub_f32_e32 v87, v96, v99
	v_dual_add_f32 v96, v82, v83 :: v_dual_sub_f32 v85, v85, v100
	s_delay_alu instid0(VALU_DEP_1) | instskip(NEXT) | instid1(VALU_DEP_2)
	v_add_f32_e32 v85, v87, v85
	v_sub_f32_e32 v87, v96, v82
	s_delay_alu instid0(VALU_DEP_2) | instskip(NEXT) | instid1(VALU_DEP_2)
	v_add_f32_e32 v85, v96, v85
	v_sub_f32_e32 v96, v96, v87
	s_delay_alu instid0(VALU_DEP_2) | instskip(NEXT) | instid1(VALU_DEP_2)
	v_dual_sub_f32 v83, v83, v87 :: v_dual_add_f32 v98, v97, v85
	v_sub_f32_e32 v82, v82, v96
	s_delay_alu instid0(VALU_DEP_1) | instskip(NEXT) | instid1(VALU_DEP_1)
	v_dual_sub_f32 v87, v98, v97 :: v_dual_add_f32 v82, v83, v82
	v_sub_f32_e32 v83, v85, v87
	s_delay_alu instid0(VALU_DEP_1) | instskip(NEXT) | instid1(VALU_DEP_1)
	v_add_f32_e32 v82, v82, v83
	v_add_f32_e32 v82, v98, v82
	s_delay_alu instid0(VALU_DEP_1) | instskip(NEXT) | instid1(VALU_DEP_1)
	v_cndmask_b32_e64 v82, v82, v84, s17
	v_add_f32_e32 v82, v81, v82
.LBB453_270:
	s_or_b32 exec_lo, exec_lo, s18
	s_delay_alu instid0(VALU_DEP_1) | instskip(SKIP_2) | instid1(VALU_DEP_3)
	v_bfe_u32 v81, v82, 16, 1
	v_cmp_o_f32_e64 s17, v82, v82
	v_lshlrev_b32_e32 v30, 16, v30
	v_add3_u32 v81, v82, v81, 0x7fff
	s_delay_alu instid0(VALU_DEP_1) | instskip(NEXT) | instid1(VALU_DEP_1)
	v_and_b32_e32 v81, 0xffff0000, v81
	v_cndmask_b32_e64 v83, 0x7fc00000, v81, s17
	s_delay_alu instid0(VALU_DEP_1) | instskip(SKIP_1) | instid1(VALU_DEP_2)
	v_dual_max_f32 v81, v30, v30 :: v_dual_max_f32 v82, v83, v83
	v_cmp_u_f32_e64 s17, v83, v83
	v_min_f32_e32 v84, v82, v81
	v_max_f32_e32 v82, v82, v81
	s_delay_alu instid0(VALU_DEP_2) | instskip(NEXT) | instid1(VALU_DEP_2)
	v_cndmask_b32_e64 v84, v84, v83, s17
	v_cndmask_b32_e64 v82, v82, v83, s17
	v_cmp_u_f32_e64 s17, v30, v30
	s_delay_alu instid0(VALU_DEP_1) | instskip(NEXT) | instid1(VALU_DEP_3)
	v_cndmask_b32_e64 v84, v84, v30, s17
	v_cndmask_b32_e64 v82, v82, v30, s17
	s_delay_alu instid0(VALU_DEP_2) | instskip(NEXT) | instid1(VALU_DEP_2)
	v_cmp_class_f32_e64 s19, v84, 0x1f8
	v_cmp_neq_f32_e64 s18, v84, v82
	s_delay_alu instid0(VALU_DEP_1) | instskip(NEXT) | instid1(SALU_CYCLE_1)
	s_or_b32 s18, s18, s19
	s_and_saveexec_b32 s19, s18
	s_cbranch_execz .LBB453_272
; %bb.271:
	v_sub_f32_e32 v83, v84, v82
	s_delay_alu instid0(VALU_DEP_1) | instskip(SKIP_1) | instid1(VALU_DEP_2)
	v_mul_f32_e32 v84, 0x3fb8aa3b, v83
	v_cmp_ngt_f32_e64 s18, 0xc2ce8ed0, v83
	v_fma_f32 v85, 0x3fb8aa3b, v83, -v84
	v_rndne_f32_e32 v87, v84
	s_delay_alu instid0(VALU_DEP_1) | instskip(NEXT) | instid1(VALU_DEP_1)
	v_dual_fmamk_f32 v85, v83, 0x32a5705f, v85 :: v_dual_sub_f32 v84, v84, v87
	v_add_f32_e32 v84, v84, v85
	v_cvt_i32_f32_e32 v85, v87
	s_delay_alu instid0(VALU_DEP_2) | instskip(SKIP_2) | instid1(VALU_DEP_1)
	v_exp_f32_e32 v84, v84
	s_waitcnt_depctr 0xfff
	v_ldexp_f32 v84, v84, v85
	v_cndmask_b32_e64 v84, 0, v84, s18
	v_cmp_nlt_f32_e64 s18, 0x42b17218, v83
	s_delay_alu instid0(VALU_DEP_1) | instskip(NEXT) | instid1(VALU_DEP_1)
	v_cndmask_b32_e64 v85, 0x7f800000, v84, s18
	v_add_f32_e32 v87, 1.0, v85
	v_cmp_gt_f32_e64 s20, 0x33800000, |v85|
	s_delay_alu instid0(VALU_DEP_2) | instskip(NEXT) | instid1(VALU_DEP_1)
	v_cvt_f64_f32_e32 v[83:84], v87
	v_frexp_exp_i32_f64_e32 v83, v[83:84]
	v_frexp_mant_f32_e32 v84, v87
	s_delay_alu instid0(VALU_DEP_1) | instskip(SKIP_1) | instid1(VALU_DEP_1)
	v_cmp_gt_f32_e64 s18, 0x3f2aaaab, v84
	v_add_f32_e32 v84, -1.0, v87
	v_dual_sub_f32 v97, v84, v87 :: v_dual_sub_f32 v84, v85, v84
	s_delay_alu instid0(VALU_DEP_3) | instskip(SKIP_1) | instid1(VALU_DEP_1)
	v_subrev_co_ci_u32_e64 v83, s18, 0, v83, s18
	s_mov_b32 s18, 0x3e9b6dac
	v_sub_nc_u32_e32 v96, 0, v83
	v_cvt_f32_i32_e32 v83, v83
	s_delay_alu instid0(VALU_DEP_2) | instskip(NEXT) | instid1(VALU_DEP_1)
	v_ldexp_f32 v87, v87, v96
	v_dual_add_f32 v97, 1.0, v97 :: v_dual_add_f32 v98, 1.0, v87
	s_delay_alu instid0(VALU_DEP_1) | instskip(NEXT) | instid1(VALU_DEP_1)
	v_dual_add_f32 v84, v84, v97 :: v_dual_add_f32 v97, -1.0, v98
	v_ldexp_f32 v84, v84, v96
	s_delay_alu instid0(VALU_DEP_2) | instskip(NEXT) | instid1(VALU_DEP_1)
	v_dual_add_f32 v96, -1.0, v87 :: v_dual_sub_f32 v97, v87, v97
	v_add_f32_e32 v99, 1.0, v96
	s_delay_alu instid0(VALU_DEP_2) | instskip(NEXT) | instid1(VALU_DEP_2)
	v_add_f32_e32 v97, v84, v97
	v_sub_f32_e32 v87, v87, v99
	s_delay_alu instid0(VALU_DEP_1) | instskip(NEXT) | instid1(VALU_DEP_1)
	v_dual_add_f32 v99, v98, v97 :: v_dual_add_f32 v84, v84, v87
	v_rcp_f32_e32 v87, v99
	v_sub_f32_e32 v98, v98, v99
	s_delay_alu instid0(VALU_DEP_1) | instskip(NEXT) | instid1(VALU_DEP_1)
	v_dual_add_f32 v100, v96, v84 :: v_dual_add_f32 v97, v97, v98
	v_sub_f32_e32 v96, v96, v100
	s_waitcnt_depctr 0xfff
	v_mul_f32_e32 v101, v100, v87
	v_add_f32_e32 v84, v84, v96
	s_delay_alu instid0(VALU_DEP_2) | instskip(NEXT) | instid1(VALU_DEP_1)
	v_mul_f32_e32 v102, v99, v101
	v_fma_f32 v98, v101, v99, -v102
	s_delay_alu instid0(VALU_DEP_1) | instskip(NEXT) | instid1(VALU_DEP_1)
	v_fmac_f32_e32 v98, v101, v97
	v_add_f32_e32 v103, v102, v98
	s_delay_alu instid0(VALU_DEP_1) | instskip(SKIP_1) | instid1(VALU_DEP_2)
	v_sub_f32_e32 v112, v100, v103
	v_sub_f32_e32 v96, v103, v102
	;; [unrolled: 1-line block ×3, first 2 shown]
	s_delay_alu instid0(VALU_DEP_2) | instskip(NEXT) | instid1(VALU_DEP_2)
	v_sub_f32_e32 v96, v96, v98
	v_sub_f32_e32 v100, v100, v103
	s_delay_alu instid0(VALU_DEP_1) | instskip(NEXT) | instid1(VALU_DEP_1)
	v_add_f32_e32 v84, v84, v100
	v_add_f32_e32 v84, v96, v84
	s_delay_alu instid0(VALU_DEP_1) | instskip(NEXT) | instid1(VALU_DEP_1)
	v_add_f32_e32 v96, v112, v84
	v_mul_f32_e32 v98, v87, v96
	s_delay_alu instid0(VALU_DEP_1) | instskip(NEXT) | instid1(VALU_DEP_1)
	v_mul_f32_e32 v100, v99, v98
	v_fma_f32 v99, v98, v99, -v100
	s_delay_alu instid0(VALU_DEP_1) | instskip(SKIP_1) | instid1(VALU_DEP_2)
	v_fmac_f32_e32 v99, v98, v97
	v_sub_f32_e32 v103, v112, v96
	v_add_f32_e32 v97, v100, v99
	s_delay_alu instid0(VALU_DEP_2) | instskip(NEXT) | instid1(VALU_DEP_2)
	v_add_f32_e32 v84, v84, v103
	v_sub_f32_e32 v102, v96, v97
	v_sub_f32_e32 v100, v97, v100
	s_delay_alu instid0(VALU_DEP_2) | instskip(NEXT) | instid1(VALU_DEP_1)
	v_sub_f32_e32 v96, v96, v102
	v_sub_f32_e32 v96, v96, v97
	s_delay_alu instid0(VALU_DEP_3) | instskip(NEXT) | instid1(VALU_DEP_2)
	v_sub_f32_e32 v97, v100, v99
	v_add_f32_e32 v84, v84, v96
	v_add_f32_e32 v96, v101, v98
	s_delay_alu instid0(VALU_DEP_1) | instskip(NEXT) | instid1(VALU_DEP_1)
	v_dual_add_f32 v84, v97, v84 :: v_dual_sub_f32 v97, v96, v101
	v_add_f32_e32 v84, v102, v84
	s_delay_alu instid0(VALU_DEP_1) | instskip(NEXT) | instid1(VALU_DEP_1)
	v_dual_sub_f32 v97, v98, v97 :: v_dual_mul_f32 v84, v87, v84
	v_add_f32_e32 v84, v97, v84
	s_delay_alu instid0(VALU_DEP_1) | instskip(NEXT) | instid1(VALU_DEP_1)
	v_add_f32_e32 v87, v96, v84
	v_mul_f32_e32 v97, v87, v87
	s_delay_alu instid0(VALU_DEP_1) | instskip(SKIP_2) | instid1(VALU_DEP_3)
	v_fmaak_f32 v98, s18, v97, 0x3ecc95a3
	v_mul_f32_e32 v99, v87, v97
	v_cmp_eq_f32_e64 s18, 0x7f800000, v85
	v_fmaak_f32 v97, v97, v98, 0x3f2aaada
	v_ldexp_f32 v98, v87, 1
	v_sub_f32_e32 v87, v87, v96
	s_delay_alu instid0(VALU_DEP_4) | instskip(NEXT) | instid1(VALU_DEP_3)
	s_or_b32 s18, s18, s20
	v_mul_f32_e32 v97, v99, v97
	v_mul_f32_e32 v99, 0x3f317218, v83
	s_delay_alu instid0(VALU_DEP_3) | instskip(NEXT) | instid1(VALU_DEP_3)
	v_sub_f32_e32 v84, v84, v87
	v_add_f32_e32 v96, v98, v97
	s_delay_alu instid0(VALU_DEP_2) | instskip(NEXT) | instid1(VALU_DEP_2)
	v_ldexp_f32 v84, v84, 1
	v_sub_f32_e32 v87, v96, v98
	v_fma_f32 v98, 0x3f317218, v83, -v99
	s_delay_alu instid0(VALU_DEP_2) | instskip(NEXT) | instid1(VALU_DEP_1)
	v_sub_f32_e32 v87, v97, v87
	v_dual_fmamk_f32 v83, v83, 0xb102e308, v98 :: v_dual_add_f32 v84, v84, v87
	s_delay_alu instid0(VALU_DEP_1) | instskip(NEXT) | instid1(VALU_DEP_2)
	v_add_f32_e32 v87, v99, v83
	v_add_f32_e32 v97, v96, v84
	s_delay_alu instid0(VALU_DEP_2) | instskip(NEXT) | instid1(VALU_DEP_2)
	v_sub_f32_e32 v99, v87, v99
	v_add_f32_e32 v98, v87, v97
	s_delay_alu instid0(VALU_DEP_2) | instskip(NEXT) | instid1(VALU_DEP_2)
	v_sub_f32_e32 v83, v83, v99
	v_sub_f32_e32 v100, v98, v87
	;; [unrolled: 1-line block ×3, first 2 shown]
	s_delay_alu instid0(VALU_DEP_2) | instskip(NEXT) | instid1(VALU_DEP_2)
	v_sub_f32_e32 v101, v98, v100
	v_sub_f32_e32 v84, v84, v96
	s_delay_alu instid0(VALU_DEP_2) | instskip(NEXT) | instid1(VALU_DEP_2)
	v_dual_sub_f32 v96, v97, v100 :: v_dual_sub_f32 v87, v87, v101
	v_add_f32_e32 v97, v83, v84
	s_delay_alu instid0(VALU_DEP_2) | instskip(NEXT) | instid1(VALU_DEP_2)
	v_add_f32_e32 v87, v96, v87
	v_sub_f32_e32 v96, v97, v83
	s_delay_alu instid0(VALU_DEP_2) | instskip(NEXT) | instid1(VALU_DEP_2)
	v_add_f32_e32 v87, v97, v87
	v_sub_f32_e32 v97, v97, v96
	s_delay_alu instid0(VALU_DEP_2) | instskip(NEXT) | instid1(VALU_DEP_2)
	v_dual_sub_f32 v84, v84, v96 :: v_dual_add_f32 v99, v98, v87
	v_sub_f32_e32 v83, v83, v97
	s_delay_alu instid0(VALU_DEP_1) | instskip(NEXT) | instid1(VALU_DEP_1)
	v_dual_sub_f32 v96, v99, v98 :: v_dual_add_f32 v83, v84, v83
	v_sub_f32_e32 v84, v87, v96
	s_delay_alu instid0(VALU_DEP_1) | instskip(NEXT) | instid1(VALU_DEP_1)
	v_add_f32_e32 v83, v83, v84
	v_add_f32_e32 v83, v99, v83
	s_delay_alu instid0(VALU_DEP_1) | instskip(NEXT) | instid1(VALU_DEP_1)
	v_cndmask_b32_e64 v83, v83, v85, s18
	v_add_f32_e32 v83, v82, v83
.LBB453_272:
	s_or_b32 exec_lo, exec_lo, s19
	s_delay_alu instid0(VALU_DEP_1) | instskip(SKIP_2) | instid1(VALU_DEP_3)
	v_bfe_u32 v82, v83, 16, 1
	v_cmp_o_f32_e64 s18, v83, v83
	v_lshlrev_b32_e32 v29, 16, v29
	v_add3_u32 v82, v83, v82, 0x7fff
	s_delay_alu instid0(VALU_DEP_1) | instskip(NEXT) | instid1(VALU_DEP_1)
	v_and_b32_e32 v82, 0xffff0000, v82
	v_cndmask_b32_e64 v84, 0x7fc00000, v82, s18
	s_delay_alu instid0(VALU_DEP_1) | instskip(SKIP_1) | instid1(VALU_DEP_2)
	v_dual_max_f32 v82, v29, v29 :: v_dual_max_f32 v83, v84, v84
	v_cmp_u_f32_e64 s18, v84, v84
	v_min_f32_e32 v85, v83, v82
	v_max_f32_e32 v83, v83, v82
	s_delay_alu instid0(VALU_DEP_2) | instskip(NEXT) | instid1(VALU_DEP_2)
	v_cndmask_b32_e64 v85, v85, v84, s18
	v_cndmask_b32_e64 v83, v83, v84, s18
	v_cmp_u_f32_e64 s18, v29, v29
	s_delay_alu instid0(VALU_DEP_1) | instskip(NEXT) | instid1(VALU_DEP_3)
	v_cndmask_b32_e64 v85, v85, v29, s18
	v_cndmask_b32_e64 v83, v83, v29, s18
	s_delay_alu instid0(VALU_DEP_2) | instskip(NEXT) | instid1(VALU_DEP_2)
	v_cmp_class_f32_e64 s20, v85, 0x1f8
	v_cmp_neq_f32_e64 s19, v85, v83
	s_delay_alu instid0(VALU_DEP_1) | instskip(NEXT) | instid1(SALU_CYCLE_1)
	s_or_b32 s19, s19, s20
	s_and_saveexec_b32 s20, s19
	s_cbranch_execz .LBB453_274
; %bb.273:
	v_sub_f32_e32 v84, v85, v83
	s_delay_alu instid0(VALU_DEP_1) | instskip(SKIP_1) | instid1(VALU_DEP_2)
	v_mul_f32_e32 v85, 0x3fb8aa3b, v84
	v_cmp_ngt_f32_e64 s19, 0xc2ce8ed0, v84
	v_fma_f32 v87, 0x3fb8aa3b, v84, -v85
	v_rndne_f32_e32 v96, v85
	s_delay_alu instid0(VALU_DEP_2) | instskip(NEXT) | instid1(VALU_DEP_2)
	v_fmamk_f32 v87, v84, 0x32a5705f, v87
	v_sub_f32_e32 v85, v85, v96
	s_delay_alu instid0(VALU_DEP_1) | instskip(SKIP_1) | instid1(VALU_DEP_2)
	v_add_f32_e32 v85, v85, v87
	v_cvt_i32_f32_e32 v87, v96
	v_exp_f32_e32 v85, v85
	s_waitcnt_depctr 0xfff
	v_ldexp_f32 v85, v85, v87
	s_delay_alu instid0(VALU_DEP_1) | instskip(SKIP_1) | instid1(VALU_DEP_1)
	v_cndmask_b32_e64 v85, 0, v85, s19
	v_cmp_nlt_f32_e64 s19, 0x42b17218, v84
	v_cndmask_b32_e64 v87, 0x7f800000, v85, s19
	s_delay_alu instid0(VALU_DEP_1) | instskip(SKIP_1) | instid1(VALU_DEP_2)
	v_add_f32_e32 v96, 1.0, v87
	v_cmp_gt_f32_e64 s21, 0x33800000, |v87|
	v_cvt_f64_f32_e32 v[84:85], v96
	s_delay_alu instid0(VALU_DEP_1) | instskip(SKIP_1) | instid1(VALU_DEP_1)
	v_frexp_exp_i32_f64_e32 v84, v[84:85]
	v_frexp_mant_f32_e32 v85, v96
	v_cmp_gt_f32_e64 s19, 0x3f2aaaab, v85
	v_add_f32_e32 v85, -1.0, v96
	s_delay_alu instid0(VALU_DEP_1) | instskip(NEXT) | instid1(VALU_DEP_1)
	v_sub_f32_e32 v98, v85, v96
	v_add_f32_e32 v98, 1.0, v98
	s_delay_alu instid0(VALU_DEP_4) | instskip(SKIP_1) | instid1(VALU_DEP_1)
	v_subrev_co_ci_u32_e64 v84, s19, 0, v84, s19
	s_mov_b32 s19, 0x3e9b6dac
	v_sub_nc_u32_e32 v97, 0, v84
	v_cvt_f32_i32_e32 v84, v84
	s_delay_alu instid0(VALU_DEP_2) | instskip(NEXT) | instid1(VALU_DEP_1)
	v_ldexp_f32 v96, v96, v97
	v_add_f32_e32 v99, 1.0, v96
	v_sub_f32_e32 v85, v87, v85
	s_delay_alu instid0(VALU_DEP_1) | instskip(NEXT) | instid1(VALU_DEP_1)
	v_add_f32_e32 v85, v85, v98
	v_ldexp_f32 v85, v85, v97
	v_add_f32_e32 v97, -1.0, v96
	s_delay_alu instid0(VALU_DEP_1) | instskip(SKIP_1) | instid1(VALU_DEP_1)
	v_add_f32_e32 v100, 1.0, v97
	v_add_f32_e32 v98, -1.0, v99
	v_sub_f32_e32 v98, v96, v98
	s_delay_alu instid0(VALU_DEP_3) | instskip(NEXT) | instid1(VALU_DEP_2)
	v_sub_f32_e32 v96, v96, v100
	v_add_f32_e32 v98, v85, v98
	s_delay_alu instid0(VALU_DEP_1) | instskip(NEXT) | instid1(VALU_DEP_1)
	v_dual_add_f32 v85, v85, v96 :: v_dual_add_f32 v100, v99, v98
	v_rcp_f32_e32 v96, v100
	v_sub_f32_e32 v99, v99, v100
	s_delay_alu instid0(VALU_DEP_1) | instskip(NEXT) | instid1(VALU_DEP_1)
	v_dual_add_f32 v101, v97, v85 :: v_dual_add_f32 v98, v98, v99
	v_sub_f32_e32 v97, v97, v101
	s_waitcnt_depctr 0xfff
	v_mul_f32_e32 v102, v101, v96
	v_add_f32_e32 v85, v85, v97
	s_delay_alu instid0(VALU_DEP_2) | instskip(NEXT) | instid1(VALU_DEP_1)
	v_mul_f32_e32 v103, v100, v102
	v_fma_f32 v99, v102, v100, -v103
	s_delay_alu instid0(VALU_DEP_1) | instskip(NEXT) | instid1(VALU_DEP_1)
	v_fmac_f32_e32 v99, v102, v98
	v_add_f32_e32 v112, v103, v99
	s_delay_alu instid0(VALU_DEP_1) | instskip(SKIP_1) | instid1(VALU_DEP_2)
	v_sub_f32_e32 v113, v101, v112
	v_sub_f32_e32 v97, v112, v103
	;; [unrolled: 1-line block ×3, first 2 shown]
	s_delay_alu instid0(VALU_DEP_2) | instskip(NEXT) | instid1(VALU_DEP_2)
	v_sub_f32_e32 v97, v97, v99
	v_sub_f32_e32 v101, v101, v112
	s_delay_alu instid0(VALU_DEP_1) | instskip(NEXT) | instid1(VALU_DEP_1)
	v_add_f32_e32 v85, v85, v101
	v_add_f32_e32 v85, v97, v85
	s_delay_alu instid0(VALU_DEP_1) | instskip(NEXT) | instid1(VALU_DEP_1)
	v_add_f32_e32 v97, v113, v85
	v_mul_f32_e32 v99, v96, v97
	s_delay_alu instid0(VALU_DEP_1) | instskip(NEXT) | instid1(VALU_DEP_1)
	v_mul_f32_e32 v101, v100, v99
	v_fma_f32 v100, v99, v100, -v101
	s_delay_alu instid0(VALU_DEP_1) | instskip(SKIP_1) | instid1(VALU_DEP_2)
	v_fmac_f32_e32 v100, v99, v98
	v_sub_f32_e32 v112, v113, v97
	v_add_f32_e32 v98, v101, v100
	s_delay_alu instid0(VALU_DEP_2) | instskip(NEXT) | instid1(VALU_DEP_2)
	v_add_f32_e32 v85, v85, v112
	v_sub_f32_e32 v103, v97, v98
	v_sub_f32_e32 v101, v98, v101
	s_delay_alu instid0(VALU_DEP_2) | instskip(NEXT) | instid1(VALU_DEP_1)
	v_sub_f32_e32 v97, v97, v103
	v_sub_f32_e32 v97, v97, v98
	s_delay_alu instid0(VALU_DEP_3) | instskip(NEXT) | instid1(VALU_DEP_2)
	v_sub_f32_e32 v98, v101, v100
	v_add_f32_e32 v85, v85, v97
	v_add_f32_e32 v97, v102, v99
	s_delay_alu instid0(VALU_DEP_1) | instskip(NEXT) | instid1(VALU_DEP_1)
	v_dual_add_f32 v85, v98, v85 :: v_dual_sub_f32 v98, v97, v102
	v_add_f32_e32 v85, v103, v85
	s_delay_alu instid0(VALU_DEP_1) | instskip(NEXT) | instid1(VALU_DEP_1)
	v_dual_sub_f32 v98, v99, v98 :: v_dual_mul_f32 v85, v96, v85
	v_add_f32_e32 v85, v98, v85
	s_delay_alu instid0(VALU_DEP_1) | instskip(NEXT) | instid1(VALU_DEP_1)
	v_add_f32_e32 v96, v97, v85
	v_mul_f32_e32 v98, v96, v96
	s_delay_alu instid0(VALU_DEP_1) | instskip(SKIP_2) | instid1(VALU_DEP_3)
	v_fmaak_f32 v99, s19, v98, 0x3ecc95a3
	v_mul_f32_e32 v100, v96, v98
	v_cmp_eq_f32_e64 s19, 0x7f800000, v87
	v_fmaak_f32 v98, v98, v99, 0x3f2aaada
	v_ldexp_f32 v99, v96, 1
	v_sub_f32_e32 v96, v96, v97
	s_delay_alu instid0(VALU_DEP_4) | instskip(NEXT) | instid1(VALU_DEP_3)
	s_or_b32 s19, s19, s21
	v_mul_f32_e32 v98, v100, v98
	v_mul_f32_e32 v100, 0x3f317218, v84
	s_delay_alu instid0(VALU_DEP_3) | instskip(NEXT) | instid1(VALU_DEP_3)
	v_sub_f32_e32 v85, v85, v96
	v_add_f32_e32 v97, v99, v98
	s_delay_alu instid0(VALU_DEP_2) | instskip(NEXT) | instid1(VALU_DEP_2)
	v_ldexp_f32 v85, v85, 1
	v_sub_f32_e32 v96, v97, v99
	v_fma_f32 v99, 0x3f317218, v84, -v100
	s_delay_alu instid0(VALU_DEP_2) | instskip(NEXT) | instid1(VALU_DEP_1)
	v_sub_f32_e32 v96, v98, v96
	v_dual_fmamk_f32 v84, v84, 0xb102e308, v99 :: v_dual_add_f32 v85, v85, v96
	s_delay_alu instid0(VALU_DEP_1) | instskip(NEXT) | instid1(VALU_DEP_2)
	v_add_f32_e32 v96, v100, v84
	v_add_f32_e32 v98, v97, v85
	s_delay_alu instid0(VALU_DEP_2) | instskip(NEXT) | instid1(VALU_DEP_2)
	v_sub_f32_e32 v100, v96, v100
	v_add_f32_e32 v99, v96, v98
	s_delay_alu instid0(VALU_DEP_2) | instskip(NEXT) | instid1(VALU_DEP_2)
	v_dual_sub_f32 v97, v98, v97 :: v_dual_sub_f32 v84, v84, v100
	v_sub_f32_e32 v101, v99, v96
	s_delay_alu instid0(VALU_DEP_2) | instskip(NEXT) | instid1(VALU_DEP_2)
	v_sub_f32_e32 v85, v85, v97
	v_sub_f32_e32 v102, v99, v101
	;; [unrolled: 1-line block ×3, first 2 shown]
	s_delay_alu instid0(VALU_DEP_3) | instskip(NEXT) | instid1(VALU_DEP_3)
	v_add_f32_e32 v98, v84, v85
	v_sub_f32_e32 v96, v96, v102
	s_delay_alu instid0(VALU_DEP_1) | instskip(NEXT) | instid1(VALU_DEP_3)
	v_add_f32_e32 v96, v97, v96
	v_sub_f32_e32 v97, v98, v84
	s_delay_alu instid0(VALU_DEP_2) | instskip(NEXT) | instid1(VALU_DEP_2)
	v_add_f32_e32 v96, v98, v96
	v_sub_f32_e32 v98, v98, v97
	s_delay_alu instid0(VALU_DEP_1) | instskip(NEXT) | instid1(VALU_DEP_1)
	v_dual_sub_f32 v85, v85, v97 :: v_dual_sub_f32 v84, v84, v98
	v_add_f32_e32 v84, v85, v84
	s_delay_alu instid0(VALU_DEP_4) | instskip(NEXT) | instid1(VALU_DEP_1)
	v_add_f32_e32 v100, v99, v96
	v_sub_f32_e32 v97, v100, v99
	s_delay_alu instid0(VALU_DEP_1) | instskip(NEXT) | instid1(VALU_DEP_1)
	v_sub_f32_e32 v85, v96, v97
	v_add_f32_e32 v84, v84, v85
	s_delay_alu instid0(VALU_DEP_1) | instskip(NEXT) | instid1(VALU_DEP_1)
	v_add_f32_e32 v84, v100, v84
	v_cndmask_b32_e64 v84, v84, v87, s19
	s_delay_alu instid0(VALU_DEP_1)
	v_add_f32_e32 v84, v83, v84
.LBB453_274:
	s_or_b32 exec_lo, exec_lo, s20
	s_delay_alu instid0(VALU_DEP_1) | instskip(SKIP_1) | instid1(VALU_DEP_2)
	v_bfe_u32 v83, v84, 16, 1
	v_cmp_o_f32_e64 s19, v84, v84
	v_add3_u32 v83, v84, v83, 0x7fff
	s_delay_alu instid0(VALU_DEP_1) | instskip(NEXT) | instid1(VALU_DEP_1)
	v_and_b32_e32 v83, 0xffff0000, v83
	v_cndmask_b32_e64 v85, 0x7fc00000, v83, s19
	s_delay_alu instid0(VALU_DEP_1) | instskip(SKIP_2) | instid1(VALU_DEP_2)
	v_max_f32_e32 v84, v85, v85
	v_lshlrev_b32_e32 v28, 16, v28
	v_cmp_u_f32_e64 s19, v85, v85
	v_max_f32_e32 v83, v28, v28
	s_delay_alu instid0(VALU_DEP_1) | instskip(SKIP_1) | instid1(VALU_DEP_2)
	v_min_f32_e32 v87, v84, v83
	v_max_f32_e32 v84, v84, v83
	v_cndmask_b32_e64 v87, v87, v85, s19
	s_delay_alu instid0(VALU_DEP_2) | instskip(SKIP_1) | instid1(VALU_DEP_1)
	v_cndmask_b32_e64 v84, v84, v85, s19
	v_cmp_u_f32_e64 s19, v28, v28
	v_cndmask_b32_e64 v87, v87, v28, s19
	s_delay_alu instid0(VALU_DEP_3) | instskip(NEXT) | instid1(VALU_DEP_2)
	v_cndmask_b32_e64 v84, v84, v28, s19
	v_cmp_class_f32_e64 s21, v87, 0x1f8
	s_delay_alu instid0(VALU_DEP_2) | instskip(NEXT) | instid1(VALU_DEP_1)
	v_cmp_neq_f32_e64 s20, v87, v84
	s_or_b32 s20, s20, s21
	s_delay_alu instid0(SALU_CYCLE_1)
	s_and_saveexec_b32 s21, s20
	s_cbranch_execz .LBB453_276
; %bb.275:
	v_sub_f32_e32 v85, v87, v84
	s_delay_alu instid0(VALU_DEP_1) | instskip(SKIP_1) | instid1(VALU_DEP_2)
	v_mul_f32_e32 v87, 0x3fb8aa3b, v85
	v_cmp_ngt_f32_e64 s20, 0xc2ce8ed0, v85
	v_fma_f32 v96, 0x3fb8aa3b, v85, -v87
	v_rndne_f32_e32 v97, v87
	s_delay_alu instid0(VALU_DEP_1) | instskip(NEXT) | instid1(VALU_DEP_1)
	v_dual_fmamk_f32 v96, v85, 0x32a5705f, v96 :: v_dual_sub_f32 v87, v87, v97
	v_add_f32_e32 v87, v87, v96
	v_cvt_i32_f32_e32 v96, v97
	s_delay_alu instid0(VALU_DEP_2) | instskip(SKIP_2) | instid1(VALU_DEP_1)
	v_exp_f32_e32 v87, v87
	s_waitcnt_depctr 0xfff
	v_ldexp_f32 v87, v87, v96
	v_cndmask_b32_e64 v87, 0, v87, s20
	v_cmp_nlt_f32_e64 s20, 0x42b17218, v85
	s_delay_alu instid0(VALU_DEP_1) | instskip(NEXT) | instid1(VALU_DEP_1)
	v_cndmask_b32_e64 v85, 0x7f800000, v87, s20
	v_add_f32_e32 v87, 1.0, v85
	v_cmp_gt_f32_e64 s24, 0x33800000, |v85|
	s_delay_alu instid0(VALU_DEP_2) | instskip(NEXT) | instid1(VALU_DEP_1)
	v_cvt_f64_f32_e32 v[96:97], v87
	v_frexp_exp_i32_f64_e32 v96, v[96:97]
	v_frexp_mant_f32_e32 v97, v87
	s_delay_alu instid0(VALU_DEP_1) | instskip(SKIP_1) | instid1(VALU_DEP_1)
	v_cmp_gt_f32_e64 s20, 0x3f2aaaab, v97
	v_add_f32_e32 v97, -1.0, v87
	v_sub_f32_e32 v99, v97, v87
	s_delay_alu instid0(VALU_DEP_1) | instskip(NEXT) | instid1(VALU_DEP_4)
	v_add_f32_e32 v99, 1.0, v99
	v_subrev_co_ci_u32_e64 v96, s20, 0, v96, s20
	s_mov_b32 s20, 0x3e9b6dac
	s_delay_alu instid0(VALU_DEP_1) | instskip(SKIP_1) | instid1(VALU_DEP_2)
	v_sub_nc_u32_e32 v98, 0, v96
	v_cvt_f32_i32_e32 v96, v96
	v_ldexp_f32 v87, v87, v98
	s_delay_alu instid0(VALU_DEP_1) | instskip(NEXT) | instid1(VALU_DEP_1)
	v_dual_sub_f32 v97, v85, v97 :: v_dual_add_f32 v100, 1.0, v87
	v_add_f32_e32 v97, v97, v99
	s_delay_alu instid0(VALU_DEP_1) | instskip(NEXT) | instid1(VALU_DEP_3)
	v_ldexp_f32 v97, v97, v98
	v_dual_add_f32 v98, -1.0, v87 :: v_dual_add_f32 v99, -1.0, v100
	s_delay_alu instid0(VALU_DEP_1) | instskip(NEXT) | instid1(VALU_DEP_2)
	v_add_f32_e32 v101, 1.0, v98
	v_sub_f32_e32 v99, v87, v99
	s_delay_alu instid0(VALU_DEP_2) | instskip(NEXT) | instid1(VALU_DEP_2)
	v_sub_f32_e32 v87, v87, v101
	v_add_f32_e32 v99, v97, v99
	s_delay_alu instid0(VALU_DEP_2) | instskip(NEXT) | instid1(VALU_DEP_2)
	v_add_f32_e32 v87, v97, v87
	v_add_f32_e32 v101, v100, v99
	s_delay_alu instid0(VALU_DEP_2) | instskip(NEXT) | instid1(VALU_DEP_2)
	v_add_f32_e32 v102, v98, v87
	v_rcp_f32_e32 v97, v101
	v_sub_f32_e32 v100, v100, v101
	s_delay_alu instid0(VALU_DEP_1) | instskip(NEXT) | instid1(VALU_DEP_1)
	v_dual_sub_f32 v98, v98, v102 :: v_dual_add_f32 v99, v99, v100
	v_add_f32_e32 v87, v87, v98
	s_waitcnt_depctr 0xfff
	v_mul_f32_e32 v103, v102, v97
	s_delay_alu instid0(VALU_DEP_1) | instskip(NEXT) | instid1(VALU_DEP_1)
	v_mul_f32_e32 v112, v101, v103
	v_fma_f32 v100, v103, v101, -v112
	s_delay_alu instid0(VALU_DEP_1) | instskip(NEXT) | instid1(VALU_DEP_1)
	v_fmac_f32_e32 v100, v103, v99
	v_add_f32_e32 v113, v112, v100
	s_delay_alu instid0(VALU_DEP_1) | instskip(SKIP_1) | instid1(VALU_DEP_2)
	v_sub_f32_e32 v114, v102, v113
	v_sub_f32_e32 v98, v113, v112
	;; [unrolled: 1-line block ×3, first 2 shown]
	s_delay_alu instid0(VALU_DEP_2) | instskip(NEXT) | instid1(VALU_DEP_2)
	v_sub_f32_e32 v98, v98, v100
	v_sub_f32_e32 v102, v102, v113
	s_delay_alu instid0(VALU_DEP_1) | instskip(NEXT) | instid1(VALU_DEP_1)
	v_add_f32_e32 v87, v87, v102
	v_add_f32_e32 v87, v98, v87
	s_delay_alu instid0(VALU_DEP_1) | instskip(NEXT) | instid1(VALU_DEP_1)
	v_add_f32_e32 v98, v114, v87
	v_mul_f32_e32 v100, v97, v98
	s_delay_alu instid0(VALU_DEP_1) | instskip(NEXT) | instid1(VALU_DEP_1)
	v_dual_sub_f32 v113, v114, v98 :: v_dual_mul_f32 v102, v101, v100
	v_add_f32_e32 v87, v87, v113
	s_delay_alu instid0(VALU_DEP_2) | instskip(NEXT) | instid1(VALU_DEP_1)
	v_fma_f32 v101, v100, v101, -v102
	v_fmac_f32_e32 v101, v100, v99
	s_delay_alu instid0(VALU_DEP_1) | instskip(NEXT) | instid1(VALU_DEP_1)
	v_add_f32_e32 v99, v102, v101
	v_sub_f32_e32 v112, v98, v99
	v_sub_f32_e32 v102, v99, v102
	s_delay_alu instid0(VALU_DEP_2) | instskip(NEXT) | instid1(VALU_DEP_1)
	v_sub_f32_e32 v98, v98, v112
	v_sub_f32_e32 v98, v98, v99
	s_delay_alu instid0(VALU_DEP_3) | instskip(NEXT) | instid1(VALU_DEP_2)
	v_sub_f32_e32 v99, v102, v101
	v_add_f32_e32 v87, v87, v98
	v_add_f32_e32 v98, v103, v100
	s_delay_alu instid0(VALU_DEP_2) | instskip(NEXT) | instid1(VALU_DEP_2)
	v_add_f32_e32 v87, v99, v87
	v_sub_f32_e32 v99, v98, v103
	s_delay_alu instid0(VALU_DEP_2) | instskip(NEXT) | instid1(VALU_DEP_2)
	v_add_f32_e32 v87, v112, v87
	v_sub_f32_e32 v99, v100, v99
	s_delay_alu instid0(VALU_DEP_2) | instskip(NEXT) | instid1(VALU_DEP_1)
	v_mul_f32_e32 v87, v97, v87
	v_add_f32_e32 v87, v99, v87
	s_delay_alu instid0(VALU_DEP_1) | instskip(NEXT) | instid1(VALU_DEP_1)
	v_add_f32_e32 v97, v98, v87
	v_mul_f32_e32 v99, v97, v97
	s_delay_alu instid0(VALU_DEP_1) | instskip(SKIP_2) | instid1(VALU_DEP_3)
	v_fmaak_f32 v100, s20, v99, 0x3ecc95a3
	v_mul_f32_e32 v101, v97, v99
	v_cmp_eq_f32_e64 s20, 0x7f800000, v85
	v_fmaak_f32 v99, v99, v100, 0x3f2aaada
	v_ldexp_f32 v100, v97, 1
	v_sub_f32_e32 v97, v97, v98
	s_delay_alu instid0(VALU_DEP_4) | instskip(NEXT) | instid1(VALU_DEP_3)
	s_or_b32 s20, s20, s24
	v_mul_f32_e32 v99, v101, v99
	v_mul_f32_e32 v101, 0x3f317218, v96
	s_delay_alu instid0(VALU_DEP_2) | instskip(NEXT) | instid1(VALU_DEP_1)
	v_dual_sub_f32 v87, v87, v97 :: v_dual_add_f32 v98, v100, v99
	v_ldexp_f32 v87, v87, 1
	s_delay_alu instid0(VALU_DEP_2) | instskip(NEXT) | instid1(VALU_DEP_4)
	v_sub_f32_e32 v97, v98, v100
	v_fma_f32 v100, 0x3f317218, v96, -v101
	s_delay_alu instid0(VALU_DEP_1) | instskip(NEXT) | instid1(VALU_DEP_1)
	v_dual_sub_f32 v97, v99, v97 :: v_dual_fmamk_f32 v96, v96, 0xb102e308, v100
	v_add_f32_e32 v87, v87, v97
	s_delay_alu instid0(VALU_DEP_2) | instskip(NEXT) | instid1(VALU_DEP_2)
	v_add_f32_e32 v97, v101, v96
	v_add_f32_e32 v99, v98, v87
	s_delay_alu instid0(VALU_DEP_2) | instskip(NEXT) | instid1(VALU_DEP_2)
	v_sub_f32_e32 v101, v97, v101
	v_add_f32_e32 v100, v97, v99
	v_sub_f32_e32 v98, v99, v98
	s_delay_alu instid0(VALU_DEP_3) | instskip(NEXT) | instid1(VALU_DEP_2)
	v_sub_f32_e32 v96, v96, v101
	v_dual_sub_f32 v102, v100, v97 :: v_dual_sub_f32 v87, v87, v98
	s_delay_alu instid0(VALU_DEP_1) | instskip(NEXT) | instid1(VALU_DEP_2)
	v_sub_f32_e32 v103, v100, v102
	v_dual_sub_f32 v98, v99, v102 :: v_dual_add_f32 v99, v96, v87
	s_delay_alu instid0(VALU_DEP_2) | instskip(NEXT) | instid1(VALU_DEP_1)
	v_sub_f32_e32 v97, v97, v103
	v_dual_add_f32 v97, v98, v97 :: v_dual_sub_f32 v98, v99, v96
	s_delay_alu instid0(VALU_DEP_1) | instskip(NEXT) | instid1(VALU_DEP_2)
	v_add_f32_e32 v97, v99, v97
	v_sub_f32_e32 v99, v99, v98
	v_sub_f32_e32 v87, v87, v98
	s_delay_alu instid0(VALU_DEP_3) | instskip(NEXT) | instid1(VALU_DEP_3)
	v_add_f32_e32 v101, v100, v97
	v_sub_f32_e32 v96, v96, v99
	s_delay_alu instid0(VALU_DEP_2) | instskip(NEXT) | instid1(VALU_DEP_1)
	v_sub_f32_e32 v98, v101, v100
	v_dual_add_f32 v87, v87, v96 :: v_dual_sub_f32 v96, v97, v98
	s_delay_alu instid0(VALU_DEP_1) | instskip(NEXT) | instid1(VALU_DEP_1)
	v_add_f32_e32 v87, v87, v96
	v_add_f32_e32 v87, v101, v87
	s_delay_alu instid0(VALU_DEP_1) | instskip(NEXT) | instid1(VALU_DEP_1)
	v_cndmask_b32_e64 v85, v87, v85, s20
	v_add_f32_e32 v85, v84, v85
.LBB453_276:
	s_or_b32 exec_lo, exec_lo, s21
	s_delay_alu instid0(VALU_DEP_1) | instskip(SKIP_1) | instid1(VALU_DEP_2)
	v_bfe_u32 v84, v85, 16, 1
	v_cmp_o_f32_e64 s20, v85, v85
	v_add3_u32 v84, v85, v84, 0x7fff
	s_delay_alu instid0(VALU_DEP_1) | instskip(NEXT) | instid1(VALU_DEP_1)
	v_and_b32_e32 v84, 0xffff0000, v84
	v_cndmask_b32_e64 v87, 0x7fc00000, v84, s20
	s_delay_alu instid0(VALU_DEP_1) | instskip(SKIP_2) | instid1(VALU_DEP_2)
	v_max_f32_e32 v85, v87, v87
	v_lshlrev_b32_e32 v27, 16, v27
	v_cmp_u_f32_e64 s20, v87, v87
	v_max_f32_e32 v84, v27, v27
	s_delay_alu instid0(VALU_DEP_1) | instskip(SKIP_1) | instid1(VALU_DEP_2)
	v_min_f32_e32 v96, v85, v84
	v_max_f32_e32 v85, v85, v84
	v_cndmask_b32_e64 v96, v96, v87, s20
	s_delay_alu instid0(VALU_DEP_2) | instskip(SKIP_1) | instid1(VALU_DEP_1)
	v_cndmask_b32_e64 v85, v85, v87, s20
	v_cmp_u_f32_e64 s20, v27, v27
	v_cndmask_b32_e64 v96, v96, v27, s20
	s_delay_alu instid0(VALU_DEP_3) | instskip(NEXT) | instid1(VALU_DEP_2)
	v_cndmask_b32_e64 v85, v85, v27, s20
	v_cmp_class_f32_e64 s24, v96, 0x1f8
	s_delay_alu instid0(VALU_DEP_2) | instskip(NEXT) | instid1(VALU_DEP_1)
	v_cmp_neq_f32_e64 s21, v96, v85
	s_or_b32 s21, s21, s24
	s_delay_alu instid0(SALU_CYCLE_1)
	s_and_saveexec_b32 s24, s21
	s_cbranch_execz .LBB453_278
; %bb.277:
	v_sub_f32_e32 v87, v96, v85
	s_delay_alu instid0(VALU_DEP_1) | instskip(SKIP_1) | instid1(VALU_DEP_2)
	v_mul_f32_e32 v96, 0x3fb8aa3b, v87
	v_cmp_ngt_f32_e64 s21, 0xc2ce8ed0, v87
	v_fma_f32 v97, 0x3fb8aa3b, v87, -v96
	v_rndne_f32_e32 v98, v96
	s_delay_alu instid0(VALU_DEP_1) | instskip(NEXT) | instid1(VALU_DEP_1)
	v_dual_fmamk_f32 v97, v87, 0x32a5705f, v97 :: v_dual_sub_f32 v96, v96, v98
	v_add_f32_e32 v96, v96, v97
	v_cvt_i32_f32_e32 v97, v98
	s_delay_alu instid0(VALU_DEP_2) | instskip(SKIP_2) | instid1(VALU_DEP_1)
	v_exp_f32_e32 v96, v96
	s_waitcnt_depctr 0xfff
	v_ldexp_f32 v96, v96, v97
	v_cndmask_b32_e64 v96, 0, v96, s21
	v_cmp_nlt_f32_e64 s21, 0x42b17218, v87
	s_delay_alu instid0(VALU_DEP_1) | instskip(NEXT) | instid1(VALU_DEP_1)
	v_cndmask_b32_e64 v87, 0x7f800000, v96, s21
	v_add_f32_e32 v98, 1.0, v87
	v_cmp_gt_f32_e64 s25, 0x33800000, |v87|
	s_delay_alu instid0(VALU_DEP_2) | instskip(NEXT) | instid1(VALU_DEP_1)
	v_cvt_f64_f32_e32 v[96:97], v98
	v_frexp_exp_i32_f64_e32 v96, v[96:97]
	v_frexp_mant_f32_e32 v97, v98
	s_delay_alu instid0(VALU_DEP_1) | instskip(SKIP_1) | instid1(VALU_DEP_1)
	v_cmp_gt_f32_e64 s21, 0x3f2aaaab, v97
	v_add_f32_e32 v97, -1.0, v98
	v_dual_sub_f32 v100, v97, v98 :: v_dual_sub_f32 v97, v87, v97
	s_delay_alu instid0(VALU_DEP_3) | instskip(SKIP_1) | instid1(VALU_DEP_1)
	v_subrev_co_ci_u32_e64 v96, s21, 0, v96, s21
	s_mov_b32 s21, 0x3e9b6dac
	v_sub_nc_u32_e32 v99, 0, v96
	v_cvt_f32_i32_e32 v96, v96
	s_delay_alu instid0(VALU_DEP_2) | instskip(NEXT) | instid1(VALU_DEP_1)
	v_ldexp_f32 v98, v98, v99
	v_dual_add_f32 v100, 1.0, v100 :: v_dual_add_f32 v101, 1.0, v98
	s_delay_alu instid0(VALU_DEP_1) | instskip(NEXT) | instid1(VALU_DEP_1)
	v_dual_add_f32 v97, v97, v100 :: v_dual_add_f32 v100, -1.0, v101
	v_ldexp_f32 v97, v97, v99
	s_delay_alu instid0(VALU_DEP_2) | instskip(NEXT) | instid1(VALU_DEP_1)
	v_dual_add_f32 v99, -1.0, v98 :: v_dual_sub_f32 v100, v98, v100
	v_add_f32_e32 v102, 1.0, v99
	s_delay_alu instid0(VALU_DEP_2) | instskip(NEXT) | instid1(VALU_DEP_2)
	v_add_f32_e32 v100, v97, v100
	v_sub_f32_e32 v98, v98, v102
	s_delay_alu instid0(VALU_DEP_1) | instskip(NEXT) | instid1(VALU_DEP_1)
	v_add_f32_e32 v97, v97, v98
	v_dual_add_f32 v103, v99, v97 :: v_dual_add_f32 v102, v101, v100
	s_delay_alu instid0(VALU_DEP_1) | instskip(NEXT) | instid1(VALU_DEP_2)
	v_sub_f32_e32 v99, v99, v103
	v_rcp_f32_e32 v98, v102
	v_sub_f32_e32 v101, v101, v102
	s_delay_alu instid0(VALU_DEP_1) | instskip(SKIP_2) | instid1(VALU_DEP_1)
	v_dual_add_f32 v97, v97, v99 :: v_dual_add_f32 v100, v100, v101
	s_waitcnt_depctr 0xfff
	v_mul_f32_e32 v112, v103, v98
	v_mul_f32_e32 v113, v102, v112
	s_delay_alu instid0(VALU_DEP_1) | instskip(NEXT) | instid1(VALU_DEP_1)
	v_fma_f32 v101, v112, v102, -v113
	v_fmac_f32_e32 v101, v112, v100
	s_delay_alu instid0(VALU_DEP_1) | instskip(NEXT) | instid1(VALU_DEP_1)
	v_add_f32_e32 v114, v113, v101
	v_sub_f32_e32 v115, v103, v114
	s_delay_alu instid0(VALU_DEP_1) | instskip(SKIP_1) | instid1(VALU_DEP_2)
	v_sub_f32_e32 v103, v103, v115
	v_sub_f32_e32 v99, v114, v113
	;; [unrolled: 1-line block ×3, first 2 shown]
	s_delay_alu instid0(VALU_DEP_2) | instskip(NEXT) | instid1(VALU_DEP_2)
	v_sub_f32_e32 v99, v99, v101
	v_add_f32_e32 v97, v97, v103
	s_delay_alu instid0(VALU_DEP_1) | instskip(NEXT) | instid1(VALU_DEP_1)
	v_add_f32_e32 v97, v99, v97
	v_add_f32_e32 v99, v115, v97
	s_delay_alu instid0(VALU_DEP_1) | instskip(NEXT) | instid1(VALU_DEP_1)
	v_mul_f32_e32 v101, v98, v99
	v_dual_sub_f32 v114, v115, v99 :: v_dual_mul_f32 v103, v102, v101
	s_delay_alu instid0(VALU_DEP_1) | instskip(NEXT) | instid1(VALU_DEP_2)
	v_add_f32_e32 v97, v97, v114
	v_fma_f32 v102, v101, v102, -v103
	s_delay_alu instid0(VALU_DEP_1) | instskip(NEXT) | instid1(VALU_DEP_1)
	v_fmac_f32_e32 v102, v101, v100
	v_add_f32_e32 v100, v103, v102
	s_delay_alu instid0(VALU_DEP_1) | instskip(SKIP_1) | instid1(VALU_DEP_2)
	v_sub_f32_e32 v113, v99, v100
	v_sub_f32_e32 v103, v100, v103
	;; [unrolled: 1-line block ×3, first 2 shown]
	s_delay_alu instid0(VALU_DEP_1) | instskip(NEXT) | instid1(VALU_DEP_1)
	v_sub_f32_e32 v99, v99, v100
	v_dual_sub_f32 v100, v103, v102 :: v_dual_add_f32 v97, v97, v99
	v_add_f32_e32 v99, v112, v101
	s_delay_alu instid0(VALU_DEP_1) | instskip(NEXT) | instid1(VALU_DEP_1)
	v_dual_add_f32 v97, v100, v97 :: v_dual_sub_f32 v100, v99, v112
	v_add_f32_e32 v97, v113, v97
	s_delay_alu instid0(VALU_DEP_1) | instskip(NEXT) | instid1(VALU_DEP_1)
	v_dual_sub_f32 v100, v101, v100 :: v_dual_mul_f32 v97, v98, v97
	v_add_f32_e32 v97, v100, v97
	s_delay_alu instid0(VALU_DEP_1) | instskip(NEXT) | instid1(VALU_DEP_1)
	v_add_f32_e32 v98, v99, v97
	v_mul_f32_e32 v100, v98, v98
	s_delay_alu instid0(VALU_DEP_1) | instskip(SKIP_2) | instid1(VALU_DEP_3)
	v_fmaak_f32 v101, s21, v100, 0x3ecc95a3
	v_mul_f32_e32 v102, v98, v100
	v_cmp_eq_f32_e64 s21, 0x7f800000, v87
	v_fmaak_f32 v100, v100, v101, 0x3f2aaada
	v_ldexp_f32 v101, v98, 1
	v_sub_f32_e32 v98, v98, v99
	s_delay_alu instid0(VALU_DEP_4) | instskip(NEXT) | instid1(VALU_DEP_3)
	s_or_b32 s21, s21, s25
	v_mul_f32_e32 v100, v102, v100
	s_delay_alu instid0(VALU_DEP_2) | instskip(NEXT) | instid1(VALU_DEP_2)
	v_dual_mul_f32 v102, 0x3f317218, v96 :: v_dual_sub_f32 v97, v97, v98
	v_add_f32_e32 v99, v101, v100
	s_delay_alu instid0(VALU_DEP_2) | instskip(NEXT) | instid1(VALU_DEP_2)
	v_ldexp_f32 v97, v97, 1
	v_sub_f32_e32 v98, v99, v101
	s_delay_alu instid0(VALU_DEP_4) | instskip(NEXT) | instid1(VALU_DEP_2)
	v_fma_f32 v101, 0x3f317218, v96, -v102
	v_sub_f32_e32 v98, v100, v98
	s_delay_alu instid0(VALU_DEP_1) | instskip(NEXT) | instid1(VALU_DEP_1)
	v_dual_fmamk_f32 v96, v96, 0xb102e308, v101 :: v_dual_add_f32 v97, v97, v98
	v_add_f32_e32 v98, v102, v96
	s_delay_alu instid0(VALU_DEP_1) | instskip(NEXT) | instid1(VALU_DEP_1)
	v_sub_f32_e32 v102, v98, v102
	v_sub_f32_e32 v96, v96, v102
	s_delay_alu instid0(VALU_DEP_4) | instskip(NEXT) | instid1(VALU_DEP_1)
	v_add_f32_e32 v100, v99, v97
	v_sub_f32_e32 v99, v100, v99
	s_delay_alu instid0(VALU_DEP_1) | instskip(SKIP_1) | instid1(VALU_DEP_1)
	v_sub_f32_e32 v97, v97, v99
	v_add_f32_e32 v101, v98, v100
	v_sub_f32_e32 v103, v101, v98
	s_delay_alu instid0(VALU_DEP_1) | instskip(NEXT) | instid1(VALU_DEP_4)
	v_sub_f32_e32 v99, v100, v103
	v_add_f32_e32 v100, v96, v97
	v_sub_f32_e32 v112, v101, v103
	s_delay_alu instid0(VALU_DEP_1) | instskip(NEXT) | instid1(VALU_DEP_1)
	v_sub_f32_e32 v98, v98, v112
	v_dual_add_f32 v98, v99, v98 :: v_dual_sub_f32 v99, v100, v96
	s_delay_alu instid0(VALU_DEP_1) | instskip(SKIP_1) | instid1(VALU_DEP_2)
	v_dual_add_f32 v98, v100, v98 :: v_dual_sub_f32 v97, v97, v99
	v_sub_f32_e32 v100, v100, v99
	v_add_f32_e32 v102, v101, v98
	s_delay_alu instid0(VALU_DEP_1) | instskip(NEXT) | instid1(VALU_DEP_1)
	v_dual_sub_f32 v96, v96, v100 :: v_dual_sub_f32 v99, v102, v101
	v_dual_add_f32 v96, v97, v96 :: v_dual_sub_f32 v97, v98, v99
	s_delay_alu instid0(VALU_DEP_1) | instskip(NEXT) | instid1(VALU_DEP_1)
	v_add_f32_e32 v96, v96, v97
	v_add_f32_e32 v96, v102, v96
	s_delay_alu instid0(VALU_DEP_1) | instskip(NEXT) | instid1(VALU_DEP_1)
	v_cndmask_b32_e64 v87, v96, v87, s21
	v_add_f32_e32 v87, v85, v87
.LBB453_278:
	s_or_b32 exec_lo, exec_lo, s24
	s_delay_alu instid0(VALU_DEP_1) | instskip(SKIP_1) | instid1(VALU_DEP_2)
	v_bfe_u32 v85, v87, 16, 1
	v_cmp_o_f32_e64 s21, v87, v87
	v_add3_u32 v85, v87, v85, 0x7fff
	s_delay_alu instid0(VALU_DEP_1) | instskip(NEXT) | instid1(VALU_DEP_1)
	v_and_b32_e32 v85, 0xffff0000, v85
	v_cndmask_b32_e64 v96, 0x7fc00000, v85, s21
	s_delay_alu instid0(VALU_DEP_1) | instskip(NEXT) | instid1(VALU_DEP_1)
	v_dual_max_f32 v87, v96, v96 :: v_dual_lshlrev_b32 v26, 16, v26
	v_max_f32_e32 v85, v26, v26
	v_cmp_u_f32_e64 s21, v96, v96
	s_delay_alu instid0(VALU_DEP_2) | instskip(SKIP_1) | instid1(VALU_DEP_2)
	v_min_f32_e32 v97, v87, v85
	v_max_f32_e32 v87, v87, v85
	v_cndmask_b32_e64 v97, v97, v96, s21
	s_delay_alu instid0(VALU_DEP_2) | instskip(SKIP_1) | instid1(VALU_DEP_1)
	v_cndmask_b32_e64 v87, v87, v96, s21
	v_cmp_u_f32_e64 s21, v26, v26
	v_cndmask_b32_e64 v97, v97, v26, s21
	s_delay_alu instid0(VALU_DEP_3) | instskip(NEXT) | instid1(VALU_DEP_2)
	v_cndmask_b32_e64 v87, v87, v26, s21
	v_cmp_class_f32_e64 s25, v97, 0x1f8
	s_delay_alu instid0(VALU_DEP_2) | instskip(NEXT) | instid1(VALU_DEP_1)
	v_cmp_neq_f32_e64 s24, v97, v87
	s_or_b32 s24, s24, s25
	s_delay_alu instid0(SALU_CYCLE_1)
	s_and_saveexec_b32 s25, s24
	s_cbranch_execz .LBB453_280
; %bb.279:
	v_sub_f32_e32 v96, v97, v87
	s_delay_alu instid0(VALU_DEP_1) | instskip(SKIP_1) | instid1(VALU_DEP_2)
	v_mul_f32_e32 v97, 0x3fb8aa3b, v96
	v_cmp_ngt_f32_e64 s24, 0xc2ce8ed0, v96
	v_fma_f32 v98, 0x3fb8aa3b, v96, -v97
	v_rndne_f32_e32 v99, v97
	s_delay_alu instid0(VALU_DEP_1) | instskip(NEXT) | instid1(VALU_DEP_1)
	v_dual_fmamk_f32 v98, v96, 0x32a5705f, v98 :: v_dual_sub_f32 v97, v97, v99
	v_add_f32_e32 v97, v97, v98
	v_cvt_i32_f32_e32 v98, v99
	s_delay_alu instid0(VALU_DEP_2) | instskip(SKIP_2) | instid1(VALU_DEP_1)
	v_exp_f32_e32 v97, v97
	s_waitcnt_depctr 0xfff
	v_ldexp_f32 v97, v97, v98
	v_cndmask_b32_e64 v97, 0, v97, s24
	v_cmp_nlt_f32_e64 s24, 0x42b17218, v96
	s_delay_alu instid0(VALU_DEP_1) | instskip(NEXT) | instid1(VALU_DEP_1)
	v_cndmask_b32_e64 v98, 0x7f800000, v97, s24
	v_add_f32_e32 v99, 1.0, v98
	v_cmp_gt_f32_e64 s26, 0x33800000, |v98|
	s_delay_alu instid0(VALU_DEP_2) | instskip(NEXT) | instid1(VALU_DEP_1)
	v_cvt_f64_f32_e32 v[96:97], v99
	v_frexp_exp_i32_f64_e32 v96, v[96:97]
	v_frexp_mant_f32_e32 v97, v99
	s_delay_alu instid0(VALU_DEP_1) | instskip(SKIP_1) | instid1(VALU_DEP_1)
	v_cmp_gt_f32_e64 s24, 0x3f2aaaab, v97
	v_add_f32_e32 v97, -1.0, v99
	v_sub_f32_e32 v101, v97, v99
	v_sub_f32_e32 v97, v98, v97
	s_delay_alu instid0(VALU_DEP_4) | instskip(SKIP_1) | instid1(VALU_DEP_1)
	v_subrev_co_ci_u32_e64 v96, s24, 0, v96, s24
	s_mov_b32 s24, 0x3e9b6dac
	v_sub_nc_u32_e32 v100, 0, v96
	v_cvt_f32_i32_e32 v96, v96
	s_delay_alu instid0(VALU_DEP_2) | instskip(NEXT) | instid1(VALU_DEP_1)
	v_ldexp_f32 v99, v99, v100
	v_dual_add_f32 v102, 1.0, v99 :: v_dual_add_f32 v101, 1.0, v101
	s_delay_alu instid0(VALU_DEP_1) | instskip(NEXT) | instid1(VALU_DEP_2)
	v_add_f32_e32 v97, v97, v101
	v_add_f32_e32 v101, -1.0, v102
	s_delay_alu instid0(VALU_DEP_2) | instskip(NEXT) | instid1(VALU_DEP_2)
	v_ldexp_f32 v97, v97, v100
	v_dual_add_f32 v100, -1.0, v99 :: v_dual_sub_f32 v101, v99, v101
	s_delay_alu instid0(VALU_DEP_1) | instskip(NEXT) | instid1(VALU_DEP_2)
	v_add_f32_e32 v103, 1.0, v100
	v_add_f32_e32 v101, v97, v101
	s_delay_alu instid0(VALU_DEP_2) | instskip(NEXT) | instid1(VALU_DEP_2)
	v_sub_f32_e32 v99, v99, v103
	v_add_f32_e32 v103, v102, v101
	s_delay_alu instid0(VALU_DEP_2) | instskip(NEXT) | instid1(VALU_DEP_2)
	v_add_f32_e32 v97, v97, v99
	v_rcp_f32_e32 v99, v103
	v_sub_f32_e32 v102, v102, v103
	s_delay_alu instid0(VALU_DEP_1) | instskip(NEXT) | instid1(VALU_DEP_1)
	v_dual_add_f32 v112, v100, v97 :: v_dual_add_f32 v101, v101, v102
	v_sub_f32_e32 v100, v100, v112
	s_waitcnt_depctr 0xfff
	v_mul_f32_e32 v113, v112, v99
	s_delay_alu instid0(VALU_DEP_1) | instskip(NEXT) | instid1(VALU_DEP_1)
	v_dual_add_f32 v97, v97, v100 :: v_dual_mul_f32 v114, v103, v113
	v_fma_f32 v102, v113, v103, -v114
	s_delay_alu instid0(VALU_DEP_1) | instskip(NEXT) | instid1(VALU_DEP_1)
	v_fmac_f32_e32 v102, v113, v101
	v_add_f32_e32 v115, v114, v102
	s_delay_alu instid0(VALU_DEP_1) | instskip(SKIP_1) | instid1(VALU_DEP_2)
	v_sub_f32_e32 v116, v112, v115
	v_sub_f32_e32 v100, v115, v114
	;; [unrolled: 1-line block ×3, first 2 shown]
	s_delay_alu instid0(VALU_DEP_2) | instskip(NEXT) | instid1(VALU_DEP_2)
	v_sub_f32_e32 v100, v100, v102
	v_sub_f32_e32 v112, v112, v115
	s_delay_alu instid0(VALU_DEP_1) | instskip(NEXT) | instid1(VALU_DEP_1)
	v_add_f32_e32 v97, v97, v112
	v_add_f32_e32 v97, v100, v97
	s_delay_alu instid0(VALU_DEP_1) | instskip(NEXT) | instid1(VALU_DEP_1)
	v_add_f32_e32 v100, v116, v97
	v_mul_f32_e32 v102, v99, v100
	s_delay_alu instid0(VALU_DEP_1) | instskip(NEXT) | instid1(VALU_DEP_1)
	v_dual_sub_f32 v115, v116, v100 :: v_dual_mul_f32 v112, v103, v102
	v_add_f32_e32 v97, v97, v115
	s_delay_alu instid0(VALU_DEP_2) | instskip(NEXT) | instid1(VALU_DEP_1)
	v_fma_f32 v103, v102, v103, -v112
	v_fmac_f32_e32 v103, v102, v101
	s_delay_alu instid0(VALU_DEP_1) | instskip(NEXT) | instid1(VALU_DEP_1)
	v_add_f32_e32 v101, v112, v103
	v_sub_f32_e32 v114, v100, v101
	v_sub_f32_e32 v112, v101, v112
	s_delay_alu instid0(VALU_DEP_2) | instskip(NEXT) | instid1(VALU_DEP_1)
	v_sub_f32_e32 v100, v100, v114
	v_sub_f32_e32 v100, v100, v101
	s_delay_alu instid0(VALU_DEP_3) | instskip(NEXT) | instid1(VALU_DEP_2)
	v_sub_f32_e32 v101, v112, v103
	v_add_f32_e32 v97, v97, v100
	v_add_f32_e32 v100, v113, v102
	s_delay_alu instid0(VALU_DEP_2) | instskip(NEXT) | instid1(VALU_DEP_2)
	v_add_f32_e32 v97, v101, v97
	v_sub_f32_e32 v101, v100, v113
	s_delay_alu instid0(VALU_DEP_2) | instskip(NEXT) | instid1(VALU_DEP_2)
	v_add_f32_e32 v97, v114, v97
	v_sub_f32_e32 v101, v102, v101
	s_delay_alu instid0(VALU_DEP_2) | instskip(NEXT) | instid1(VALU_DEP_1)
	v_mul_f32_e32 v97, v99, v97
	v_add_f32_e32 v97, v101, v97
	s_delay_alu instid0(VALU_DEP_1) | instskip(NEXT) | instid1(VALU_DEP_1)
	v_add_f32_e32 v99, v100, v97
	v_mul_f32_e32 v101, v99, v99
	s_delay_alu instid0(VALU_DEP_1) | instskip(SKIP_2) | instid1(VALU_DEP_3)
	v_fmaak_f32 v102, s24, v101, 0x3ecc95a3
	v_mul_f32_e32 v103, v99, v101
	v_cmp_eq_f32_e64 s24, 0x7f800000, v98
	v_fmaak_f32 v101, v101, v102, 0x3f2aaada
	v_ldexp_f32 v102, v99, 1
	v_sub_f32_e32 v99, v99, v100
	s_delay_alu instid0(VALU_DEP_4) | instskip(NEXT) | instid1(VALU_DEP_3)
	s_or_b32 s24, s24, s26
	v_mul_f32_e32 v101, v103, v101
	v_mul_f32_e32 v103, 0x3f317218, v96
	s_delay_alu instid0(VALU_DEP_2) | instskip(NEXT) | instid1(VALU_DEP_1)
	v_dual_sub_f32 v97, v97, v99 :: v_dual_add_f32 v100, v102, v101
	v_ldexp_f32 v97, v97, 1
	s_delay_alu instid0(VALU_DEP_2) | instskip(NEXT) | instid1(VALU_DEP_4)
	v_sub_f32_e32 v99, v100, v102
	v_fma_f32 v102, 0x3f317218, v96, -v103
	s_delay_alu instid0(VALU_DEP_1) | instskip(NEXT) | instid1(VALU_DEP_1)
	v_dual_sub_f32 v99, v101, v99 :: v_dual_fmamk_f32 v96, v96, 0xb102e308, v102
	v_add_f32_e32 v97, v97, v99
	s_delay_alu instid0(VALU_DEP_2) | instskip(NEXT) | instid1(VALU_DEP_2)
	v_add_f32_e32 v99, v103, v96
	v_add_f32_e32 v101, v100, v97
	s_delay_alu instid0(VALU_DEP_2) | instskip(NEXT) | instid1(VALU_DEP_2)
	v_sub_f32_e32 v103, v99, v103
	v_add_f32_e32 v102, v99, v101
	v_sub_f32_e32 v100, v101, v100
	s_delay_alu instid0(VALU_DEP_3) | instskip(NEXT) | instid1(VALU_DEP_2)
	v_sub_f32_e32 v96, v96, v103
	v_dual_sub_f32 v112, v102, v99 :: v_dual_sub_f32 v97, v97, v100
	s_delay_alu instid0(VALU_DEP_1) | instskip(NEXT) | instid1(VALU_DEP_2)
	v_sub_f32_e32 v113, v102, v112
	v_dual_sub_f32 v100, v101, v112 :: v_dual_add_f32 v101, v96, v97
	s_delay_alu instid0(VALU_DEP_2) | instskip(NEXT) | instid1(VALU_DEP_1)
	v_sub_f32_e32 v99, v99, v113
	v_dual_add_f32 v99, v100, v99 :: v_dual_sub_f32 v100, v101, v96
	s_delay_alu instid0(VALU_DEP_1) | instskip(NEXT) | instid1(VALU_DEP_2)
	v_add_f32_e32 v99, v101, v99
	v_sub_f32_e32 v101, v101, v100
	v_sub_f32_e32 v97, v97, v100
	s_delay_alu instid0(VALU_DEP_2) | instskip(NEXT) | instid1(VALU_DEP_1)
	v_dual_add_f32 v103, v102, v99 :: v_dual_sub_f32 v96, v96, v101
	v_sub_f32_e32 v100, v103, v102
	s_delay_alu instid0(VALU_DEP_2) | instskip(NEXT) | instid1(VALU_DEP_2)
	v_add_f32_e32 v96, v97, v96
	v_sub_f32_e32 v97, v99, v100
	s_delay_alu instid0(VALU_DEP_1) | instskip(NEXT) | instid1(VALU_DEP_1)
	v_add_f32_e32 v96, v96, v97
	v_add_f32_e32 v96, v103, v96
	s_delay_alu instid0(VALU_DEP_1) | instskip(NEXT) | instid1(VALU_DEP_1)
	v_cndmask_b32_e64 v96, v96, v98, s24
	v_add_f32_e32 v96, v87, v96
.LBB453_280:
	s_or_b32 exec_lo, exec_lo, s25
	s_delay_alu instid0(VALU_DEP_1) | instskip(SKIP_3) | instid1(VALU_DEP_3)
	v_bfe_u32 v87, v96, 16, 1
	v_lshrrev_b32_e32 v97, 5, v0
	v_cmp_o_f32_e64 s24, v96, v96
	s_mov_b32 s26, exec_lo
	v_add3_u32 v87, v96, v87, 0x7fff
	s_delay_alu instid0(VALU_DEP_3) | instskip(NEXT) | instid1(VALU_DEP_2)
	v_add_lshl_u32 v97, v97, v0, 1
	v_lshrrev_b32_e32 v87, 16, v87
	s_delay_alu instid0(VALU_DEP_1)
	v_cndmask_b32_e64 v87, 0x7fc0, v87, s24
	ds_store_b16 v97, v87
	s_waitcnt lgkmcnt(0)
	s_barrier
	buffer_gl0_inv
	v_cmpx_gt_u32_e32 32, v0
	s_cbranch_execz .LBB453_308
; %bb.281:
	v_lshrrev_b32_e32 v96, 3, v0
	s_delay_alu instid0(VALU_DEP_1) | instskip(NEXT) | instid1(VALU_DEP_1)
	v_and_b32_e32 v96, 0x7e, v96
	v_lshl_or_b32 v96, v0, 2, v96
	ds_load_u16 v97, v96 offset:2
	ds_load_u16 v98, v96
	s_waitcnt lgkmcnt(1)
	v_lshlrev_b32_e32 v99, 16, v97
	s_waitcnt lgkmcnt(0)
	s_delay_alu instid0(VALU_DEP_1) | instskip(NEXT) | instid1(VALU_DEP_1)
	v_dual_max_f32 v100, v99, v99 :: v_dual_lshlrev_b32 v97, 16, v98
	v_max_f32_e32 v98, v97, v97
	v_cmp_u_f32_e64 s24, v97, v97
	s_delay_alu instid0(VALU_DEP_2) | instskip(SKIP_2) | instid1(VALU_DEP_3)
	v_min_f32_e32 v101, v98, v100
	v_max_f32_e32 v100, v98, v100
	v_cmp_u_f32_e64 s25, v99, v99
	v_cndmask_b32_e64 v101, v101, v97, s24
	s_delay_alu instid0(VALU_DEP_3) | instskip(NEXT) | instid1(VALU_DEP_2)
	v_cndmask_b32_e64 v100, v100, v97, s24
	v_cndmask_b32_e64 v101, v101, v99, s25
	s_delay_alu instid0(VALU_DEP_2) | instskip(SKIP_1) | instid1(VALU_DEP_3)
	v_cndmask_b32_e64 v99, v100, v99, s25
	v_mov_b32_e32 v100, v97
	v_cmp_class_f32_e64 s27, v101, 0x1f8
	s_delay_alu instid0(VALU_DEP_3) | instskip(NEXT) | instid1(VALU_DEP_1)
	v_cmp_neq_f32_e64 s25, v101, v99
	s_or_b32 s25, s25, s27
	s_delay_alu instid0(SALU_CYCLE_1)
	s_and_saveexec_b32 s27, s25
	s_cbranch_execz .LBB453_283
; %bb.282:
	v_sub_f32_e32 v100, v101, v99
	s_delay_alu instid0(VALU_DEP_1) | instskip(SKIP_1) | instid1(VALU_DEP_2)
	v_mul_f32_e32 v101, 0x3fb8aa3b, v100
	v_cmp_ngt_f32_e64 s25, 0xc2ce8ed0, v100
	v_fma_f32 v102, 0x3fb8aa3b, v100, -v101
	v_rndne_f32_e32 v103, v101
	s_delay_alu instid0(VALU_DEP_1) | instskip(NEXT) | instid1(VALU_DEP_1)
	v_dual_fmamk_f32 v102, v100, 0x32a5705f, v102 :: v_dual_sub_f32 v101, v101, v103
	v_add_f32_e32 v101, v101, v102
	v_cvt_i32_f32_e32 v102, v103
	s_delay_alu instid0(VALU_DEP_2) | instskip(SKIP_2) | instid1(VALU_DEP_1)
	v_exp_f32_e32 v101, v101
	s_waitcnt_depctr 0xfff
	v_ldexp_f32 v101, v101, v102
	v_cndmask_b32_e64 v101, 0, v101, s25
	v_cmp_nlt_f32_e64 s25, 0x42b17218, v100
	s_delay_alu instid0(VALU_DEP_1) | instskip(NEXT) | instid1(VALU_DEP_1)
	v_cndmask_b32_e64 v102, 0x7f800000, v101, s25
	v_add_f32_e32 v103, 1.0, v102
	v_cmp_gt_f32_e64 vcc_hi, 0x33800000, |v102|
	s_delay_alu instid0(VALU_DEP_2) | instskip(NEXT) | instid1(VALU_DEP_1)
	v_cvt_f64_f32_e32 v[100:101], v103
	v_frexp_exp_i32_f64_e32 v100, v[100:101]
	v_frexp_mant_f32_e32 v101, v103
	s_delay_alu instid0(VALU_DEP_1) | instskip(SKIP_1) | instid1(VALU_DEP_1)
	v_cmp_gt_f32_e64 s25, 0x3f2aaaab, v101
	v_add_f32_e32 v101, -1.0, v103
	v_sub_f32_e32 v113, v101, v103
	v_sub_f32_e32 v101, v102, v101
	s_delay_alu instid0(VALU_DEP_4) | instskip(SKIP_1) | instid1(VALU_DEP_1)
	v_subrev_co_ci_u32_e64 v100, s25, 0, v100, s25
	s_mov_b32 s25, 0x3e9b6dac
	v_sub_nc_u32_e32 v112, 0, v100
	v_cvt_f32_i32_e32 v100, v100
	s_delay_alu instid0(VALU_DEP_2) | instskip(NEXT) | instid1(VALU_DEP_1)
	v_ldexp_f32 v103, v103, v112
	v_dual_add_f32 v114, 1.0, v103 :: v_dual_add_f32 v113, 1.0, v113
	s_delay_alu instid0(VALU_DEP_1) | instskip(NEXT) | instid1(VALU_DEP_2)
	v_add_f32_e32 v101, v101, v113
	v_add_f32_e32 v113, -1.0, v114
	s_delay_alu instid0(VALU_DEP_2) | instskip(NEXT) | instid1(VALU_DEP_2)
	v_ldexp_f32 v101, v101, v112
	v_dual_add_f32 v112, -1.0, v103 :: v_dual_sub_f32 v113, v103, v113
	s_delay_alu instid0(VALU_DEP_1) | instskip(NEXT) | instid1(VALU_DEP_2)
	v_add_f32_e32 v115, 1.0, v112
	v_add_f32_e32 v113, v101, v113
	s_delay_alu instid0(VALU_DEP_2) | instskip(NEXT) | instid1(VALU_DEP_2)
	v_sub_f32_e32 v103, v103, v115
	v_add_f32_e32 v115, v114, v113
	s_delay_alu instid0(VALU_DEP_2) | instskip(NEXT) | instid1(VALU_DEP_2)
	v_add_f32_e32 v101, v101, v103
	v_rcp_f32_e32 v103, v115
	v_sub_f32_e32 v114, v114, v115
	s_delay_alu instid0(VALU_DEP_1) | instskip(NEXT) | instid1(VALU_DEP_1)
	v_dual_add_f32 v116, v112, v101 :: v_dual_add_f32 v113, v113, v114
	v_sub_f32_e32 v112, v112, v116
	s_waitcnt_depctr 0xfff
	v_mul_f32_e32 v117, v116, v103
	s_delay_alu instid0(VALU_DEP_1) | instskip(NEXT) | instid1(VALU_DEP_1)
	v_dual_add_f32 v101, v101, v112 :: v_dual_mul_f32 v118, v115, v117
	v_fma_f32 v114, v117, v115, -v118
	s_delay_alu instid0(VALU_DEP_1) | instskip(NEXT) | instid1(VALU_DEP_1)
	v_fmac_f32_e32 v114, v117, v113
	v_add_f32_e32 v119, v118, v114
	s_delay_alu instid0(VALU_DEP_1) | instskip(SKIP_1) | instid1(VALU_DEP_2)
	v_sub_f32_e32 v128, v116, v119
	v_sub_f32_e32 v112, v119, v118
	v_sub_f32_e32 v116, v116, v128
	s_delay_alu instid0(VALU_DEP_2) | instskip(NEXT) | instid1(VALU_DEP_2)
	v_sub_f32_e32 v112, v112, v114
	v_sub_f32_e32 v116, v116, v119
	s_delay_alu instid0(VALU_DEP_1) | instskip(NEXT) | instid1(VALU_DEP_1)
	v_add_f32_e32 v101, v101, v116
	v_add_f32_e32 v101, v112, v101
	s_delay_alu instid0(VALU_DEP_1) | instskip(NEXT) | instid1(VALU_DEP_1)
	v_add_f32_e32 v112, v128, v101
	v_mul_f32_e32 v114, v103, v112
	s_delay_alu instid0(VALU_DEP_1) | instskip(NEXT) | instid1(VALU_DEP_1)
	v_dual_sub_f32 v119, v128, v112 :: v_dual_mul_f32 v116, v115, v114
	v_add_f32_e32 v101, v101, v119
	s_delay_alu instid0(VALU_DEP_2) | instskip(NEXT) | instid1(VALU_DEP_1)
	v_fma_f32 v115, v114, v115, -v116
	v_fmac_f32_e32 v115, v114, v113
	s_delay_alu instid0(VALU_DEP_1) | instskip(NEXT) | instid1(VALU_DEP_1)
	v_add_f32_e32 v113, v116, v115
	v_sub_f32_e32 v118, v112, v113
	v_sub_f32_e32 v116, v113, v116
	s_delay_alu instid0(VALU_DEP_2) | instskip(NEXT) | instid1(VALU_DEP_1)
	v_sub_f32_e32 v112, v112, v118
	v_sub_f32_e32 v112, v112, v113
	s_delay_alu instid0(VALU_DEP_3) | instskip(NEXT) | instid1(VALU_DEP_2)
	v_sub_f32_e32 v113, v116, v115
	v_add_f32_e32 v101, v101, v112
	v_add_f32_e32 v112, v117, v114
	s_delay_alu instid0(VALU_DEP_2) | instskip(NEXT) | instid1(VALU_DEP_2)
	v_add_f32_e32 v101, v113, v101
	v_sub_f32_e32 v113, v112, v117
	s_delay_alu instid0(VALU_DEP_2) | instskip(NEXT) | instid1(VALU_DEP_2)
	v_add_f32_e32 v101, v118, v101
	v_sub_f32_e32 v113, v114, v113
	s_delay_alu instid0(VALU_DEP_2) | instskip(NEXT) | instid1(VALU_DEP_1)
	v_mul_f32_e32 v101, v103, v101
	v_add_f32_e32 v101, v113, v101
	s_delay_alu instid0(VALU_DEP_1) | instskip(NEXT) | instid1(VALU_DEP_1)
	v_add_f32_e32 v103, v112, v101
	v_mul_f32_e32 v113, v103, v103
	s_delay_alu instid0(VALU_DEP_1) | instskip(SKIP_2) | instid1(VALU_DEP_3)
	v_fmaak_f32 v114, s25, v113, 0x3ecc95a3
	v_mul_f32_e32 v115, v103, v113
	v_cmp_eq_f32_e64 s25, 0x7f800000, v102
	v_fmaak_f32 v113, v113, v114, 0x3f2aaada
	v_ldexp_f32 v114, v103, 1
	v_sub_f32_e32 v103, v103, v112
	s_delay_alu instid0(VALU_DEP_4) | instskip(NEXT) | instid1(VALU_DEP_3)
	s_or_b32 s25, s25, vcc_hi
	v_mul_f32_e32 v113, v115, v113
	v_mul_f32_e32 v115, 0x3f317218, v100
	s_delay_alu instid0(VALU_DEP_2) | instskip(NEXT) | instid1(VALU_DEP_1)
	v_dual_sub_f32 v101, v101, v103 :: v_dual_add_f32 v112, v114, v113
	v_ldexp_f32 v101, v101, 1
	s_delay_alu instid0(VALU_DEP_2) | instskip(NEXT) | instid1(VALU_DEP_4)
	v_sub_f32_e32 v103, v112, v114
	v_fma_f32 v114, 0x3f317218, v100, -v115
	s_delay_alu instid0(VALU_DEP_1) | instskip(NEXT) | instid1(VALU_DEP_1)
	v_dual_sub_f32 v103, v113, v103 :: v_dual_fmamk_f32 v100, v100, 0xb102e308, v114
	v_add_f32_e32 v101, v101, v103
	s_delay_alu instid0(VALU_DEP_2) | instskip(NEXT) | instid1(VALU_DEP_2)
	v_add_f32_e32 v103, v115, v100
	v_add_f32_e32 v113, v112, v101
	s_delay_alu instid0(VALU_DEP_2) | instskip(NEXT) | instid1(VALU_DEP_2)
	v_sub_f32_e32 v115, v103, v115
	v_add_f32_e32 v114, v103, v113
	v_sub_f32_e32 v112, v113, v112
	s_delay_alu instid0(VALU_DEP_3) | instskip(NEXT) | instid1(VALU_DEP_2)
	v_sub_f32_e32 v100, v100, v115
	v_dual_sub_f32 v116, v114, v103 :: v_dual_sub_f32 v101, v101, v112
	s_delay_alu instid0(VALU_DEP_1) | instskip(NEXT) | instid1(VALU_DEP_2)
	v_sub_f32_e32 v117, v114, v116
	v_dual_sub_f32 v112, v113, v116 :: v_dual_add_f32 v113, v100, v101
	s_delay_alu instid0(VALU_DEP_2) | instskip(NEXT) | instid1(VALU_DEP_1)
	v_sub_f32_e32 v103, v103, v117
	v_dual_add_f32 v103, v112, v103 :: v_dual_sub_f32 v112, v113, v100
	s_delay_alu instid0(VALU_DEP_1) | instskip(NEXT) | instid1(VALU_DEP_2)
	v_add_f32_e32 v103, v113, v103
	v_sub_f32_e32 v113, v113, v112
	v_sub_f32_e32 v101, v101, v112
	s_delay_alu instid0(VALU_DEP_2) | instskip(NEXT) | instid1(VALU_DEP_1)
	v_dual_add_f32 v115, v114, v103 :: v_dual_sub_f32 v100, v100, v113
	v_sub_f32_e32 v112, v115, v114
	s_delay_alu instid0(VALU_DEP_2) | instskip(NEXT) | instid1(VALU_DEP_2)
	v_add_f32_e32 v100, v101, v100
	v_sub_f32_e32 v101, v103, v112
	s_delay_alu instid0(VALU_DEP_1) | instskip(NEXT) | instid1(VALU_DEP_1)
	v_add_f32_e32 v100, v100, v101
	v_add_f32_e32 v100, v115, v100
	s_delay_alu instid0(VALU_DEP_1) | instskip(NEXT) | instid1(VALU_DEP_1)
	v_cndmask_b32_e64 v100, v100, v102, s25
	v_add_f32_e32 v100, v99, v100
.LBB453_283:
	s_or_b32 exec_lo, exec_lo, s27
	s_delay_alu instid0(VALU_DEP_1) | instskip(SKIP_2) | instid1(VALU_DEP_2)
	v_bfe_u32 v99, v100, 16, 1
	v_cmp_o_f32_e64 s25, v100, v100
	s_mov_b32 s27, exec_lo
	v_add3_u32 v99, v100, v99, 0x7fff
	s_delay_alu instid0(VALU_DEP_1) | instskip(NEXT) | instid1(VALU_DEP_1)
	v_lshrrev_b32_e32 v99, 16, v99
	v_cndmask_b32_e64 v101, 0x7fc0, v99, s25
	v_mbcnt_lo_u32_b32 v99, -1, 0
	s_delay_alu instid0(VALU_DEP_2) | instskip(NEXT) | instid1(VALU_DEP_2)
	v_and_b32_e32 v102, 0xffff, v101
	v_and_b32_e32 v100, 15, v99
	s_delay_alu instid0(VALU_DEP_2) | instskip(NEXT) | instid1(VALU_DEP_2)
	v_mov_b32_dpp v103, v102 row_shr:1 row_mask:0xf bank_mask:0xf
	v_cmpx_ne_u32_e32 0, v100
	s_cbranch_execz .LBB453_287
; %bb.284:
	v_lshlrev_b32_e32 v101, 16, v102
	s_delay_alu instid0(VALU_DEP_1) | instskip(NEXT) | instid1(VALU_DEP_1)
	v_dual_max_f32 v103, v101, v101 :: v_dual_lshlrev_b32 v102, 16, v103
	v_max_f32_e32 v112, v102, v102
	v_cmp_u_f32_e64 s25, v102, v102
	s_delay_alu instid0(VALU_DEP_2) | instskip(SKIP_1) | instid1(VALU_DEP_2)
	v_min_f32_e32 v113, v112, v103
	v_max_f32_e32 v103, v112, v103
	v_cndmask_b32_e64 v112, v113, v102, s25
	s_delay_alu instid0(VALU_DEP_2) | instskip(SKIP_1) | instid1(VALU_DEP_1)
	v_cndmask_b32_e64 v113, v103, v102, s25
	v_cmp_u_f32_e64 s25, v101, v101
	v_cndmask_b32_e64 v103, v112, v101, s25
	s_delay_alu instid0(VALU_DEP_3) | instskip(NEXT) | instid1(VALU_DEP_2)
	v_cndmask_b32_e64 v101, v113, v101, s25
	v_cmp_class_f32_e64 vcc_hi, v103, 0x1f8
	s_delay_alu instid0(VALU_DEP_2) | instskip(NEXT) | instid1(VALU_DEP_1)
	v_cmp_neq_f32_e64 s25, v103, v101
	s_or_b32 s25, s25, vcc_hi
	s_delay_alu instid0(SALU_CYCLE_1)
	s_and_saveexec_b32 vcc_hi, s25
	s_cbranch_execz .LBB453_286
; %bb.285:
	v_sub_f32_e32 v102, v103, v101
	s_delay_alu instid0(VALU_DEP_1) | instskip(SKIP_1) | instid1(VALU_DEP_2)
	v_mul_f32_e32 v103, 0x3fb8aa3b, v102
	v_cmp_ngt_f32_e64 s25, 0xc2ce8ed0, v102
	v_fma_f32 v112, 0x3fb8aa3b, v102, -v103
	v_rndne_f32_e32 v113, v103
	s_delay_alu instid0(VALU_DEP_1) | instskip(NEXT) | instid1(VALU_DEP_1)
	v_dual_fmamk_f32 v112, v102, 0x32a5705f, v112 :: v_dual_sub_f32 v103, v103, v113
	v_add_f32_e32 v103, v103, v112
	v_cvt_i32_f32_e32 v112, v113
	s_delay_alu instid0(VALU_DEP_2) | instskip(SKIP_2) | instid1(VALU_DEP_1)
	v_exp_f32_e32 v103, v103
	s_waitcnt_depctr 0xfff
	v_ldexp_f32 v103, v103, v112
	v_cndmask_b32_e64 v103, 0, v103, s25
	v_cmp_nlt_f32_e64 s25, 0x42b17218, v102
	s_delay_alu instid0(VALU_DEP_1) | instskip(NEXT) | instid1(VALU_DEP_1)
	v_cndmask_b32_e64 v112, 0x7f800000, v103, s25
	v_add_f32_e32 v113, 1.0, v112
	v_cmp_gt_f32_e64 s30, 0x33800000, |v112|
	s_delay_alu instid0(VALU_DEP_2) | instskip(NEXT) | instid1(VALU_DEP_1)
	v_cvt_f64_f32_e32 v[102:103], v113
	v_frexp_exp_i32_f64_e32 v102, v[102:103]
	v_frexp_mant_f32_e32 v103, v113
	s_delay_alu instid0(VALU_DEP_1) | instskip(SKIP_1) | instid1(VALU_DEP_1)
	v_cmp_gt_f32_e64 s25, 0x3f2aaaab, v103
	v_add_f32_e32 v103, -1.0, v113
	v_sub_f32_e32 v115, v103, v113
	v_sub_f32_e32 v103, v112, v103
	s_delay_alu instid0(VALU_DEP_4) | instskip(SKIP_1) | instid1(VALU_DEP_1)
	v_subrev_co_ci_u32_e64 v102, s25, 0, v102, s25
	s_mov_b32 s25, 0x3e9b6dac
	v_sub_nc_u32_e32 v114, 0, v102
	v_cvt_f32_i32_e32 v102, v102
	s_delay_alu instid0(VALU_DEP_2) | instskip(NEXT) | instid1(VALU_DEP_1)
	v_ldexp_f32 v113, v113, v114
	v_dual_add_f32 v116, 1.0, v113 :: v_dual_add_f32 v115, 1.0, v115
	s_delay_alu instid0(VALU_DEP_1) | instskip(NEXT) | instid1(VALU_DEP_2)
	v_add_f32_e32 v103, v103, v115
	v_add_f32_e32 v115, -1.0, v116
	s_delay_alu instid0(VALU_DEP_2) | instskip(NEXT) | instid1(VALU_DEP_2)
	v_ldexp_f32 v103, v103, v114
	v_dual_add_f32 v114, -1.0, v113 :: v_dual_sub_f32 v115, v113, v115
	s_delay_alu instid0(VALU_DEP_1) | instskip(NEXT) | instid1(VALU_DEP_2)
	v_add_f32_e32 v117, 1.0, v114
	v_add_f32_e32 v115, v103, v115
	s_delay_alu instid0(VALU_DEP_2) | instskip(NEXT) | instid1(VALU_DEP_2)
	v_sub_f32_e32 v113, v113, v117
	v_add_f32_e32 v117, v116, v115
	s_delay_alu instid0(VALU_DEP_2) | instskip(NEXT) | instid1(VALU_DEP_2)
	v_add_f32_e32 v103, v103, v113
	v_rcp_f32_e32 v113, v117
	v_sub_f32_e32 v116, v116, v117
	s_delay_alu instid0(VALU_DEP_1) | instskip(NEXT) | instid1(VALU_DEP_1)
	v_dual_add_f32 v118, v114, v103 :: v_dual_add_f32 v115, v115, v116
	v_sub_f32_e32 v114, v114, v118
	s_waitcnt_depctr 0xfff
	v_mul_f32_e32 v119, v118, v113
	s_delay_alu instid0(VALU_DEP_1) | instskip(NEXT) | instid1(VALU_DEP_1)
	v_dual_add_f32 v103, v103, v114 :: v_dual_mul_f32 v128, v117, v119
	v_fma_f32 v116, v119, v117, -v128
	s_delay_alu instid0(VALU_DEP_1) | instskip(NEXT) | instid1(VALU_DEP_1)
	v_fmac_f32_e32 v116, v119, v115
	v_add_f32_e32 v129, v128, v116
	s_delay_alu instid0(VALU_DEP_1) | instskip(SKIP_1) | instid1(VALU_DEP_2)
	v_sub_f32_e32 v130, v118, v129
	v_sub_f32_e32 v114, v129, v128
	;; [unrolled: 1-line block ×3, first 2 shown]
	s_delay_alu instid0(VALU_DEP_2) | instskip(NEXT) | instid1(VALU_DEP_2)
	v_sub_f32_e32 v114, v114, v116
	v_sub_f32_e32 v118, v118, v129
	s_delay_alu instid0(VALU_DEP_1) | instskip(NEXT) | instid1(VALU_DEP_1)
	v_add_f32_e32 v103, v103, v118
	v_add_f32_e32 v103, v114, v103
	s_delay_alu instid0(VALU_DEP_1) | instskip(NEXT) | instid1(VALU_DEP_1)
	v_add_f32_e32 v114, v130, v103
	v_mul_f32_e32 v116, v113, v114
	s_delay_alu instid0(VALU_DEP_1) | instskip(NEXT) | instid1(VALU_DEP_1)
	v_dual_sub_f32 v129, v130, v114 :: v_dual_mul_f32 v118, v117, v116
	v_add_f32_e32 v103, v103, v129
	s_delay_alu instid0(VALU_DEP_2) | instskip(NEXT) | instid1(VALU_DEP_1)
	v_fma_f32 v117, v116, v117, -v118
	v_fmac_f32_e32 v117, v116, v115
	s_delay_alu instid0(VALU_DEP_1) | instskip(NEXT) | instid1(VALU_DEP_1)
	v_add_f32_e32 v115, v118, v117
	v_sub_f32_e32 v128, v114, v115
	v_sub_f32_e32 v118, v115, v118
	s_delay_alu instid0(VALU_DEP_2) | instskip(NEXT) | instid1(VALU_DEP_1)
	v_sub_f32_e32 v114, v114, v128
	v_sub_f32_e32 v114, v114, v115
	s_delay_alu instid0(VALU_DEP_3) | instskip(NEXT) | instid1(VALU_DEP_2)
	v_sub_f32_e32 v115, v118, v117
	v_add_f32_e32 v103, v103, v114
	v_add_f32_e32 v114, v119, v116
	s_delay_alu instid0(VALU_DEP_2) | instskip(NEXT) | instid1(VALU_DEP_2)
	v_add_f32_e32 v103, v115, v103
	v_sub_f32_e32 v115, v114, v119
	s_delay_alu instid0(VALU_DEP_2) | instskip(NEXT) | instid1(VALU_DEP_2)
	v_add_f32_e32 v103, v128, v103
	v_sub_f32_e32 v115, v116, v115
	s_delay_alu instid0(VALU_DEP_2) | instskip(NEXT) | instid1(VALU_DEP_1)
	v_mul_f32_e32 v103, v113, v103
	v_add_f32_e32 v103, v115, v103
	s_delay_alu instid0(VALU_DEP_1) | instskip(NEXT) | instid1(VALU_DEP_1)
	v_add_f32_e32 v113, v114, v103
	v_mul_f32_e32 v115, v113, v113
	s_delay_alu instid0(VALU_DEP_1) | instskip(SKIP_2) | instid1(VALU_DEP_3)
	v_fmaak_f32 v116, s25, v115, 0x3ecc95a3
	v_mul_f32_e32 v117, v113, v115
	v_cmp_eq_f32_e64 s25, 0x7f800000, v112
	v_fmaak_f32 v115, v115, v116, 0x3f2aaada
	v_ldexp_f32 v116, v113, 1
	v_sub_f32_e32 v113, v113, v114
	s_delay_alu instid0(VALU_DEP_4) | instskip(NEXT) | instid1(VALU_DEP_3)
	s_or_b32 s25, s25, s30
	v_mul_f32_e32 v115, v117, v115
	v_mul_f32_e32 v117, 0x3f317218, v102
	s_delay_alu instid0(VALU_DEP_2) | instskip(NEXT) | instid1(VALU_DEP_1)
	v_dual_sub_f32 v103, v103, v113 :: v_dual_add_f32 v114, v116, v115
	v_ldexp_f32 v103, v103, 1
	s_delay_alu instid0(VALU_DEP_2) | instskip(NEXT) | instid1(VALU_DEP_4)
	v_sub_f32_e32 v113, v114, v116
	v_fma_f32 v116, 0x3f317218, v102, -v117
	s_delay_alu instid0(VALU_DEP_1) | instskip(NEXT) | instid1(VALU_DEP_1)
	v_dual_sub_f32 v113, v115, v113 :: v_dual_fmamk_f32 v102, v102, 0xb102e308, v116
	v_add_f32_e32 v103, v103, v113
	s_delay_alu instid0(VALU_DEP_2) | instskip(NEXT) | instid1(VALU_DEP_2)
	v_add_f32_e32 v113, v117, v102
	v_add_f32_e32 v115, v114, v103
	s_delay_alu instid0(VALU_DEP_2) | instskip(NEXT) | instid1(VALU_DEP_2)
	v_sub_f32_e32 v117, v113, v117
	v_add_f32_e32 v116, v113, v115
	v_sub_f32_e32 v114, v115, v114
	s_delay_alu instid0(VALU_DEP_3) | instskip(NEXT) | instid1(VALU_DEP_2)
	v_sub_f32_e32 v102, v102, v117
	v_dual_sub_f32 v118, v116, v113 :: v_dual_sub_f32 v103, v103, v114
	s_delay_alu instid0(VALU_DEP_1) | instskip(NEXT) | instid1(VALU_DEP_2)
	v_sub_f32_e32 v119, v116, v118
	v_dual_sub_f32 v114, v115, v118 :: v_dual_add_f32 v115, v102, v103
	s_delay_alu instid0(VALU_DEP_2) | instskip(NEXT) | instid1(VALU_DEP_1)
	v_sub_f32_e32 v113, v113, v119
	v_dual_add_f32 v113, v114, v113 :: v_dual_sub_f32 v114, v115, v102
	s_delay_alu instid0(VALU_DEP_1) | instskip(NEXT) | instid1(VALU_DEP_2)
	v_add_f32_e32 v113, v115, v113
	v_sub_f32_e32 v115, v115, v114
	v_sub_f32_e32 v103, v103, v114
	s_delay_alu instid0(VALU_DEP_2) | instskip(NEXT) | instid1(VALU_DEP_1)
	v_dual_add_f32 v117, v116, v113 :: v_dual_sub_f32 v102, v102, v115
	v_sub_f32_e32 v114, v117, v116
	s_delay_alu instid0(VALU_DEP_2) | instskip(NEXT) | instid1(VALU_DEP_2)
	v_add_f32_e32 v102, v103, v102
	v_sub_f32_e32 v103, v113, v114
	s_delay_alu instid0(VALU_DEP_1) | instskip(NEXT) | instid1(VALU_DEP_1)
	v_add_f32_e32 v102, v102, v103
	v_add_f32_e32 v102, v117, v102
	s_delay_alu instid0(VALU_DEP_1) | instskip(NEXT) | instid1(VALU_DEP_1)
	v_cndmask_b32_e64 v102, v102, v112, s25
	v_add_f32_e32 v102, v101, v102
.LBB453_286:
	s_or_b32 exec_lo, exec_lo, vcc_hi
	s_delay_alu instid0(VALU_DEP_1) | instskip(SKIP_1) | instid1(VALU_DEP_2)
	v_bfe_u32 v101, v102, 16, 1
	v_cmp_o_f32_e64 s25, v102, v102
	v_add3_u32 v101, v102, v101, 0x7fff
	s_delay_alu instid0(VALU_DEP_1) | instskip(NEXT) | instid1(VALU_DEP_1)
	v_lshrrev_b32_e32 v101, 16, v101
	v_cndmask_b32_e64 v101, 0x7fc0, v101, s25
	s_delay_alu instid0(VALU_DEP_1)
	v_and_b32_e32 v102, 0xffff, v101
.LBB453_287:
	s_or_b32 exec_lo, exec_lo, s27
	s_delay_alu instid0(VALU_DEP_1)
	v_mov_b32_dpp v103, v102 row_shr:2 row_mask:0xf bank_mask:0xf
	s_mov_b32 s27, exec_lo
	v_cmpx_lt_u32_e32 1, v100
	s_cbranch_execz .LBB453_291
; %bb.288:
	v_lshlrev_b32_e32 v101, 16, v102
	s_delay_alu instid0(VALU_DEP_1) | instskip(NEXT) | instid1(VALU_DEP_1)
	v_dual_max_f32 v103, v101, v101 :: v_dual_lshlrev_b32 v102, 16, v103
	v_max_f32_e32 v112, v102, v102
	v_cmp_u_f32_e64 s25, v102, v102
	s_delay_alu instid0(VALU_DEP_2) | instskip(SKIP_1) | instid1(VALU_DEP_2)
	v_min_f32_e32 v113, v112, v103
	v_max_f32_e32 v103, v112, v103
	v_cndmask_b32_e64 v112, v113, v102, s25
	s_delay_alu instid0(VALU_DEP_2) | instskip(SKIP_1) | instid1(VALU_DEP_1)
	v_cndmask_b32_e64 v113, v103, v102, s25
	v_cmp_u_f32_e64 s25, v101, v101
	v_cndmask_b32_e64 v103, v112, v101, s25
	s_delay_alu instid0(VALU_DEP_3) | instskip(NEXT) | instid1(VALU_DEP_2)
	v_cndmask_b32_e64 v101, v113, v101, s25
	v_cmp_class_f32_e64 vcc_hi, v103, 0x1f8
	s_delay_alu instid0(VALU_DEP_2) | instskip(NEXT) | instid1(VALU_DEP_1)
	v_cmp_neq_f32_e64 s25, v103, v101
	s_or_b32 s25, s25, vcc_hi
	s_delay_alu instid0(SALU_CYCLE_1)
	s_and_saveexec_b32 vcc_hi, s25
	s_cbranch_execz .LBB453_290
; %bb.289:
	v_sub_f32_e32 v102, v103, v101
	s_delay_alu instid0(VALU_DEP_1) | instskip(SKIP_1) | instid1(VALU_DEP_2)
	v_mul_f32_e32 v103, 0x3fb8aa3b, v102
	v_cmp_ngt_f32_e64 s25, 0xc2ce8ed0, v102
	v_fma_f32 v112, 0x3fb8aa3b, v102, -v103
	v_rndne_f32_e32 v113, v103
	s_delay_alu instid0(VALU_DEP_1) | instskip(NEXT) | instid1(VALU_DEP_1)
	v_dual_fmamk_f32 v112, v102, 0x32a5705f, v112 :: v_dual_sub_f32 v103, v103, v113
	v_add_f32_e32 v103, v103, v112
	v_cvt_i32_f32_e32 v112, v113
	s_delay_alu instid0(VALU_DEP_2) | instskip(SKIP_2) | instid1(VALU_DEP_1)
	v_exp_f32_e32 v103, v103
	s_waitcnt_depctr 0xfff
	v_ldexp_f32 v103, v103, v112
	v_cndmask_b32_e64 v103, 0, v103, s25
	v_cmp_nlt_f32_e64 s25, 0x42b17218, v102
	s_delay_alu instid0(VALU_DEP_1) | instskip(NEXT) | instid1(VALU_DEP_1)
	v_cndmask_b32_e64 v112, 0x7f800000, v103, s25
	v_add_f32_e32 v113, 1.0, v112
	v_cmp_gt_f32_e64 s30, 0x33800000, |v112|
	s_delay_alu instid0(VALU_DEP_2) | instskip(NEXT) | instid1(VALU_DEP_1)
	v_cvt_f64_f32_e32 v[102:103], v113
	v_frexp_exp_i32_f64_e32 v102, v[102:103]
	v_frexp_mant_f32_e32 v103, v113
	s_delay_alu instid0(VALU_DEP_1) | instskip(SKIP_1) | instid1(VALU_DEP_1)
	v_cmp_gt_f32_e64 s25, 0x3f2aaaab, v103
	v_add_f32_e32 v103, -1.0, v113
	v_sub_f32_e32 v115, v103, v113
	v_sub_f32_e32 v103, v112, v103
	s_delay_alu instid0(VALU_DEP_4) | instskip(SKIP_1) | instid1(VALU_DEP_1)
	v_subrev_co_ci_u32_e64 v102, s25, 0, v102, s25
	s_mov_b32 s25, 0x3e9b6dac
	v_sub_nc_u32_e32 v114, 0, v102
	v_cvt_f32_i32_e32 v102, v102
	s_delay_alu instid0(VALU_DEP_2) | instskip(NEXT) | instid1(VALU_DEP_1)
	v_ldexp_f32 v113, v113, v114
	v_dual_add_f32 v116, 1.0, v113 :: v_dual_add_f32 v115, 1.0, v115
	s_delay_alu instid0(VALU_DEP_1) | instskip(NEXT) | instid1(VALU_DEP_2)
	v_add_f32_e32 v103, v103, v115
	v_add_f32_e32 v115, -1.0, v116
	s_delay_alu instid0(VALU_DEP_2) | instskip(NEXT) | instid1(VALU_DEP_2)
	v_ldexp_f32 v103, v103, v114
	v_dual_add_f32 v114, -1.0, v113 :: v_dual_sub_f32 v115, v113, v115
	s_delay_alu instid0(VALU_DEP_1) | instskip(NEXT) | instid1(VALU_DEP_2)
	v_add_f32_e32 v117, 1.0, v114
	v_add_f32_e32 v115, v103, v115
	s_delay_alu instid0(VALU_DEP_2) | instskip(NEXT) | instid1(VALU_DEP_2)
	v_sub_f32_e32 v113, v113, v117
	v_add_f32_e32 v117, v116, v115
	s_delay_alu instid0(VALU_DEP_2) | instskip(NEXT) | instid1(VALU_DEP_2)
	v_add_f32_e32 v103, v103, v113
	v_rcp_f32_e32 v113, v117
	v_sub_f32_e32 v116, v116, v117
	s_delay_alu instid0(VALU_DEP_1) | instskip(NEXT) | instid1(VALU_DEP_1)
	v_dual_add_f32 v118, v114, v103 :: v_dual_add_f32 v115, v115, v116
	v_sub_f32_e32 v114, v114, v118
	s_waitcnt_depctr 0xfff
	v_mul_f32_e32 v119, v118, v113
	s_delay_alu instid0(VALU_DEP_1) | instskip(NEXT) | instid1(VALU_DEP_1)
	v_dual_add_f32 v103, v103, v114 :: v_dual_mul_f32 v128, v117, v119
	v_fma_f32 v116, v119, v117, -v128
	s_delay_alu instid0(VALU_DEP_1) | instskip(NEXT) | instid1(VALU_DEP_1)
	v_fmac_f32_e32 v116, v119, v115
	v_add_f32_e32 v129, v128, v116
	s_delay_alu instid0(VALU_DEP_1) | instskip(SKIP_1) | instid1(VALU_DEP_2)
	v_sub_f32_e32 v130, v118, v129
	v_sub_f32_e32 v114, v129, v128
	;; [unrolled: 1-line block ×3, first 2 shown]
	s_delay_alu instid0(VALU_DEP_2) | instskip(NEXT) | instid1(VALU_DEP_2)
	v_sub_f32_e32 v114, v114, v116
	v_sub_f32_e32 v118, v118, v129
	s_delay_alu instid0(VALU_DEP_1) | instskip(NEXT) | instid1(VALU_DEP_1)
	v_add_f32_e32 v103, v103, v118
	v_add_f32_e32 v103, v114, v103
	s_delay_alu instid0(VALU_DEP_1) | instskip(NEXT) | instid1(VALU_DEP_1)
	v_add_f32_e32 v114, v130, v103
	v_mul_f32_e32 v116, v113, v114
	s_delay_alu instid0(VALU_DEP_1) | instskip(NEXT) | instid1(VALU_DEP_1)
	v_dual_sub_f32 v129, v130, v114 :: v_dual_mul_f32 v118, v117, v116
	v_add_f32_e32 v103, v103, v129
	s_delay_alu instid0(VALU_DEP_2) | instskip(NEXT) | instid1(VALU_DEP_1)
	v_fma_f32 v117, v116, v117, -v118
	v_fmac_f32_e32 v117, v116, v115
	s_delay_alu instid0(VALU_DEP_1) | instskip(NEXT) | instid1(VALU_DEP_1)
	v_add_f32_e32 v115, v118, v117
	v_sub_f32_e32 v128, v114, v115
	v_sub_f32_e32 v118, v115, v118
	s_delay_alu instid0(VALU_DEP_2) | instskip(NEXT) | instid1(VALU_DEP_1)
	v_sub_f32_e32 v114, v114, v128
	v_sub_f32_e32 v114, v114, v115
	s_delay_alu instid0(VALU_DEP_3) | instskip(NEXT) | instid1(VALU_DEP_2)
	v_sub_f32_e32 v115, v118, v117
	v_add_f32_e32 v103, v103, v114
	v_add_f32_e32 v114, v119, v116
	s_delay_alu instid0(VALU_DEP_2) | instskip(NEXT) | instid1(VALU_DEP_2)
	v_add_f32_e32 v103, v115, v103
	v_sub_f32_e32 v115, v114, v119
	s_delay_alu instid0(VALU_DEP_2) | instskip(NEXT) | instid1(VALU_DEP_2)
	v_add_f32_e32 v103, v128, v103
	v_sub_f32_e32 v115, v116, v115
	s_delay_alu instid0(VALU_DEP_2) | instskip(NEXT) | instid1(VALU_DEP_1)
	v_mul_f32_e32 v103, v113, v103
	v_add_f32_e32 v103, v115, v103
	s_delay_alu instid0(VALU_DEP_1) | instskip(NEXT) | instid1(VALU_DEP_1)
	v_add_f32_e32 v113, v114, v103
	v_mul_f32_e32 v115, v113, v113
	s_delay_alu instid0(VALU_DEP_1) | instskip(SKIP_2) | instid1(VALU_DEP_3)
	v_fmaak_f32 v116, s25, v115, 0x3ecc95a3
	v_mul_f32_e32 v117, v113, v115
	v_cmp_eq_f32_e64 s25, 0x7f800000, v112
	v_fmaak_f32 v115, v115, v116, 0x3f2aaada
	v_ldexp_f32 v116, v113, 1
	v_sub_f32_e32 v113, v113, v114
	s_delay_alu instid0(VALU_DEP_4) | instskip(NEXT) | instid1(VALU_DEP_3)
	s_or_b32 s25, s25, s30
	v_mul_f32_e32 v115, v117, v115
	v_mul_f32_e32 v117, 0x3f317218, v102
	s_delay_alu instid0(VALU_DEP_2) | instskip(NEXT) | instid1(VALU_DEP_1)
	v_dual_sub_f32 v103, v103, v113 :: v_dual_add_f32 v114, v116, v115
	v_ldexp_f32 v103, v103, 1
	s_delay_alu instid0(VALU_DEP_2) | instskip(NEXT) | instid1(VALU_DEP_4)
	v_sub_f32_e32 v113, v114, v116
	v_fma_f32 v116, 0x3f317218, v102, -v117
	s_delay_alu instid0(VALU_DEP_1) | instskip(NEXT) | instid1(VALU_DEP_1)
	v_dual_sub_f32 v113, v115, v113 :: v_dual_fmamk_f32 v102, v102, 0xb102e308, v116
	v_add_f32_e32 v103, v103, v113
	s_delay_alu instid0(VALU_DEP_2) | instskip(NEXT) | instid1(VALU_DEP_2)
	v_add_f32_e32 v113, v117, v102
	v_add_f32_e32 v115, v114, v103
	s_delay_alu instid0(VALU_DEP_2) | instskip(NEXT) | instid1(VALU_DEP_2)
	v_sub_f32_e32 v117, v113, v117
	v_add_f32_e32 v116, v113, v115
	v_sub_f32_e32 v114, v115, v114
	s_delay_alu instid0(VALU_DEP_3) | instskip(NEXT) | instid1(VALU_DEP_2)
	v_sub_f32_e32 v102, v102, v117
	v_dual_sub_f32 v118, v116, v113 :: v_dual_sub_f32 v103, v103, v114
	s_delay_alu instid0(VALU_DEP_1) | instskip(NEXT) | instid1(VALU_DEP_2)
	v_sub_f32_e32 v119, v116, v118
	v_dual_sub_f32 v114, v115, v118 :: v_dual_add_f32 v115, v102, v103
	s_delay_alu instid0(VALU_DEP_2) | instskip(NEXT) | instid1(VALU_DEP_1)
	v_sub_f32_e32 v113, v113, v119
	v_dual_add_f32 v113, v114, v113 :: v_dual_sub_f32 v114, v115, v102
	s_delay_alu instid0(VALU_DEP_1) | instskip(NEXT) | instid1(VALU_DEP_2)
	v_add_f32_e32 v113, v115, v113
	v_sub_f32_e32 v115, v115, v114
	v_sub_f32_e32 v103, v103, v114
	s_delay_alu instid0(VALU_DEP_2) | instskip(NEXT) | instid1(VALU_DEP_1)
	v_dual_add_f32 v117, v116, v113 :: v_dual_sub_f32 v102, v102, v115
	v_sub_f32_e32 v114, v117, v116
	s_delay_alu instid0(VALU_DEP_2) | instskip(NEXT) | instid1(VALU_DEP_2)
	v_add_f32_e32 v102, v103, v102
	v_sub_f32_e32 v103, v113, v114
	s_delay_alu instid0(VALU_DEP_1) | instskip(NEXT) | instid1(VALU_DEP_1)
	v_add_f32_e32 v102, v102, v103
	v_add_f32_e32 v102, v117, v102
	s_delay_alu instid0(VALU_DEP_1) | instskip(NEXT) | instid1(VALU_DEP_1)
	v_cndmask_b32_e64 v102, v102, v112, s25
	v_add_f32_e32 v102, v101, v102
.LBB453_290:
	s_or_b32 exec_lo, exec_lo, vcc_hi
	s_delay_alu instid0(VALU_DEP_1) | instskip(SKIP_1) | instid1(VALU_DEP_2)
	v_bfe_u32 v101, v102, 16, 1
	v_cmp_o_f32_e64 s25, v102, v102
	v_add3_u32 v101, v102, v101, 0x7fff
	s_delay_alu instid0(VALU_DEP_1) | instskip(NEXT) | instid1(VALU_DEP_1)
	v_lshrrev_b32_e32 v101, 16, v101
	v_cndmask_b32_e64 v101, 0x7fc0, v101, s25
	s_delay_alu instid0(VALU_DEP_1)
	v_and_b32_e32 v102, 0xffff, v101
.LBB453_291:
	s_or_b32 exec_lo, exec_lo, s27
	s_delay_alu instid0(VALU_DEP_1)
	v_mov_b32_dpp v103, v102 row_shr:4 row_mask:0xf bank_mask:0xf
	s_mov_b32 s27, exec_lo
	v_cmpx_lt_u32_e32 3, v100
	s_cbranch_execz .LBB453_295
; %bb.292:
	v_lshlrev_b32_e32 v101, 16, v102
	s_delay_alu instid0(VALU_DEP_1) | instskip(NEXT) | instid1(VALU_DEP_1)
	v_dual_max_f32 v103, v101, v101 :: v_dual_lshlrev_b32 v102, 16, v103
	v_max_f32_e32 v112, v102, v102
	v_cmp_u_f32_e64 s25, v102, v102
	s_delay_alu instid0(VALU_DEP_2) | instskip(SKIP_1) | instid1(VALU_DEP_2)
	v_min_f32_e32 v113, v112, v103
	v_max_f32_e32 v103, v112, v103
	v_cndmask_b32_e64 v112, v113, v102, s25
	s_delay_alu instid0(VALU_DEP_2) | instskip(SKIP_1) | instid1(VALU_DEP_1)
	v_cndmask_b32_e64 v113, v103, v102, s25
	v_cmp_u_f32_e64 s25, v101, v101
	v_cndmask_b32_e64 v103, v112, v101, s25
	s_delay_alu instid0(VALU_DEP_3) | instskip(NEXT) | instid1(VALU_DEP_2)
	v_cndmask_b32_e64 v101, v113, v101, s25
	v_cmp_class_f32_e64 vcc_hi, v103, 0x1f8
	s_delay_alu instid0(VALU_DEP_2) | instskip(NEXT) | instid1(VALU_DEP_1)
	v_cmp_neq_f32_e64 s25, v103, v101
	s_or_b32 s25, s25, vcc_hi
	s_delay_alu instid0(SALU_CYCLE_1)
	s_and_saveexec_b32 vcc_hi, s25
	s_cbranch_execz .LBB453_294
; %bb.293:
	v_sub_f32_e32 v102, v103, v101
	s_delay_alu instid0(VALU_DEP_1) | instskip(SKIP_1) | instid1(VALU_DEP_2)
	v_mul_f32_e32 v103, 0x3fb8aa3b, v102
	v_cmp_ngt_f32_e64 s25, 0xc2ce8ed0, v102
	v_fma_f32 v112, 0x3fb8aa3b, v102, -v103
	v_rndne_f32_e32 v113, v103
	s_delay_alu instid0(VALU_DEP_1) | instskip(NEXT) | instid1(VALU_DEP_1)
	v_dual_fmamk_f32 v112, v102, 0x32a5705f, v112 :: v_dual_sub_f32 v103, v103, v113
	v_add_f32_e32 v103, v103, v112
	v_cvt_i32_f32_e32 v112, v113
	s_delay_alu instid0(VALU_DEP_2) | instskip(SKIP_2) | instid1(VALU_DEP_1)
	v_exp_f32_e32 v103, v103
	s_waitcnt_depctr 0xfff
	v_ldexp_f32 v103, v103, v112
	v_cndmask_b32_e64 v103, 0, v103, s25
	v_cmp_nlt_f32_e64 s25, 0x42b17218, v102
	s_delay_alu instid0(VALU_DEP_1) | instskip(NEXT) | instid1(VALU_DEP_1)
	v_cndmask_b32_e64 v112, 0x7f800000, v103, s25
	v_add_f32_e32 v113, 1.0, v112
	v_cmp_gt_f32_e64 s30, 0x33800000, |v112|
	s_delay_alu instid0(VALU_DEP_2) | instskip(NEXT) | instid1(VALU_DEP_1)
	v_cvt_f64_f32_e32 v[102:103], v113
	v_frexp_exp_i32_f64_e32 v102, v[102:103]
	v_frexp_mant_f32_e32 v103, v113
	s_delay_alu instid0(VALU_DEP_1) | instskip(SKIP_1) | instid1(VALU_DEP_1)
	v_cmp_gt_f32_e64 s25, 0x3f2aaaab, v103
	v_add_f32_e32 v103, -1.0, v113
	v_sub_f32_e32 v115, v103, v113
	v_sub_f32_e32 v103, v112, v103
	s_delay_alu instid0(VALU_DEP_4) | instskip(SKIP_1) | instid1(VALU_DEP_1)
	v_subrev_co_ci_u32_e64 v102, s25, 0, v102, s25
	s_mov_b32 s25, 0x3e9b6dac
	v_sub_nc_u32_e32 v114, 0, v102
	v_cvt_f32_i32_e32 v102, v102
	s_delay_alu instid0(VALU_DEP_2) | instskip(NEXT) | instid1(VALU_DEP_1)
	v_ldexp_f32 v113, v113, v114
	v_dual_add_f32 v116, 1.0, v113 :: v_dual_add_f32 v115, 1.0, v115
	s_delay_alu instid0(VALU_DEP_1) | instskip(NEXT) | instid1(VALU_DEP_2)
	v_add_f32_e32 v103, v103, v115
	v_add_f32_e32 v115, -1.0, v116
	s_delay_alu instid0(VALU_DEP_2) | instskip(NEXT) | instid1(VALU_DEP_2)
	v_ldexp_f32 v103, v103, v114
	v_dual_add_f32 v114, -1.0, v113 :: v_dual_sub_f32 v115, v113, v115
	s_delay_alu instid0(VALU_DEP_1) | instskip(NEXT) | instid1(VALU_DEP_2)
	v_add_f32_e32 v117, 1.0, v114
	v_add_f32_e32 v115, v103, v115
	s_delay_alu instid0(VALU_DEP_2) | instskip(NEXT) | instid1(VALU_DEP_2)
	v_sub_f32_e32 v113, v113, v117
	v_add_f32_e32 v117, v116, v115
	s_delay_alu instid0(VALU_DEP_2) | instskip(NEXT) | instid1(VALU_DEP_2)
	v_add_f32_e32 v103, v103, v113
	v_rcp_f32_e32 v113, v117
	v_sub_f32_e32 v116, v116, v117
	s_delay_alu instid0(VALU_DEP_1) | instskip(NEXT) | instid1(VALU_DEP_1)
	v_dual_add_f32 v118, v114, v103 :: v_dual_add_f32 v115, v115, v116
	v_sub_f32_e32 v114, v114, v118
	s_waitcnt_depctr 0xfff
	v_mul_f32_e32 v119, v118, v113
	s_delay_alu instid0(VALU_DEP_1) | instskip(NEXT) | instid1(VALU_DEP_1)
	v_dual_add_f32 v103, v103, v114 :: v_dual_mul_f32 v128, v117, v119
	v_fma_f32 v116, v119, v117, -v128
	s_delay_alu instid0(VALU_DEP_1) | instskip(NEXT) | instid1(VALU_DEP_1)
	v_fmac_f32_e32 v116, v119, v115
	v_add_f32_e32 v129, v128, v116
	s_delay_alu instid0(VALU_DEP_1) | instskip(SKIP_1) | instid1(VALU_DEP_2)
	v_sub_f32_e32 v130, v118, v129
	v_sub_f32_e32 v114, v129, v128
	;; [unrolled: 1-line block ×3, first 2 shown]
	s_delay_alu instid0(VALU_DEP_2) | instskip(NEXT) | instid1(VALU_DEP_2)
	v_sub_f32_e32 v114, v114, v116
	v_sub_f32_e32 v118, v118, v129
	s_delay_alu instid0(VALU_DEP_1) | instskip(NEXT) | instid1(VALU_DEP_1)
	v_add_f32_e32 v103, v103, v118
	v_add_f32_e32 v103, v114, v103
	s_delay_alu instid0(VALU_DEP_1) | instskip(NEXT) | instid1(VALU_DEP_1)
	v_add_f32_e32 v114, v130, v103
	v_mul_f32_e32 v116, v113, v114
	s_delay_alu instid0(VALU_DEP_1) | instskip(NEXT) | instid1(VALU_DEP_1)
	v_dual_sub_f32 v129, v130, v114 :: v_dual_mul_f32 v118, v117, v116
	v_add_f32_e32 v103, v103, v129
	s_delay_alu instid0(VALU_DEP_2) | instskip(NEXT) | instid1(VALU_DEP_1)
	v_fma_f32 v117, v116, v117, -v118
	v_fmac_f32_e32 v117, v116, v115
	s_delay_alu instid0(VALU_DEP_1) | instskip(NEXT) | instid1(VALU_DEP_1)
	v_add_f32_e32 v115, v118, v117
	v_sub_f32_e32 v128, v114, v115
	v_sub_f32_e32 v118, v115, v118
	s_delay_alu instid0(VALU_DEP_2) | instskip(NEXT) | instid1(VALU_DEP_1)
	v_sub_f32_e32 v114, v114, v128
	v_sub_f32_e32 v114, v114, v115
	s_delay_alu instid0(VALU_DEP_3) | instskip(NEXT) | instid1(VALU_DEP_2)
	v_sub_f32_e32 v115, v118, v117
	v_add_f32_e32 v103, v103, v114
	v_add_f32_e32 v114, v119, v116
	s_delay_alu instid0(VALU_DEP_2) | instskip(NEXT) | instid1(VALU_DEP_2)
	v_add_f32_e32 v103, v115, v103
	v_sub_f32_e32 v115, v114, v119
	s_delay_alu instid0(VALU_DEP_2) | instskip(NEXT) | instid1(VALU_DEP_2)
	v_add_f32_e32 v103, v128, v103
	v_sub_f32_e32 v115, v116, v115
	s_delay_alu instid0(VALU_DEP_2) | instskip(NEXT) | instid1(VALU_DEP_1)
	v_mul_f32_e32 v103, v113, v103
	v_add_f32_e32 v103, v115, v103
	s_delay_alu instid0(VALU_DEP_1) | instskip(NEXT) | instid1(VALU_DEP_1)
	v_add_f32_e32 v113, v114, v103
	v_mul_f32_e32 v115, v113, v113
	s_delay_alu instid0(VALU_DEP_1) | instskip(SKIP_2) | instid1(VALU_DEP_3)
	v_fmaak_f32 v116, s25, v115, 0x3ecc95a3
	v_mul_f32_e32 v117, v113, v115
	v_cmp_eq_f32_e64 s25, 0x7f800000, v112
	v_fmaak_f32 v115, v115, v116, 0x3f2aaada
	v_ldexp_f32 v116, v113, 1
	v_sub_f32_e32 v113, v113, v114
	s_delay_alu instid0(VALU_DEP_4) | instskip(NEXT) | instid1(VALU_DEP_3)
	s_or_b32 s25, s25, s30
	v_mul_f32_e32 v115, v117, v115
	v_mul_f32_e32 v117, 0x3f317218, v102
	s_delay_alu instid0(VALU_DEP_2) | instskip(NEXT) | instid1(VALU_DEP_1)
	v_dual_sub_f32 v103, v103, v113 :: v_dual_add_f32 v114, v116, v115
	v_ldexp_f32 v103, v103, 1
	s_delay_alu instid0(VALU_DEP_2) | instskip(NEXT) | instid1(VALU_DEP_4)
	v_sub_f32_e32 v113, v114, v116
	v_fma_f32 v116, 0x3f317218, v102, -v117
	s_delay_alu instid0(VALU_DEP_1) | instskip(NEXT) | instid1(VALU_DEP_1)
	v_dual_sub_f32 v113, v115, v113 :: v_dual_fmamk_f32 v102, v102, 0xb102e308, v116
	v_add_f32_e32 v103, v103, v113
	s_delay_alu instid0(VALU_DEP_2) | instskip(NEXT) | instid1(VALU_DEP_2)
	v_add_f32_e32 v113, v117, v102
	v_add_f32_e32 v115, v114, v103
	s_delay_alu instid0(VALU_DEP_2) | instskip(NEXT) | instid1(VALU_DEP_2)
	v_sub_f32_e32 v117, v113, v117
	v_add_f32_e32 v116, v113, v115
	v_sub_f32_e32 v114, v115, v114
	s_delay_alu instid0(VALU_DEP_3) | instskip(NEXT) | instid1(VALU_DEP_2)
	v_sub_f32_e32 v102, v102, v117
	v_dual_sub_f32 v118, v116, v113 :: v_dual_sub_f32 v103, v103, v114
	s_delay_alu instid0(VALU_DEP_1) | instskip(NEXT) | instid1(VALU_DEP_2)
	v_sub_f32_e32 v119, v116, v118
	v_dual_sub_f32 v114, v115, v118 :: v_dual_add_f32 v115, v102, v103
	s_delay_alu instid0(VALU_DEP_2) | instskip(NEXT) | instid1(VALU_DEP_1)
	v_sub_f32_e32 v113, v113, v119
	v_dual_add_f32 v113, v114, v113 :: v_dual_sub_f32 v114, v115, v102
	s_delay_alu instid0(VALU_DEP_1) | instskip(NEXT) | instid1(VALU_DEP_2)
	v_add_f32_e32 v113, v115, v113
	v_sub_f32_e32 v115, v115, v114
	v_sub_f32_e32 v103, v103, v114
	s_delay_alu instid0(VALU_DEP_2) | instskip(NEXT) | instid1(VALU_DEP_1)
	v_dual_add_f32 v117, v116, v113 :: v_dual_sub_f32 v102, v102, v115
	v_sub_f32_e32 v114, v117, v116
	s_delay_alu instid0(VALU_DEP_2) | instskip(NEXT) | instid1(VALU_DEP_2)
	v_add_f32_e32 v102, v103, v102
	v_sub_f32_e32 v103, v113, v114
	s_delay_alu instid0(VALU_DEP_1) | instskip(NEXT) | instid1(VALU_DEP_1)
	v_add_f32_e32 v102, v102, v103
	v_add_f32_e32 v102, v117, v102
	s_delay_alu instid0(VALU_DEP_1) | instskip(NEXT) | instid1(VALU_DEP_1)
	v_cndmask_b32_e64 v102, v102, v112, s25
	v_add_f32_e32 v102, v101, v102
.LBB453_294:
	s_or_b32 exec_lo, exec_lo, vcc_hi
	s_delay_alu instid0(VALU_DEP_1) | instskip(SKIP_1) | instid1(VALU_DEP_2)
	v_bfe_u32 v101, v102, 16, 1
	v_cmp_o_f32_e64 s25, v102, v102
	v_add3_u32 v101, v102, v101, 0x7fff
	s_delay_alu instid0(VALU_DEP_1) | instskip(NEXT) | instid1(VALU_DEP_1)
	v_lshrrev_b32_e32 v101, 16, v101
	v_cndmask_b32_e64 v101, 0x7fc0, v101, s25
	s_delay_alu instid0(VALU_DEP_1)
	v_and_b32_e32 v102, 0xffff, v101
.LBB453_295:
	s_or_b32 exec_lo, exec_lo, s27
	s_delay_alu instid0(VALU_DEP_1)
	v_mov_b32_dpp v103, v102 row_shr:8 row_mask:0xf bank_mask:0xf
	s_mov_b32 s27, exec_lo
	v_cmpx_lt_u32_e32 7, v100
	s_cbranch_execz .LBB453_299
; %bb.296:
	s_delay_alu instid0(VALU_DEP_2) | instskip(NEXT) | instid1(VALU_DEP_1)
	v_lshlrev_b32_e32 v101, 16, v103
	v_dual_max_f32 v103, v101, v101 :: v_dual_lshlrev_b32 v100, 16, v102
	s_delay_alu instid0(VALU_DEP_1) | instskip(SKIP_1) | instid1(VALU_DEP_2)
	v_max_f32_e32 v102, v100, v100
	v_cmp_u_f32_e64 s25, v101, v101
	v_min_f32_e32 v112, v103, v102
	v_max_f32_e32 v102, v103, v102
	s_delay_alu instid0(VALU_DEP_2) | instskip(NEXT) | instid1(VALU_DEP_2)
	v_cndmask_b32_e64 v103, v112, v101, s25
	v_cndmask_b32_e64 v112, v102, v101, s25
	v_cmp_u_f32_e64 s25, v100, v100
	s_delay_alu instid0(VALU_DEP_1) | instskip(NEXT) | instid1(VALU_DEP_3)
	v_cndmask_b32_e64 v102, v103, v100, s25
	v_cndmask_b32_e64 v100, v112, v100, s25
	s_delay_alu instid0(VALU_DEP_2) | instskip(NEXT) | instid1(VALU_DEP_2)
	v_cmp_class_f32_e64 vcc_hi, v102, 0x1f8
	v_cmp_neq_f32_e64 s25, v102, v100
	s_delay_alu instid0(VALU_DEP_1) | instskip(NEXT) | instid1(SALU_CYCLE_1)
	s_or_b32 s25, s25, vcc_hi
	s_and_saveexec_b32 vcc_hi, s25
	s_cbranch_execz .LBB453_298
; %bb.297:
	v_sub_f32_e32 v101, v102, v100
	s_delay_alu instid0(VALU_DEP_1) | instskip(SKIP_1) | instid1(VALU_DEP_2)
	v_mul_f32_e32 v102, 0x3fb8aa3b, v101
	v_cmp_ngt_f32_e64 s25, 0xc2ce8ed0, v101
	v_fma_f32 v103, 0x3fb8aa3b, v101, -v102
	v_rndne_f32_e32 v112, v102
	s_delay_alu instid0(VALU_DEP_1) | instskip(NEXT) | instid1(VALU_DEP_1)
	v_dual_fmamk_f32 v103, v101, 0x32a5705f, v103 :: v_dual_sub_f32 v102, v102, v112
	v_add_f32_e32 v102, v102, v103
	v_cvt_i32_f32_e32 v103, v112
	s_delay_alu instid0(VALU_DEP_2) | instskip(SKIP_2) | instid1(VALU_DEP_1)
	v_exp_f32_e32 v102, v102
	s_waitcnt_depctr 0xfff
	v_ldexp_f32 v102, v102, v103
	v_cndmask_b32_e64 v102, 0, v102, s25
	v_cmp_nlt_f32_e64 s25, 0x42b17218, v101
	s_delay_alu instid0(VALU_DEP_1) | instskip(NEXT) | instid1(VALU_DEP_1)
	v_cndmask_b32_e64 v103, 0x7f800000, v102, s25
	v_add_f32_e32 v112, 1.0, v103
	v_cmp_gt_f32_e64 s30, 0x33800000, |v103|
	s_delay_alu instid0(VALU_DEP_2) | instskip(NEXT) | instid1(VALU_DEP_1)
	v_cvt_f64_f32_e32 v[101:102], v112
	v_frexp_exp_i32_f64_e32 v101, v[101:102]
	v_frexp_mant_f32_e32 v102, v112
	s_delay_alu instid0(VALU_DEP_1) | instskip(SKIP_1) | instid1(VALU_DEP_1)
	v_cmp_gt_f32_e64 s25, 0x3f2aaaab, v102
	v_add_f32_e32 v102, -1.0, v112
	v_sub_f32_e32 v114, v102, v112
	v_sub_f32_e32 v102, v103, v102
	s_delay_alu instid0(VALU_DEP_4) | instskip(SKIP_1) | instid1(VALU_DEP_1)
	v_subrev_co_ci_u32_e64 v101, s25, 0, v101, s25
	s_mov_b32 s25, 0x3e9b6dac
	v_sub_nc_u32_e32 v113, 0, v101
	v_cvt_f32_i32_e32 v101, v101
	s_delay_alu instid0(VALU_DEP_2) | instskip(NEXT) | instid1(VALU_DEP_1)
	v_ldexp_f32 v112, v112, v113
	v_dual_add_f32 v115, 1.0, v112 :: v_dual_add_f32 v114, 1.0, v114
	s_delay_alu instid0(VALU_DEP_1) | instskip(NEXT) | instid1(VALU_DEP_2)
	v_add_f32_e32 v102, v102, v114
	v_add_f32_e32 v114, -1.0, v115
	s_delay_alu instid0(VALU_DEP_2) | instskip(NEXT) | instid1(VALU_DEP_2)
	v_ldexp_f32 v102, v102, v113
	v_dual_add_f32 v113, -1.0, v112 :: v_dual_sub_f32 v114, v112, v114
	s_delay_alu instid0(VALU_DEP_1) | instskip(NEXT) | instid1(VALU_DEP_2)
	v_add_f32_e32 v116, 1.0, v113
	v_add_f32_e32 v114, v102, v114
	s_delay_alu instid0(VALU_DEP_2) | instskip(NEXT) | instid1(VALU_DEP_2)
	v_sub_f32_e32 v112, v112, v116
	v_add_f32_e32 v116, v115, v114
	s_delay_alu instid0(VALU_DEP_2) | instskip(NEXT) | instid1(VALU_DEP_2)
	v_add_f32_e32 v102, v102, v112
	v_rcp_f32_e32 v112, v116
	v_sub_f32_e32 v115, v115, v116
	s_delay_alu instid0(VALU_DEP_1) | instskip(NEXT) | instid1(VALU_DEP_1)
	v_dual_add_f32 v117, v113, v102 :: v_dual_add_f32 v114, v114, v115
	v_sub_f32_e32 v113, v113, v117
	s_waitcnt_depctr 0xfff
	v_mul_f32_e32 v118, v117, v112
	s_delay_alu instid0(VALU_DEP_1) | instskip(NEXT) | instid1(VALU_DEP_1)
	v_dual_add_f32 v102, v102, v113 :: v_dual_mul_f32 v119, v116, v118
	v_fma_f32 v115, v118, v116, -v119
	s_delay_alu instid0(VALU_DEP_1) | instskip(NEXT) | instid1(VALU_DEP_1)
	v_fmac_f32_e32 v115, v118, v114
	v_add_f32_e32 v128, v119, v115
	s_delay_alu instid0(VALU_DEP_1) | instskip(SKIP_1) | instid1(VALU_DEP_2)
	v_sub_f32_e32 v129, v117, v128
	v_sub_f32_e32 v113, v128, v119
	;; [unrolled: 1-line block ×3, first 2 shown]
	s_delay_alu instid0(VALU_DEP_2) | instskip(NEXT) | instid1(VALU_DEP_2)
	v_sub_f32_e32 v113, v113, v115
	v_sub_f32_e32 v117, v117, v128
	s_delay_alu instid0(VALU_DEP_1) | instskip(NEXT) | instid1(VALU_DEP_1)
	v_add_f32_e32 v102, v102, v117
	v_add_f32_e32 v102, v113, v102
	s_delay_alu instid0(VALU_DEP_1) | instskip(NEXT) | instid1(VALU_DEP_1)
	v_add_f32_e32 v113, v129, v102
	v_mul_f32_e32 v115, v112, v113
	s_delay_alu instid0(VALU_DEP_1) | instskip(NEXT) | instid1(VALU_DEP_1)
	v_dual_sub_f32 v128, v129, v113 :: v_dual_mul_f32 v117, v116, v115
	v_add_f32_e32 v102, v102, v128
	s_delay_alu instid0(VALU_DEP_2) | instskip(NEXT) | instid1(VALU_DEP_1)
	v_fma_f32 v116, v115, v116, -v117
	v_fmac_f32_e32 v116, v115, v114
	s_delay_alu instid0(VALU_DEP_1) | instskip(NEXT) | instid1(VALU_DEP_1)
	v_add_f32_e32 v114, v117, v116
	v_sub_f32_e32 v119, v113, v114
	v_sub_f32_e32 v117, v114, v117
	s_delay_alu instid0(VALU_DEP_2) | instskip(NEXT) | instid1(VALU_DEP_1)
	v_sub_f32_e32 v113, v113, v119
	v_sub_f32_e32 v113, v113, v114
	s_delay_alu instid0(VALU_DEP_3) | instskip(NEXT) | instid1(VALU_DEP_2)
	v_sub_f32_e32 v114, v117, v116
	v_add_f32_e32 v102, v102, v113
	v_add_f32_e32 v113, v118, v115
	s_delay_alu instid0(VALU_DEP_2) | instskip(NEXT) | instid1(VALU_DEP_2)
	v_add_f32_e32 v102, v114, v102
	v_sub_f32_e32 v114, v113, v118
	s_delay_alu instid0(VALU_DEP_2) | instskip(NEXT) | instid1(VALU_DEP_2)
	v_add_f32_e32 v102, v119, v102
	v_sub_f32_e32 v114, v115, v114
	s_delay_alu instid0(VALU_DEP_2) | instskip(NEXT) | instid1(VALU_DEP_1)
	v_mul_f32_e32 v102, v112, v102
	v_add_f32_e32 v102, v114, v102
	s_delay_alu instid0(VALU_DEP_1) | instskip(NEXT) | instid1(VALU_DEP_1)
	v_add_f32_e32 v112, v113, v102
	v_mul_f32_e32 v114, v112, v112
	s_delay_alu instid0(VALU_DEP_1) | instskip(SKIP_2) | instid1(VALU_DEP_3)
	v_fmaak_f32 v115, s25, v114, 0x3ecc95a3
	v_mul_f32_e32 v116, v112, v114
	v_cmp_eq_f32_e64 s25, 0x7f800000, v103
	v_fmaak_f32 v114, v114, v115, 0x3f2aaada
	v_ldexp_f32 v115, v112, 1
	v_sub_f32_e32 v112, v112, v113
	s_delay_alu instid0(VALU_DEP_4) | instskip(NEXT) | instid1(VALU_DEP_3)
	s_or_b32 s25, s25, s30
	v_mul_f32_e32 v114, v116, v114
	v_mul_f32_e32 v116, 0x3f317218, v101
	s_delay_alu instid0(VALU_DEP_2) | instskip(NEXT) | instid1(VALU_DEP_1)
	v_dual_sub_f32 v102, v102, v112 :: v_dual_add_f32 v113, v115, v114
	v_ldexp_f32 v102, v102, 1
	s_delay_alu instid0(VALU_DEP_2) | instskip(NEXT) | instid1(VALU_DEP_4)
	v_sub_f32_e32 v112, v113, v115
	v_fma_f32 v115, 0x3f317218, v101, -v116
	s_delay_alu instid0(VALU_DEP_1) | instskip(NEXT) | instid1(VALU_DEP_1)
	v_dual_sub_f32 v112, v114, v112 :: v_dual_fmamk_f32 v101, v101, 0xb102e308, v115
	v_add_f32_e32 v102, v102, v112
	s_delay_alu instid0(VALU_DEP_2) | instskip(NEXT) | instid1(VALU_DEP_2)
	v_add_f32_e32 v112, v116, v101
	v_add_f32_e32 v114, v113, v102
	s_delay_alu instid0(VALU_DEP_2) | instskip(NEXT) | instid1(VALU_DEP_2)
	v_sub_f32_e32 v116, v112, v116
	v_add_f32_e32 v115, v112, v114
	v_sub_f32_e32 v113, v114, v113
	s_delay_alu instid0(VALU_DEP_3) | instskip(NEXT) | instid1(VALU_DEP_2)
	v_sub_f32_e32 v101, v101, v116
	v_dual_sub_f32 v117, v115, v112 :: v_dual_sub_f32 v102, v102, v113
	s_delay_alu instid0(VALU_DEP_1) | instskip(NEXT) | instid1(VALU_DEP_2)
	v_sub_f32_e32 v118, v115, v117
	v_dual_sub_f32 v113, v114, v117 :: v_dual_add_f32 v114, v101, v102
	s_delay_alu instid0(VALU_DEP_2) | instskip(NEXT) | instid1(VALU_DEP_1)
	v_sub_f32_e32 v112, v112, v118
	v_dual_add_f32 v112, v113, v112 :: v_dual_sub_f32 v113, v114, v101
	s_delay_alu instid0(VALU_DEP_1) | instskip(NEXT) | instid1(VALU_DEP_2)
	v_add_f32_e32 v112, v114, v112
	v_sub_f32_e32 v114, v114, v113
	v_sub_f32_e32 v102, v102, v113
	s_delay_alu instid0(VALU_DEP_2) | instskip(NEXT) | instid1(VALU_DEP_1)
	v_dual_add_f32 v116, v115, v112 :: v_dual_sub_f32 v101, v101, v114
	v_sub_f32_e32 v113, v116, v115
	s_delay_alu instid0(VALU_DEP_2) | instskip(NEXT) | instid1(VALU_DEP_2)
	v_add_f32_e32 v101, v102, v101
	v_sub_f32_e32 v102, v112, v113
	s_delay_alu instid0(VALU_DEP_1) | instskip(NEXT) | instid1(VALU_DEP_1)
	v_add_f32_e32 v101, v101, v102
	v_add_f32_e32 v101, v116, v101
	s_delay_alu instid0(VALU_DEP_1) | instskip(NEXT) | instid1(VALU_DEP_1)
	v_cndmask_b32_e64 v101, v101, v103, s25
	v_add_f32_e32 v101, v100, v101
.LBB453_298:
	s_or_b32 exec_lo, exec_lo, vcc_hi
	s_delay_alu instid0(VALU_DEP_1) | instskip(SKIP_1) | instid1(VALU_DEP_2)
	v_bfe_u32 v100, v101, 16, 1
	v_cmp_o_f32_e64 s25, v101, v101
	v_add3_u32 v100, v101, v100, 0x7fff
	s_delay_alu instid0(VALU_DEP_1) | instskip(NEXT) | instid1(VALU_DEP_1)
	v_lshrrev_b32_e32 v100, 16, v100
	v_cndmask_b32_e64 v101, 0x7fc0, v100, s25
	s_delay_alu instid0(VALU_DEP_1)
	v_and_b32_e32 v102, 0xffff, v101
.LBB453_299:
	s_or_b32 exec_lo, exec_lo, s27
	ds_swizzle_b32 v100, v102 offset:swizzle(BROADCAST,32,15)
	v_and_b32_e32 v103, 16, v99
	s_mov_b32 s27, exec_lo
	s_delay_alu instid0(VALU_DEP_1)
	v_cmpx_ne_u32_e32 0, v103
	s_cbranch_execz .LBB453_303
; %bb.300:
	s_waitcnt lgkmcnt(0)
	v_lshlrev_b32_e32 v101, 16, v100
	s_delay_alu instid0(VALU_DEP_1) | instskip(NEXT) | instid1(VALU_DEP_1)
	v_dual_max_f32 v102, v101, v101 :: v_dual_lshlrev_b32 v103, 16, v102
	v_max_f32_e32 v100, v103, v103
	v_cmp_u_f32_e64 s25, v101, v101
	s_delay_alu instid0(VALU_DEP_2) | instskip(SKIP_1) | instid1(VALU_DEP_2)
	v_min_f32_e32 v112, v102, v100
	v_max_f32_e32 v100, v102, v100
	v_cndmask_b32_e64 v102, v112, v101, s25
	s_delay_alu instid0(VALU_DEP_2) | instskip(SKIP_1) | instid1(VALU_DEP_1)
	v_cndmask_b32_e64 v100, v100, v101, s25
	v_cmp_u_f32_e64 s25, v103, v103
	v_cndmask_b32_e64 v102, v102, v103, s25
	s_delay_alu instid0(VALU_DEP_3) | instskip(NEXT) | instid1(VALU_DEP_2)
	v_cndmask_b32_e64 v100, v100, v103, s25
	v_cmp_class_f32_e64 vcc_hi, v102, 0x1f8
	s_delay_alu instid0(VALU_DEP_2) | instskip(NEXT) | instid1(VALU_DEP_1)
	v_cmp_neq_f32_e64 s25, v102, v100
	s_or_b32 s25, s25, vcc_hi
	s_delay_alu instid0(SALU_CYCLE_1)
	s_and_saveexec_b32 vcc_hi, s25
	s_cbranch_execz .LBB453_302
; %bb.301:
	v_sub_f32_e32 v101, v102, v100
	s_delay_alu instid0(VALU_DEP_1) | instskip(SKIP_1) | instid1(VALU_DEP_2)
	v_mul_f32_e32 v102, 0x3fb8aa3b, v101
	v_cmp_ngt_f32_e64 s25, 0xc2ce8ed0, v101
	v_fma_f32 v103, 0x3fb8aa3b, v101, -v102
	v_rndne_f32_e32 v112, v102
	s_delay_alu instid0(VALU_DEP_1) | instskip(NEXT) | instid1(VALU_DEP_1)
	v_dual_fmamk_f32 v103, v101, 0x32a5705f, v103 :: v_dual_sub_f32 v102, v102, v112
	v_add_f32_e32 v102, v102, v103
	v_cvt_i32_f32_e32 v103, v112
	s_delay_alu instid0(VALU_DEP_2) | instskip(SKIP_2) | instid1(VALU_DEP_1)
	v_exp_f32_e32 v102, v102
	s_waitcnt_depctr 0xfff
	v_ldexp_f32 v102, v102, v103
	v_cndmask_b32_e64 v102, 0, v102, s25
	v_cmp_nlt_f32_e64 s25, 0x42b17218, v101
	s_delay_alu instid0(VALU_DEP_1) | instskip(NEXT) | instid1(VALU_DEP_1)
	v_cndmask_b32_e64 v103, 0x7f800000, v102, s25
	v_add_f32_e32 v112, 1.0, v103
	v_cmp_gt_f32_e64 s30, 0x33800000, |v103|
	s_delay_alu instid0(VALU_DEP_2) | instskip(NEXT) | instid1(VALU_DEP_1)
	v_cvt_f64_f32_e32 v[101:102], v112
	v_frexp_exp_i32_f64_e32 v101, v[101:102]
	v_frexp_mant_f32_e32 v102, v112
	s_delay_alu instid0(VALU_DEP_1) | instskip(SKIP_1) | instid1(VALU_DEP_1)
	v_cmp_gt_f32_e64 s25, 0x3f2aaaab, v102
	v_add_f32_e32 v102, -1.0, v112
	v_sub_f32_e32 v114, v102, v112
	v_sub_f32_e32 v102, v103, v102
	s_delay_alu instid0(VALU_DEP_4) | instskip(SKIP_1) | instid1(VALU_DEP_1)
	v_subrev_co_ci_u32_e64 v101, s25, 0, v101, s25
	s_mov_b32 s25, 0x3e9b6dac
	v_sub_nc_u32_e32 v113, 0, v101
	v_cvt_f32_i32_e32 v101, v101
	s_delay_alu instid0(VALU_DEP_2) | instskip(NEXT) | instid1(VALU_DEP_1)
	v_ldexp_f32 v112, v112, v113
	v_dual_add_f32 v115, 1.0, v112 :: v_dual_add_f32 v114, 1.0, v114
	s_delay_alu instid0(VALU_DEP_1) | instskip(NEXT) | instid1(VALU_DEP_2)
	v_add_f32_e32 v102, v102, v114
	v_add_f32_e32 v114, -1.0, v115
	s_delay_alu instid0(VALU_DEP_2) | instskip(NEXT) | instid1(VALU_DEP_2)
	v_ldexp_f32 v102, v102, v113
	v_dual_add_f32 v113, -1.0, v112 :: v_dual_sub_f32 v114, v112, v114
	s_delay_alu instid0(VALU_DEP_1) | instskip(NEXT) | instid1(VALU_DEP_2)
	v_add_f32_e32 v116, 1.0, v113
	v_add_f32_e32 v114, v102, v114
	s_delay_alu instid0(VALU_DEP_2) | instskip(NEXT) | instid1(VALU_DEP_2)
	v_sub_f32_e32 v112, v112, v116
	v_add_f32_e32 v116, v115, v114
	s_delay_alu instid0(VALU_DEP_2) | instskip(NEXT) | instid1(VALU_DEP_2)
	v_add_f32_e32 v102, v102, v112
	v_rcp_f32_e32 v112, v116
	v_sub_f32_e32 v115, v115, v116
	s_delay_alu instid0(VALU_DEP_1) | instskip(NEXT) | instid1(VALU_DEP_1)
	v_dual_add_f32 v117, v113, v102 :: v_dual_add_f32 v114, v114, v115
	v_sub_f32_e32 v113, v113, v117
	s_waitcnt_depctr 0xfff
	v_mul_f32_e32 v118, v117, v112
	s_delay_alu instid0(VALU_DEP_1) | instskip(NEXT) | instid1(VALU_DEP_1)
	v_dual_add_f32 v102, v102, v113 :: v_dual_mul_f32 v119, v116, v118
	v_fma_f32 v115, v118, v116, -v119
	s_delay_alu instid0(VALU_DEP_1) | instskip(NEXT) | instid1(VALU_DEP_1)
	v_fmac_f32_e32 v115, v118, v114
	v_add_f32_e32 v128, v119, v115
	s_delay_alu instid0(VALU_DEP_1) | instskip(SKIP_1) | instid1(VALU_DEP_2)
	v_sub_f32_e32 v129, v117, v128
	v_sub_f32_e32 v113, v128, v119
	v_sub_f32_e32 v117, v117, v129
	s_delay_alu instid0(VALU_DEP_2) | instskip(NEXT) | instid1(VALU_DEP_2)
	v_sub_f32_e32 v113, v113, v115
	v_sub_f32_e32 v117, v117, v128
	s_delay_alu instid0(VALU_DEP_1) | instskip(NEXT) | instid1(VALU_DEP_1)
	v_add_f32_e32 v102, v102, v117
	v_add_f32_e32 v102, v113, v102
	s_delay_alu instid0(VALU_DEP_1) | instskip(NEXT) | instid1(VALU_DEP_1)
	v_add_f32_e32 v113, v129, v102
	v_mul_f32_e32 v115, v112, v113
	s_delay_alu instid0(VALU_DEP_1) | instskip(NEXT) | instid1(VALU_DEP_1)
	v_dual_sub_f32 v128, v129, v113 :: v_dual_mul_f32 v117, v116, v115
	v_add_f32_e32 v102, v102, v128
	s_delay_alu instid0(VALU_DEP_2) | instskip(NEXT) | instid1(VALU_DEP_1)
	v_fma_f32 v116, v115, v116, -v117
	v_fmac_f32_e32 v116, v115, v114
	s_delay_alu instid0(VALU_DEP_1) | instskip(NEXT) | instid1(VALU_DEP_1)
	v_add_f32_e32 v114, v117, v116
	v_sub_f32_e32 v119, v113, v114
	v_sub_f32_e32 v117, v114, v117
	s_delay_alu instid0(VALU_DEP_2) | instskip(NEXT) | instid1(VALU_DEP_1)
	v_sub_f32_e32 v113, v113, v119
	v_sub_f32_e32 v113, v113, v114
	s_delay_alu instid0(VALU_DEP_3) | instskip(NEXT) | instid1(VALU_DEP_2)
	v_sub_f32_e32 v114, v117, v116
	v_add_f32_e32 v102, v102, v113
	v_add_f32_e32 v113, v118, v115
	s_delay_alu instid0(VALU_DEP_2) | instskip(NEXT) | instid1(VALU_DEP_2)
	v_add_f32_e32 v102, v114, v102
	v_sub_f32_e32 v114, v113, v118
	s_delay_alu instid0(VALU_DEP_2) | instskip(NEXT) | instid1(VALU_DEP_2)
	v_add_f32_e32 v102, v119, v102
	v_sub_f32_e32 v114, v115, v114
	s_delay_alu instid0(VALU_DEP_2) | instskip(NEXT) | instid1(VALU_DEP_1)
	v_mul_f32_e32 v102, v112, v102
	v_add_f32_e32 v102, v114, v102
	s_delay_alu instid0(VALU_DEP_1) | instskip(NEXT) | instid1(VALU_DEP_1)
	v_add_f32_e32 v112, v113, v102
	v_mul_f32_e32 v114, v112, v112
	s_delay_alu instid0(VALU_DEP_1) | instskip(SKIP_2) | instid1(VALU_DEP_3)
	v_fmaak_f32 v115, s25, v114, 0x3ecc95a3
	v_mul_f32_e32 v116, v112, v114
	v_cmp_eq_f32_e64 s25, 0x7f800000, v103
	v_fmaak_f32 v114, v114, v115, 0x3f2aaada
	v_ldexp_f32 v115, v112, 1
	v_sub_f32_e32 v112, v112, v113
	s_delay_alu instid0(VALU_DEP_4) | instskip(NEXT) | instid1(VALU_DEP_3)
	s_or_b32 s25, s25, s30
	v_mul_f32_e32 v114, v116, v114
	v_mul_f32_e32 v116, 0x3f317218, v101
	s_delay_alu instid0(VALU_DEP_2) | instskip(NEXT) | instid1(VALU_DEP_1)
	v_dual_sub_f32 v102, v102, v112 :: v_dual_add_f32 v113, v115, v114
	v_ldexp_f32 v102, v102, 1
	s_delay_alu instid0(VALU_DEP_2) | instskip(NEXT) | instid1(VALU_DEP_4)
	v_sub_f32_e32 v112, v113, v115
	v_fma_f32 v115, 0x3f317218, v101, -v116
	s_delay_alu instid0(VALU_DEP_1) | instskip(NEXT) | instid1(VALU_DEP_1)
	v_dual_sub_f32 v112, v114, v112 :: v_dual_fmamk_f32 v101, v101, 0xb102e308, v115
	v_add_f32_e32 v102, v102, v112
	s_delay_alu instid0(VALU_DEP_2) | instskip(NEXT) | instid1(VALU_DEP_2)
	v_add_f32_e32 v112, v116, v101
	v_add_f32_e32 v114, v113, v102
	s_delay_alu instid0(VALU_DEP_2) | instskip(NEXT) | instid1(VALU_DEP_2)
	v_sub_f32_e32 v116, v112, v116
	v_add_f32_e32 v115, v112, v114
	v_sub_f32_e32 v113, v114, v113
	s_delay_alu instid0(VALU_DEP_3) | instskip(NEXT) | instid1(VALU_DEP_2)
	v_sub_f32_e32 v101, v101, v116
	v_dual_sub_f32 v117, v115, v112 :: v_dual_sub_f32 v102, v102, v113
	s_delay_alu instid0(VALU_DEP_1) | instskip(NEXT) | instid1(VALU_DEP_2)
	v_sub_f32_e32 v118, v115, v117
	v_dual_sub_f32 v113, v114, v117 :: v_dual_add_f32 v114, v101, v102
	s_delay_alu instid0(VALU_DEP_2) | instskip(NEXT) | instid1(VALU_DEP_1)
	v_sub_f32_e32 v112, v112, v118
	v_dual_add_f32 v112, v113, v112 :: v_dual_sub_f32 v113, v114, v101
	s_delay_alu instid0(VALU_DEP_1) | instskip(NEXT) | instid1(VALU_DEP_2)
	v_add_f32_e32 v112, v114, v112
	v_sub_f32_e32 v114, v114, v113
	v_sub_f32_e32 v102, v102, v113
	s_delay_alu instid0(VALU_DEP_2) | instskip(NEXT) | instid1(VALU_DEP_1)
	v_dual_add_f32 v116, v115, v112 :: v_dual_sub_f32 v101, v101, v114
	v_sub_f32_e32 v113, v116, v115
	s_delay_alu instid0(VALU_DEP_2) | instskip(NEXT) | instid1(VALU_DEP_2)
	v_add_f32_e32 v101, v102, v101
	v_sub_f32_e32 v102, v112, v113
	s_delay_alu instid0(VALU_DEP_1) | instskip(NEXT) | instid1(VALU_DEP_1)
	v_add_f32_e32 v101, v101, v102
	v_add_f32_e32 v101, v116, v101
	s_delay_alu instid0(VALU_DEP_1) | instskip(NEXT) | instid1(VALU_DEP_1)
	v_cndmask_b32_e64 v101, v101, v103, s25
	v_add_f32_e32 v101, v100, v101
.LBB453_302:
	s_or_b32 exec_lo, exec_lo, vcc_hi
	s_delay_alu instid0(VALU_DEP_1) | instskip(SKIP_1) | instid1(VALU_DEP_2)
	v_bfe_u32 v100, v101, 16, 1
	v_cmp_o_f32_e64 s25, v101, v101
	v_add3_u32 v100, v101, v100, 0x7fff
	s_delay_alu instid0(VALU_DEP_1) | instskip(NEXT) | instid1(VALU_DEP_1)
	v_lshrrev_b32_e32 v100, 16, v100
	v_cndmask_b32_e64 v101, 0x7fc0, v100, s25
.LBB453_303:
	s_or_b32 exec_lo, exec_lo, s27
	s_waitcnt lgkmcnt(0)
	v_add_nc_u32_e32 v100, -1, v99
	s_delay_alu instid0(VALU_DEP_1) | instskip(NEXT) | instid1(VALU_DEP_1)
	v_cmp_gt_i32_e64 s25, 0, v100
	v_cndmask_b32_e64 v99, v100, v99, s25
	v_and_b32_e32 v100, 0xffff, v101
	s_delay_alu instid0(VALU_DEP_2) | instskip(SKIP_3) | instid1(VALU_DEP_1)
	v_lshlrev_b32_e32 v99, 2, v99
	ds_bpermute_b32 v99, v99, v100
	s_waitcnt lgkmcnt(0)
	v_lshlrev_b32_e32 v99, 16, v99
	v_max_f32_e32 v100, v99, v99
	v_cmp_u_f32_e64 s25, v99, v99
	s_delay_alu instid0(VALU_DEP_2) | instskip(SKIP_1) | instid1(VALU_DEP_2)
	v_min_f32_e32 v101, v100, v98
	v_max_f32_e32 v98, v100, v98
	v_cndmask_b32_e64 v100, v101, v99, s25
	s_delay_alu instid0(VALU_DEP_2) | instskip(NEXT) | instid1(VALU_DEP_2)
	v_cndmask_b32_e64 v101, v98, v99, s25
	v_cndmask_b32_e64 v98, v100, v97, s24
	s_delay_alu instid0(VALU_DEP_2) | instskip(NEXT) | instid1(VALU_DEP_2)
	v_cndmask_b32_e64 v97, v101, v97, s24
	v_cmp_class_f32_e64 s25, v98, 0x1f8
	s_delay_alu instid0(VALU_DEP_2) | instskip(NEXT) | instid1(VALU_DEP_1)
	v_cmp_neq_f32_e64 s24, v98, v97
	s_or_b32 s24, s24, s25
	s_delay_alu instid0(SALU_CYCLE_1)
	s_and_saveexec_b32 s25, s24
	s_cbranch_execz .LBB453_305
; %bb.304:
	v_sub_f32_e32 v98, v98, v97
	s_delay_alu instid0(VALU_DEP_1) | instskip(NEXT) | instid1(VALU_DEP_1)
	v_mul_f32_e32 v99, 0x3fb8aa3b, v98
	v_fma_f32 v100, 0x3fb8aa3b, v98, -v99
	v_rndne_f32_e32 v101, v99
	s_delay_alu instid0(VALU_DEP_1) | instskip(NEXT) | instid1(VALU_DEP_1)
	v_dual_fmamk_f32 v100, v98, 0x32a5705f, v100 :: v_dual_sub_f32 v99, v99, v101
	v_add_f32_e32 v99, v99, v100
	v_cvt_i32_f32_e32 v100, v101
	v_cmp_ngt_f32_e64 s24, 0xc2ce8ed0, v98
	s_delay_alu instid0(VALU_DEP_3) | instskip(SKIP_2) | instid1(VALU_DEP_1)
	v_exp_f32_e32 v99, v99
	s_waitcnt_depctr 0xfff
	v_ldexp_f32 v99, v99, v100
	v_cndmask_b32_e64 v99, 0, v99, s24
	v_cmp_nlt_f32_e64 s24, 0x42b17218, v98
	s_delay_alu instid0(VALU_DEP_1) | instskip(NEXT) | instid1(VALU_DEP_1)
	v_cndmask_b32_e64 v100, 0x7f800000, v99, s24
	v_add_f32_e32 v101, 1.0, v100
	v_cmp_gt_f32_e64 s27, 0x33800000, |v100|
	s_delay_alu instid0(VALU_DEP_2) | instskip(NEXT) | instid1(VALU_DEP_1)
	v_cvt_f64_f32_e32 v[98:99], v101
	v_frexp_exp_i32_f64_e32 v98, v[98:99]
	v_frexp_mant_f32_e32 v99, v101
	s_delay_alu instid0(VALU_DEP_1) | instskip(SKIP_1) | instid1(VALU_DEP_1)
	v_cmp_gt_f32_e64 s24, 0x3f2aaaab, v99
	v_add_f32_e32 v99, -1.0, v101
	v_sub_f32_e32 v103, v99, v101
	s_delay_alu instid0(VALU_DEP_3) | instskip(SKIP_1) | instid1(VALU_DEP_1)
	v_subrev_co_ci_u32_e64 v98, s24, 0, v98, s24
	s_mov_b32 s24, 0x3e9b6dac
	v_sub_nc_u32_e32 v102, 0, v98
	v_cvt_f32_i32_e32 v98, v98
	s_delay_alu instid0(VALU_DEP_2) | instskip(NEXT) | instid1(VALU_DEP_1)
	v_ldexp_f32 v101, v101, v102
	v_dual_sub_f32 v99, v100, v99 :: v_dual_add_f32 v112, 1.0, v101
	v_add_f32_e32 v103, 1.0, v103
	s_delay_alu instid0(VALU_DEP_1) | instskip(NEXT) | instid1(VALU_DEP_3)
	v_add_f32_e32 v99, v99, v103
	v_add_f32_e32 v103, -1.0, v112
	s_delay_alu instid0(VALU_DEP_2) | instskip(NEXT) | instid1(VALU_DEP_2)
	v_ldexp_f32 v99, v99, v102
	v_dual_add_f32 v102, -1.0, v101 :: v_dual_sub_f32 v103, v101, v103
	s_delay_alu instid0(VALU_DEP_1) | instskip(NEXT) | instid1(VALU_DEP_2)
	v_add_f32_e32 v113, 1.0, v102
	v_add_f32_e32 v103, v99, v103
	s_delay_alu instid0(VALU_DEP_2) | instskip(NEXT) | instid1(VALU_DEP_2)
	v_sub_f32_e32 v101, v101, v113
	v_add_f32_e32 v113, v112, v103
	s_delay_alu instid0(VALU_DEP_2) | instskip(NEXT) | instid1(VALU_DEP_2)
	v_add_f32_e32 v99, v99, v101
	v_rcp_f32_e32 v101, v113
	v_sub_f32_e32 v112, v112, v113
	s_delay_alu instid0(VALU_DEP_1) | instskip(NEXT) | instid1(VALU_DEP_1)
	v_dual_add_f32 v114, v102, v99 :: v_dual_add_f32 v103, v103, v112
	v_sub_f32_e32 v102, v102, v114
	s_waitcnt_depctr 0xfff
	v_mul_f32_e32 v115, v114, v101
	s_delay_alu instid0(VALU_DEP_1) | instskip(NEXT) | instid1(VALU_DEP_1)
	v_dual_add_f32 v99, v99, v102 :: v_dual_mul_f32 v116, v113, v115
	v_fma_f32 v112, v115, v113, -v116
	s_delay_alu instid0(VALU_DEP_1) | instskip(NEXT) | instid1(VALU_DEP_1)
	v_fmac_f32_e32 v112, v115, v103
	v_add_f32_e32 v117, v116, v112
	s_delay_alu instid0(VALU_DEP_1) | instskip(SKIP_1) | instid1(VALU_DEP_2)
	v_sub_f32_e32 v118, v114, v117
	v_sub_f32_e32 v102, v117, v116
	v_sub_f32_e32 v114, v114, v118
	s_delay_alu instid0(VALU_DEP_2) | instskip(NEXT) | instid1(VALU_DEP_2)
	v_sub_f32_e32 v102, v102, v112
	v_sub_f32_e32 v114, v114, v117
	s_delay_alu instid0(VALU_DEP_1) | instskip(NEXT) | instid1(VALU_DEP_1)
	v_add_f32_e32 v99, v99, v114
	v_add_f32_e32 v99, v102, v99
	s_delay_alu instid0(VALU_DEP_1) | instskip(NEXT) | instid1(VALU_DEP_1)
	v_add_f32_e32 v102, v118, v99
	v_mul_f32_e32 v112, v101, v102
	s_delay_alu instid0(VALU_DEP_1) | instskip(NEXT) | instid1(VALU_DEP_1)
	v_dual_sub_f32 v117, v118, v102 :: v_dual_mul_f32 v114, v113, v112
	v_add_f32_e32 v99, v99, v117
	s_delay_alu instid0(VALU_DEP_2) | instskip(NEXT) | instid1(VALU_DEP_1)
	v_fma_f32 v113, v112, v113, -v114
	v_fmac_f32_e32 v113, v112, v103
	s_delay_alu instid0(VALU_DEP_1) | instskip(NEXT) | instid1(VALU_DEP_1)
	v_add_f32_e32 v103, v114, v113
	v_sub_f32_e32 v116, v102, v103
	v_sub_f32_e32 v114, v103, v114
	s_delay_alu instid0(VALU_DEP_2) | instskip(NEXT) | instid1(VALU_DEP_1)
	v_sub_f32_e32 v102, v102, v116
	v_sub_f32_e32 v102, v102, v103
	s_delay_alu instid0(VALU_DEP_3) | instskip(NEXT) | instid1(VALU_DEP_2)
	v_sub_f32_e32 v103, v114, v113
	v_add_f32_e32 v99, v99, v102
	v_add_f32_e32 v102, v115, v112
	s_delay_alu instid0(VALU_DEP_2) | instskip(NEXT) | instid1(VALU_DEP_2)
	v_add_f32_e32 v99, v103, v99
	v_sub_f32_e32 v103, v102, v115
	s_delay_alu instid0(VALU_DEP_2) | instskip(NEXT) | instid1(VALU_DEP_2)
	v_add_f32_e32 v99, v116, v99
	v_sub_f32_e32 v103, v112, v103
	s_delay_alu instid0(VALU_DEP_2) | instskip(NEXT) | instid1(VALU_DEP_1)
	v_mul_f32_e32 v99, v101, v99
	v_add_f32_e32 v99, v103, v99
	s_delay_alu instid0(VALU_DEP_1) | instskip(NEXT) | instid1(VALU_DEP_1)
	v_add_f32_e32 v101, v102, v99
	v_mul_f32_e32 v103, v101, v101
	s_delay_alu instid0(VALU_DEP_1) | instskip(SKIP_2) | instid1(VALU_DEP_3)
	v_fmaak_f32 v112, s24, v103, 0x3ecc95a3
	v_mul_f32_e32 v113, v101, v103
	v_cmp_eq_f32_e64 s24, 0x7f800000, v100
	v_fmaak_f32 v103, v103, v112, 0x3f2aaada
	v_ldexp_f32 v112, v101, 1
	v_sub_f32_e32 v101, v101, v102
	s_delay_alu instid0(VALU_DEP_4) | instskip(NEXT) | instid1(VALU_DEP_3)
	s_or_b32 s24, s24, s27
	v_mul_f32_e32 v103, v113, v103
	v_mul_f32_e32 v113, 0x3f317218, v98
	s_delay_alu instid0(VALU_DEP_2) | instskip(NEXT) | instid1(VALU_DEP_1)
	v_dual_sub_f32 v99, v99, v101 :: v_dual_add_f32 v102, v112, v103
	v_ldexp_f32 v99, v99, 1
	s_delay_alu instid0(VALU_DEP_2) | instskip(NEXT) | instid1(VALU_DEP_4)
	v_sub_f32_e32 v101, v102, v112
	v_fma_f32 v112, 0x3f317218, v98, -v113
	s_delay_alu instid0(VALU_DEP_1) | instskip(NEXT) | instid1(VALU_DEP_1)
	v_dual_sub_f32 v101, v103, v101 :: v_dual_fmamk_f32 v98, v98, 0xb102e308, v112
	v_add_f32_e32 v99, v99, v101
	s_delay_alu instid0(VALU_DEP_2) | instskip(NEXT) | instid1(VALU_DEP_2)
	v_add_f32_e32 v101, v113, v98
	v_add_f32_e32 v103, v102, v99
	s_delay_alu instid0(VALU_DEP_2) | instskip(NEXT) | instid1(VALU_DEP_2)
	v_sub_f32_e32 v113, v101, v113
	v_add_f32_e32 v112, v101, v103
	v_sub_f32_e32 v102, v103, v102
	s_delay_alu instid0(VALU_DEP_3) | instskip(NEXT) | instid1(VALU_DEP_2)
	v_sub_f32_e32 v98, v98, v113
	v_dual_sub_f32 v114, v112, v101 :: v_dual_sub_f32 v99, v99, v102
	s_delay_alu instid0(VALU_DEP_1) | instskip(NEXT) | instid1(VALU_DEP_2)
	v_sub_f32_e32 v115, v112, v114
	v_dual_sub_f32 v102, v103, v114 :: v_dual_add_f32 v103, v98, v99
	s_delay_alu instid0(VALU_DEP_2) | instskip(NEXT) | instid1(VALU_DEP_1)
	v_sub_f32_e32 v101, v101, v115
	v_dual_add_f32 v101, v102, v101 :: v_dual_sub_f32 v102, v103, v98
	s_delay_alu instid0(VALU_DEP_1) | instskip(NEXT) | instid1(VALU_DEP_2)
	v_add_f32_e32 v101, v103, v101
	v_sub_f32_e32 v103, v103, v102
	v_sub_f32_e32 v99, v99, v102
	s_delay_alu instid0(VALU_DEP_2) | instskip(NEXT) | instid1(VALU_DEP_1)
	v_dual_add_f32 v113, v112, v101 :: v_dual_sub_f32 v98, v98, v103
	v_sub_f32_e32 v102, v113, v112
	s_delay_alu instid0(VALU_DEP_2) | instskip(NEXT) | instid1(VALU_DEP_2)
	v_add_f32_e32 v98, v99, v98
	v_sub_f32_e32 v99, v101, v102
	s_delay_alu instid0(VALU_DEP_1) | instskip(NEXT) | instid1(VALU_DEP_1)
	v_add_f32_e32 v98, v98, v99
	v_add_f32_e32 v98, v113, v98
	s_delay_alu instid0(VALU_DEP_1) | instskip(NEXT) | instid1(VALU_DEP_1)
	v_cndmask_b32_e64 v98, v98, v100, s24
	v_add_f32_e32 v99, v97, v98
.LBB453_305:
	s_or_b32 exec_lo, exec_lo, s25
	s_delay_alu instid0(VALU_DEP_1) | instskip(SKIP_1) | instid1(VALU_DEP_2)
	v_bfe_u32 v97, v99, 16, 1
	v_cmp_o_f32_e64 s24, v99, v99
	; wave barrier
	v_add3_u32 v97, v99, v97, 0x7fff
	s_delay_alu instid0(VALU_DEP_1) | instskip(NEXT) | instid1(VALU_DEP_1)
	v_lshrrev_b32_e32 v97, 16, v97
	v_cndmask_b32_e64 v97, 0x7fc0, v97, s24
	s_delay_alu instid0(VALU_DEP_1)
	v_cndmask_b32_e64 v97, v97, v87, s23
	ds_store_b16 v96, v97
	; wave barrier
	ds_load_u16 v99, v96 offset:2
	v_lshlrev_b32_e32 v98, 16, v97
	s_waitcnt lgkmcnt(0)
	v_lshlrev_b32_e32 v97, 16, v99
	s_delay_alu instid0(VALU_DEP_1) | instskip(NEXT) | instid1(VALU_DEP_1)
	v_dual_max_f32 v99, v98, v98 :: v_dual_max_f32 v100, v97, v97
	v_min_f32_e32 v101, v99, v100
	v_max_f32_e32 v99, v99, v100
	v_cmp_u_f32_e64 s23, v98, v98
	s_delay_alu instid0(VALU_DEP_1) | instskip(NEXT) | instid1(VALU_DEP_3)
	v_cndmask_b32_e64 v100, v101, v98, s23
	v_cndmask_b32_e64 v101, v99, v98, s23
	v_cmp_u_f32_e64 s23, v97, v97
	s_delay_alu instid0(VALU_DEP_1) | instskip(NEXT) | instid1(VALU_DEP_3)
	v_cndmask_b32_e64 v99, v100, v97, s23
	v_cndmask_b32_e64 v97, v101, v97, s23
	s_delay_alu instid0(VALU_DEP_2) | instskip(NEXT) | instid1(VALU_DEP_2)
	v_cmp_class_f32_e64 s24, v99, 0x1f8
	v_cmp_neq_f32_e64 s23, v99, v97
	s_delay_alu instid0(VALU_DEP_1) | instskip(NEXT) | instid1(SALU_CYCLE_1)
	s_or_b32 s23, s23, s24
	s_and_saveexec_b32 s24, s23
	s_cbranch_execz .LBB453_307
; %bb.306:
	v_sub_f32_e32 v98, v99, v97
	s_delay_alu instid0(VALU_DEP_1) | instskip(SKIP_1) | instid1(VALU_DEP_2)
	v_mul_f32_e32 v99, 0x3fb8aa3b, v98
	v_cmp_ngt_f32_e64 s23, 0xc2ce8ed0, v98
	v_fma_f32 v100, 0x3fb8aa3b, v98, -v99
	v_rndne_f32_e32 v101, v99
	s_delay_alu instid0(VALU_DEP_1) | instskip(NEXT) | instid1(VALU_DEP_1)
	v_dual_fmamk_f32 v100, v98, 0x32a5705f, v100 :: v_dual_sub_f32 v99, v99, v101
	v_add_f32_e32 v99, v99, v100
	v_cvt_i32_f32_e32 v100, v101
	s_delay_alu instid0(VALU_DEP_2) | instskip(SKIP_2) | instid1(VALU_DEP_1)
	v_exp_f32_e32 v99, v99
	s_waitcnt_depctr 0xfff
	v_ldexp_f32 v99, v99, v100
	v_cndmask_b32_e64 v99, 0, v99, s23
	v_cmp_nlt_f32_e64 s23, 0x42b17218, v98
	s_delay_alu instid0(VALU_DEP_1) | instskip(NEXT) | instid1(VALU_DEP_1)
	v_cndmask_b32_e64 v100, 0x7f800000, v99, s23
	v_add_f32_e32 v101, 1.0, v100
	v_cmp_gt_f32_e64 s25, 0x33800000, |v100|
	s_delay_alu instid0(VALU_DEP_2) | instskip(NEXT) | instid1(VALU_DEP_1)
	v_cvt_f64_f32_e32 v[98:99], v101
	v_frexp_exp_i32_f64_e32 v98, v[98:99]
	v_frexp_mant_f32_e32 v99, v101
	s_delay_alu instid0(VALU_DEP_1) | instskip(SKIP_1) | instid1(VALU_DEP_1)
	v_cmp_gt_f32_e64 s23, 0x3f2aaaab, v99
	v_add_f32_e32 v99, -1.0, v101
	v_sub_f32_e32 v103, v99, v101
	v_sub_f32_e32 v99, v100, v99
	s_delay_alu instid0(VALU_DEP_4) | instskip(SKIP_1) | instid1(VALU_DEP_1)
	v_subrev_co_ci_u32_e64 v98, s23, 0, v98, s23
	s_mov_b32 s23, 0x3e9b6dac
	v_sub_nc_u32_e32 v102, 0, v98
	v_cvt_f32_i32_e32 v98, v98
	s_delay_alu instid0(VALU_DEP_2) | instskip(NEXT) | instid1(VALU_DEP_1)
	v_ldexp_f32 v101, v101, v102
	v_dual_add_f32 v112, 1.0, v101 :: v_dual_add_f32 v103, 1.0, v103
	s_delay_alu instid0(VALU_DEP_1) | instskip(NEXT) | instid1(VALU_DEP_2)
	v_add_f32_e32 v99, v99, v103
	v_add_f32_e32 v103, -1.0, v112
	s_delay_alu instid0(VALU_DEP_2) | instskip(NEXT) | instid1(VALU_DEP_2)
	v_ldexp_f32 v99, v99, v102
	v_dual_add_f32 v102, -1.0, v101 :: v_dual_sub_f32 v103, v101, v103
	s_delay_alu instid0(VALU_DEP_1) | instskip(NEXT) | instid1(VALU_DEP_2)
	v_add_f32_e32 v113, 1.0, v102
	v_add_f32_e32 v103, v99, v103
	s_delay_alu instid0(VALU_DEP_2) | instskip(NEXT) | instid1(VALU_DEP_2)
	v_sub_f32_e32 v101, v101, v113
	v_add_f32_e32 v113, v112, v103
	s_delay_alu instid0(VALU_DEP_2) | instskip(NEXT) | instid1(VALU_DEP_2)
	v_add_f32_e32 v99, v99, v101
	v_rcp_f32_e32 v101, v113
	v_sub_f32_e32 v112, v112, v113
	s_delay_alu instid0(VALU_DEP_1) | instskip(NEXT) | instid1(VALU_DEP_1)
	v_dual_add_f32 v114, v102, v99 :: v_dual_add_f32 v103, v103, v112
	v_sub_f32_e32 v102, v102, v114
	s_waitcnt_depctr 0xfff
	v_mul_f32_e32 v115, v114, v101
	s_delay_alu instid0(VALU_DEP_1) | instskip(NEXT) | instid1(VALU_DEP_1)
	v_dual_add_f32 v99, v99, v102 :: v_dual_mul_f32 v116, v113, v115
	v_fma_f32 v112, v115, v113, -v116
	s_delay_alu instid0(VALU_DEP_1) | instskip(NEXT) | instid1(VALU_DEP_1)
	v_fmac_f32_e32 v112, v115, v103
	v_add_f32_e32 v117, v116, v112
	s_delay_alu instid0(VALU_DEP_1) | instskip(SKIP_1) | instid1(VALU_DEP_2)
	v_sub_f32_e32 v118, v114, v117
	v_sub_f32_e32 v102, v117, v116
	;; [unrolled: 1-line block ×3, first 2 shown]
	s_delay_alu instid0(VALU_DEP_2) | instskip(NEXT) | instid1(VALU_DEP_2)
	v_sub_f32_e32 v102, v102, v112
	v_sub_f32_e32 v114, v114, v117
	s_delay_alu instid0(VALU_DEP_1) | instskip(NEXT) | instid1(VALU_DEP_1)
	v_add_f32_e32 v99, v99, v114
	v_add_f32_e32 v99, v102, v99
	s_delay_alu instid0(VALU_DEP_1) | instskip(NEXT) | instid1(VALU_DEP_1)
	v_add_f32_e32 v102, v118, v99
	v_mul_f32_e32 v112, v101, v102
	s_delay_alu instid0(VALU_DEP_1) | instskip(NEXT) | instid1(VALU_DEP_1)
	v_dual_sub_f32 v117, v118, v102 :: v_dual_mul_f32 v114, v113, v112
	v_add_f32_e32 v99, v99, v117
	s_delay_alu instid0(VALU_DEP_2) | instskip(NEXT) | instid1(VALU_DEP_1)
	v_fma_f32 v113, v112, v113, -v114
	v_fmac_f32_e32 v113, v112, v103
	s_delay_alu instid0(VALU_DEP_1) | instskip(NEXT) | instid1(VALU_DEP_1)
	v_add_f32_e32 v103, v114, v113
	v_sub_f32_e32 v116, v102, v103
	v_sub_f32_e32 v114, v103, v114
	s_delay_alu instid0(VALU_DEP_2) | instskip(NEXT) | instid1(VALU_DEP_1)
	v_sub_f32_e32 v102, v102, v116
	v_sub_f32_e32 v102, v102, v103
	s_delay_alu instid0(VALU_DEP_3) | instskip(NEXT) | instid1(VALU_DEP_2)
	v_sub_f32_e32 v103, v114, v113
	v_add_f32_e32 v99, v99, v102
	v_add_f32_e32 v102, v115, v112
	s_delay_alu instid0(VALU_DEP_2) | instskip(NEXT) | instid1(VALU_DEP_2)
	v_add_f32_e32 v99, v103, v99
	v_sub_f32_e32 v103, v102, v115
	s_delay_alu instid0(VALU_DEP_2) | instskip(NEXT) | instid1(VALU_DEP_2)
	v_add_f32_e32 v99, v116, v99
	v_sub_f32_e32 v103, v112, v103
	s_delay_alu instid0(VALU_DEP_2) | instskip(NEXT) | instid1(VALU_DEP_1)
	v_mul_f32_e32 v99, v101, v99
	v_add_f32_e32 v99, v103, v99
	s_delay_alu instid0(VALU_DEP_1) | instskip(NEXT) | instid1(VALU_DEP_1)
	v_add_f32_e32 v101, v102, v99
	v_mul_f32_e32 v103, v101, v101
	s_delay_alu instid0(VALU_DEP_1) | instskip(SKIP_2) | instid1(VALU_DEP_3)
	v_fmaak_f32 v112, s23, v103, 0x3ecc95a3
	v_mul_f32_e32 v113, v101, v103
	v_cmp_eq_f32_e64 s23, 0x7f800000, v100
	v_fmaak_f32 v103, v103, v112, 0x3f2aaada
	v_ldexp_f32 v112, v101, 1
	v_sub_f32_e32 v101, v101, v102
	s_delay_alu instid0(VALU_DEP_4) | instskip(NEXT) | instid1(VALU_DEP_3)
	s_or_b32 s23, s23, s25
	v_mul_f32_e32 v103, v113, v103
	v_mul_f32_e32 v113, 0x3f317218, v98
	s_delay_alu instid0(VALU_DEP_2) | instskip(NEXT) | instid1(VALU_DEP_1)
	v_dual_sub_f32 v99, v99, v101 :: v_dual_add_f32 v102, v112, v103
	v_ldexp_f32 v99, v99, 1
	s_delay_alu instid0(VALU_DEP_2) | instskip(NEXT) | instid1(VALU_DEP_4)
	v_sub_f32_e32 v101, v102, v112
	v_fma_f32 v112, 0x3f317218, v98, -v113
	s_delay_alu instid0(VALU_DEP_1) | instskip(NEXT) | instid1(VALU_DEP_1)
	v_dual_sub_f32 v101, v103, v101 :: v_dual_fmamk_f32 v98, v98, 0xb102e308, v112
	v_add_f32_e32 v99, v99, v101
	s_delay_alu instid0(VALU_DEP_2) | instskip(NEXT) | instid1(VALU_DEP_2)
	v_add_f32_e32 v101, v113, v98
	v_add_f32_e32 v103, v102, v99
	s_delay_alu instid0(VALU_DEP_2) | instskip(NEXT) | instid1(VALU_DEP_2)
	v_sub_f32_e32 v113, v101, v113
	v_add_f32_e32 v112, v101, v103
	v_sub_f32_e32 v102, v103, v102
	s_delay_alu instid0(VALU_DEP_3) | instskip(NEXT) | instid1(VALU_DEP_2)
	v_sub_f32_e32 v98, v98, v113
	v_dual_sub_f32 v114, v112, v101 :: v_dual_sub_f32 v99, v99, v102
	s_delay_alu instid0(VALU_DEP_1) | instskip(NEXT) | instid1(VALU_DEP_2)
	v_sub_f32_e32 v115, v112, v114
	v_dual_sub_f32 v102, v103, v114 :: v_dual_add_f32 v103, v98, v99
	s_delay_alu instid0(VALU_DEP_2) | instskip(NEXT) | instid1(VALU_DEP_1)
	v_sub_f32_e32 v101, v101, v115
	v_dual_add_f32 v101, v102, v101 :: v_dual_sub_f32 v102, v103, v98
	s_delay_alu instid0(VALU_DEP_1) | instskip(NEXT) | instid1(VALU_DEP_2)
	v_add_f32_e32 v101, v103, v101
	v_sub_f32_e32 v103, v103, v102
	v_sub_f32_e32 v99, v99, v102
	s_delay_alu instid0(VALU_DEP_2) | instskip(NEXT) | instid1(VALU_DEP_1)
	v_dual_add_f32 v113, v112, v101 :: v_dual_sub_f32 v98, v98, v103
	v_sub_f32_e32 v102, v113, v112
	s_delay_alu instid0(VALU_DEP_2) | instskip(NEXT) | instid1(VALU_DEP_2)
	v_add_f32_e32 v98, v99, v98
	v_sub_f32_e32 v99, v101, v102
	s_delay_alu instid0(VALU_DEP_1) | instskip(NEXT) | instid1(VALU_DEP_1)
	v_add_f32_e32 v98, v98, v99
	v_add_f32_e32 v98, v113, v98
	s_delay_alu instid0(VALU_DEP_1) | instskip(NEXT) | instid1(VALU_DEP_1)
	v_cndmask_b32_e64 v98, v98, v100, s23
	v_add_f32_e32 v98, v97, v98
.LBB453_307:
	s_or_b32 exec_lo, exec_lo, s24
	s_delay_alu instid0(VALU_DEP_1) | instskip(SKIP_1) | instid1(VALU_DEP_2)
	v_bfe_u32 v97, v98, 16, 1
	v_cmp_o_f32_e64 s23, v98, v98
	v_add3_u32 v97, v98, v97, 0x7fff
	s_delay_alu instid0(VALU_DEP_1) | instskip(NEXT) | instid1(VALU_DEP_1)
	v_lshrrev_b32_e32 v97, 16, v97
	v_cndmask_b32_e64 v97, 0x7fc0, v97, s23
	ds_store_b16 v96, v97 offset:2
.LBB453_308:
	s_or_b32 exec_lo, exec_lo, s26
	s_waitcnt lgkmcnt(0)
	s_barrier
	buffer_gl0_inv
	s_and_saveexec_b32 s23, vcc_lo
	s_cbranch_execz .LBB453_310
; %bb.309:
	v_add_nc_u32_e32 v87, -1, v0
	s_delay_alu instid0(VALU_DEP_1) | instskip(NEXT) | instid1(VALU_DEP_1)
	v_lshrrev_b32_e32 v96, 5, v87
	v_add_lshl_u32 v87, v96, v87, 1
	ds_load_u16 v87, v87
.LBB453_310:
	s_or_b32 exec_lo, exec_lo, s23
	s_and_saveexec_b32 s23, vcc_lo
	s_cbranch_execz .LBB453_314
; %bb.311:
	s_waitcnt lgkmcnt(0)
	v_lshlrev_b32_e32 v54, 16, v87
	s_delay_alu instid0(VALU_DEP_1) | instskip(NEXT) | instid1(VALU_DEP_1)
	v_max_f32_e32 v18, v54, v54
	v_min_f32_e32 v55, v18, v86
	v_max_f32_e32 v18, v18, v86
	v_cmp_u_f32_e32 vcc_lo, v54, v54
	s_delay_alu instid0(VALU_DEP_3) | instskip(NEXT) | instid1(VALU_DEP_3)
	v_cndmask_b32_e32 v55, v55, v54, vcc_lo
	v_cndmask_b32_e32 v18, v18, v54, vcc_lo
	s_delay_alu instid0(VALU_DEP_2) | instskip(NEXT) | instid1(VALU_DEP_2)
	v_cndmask_b32_e64 v55, v55, v20, s22
	v_cndmask_b32_e64 v18, v18, v20, s22
	s_delay_alu instid0(VALU_DEP_2) | instskip(NEXT) | instid1(VALU_DEP_2)
	v_cmp_class_f32_e64 s22, v55, 0x1f8
	v_cmp_neq_f32_e32 vcc_lo, v55, v18
	s_delay_alu instid0(VALU_DEP_2) | instskip(NEXT) | instid1(SALU_CYCLE_1)
	s_or_b32 s24, vcc_lo, s22
	s_and_saveexec_b32 s22, s24
	s_cbranch_execz .LBB453_313
; %bb.312:
	v_sub_f32_e32 v20, v55, v18
	s_mov_b32 s24, 0x3e9b6dac
	s_delay_alu instid0(VALU_DEP_1) | instskip(SKIP_1) | instid1(VALU_DEP_2)
	v_mul_f32_e32 v54, 0x3fb8aa3b, v20
	v_cmp_ngt_f32_e32 vcc_lo, 0xc2ce8ed0, v20
	v_fma_f32 v55, 0x3fb8aa3b, v20, -v54
	v_rndne_f32_e32 v86, v54
	s_delay_alu instid0(VALU_DEP_1) | instskip(NEXT) | instid1(VALU_DEP_1)
	v_dual_fmamk_f32 v55, v20, 0x32a5705f, v55 :: v_dual_sub_f32 v54, v54, v86
	v_add_f32_e32 v54, v54, v55
	v_cvt_i32_f32_e32 v55, v86
	s_delay_alu instid0(VALU_DEP_2) | instskip(SKIP_2) | instid1(VALU_DEP_1)
	v_exp_f32_e32 v54, v54
	s_waitcnt_depctr 0xfff
	v_ldexp_f32 v54, v54, v55
	v_cndmask_b32_e32 v54, 0, v54, vcc_lo
	v_cmp_nlt_f32_e32 vcc_lo, 0x42b17218, v20
	s_delay_alu instid0(VALU_DEP_2) | instskip(NEXT) | instid1(VALU_DEP_1)
	v_cndmask_b32_e32 v20, 0x7f800000, v54, vcc_lo
	v_add_f32_e32 v86, 1.0, v20
	s_delay_alu instid0(VALU_DEP_1) | instskip(NEXT) | instid1(VALU_DEP_1)
	v_cvt_f64_f32_e32 v[54:55], v86
	v_frexp_exp_i32_f64_e32 v54, v[54:55]
	v_frexp_mant_f32_e32 v55, v86
	s_delay_alu instid0(VALU_DEP_1) | instskip(SKIP_1) | instid1(VALU_DEP_1)
	v_cmp_gt_f32_e32 vcc_lo, 0x3f2aaaab, v55
	v_add_f32_e32 v55, -1.0, v86
	v_dual_sub_f32 v96, v55, v86 :: v_dual_sub_f32 v55, v20, v55
	v_subrev_co_ci_u32_e32 v54, vcc_lo, 0, v54, vcc_lo
	s_delay_alu instid0(VALU_DEP_1) | instskip(SKIP_1) | instid1(VALU_DEP_2)
	v_sub_nc_u32_e32 v87, 0, v54
	v_cvt_f32_i32_e32 v54, v54
	v_ldexp_f32 v86, v86, v87
	s_delay_alu instid0(VALU_DEP_1) | instskip(NEXT) | instid1(VALU_DEP_1)
	v_dual_add_f32 v96, 1.0, v96 :: v_dual_add_f32 v97, 1.0, v86
	v_add_f32_e32 v55, v55, v96
	v_cmp_eq_f32_e32 vcc_lo, 0x7f800000, v20
	s_delay_alu instid0(VALU_DEP_2) | instskip(NEXT) | instid1(VALU_DEP_4)
	v_ldexp_f32 v55, v55, v87
	v_dual_add_f32 v87, -1.0, v86 :: v_dual_add_f32 v96, -1.0, v97
	s_delay_alu instid0(VALU_DEP_1) | instskip(NEXT) | instid1(VALU_DEP_2)
	v_add_f32_e32 v98, 1.0, v87
	v_sub_f32_e32 v96, v86, v96
	s_delay_alu instid0(VALU_DEP_2) | instskip(NEXT) | instid1(VALU_DEP_2)
	v_sub_f32_e32 v86, v86, v98
	v_add_f32_e32 v96, v55, v96
	s_delay_alu instid0(VALU_DEP_2) | instskip(NEXT) | instid1(VALU_DEP_1)
	v_add_f32_e32 v55, v55, v86
	v_dual_add_f32 v99, v87, v55 :: v_dual_add_f32 v98, v97, v96
	s_delay_alu instid0(VALU_DEP_1) | instskip(NEXT) | instid1(VALU_DEP_2)
	v_sub_f32_e32 v87, v87, v99
	v_rcp_f32_e32 v86, v98
	v_sub_f32_e32 v97, v97, v98
	s_delay_alu instid0(VALU_DEP_1) | instskip(SKIP_2) | instid1(VALU_DEP_1)
	v_dual_add_f32 v55, v55, v87 :: v_dual_add_f32 v96, v96, v97
	s_waitcnt_depctr 0xfff
	v_mul_f32_e32 v100, v99, v86
	v_mul_f32_e32 v101, v98, v100
	s_delay_alu instid0(VALU_DEP_1) | instskip(NEXT) | instid1(VALU_DEP_1)
	v_fma_f32 v97, v100, v98, -v101
	v_fmac_f32_e32 v97, v100, v96
	s_delay_alu instid0(VALU_DEP_1) | instskip(NEXT) | instid1(VALU_DEP_1)
	v_add_f32_e32 v102, v101, v97
	v_sub_f32_e32 v103, v99, v102
	v_sub_f32_e32 v87, v102, v101
	s_delay_alu instid0(VALU_DEP_2) | instskip(NEXT) | instid1(VALU_DEP_2)
	v_sub_f32_e32 v99, v99, v103
	v_sub_f32_e32 v87, v87, v97
	s_delay_alu instid0(VALU_DEP_2) | instskip(NEXT) | instid1(VALU_DEP_1)
	v_sub_f32_e32 v99, v99, v102
	v_add_f32_e32 v55, v55, v99
	s_delay_alu instid0(VALU_DEP_1) | instskip(NEXT) | instid1(VALU_DEP_1)
	v_add_f32_e32 v55, v87, v55
	v_add_f32_e32 v87, v103, v55
	s_delay_alu instid0(VALU_DEP_1) | instskip(NEXT) | instid1(VALU_DEP_1)
	v_mul_f32_e32 v97, v86, v87
	v_dual_sub_f32 v102, v103, v87 :: v_dual_mul_f32 v99, v98, v97
	s_delay_alu instid0(VALU_DEP_1) | instskip(NEXT) | instid1(VALU_DEP_2)
	v_add_f32_e32 v55, v55, v102
	v_fma_f32 v98, v97, v98, -v99
	s_delay_alu instid0(VALU_DEP_1) | instskip(NEXT) | instid1(VALU_DEP_1)
	v_fmac_f32_e32 v98, v97, v96
	v_add_f32_e32 v96, v99, v98
	s_delay_alu instid0(VALU_DEP_1) | instskip(NEXT) | instid1(VALU_DEP_1)
	v_sub_f32_e32 v101, v87, v96
	v_sub_f32_e32 v87, v87, v101
	s_delay_alu instid0(VALU_DEP_1) | instskip(NEXT) | instid1(VALU_DEP_1)
	v_sub_f32_e32 v87, v87, v96
	v_add_f32_e32 v55, v55, v87
	v_add_f32_e32 v87, v100, v97
	v_sub_f32_e32 v99, v96, v99
	s_delay_alu instid0(VALU_DEP_1) | instskip(NEXT) | instid1(VALU_DEP_1)
	v_sub_f32_e32 v96, v99, v98
	v_dual_add_f32 v55, v96, v55 :: v_dual_sub_f32 v96, v87, v100
	s_delay_alu instid0(VALU_DEP_1) | instskip(NEXT) | instid1(VALU_DEP_1)
	v_add_f32_e32 v55, v101, v55
	v_dual_sub_f32 v96, v97, v96 :: v_dual_mul_f32 v55, v86, v55
	s_delay_alu instid0(VALU_DEP_1) | instskip(NEXT) | instid1(VALU_DEP_1)
	v_add_f32_e32 v55, v96, v55
	v_add_f32_e32 v86, v87, v55
	s_delay_alu instid0(VALU_DEP_1) | instskip(NEXT) | instid1(VALU_DEP_1)
	v_mul_f32_e32 v96, v86, v86
	v_fmaak_f32 v97, s24, v96, 0x3ecc95a3
	v_mul_f32_e32 v98, v86, v96
	v_cmp_gt_f32_e64 s24, 0x33800000, |v20|
	s_delay_alu instid0(VALU_DEP_3) | instskip(SKIP_2) | instid1(VALU_DEP_4)
	v_fmaak_f32 v96, v96, v97, 0x3f2aaada
	v_ldexp_f32 v97, v86, 1
	v_sub_f32_e32 v86, v86, v87
	s_or_b32 vcc_lo, vcc_lo, s24
	s_delay_alu instid0(VALU_DEP_3) | instskip(SKIP_1) | instid1(VALU_DEP_3)
	v_mul_f32_e32 v96, v98, v96
	v_mul_f32_e32 v98, 0x3f317218, v54
	v_sub_f32_e32 v55, v55, v86
	s_delay_alu instid0(VALU_DEP_3) | instskip(NEXT) | instid1(VALU_DEP_2)
	v_add_f32_e32 v87, v97, v96
	v_ldexp_f32 v55, v55, 1
	s_delay_alu instid0(VALU_DEP_2) | instskip(SKIP_1) | instid1(VALU_DEP_2)
	v_sub_f32_e32 v86, v87, v97
	v_fma_f32 v97, 0x3f317218, v54, -v98
	v_sub_f32_e32 v86, v96, v86
	s_delay_alu instid0(VALU_DEP_1) | instskip(NEXT) | instid1(VALU_DEP_1)
	v_dual_fmamk_f32 v54, v54, 0xb102e308, v97 :: v_dual_add_f32 v55, v55, v86
	v_add_f32_e32 v86, v98, v54
	s_delay_alu instid0(VALU_DEP_2) | instskip(NEXT) | instid1(VALU_DEP_1)
	v_add_f32_e32 v96, v87, v55
	v_add_f32_e32 v97, v86, v96
	s_delay_alu instid0(VALU_DEP_1) | instskip(SKIP_1) | instid1(VALU_DEP_2)
	v_sub_f32_e32 v99, v97, v86
	v_dual_sub_f32 v98, v86, v98 :: v_dual_sub_f32 v87, v96, v87
	v_sub_f32_e32 v100, v97, v99
	s_delay_alu instid0(VALU_DEP_1) | instskip(NEXT) | instid1(VALU_DEP_3)
	v_sub_f32_e32 v86, v86, v100
	v_dual_sub_f32 v54, v54, v98 :: v_dual_sub_f32 v55, v55, v87
	v_sub_f32_e32 v87, v96, v99
	s_delay_alu instid0(VALU_DEP_2) | instskip(NEXT) | instid1(VALU_DEP_2)
	v_add_f32_e32 v96, v54, v55
	v_add_f32_e32 v86, v87, v86
	s_delay_alu instid0(VALU_DEP_2) | instskip(NEXT) | instid1(VALU_DEP_2)
	v_sub_f32_e32 v87, v96, v54
	v_add_f32_e32 v86, v96, v86
	s_delay_alu instid0(VALU_DEP_1) | instskip(NEXT) | instid1(VALU_DEP_3)
	v_add_f32_e32 v98, v97, v86
	v_sub_f32_e32 v96, v96, v87
	s_delay_alu instid0(VALU_DEP_1) | instskip(NEXT) | instid1(VALU_DEP_1)
	v_dual_sub_f32 v54, v54, v96 :: v_dual_sub_f32 v55, v55, v87
	v_dual_sub_f32 v87, v98, v97 :: v_dual_add_f32 v54, v55, v54
	s_delay_alu instid0(VALU_DEP_1) | instskip(NEXT) | instid1(VALU_DEP_1)
	v_sub_f32_e32 v55, v86, v87
	v_add_f32_e32 v54, v54, v55
	s_delay_alu instid0(VALU_DEP_1) | instskip(NEXT) | instid1(VALU_DEP_1)
	v_add_f32_e32 v54, v98, v54
	v_cndmask_b32_e32 v20, v54, v20, vcc_lo
	s_delay_alu instid0(VALU_DEP_1)
	v_add_f32_e32 v54, v18, v20
.LBB453_313:
	s_or_b32 exec_lo, exec_lo, s22
	s_delay_alu instid0(VALU_DEP_1) | instskip(SKIP_2) | instid1(VALU_DEP_2)
	v_bfe_u32 v18, v54, 16, 1
	v_cmp_o_f32_e32 vcc_lo, v54, v54
	;;#ASMSTART
	;;#ASMEND
	v_add3_u32 v18, v54, v18, 0x7fff
	s_delay_alu instid0(VALU_DEP_1) | instskip(NEXT) | instid1(VALU_DEP_1)
	v_lshrrev_b32_e32 v18, 16, v18
	v_cndmask_b32_e32 v18, 0x7fc0, v18, vcc_lo
	s_delay_alu instid0(VALU_DEP_1) | instskip(NEXT) | instid1(VALU_DEP_1)
	v_lshlrev_b32_e32 v20, 16, v18
	v_max_f32_e32 v55, v20, v20
	s_delay_alu instid0(VALU_DEP_1)
	v_min_f32_e32 v54, v55, v19
	v_max_f32_e32 v55, v55, v19
.LBB453_314:
	s_or_b32 exec_lo, exec_lo, s23
	v_cmp_u_f32_e32 vcc_lo, v20, v20
	s_delay_alu instid0(VALU_DEP_3) | instskip(NEXT) | instid1(VALU_DEP_3)
	v_cndmask_b32_e32 v19, v54, v20, vcc_lo
	v_cndmask_b32_e32 v54, v55, v20, vcc_lo
	s_delay_alu instid0(VALU_DEP_2) | instskip(NEXT) | instid1(VALU_DEP_2)
	v_cndmask_b32_e64 v19, v19, v13, s1
	v_cndmask_b32_e64 v13, v54, v13, s1
	s_delay_alu instid0(VALU_DEP_2) | instskip(NEXT) | instid1(VALU_DEP_2)
	v_cmp_class_f32_e64 s1, v19, 0x1f8
	v_cmp_neq_f32_e32 vcc_lo, v19, v13
	s_delay_alu instid0(VALU_DEP_2) | instskip(NEXT) | instid1(SALU_CYCLE_1)
	s_or_b32 s22, vcc_lo, s1
	s_and_saveexec_b32 s1, s22
	s_cbranch_execz .LBB453_316
; %bb.315:
	v_sub_f32_e32 v19, v19, v13
	s_mov_b32 s22, 0x3e9b6dac
	s_delay_alu instid0(VALU_DEP_1) | instskip(NEXT) | instid1(VALU_DEP_1)
	v_mul_f32_e32 v20, 0x3fb8aa3b, v19
	v_fma_f32 v54, 0x3fb8aa3b, v19, -v20
	v_rndne_f32_e32 v55, v20
	s_delay_alu instid0(VALU_DEP_1) | instskip(NEXT) | instid1(VALU_DEP_3)
	v_sub_f32_e32 v20, v20, v55
	v_fmamk_f32 v54, v19, 0x32a5705f, v54
	v_cmp_ngt_f32_e32 vcc_lo, 0xc2ce8ed0, v19
	s_delay_alu instid0(VALU_DEP_2) | instskip(SKIP_1) | instid1(VALU_DEP_2)
	v_add_f32_e32 v20, v20, v54
	v_cvt_i32_f32_e32 v54, v55
	v_exp_f32_e32 v20, v20
	s_waitcnt_depctr 0xfff
	v_ldexp_f32 v20, v20, v54
	s_delay_alu instid0(VALU_DEP_1) | instskip(SKIP_1) | instid1(VALU_DEP_2)
	v_cndmask_b32_e32 v20, 0, v20, vcc_lo
	v_cmp_nlt_f32_e32 vcc_lo, 0x42b17218, v19
	v_cndmask_b32_e32 v54, 0x7f800000, v20, vcc_lo
	s_delay_alu instid0(VALU_DEP_1) | instskip(NEXT) | instid1(VALU_DEP_1)
	v_add_f32_e32 v55, 1.0, v54
	v_cvt_f64_f32_e32 v[19:20], v55
	s_delay_alu instid0(VALU_DEP_1) | instskip(SKIP_1) | instid1(VALU_DEP_1)
	v_frexp_exp_i32_f64_e32 v19, v[19:20]
	v_frexp_mant_f32_e32 v20, v55
	v_cmp_gt_f32_e32 vcc_lo, 0x3f2aaaab, v20
	v_add_f32_e32 v20, -1.0, v55
	s_waitcnt lgkmcnt(0)
	s_delay_alu instid0(VALU_DEP_1) | instskip(NEXT) | instid1(VALU_DEP_1)
	v_sub_f32_e32 v87, v20, v55
	v_add_f32_e32 v87, 1.0, v87
	v_subrev_co_ci_u32_e32 v19, vcc_lo, 0, v19, vcc_lo
	s_delay_alu instid0(VALU_DEP_1) | instskip(SKIP_1) | instid1(VALU_DEP_2)
	v_sub_nc_u32_e32 v86, 0, v19
	v_cvt_f32_i32_e32 v19, v19
	v_ldexp_f32 v55, v55, v86
	v_sub_f32_e32 v20, v54, v20
	s_delay_alu instid0(VALU_DEP_2) | instskip(NEXT) | instid1(VALU_DEP_1)
	v_add_f32_e32 v96, 1.0, v55
	v_dual_add_f32 v20, v20, v87 :: v_dual_add_f32 v87, -1.0, v96
	s_delay_alu instid0(VALU_DEP_1) | instskip(SKIP_1) | instid1(VALU_DEP_3)
	v_ldexp_f32 v20, v20, v86
	v_add_f32_e32 v86, -1.0, v55
	v_sub_f32_e32 v87, v55, v87
	s_delay_alu instid0(VALU_DEP_2) | instskip(SKIP_1) | instid1(VALU_DEP_3)
	v_add_f32_e32 v97, 1.0, v86
	v_cmp_eq_f32_e32 vcc_lo, 0x7f800000, v54
	v_add_f32_e32 v87, v20, v87
	s_delay_alu instid0(VALU_DEP_3) | instskip(NEXT) | instid1(VALU_DEP_1)
	v_sub_f32_e32 v55, v55, v97
	v_add_f32_e32 v20, v20, v55
	s_delay_alu instid0(VALU_DEP_1) | instskip(NEXT) | instid1(VALU_DEP_1)
	v_dual_add_f32 v98, v86, v20 :: v_dual_add_f32 v97, v96, v87
	v_rcp_f32_e32 v55, v97
	v_sub_f32_e32 v96, v96, v97
	s_delay_alu instid0(VALU_DEP_1) | instskip(SKIP_2) | instid1(VALU_DEP_1)
	v_add_f32_e32 v87, v87, v96
	s_waitcnt_depctr 0xfff
	v_mul_f32_e32 v99, v98, v55
	v_mul_f32_e32 v100, v97, v99
	s_delay_alu instid0(VALU_DEP_1) | instskip(NEXT) | instid1(VALU_DEP_1)
	v_fma_f32 v96, v99, v97, -v100
	v_fmac_f32_e32 v96, v99, v87
	s_delay_alu instid0(VALU_DEP_1) | instskip(NEXT) | instid1(VALU_DEP_1)
	v_dual_add_f32 v101, v100, v96 :: v_dual_sub_f32 v86, v86, v98
	v_sub_f32_e32 v102, v98, v101
	s_delay_alu instid0(VALU_DEP_2) | instskip(SKIP_1) | instid1(VALU_DEP_3)
	v_add_f32_e32 v20, v20, v86
	v_sub_f32_e32 v86, v101, v100
	v_sub_f32_e32 v98, v98, v102
	s_delay_alu instid0(VALU_DEP_2) | instskip(NEXT) | instid1(VALU_DEP_2)
	v_sub_f32_e32 v86, v86, v96
	v_sub_f32_e32 v98, v98, v101
	s_delay_alu instid0(VALU_DEP_1) | instskip(NEXT) | instid1(VALU_DEP_1)
	v_add_f32_e32 v20, v20, v98
	v_add_f32_e32 v20, v86, v20
	s_delay_alu instid0(VALU_DEP_1) | instskip(NEXT) | instid1(VALU_DEP_1)
	v_add_f32_e32 v86, v102, v20
	v_mul_f32_e32 v96, v55, v86
	s_delay_alu instid0(VALU_DEP_1) | instskip(NEXT) | instid1(VALU_DEP_1)
	v_dual_sub_f32 v101, v102, v86 :: v_dual_mul_f32 v98, v97, v96
	v_add_f32_e32 v20, v20, v101
	s_delay_alu instid0(VALU_DEP_2) | instskip(NEXT) | instid1(VALU_DEP_1)
	v_fma_f32 v97, v96, v97, -v98
	v_fmac_f32_e32 v97, v96, v87
	s_delay_alu instid0(VALU_DEP_1) | instskip(NEXT) | instid1(VALU_DEP_1)
	v_add_f32_e32 v87, v98, v97
	v_sub_f32_e32 v100, v86, v87
	v_sub_f32_e32 v98, v87, v98
	s_delay_alu instid0(VALU_DEP_2) | instskip(NEXT) | instid1(VALU_DEP_1)
	v_sub_f32_e32 v86, v86, v100
	v_sub_f32_e32 v86, v86, v87
	s_delay_alu instid0(VALU_DEP_1) | instskip(SKIP_1) | instid1(VALU_DEP_1)
	v_dual_sub_f32 v87, v98, v97 :: v_dual_add_f32 v20, v20, v86
	v_add_f32_e32 v86, v99, v96
	v_dual_add_f32 v20, v87, v20 :: v_dual_sub_f32 v87, v86, v99
	s_delay_alu instid0(VALU_DEP_1) | instskip(NEXT) | instid1(VALU_DEP_1)
	v_add_f32_e32 v20, v100, v20
	v_dual_sub_f32 v87, v96, v87 :: v_dual_mul_f32 v20, v55, v20
	s_delay_alu instid0(VALU_DEP_1) | instskip(NEXT) | instid1(VALU_DEP_1)
	v_add_f32_e32 v20, v87, v20
	v_add_f32_e32 v55, v86, v20
	s_delay_alu instid0(VALU_DEP_1) | instskip(NEXT) | instid1(VALU_DEP_1)
	v_mul_f32_e32 v87, v55, v55
	v_fmaak_f32 v96, s22, v87, 0x3ecc95a3
	v_mul_f32_e32 v97, v55, v87
	v_cmp_gt_f32_e64 s22, 0x33800000, |v54|
	s_delay_alu instid0(VALU_DEP_3) | instskip(SKIP_2) | instid1(VALU_DEP_4)
	v_fmaak_f32 v87, v87, v96, 0x3f2aaada
	v_ldexp_f32 v96, v55, 1
	v_sub_f32_e32 v55, v55, v86
	s_or_b32 vcc_lo, vcc_lo, s22
	s_delay_alu instid0(VALU_DEP_3) | instskip(SKIP_1) | instid1(VALU_DEP_3)
	v_mul_f32_e32 v87, v97, v87
	v_mul_f32_e32 v97, 0x3f317218, v19
	v_sub_f32_e32 v20, v20, v55
	s_delay_alu instid0(VALU_DEP_3) | instskip(NEXT) | instid1(VALU_DEP_2)
	v_add_f32_e32 v86, v96, v87
	v_ldexp_f32 v20, v20, 1
	s_delay_alu instid0(VALU_DEP_2) | instskip(SKIP_1) | instid1(VALU_DEP_2)
	v_sub_f32_e32 v55, v86, v96
	v_fma_f32 v96, 0x3f317218, v19, -v97
	v_sub_f32_e32 v55, v87, v55
	s_delay_alu instid0(VALU_DEP_1) | instskip(NEXT) | instid1(VALU_DEP_1)
	v_dual_fmamk_f32 v19, v19, 0xb102e308, v96 :: v_dual_add_f32 v20, v20, v55
	v_add_f32_e32 v55, v97, v19
	s_delay_alu instid0(VALU_DEP_2) | instskip(NEXT) | instid1(VALU_DEP_2)
	v_add_f32_e32 v87, v86, v20
	v_sub_f32_e32 v97, v55, v97
	s_delay_alu instid0(VALU_DEP_2) | instskip(SKIP_1) | instid1(VALU_DEP_2)
	v_add_f32_e32 v96, v55, v87
	v_sub_f32_e32 v86, v87, v86
	v_dual_sub_f32 v19, v19, v97 :: v_dual_sub_f32 v98, v96, v55
	s_delay_alu instid0(VALU_DEP_2) | instskip(NEXT) | instid1(VALU_DEP_2)
	v_sub_f32_e32 v20, v20, v86
	v_sub_f32_e32 v99, v96, v98
	;; [unrolled: 1-line block ×3, first 2 shown]
	s_delay_alu instid0(VALU_DEP_3) | instskip(NEXT) | instid1(VALU_DEP_3)
	v_add_f32_e32 v87, v19, v20
	v_sub_f32_e32 v55, v55, v99
	s_delay_alu instid0(VALU_DEP_1) | instskip(NEXT) | instid1(VALU_DEP_3)
	v_add_f32_e32 v55, v86, v55
	v_sub_f32_e32 v86, v87, v19
	s_delay_alu instid0(VALU_DEP_2) | instskip(NEXT) | instid1(VALU_DEP_2)
	v_add_f32_e32 v55, v87, v55
	v_sub_f32_e32 v87, v87, v86
	v_sub_f32_e32 v20, v20, v86
	s_delay_alu instid0(VALU_DEP_3) | instskip(NEXT) | instid1(VALU_DEP_1)
	v_add_f32_e32 v97, v96, v55
	v_dual_sub_f32 v19, v19, v87 :: v_dual_sub_f32 v86, v97, v96
	s_delay_alu instid0(VALU_DEP_1) | instskip(NEXT) | instid1(VALU_DEP_1)
	v_dual_add_f32 v19, v20, v19 :: v_dual_sub_f32 v20, v55, v86
	v_add_f32_e32 v19, v19, v20
	s_delay_alu instid0(VALU_DEP_1) | instskip(NEXT) | instid1(VALU_DEP_1)
	v_add_f32_e32 v19, v97, v19
	v_cndmask_b32_e32 v19, v19, v54, vcc_lo
	s_delay_alu instid0(VALU_DEP_1)
	v_add_f32_e32 v20, v13, v19
.LBB453_316:
	s_or_b32 exec_lo, exec_lo, s1
	s_delay_alu instid0(VALU_DEP_1) | instskip(SKIP_1) | instid1(VALU_DEP_2)
	v_bfe_u32 v13, v20, 16, 1
	v_cmp_o_f32_e32 vcc_lo, v20, v20
	v_add3_u32 v13, v20, v13, 0x7fff
	s_delay_alu instid0(VALU_DEP_1) | instskip(NEXT) | instid1(VALU_DEP_1)
	v_lshrrev_b32_e32 v13, 16, v13
	v_cndmask_b32_e32 v19, 0x7fc0, v13, vcc_lo
	s_delay_alu instid0(VALU_DEP_1) | instskip(NEXT) | instid1(VALU_DEP_1)
	v_lshlrev_b32_e32 v13, 16, v19
	v_max_f32_e32 v20, v13, v13
	v_cmp_u_f32_e32 vcc_lo, v13, v13
	s_delay_alu instid0(VALU_DEP_2) | instskip(NEXT) | instid1(VALU_DEP_1)
	v_min_f32_e32 v54, v20, v7
	v_dual_max_f32 v7, v20, v7 :: v_dual_cndmask_b32 v20, v54, v13
	s_delay_alu instid0(VALU_DEP_1) | instskip(NEXT) | instid1(VALU_DEP_2)
	v_cndmask_b32_e32 v54, v7, v13, vcc_lo
	v_cndmask_b32_e64 v7, v20, v2, s2
	s_delay_alu instid0(VALU_DEP_2) | instskip(NEXT) | instid1(VALU_DEP_2)
	v_cndmask_b32_e64 v2, v54, v2, s2
	v_cmp_class_f32_e64 s1, v7, 0x1f8
	s_delay_alu instid0(VALU_DEP_2) | instskip(NEXT) | instid1(VALU_DEP_2)
	v_cmp_neq_f32_e32 vcc_lo, v7, v2
	s_or_b32 s2, vcc_lo, s1
	s_delay_alu instid0(SALU_CYCLE_1)
	s_and_saveexec_b32 s1, s2
	s_cbranch_execz .LBB453_318
; %bb.317:
	v_sub_f32_e32 v7, v7, v2
	s_mov_b32 s2, 0x3e9b6dac
	s_delay_alu instid0(VALU_DEP_1) | instskip(SKIP_1) | instid1(VALU_DEP_2)
	v_mul_f32_e32 v13, 0x3fb8aa3b, v7
	v_cmp_ngt_f32_e32 vcc_lo, 0xc2ce8ed0, v7
	v_fma_f32 v20, 0x3fb8aa3b, v7, -v13
	v_rndne_f32_e32 v54, v13
	s_delay_alu instid0(VALU_DEP_1) | instskip(NEXT) | instid1(VALU_DEP_1)
	v_dual_fmamk_f32 v20, v7, 0x32a5705f, v20 :: v_dual_sub_f32 v13, v13, v54
	v_add_f32_e32 v13, v13, v20
	v_cvt_i32_f32_e32 v20, v54
	s_delay_alu instid0(VALU_DEP_2) | instskip(SKIP_2) | instid1(VALU_DEP_1)
	v_exp_f32_e32 v13, v13
	s_waitcnt_depctr 0xfff
	v_ldexp_f32 v13, v13, v20
	v_cndmask_b32_e32 v13, 0, v13, vcc_lo
	v_cmp_nlt_f32_e32 vcc_lo, 0x42b17218, v7
	s_delay_alu instid0(VALU_DEP_2) | instskip(NEXT) | instid1(VALU_DEP_1)
	v_cndmask_b32_e32 v7, 0x7f800000, v13, vcc_lo
	v_add_f32_e32 v13, 1.0, v7
	s_delay_alu instid0(VALU_DEP_1) | instskip(NEXT) | instid1(VALU_DEP_1)
	v_cvt_f64_f32_e32 v[54:55], v13
	v_frexp_exp_i32_f64_e32 v20, v[54:55]
	v_frexp_mant_f32_e32 v54, v13
	s_delay_alu instid0(VALU_DEP_1) | instskip(SKIP_1) | instid1(VALU_DEP_1)
	v_cmp_gt_f32_e32 vcc_lo, 0x3f2aaaab, v54
	v_add_f32_e32 v54, -1.0, v13
	v_sub_f32_e32 v86, v54, v13
	v_sub_f32_e32 v54, v7, v54
	s_delay_alu instid0(VALU_DEP_2) | instskip(NEXT) | instid1(VALU_DEP_1)
	v_add_f32_e32 v86, 1.0, v86
	v_add_f32_e32 v54, v54, v86
	v_subrev_co_ci_u32_e32 v20, vcc_lo, 0, v20, vcc_lo
	s_delay_alu instid0(VALU_DEP_1) | instskip(SKIP_1) | instid1(VALU_DEP_2)
	v_sub_nc_u32_e32 v55, 0, v20
	v_cvt_f32_i32_e32 v20, v20
	v_ldexp_f32 v13, v13, v55
	v_ldexp_f32 v54, v54, v55
	s_waitcnt lgkmcnt(0)
	s_delay_alu instid0(VALU_DEP_2) | instskip(NEXT) | instid1(VALU_DEP_1)
	v_add_f32_e32 v87, 1.0, v13
	v_add_f32_e32 v86, -1.0, v87
	v_cmp_eq_f32_e32 vcc_lo, 0x7f800000, v7
	s_delay_alu instid0(VALU_DEP_2) | instskip(NEXT) | instid1(VALU_DEP_1)
	v_sub_f32_e32 v86, v13, v86
	v_dual_add_f32 v86, v54, v86 :: v_dual_add_f32 v55, -1.0, v13
	s_delay_alu instid0(VALU_DEP_1) | instskip(NEXT) | instid1(VALU_DEP_1)
	v_add_f32_e32 v96, 1.0, v55
	v_dual_sub_f32 v13, v13, v96 :: v_dual_add_f32 v96, v87, v86
	s_delay_alu instid0(VALU_DEP_1) | instskip(NEXT) | instid1(VALU_DEP_2)
	v_add_f32_e32 v13, v54, v13
	v_rcp_f32_e32 v54, v96
	v_sub_f32_e32 v87, v87, v96
	s_delay_alu instid0(VALU_DEP_1) | instskip(SKIP_2) | instid1(VALU_DEP_1)
	v_dual_add_f32 v97, v55, v13 :: v_dual_add_f32 v86, v86, v87
	s_waitcnt_depctr 0xfff
	v_dual_sub_f32 v55, v55, v97 :: v_dual_mul_f32 v98, v97, v54
	v_add_f32_e32 v13, v13, v55
	s_delay_alu instid0(VALU_DEP_2) | instskip(NEXT) | instid1(VALU_DEP_1)
	v_mul_f32_e32 v99, v96, v98
	v_fma_f32 v87, v98, v96, -v99
	s_delay_alu instid0(VALU_DEP_1) | instskip(NEXT) | instid1(VALU_DEP_1)
	v_fmac_f32_e32 v87, v98, v86
	v_add_f32_e32 v100, v99, v87
	s_delay_alu instid0(VALU_DEP_1) | instskip(NEXT) | instid1(VALU_DEP_1)
	v_sub_f32_e32 v101, v97, v100
	v_sub_f32_e32 v97, v97, v101
	;; [unrolled: 1-line block ×3, first 2 shown]
	s_delay_alu instid0(VALU_DEP_2) | instskip(NEXT) | instid1(VALU_DEP_2)
	v_sub_f32_e32 v97, v97, v100
	v_sub_f32_e32 v55, v55, v87
	s_delay_alu instid0(VALU_DEP_2) | instskip(NEXT) | instid1(VALU_DEP_1)
	v_add_f32_e32 v13, v13, v97
	v_add_f32_e32 v13, v55, v13
	s_delay_alu instid0(VALU_DEP_1) | instskip(NEXT) | instid1(VALU_DEP_1)
	v_add_f32_e32 v55, v101, v13
	v_mul_f32_e32 v87, v54, v55
	s_delay_alu instid0(VALU_DEP_1) | instskip(NEXT) | instid1(VALU_DEP_1)
	v_mul_f32_e32 v97, v96, v87
	v_fma_f32 v96, v87, v96, -v97
	s_delay_alu instid0(VALU_DEP_1) | instskip(SKIP_1) | instid1(VALU_DEP_2)
	v_fmac_f32_e32 v96, v87, v86
	v_sub_f32_e32 v100, v101, v55
	v_add_f32_e32 v86, v97, v96
	s_delay_alu instid0(VALU_DEP_2) | instskip(NEXT) | instid1(VALU_DEP_2)
	v_add_f32_e32 v13, v13, v100
	v_sub_f32_e32 v99, v55, v86
	v_sub_f32_e32 v97, v86, v97
	s_delay_alu instid0(VALU_DEP_2) | instskip(NEXT) | instid1(VALU_DEP_1)
	v_sub_f32_e32 v55, v55, v99
	v_dual_sub_f32 v55, v55, v86 :: v_dual_sub_f32 v86, v97, v96
	s_delay_alu instid0(VALU_DEP_1) | instskip(SKIP_1) | instid1(VALU_DEP_1)
	v_add_f32_e32 v13, v13, v55
	v_add_f32_e32 v55, v98, v87
	v_dual_add_f32 v13, v86, v13 :: v_dual_sub_f32 v86, v55, v98
	s_delay_alu instid0(VALU_DEP_1) | instskip(NEXT) | instid1(VALU_DEP_1)
	v_add_f32_e32 v13, v99, v13
	v_dual_sub_f32 v86, v87, v86 :: v_dual_mul_f32 v13, v54, v13
	s_delay_alu instid0(VALU_DEP_1) | instskip(NEXT) | instid1(VALU_DEP_1)
	v_add_f32_e32 v13, v86, v13
	v_add_f32_e32 v54, v55, v13
	s_delay_alu instid0(VALU_DEP_1) | instskip(NEXT) | instid1(VALU_DEP_1)
	v_mul_f32_e32 v86, v54, v54
	v_fmaak_f32 v87, s2, v86, 0x3ecc95a3
	v_mul_f32_e32 v96, v54, v86
	v_cmp_gt_f32_e64 s2, 0x33800000, |v7|
	s_delay_alu instid0(VALU_DEP_3) | instskip(SKIP_2) | instid1(VALU_DEP_4)
	v_fmaak_f32 v86, v86, v87, 0x3f2aaada
	v_ldexp_f32 v87, v54, 1
	v_sub_f32_e32 v54, v54, v55
	s_or_b32 vcc_lo, vcc_lo, s2
	s_delay_alu instid0(VALU_DEP_3) | instskip(NEXT) | instid1(VALU_DEP_2)
	v_mul_f32_e32 v86, v96, v86
	v_dual_mul_f32 v96, 0x3f317218, v20 :: v_dual_sub_f32 v13, v13, v54
	s_delay_alu instid0(VALU_DEP_2) | instskip(NEXT) | instid1(VALU_DEP_2)
	v_add_f32_e32 v55, v87, v86
	v_ldexp_f32 v13, v13, 1
	s_delay_alu instid0(VALU_DEP_2) | instskip(NEXT) | instid1(VALU_DEP_4)
	v_sub_f32_e32 v54, v55, v87
	v_fma_f32 v87, 0x3f317218, v20, -v96
	s_delay_alu instid0(VALU_DEP_2) | instskip(NEXT) | instid1(VALU_DEP_1)
	v_sub_f32_e32 v54, v86, v54
	v_dual_fmamk_f32 v20, v20, 0xb102e308, v87 :: v_dual_add_f32 v13, v13, v54
	s_delay_alu instid0(VALU_DEP_1) | instskip(NEXT) | instid1(VALU_DEP_2)
	v_add_f32_e32 v54, v96, v20
	v_add_f32_e32 v86, v55, v13
	s_delay_alu instid0(VALU_DEP_2) | instskip(NEXT) | instid1(VALU_DEP_2)
	v_sub_f32_e32 v96, v54, v96
	v_add_f32_e32 v87, v54, v86
	s_delay_alu instid0(VALU_DEP_2) | instskip(NEXT) | instid1(VALU_DEP_2)
	v_dual_sub_f32 v55, v86, v55 :: v_dual_sub_f32 v20, v20, v96
	v_sub_f32_e32 v97, v87, v54
	s_delay_alu instid0(VALU_DEP_1) | instskip(SKIP_1) | instid1(VALU_DEP_2)
	v_dual_sub_f32 v13, v13, v55 :: v_dual_sub_f32 v98, v87, v97
	v_sub_f32_e32 v55, v86, v97
	v_add_f32_e32 v86, v20, v13
	s_delay_alu instid0(VALU_DEP_3) | instskip(NEXT) | instid1(VALU_DEP_1)
	v_sub_f32_e32 v54, v54, v98
	v_dual_add_f32 v54, v55, v54 :: v_dual_sub_f32 v55, v86, v20
	s_delay_alu instid0(VALU_DEP_1) | instskip(NEXT) | instid1(VALU_DEP_2)
	v_add_f32_e32 v54, v86, v54
	v_sub_f32_e32 v86, v86, v55
	s_delay_alu instid0(VALU_DEP_2) | instskip(NEXT) | instid1(VALU_DEP_2)
	v_dual_sub_f32 v13, v13, v55 :: v_dual_add_f32 v96, v87, v54
	v_sub_f32_e32 v20, v20, v86
	s_delay_alu instid0(VALU_DEP_2) | instskip(NEXT) | instid1(VALU_DEP_1)
	v_sub_f32_e32 v55, v96, v87
	v_dual_add_f32 v13, v13, v20 :: v_dual_sub_f32 v20, v54, v55
	s_delay_alu instid0(VALU_DEP_1) | instskip(NEXT) | instid1(VALU_DEP_1)
	v_add_f32_e32 v13, v13, v20
	v_add_f32_e32 v13, v96, v13
	s_delay_alu instid0(VALU_DEP_1) | instskip(NEXT) | instid1(VALU_DEP_1)
	v_cndmask_b32_e32 v7, v13, v7, vcc_lo
	v_add_f32_e32 v13, v2, v7
.LBB453_318:
	s_or_b32 exec_lo, exec_lo, s1
	s_delay_alu instid0(VALU_DEP_1) | instskip(SKIP_1) | instid1(VALU_DEP_2)
	v_bfe_u32 v2, v13, 16, 1
	v_cmp_o_f32_e32 vcc_lo, v13, v13
	v_add3_u32 v2, v13, v2, 0x7fff
	s_delay_alu instid0(VALU_DEP_1) | instskip(NEXT) | instid1(VALU_DEP_1)
	v_lshrrev_b32_e32 v2, 16, v2
	v_cndmask_b32_e32 v20, 0x7fc0, v2, vcc_lo
	s_delay_alu instid0(VALU_DEP_1) | instskip(NEXT) | instid1(VALU_DEP_1)
	v_lshlrev_b32_e32 v7, 16, v20
	v_max_f32_e32 v2, v7, v7
	s_delay_alu instid0(VALU_DEP_1) | instskip(SKIP_2) | instid1(VALU_DEP_3)
	v_min_f32_e32 v13, v2, v21
	v_max_f32_e32 v2, v2, v21
	v_cmp_u_f32_e32 vcc_lo, v7, v7
	v_cndmask_b32_e32 v13, v13, v7, vcc_lo
	s_delay_alu instid0(VALU_DEP_3) | instskip(NEXT) | instid1(VALU_DEP_2)
	v_cndmask_b32_e32 v2, v2, v7, vcc_lo
	v_cndmask_b32_e64 v13, v13, v3, s3
	s_delay_alu instid0(VALU_DEP_2) | instskip(NEXT) | instid1(VALU_DEP_2)
	v_cndmask_b32_e64 v2, v2, v3, s3
	v_cmp_class_f32_e64 s1, v13, 0x1f8
	s_delay_alu instid0(VALU_DEP_2) | instskip(NEXT) | instid1(VALU_DEP_2)
	v_cmp_neq_f32_e32 vcc_lo, v13, v2
	s_or_b32 s2, vcc_lo, s1
	s_delay_alu instid0(SALU_CYCLE_1)
	s_and_saveexec_b32 s1, s2
	s_cbranch_execz .LBB453_320
; %bb.319:
	v_sub_f32_e32 v3, v13, v2
	s_mov_b32 s2, 0x3e9b6dac
	s_delay_alu instid0(VALU_DEP_1) | instskip(SKIP_1) | instid1(VALU_DEP_2)
	v_mul_f32_e32 v7, 0x3fb8aa3b, v3
	v_cmp_ngt_f32_e32 vcc_lo, 0xc2ce8ed0, v3
	v_fma_f32 v13, 0x3fb8aa3b, v3, -v7
	v_rndne_f32_e32 v21, v7
	s_delay_alu instid0(VALU_DEP_2) | instskip(NEXT) | instid1(VALU_DEP_2)
	v_fmamk_f32 v13, v3, 0x32a5705f, v13
	v_sub_f32_e32 v7, v7, v21
	s_delay_alu instid0(VALU_DEP_1) | instskip(SKIP_1) | instid1(VALU_DEP_2)
	v_add_f32_e32 v7, v7, v13
	v_cvt_i32_f32_e32 v13, v21
	v_exp_f32_e32 v7, v7
	s_waitcnt_depctr 0xfff
	v_ldexp_f32 v7, v7, v13
	s_delay_alu instid0(VALU_DEP_1) | instskip(SKIP_1) | instid1(VALU_DEP_2)
	v_cndmask_b32_e32 v7, 0, v7, vcc_lo
	v_cmp_nlt_f32_e32 vcc_lo, 0x42b17218, v3
	v_cndmask_b32_e32 v3, 0x7f800000, v7, vcc_lo
	s_delay_alu instid0(VALU_DEP_1) | instskip(NEXT) | instid1(VALU_DEP_1)
	v_add_f32_e32 v7, 1.0, v3
	v_cvt_f64_f32_e32 v[54:55], v7
	v_frexp_mant_f32_e32 v21, v7
	s_delay_alu instid0(VALU_DEP_1) | instskip(SKIP_1) | instid1(VALU_DEP_4)
	v_cmp_gt_f32_e32 vcc_lo, 0x3f2aaaab, v21
	v_add_f32_e32 v21, -1.0, v7
	v_frexp_exp_i32_f64_e32 v13, v[54:55]
	s_delay_alu instid0(VALU_DEP_2) | instskip(SKIP_1) | instid1(VALU_DEP_2)
	v_sub_f32_e32 v55, v21, v7
	v_sub_f32_e32 v21, v3, v21
	v_add_f32_e32 v55, 1.0, v55
	s_delay_alu instid0(VALU_DEP_1) | instskip(SKIP_1) | instid1(VALU_DEP_1)
	v_add_f32_e32 v21, v21, v55
	v_subrev_co_ci_u32_e32 v13, vcc_lo, 0, v13, vcc_lo
	v_sub_nc_u32_e32 v54, 0, v13
	v_cvt_f32_i32_e32 v13, v13
	s_delay_alu instid0(VALU_DEP_2) | instskip(SKIP_1) | instid1(VALU_DEP_2)
	v_ldexp_f32 v7, v7, v54
	v_ldexp_f32 v21, v21, v54
	v_add_f32_e32 v86, 1.0, v7
	s_delay_alu instid0(VALU_DEP_1) | instskip(SKIP_1) | instid1(VALU_DEP_1)
	v_dual_add_f32 v54, -1.0, v7 :: v_dual_add_f32 v55, -1.0, v86
	s_waitcnt lgkmcnt(0)
	v_add_f32_e32 v87, 1.0, v54
	s_delay_alu instid0(VALU_DEP_2) | instskip(NEXT) | instid1(VALU_DEP_2)
	v_sub_f32_e32 v55, v7, v55
	v_sub_f32_e32 v7, v7, v87
	s_delay_alu instid0(VALU_DEP_2) | instskip(NEXT) | instid1(VALU_DEP_2)
	v_add_f32_e32 v55, v21, v55
	v_add_f32_e32 v7, v21, v7
	s_delay_alu instid0(VALU_DEP_2) | instskip(NEXT) | instid1(VALU_DEP_2)
	v_add_f32_e32 v87, v86, v55
	v_add_f32_e32 v96, v54, v7
	s_delay_alu instid0(VALU_DEP_2) | instskip(SKIP_1) | instid1(VALU_DEP_1)
	v_rcp_f32_e32 v21, v87
	v_sub_f32_e32 v86, v86, v87
	v_dual_sub_f32 v54, v54, v96 :: v_dual_add_f32 v55, v55, v86
	s_delay_alu instid0(VALU_DEP_1) | instskip(SKIP_2) | instid1(VALU_DEP_1)
	v_add_f32_e32 v7, v7, v54
	s_waitcnt_depctr 0xfff
	v_mul_f32_e32 v97, v96, v21
	v_mul_f32_e32 v98, v87, v97
	s_delay_alu instid0(VALU_DEP_1) | instskip(NEXT) | instid1(VALU_DEP_1)
	v_fma_f32 v86, v97, v87, -v98
	v_fmac_f32_e32 v86, v97, v55
	s_delay_alu instid0(VALU_DEP_1) | instskip(NEXT) | instid1(VALU_DEP_1)
	v_add_f32_e32 v99, v98, v86
	v_sub_f32_e32 v100, v96, v99
	v_sub_f32_e32 v54, v99, v98
	s_delay_alu instid0(VALU_DEP_2) | instskip(NEXT) | instid1(VALU_DEP_2)
	v_sub_f32_e32 v96, v96, v100
	v_sub_f32_e32 v54, v54, v86
	v_cmp_eq_f32_e32 vcc_lo, 0x7f800000, v3
	s_delay_alu instid0(VALU_DEP_3) | instskip(NEXT) | instid1(VALU_DEP_1)
	v_sub_f32_e32 v96, v96, v99
	v_add_f32_e32 v7, v7, v96
	s_delay_alu instid0(VALU_DEP_1) | instskip(NEXT) | instid1(VALU_DEP_1)
	v_add_f32_e32 v7, v54, v7
	v_add_f32_e32 v54, v100, v7
	s_delay_alu instid0(VALU_DEP_1) | instskip(SKIP_1) | instid1(VALU_DEP_2)
	v_mul_f32_e32 v86, v21, v54
	v_sub_f32_e32 v99, v100, v54
	v_mul_f32_e32 v96, v87, v86
	s_delay_alu instid0(VALU_DEP_2) | instskip(NEXT) | instid1(VALU_DEP_2)
	v_add_f32_e32 v7, v7, v99
	v_fma_f32 v87, v86, v87, -v96
	s_delay_alu instid0(VALU_DEP_1) | instskip(NEXT) | instid1(VALU_DEP_1)
	v_fmac_f32_e32 v87, v86, v55
	v_add_f32_e32 v55, v96, v87
	s_delay_alu instid0(VALU_DEP_1) | instskip(SKIP_1) | instid1(VALU_DEP_2)
	v_sub_f32_e32 v98, v54, v55
	v_sub_f32_e32 v96, v55, v96
	;; [unrolled: 1-line block ×3, first 2 shown]
	s_delay_alu instid0(VALU_DEP_1) | instskip(NEXT) | instid1(VALU_DEP_3)
	v_sub_f32_e32 v54, v54, v55
	v_sub_f32_e32 v55, v96, v87
	s_delay_alu instid0(VALU_DEP_2) | instskip(NEXT) | instid1(VALU_DEP_1)
	v_add_f32_e32 v7, v7, v54
	v_dual_add_f32 v54, v97, v86 :: v_dual_add_f32 v7, v55, v7
	s_delay_alu instid0(VALU_DEP_1) | instskip(NEXT) | instid1(VALU_DEP_2)
	v_sub_f32_e32 v55, v54, v97
	v_add_f32_e32 v7, v98, v7
	s_delay_alu instid0(VALU_DEP_2) | instskip(NEXT) | instid1(VALU_DEP_2)
	v_sub_f32_e32 v55, v86, v55
	v_mul_f32_e32 v7, v21, v7
	s_delay_alu instid0(VALU_DEP_1) | instskip(NEXT) | instid1(VALU_DEP_1)
	v_add_f32_e32 v7, v55, v7
	v_add_f32_e32 v21, v54, v7
	s_delay_alu instid0(VALU_DEP_1) | instskip(NEXT) | instid1(VALU_DEP_1)
	v_mul_f32_e32 v55, v21, v21
	v_fmaak_f32 v86, s2, v55, 0x3ecc95a3
	v_mul_f32_e32 v87, v21, v55
	v_cmp_gt_f32_e64 s2, 0x33800000, |v3|
	s_delay_alu instid0(VALU_DEP_3) | instskip(SKIP_2) | instid1(VALU_DEP_4)
	v_fmaak_f32 v55, v55, v86, 0x3f2aaada
	v_ldexp_f32 v86, v21, 1
	v_sub_f32_e32 v21, v21, v54
	s_or_b32 vcc_lo, vcc_lo, s2
	s_delay_alu instid0(VALU_DEP_3) | instskip(SKIP_1) | instid1(VALU_DEP_2)
	v_mul_f32_e32 v55, v87, v55
	v_mul_f32_e32 v87, 0x3f317218, v13
	v_dual_sub_f32 v7, v7, v21 :: v_dual_add_f32 v54, v86, v55
	s_delay_alu instid0(VALU_DEP_1) | instskip(NEXT) | instid1(VALU_DEP_2)
	v_ldexp_f32 v7, v7, 1
	v_sub_f32_e32 v21, v54, v86
	s_delay_alu instid0(VALU_DEP_4) | instskip(NEXT) | instid1(VALU_DEP_2)
	v_fma_f32 v86, 0x3f317218, v13, -v87
	v_sub_f32_e32 v21, v55, v21
	s_delay_alu instid0(VALU_DEP_2) | instskip(NEXT) | instid1(VALU_DEP_2)
	v_fmamk_f32 v13, v13, 0xb102e308, v86
	v_add_f32_e32 v7, v7, v21
	s_delay_alu instid0(VALU_DEP_2) | instskip(NEXT) | instid1(VALU_DEP_2)
	v_add_f32_e32 v21, v87, v13
	v_add_f32_e32 v55, v54, v7
	s_delay_alu instid0(VALU_DEP_2) | instskip(NEXT) | instid1(VALU_DEP_2)
	v_sub_f32_e32 v87, v21, v87
	v_add_f32_e32 v86, v21, v55
	s_delay_alu instid0(VALU_DEP_2) | instskip(NEXT) | instid1(VALU_DEP_1)
	v_dual_sub_f32 v54, v55, v54 :: v_dual_sub_f32 v13, v13, v87
	v_dual_sub_f32 v96, v86, v21 :: v_dual_sub_f32 v7, v7, v54
	s_delay_alu instid0(VALU_DEP_1) | instskip(NEXT) | instid1(VALU_DEP_2)
	v_sub_f32_e32 v97, v86, v96
	v_dual_sub_f32 v54, v55, v96 :: v_dual_add_f32 v55, v13, v7
	s_delay_alu instid0(VALU_DEP_2) | instskip(NEXT) | instid1(VALU_DEP_1)
	v_sub_f32_e32 v21, v21, v97
	v_add_f32_e32 v21, v54, v21
	s_delay_alu instid0(VALU_DEP_3) | instskip(NEXT) | instid1(VALU_DEP_2)
	v_sub_f32_e32 v54, v55, v13
	v_add_f32_e32 v21, v55, v21
	s_delay_alu instid0(VALU_DEP_2) | instskip(SKIP_1) | instid1(VALU_DEP_3)
	v_sub_f32_e32 v55, v55, v54
	v_sub_f32_e32 v7, v7, v54
	v_add_f32_e32 v87, v86, v21
	s_delay_alu instid0(VALU_DEP_1) | instskip(NEXT) | instid1(VALU_DEP_1)
	v_dual_sub_f32 v13, v13, v55 :: v_dual_sub_f32 v54, v87, v86
	v_add_f32_e32 v7, v7, v13
	s_delay_alu instid0(VALU_DEP_2) | instskip(NEXT) | instid1(VALU_DEP_1)
	v_sub_f32_e32 v13, v21, v54
	v_add_f32_e32 v7, v7, v13
	s_delay_alu instid0(VALU_DEP_1) | instskip(NEXT) | instid1(VALU_DEP_1)
	v_add_f32_e32 v7, v87, v7
	v_cndmask_b32_e32 v3, v7, v3, vcc_lo
	s_delay_alu instid0(VALU_DEP_1)
	v_add_f32_e32 v7, v2, v3
.LBB453_320:
	s_or_b32 exec_lo, exec_lo, s1
	s_delay_alu instid0(VALU_DEP_1) | instskip(SKIP_1) | instid1(VALU_DEP_2)
	v_bfe_u32 v2, v7, 16, 1
	v_cmp_o_f32_e32 vcc_lo, v7, v7
	v_add3_u32 v2, v7, v2, 0x7fff
	s_delay_alu instid0(VALU_DEP_1) | instskip(NEXT) | instid1(VALU_DEP_1)
	v_lshrrev_b32_e32 v2, 16, v2
	v_cndmask_b32_e32 v21, 0x7fc0, v2, vcc_lo
	s_delay_alu instid0(VALU_DEP_1) | instskip(NEXT) | instid1(VALU_DEP_1)
	v_lshlrev_b32_e32 v3, 16, v21
	v_max_f32_e32 v2, v3, v3
	s_delay_alu instid0(VALU_DEP_1) | instskip(SKIP_2) | instid1(VALU_DEP_3)
	v_min_f32_e32 v7, v2, v51
	v_max_f32_e32 v2, v2, v51
	v_cmp_u_f32_e32 vcc_lo, v3, v3
	v_cndmask_b32_e32 v7, v7, v3, vcc_lo
	s_delay_alu instid0(VALU_DEP_3) | instskip(NEXT) | instid1(VALU_DEP_2)
	v_cndmask_b32_e32 v2, v2, v3, vcc_lo
	v_cndmask_b32_e64 v7, v7, v6, s4
	s_delay_alu instid0(VALU_DEP_2) | instskip(NEXT) | instid1(VALU_DEP_2)
	v_cndmask_b32_e64 v2, v2, v6, s4
	v_cmp_class_f32_e64 s1, v7, 0x1f8
	s_delay_alu instid0(VALU_DEP_2) | instskip(NEXT) | instid1(VALU_DEP_2)
	v_cmp_neq_f32_e32 vcc_lo, v7, v2
	s_or_b32 s2, vcc_lo, s1
	s_delay_alu instid0(SALU_CYCLE_1)
	s_and_saveexec_b32 s1, s2
	s_cbranch_execz .LBB453_322
; %bb.321:
	v_sub_f32_e32 v3, v7, v2
	s_mov_b32 s2, 0x3e9b6dac
	s_delay_alu instid0(VALU_DEP_1) | instskip(NEXT) | instid1(VALU_DEP_1)
	v_mul_f32_e32 v6, 0x3fb8aa3b, v3
	v_fma_f32 v7, 0x3fb8aa3b, v3, -v6
	v_rndne_f32_e32 v13, v6
	s_delay_alu instid0(VALU_DEP_1) | instskip(SKIP_1) | instid1(VALU_DEP_4)
	v_sub_f32_e32 v6, v6, v13
	v_cmp_ngt_f32_e32 vcc_lo, 0xc2ce8ed0, v3
	v_fmamk_f32 v7, v3, 0x32a5705f, v7
	s_delay_alu instid0(VALU_DEP_1) | instskip(SKIP_1) | instid1(VALU_DEP_2)
	v_add_f32_e32 v6, v6, v7
	v_cvt_i32_f32_e32 v7, v13
	v_exp_f32_e32 v6, v6
	s_waitcnt_depctr 0xfff
	v_ldexp_f32 v6, v6, v7
	s_delay_alu instid0(VALU_DEP_1) | instskip(SKIP_1) | instid1(VALU_DEP_2)
	v_cndmask_b32_e32 v6, 0, v6, vcc_lo
	v_cmp_nlt_f32_e32 vcc_lo, 0x42b17218, v3
	v_cndmask_b32_e32 v3, 0x7f800000, v6, vcc_lo
	s_delay_alu instid0(VALU_DEP_1) | instskip(NEXT) | instid1(VALU_DEP_1)
	v_add_f32_e32 v13, 1.0, v3
	v_cvt_f64_f32_e32 v[6:7], v13
	s_delay_alu instid0(VALU_DEP_1) | instskip(SKIP_1) | instid1(VALU_DEP_1)
	v_frexp_exp_i32_f64_e32 v6, v[6:7]
	v_frexp_mant_f32_e32 v7, v13
	v_cmp_gt_f32_e32 vcc_lo, 0x3f2aaaab, v7
	v_add_f32_e32 v7, -1.0, v13
	s_delay_alu instid0(VALU_DEP_1) | instskip(NEXT) | instid1(VALU_DEP_1)
	v_sub_f32_e32 v54, v7, v13
	v_add_f32_e32 v54, 1.0, v54
	v_subrev_co_ci_u32_e32 v6, vcc_lo, 0, v6, vcc_lo
	v_cmp_eq_f32_e32 vcc_lo, 0x7f800000, v3
	s_delay_alu instid0(VALU_DEP_2) | instskip(SKIP_1) | instid1(VALU_DEP_2)
	v_sub_nc_u32_e32 v51, 0, v6
	v_cvt_f32_i32_e32 v6, v6
	v_ldexp_f32 v13, v13, v51
	v_sub_f32_e32 v7, v3, v7
	s_delay_alu instid0(VALU_DEP_2) | instskip(NEXT) | instid1(VALU_DEP_1)
	v_add_f32_e32 v55, 1.0, v13
	v_dual_add_f32 v7, v7, v54 :: v_dual_add_f32 v54, -1.0, v55
	s_delay_alu instid0(VALU_DEP_1) | instskip(NEXT) | instid1(VALU_DEP_2)
	v_ldexp_f32 v7, v7, v51
	v_dual_sub_f32 v54, v13, v54 :: v_dual_add_f32 v51, -1.0, v13
	s_delay_alu instid0(VALU_DEP_1) | instskip(NEXT) | instid1(VALU_DEP_2)
	v_add_f32_e32 v54, v7, v54
	v_add_f32_e32 v86, 1.0, v51
	s_delay_alu instid0(VALU_DEP_1) | instskip(NEXT) | instid1(VALU_DEP_3)
	v_sub_f32_e32 v13, v13, v86
	v_add_f32_e32 v86, v55, v54
	s_delay_alu instid0(VALU_DEP_1) | instskip(NEXT) | instid1(VALU_DEP_1)
	v_sub_f32_e32 v55, v55, v86
	v_dual_add_f32 v54, v54, v55 :: v_dual_add_f32 v7, v7, v13
	v_rcp_f32_e32 v13, v86
	s_waitcnt lgkmcnt(0)
	s_delay_alu instid0(VALU_DEP_1) | instskip(NEXT) | instid1(VALU_DEP_1)
	v_add_f32_e32 v87, v51, v7
	v_sub_f32_e32 v51, v51, v87
	s_waitcnt_depctr 0xfff
	v_mul_f32_e32 v96, v87, v13
	v_add_f32_e32 v7, v7, v51
	s_delay_alu instid0(VALU_DEP_2) | instskip(NEXT) | instid1(VALU_DEP_1)
	v_mul_f32_e32 v97, v86, v96
	v_fma_f32 v55, v96, v86, -v97
	s_delay_alu instid0(VALU_DEP_1) | instskip(NEXT) | instid1(VALU_DEP_1)
	v_fmac_f32_e32 v55, v96, v54
	v_add_f32_e32 v98, v97, v55
	s_delay_alu instid0(VALU_DEP_1) | instskip(SKIP_1) | instid1(VALU_DEP_2)
	v_sub_f32_e32 v99, v87, v98
	v_sub_f32_e32 v51, v98, v97
	;; [unrolled: 1-line block ×3, first 2 shown]
	s_delay_alu instid0(VALU_DEP_2) | instskip(NEXT) | instid1(VALU_DEP_2)
	v_sub_f32_e32 v51, v51, v55
	v_sub_f32_e32 v87, v87, v98
	s_delay_alu instid0(VALU_DEP_1) | instskip(NEXT) | instid1(VALU_DEP_1)
	v_add_f32_e32 v7, v7, v87
	v_add_f32_e32 v7, v51, v7
	s_delay_alu instid0(VALU_DEP_1) | instskip(NEXT) | instid1(VALU_DEP_1)
	v_add_f32_e32 v51, v99, v7
	v_mul_f32_e32 v55, v13, v51
	v_sub_f32_e32 v98, v99, v51
	s_delay_alu instid0(VALU_DEP_2) | instskip(NEXT) | instid1(VALU_DEP_2)
	v_mul_f32_e32 v87, v86, v55
	v_add_f32_e32 v7, v7, v98
	s_delay_alu instid0(VALU_DEP_2) | instskip(NEXT) | instid1(VALU_DEP_1)
	v_fma_f32 v86, v55, v86, -v87
	v_fmac_f32_e32 v86, v55, v54
	s_delay_alu instid0(VALU_DEP_1) | instskip(NEXT) | instid1(VALU_DEP_1)
	v_add_f32_e32 v54, v87, v86
	v_sub_f32_e32 v97, v51, v54
	s_delay_alu instid0(VALU_DEP_1) | instskip(NEXT) | instid1(VALU_DEP_1)
	v_sub_f32_e32 v51, v51, v97
	v_sub_f32_e32 v51, v51, v54
	s_delay_alu instid0(VALU_DEP_1) | instskip(SKIP_2) | instid1(VALU_DEP_1)
	v_add_f32_e32 v7, v7, v51
	v_add_f32_e32 v51, v96, v55
	v_sub_f32_e32 v87, v54, v87
	v_sub_f32_e32 v54, v87, v86
	s_delay_alu instid0(VALU_DEP_1) | instskip(NEXT) | instid1(VALU_DEP_1)
	v_dual_add_f32 v7, v54, v7 :: v_dual_sub_f32 v54, v51, v96
	v_dual_add_f32 v7, v97, v7 :: v_dual_sub_f32 v54, v55, v54
	s_delay_alu instid0(VALU_DEP_1) | instskip(NEXT) | instid1(VALU_DEP_1)
	v_mul_f32_e32 v7, v13, v7
	v_add_f32_e32 v7, v54, v7
	s_delay_alu instid0(VALU_DEP_1) | instskip(NEXT) | instid1(VALU_DEP_1)
	v_add_f32_e32 v13, v51, v7
	v_mul_f32_e32 v54, v13, v13
	s_delay_alu instid0(VALU_DEP_1) | instskip(SKIP_2) | instid1(VALU_DEP_3)
	v_fmaak_f32 v55, s2, v54, 0x3ecc95a3
	v_mul_f32_e32 v86, v13, v54
	v_cmp_gt_f32_e64 s2, 0x33800000, |v3|
	v_fmaak_f32 v54, v54, v55, 0x3f2aaada
	v_ldexp_f32 v55, v13, 1
	v_sub_f32_e32 v13, v13, v51
	s_delay_alu instid0(VALU_DEP_4) | instskip(NEXT) | instid1(VALU_DEP_3)
	s_or_b32 vcc_lo, vcc_lo, s2
	v_mul_f32_e32 v54, v86, v54
	s_delay_alu instid0(VALU_DEP_2) | instskip(NEXT) | instid1(VALU_DEP_2)
	v_dual_mul_f32 v86, 0x3f317218, v6 :: v_dual_sub_f32 v7, v7, v13
	v_add_f32_e32 v51, v55, v54
	s_delay_alu instid0(VALU_DEP_2) | instskip(NEXT) | instid1(VALU_DEP_2)
	v_ldexp_f32 v7, v7, 1
	v_sub_f32_e32 v13, v51, v55
	s_delay_alu instid0(VALU_DEP_4) | instskip(NEXT) | instid1(VALU_DEP_2)
	v_fma_f32 v55, 0x3f317218, v6, -v86
	v_sub_f32_e32 v13, v54, v13
	s_delay_alu instid0(VALU_DEP_1) | instskip(NEXT) | instid1(VALU_DEP_1)
	v_dual_fmamk_f32 v6, v6, 0xb102e308, v55 :: v_dual_add_f32 v7, v7, v13
	v_dual_add_f32 v13, v86, v6 :: v_dual_add_f32 v54, v51, v7
	s_delay_alu instid0(VALU_DEP_1) | instskip(NEXT) | instid1(VALU_DEP_2)
	v_sub_f32_e32 v86, v13, v86
	v_add_f32_e32 v55, v13, v54
	v_sub_f32_e32 v51, v54, v51
	s_delay_alu instid0(VALU_DEP_2) | instskip(NEXT) | instid1(VALU_DEP_2)
	v_dual_sub_f32 v6, v6, v86 :: v_dual_sub_f32 v87, v55, v13
	v_sub_f32_e32 v7, v7, v51
	s_delay_alu instid0(VALU_DEP_2) | instskip(SKIP_1) | instid1(VALU_DEP_2)
	v_sub_f32_e32 v96, v55, v87
	v_sub_f32_e32 v51, v54, v87
	v_dual_add_f32 v54, v6, v7 :: v_dual_sub_f32 v13, v13, v96
	s_delay_alu instid0(VALU_DEP_1) | instskip(NEXT) | instid1(VALU_DEP_2)
	v_add_f32_e32 v13, v51, v13
	v_sub_f32_e32 v51, v54, v6
	s_delay_alu instid0(VALU_DEP_2) | instskip(NEXT) | instid1(VALU_DEP_2)
	v_add_f32_e32 v13, v54, v13
	v_sub_f32_e32 v54, v54, v51
	v_sub_f32_e32 v7, v7, v51
	s_delay_alu instid0(VALU_DEP_3) | instskip(NEXT) | instid1(VALU_DEP_3)
	v_add_f32_e32 v86, v55, v13
	v_sub_f32_e32 v6, v6, v54
	s_delay_alu instid0(VALU_DEP_1) | instskip(NEXT) | instid1(VALU_DEP_1)
	v_dual_sub_f32 v51, v86, v55 :: v_dual_add_f32 v6, v7, v6
	v_sub_f32_e32 v7, v13, v51
	s_delay_alu instid0(VALU_DEP_1) | instskip(NEXT) | instid1(VALU_DEP_1)
	v_add_f32_e32 v6, v6, v7
	v_add_f32_e32 v6, v86, v6
	s_delay_alu instid0(VALU_DEP_1) | instskip(NEXT) | instid1(VALU_DEP_1)
	v_cndmask_b32_e32 v3, v6, v3, vcc_lo
	v_add_f32_e32 v3, v2, v3
.LBB453_322:
	s_or_b32 exec_lo, exec_lo, s1
	s_delay_alu instid0(VALU_DEP_1) | instskip(SKIP_1) | instid1(VALU_DEP_2)
	v_bfe_u32 v2, v3, 16, 1
	v_cmp_o_f32_e32 vcc_lo, v3, v3
	v_add3_u32 v2, v3, v2, 0x7fff
	s_delay_alu instid0(VALU_DEP_1) | instskip(NEXT) | instid1(VALU_DEP_1)
	v_lshrrev_b32_e32 v2, 16, v2
	v_cndmask_b32_e32 v54, 0x7fc0, v2, vcc_lo
	s_delay_alu instid0(VALU_DEP_1) | instskip(NEXT) | instid1(VALU_DEP_1)
	v_lshlrev_b32_e32 v3, 16, v54
	v_max_f32_e32 v2, v3, v3
	v_cmp_u_f32_e32 vcc_lo, v3, v3
	s_delay_alu instid0(VALU_DEP_2) | instskip(SKIP_1) | instid1(VALU_DEP_2)
	v_min_f32_e32 v6, v2, v50
	v_max_f32_e32 v2, v2, v50
	v_cndmask_b32_e32 v6, v6, v3, vcc_lo
	s_delay_alu instid0(VALU_DEP_2) | instskip(NEXT) | instid1(VALU_DEP_2)
	v_cndmask_b32_e32 v2, v2, v3, vcc_lo
	v_cndmask_b32_e64 v6, v6, v12, s5
	s_delay_alu instid0(VALU_DEP_2) | instskip(NEXT) | instid1(VALU_DEP_2)
	v_cndmask_b32_e64 v2, v2, v12, s5
	v_cmp_class_f32_e64 s1, v6, 0x1f8
	s_delay_alu instid0(VALU_DEP_2) | instskip(NEXT) | instid1(VALU_DEP_2)
	v_cmp_neq_f32_e32 vcc_lo, v6, v2
	s_or_b32 s2, vcc_lo, s1
	s_delay_alu instid0(SALU_CYCLE_1)
	s_and_saveexec_b32 s1, s2
	s_cbranch_execz .LBB453_324
; %bb.323:
	v_sub_f32_e32 v3, v6, v2
	s_mov_b32 s2, 0x3e9b6dac
	s_delay_alu instid0(VALU_DEP_1) | instskip(SKIP_1) | instid1(VALU_DEP_2)
	v_mul_f32_e32 v6, 0x3fb8aa3b, v3
	v_cmp_ngt_f32_e32 vcc_lo, 0xc2ce8ed0, v3
	v_fma_f32 v7, 0x3fb8aa3b, v3, -v6
	v_rndne_f32_e32 v12, v6
	s_delay_alu instid0(VALU_DEP_1) | instskip(NEXT) | instid1(VALU_DEP_1)
	v_dual_fmamk_f32 v7, v3, 0x32a5705f, v7 :: v_dual_sub_f32 v6, v6, v12
	v_add_f32_e32 v6, v6, v7
	v_cvt_i32_f32_e32 v7, v12
	s_delay_alu instid0(VALU_DEP_2) | instskip(SKIP_2) | instid1(VALU_DEP_1)
	v_exp_f32_e32 v6, v6
	s_waitcnt_depctr 0xfff
	v_ldexp_f32 v6, v6, v7
	v_cndmask_b32_e32 v6, 0, v6, vcc_lo
	v_cmp_nlt_f32_e32 vcc_lo, 0x42b17218, v3
	s_delay_alu instid0(VALU_DEP_2) | instskip(NEXT) | instid1(VALU_DEP_1)
	v_cndmask_b32_e32 v3, 0x7f800000, v6, vcc_lo
	v_add_f32_e32 v12, 1.0, v3
	s_delay_alu instid0(VALU_DEP_1) | instskip(NEXT) | instid1(VALU_DEP_1)
	v_cvt_f64_f32_e32 v[6:7], v12
	v_frexp_exp_i32_f64_e32 v6, v[6:7]
	v_frexp_mant_f32_e32 v7, v12
	s_delay_alu instid0(VALU_DEP_1) | instskip(SKIP_1) | instid1(VALU_DEP_1)
	v_cmp_gt_f32_e32 vcc_lo, 0x3f2aaaab, v7
	v_add_f32_e32 v7, -1.0, v12
	v_sub_f32_e32 v50, v7, v12
	s_delay_alu instid0(VALU_DEP_1) | instskip(NEXT) | instid1(VALU_DEP_1)
	v_dual_sub_f32 v7, v3, v7 :: v_dual_add_f32 v50, 1.0, v50
	v_add_f32_e32 v7, v7, v50
	v_subrev_co_ci_u32_e32 v6, vcc_lo, 0, v6, vcc_lo
	s_delay_alu instid0(VALU_DEP_1) | instskip(SKIP_1) | instid1(VALU_DEP_2)
	v_sub_nc_u32_e32 v13, 0, v6
	v_cvt_f32_i32_e32 v6, v6
	v_ldexp_f32 v12, v12, v13
	v_ldexp_f32 v7, v7, v13
	s_delay_alu instid0(VALU_DEP_2) | instskip(SKIP_1) | instid1(VALU_DEP_1)
	v_add_f32_e32 v13, -1.0, v12
	v_add_f32_e32 v51, 1.0, v12
	v_dual_add_f32 v55, 1.0, v13 :: v_dual_add_f32 v50, -1.0, v51
	v_cmp_eq_f32_e32 vcc_lo, 0x7f800000, v3
	s_delay_alu instid0(VALU_DEP_2) | instskip(NEXT) | instid1(VALU_DEP_1)
	v_sub_f32_e32 v50, v12, v50
	v_add_f32_e32 v50, v7, v50
	s_delay_alu instid0(VALU_DEP_1) | instskip(NEXT) | instid1(VALU_DEP_1)
	v_dual_sub_f32 v12, v12, v55 :: v_dual_add_f32 v55, v51, v50
	v_sub_f32_e32 v51, v51, v55
	s_delay_alu instid0(VALU_DEP_2) | instskip(SKIP_1) | instid1(VALU_DEP_1)
	v_add_f32_e32 v7, v7, v12
	v_rcp_f32_e32 v12, v55
	v_add_f32_e32 v86, v13, v7
	s_waitcnt lgkmcnt(0)
	s_waitcnt_depctr 0xfff
	v_mul_f32_e32 v87, v86, v12
	v_add_f32_e32 v50, v50, v51
	s_delay_alu instid0(VALU_DEP_2) | instskip(NEXT) | instid1(VALU_DEP_1)
	v_mul_f32_e32 v96, v55, v87
	v_fma_f32 v51, v87, v55, -v96
	s_delay_alu instid0(VALU_DEP_1) | instskip(SKIP_1) | instid1(VALU_DEP_2)
	v_fmac_f32_e32 v51, v87, v50
	v_sub_f32_e32 v13, v13, v86
	v_add_f32_e32 v97, v96, v51
	s_delay_alu instid0(VALU_DEP_2) | instskip(NEXT) | instid1(VALU_DEP_2)
	v_add_f32_e32 v7, v7, v13
	v_sub_f32_e32 v98, v86, v97
	s_delay_alu instid0(VALU_DEP_1) | instskip(NEXT) | instid1(VALU_DEP_1)
	v_dual_sub_f32 v86, v86, v98 :: v_dual_sub_f32 v13, v97, v96
	v_dual_sub_f32 v86, v86, v97 :: v_dual_sub_f32 v13, v13, v51
	s_delay_alu instid0(VALU_DEP_1) | instskip(NEXT) | instid1(VALU_DEP_1)
	v_add_f32_e32 v7, v7, v86
	v_add_f32_e32 v7, v13, v7
	s_delay_alu instid0(VALU_DEP_1) | instskip(NEXT) | instid1(VALU_DEP_1)
	v_add_f32_e32 v13, v98, v7
	v_mul_f32_e32 v51, v12, v13
	s_delay_alu instid0(VALU_DEP_1) | instskip(NEXT) | instid1(VALU_DEP_1)
	v_dual_sub_f32 v97, v98, v13 :: v_dual_mul_f32 v86, v55, v51
	v_add_f32_e32 v7, v7, v97
	s_delay_alu instid0(VALU_DEP_2) | instskip(NEXT) | instid1(VALU_DEP_1)
	v_fma_f32 v55, v51, v55, -v86
	v_fmac_f32_e32 v55, v51, v50
	s_delay_alu instid0(VALU_DEP_1) | instskip(NEXT) | instid1(VALU_DEP_1)
	v_add_f32_e32 v50, v86, v55
	v_sub_f32_e32 v96, v13, v50
	s_delay_alu instid0(VALU_DEP_1) | instskip(NEXT) | instid1(VALU_DEP_1)
	v_dual_sub_f32 v86, v50, v86 :: v_dual_sub_f32 v13, v13, v96
	v_dual_sub_f32 v13, v13, v50 :: v_dual_sub_f32 v50, v86, v55
	s_delay_alu instid0(VALU_DEP_1) | instskip(SKIP_1) | instid1(VALU_DEP_2)
	v_add_f32_e32 v7, v7, v13
	v_add_f32_e32 v13, v87, v51
	;; [unrolled: 1-line block ×3, first 2 shown]
	s_delay_alu instid0(VALU_DEP_2) | instskip(NEXT) | instid1(VALU_DEP_1)
	v_sub_f32_e32 v50, v13, v87
	v_dual_add_f32 v7, v96, v7 :: v_dual_sub_f32 v50, v51, v50
	s_delay_alu instid0(VALU_DEP_1) | instskip(NEXT) | instid1(VALU_DEP_1)
	v_mul_f32_e32 v7, v12, v7
	v_add_f32_e32 v7, v50, v7
	s_delay_alu instid0(VALU_DEP_1) | instskip(NEXT) | instid1(VALU_DEP_1)
	v_add_f32_e32 v12, v13, v7
	v_mul_f32_e32 v50, v12, v12
	s_delay_alu instid0(VALU_DEP_1) | instskip(SKIP_2) | instid1(VALU_DEP_3)
	v_fmaak_f32 v51, s2, v50, 0x3ecc95a3
	v_mul_f32_e32 v55, v12, v50
	v_cmp_gt_f32_e64 s2, 0x33800000, |v3|
	v_fmaak_f32 v50, v50, v51, 0x3f2aaada
	v_ldexp_f32 v51, v12, 1
	v_sub_f32_e32 v12, v12, v13
	s_delay_alu instid0(VALU_DEP_4) | instskip(NEXT) | instid1(VALU_DEP_3)
	s_or_b32 vcc_lo, vcc_lo, s2
	v_mul_f32_e32 v50, v55, v50
	v_mul_f32_e32 v55, 0x3f317218, v6
	s_delay_alu instid0(VALU_DEP_3) | instskip(NEXT) | instid1(VALU_DEP_3)
	v_sub_f32_e32 v7, v7, v12
	v_add_f32_e32 v13, v51, v50
	s_delay_alu instid0(VALU_DEP_2) | instskip(NEXT) | instid1(VALU_DEP_2)
	v_ldexp_f32 v7, v7, 1
	v_sub_f32_e32 v12, v13, v51
	v_fma_f32 v51, 0x3f317218, v6, -v55
	s_delay_alu instid0(VALU_DEP_2) | instskip(NEXT) | instid1(VALU_DEP_1)
	v_sub_f32_e32 v12, v50, v12
	v_dual_fmamk_f32 v6, v6, 0xb102e308, v51 :: v_dual_add_f32 v7, v7, v12
	s_delay_alu instid0(VALU_DEP_1) | instskip(NEXT) | instid1(VALU_DEP_1)
	v_add_f32_e32 v12, v55, v6
	v_sub_f32_e32 v55, v12, v55
	s_delay_alu instid0(VALU_DEP_1) | instskip(NEXT) | instid1(VALU_DEP_4)
	v_sub_f32_e32 v6, v6, v55
	v_add_f32_e32 v50, v13, v7
	s_delay_alu instid0(VALU_DEP_1) | instskip(NEXT) | instid1(VALU_DEP_1)
	v_sub_f32_e32 v13, v50, v13
	v_sub_f32_e32 v7, v7, v13
	v_add_f32_e32 v51, v12, v50
	s_delay_alu instid0(VALU_DEP_1) | instskip(NEXT) | instid1(VALU_DEP_1)
	v_sub_f32_e32 v86, v51, v12
	v_sub_f32_e32 v13, v50, v86
	s_delay_alu instid0(VALU_DEP_4) | instskip(NEXT) | instid1(VALU_DEP_1)
	v_dual_add_f32 v50, v6, v7 :: v_dual_sub_f32 v87, v51, v86
	v_sub_f32_e32 v12, v12, v87
	s_delay_alu instid0(VALU_DEP_1) | instskip(NEXT) | instid1(VALU_DEP_1)
	v_dual_add_f32 v12, v13, v12 :: v_dual_sub_f32 v13, v50, v6
	v_add_f32_e32 v12, v50, v12
	s_delay_alu instid0(VALU_DEP_2) | instskip(SKIP_1) | instid1(VALU_DEP_2)
	v_sub_f32_e32 v50, v50, v13
	v_sub_f32_e32 v7, v7, v13
	v_dual_add_f32 v55, v51, v12 :: v_dual_sub_f32 v6, v6, v50
	s_delay_alu instid0(VALU_DEP_1) | instskip(NEXT) | instid1(VALU_DEP_1)
	v_sub_f32_e32 v13, v55, v51
	v_dual_add_f32 v6, v7, v6 :: v_dual_sub_f32 v7, v12, v13
	s_delay_alu instid0(VALU_DEP_1) | instskip(NEXT) | instid1(VALU_DEP_1)
	v_add_f32_e32 v6, v6, v7
	v_add_f32_e32 v6, v55, v6
	s_delay_alu instid0(VALU_DEP_1) | instskip(NEXT) | instid1(VALU_DEP_1)
	v_cndmask_b32_e32 v3, v6, v3, vcc_lo
	v_add_f32_e32 v3, v2, v3
.LBB453_324:
	s_or_b32 exec_lo, exec_lo, s1
	s_delay_alu instid0(VALU_DEP_1) | instskip(SKIP_1) | instid1(VALU_DEP_2)
	v_bfe_u32 v2, v3, 16, 1
	v_cmp_o_f32_e32 vcc_lo, v3, v3
	v_add3_u32 v2, v3, v2, 0x7fff
	s_delay_alu instid0(VALU_DEP_1) | instskip(NEXT) | instid1(VALU_DEP_1)
	v_lshrrev_b32_e32 v2, 16, v2
	v_cndmask_b32_e32 v55, 0x7fc0, v2, vcc_lo
	s_delay_alu instid0(VALU_DEP_1) | instskip(NEXT) | instid1(VALU_DEP_1)
	v_lshlrev_b32_e32 v3, 16, v55
	v_max_f32_e32 v2, v3, v3
	s_delay_alu instid0(VALU_DEP_1) | instskip(SKIP_2) | instid1(VALU_DEP_3)
	v_min_f32_e32 v6, v2, v52
	v_max_f32_e32 v2, v2, v52
	v_cmp_u_f32_e32 vcc_lo, v3, v3
	v_cndmask_b32_e32 v6, v6, v3, vcc_lo
	s_delay_alu instid0(VALU_DEP_3) | instskip(NEXT) | instid1(VALU_DEP_2)
	v_cndmask_b32_e32 v2, v2, v3, vcc_lo
	v_cndmask_b32_e64 v6, v6, v49, s6
	s_delay_alu instid0(VALU_DEP_2) | instskip(NEXT) | instid1(VALU_DEP_2)
	v_cndmask_b32_e64 v2, v2, v49, s6
	v_cmp_class_f32_e64 s1, v6, 0x1f8
	s_delay_alu instid0(VALU_DEP_2) | instskip(NEXT) | instid1(VALU_DEP_2)
	v_cmp_neq_f32_e32 vcc_lo, v6, v2
	s_or_b32 s2, vcc_lo, s1
	s_delay_alu instid0(SALU_CYCLE_1)
	s_and_saveexec_b32 s1, s2
	s_cbranch_execz .LBB453_326
; %bb.325:
	v_sub_f32_e32 v3, v6, v2
	s_mov_b32 s2, 0x3e9b6dac
	s_delay_alu instid0(VALU_DEP_1) | instskip(SKIP_1) | instid1(VALU_DEP_2)
	v_mul_f32_e32 v6, 0x3fb8aa3b, v3
	v_cmp_ngt_f32_e32 vcc_lo, 0xc2ce8ed0, v3
	v_fma_f32 v7, 0x3fb8aa3b, v3, -v6
	v_rndne_f32_e32 v12, v6
	s_delay_alu instid0(VALU_DEP_1) | instskip(NEXT) | instid1(VALU_DEP_1)
	v_dual_fmamk_f32 v7, v3, 0x32a5705f, v7 :: v_dual_sub_f32 v6, v6, v12
	v_add_f32_e32 v6, v6, v7
	v_cvt_i32_f32_e32 v7, v12
	s_delay_alu instid0(VALU_DEP_2) | instskip(SKIP_2) | instid1(VALU_DEP_1)
	v_exp_f32_e32 v6, v6
	s_waitcnt_depctr 0xfff
	v_ldexp_f32 v6, v6, v7
	v_cndmask_b32_e32 v6, 0, v6, vcc_lo
	v_cmp_nlt_f32_e32 vcc_lo, 0x42b17218, v3
	s_delay_alu instid0(VALU_DEP_2) | instskip(NEXT) | instid1(VALU_DEP_1)
	v_cndmask_b32_e32 v3, 0x7f800000, v6, vcc_lo
	v_add_f32_e32 v12, 1.0, v3
	s_delay_alu instid0(VALU_DEP_1) | instskip(NEXT) | instid1(VALU_DEP_1)
	v_cvt_f64_f32_e32 v[6:7], v12
	v_frexp_exp_i32_f64_e32 v6, v[6:7]
	v_frexp_mant_f32_e32 v7, v12
	s_delay_alu instid0(VALU_DEP_1) | instskip(SKIP_1) | instid1(VALU_DEP_1)
	v_cmp_gt_f32_e32 vcc_lo, 0x3f2aaaab, v7
	v_add_f32_e32 v7, -1.0, v12
	v_sub_f32_e32 v49, v7, v12
	v_sub_f32_e32 v7, v3, v7
	s_delay_alu instid0(VALU_DEP_2) | instskip(NEXT) | instid1(VALU_DEP_1)
	v_add_f32_e32 v49, 1.0, v49
	v_add_f32_e32 v7, v7, v49
	v_subrev_co_ci_u32_e32 v6, vcc_lo, 0, v6, vcc_lo
	s_delay_alu instid0(VALU_DEP_1) | instskip(SKIP_1) | instid1(VALU_DEP_2)
	v_sub_nc_u32_e32 v13, 0, v6
	v_cvt_f32_i32_e32 v6, v6
	v_ldexp_f32 v12, v12, v13
	v_ldexp_f32 v7, v7, v13
	s_delay_alu instid0(VALU_DEP_2) | instskip(SKIP_1) | instid1(VALU_DEP_2)
	v_add_f32_e32 v50, 1.0, v12
	v_add_f32_e32 v13, -1.0, v12
	v_add_f32_e32 v49, -1.0, v50
	s_delay_alu instid0(VALU_DEP_2) | instskip(NEXT) | instid1(VALU_DEP_2)
	v_add_f32_e32 v51, 1.0, v13
	v_sub_f32_e32 v49, v12, v49
	s_delay_alu instid0(VALU_DEP_2) | instskip(SKIP_1) | instid1(VALU_DEP_3)
	v_sub_f32_e32 v12, v12, v51
	v_cmp_eq_f32_e32 vcc_lo, 0x7f800000, v3
	v_add_f32_e32 v49, v7, v49
	s_delay_alu instid0(VALU_DEP_1) | instskip(NEXT) | instid1(VALU_DEP_1)
	v_add_f32_e32 v51, v50, v49
	v_sub_f32_e32 v50, v50, v51
	s_delay_alu instid0(VALU_DEP_1) | instskip(SKIP_2) | instid1(VALU_DEP_1)
	v_add_f32_e32 v49, v49, v50
	v_add_f32_e32 v7, v7, v12
	v_rcp_f32_e32 v12, v51
	v_add_f32_e32 v52, v13, v7
	s_delay_alu instid0(VALU_DEP_1) | instskip(SKIP_3) | instid1(VALU_DEP_1)
	v_sub_f32_e32 v13, v13, v52
	s_waitcnt_depctr 0xfff
	v_mul_f32_e32 v86, v52, v12
	s_waitcnt lgkmcnt(0)
	v_mul_f32_e32 v87, v51, v86
	s_delay_alu instid0(VALU_DEP_1) | instskip(NEXT) | instid1(VALU_DEP_1)
	v_fma_f32 v50, v86, v51, -v87
	v_fmac_f32_e32 v50, v86, v49
	v_add_f32_e32 v7, v7, v13
	s_delay_alu instid0(VALU_DEP_2) | instskip(NEXT) | instid1(VALU_DEP_1)
	v_add_f32_e32 v96, v87, v50
	v_sub_f32_e32 v97, v52, v96
	s_delay_alu instid0(VALU_DEP_1) | instskip(SKIP_1) | instid1(VALU_DEP_1)
	v_sub_f32_e32 v52, v52, v97
	v_sub_f32_e32 v13, v96, v87
	v_dual_sub_f32 v52, v52, v96 :: v_dual_sub_f32 v13, v13, v50
	s_delay_alu instid0(VALU_DEP_1) | instskip(NEXT) | instid1(VALU_DEP_1)
	v_add_f32_e32 v7, v7, v52
	v_add_f32_e32 v7, v13, v7
	s_delay_alu instid0(VALU_DEP_1) | instskip(NEXT) | instid1(VALU_DEP_1)
	v_add_f32_e32 v13, v97, v7
	v_mul_f32_e32 v50, v12, v13
	s_delay_alu instid0(VALU_DEP_1) | instskip(SKIP_1) | instid1(VALU_DEP_2)
	v_mul_f32_e32 v52, v51, v50
	v_sub_f32_e32 v96, v97, v13
	v_fma_f32 v51, v50, v51, -v52
	s_delay_alu instid0(VALU_DEP_2) | instskip(NEXT) | instid1(VALU_DEP_2)
	v_add_f32_e32 v7, v7, v96
	v_fmac_f32_e32 v51, v50, v49
	s_delay_alu instid0(VALU_DEP_1) | instskip(NEXT) | instid1(VALU_DEP_1)
	v_add_f32_e32 v49, v52, v51
	v_sub_f32_e32 v87, v13, v49
	v_sub_f32_e32 v52, v49, v52
	s_delay_alu instid0(VALU_DEP_2) | instskip(NEXT) | instid1(VALU_DEP_1)
	v_sub_f32_e32 v13, v13, v87
	v_sub_f32_e32 v13, v13, v49
	s_delay_alu instid0(VALU_DEP_3) | instskip(NEXT) | instid1(VALU_DEP_2)
	v_sub_f32_e32 v49, v52, v51
	v_add_f32_e32 v7, v7, v13
	v_add_f32_e32 v13, v86, v50
	s_delay_alu instid0(VALU_DEP_2) | instskip(NEXT) | instid1(VALU_DEP_2)
	v_add_f32_e32 v7, v49, v7
	v_sub_f32_e32 v49, v13, v86
	s_delay_alu instid0(VALU_DEP_2) | instskip(NEXT) | instid1(VALU_DEP_2)
	v_add_f32_e32 v7, v87, v7
	v_sub_f32_e32 v49, v50, v49
	s_delay_alu instid0(VALU_DEP_2) | instskip(NEXT) | instid1(VALU_DEP_1)
	v_mul_f32_e32 v7, v12, v7
	v_add_f32_e32 v7, v49, v7
	s_delay_alu instid0(VALU_DEP_1) | instskip(NEXT) | instid1(VALU_DEP_1)
	v_add_f32_e32 v12, v13, v7
	v_mul_f32_e32 v49, v12, v12
	s_delay_alu instid0(VALU_DEP_1) | instskip(SKIP_2) | instid1(VALU_DEP_3)
	v_fmaak_f32 v50, s2, v49, 0x3ecc95a3
	v_mul_f32_e32 v51, v12, v49
	v_cmp_gt_f32_e64 s2, 0x33800000, |v3|
	v_fmaak_f32 v49, v49, v50, 0x3f2aaada
	v_ldexp_f32 v50, v12, 1
	v_sub_f32_e32 v12, v12, v13
	s_delay_alu instid0(VALU_DEP_4) | instskip(NEXT) | instid1(VALU_DEP_3)
	s_or_b32 vcc_lo, vcc_lo, s2
	v_mul_f32_e32 v49, v51, v49
	v_mul_f32_e32 v51, 0x3f317218, v6
	s_delay_alu instid0(VALU_DEP_3) | instskip(NEXT) | instid1(VALU_DEP_3)
	v_sub_f32_e32 v7, v7, v12
	v_add_f32_e32 v13, v50, v49
	s_delay_alu instid0(VALU_DEP_2) | instskip(NEXT) | instid1(VALU_DEP_2)
	v_ldexp_f32 v7, v7, 1
	v_sub_f32_e32 v12, v13, v50
	v_fma_f32 v50, 0x3f317218, v6, -v51
	s_delay_alu instid0(VALU_DEP_2) | instskip(NEXT) | instid1(VALU_DEP_1)
	v_sub_f32_e32 v12, v49, v12
	v_dual_fmamk_f32 v6, v6, 0xb102e308, v50 :: v_dual_add_f32 v7, v7, v12
	s_delay_alu instid0(VALU_DEP_1) | instskip(NEXT) | instid1(VALU_DEP_1)
	v_dual_add_f32 v12, v51, v6 :: v_dual_add_f32 v49, v13, v7
	v_sub_f32_e32 v51, v12, v51
	s_delay_alu instid0(VALU_DEP_2) | instskip(NEXT) | instid1(VALU_DEP_2)
	v_add_f32_e32 v50, v12, v49
	v_dual_sub_f32 v13, v49, v13 :: v_dual_sub_f32 v6, v6, v51
	s_delay_alu instid0(VALU_DEP_1) | instskip(NEXT) | instid1(VALU_DEP_1)
	v_dual_sub_f32 v52, v50, v12 :: v_dual_sub_f32 v7, v7, v13
	v_sub_f32_e32 v86, v50, v52
	v_sub_f32_e32 v13, v49, v52
	s_delay_alu instid0(VALU_DEP_2) | instskip(NEXT) | instid1(VALU_DEP_1)
	v_dual_add_f32 v49, v6, v7 :: v_dual_sub_f32 v12, v12, v86
	v_add_f32_e32 v12, v13, v12
	s_delay_alu instid0(VALU_DEP_2) | instskip(NEXT) | instid1(VALU_DEP_2)
	v_sub_f32_e32 v13, v49, v6
	v_add_f32_e32 v12, v49, v12
	s_delay_alu instid0(VALU_DEP_2) | instskip(SKIP_1) | instid1(VALU_DEP_3)
	v_sub_f32_e32 v49, v49, v13
	v_sub_f32_e32 v7, v7, v13
	v_add_f32_e32 v51, v50, v12
	s_delay_alu instid0(VALU_DEP_1) | instskip(NEXT) | instid1(VALU_DEP_1)
	v_dual_sub_f32 v6, v6, v49 :: v_dual_sub_f32 v13, v51, v50
	v_dual_add_f32 v6, v7, v6 :: v_dual_sub_f32 v7, v12, v13
	s_delay_alu instid0(VALU_DEP_1) | instskip(NEXT) | instid1(VALU_DEP_1)
	v_add_f32_e32 v6, v6, v7
	v_add_f32_e32 v6, v51, v6
	s_delay_alu instid0(VALU_DEP_1) | instskip(NEXT) | instid1(VALU_DEP_1)
	v_cndmask_b32_e32 v3, v6, v3, vcc_lo
	v_add_f32_e32 v3, v2, v3
.LBB453_326:
	s_or_b32 exec_lo, exec_lo, s1
	s_delay_alu instid0(VALU_DEP_1) | instskip(SKIP_1) | instid1(VALU_DEP_2)
	v_bfe_u32 v2, v3, 16, 1
	v_cmp_o_f32_e32 vcc_lo, v3, v3
	v_add3_u32 v2, v3, v2, 0x7fff
	s_delay_alu instid0(VALU_DEP_1) | instskip(NEXT) | instid1(VALU_DEP_1)
	v_lshrrev_b32_e32 v2, 16, v2
	v_cndmask_b32_e32 v135, 0x7fc0, v2, vcc_lo
	s_delay_alu instid0(VALU_DEP_1) | instskip(NEXT) | instid1(VALU_DEP_1)
	v_lshlrev_b32_e32 v3, 16, v135
	v_max_f32_e32 v2, v3, v3
	s_delay_alu instid0(VALU_DEP_1) | instskip(SKIP_2) | instid1(VALU_DEP_3)
	v_min_f32_e32 v6, v2, v53
	v_max_f32_e32 v2, v2, v53
	v_cmp_u_f32_e32 vcc_lo, v3, v3
	v_cndmask_b32_e32 v6, v6, v3, vcc_lo
	s_delay_alu instid0(VALU_DEP_3) | instskip(NEXT) | instid1(VALU_DEP_2)
	v_cndmask_b32_e32 v2, v2, v3, vcc_lo
	v_cndmask_b32_e64 v6, v6, v48, s7
	s_delay_alu instid0(VALU_DEP_2) | instskip(NEXT) | instid1(VALU_DEP_2)
	v_cndmask_b32_e64 v2, v2, v48, s7
	v_cmp_class_f32_e64 s1, v6, 0x1f8
	s_delay_alu instid0(VALU_DEP_2) | instskip(NEXT) | instid1(VALU_DEP_2)
	v_cmp_neq_f32_e32 vcc_lo, v6, v2
	s_or_b32 s2, vcc_lo, s1
	s_delay_alu instid0(SALU_CYCLE_1)
	s_and_saveexec_b32 s1, s2
	s_cbranch_execz .LBB453_328
; %bb.327:
	v_sub_f32_e32 v3, v6, v2
	s_mov_b32 s2, 0x3e9b6dac
	s_delay_alu instid0(VALU_DEP_1) | instskip(SKIP_1) | instid1(VALU_DEP_2)
	v_mul_f32_e32 v6, 0x3fb8aa3b, v3
	v_cmp_ngt_f32_e32 vcc_lo, 0xc2ce8ed0, v3
	v_fma_f32 v7, 0x3fb8aa3b, v3, -v6
	v_rndne_f32_e32 v12, v6
	s_delay_alu instid0(VALU_DEP_1) | instskip(NEXT) | instid1(VALU_DEP_1)
	v_dual_fmamk_f32 v7, v3, 0x32a5705f, v7 :: v_dual_sub_f32 v6, v6, v12
	v_add_f32_e32 v6, v6, v7
	v_cvt_i32_f32_e32 v7, v12
	s_delay_alu instid0(VALU_DEP_2) | instskip(SKIP_2) | instid1(VALU_DEP_1)
	v_exp_f32_e32 v6, v6
	s_waitcnt_depctr 0xfff
	v_ldexp_f32 v6, v6, v7
	v_cndmask_b32_e32 v6, 0, v6, vcc_lo
	v_cmp_nlt_f32_e32 vcc_lo, 0x42b17218, v3
	s_delay_alu instid0(VALU_DEP_2) | instskip(NEXT) | instid1(VALU_DEP_1)
	v_cndmask_b32_e32 v3, 0x7f800000, v6, vcc_lo
	v_add_f32_e32 v12, 1.0, v3
	s_delay_alu instid0(VALU_DEP_1) | instskip(NEXT) | instid1(VALU_DEP_1)
	v_cvt_f64_f32_e32 v[6:7], v12
	v_frexp_exp_i32_f64_e32 v6, v[6:7]
	v_frexp_mant_f32_e32 v7, v12
	s_delay_alu instid0(VALU_DEP_1) | instskip(SKIP_1) | instid1(VALU_DEP_1)
	v_cmp_gt_f32_e32 vcc_lo, 0x3f2aaaab, v7
	v_add_f32_e32 v7, -1.0, v12
	v_sub_f32_e32 v48, v7, v12
	s_delay_alu instid0(VALU_DEP_1) | instskip(NEXT) | instid1(VALU_DEP_1)
	v_dual_add_f32 v48, 1.0, v48 :: v_dual_sub_f32 v7, v3, v7
	v_add_f32_e32 v7, v7, v48
	v_subrev_co_ci_u32_e32 v6, vcc_lo, 0, v6, vcc_lo
	v_cmp_eq_f32_e32 vcc_lo, 0x7f800000, v3
	s_delay_alu instid0(VALU_DEP_2) | instskip(SKIP_1) | instid1(VALU_DEP_2)
	v_sub_nc_u32_e32 v13, 0, v6
	v_cvt_f32_i32_e32 v6, v6
	v_ldexp_f32 v12, v12, v13
	v_ldexp_f32 v7, v7, v13
	s_delay_alu instid0(VALU_DEP_2) | instskip(NEXT) | instid1(VALU_DEP_1)
	v_add_f32_e32 v49, 1.0, v12
	v_dual_add_f32 v13, -1.0, v12 :: v_dual_add_f32 v48, -1.0, v49
	s_delay_alu instid0(VALU_DEP_1) | instskip(NEXT) | instid1(VALU_DEP_2)
	v_add_f32_e32 v50, 1.0, v13
	v_sub_f32_e32 v48, v12, v48
	s_delay_alu instid0(VALU_DEP_2) | instskip(NEXT) | instid1(VALU_DEP_2)
	v_sub_f32_e32 v12, v12, v50
	v_add_f32_e32 v48, v7, v48
	s_delay_alu instid0(VALU_DEP_2) | instskip(NEXT) | instid1(VALU_DEP_1)
	v_add_f32_e32 v7, v7, v12
	v_add_f32_e32 v51, v13, v7
	s_delay_alu instid0(VALU_DEP_3) | instskip(NEXT) | instid1(VALU_DEP_2)
	v_add_f32_e32 v50, v49, v48
	v_sub_f32_e32 v13, v13, v51
	s_delay_alu instid0(VALU_DEP_2) | instskip(SKIP_1) | instid1(VALU_DEP_1)
	v_rcp_f32_e32 v12, v50
	v_sub_f32_e32 v49, v49, v50
	v_add_f32_e32 v48, v48, v49
	s_delay_alu instid0(VALU_DEP_3) | instskip(SKIP_2) | instid1(VALU_DEP_1)
	v_add_f32_e32 v7, v7, v13
	s_waitcnt_depctr 0xfff
	v_mul_f32_e32 v52, v51, v12
	v_mul_f32_e32 v53, v50, v52
	s_delay_alu instid0(VALU_DEP_1) | instskip(NEXT) | instid1(VALU_DEP_1)
	v_fma_f32 v49, v52, v50, -v53
	v_fmac_f32_e32 v49, v52, v48
	s_delay_alu instid0(VALU_DEP_1) | instskip(SKIP_1) | instid1(VALU_DEP_1)
	v_add_f32_e32 v86, v53, v49
	s_waitcnt lgkmcnt(0)
	v_sub_f32_e32 v87, v51, v86
	s_delay_alu instid0(VALU_DEP_1) | instskip(NEXT) | instid1(VALU_DEP_1)
	v_sub_f32_e32 v51, v51, v87
	v_sub_f32_e32 v51, v51, v86
	s_delay_alu instid0(VALU_DEP_1) | instskip(SKIP_1) | instid1(VALU_DEP_1)
	v_add_f32_e32 v7, v7, v51
	v_sub_f32_e32 v13, v86, v53
	v_sub_f32_e32 v13, v13, v49
	s_delay_alu instid0(VALU_DEP_1) | instskip(NEXT) | instid1(VALU_DEP_1)
	v_add_f32_e32 v7, v13, v7
	v_add_f32_e32 v13, v87, v7
	s_delay_alu instid0(VALU_DEP_1) | instskip(SKIP_1) | instid1(VALU_DEP_2)
	v_mul_f32_e32 v49, v12, v13
	v_sub_f32_e32 v86, v87, v13
	v_mul_f32_e32 v51, v50, v49
	s_delay_alu instid0(VALU_DEP_2) | instskip(NEXT) | instid1(VALU_DEP_2)
	v_add_f32_e32 v7, v7, v86
	v_fma_f32 v50, v49, v50, -v51
	s_delay_alu instid0(VALU_DEP_1) | instskip(NEXT) | instid1(VALU_DEP_1)
	v_fmac_f32_e32 v50, v49, v48
	v_add_f32_e32 v48, v51, v50
	s_delay_alu instid0(VALU_DEP_1) | instskip(SKIP_1) | instid1(VALU_DEP_2)
	v_sub_f32_e32 v53, v13, v48
	v_sub_f32_e32 v51, v48, v51
	;; [unrolled: 1-line block ×3, first 2 shown]
	s_delay_alu instid0(VALU_DEP_1) | instskip(NEXT) | instid1(VALU_DEP_1)
	v_dual_sub_f32 v13, v13, v48 :: v_dual_sub_f32 v48, v51, v50
	v_add_f32_e32 v7, v7, v13
	v_add_f32_e32 v13, v52, v49
	s_delay_alu instid0(VALU_DEP_1) | instskip(NEXT) | instid1(VALU_DEP_1)
	v_dual_add_f32 v7, v48, v7 :: v_dual_sub_f32 v48, v13, v52
	v_add_f32_e32 v7, v53, v7
	s_delay_alu instid0(VALU_DEP_1) | instskip(NEXT) | instid1(VALU_DEP_1)
	v_dual_sub_f32 v48, v49, v48 :: v_dual_mul_f32 v7, v12, v7
	v_add_f32_e32 v7, v48, v7
	s_delay_alu instid0(VALU_DEP_1) | instskip(NEXT) | instid1(VALU_DEP_1)
	v_add_f32_e32 v12, v13, v7
	v_mul_f32_e32 v48, v12, v12
	s_delay_alu instid0(VALU_DEP_1) | instskip(SKIP_2) | instid1(VALU_DEP_3)
	v_fmaak_f32 v49, s2, v48, 0x3ecc95a3
	v_mul_f32_e32 v50, v12, v48
	v_cmp_gt_f32_e64 s2, 0x33800000, |v3|
	v_fmaak_f32 v48, v48, v49, 0x3f2aaada
	v_ldexp_f32 v49, v12, 1
	v_sub_f32_e32 v12, v12, v13
	s_delay_alu instid0(VALU_DEP_4) | instskip(NEXT) | instid1(VALU_DEP_3)
	s_or_b32 vcc_lo, vcc_lo, s2
	v_mul_f32_e32 v48, v50, v48
	s_delay_alu instid0(VALU_DEP_2) | instskip(NEXT) | instid1(VALU_DEP_2)
	v_dual_mul_f32 v50, 0x3f317218, v6 :: v_dual_sub_f32 v7, v7, v12
	v_add_f32_e32 v13, v49, v48
	s_delay_alu instid0(VALU_DEP_2) | instskip(NEXT) | instid1(VALU_DEP_2)
	v_ldexp_f32 v7, v7, 1
	v_sub_f32_e32 v12, v13, v49
	s_delay_alu instid0(VALU_DEP_4) | instskip(NEXT) | instid1(VALU_DEP_2)
	v_fma_f32 v49, 0x3f317218, v6, -v50
	v_sub_f32_e32 v12, v48, v12
	s_delay_alu instid0(VALU_DEP_1) | instskip(NEXT) | instid1(VALU_DEP_1)
	v_dual_fmamk_f32 v6, v6, 0xb102e308, v49 :: v_dual_add_f32 v7, v7, v12
	v_add_f32_e32 v12, v50, v6
	s_delay_alu instid0(VALU_DEP_2) | instskip(NEXT) | instid1(VALU_DEP_2)
	v_add_f32_e32 v48, v13, v7
	v_sub_f32_e32 v50, v12, v50
	s_delay_alu instid0(VALU_DEP_2) | instskip(NEXT) | instid1(VALU_DEP_2)
	v_add_f32_e32 v49, v12, v48
	v_dual_sub_f32 v13, v48, v13 :: v_dual_sub_f32 v6, v6, v50
	s_delay_alu instid0(VALU_DEP_2) | instskip(NEXT) | instid1(VALU_DEP_1)
	v_sub_f32_e32 v51, v49, v12
	v_dual_sub_f32 v52, v49, v51 :: v_dual_sub_f32 v7, v7, v13
	v_sub_f32_e32 v13, v48, v51
	s_delay_alu instid0(VALU_DEP_2) | instskip(NEXT) | instid1(VALU_DEP_3)
	v_sub_f32_e32 v12, v12, v52
	v_add_f32_e32 v48, v6, v7
	s_delay_alu instid0(VALU_DEP_1) | instskip(NEXT) | instid1(VALU_DEP_1)
	v_dual_add_f32 v12, v13, v12 :: v_dual_sub_f32 v13, v48, v6
	v_dual_add_f32 v12, v48, v12 :: v_dual_sub_f32 v7, v7, v13
	v_sub_f32_e32 v48, v48, v13
	s_delay_alu instid0(VALU_DEP_1) | instskip(NEXT) | instid1(VALU_DEP_1)
	v_sub_f32_e32 v6, v6, v48
	v_add_f32_e32 v6, v7, v6
	s_delay_alu instid0(VALU_DEP_4) | instskip(NEXT) | instid1(VALU_DEP_1)
	v_add_f32_e32 v50, v49, v12
	v_sub_f32_e32 v13, v50, v49
	s_delay_alu instid0(VALU_DEP_1) | instskip(NEXT) | instid1(VALU_DEP_1)
	v_sub_f32_e32 v7, v12, v13
	v_add_f32_e32 v6, v6, v7
	s_delay_alu instid0(VALU_DEP_1) | instskip(NEXT) | instid1(VALU_DEP_1)
	v_add_f32_e32 v6, v50, v6
	v_cndmask_b32_e32 v3, v6, v3, vcc_lo
	s_delay_alu instid0(VALU_DEP_1)
	v_add_f32_e32 v3, v2, v3
.LBB453_328:
	s_or_b32 exec_lo, exec_lo, s1
	s_delay_alu instid0(VALU_DEP_1) | instskip(SKIP_1) | instid1(VALU_DEP_2)
	v_bfe_u32 v2, v3, 16, 1
	v_cmp_o_f32_e32 vcc_lo, v3, v3
	v_add3_u32 v2, v3, v2, 0x7fff
	s_delay_alu instid0(VALU_DEP_1) | instskip(NEXT) | instid1(VALU_DEP_1)
	v_lshrrev_b32_e32 v2, 16, v2
	v_cndmask_b32_e32 v144, 0x7fc0, v2, vcc_lo
	s_delay_alu instid0(VALU_DEP_1) | instskip(NEXT) | instid1(VALU_DEP_1)
	v_lshlrev_b32_e32 v3, 16, v144
	v_max_f32_e32 v2, v3, v3
	v_cmp_u_f32_e32 vcc_lo, v3, v3
	s_delay_alu instid0(VALU_DEP_2) | instskip(SKIP_1) | instid1(VALU_DEP_2)
	v_min_f32_e32 v6, v2, v64
	v_max_f32_e32 v2, v2, v64
	v_cndmask_b32_e32 v6, v6, v3, vcc_lo
	s_delay_alu instid0(VALU_DEP_2) | instskip(NEXT) | instid1(VALU_DEP_2)
	v_cndmask_b32_e32 v2, v2, v3, vcc_lo
	v_cndmask_b32_e64 v6, v6, v39, s8
	s_delay_alu instid0(VALU_DEP_2) | instskip(NEXT) | instid1(VALU_DEP_2)
	v_cndmask_b32_e64 v2, v2, v39, s8
	v_cmp_class_f32_e64 s1, v6, 0x1f8
	s_delay_alu instid0(VALU_DEP_2) | instskip(NEXT) | instid1(VALU_DEP_2)
	v_cmp_neq_f32_e32 vcc_lo, v6, v2
	s_or_b32 s2, vcc_lo, s1
	s_delay_alu instid0(SALU_CYCLE_1)
	s_and_saveexec_b32 s1, s2
	s_cbranch_execz .LBB453_330
; %bb.329:
	v_sub_f32_e32 v3, v6, v2
	s_mov_b32 s2, 0x3e9b6dac
	s_delay_alu instid0(VALU_DEP_1) | instskip(SKIP_1) | instid1(VALU_DEP_2)
	v_mul_f32_e32 v6, 0x3fb8aa3b, v3
	v_cmp_ngt_f32_e32 vcc_lo, 0xc2ce8ed0, v3
	v_fma_f32 v7, 0x3fb8aa3b, v3, -v6
	v_rndne_f32_e32 v12, v6
	s_delay_alu instid0(VALU_DEP_1) | instskip(NEXT) | instid1(VALU_DEP_1)
	v_dual_fmamk_f32 v7, v3, 0x32a5705f, v7 :: v_dual_sub_f32 v6, v6, v12
	v_add_f32_e32 v6, v6, v7
	v_cvt_i32_f32_e32 v7, v12
	s_delay_alu instid0(VALU_DEP_2) | instskip(SKIP_2) | instid1(VALU_DEP_1)
	v_exp_f32_e32 v6, v6
	s_waitcnt_depctr 0xfff
	v_ldexp_f32 v6, v6, v7
	v_cndmask_b32_e32 v6, 0, v6, vcc_lo
	v_cmp_nlt_f32_e32 vcc_lo, 0x42b17218, v3
	s_delay_alu instid0(VALU_DEP_2) | instskip(NEXT) | instid1(VALU_DEP_1)
	v_cndmask_b32_e32 v3, 0x7f800000, v6, vcc_lo
	v_add_f32_e32 v12, 1.0, v3
	s_delay_alu instid0(VALU_DEP_1) | instskip(NEXT) | instid1(VALU_DEP_1)
	v_cvt_f64_f32_e32 v[6:7], v12
	v_frexp_exp_i32_f64_e32 v6, v[6:7]
	v_frexp_mant_f32_e32 v7, v12
	s_delay_alu instid0(VALU_DEP_1) | instskip(SKIP_1) | instid1(VALU_DEP_1)
	v_cmp_gt_f32_e32 vcc_lo, 0x3f2aaaab, v7
	v_add_f32_e32 v7, -1.0, v12
	v_sub_f32_e32 v39, v7, v12
	v_sub_f32_e32 v7, v3, v7
	v_subrev_co_ci_u32_e32 v6, vcc_lo, 0, v6, vcc_lo
	s_delay_alu instid0(VALU_DEP_1) | instskip(SKIP_1) | instid1(VALU_DEP_2)
	v_sub_nc_u32_e32 v13, 0, v6
	v_cvt_f32_i32_e32 v6, v6
	v_ldexp_f32 v12, v12, v13
	s_delay_alu instid0(VALU_DEP_1) | instskip(NEXT) | instid1(VALU_DEP_1)
	v_dual_add_f32 v48, 1.0, v12 :: v_dual_add_f32 v39, 1.0, v39
	v_add_f32_e32 v7, v7, v39
	s_delay_alu instid0(VALU_DEP_2) | instskip(NEXT) | instid1(VALU_DEP_2)
	v_add_f32_e32 v39, -1.0, v48
	v_ldexp_f32 v7, v7, v13
	v_add_f32_e32 v13, -1.0, v12
	s_delay_alu instid0(VALU_DEP_3) | instskip(NEXT) | instid1(VALU_DEP_2)
	v_sub_f32_e32 v39, v12, v39
	v_add_f32_e32 v49, 1.0, v13
	s_delay_alu instid0(VALU_DEP_1) | instskip(NEXT) | instid1(VALU_DEP_1)
	v_dual_add_f32 v39, v7, v39 :: v_dual_sub_f32 v12, v12, v49
	v_add_f32_e32 v49, v48, v39
	v_cmp_eq_f32_e32 vcc_lo, 0x7f800000, v3
	s_delay_alu instid0(VALU_DEP_3) | instskip(NEXT) | instid1(VALU_DEP_3)
	v_add_f32_e32 v7, v7, v12
	v_rcp_f32_e32 v12, v49
	v_sub_f32_e32 v48, v48, v49
	s_delay_alu instid0(VALU_DEP_1) | instskip(SKIP_2) | instid1(VALU_DEP_1)
	v_dual_add_f32 v50, v13, v7 :: v_dual_add_f32 v39, v39, v48
	s_waitcnt_depctr 0xfff
	v_mul_f32_e32 v51, v50, v12
	v_mul_f32_e32 v52, v49, v51
	v_sub_f32_e32 v13, v13, v50
	s_delay_alu instid0(VALU_DEP_2) | instskip(NEXT) | instid1(VALU_DEP_2)
	v_fma_f32 v48, v51, v49, -v52
	v_add_f32_e32 v7, v7, v13
	s_delay_alu instid0(VALU_DEP_2) | instskip(NEXT) | instid1(VALU_DEP_1)
	v_fmac_f32_e32 v48, v51, v39
	v_add_f32_e32 v53, v52, v48
	s_delay_alu instid0(VALU_DEP_1) | instskip(NEXT) | instid1(VALU_DEP_1)
	v_dual_sub_f32 v64, v50, v53 :: v_dual_sub_f32 v13, v53, v52
	v_sub_f32_e32 v50, v50, v64
	s_delay_alu instid0(VALU_DEP_1) | instskip(NEXT) | instid1(VALU_DEP_1)
	v_dual_sub_f32 v13, v13, v48 :: v_dual_sub_f32 v50, v50, v53
	v_add_f32_e32 v7, v7, v50
	s_delay_alu instid0(VALU_DEP_1) | instskip(NEXT) | instid1(VALU_DEP_1)
	v_add_f32_e32 v7, v13, v7
	v_add_f32_e32 v13, v64, v7
	s_delay_alu instid0(VALU_DEP_1) | instskip(NEXT) | instid1(VALU_DEP_1)
	v_mul_f32_e32 v48, v12, v13
	v_dual_sub_f32 v53, v64, v13 :: v_dual_mul_f32 v50, v49, v48
	s_delay_alu instid0(VALU_DEP_1) | instskip(NEXT) | instid1(VALU_DEP_2)
	v_add_f32_e32 v7, v7, v53
	v_fma_f32 v49, v48, v49, -v50
	s_delay_alu instid0(VALU_DEP_1) | instskip(NEXT) | instid1(VALU_DEP_1)
	v_fmac_f32_e32 v49, v48, v39
	v_add_f32_e32 v39, v50, v49
	s_delay_alu instid0(VALU_DEP_1) | instskip(NEXT) | instid1(VALU_DEP_1)
	v_sub_f32_e32 v52, v13, v39
	v_dual_sub_f32 v50, v39, v50 :: v_dual_sub_f32 v13, v13, v52
	s_delay_alu instid0(VALU_DEP_1) | instskip(NEXT) | instid1(VALU_DEP_2)
	v_sub_f32_e32 v13, v13, v39
	v_sub_f32_e32 v39, v50, v49
	s_delay_alu instid0(VALU_DEP_2) | instskip(SKIP_1) | instid1(VALU_DEP_2)
	v_add_f32_e32 v7, v7, v13
	v_add_f32_e32 v13, v51, v48
	;; [unrolled: 1-line block ×3, first 2 shown]
	s_delay_alu instid0(VALU_DEP_2) | instskip(NEXT) | instid1(VALU_DEP_2)
	v_sub_f32_e32 v39, v13, v51
	v_add_f32_e32 v7, v52, v7
	s_delay_alu instid0(VALU_DEP_2) | instskip(NEXT) | instid1(VALU_DEP_2)
	v_sub_f32_e32 v39, v48, v39
	v_mul_f32_e32 v7, v12, v7
	s_delay_alu instid0(VALU_DEP_1) | instskip(NEXT) | instid1(VALU_DEP_1)
	v_add_f32_e32 v7, v39, v7
	v_add_f32_e32 v12, v13, v7
	s_delay_alu instid0(VALU_DEP_1) | instskip(NEXT) | instid1(VALU_DEP_1)
	v_mul_f32_e32 v39, v12, v12
	v_fmaak_f32 v48, s2, v39, 0x3ecc95a3
	v_mul_f32_e32 v49, v12, v39
	v_cmp_gt_f32_e64 s2, 0x33800000, |v3|
	s_delay_alu instid0(VALU_DEP_3) | instskip(SKIP_2) | instid1(VALU_DEP_4)
	v_fmaak_f32 v39, v39, v48, 0x3f2aaada
	v_ldexp_f32 v48, v12, 1
	v_sub_f32_e32 v12, v12, v13
	s_or_b32 vcc_lo, vcc_lo, s2
	s_delay_alu instid0(VALU_DEP_3) | instskip(SKIP_1) | instid1(VALU_DEP_3)
	v_mul_f32_e32 v39, v49, v39
	v_mul_f32_e32 v49, 0x3f317218, v6
	v_sub_f32_e32 v7, v7, v12
	s_delay_alu instid0(VALU_DEP_3) | instskip(NEXT) | instid1(VALU_DEP_2)
	v_add_f32_e32 v13, v48, v39
	v_ldexp_f32 v7, v7, 1
	s_delay_alu instid0(VALU_DEP_2) | instskip(SKIP_1) | instid1(VALU_DEP_2)
	v_sub_f32_e32 v12, v13, v48
	v_fma_f32 v48, 0x3f317218, v6, -v49
	v_sub_f32_e32 v12, v39, v12
	s_delay_alu instid0(VALU_DEP_1) | instskip(NEXT) | instid1(VALU_DEP_1)
	v_dual_fmamk_f32 v6, v6, 0xb102e308, v48 :: v_dual_add_f32 v7, v7, v12
	v_add_f32_e32 v12, v49, v6
	s_delay_alu instid0(VALU_DEP_2) | instskip(NEXT) | instid1(VALU_DEP_2)
	v_add_f32_e32 v39, v13, v7
	v_sub_f32_e32 v49, v12, v49
	s_delay_alu instid0(VALU_DEP_2) | instskip(NEXT) | instid1(VALU_DEP_2)
	v_dual_add_f32 v48, v12, v39 :: v_dual_sub_f32 v13, v39, v13
	v_sub_f32_e32 v6, v6, v49
	s_delay_alu instid0(VALU_DEP_2) | instskip(NEXT) | instid1(VALU_DEP_1)
	v_dual_sub_f32 v50, v48, v12 :: v_dual_sub_f32 v7, v7, v13
	v_sub_f32_e32 v51, v48, v50
	v_sub_f32_e32 v13, v39, v50
	s_delay_alu instid0(VALU_DEP_3) | instskip(NEXT) | instid1(VALU_DEP_3)
	v_add_f32_e32 v39, v6, v7
	v_sub_f32_e32 v12, v12, v51
	s_delay_alu instid0(VALU_DEP_1) | instskip(NEXT) | instid1(VALU_DEP_1)
	v_dual_add_f32 v12, v13, v12 :: v_dual_sub_f32 v13, v39, v6
	v_add_f32_e32 v12, v39, v12
	s_delay_alu instid0(VALU_DEP_2) | instskip(SKIP_1) | instid1(VALU_DEP_2)
	v_sub_f32_e32 v39, v39, v13
	v_sub_f32_e32 v7, v7, v13
	v_dual_add_f32 v49, v48, v12 :: v_dual_sub_f32 v6, v6, v39
	s_delay_alu instid0(VALU_DEP_1) | instskip(NEXT) | instid1(VALU_DEP_1)
	v_dual_sub_f32 v13, v49, v48 :: v_dual_add_f32 v6, v7, v6
	v_sub_f32_e32 v7, v12, v13
	s_delay_alu instid0(VALU_DEP_1) | instskip(NEXT) | instid1(VALU_DEP_1)
	v_add_f32_e32 v6, v6, v7
	v_add_f32_e32 v6, v49, v6
	s_delay_alu instid0(VALU_DEP_1) | instskip(NEXT) | instid1(VALU_DEP_1)
	v_cndmask_b32_e32 v3, v6, v3, vcc_lo
	v_add_f32_e32 v3, v2, v3
.LBB453_330:
	s_or_b32 exec_lo, exec_lo, s1
	s_delay_alu instid0(VALU_DEP_1) | instskip(SKIP_1) | instid1(VALU_DEP_2)
	v_bfe_u32 v2, v3, 16, 1
	v_cmp_o_f32_e32 vcc_lo, v3, v3
	v_add3_u32 v2, v3, v2, 0x7fff
	s_delay_alu instid0(VALU_DEP_1) | instskip(NEXT) | instid1(VALU_DEP_1)
	v_lshrrev_b32_e32 v2, 16, v2
	v_cndmask_b32_e32 v64, 0x7fc0, v2, vcc_lo
	s_delay_alu instid0(VALU_DEP_1) | instskip(NEXT) | instid1(VALU_DEP_1)
	v_lshlrev_b32_e32 v3, 16, v64
	v_max_f32_e32 v2, v3, v3
	s_delay_alu instid0(VALU_DEP_1) | instskip(SKIP_2) | instid1(VALU_DEP_3)
	v_min_f32_e32 v6, v2, v65
	v_max_f32_e32 v2, v2, v65
	v_cmp_u_f32_e32 vcc_lo, v3, v3
	v_cndmask_b32_e32 v6, v6, v3, vcc_lo
	s_delay_alu instid0(VALU_DEP_3) | instskip(NEXT) | instid1(VALU_DEP_2)
	v_cndmask_b32_e32 v2, v2, v3, vcc_lo
	v_cndmask_b32_e64 v6, v6, v38, s9
	s_delay_alu instid0(VALU_DEP_2) | instskip(NEXT) | instid1(VALU_DEP_2)
	v_cndmask_b32_e64 v2, v2, v38, s9
	v_cmp_class_f32_e64 s1, v6, 0x1f8
	s_delay_alu instid0(VALU_DEP_2) | instskip(NEXT) | instid1(VALU_DEP_2)
	v_cmp_neq_f32_e32 vcc_lo, v6, v2
	s_or_b32 s2, vcc_lo, s1
	s_delay_alu instid0(SALU_CYCLE_1)
	s_and_saveexec_b32 s1, s2
	s_cbranch_execz .LBB453_332
; %bb.331:
	v_sub_f32_e32 v3, v6, v2
	s_mov_b32 s2, 0x3e9b6dac
	s_delay_alu instid0(VALU_DEP_1) | instskip(SKIP_1) | instid1(VALU_DEP_2)
	v_mul_f32_e32 v6, 0x3fb8aa3b, v3
	v_cmp_ngt_f32_e32 vcc_lo, 0xc2ce8ed0, v3
	v_fma_f32 v7, 0x3fb8aa3b, v3, -v6
	v_rndne_f32_e32 v12, v6
	s_delay_alu instid0(VALU_DEP_1) | instskip(NEXT) | instid1(VALU_DEP_1)
	v_dual_fmamk_f32 v7, v3, 0x32a5705f, v7 :: v_dual_sub_f32 v6, v6, v12
	v_add_f32_e32 v6, v6, v7
	v_cvt_i32_f32_e32 v7, v12
	s_delay_alu instid0(VALU_DEP_2) | instskip(SKIP_2) | instid1(VALU_DEP_1)
	v_exp_f32_e32 v6, v6
	s_waitcnt_depctr 0xfff
	v_ldexp_f32 v6, v6, v7
	v_cndmask_b32_e32 v6, 0, v6, vcc_lo
	v_cmp_nlt_f32_e32 vcc_lo, 0x42b17218, v3
	s_delay_alu instid0(VALU_DEP_2) | instskip(NEXT) | instid1(VALU_DEP_1)
	v_cndmask_b32_e32 v3, 0x7f800000, v6, vcc_lo
	v_add_f32_e32 v12, 1.0, v3
	s_delay_alu instid0(VALU_DEP_1) | instskip(NEXT) | instid1(VALU_DEP_1)
	v_cvt_f64_f32_e32 v[6:7], v12
	v_frexp_exp_i32_f64_e32 v6, v[6:7]
	v_frexp_mant_f32_e32 v7, v12
	s_delay_alu instid0(VALU_DEP_1) | instskip(SKIP_1) | instid1(VALU_DEP_1)
	v_cmp_gt_f32_e32 vcc_lo, 0x3f2aaaab, v7
	v_add_f32_e32 v7, -1.0, v12
	v_sub_f32_e32 v38, v7, v12
	s_delay_alu instid0(VALU_DEP_1) | instskip(NEXT) | instid1(VALU_DEP_1)
	v_dual_sub_f32 v7, v3, v7 :: v_dual_add_f32 v38, 1.0, v38
	v_add_f32_e32 v7, v7, v38
	v_subrev_co_ci_u32_e32 v6, vcc_lo, 0, v6, vcc_lo
	s_delay_alu instid0(VALU_DEP_1) | instskip(SKIP_1) | instid1(VALU_DEP_2)
	v_sub_nc_u32_e32 v13, 0, v6
	v_cvt_f32_i32_e32 v6, v6
	v_ldexp_f32 v12, v12, v13
	v_ldexp_f32 v7, v7, v13
	s_delay_alu instid0(VALU_DEP_2) | instskip(NEXT) | instid1(VALU_DEP_1)
	v_add_f32_e32 v13, -1.0, v12
	v_dual_add_f32 v39, 1.0, v12 :: v_dual_add_f32 v48, 1.0, v13
	s_delay_alu instid0(VALU_DEP_1) | instskip(SKIP_1) | instid1(VALU_DEP_2)
	v_add_f32_e32 v38, -1.0, v39
	v_cmp_eq_f32_e32 vcc_lo, 0x7f800000, v3
	v_sub_f32_e32 v38, v12, v38
	s_delay_alu instid0(VALU_DEP_4) | instskip(NEXT) | instid1(VALU_DEP_2)
	v_sub_f32_e32 v12, v12, v48
	v_add_f32_e32 v38, v7, v38
	s_delay_alu instid0(VALU_DEP_2) | instskip(NEXT) | instid1(VALU_DEP_1)
	v_add_f32_e32 v7, v7, v12
	v_dual_add_f32 v49, v13, v7 :: v_dual_add_f32 v48, v39, v38
	s_delay_alu instid0(VALU_DEP_1) | instskip(NEXT) | instid1(VALU_DEP_2)
	v_sub_f32_e32 v13, v13, v49
	v_rcp_f32_e32 v12, v48
	v_sub_f32_e32 v39, v39, v48
	s_delay_alu instid0(VALU_DEP_1) | instskip(SKIP_2) | instid1(VALU_DEP_1)
	v_dual_add_f32 v7, v7, v13 :: v_dual_add_f32 v38, v38, v39
	s_waitcnt_depctr 0xfff
	v_mul_f32_e32 v50, v49, v12
	v_mul_f32_e32 v51, v48, v50
	s_delay_alu instid0(VALU_DEP_1) | instskip(NEXT) | instid1(VALU_DEP_1)
	v_fma_f32 v39, v50, v48, -v51
	v_fmac_f32_e32 v39, v50, v38
	s_delay_alu instid0(VALU_DEP_1) | instskip(NEXT) | instid1(VALU_DEP_1)
	v_add_f32_e32 v52, v51, v39
	v_sub_f32_e32 v53, v49, v52
	s_delay_alu instid0(VALU_DEP_1) | instskip(SKIP_1) | instid1(VALU_DEP_2)
	v_sub_f32_e32 v49, v49, v53
	v_sub_f32_e32 v13, v52, v51
	v_sub_f32_e32 v49, v49, v52
	s_delay_alu instid0(VALU_DEP_2) | instskip(NEXT) | instid1(VALU_DEP_2)
	v_sub_f32_e32 v13, v13, v39
	v_add_f32_e32 v7, v7, v49
	s_delay_alu instid0(VALU_DEP_1) | instskip(NEXT) | instid1(VALU_DEP_1)
	v_add_f32_e32 v7, v13, v7
	v_add_f32_e32 v13, v53, v7
	s_delay_alu instid0(VALU_DEP_1) | instskip(NEXT) | instid1(VALU_DEP_1)
	v_mul_f32_e32 v39, v12, v13
	v_dual_sub_f32 v52, v53, v13 :: v_dual_mul_f32 v49, v48, v39
	s_delay_alu instid0(VALU_DEP_1) | instskip(NEXT) | instid1(VALU_DEP_2)
	v_add_f32_e32 v7, v7, v52
	v_fma_f32 v48, v39, v48, -v49
	s_delay_alu instid0(VALU_DEP_1) | instskip(NEXT) | instid1(VALU_DEP_1)
	v_fmac_f32_e32 v48, v39, v38
	v_add_f32_e32 v38, v49, v48
	s_delay_alu instid0(VALU_DEP_1) | instskip(SKIP_1) | instid1(VALU_DEP_2)
	v_sub_f32_e32 v51, v13, v38
	v_sub_f32_e32 v49, v38, v49
	;; [unrolled: 1-line block ×3, first 2 shown]
	s_delay_alu instid0(VALU_DEP_1) | instskip(NEXT) | instid1(VALU_DEP_1)
	v_sub_f32_e32 v13, v13, v38
	v_dual_sub_f32 v38, v49, v48 :: v_dual_add_f32 v7, v7, v13
	v_add_f32_e32 v13, v50, v39
	s_delay_alu instid0(VALU_DEP_1) | instskip(NEXT) | instid1(VALU_DEP_1)
	v_dual_add_f32 v7, v38, v7 :: v_dual_sub_f32 v38, v13, v50
	v_add_f32_e32 v7, v51, v7
	s_delay_alu instid0(VALU_DEP_1) | instskip(NEXT) | instid1(VALU_DEP_1)
	v_dual_sub_f32 v38, v39, v38 :: v_dual_mul_f32 v7, v12, v7
	v_add_f32_e32 v7, v38, v7
	s_delay_alu instid0(VALU_DEP_1) | instskip(NEXT) | instid1(VALU_DEP_1)
	v_add_f32_e32 v12, v13, v7
	v_mul_f32_e32 v38, v12, v12
	s_delay_alu instid0(VALU_DEP_1) | instskip(SKIP_2) | instid1(VALU_DEP_3)
	v_fmaak_f32 v39, s2, v38, 0x3ecc95a3
	v_mul_f32_e32 v48, v12, v38
	v_cmp_gt_f32_e64 s2, 0x33800000, |v3|
	v_fmaak_f32 v38, v38, v39, 0x3f2aaada
	v_ldexp_f32 v39, v12, 1
	v_sub_f32_e32 v12, v12, v13
	s_delay_alu instid0(VALU_DEP_4) | instskip(NEXT) | instid1(VALU_DEP_3)
	s_or_b32 vcc_lo, vcc_lo, s2
	v_mul_f32_e32 v38, v48, v38
	s_delay_alu instid0(VALU_DEP_2) | instskip(NEXT) | instid1(VALU_DEP_2)
	v_dual_mul_f32 v48, 0x3f317218, v6 :: v_dual_sub_f32 v7, v7, v12
	v_add_f32_e32 v13, v39, v38
	s_delay_alu instid0(VALU_DEP_2) | instskip(NEXT) | instid1(VALU_DEP_2)
	v_ldexp_f32 v7, v7, 1
	v_sub_f32_e32 v12, v13, v39
	s_delay_alu instid0(VALU_DEP_4) | instskip(NEXT) | instid1(VALU_DEP_2)
	v_fma_f32 v39, 0x3f317218, v6, -v48
	v_sub_f32_e32 v12, v38, v12
	s_delay_alu instid0(VALU_DEP_1) | instskip(NEXT) | instid1(VALU_DEP_1)
	v_dual_fmamk_f32 v6, v6, 0xb102e308, v39 :: v_dual_add_f32 v7, v7, v12
	v_add_f32_e32 v12, v48, v6
	s_delay_alu instid0(VALU_DEP_1) | instskip(NEXT) | instid1(VALU_DEP_1)
	v_sub_f32_e32 v48, v12, v48
	v_sub_f32_e32 v6, v6, v48
	s_delay_alu instid0(VALU_DEP_4) | instskip(NEXT) | instid1(VALU_DEP_1)
	v_add_f32_e32 v38, v13, v7
	v_sub_f32_e32 v13, v38, v13
	s_delay_alu instid0(VALU_DEP_1) | instskip(SKIP_1) | instid1(VALU_DEP_1)
	v_sub_f32_e32 v7, v7, v13
	v_add_f32_e32 v39, v12, v38
	v_sub_f32_e32 v49, v39, v12
	s_delay_alu instid0(VALU_DEP_1) | instskip(NEXT) | instid1(VALU_DEP_4)
	v_sub_f32_e32 v13, v38, v49
	v_add_f32_e32 v38, v6, v7
	v_sub_f32_e32 v50, v39, v49
	s_delay_alu instid0(VALU_DEP_1) | instskip(NEXT) | instid1(VALU_DEP_1)
	v_sub_f32_e32 v12, v12, v50
	v_dual_add_f32 v12, v13, v12 :: v_dual_sub_f32 v13, v38, v6
	s_delay_alu instid0(VALU_DEP_1) | instskip(SKIP_1) | instid1(VALU_DEP_2)
	v_dual_add_f32 v12, v38, v12 :: v_dual_sub_f32 v7, v7, v13
	v_sub_f32_e32 v38, v38, v13
	v_add_f32_e32 v48, v39, v12
	s_delay_alu instid0(VALU_DEP_1) | instskip(NEXT) | instid1(VALU_DEP_1)
	v_dual_sub_f32 v6, v6, v38 :: v_dual_sub_f32 v13, v48, v39
	v_dual_add_f32 v6, v7, v6 :: v_dual_sub_f32 v7, v12, v13
	s_delay_alu instid0(VALU_DEP_1) | instskip(NEXT) | instid1(VALU_DEP_1)
	v_add_f32_e32 v6, v6, v7
	v_add_f32_e32 v6, v48, v6
	s_delay_alu instid0(VALU_DEP_1) | instskip(NEXT) | instid1(VALU_DEP_1)
	v_cndmask_b32_e32 v3, v6, v3, vcc_lo
	v_add_f32_e32 v3, v2, v3
.LBB453_332:
	s_or_b32 exec_lo, exec_lo, s1
	s_delay_alu instid0(VALU_DEP_1) | instskip(SKIP_1) | instid1(VALU_DEP_2)
	v_bfe_u32 v2, v3, 16, 1
	v_cmp_o_f32_e32 vcc_lo, v3, v3
	v_add3_u32 v2, v3, v2, 0x7fff
	s_delay_alu instid0(VALU_DEP_1) | instskip(NEXT) | instid1(VALU_DEP_1)
	v_lshrrev_b32_e32 v2, 16, v2
	v_cndmask_b32_e32 v65, 0x7fc0, v2, vcc_lo
	s_delay_alu instid0(VALU_DEP_1) | instskip(NEXT) | instid1(VALU_DEP_1)
	v_lshlrev_b32_e32 v3, 16, v65
	v_max_f32_e32 v2, v3, v3
	s_delay_alu instid0(VALU_DEP_1) | instskip(SKIP_2) | instid1(VALU_DEP_3)
	v_min_f32_e32 v6, v2, v66
	v_max_f32_e32 v2, v2, v66
	v_cmp_u_f32_e32 vcc_lo, v3, v3
	v_cndmask_b32_e32 v6, v6, v3, vcc_lo
	s_delay_alu instid0(VALU_DEP_3) | instskip(NEXT) | instid1(VALU_DEP_2)
	v_cndmask_b32_e32 v2, v2, v3, vcc_lo
	v_cndmask_b32_e64 v6, v6, v37, s10
	s_delay_alu instid0(VALU_DEP_2) | instskip(NEXT) | instid1(VALU_DEP_2)
	v_cndmask_b32_e64 v2, v2, v37, s10
	v_cmp_class_f32_e64 s1, v6, 0x1f8
	s_delay_alu instid0(VALU_DEP_2) | instskip(NEXT) | instid1(VALU_DEP_2)
	v_cmp_neq_f32_e32 vcc_lo, v6, v2
	s_or_b32 s2, vcc_lo, s1
	s_delay_alu instid0(SALU_CYCLE_1)
	s_and_saveexec_b32 s1, s2
	s_cbranch_execz .LBB453_334
; %bb.333:
	v_sub_f32_e32 v3, v6, v2
	s_mov_b32 s2, 0x3e9b6dac
	s_delay_alu instid0(VALU_DEP_1) | instskip(SKIP_1) | instid1(VALU_DEP_2)
	v_mul_f32_e32 v6, 0x3fb8aa3b, v3
	v_cmp_ngt_f32_e32 vcc_lo, 0xc2ce8ed0, v3
	v_fma_f32 v7, 0x3fb8aa3b, v3, -v6
	v_rndne_f32_e32 v12, v6
	s_delay_alu instid0(VALU_DEP_1) | instskip(NEXT) | instid1(VALU_DEP_1)
	v_dual_fmamk_f32 v7, v3, 0x32a5705f, v7 :: v_dual_sub_f32 v6, v6, v12
	v_add_f32_e32 v6, v6, v7
	v_cvt_i32_f32_e32 v7, v12
	s_delay_alu instid0(VALU_DEP_2) | instskip(SKIP_2) | instid1(VALU_DEP_1)
	v_exp_f32_e32 v6, v6
	s_waitcnt_depctr 0xfff
	v_ldexp_f32 v6, v6, v7
	v_cndmask_b32_e32 v6, 0, v6, vcc_lo
	v_cmp_nlt_f32_e32 vcc_lo, 0x42b17218, v3
	s_delay_alu instid0(VALU_DEP_2) | instskip(NEXT) | instid1(VALU_DEP_1)
	v_cndmask_b32_e32 v3, 0x7f800000, v6, vcc_lo
	v_add_f32_e32 v12, 1.0, v3
	s_delay_alu instid0(VALU_DEP_1) | instskip(NEXT) | instid1(VALU_DEP_1)
	v_cvt_f64_f32_e32 v[6:7], v12
	v_frexp_exp_i32_f64_e32 v6, v[6:7]
	v_frexp_mant_f32_e32 v7, v12
	s_delay_alu instid0(VALU_DEP_1) | instskip(SKIP_1) | instid1(VALU_DEP_1)
	v_cmp_gt_f32_e32 vcc_lo, 0x3f2aaaab, v7
	v_add_f32_e32 v7, -1.0, v12
	v_sub_f32_e32 v37, v7, v12
	v_sub_f32_e32 v7, v3, v7
	s_delay_alu instid0(VALU_DEP_2) | instskip(SKIP_1) | instid1(VALU_DEP_1)
	v_add_f32_e32 v37, 1.0, v37
	v_subrev_co_ci_u32_e32 v6, vcc_lo, 0, v6, vcc_lo
	v_sub_nc_u32_e32 v13, 0, v6
	v_cvt_f32_i32_e32 v6, v6
	s_delay_alu instid0(VALU_DEP_2) | instskip(NEXT) | instid1(VALU_DEP_1)
	v_ldexp_f32 v12, v12, v13
	v_dual_add_f32 v38, 1.0, v12 :: v_dual_add_f32 v7, v7, v37
	s_delay_alu instid0(VALU_DEP_1) | instskip(SKIP_1) | instid1(VALU_DEP_3)
	v_ldexp_f32 v7, v7, v13
	v_add_f32_e32 v13, -1.0, v12
	v_add_f32_e32 v37, -1.0, v38
	s_delay_alu instid0(VALU_DEP_2) | instskip(NEXT) | instid1(VALU_DEP_2)
	v_add_f32_e32 v39, 1.0, v13
	v_sub_f32_e32 v37, v12, v37
	s_delay_alu instid0(VALU_DEP_1) | instskip(SKIP_1) | instid1(VALU_DEP_2)
	v_dual_sub_f32 v12, v12, v39 :: v_dual_add_f32 v37, v7, v37
	v_cmp_eq_f32_e32 vcc_lo, 0x7f800000, v3
	v_add_f32_e32 v39, v38, v37
	s_delay_alu instid0(VALU_DEP_1) | instskip(NEXT) | instid1(VALU_DEP_1)
	v_sub_f32_e32 v38, v38, v39
	v_add_f32_e32 v37, v37, v38
	v_add_f32_e32 v7, v7, v12
	v_rcp_f32_e32 v12, v39
	s_delay_alu instid0(VALU_DEP_1) | instskip(SKIP_2) | instid1(VALU_DEP_1)
	v_add_f32_e32 v48, v13, v7
	s_waitcnt_depctr 0xfff
	v_mul_f32_e32 v49, v48, v12
	v_dual_mul_f32 v50, v39, v49 :: v_dual_sub_f32 v13, v13, v48
	s_delay_alu instid0(VALU_DEP_1) | instskip(NEXT) | instid1(VALU_DEP_1)
	v_fma_f32 v38, v49, v39, -v50
	v_fmac_f32_e32 v38, v49, v37
	s_delay_alu instid0(VALU_DEP_3) | instskip(NEXT) | instid1(VALU_DEP_2)
	v_add_f32_e32 v7, v7, v13
	v_add_f32_e32 v51, v50, v38
	s_delay_alu instid0(VALU_DEP_1) | instskip(NEXT) | instid1(VALU_DEP_1)
	v_dual_sub_f32 v52, v48, v51 :: v_dual_sub_f32 v13, v51, v50
	v_dual_sub_f32 v48, v48, v52 :: v_dual_sub_f32 v13, v13, v38
	s_delay_alu instid0(VALU_DEP_1) | instskip(NEXT) | instid1(VALU_DEP_1)
	v_sub_f32_e32 v48, v48, v51
	v_add_f32_e32 v7, v7, v48
	s_delay_alu instid0(VALU_DEP_1) | instskip(NEXT) | instid1(VALU_DEP_1)
	v_add_f32_e32 v7, v13, v7
	v_add_f32_e32 v13, v52, v7
	s_delay_alu instid0(VALU_DEP_1) | instskip(NEXT) | instid1(VALU_DEP_1)
	v_mul_f32_e32 v38, v12, v13
	v_dual_sub_f32 v51, v52, v13 :: v_dual_mul_f32 v48, v39, v38
	s_delay_alu instid0(VALU_DEP_1) | instskip(NEXT) | instid1(VALU_DEP_2)
	v_add_f32_e32 v7, v7, v51
	v_fma_f32 v39, v38, v39, -v48
	s_delay_alu instid0(VALU_DEP_1) | instskip(NEXT) | instid1(VALU_DEP_1)
	v_fmac_f32_e32 v39, v38, v37
	v_add_f32_e32 v37, v48, v39
	s_delay_alu instid0(VALU_DEP_1) | instskip(SKIP_1) | instid1(VALU_DEP_2)
	v_sub_f32_e32 v50, v13, v37
	v_sub_f32_e32 v48, v37, v48
	;; [unrolled: 1-line block ×3, first 2 shown]
	s_delay_alu instid0(VALU_DEP_1) | instskip(NEXT) | instid1(VALU_DEP_3)
	v_sub_f32_e32 v13, v13, v37
	v_sub_f32_e32 v37, v48, v39
	s_delay_alu instid0(VALU_DEP_2) | instskip(SKIP_1) | instid1(VALU_DEP_2)
	v_add_f32_e32 v7, v7, v13
	v_add_f32_e32 v13, v49, v38
	;; [unrolled: 1-line block ×3, first 2 shown]
	s_delay_alu instid0(VALU_DEP_2) | instskip(NEXT) | instid1(VALU_DEP_2)
	v_sub_f32_e32 v37, v13, v49
	v_add_f32_e32 v7, v50, v7
	s_delay_alu instid0(VALU_DEP_2) | instskip(NEXT) | instid1(VALU_DEP_2)
	v_sub_f32_e32 v37, v38, v37
	v_mul_f32_e32 v7, v12, v7
	s_delay_alu instid0(VALU_DEP_1) | instskip(NEXT) | instid1(VALU_DEP_1)
	v_add_f32_e32 v7, v37, v7
	v_add_f32_e32 v12, v13, v7
	s_delay_alu instid0(VALU_DEP_1) | instskip(NEXT) | instid1(VALU_DEP_1)
	v_mul_f32_e32 v37, v12, v12
	v_fmaak_f32 v38, s2, v37, 0x3ecc95a3
	v_mul_f32_e32 v39, v12, v37
	v_cmp_gt_f32_e64 s2, 0x33800000, |v3|
	s_delay_alu instid0(VALU_DEP_3) | instskip(SKIP_2) | instid1(VALU_DEP_4)
	v_fmaak_f32 v37, v37, v38, 0x3f2aaada
	v_ldexp_f32 v38, v12, 1
	v_sub_f32_e32 v12, v12, v13
	s_or_b32 vcc_lo, vcc_lo, s2
	s_delay_alu instid0(VALU_DEP_3) | instskip(SKIP_1) | instid1(VALU_DEP_3)
	v_mul_f32_e32 v37, v39, v37
	v_mul_f32_e32 v39, 0x3f317218, v6
	v_sub_f32_e32 v7, v7, v12
	s_delay_alu instid0(VALU_DEP_3) | instskip(NEXT) | instid1(VALU_DEP_2)
	v_add_f32_e32 v13, v38, v37
	v_ldexp_f32 v7, v7, 1
	s_delay_alu instid0(VALU_DEP_2) | instskip(SKIP_1) | instid1(VALU_DEP_2)
	v_sub_f32_e32 v12, v13, v38
	v_fma_f32 v38, 0x3f317218, v6, -v39
	v_sub_f32_e32 v12, v37, v12
	s_delay_alu instid0(VALU_DEP_1) | instskip(NEXT) | instid1(VALU_DEP_1)
	v_dual_fmamk_f32 v6, v6, 0xb102e308, v38 :: v_dual_add_f32 v7, v7, v12
	v_dual_add_f32 v12, v39, v6 :: v_dual_add_f32 v37, v13, v7
	s_delay_alu instid0(VALU_DEP_1) | instskip(NEXT) | instid1(VALU_DEP_2)
	v_sub_f32_e32 v39, v12, v39
	v_add_f32_e32 v38, v12, v37
	s_delay_alu instid0(VALU_DEP_2) | instskip(NEXT) | instid1(VALU_DEP_1)
	v_dual_sub_f32 v13, v37, v13 :: v_dual_sub_f32 v6, v6, v39
	v_dual_sub_f32 v48, v38, v12 :: v_dual_sub_f32 v7, v7, v13
	s_delay_alu instid0(VALU_DEP_1) | instskip(SKIP_1) | instid1(VALU_DEP_2)
	v_sub_f32_e32 v49, v38, v48
	v_sub_f32_e32 v13, v37, v48
	v_dual_add_f32 v37, v6, v7 :: v_dual_sub_f32 v12, v12, v49
	s_delay_alu instid0(VALU_DEP_1) | instskip(NEXT) | instid1(VALU_DEP_2)
	v_add_f32_e32 v12, v13, v12
	v_sub_f32_e32 v13, v37, v6
	s_delay_alu instid0(VALU_DEP_2) | instskip(NEXT) | instid1(VALU_DEP_2)
	v_add_f32_e32 v12, v37, v12
	v_sub_f32_e32 v37, v37, v13
	v_sub_f32_e32 v7, v7, v13
	s_delay_alu instid0(VALU_DEP_3) | instskip(NEXT) | instid1(VALU_DEP_1)
	v_add_f32_e32 v39, v38, v12
	v_dual_sub_f32 v6, v6, v37 :: v_dual_sub_f32 v13, v39, v38
	s_delay_alu instid0(VALU_DEP_1) | instskip(NEXT) | instid1(VALU_DEP_1)
	v_dual_add_f32 v6, v7, v6 :: v_dual_sub_f32 v7, v12, v13
	v_add_f32_e32 v6, v6, v7
	s_delay_alu instid0(VALU_DEP_1) | instskip(NEXT) | instid1(VALU_DEP_1)
	v_add_f32_e32 v6, v39, v6
	v_cndmask_b32_e32 v3, v6, v3, vcc_lo
	s_delay_alu instid0(VALU_DEP_1)
	v_add_f32_e32 v3, v2, v3
.LBB453_334:
	s_or_b32 exec_lo, exec_lo, s1
	s_delay_alu instid0(VALU_DEP_1) | instskip(SKIP_1) | instid1(VALU_DEP_2)
	v_bfe_u32 v2, v3, 16, 1
	v_cmp_o_f32_e32 vcc_lo, v3, v3
	v_add3_u32 v2, v3, v2, 0x7fff
	s_delay_alu instid0(VALU_DEP_1) | instskip(NEXT) | instid1(VALU_DEP_1)
	v_lshrrev_b32_e32 v2, 16, v2
	v_cndmask_b32_e32 v66, 0x7fc0, v2, vcc_lo
	s_delay_alu instid0(VALU_DEP_1) | instskip(NEXT) | instid1(VALU_DEP_1)
	v_lshlrev_b32_e32 v3, 16, v66
	v_max_f32_e32 v2, v3, v3
	s_delay_alu instid0(VALU_DEP_1) | instskip(SKIP_2) | instid1(VALU_DEP_3)
	v_min_f32_e32 v6, v2, v67
	v_max_f32_e32 v2, v2, v67
	v_cmp_u_f32_e32 vcc_lo, v3, v3
	v_cndmask_b32_e32 v6, v6, v3, vcc_lo
	s_delay_alu instid0(VALU_DEP_3) | instskip(NEXT) | instid1(VALU_DEP_2)
	v_cndmask_b32_e32 v2, v2, v3, vcc_lo
	v_cndmask_b32_e64 v6, v6, v36, s11
	s_delay_alu instid0(VALU_DEP_2) | instskip(NEXT) | instid1(VALU_DEP_2)
	v_cndmask_b32_e64 v2, v2, v36, s11
	v_cmp_class_f32_e64 s1, v6, 0x1f8
	s_delay_alu instid0(VALU_DEP_2) | instskip(NEXT) | instid1(VALU_DEP_2)
	v_cmp_neq_f32_e32 vcc_lo, v6, v2
	s_or_b32 s2, vcc_lo, s1
	s_delay_alu instid0(SALU_CYCLE_1)
	s_and_saveexec_b32 s1, s2
	s_cbranch_execz .LBB453_336
; %bb.335:
	v_sub_f32_e32 v3, v6, v2
	s_mov_b32 s2, 0x3e9b6dac
	s_delay_alu instid0(VALU_DEP_1) | instskip(SKIP_1) | instid1(VALU_DEP_2)
	v_mul_f32_e32 v6, 0x3fb8aa3b, v3
	v_cmp_ngt_f32_e32 vcc_lo, 0xc2ce8ed0, v3
	v_fma_f32 v7, 0x3fb8aa3b, v3, -v6
	v_rndne_f32_e32 v12, v6
	s_delay_alu instid0(VALU_DEP_1) | instskip(NEXT) | instid1(VALU_DEP_1)
	v_dual_fmamk_f32 v7, v3, 0x32a5705f, v7 :: v_dual_sub_f32 v6, v6, v12
	v_add_f32_e32 v6, v6, v7
	v_cvt_i32_f32_e32 v7, v12
	s_delay_alu instid0(VALU_DEP_2) | instskip(SKIP_2) | instid1(VALU_DEP_1)
	v_exp_f32_e32 v6, v6
	s_waitcnt_depctr 0xfff
	v_ldexp_f32 v6, v6, v7
	v_cndmask_b32_e32 v6, 0, v6, vcc_lo
	v_cmp_nlt_f32_e32 vcc_lo, 0x42b17218, v3
	s_delay_alu instid0(VALU_DEP_2) | instskip(NEXT) | instid1(VALU_DEP_1)
	v_cndmask_b32_e32 v3, 0x7f800000, v6, vcc_lo
	v_add_f32_e32 v12, 1.0, v3
	s_delay_alu instid0(VALU_DEP_1) | instskip(NEXT) | instid1(VALU_DEP_1)
	v_cvt_f64_f32_e32 v[6:7], v12
	v_frexp_exp_i32_f64_e32 v6, v[6:7]
	v_frexp_mant_f32_e32 v7, v12
	s_delay_alu instid0(VALU_DEP_1) | instskip(SKIP_1) | instid1(VALU_DEP_1)
	v_cmp_gt_f32_e32 vcc_lo, 0x3f2aaaab, v7
	v_add_f32_e32 v7, -1.0, v12
	v_sub_f32_e32 v36, v7, v12
	s_delay_alu instid0(VALU_DEP_1) | instskip(NEXT) | instid1(VALU_DEP_1)
	v_dual_add_f32 v36, 1.0, v36 :: v_dual_sub_f32 v7, v3, v7
	v_add_f32_e32 v7, v7, v36
	v_subrev_co_ci_u32_e32 v6, vcc_lo, 0, v6, vcc_lo
	v_cmp_eq_f32_e32 vcc_lo, 0x7f800000, v3
	s_delay_alu instid0(VALU_DEP_2) | instskip(SKIP_1) | instid1(VALU_DEP_2)
	v_sub_nc_u32_e32 v13, 0, v6
	v_cvt_f32_i32_e32 v6, v6
	v_ldexp_f32 v12, v12, v13
	v_ldexp_f32 v7, v7, v13
	s_delay_alu instid0(VALU_DEP_2) | instskip(NEXT) | instid1(VALU_DEP_1)
	v_add_f32_e32 v37, 1.0, v12
	v_dual_add_f32 v13, -1.0, v12 :: v_dual_add_f32 v36, -1.0, v37
	s_delay_alu instid0(VALU_DEP_1) | instskip(NEXT) | instid1(VALU_DEP_2)
	v_add_f32_e32 v38, 1.0, v13
	v_sub_f32_e32 v36, v12, v36
	s_delay_alu instid0(VALU_DEP_2) | instskip(NEXT) | instid1(VALU_DEP_2)
	v_sub_f32_e32 v12, v12, v38
	v_add_f32_e32 v36, v7, v36
	s_delay_alu instid0(VALU_DEP_2) | instskip(NEXT) | instid1(VALU_DEP_1)
	v_add_f32_e32 v7, v7, v12
	v_add_f32_e32 v39, v13, v7
	s_delay_alu instid0(VALU_DEP_3) | instskip(NEXT) | instid1(VALU_DEP_2)
	v_add_f32_e32 v38, v37, v36
	v_sub_f32_e32 v13, v13, v39
	s_delay_alu instid0(VALU_DEP_2) | instskip(SKIP_1) | instid1(VALU_DEP_1)
	v_rcp_f32_e32 v12, v38
	v_sub_f32_e32 v37, v37, v38
	v_add_f32_e32 v36, v36, v37
	s_delay_alu instid0(VALU_DEP_3) | instskip(SKIP_2) | instid1(VALU_DEP_1)
	v_add_f32_e32 v7, v7, v13
	s_waitcnt_depctr 0xfff
	v_mul_f32_e32 v48, v39, v12
	v_mul_f32_e32 v49, v38, v48
	s_delay_alu instid0(VALU_DEP_1) | instskip(NEXT) | instid1(VALU_DEP_1)
	v_fma_f32 v37, v48, v38, -v49
	v_fmac_f32_e32 v37, v48, v36
	s_delay_alu instid0(VALU_DEP_1) | instskip(NEXT) | instid1(VALU_DEP_1)
	v_add_f32_e32 v50, v49, v37
	v_sub_f32_e32 v51, v39, v50
	s_delay_alu instid0(VALU_DEP_1) | instskip(NEXT) | instid1(VALU_DEP_1)
	v_sub_f32_e32 v39, v39, v51
	v_sub_f32_e32 v39, v39, v50
	s_delay_alu instid0(VALU_DEP_1) | instskip(SKIP_1) | instid1(VALU_DEP_1)
	v_add_f32_e32 v7, v7, v39
	v_sub_f32_e32 v13, v50, v49
	v_sub_f32_e32 v13, v13, v37
	s_delay_alu instid0(VALU_DEP_1) | instskip(NEXT) | instid1(VALU_DEP_1)
	v_add_f32_e32 v7, v13, v7
	v_add_f32_e32 v13, v51, v7
	s_delay_alu instid0(VALU_DEP_1) | instskip(SKIP_1) | instid1(VALU_DEP_2)
	v_mul_f32_e32 v37, v12, v13
	v_sub_f32_e32 v50, v51, v13
	v_mul_f32_e32 v39, v38, v37
	s_delay_alu instid0(VALU_DEP_2) | instskip(NEXT) | instid1(VALU_DEP_2)
	v_add_f32_e32 v7, v7, v50
	v_fma_f32 v38, v37, v38, -v39
	s_delay_alu instid0(VALU_DEP_1) | instskip(NEXT) | instid1(VALU_DEP_1)
	v_fmac_f32_e32 v38, v37, v36
	v_add_f32_e32 v36, v39, v38
	s_delay_alu instid0(VALU_DEP_1) | instskip(SKIP_1) | instid1(VALU_DEP_2)
	v_sub_f32_e32 v49, v13, v36
	v_sub_f32_e32 v39, v36, v39
	;; [unrolled: 1-line block ×3, first 2 shown]
	s_delay_alu instid0(VALU_DEP_1) | instskip(NEXT) | instid1(VALU_DEP_1)
	v_dual_sub_f32 v13, v13, v36 :: v_dual_sub_f32 v36, v39, v38
	v_add_f32_e32 v7, v7, v13
	v_add_f32_e32 v13, v48, v37
	s_delay_alu instid0(VALU_DEP_1) | instskip(NEXT) | instid1(VALU_DEP_1)
	v_dual_add_f32 v7, v36, v7 :: v_dual_sub_f32 v36, v13, v48
	v_add_f32_e32 v7, v49, v7
	s_delay_alu instid0(VALU_DEP_1) | instskip(NEXT) | instid1(VALU_DEP_1)
	v_dual_sub_f32 v36, v37, v36 :: v_dual_mul_f32 v7, v12, v7
	v_add_f32_e32 v7, v36, v7
	s_delay_alu instid0(VALU_DEP_1) | instskip(NEXT) | instid1(VALU_DEP_1)
	v_add_f32_e32 v12, v13, v7
	v_mul_f32_e32 v36, v12, v12
	s_delay_alu instid0(VALU_DEP_1) | instskip(SKIP_2) | instid1(VALU_DEP_3)
	v_fmaak_f32 v37, s2, v36, 0x3ecc95a3
	v_mul_f32_e32 v38, v12, v36
	v_cmp_gt_f32_e64 s2, 0x33800000, |v3|
	v_fmaak_f32 v36, v36, v37, 0x3f2aaada
	v_ldexp_f32 v37, v12, 1
	v_sub_f32_e32 v12, v12, v13
	s_delay_alu instid0(VALU_DEP_4) | instskip(NEXT) | instid1(VALU_DEP_3)
	s_or_b32 vcc_lo, vcc_lo, s2
	v_mul_f32_e32 v36, v38, v36
	s_delay_alu instid0(VALU_DEP_2) | instskip(NEXT) | instid1(VALU_DEP_2)
	v_dual_mul_f32 v38, 0x3f317218, v6 :: v_dual_sub_f32 v7, v7, v12
	v_add_f32_e32 v13, v37, v36
	s_delay_alu instid0(VALU_DEP_2) | instskip(NEXT) | instid1(VALU_DEP_2)
	v_ldexp_f32 v7, v7, 1
	v_sub_f32_e32 v12, v13, v37
	s_delay_alu instid0(VALU_DEP_4) | instskip(NEXT) | instid1(VALU_DEP_2)
	v_fma_f32 v37, 0x3f317218, v6, -v38
	v_sub_f32_e32 v12, v36, v12
	s_delay_alu instid0(VALU_DEP_1) | instskip(NEXT) | instid1(VALU_DEP_1)
	v_dual_fmamk_f32 v6, v6, 0xb102e308, v37 :: v_dual_add_f32 v7, v7, v12
	v_add_f32_e32 v12, v38, v6
	s_delay_alu instid0(VALU_DEP_2) | instskip(NEXT) | instid1(VALU_DEP_2)
	v_add_f32_e32 v36, v13, v7
	v_sub_f32_e32 v38, v12, v38
	s_delay_alu instid0(VALU_DEP_2) | instskip(NEXT) | instid1(VALU_DEP_2)
	v_add_f32_e32 v37, v12, v36
	v_dual_sub_f32 v13, v36, v13 :: v_dual_sub_f32 v6, v6, v38
	s_delay_alu instid0(VALU_DEP_2) | instskip(NEXT) | instid1(VALU_DEP_1)
	v_sub_f32_e32 v39, v37, v12
	v_dual_sub_f32 v48, v37, v39 :: v_dual_sub_f32 v7, v7, v13
	v_sub_f32_e32 v13, v36, v39
	s_delay_alu instid0(VALU_DEP_2) | instskip(NEXT) | instid1(VALU_DEP_3)
	v_sub_f32_e32 v12, v12, v48
	v_add_f32_e32 v36, v6, v7
	s_delay_alu instid0(VALU_DEP_1) | instskip(NEXT) | instid1(VALU_DEP_1)
	v_dual_add_f32 v12, v13, v12 :: v_dual_sub_f32 v13, v36, v6
	v_dual_add_f32 v12, v36, v12 :: v_dual_sub_f32 v7, v7, v13
	v_sub_f32_e32 v36, v36, v13
	s_delay_alu instid0(VALU_DEP_1) | instskip(NEXT) | instid1(VALU_DEP_1)
	v_sub_f32_e32 v6, v6, v36
	v_add_f32_e32 v6, v7, v6
	s_delay_alu instid0(VALU_DEP_4) | instskip(NEXT) | instid1(VALU_DEP_1)
	v_add_f32_e32 v38, v37, v12
	v_sub_f32_e32 v13, v38, v37
	s_delay_alu instid0(VALU_DEP_1) | instskip(NEXT) | instid1(VALU_DEP_1)
	v_sub_f32_e32 v7, v12, v13
	v_add_f32_e32 v6, v6, v7
	s_delay_alu instid0(VALU_DEP_1) | instskip(NEXT) | instid1(VALU_DEP_1)
	v_add_f32_e32 v6, v38, v6
	v_cndmask_b32_e32 v3, v6, v3, vcc_lo
	s_delay_alu instid0(VALU_DEP_1)
	v_add_f32_e32 v3, v2, v3
.LBB453_336:
	s_or_b32 exec_lo, exec_lo, s1
	s_delay_alu instid0(VALU_DEP_1) | instskip(SKIP_1) | instid1(VALU_DEP_2)
	v_bfe_u32 v2, v3, 16, 1
	v_cmp_o_f32_e32 vcc_lo, v3, v3
	v_add3_u32 v2, v3, v2, 0x7fff
	s_delay_alu instid0(VALU_DEP_1) | instskip(NEXT) | instid1(VALU_DEP_1)
	v_lshrrev_b32_e32 v2, 16, v2
	v_cndmask_b32_e32 v67, 0x7fc0, v2, vcc_lo
	s_delay_alu instid0(VALU_DEP_1) | instskip(NEXT) | instid1(VALU_DEP_1)
	v_lshlrev_b32_e32 v3, 16, v67
	v_max_f32_e32 v2, v3, v3
	s_delay_alu instid0(VALU_DEP_1) | instskip(SKIP_2) | instid1(VALU_DEP_3)
	v_min_f32_e32 v6, v2, v68
	v_max_f32_e32 v2, v2, v68
	v_cmp_u_f32_e32 vcc_lo, v3, v3
	v_cndmask_b32_e32 v6, v6, v3, vcc_lo
	s_delay_alu instid0(VALU_DEP_3) | instskip(NEXT) | instid1(VALU_DEP_2)
	v_cndmask_b32_e32 v2, v2, v3, vcc_lo
	v_cndmask_b32_e64 v6, v6, v35, s12
	s_delay_alu instid0(VALU_DEP_2) | instskip(NEXT) | instid1(VALU_DEP_2)
	v_cndmask_b32_e64 v2, v2, v35, s12
	v_cmp_class_f32_e64 s1, v6, 0x1f8
	s_delay_alu instid0(VALU_DEP_2) | instskip(NEXT) | instid1(VALU_DEP_2)
	v_cmp_neq_f32_e32 vcc_lo, v6, v2
	s_or_b32 s2, vcc_lo, s1
	s_delay_alu instid0(SALU_CYCLE_1)
	s_and_saveexec_b32 s1, s2
	s_cbranch_execz .LBB453_338
; %bb.337:
	v_sub_f32_e32 v3, v6, v2
	s_mov_b32 s2, 0x3e9b6dac
	s_delay_alu instid0(VALU_DEP_1) | instskip(SKIP_1) | instid1(VALU_DEP_2)
	v_mul_f32_e32 v6, 0x3fb8aa3b, v3
	v_cmp_ngt_f32_e32 vcc_lo, 0xc2ce8ed0, v3
	v_fma_f32 v7, 0x3fb8aa3b, v3, -v6
	v_rndne_f32_e32 v12, v6
	s_delay_alu instid0(VALU_DEP_1) | instskip(NEXT) | instid1(VALU_DEP_1)
	v_dual_fmamk_f32 v7, v3, 0x32a5705f, v7 :: v_dual_sub_f32 v6, v6, v12
	v_add_f32_e32 v6, v6, v7
	v_cvt_i32_f32_e32 v7, v12
	s_delay_alu instid0(VALU_DEP_2) | instskip(SKIP_2) | instid1(VALU_DEP_1)
	v_exp_f32_e32 v6, v6
	s_waitcnt_depctr 0xfff
	v_ldexp_f32 v6, v6, v7
	v_cndmask_b32_e32 v6, 0, v6, vcc_lo
	v_cmp_nlt_f32_e32 vcc_lo, 0x42b17218, v3
	s_delay_alu instid0(VALU_DEP_2) | instskip(NEXT) | instid1(VALU_DEP_1)
	v_cndmask_b32_e32 v3, 0x7f800000, v6, vcc_lo
	v_add_f32_e32 v12, 1.0, v3
	s_delay_alu instid0(VALU_DEP_1) | instskip(NEXT) | instid1(VALU_DEP_1)
	v_cvt_f64_f32_e32 v[6:7], v12
	v_frexp_exp_i32_f64_e32 v6, v[6:7]
	v_frexp_mant_f32_e32 v7, v12
	s_delay_alu instid0(VALU_DEP_1) | instskip(SKIP_1) | instid1(VALU_DEP_1)
	v_cmp_gt_f32_e32 vcc_lo, 0x3f2aaaab, v7
	v_add_f32_e32 v7, -1.0, v12
	v_sub_f32_e32 v35, v7, v12
	v_sub_f32_e32 v7, v3, v7
	v_subrev_co_ci_u32_e32 v6, vcc_lo, 0, v6, vcc_lo
	s_delay_alu instid0(VALU_DEP_1) | instskip(SKIP_1) | instid1(VALU_DEP_2)
	v_sub_nc_u32_e32 v13, 0, v6
	v_cvt_f32_i32_e32 v6, v6
	v_ldexp_f32 v12, v12, v13
	s_delay_alu instid0(VALU_DEP_1) | instskip(NEXT) | instid1(VALU_DEP_1)
	v_dual_add_f32 v36, 1.0, v12 :: v_dual_add_f32 v35, 1.0, v35
	v_add_f32_e32 v7, v7, v35
	s_delay_alu instid0(VALU_DEP_2) | instskip(NEXT) | instid1(VALU_DEP_2)
	v_add_f32_e32 v35, -1.0, v36
	v_ldexp_f32 v7, v7, v13
	v_add_f32_e32 v13, -1.0, v12
	s_delay_alu instid0(VALU_DEP_3) | instskip(NEXT) | instid1(VALU_DEP_2)
	v_sub_f32_e32 v35, v12, v35
	v_add_f32_e32 v37, 1.0, v13
	s_delay_alu instid0(VALU_DEP_1) | instskip(NEXT) | instid1(VALU_DEP_1)
	v_dual_add_f32 v35, v7, v35 :: v_dual_sub_f32 v12, v12, v37
	v_add_f32_e32 v37, v36, v35
	v_cmp_eq_f32_e32 vcc_lo, 0x7f800000, v3
	s_delay_alu instid0(VALU_DEP_3) | instskip(NEXT) | instid1(VALU_DEP_3)
	v_add_f32_e32 v7, v7, v12
	v_rcp_f32_e32 v12, v37
	v_sub_f32_e32 v36, v36, v37
	s_delay_alu instid0(VALU_DEP_1) | instskip(SKIP_2) | instid1(VALU_DEP_1)
	v_dual_add_f32 v38, v13, v7 :: v_dual_add_f32 v35, v35, v36
	s_waitcnt_depctr 0xfff
	v_mul_f32_e32 v39, v38, v12
	v_mul_f32_e32 v48, v37, v39
	v_sub_f32_e32 v13, v13, v38
	s_delay_alu instid0(VALU_DEP_2) | instskip(NEXT) | instid1(VALU_DEP_2)
	v_fma_f32 v36, v39, v37, -v48
	v_add_f32_e32 v7, v7, v13
	s_delay_alu instid0(VALU_DEP_2) | instskip(NEXT) | instid1(VALU_DEP_1)
	v_fmac_f32_e32 v36, v39, v35
	v_add_f32_e32 v49, v48, v36
	s_delay_alu instid0(VALU_DEP_1) | instskip(NEXT) | instid1(VALU_DEP_1)
	v_dual_sub_f32 v50, v38, v49 :: v_dual_sub_f32 v13, v49, v48
	v_dual_sub_f32 v38, v38, v50 :: v_dual_sub_f32 v13, v13, v36
	s_delay_alu instid0(VALU_DEP_1) | instskip(NEXT) | instid1(VALU_DEP_1)
	v_sub_f32_e32 v38, v38, v49
	v_add_f32_e32 v7, v7, v38
	s_delay_alu instid0(VALU_DEP_1) | instskip(NEXT) | instid1(VALU_DEP_1)
	v_add_f32_e32 v7, v13, v7
	v_add_f32_e32 v13, v50, v7
	s_delay_alu instid0(VALU_DEP_1) | instskip(NEXT) | instid1(VALU_DEP_1)
	v_mul_f32_e32 v36, v12, v13
	v_dual_sub_f32 v49, v50, v13 :: v_dual_mul_f32 v38, v37, v36
	s_delay_alu instid0(VALU_DEP_1) | instskip(NEXT) | instid1(VALU_DEP_2)
	v_add_f32_e32 v7, v7, v49
	v_fma_f32 v37, v36, v37, -v38
	s_delay_alu instid0(VALU_DEP_1) | instskip(NEXT) | instid1(VALU_DEP_1)
	v_fmac_f32_e32 v37, v36, v35
	v_add_f32_e32 v35, v38, v37
	s_delay_alu instid0(VALU_DEP_1) | instskip(NEXT) | instid1(VALU_DEP_1)
	v_sub_f32_e32 v48, v13, v35
	v_dual_sub_f32 v38, v35, v38 :: v_dual_sub_f32 v13, v13, v48
	s_delay_alu instid0(VALU_DEP_1) | instskip(NEXT) | instid1(VALU_DEP_2)
	v_sub_f32_e32 v13, v13, v35
	v_sub_f32_e32 v35, v38, v37
	s_delay_alu instid0(VALU_DEP_2) | instskip(SKIP_1) | instid1(VALU_DEP_2)
	v_add_f32_e32 v7, v7, v13
	v_add_f32_e32 v13, v39, v36
	;; [unrolled: 1-line block ×3, first 2 shown]
	s_delay_alu instid0(VALU_DEP_2) | instskip(NEXT) | instid1(VALU_DEP_2)
	v_sub_f32_e32 v35, v13, v39
	v_add_f32_e32 v7, v48, v7
	s_delay_alu instid0(VALU_DEP_2) | instskip(NEXT) | instid1(VALU_DEP_2)
	v_sub_f32_e32 v35, v36, v35
	v_mul_f32_e32 v7, v12, v7
	s_delay_alu instid0(VALU_DEP_1) | instskip(NEXT) | instid1(VALU_DEP_1)
	v_add_f32_e32 v7, v35, v7
	v_add_f32_e32 v12, v13, v7
	s_delay_alu instid0(VALU_DEP_1) | instskip(NEXT) | instid1(VALU_DEP_1)
	v_mul_f32_e32 v35, v12, v12
	v_fmaak_f32 v36, s2, v35, 0x3ecc95a3
	v_mul_f32_e32 v37, v12, v35
	v_cmp_gt_f32_e64 s2, 0x33800000, |v3|
	s_delay_alu instid0(VALU_DEP_3) | instskip(SKIP_2) | instid1(VALU_DEP_4)
	v_fmaak_f32 v35, v35, v36, 0x3f2aaada
	v_ldexp_f32 v36, v12, 1
	v_sub_f32_e32 v12, v12, v13
	s_or_b32 vcc_lo, vcc_lo, s2
	s_delay_alu instid0(VALU_DEP_3) | instskip(SKIP_1) | instid1(VALU_DEP_3)
	v_mul_f32_e32 v35, v37, v35
	v_mul_f32_e32 v37, 0x3f317218, v6
	v_sub_f32_e32 v7, v7, v12
	s_delay_alu instid0(VALU_DEP_3) | instskip(NEXT) | instid1(VALU_DEP_2)
	v_add_f32_e32 v13, v36, v35
	v_ldexp_f32 v7, v7, 1
	s_delay_alu instid0(VALU_DEP_2) | instskip(SKIP_1) | instid1(VALU_DEP_2)
	v_sub_f32_e32 v12, v13, v36
	v_fma_f32 v36, 0x3f317218, v6, -v37
	v_sub_f32_e32 v12, v35, v12
	s_delay_alu instid0(VALU_DEP_1) | instskip(NEXT) | instid1(VALU_DEP_1)
	v_dual_fmamk_f32 v6, v6, 0xb102e308, v36 :: v_dual_add_f32 v7, v7, v12
	v_add_f32_e32 v12, v37, v6
	s_delay_alu instid0(VALU_DEP_2) | instskip(NEXT) | instid1(VALU_DEP_2)
	v_add_f32_e32 v35, v13, v7
	v_sub_f32_e32 v37, v12, v37
	s_delay_alu instid0(VALU_DEP_2) | instskip(NEXT) | instid1(VALU_DEP_2)
	v_dual_add_f32 v36, v12, v35 :: v_dual_sub_f32 v13, v35, v13
	v_sub_f32_e32 v6, v6, v37
	s_delay_alu instid0(VALU_DEP_2) | instskip(NEXT) | instid1(VALU_DEP_1)
	v_dual_sub_f32 v38, v36, v12 :: v_dual_sub_f32 v7, v7, v13
	v_sub_f32_e32 v39, v36, v38
	v_sub_f32_e32 v13, v35, v38
	s_delay_alu instid0(VALU_DEP_3) | instskip(NEXT) | instid1(VALU_DEP_3)
	v_add_f32_e32 v35, v6, v7
	v_sub_f32_e32 v12, v12, v39
	s_delay_alu instid0(VALU_DEP_1) | instskip(NEXT) | instid1(VALU_DEP_1)
	v_dual_add_f32 v12, v13, v12 :: v_dual_sub_f32 v13, v35, v6
	v_add_f32_e32 v12, v35, v12
	s_delay_alu instid0(VALU_DEP_2) | instskip(SKIP_1) | instid1(VALU_DEP_2)
	v_sub_f32_e32 v35, v35, v13
	v_sub_f32_e32 v7, v7, v13
	v_dual_add_f32 v37, v36, v12 :: v_dual_sub_f32 v6, v6, v35
	s_delay_alu instid0(VALU_DEP_1) | instskip(NEXT) | instid1(VALU_DEP_1)
	v_dual_sub_f32 v13, v37, v36 :: v_dual_add_f32 v6, v7, v6
	v_sub_f32_e32 v7, v12, v13
	s_delay_alu instid0(VALU_DEP_1) | instskip(NEXT) | instid1(VALU_DEP_1)
	v_add_f32_e32 v6, v6, v7
	v_add_f32_e32 v6, v37, v6
	s_delay_alu instid0(VALU_DEP_1) | instskip(NEXT) | instid1(VALU_DEP_1)
	v_cndmask_b32_e32 v3, v6, v3, vcc_lo
	v_add_f32_e32 v3, v2, v3
.LBB453_338:
	s_or_b32 exec_lo, exec_lo, s1
	s_delay_alu instid0(VALU_DEP_1) | instskip(SKIP_1) | instid1(VALU_DEP_2)
	v_bfe_u32 v2, v3, 16, 1
	v_cmp_o_f32_e32 vcc_lo, v3, v3
	v_add3_u32 v2, v3, v2, 0x7fff
	s_delay_alu instid0(VALU_DEP_1) | instskip(NEXT) | instid1(VALU_DEP_1)
	v_lshrrev_b32_e32 v2, 16, v2
	v_cndmask_b32_e32 v68, 0x7fc0, v2, vcc_lo
	s_delay_alu instid0(VALU_DEP_1) | instskip(NEXT) | instid1(VALU_DEP_1)
	v_lshlrev_b32_e32 v3, 16, v68
	v_max_f32_e32 v2, v3, v3
	s_delay_alu instid0(VALU_DEP_1) | instskip(SKIP_2) | instid1(VALU_DEP_3)
	v_min_f32_e32 v6, v2, v69
	v_max_f32_e32 v2, v2, v69
	v_cmp_u_f32_e32 vcc_lo, v3, v3
	v_cndmask_b32_e32 v6, v6, v3, vcc_lo
	s_delay_alu instid0(VALU_DEP_3) | instskip(NEXT) | instid1(VALU_DEP_2)
	v_cndmask_b32_e32 v2, v2, v3, vcc_lo
	v_cndmask_b32_e64 v6, v6, v34, s13
	s_delay_alu instid0(VALU_DEP_2) | instskip(NEXT) | instid1(VALU_DEP_2)
	v_cndmask_b32_e64 v2, v2, v34, s13
	v_cmp_class_f32_e64 s1, v6, 0x1f8
	s_delay_alu instid0(VALU_DEP_2) | instskip(NEXT) | instid1(VALU_DEP_2)
	v_cmp_neq_f32_e32 vcc_lo, v6, v2
	s_or_b32 s2, vcc_lo, s1
	s_delay_alu instid0(SALU_CYCLE_1)
	s_and_saveexec_b32 s1, s2
	s_cbranch_execz .LBB453_340
; %bb.339:
	v_sub_f32_e32 v3, v6, v2
	s_mov_b32 s2, 0x3e9b6dac
	s_delay_alu instid0(VALU_DEP_1) | instskip(SKIP_1) | instid1(VALU_DEP_2)
	v_mul_f32_e32 v6, 0x3fb8aa3b, v3
	v_cmp_ngt_f32_e32 vcc_lo, 0xc2ce8ed0, v3
	v_fma_f32 v7, 0x3fb8aa3b, v3, -v6
	v_rndne_f32_e32 v12, v6
	s_delay_alu instid0(VALU_DEP_1) | instskip(NEXT) | instid1(VALU_DEP_1)
	v_dual_fmamk_f32 v7, v3, 0x32a5705f, v7 :: v_dual_sub_f32 v6, v6, v12
	v_add_f32_e32 v6, v6, v7
	v_cvt_i32_f32_e32 v7, v12
	s_delay_alu instid0(VALU_DEP_2) | instskip(SKIP_2) | instid1(VALU_DEP_1)
	v_exp_f32_e32 v6, v6
	s_waitcnt_depctr 0xfff
	v_ldexp_f32 v6, v6, v7
	v_cndmask_b32_e32 v6, 0, v6, vcc_lo
	v_cmp_nlt_f32_e32 vcc_lo, 0x42b17218, v3
	s_delay_alu instid0(VALU_DEP_2) | instskip(NEXT) | instid1(VALU_DEP_1)
	v_cndmask_b32_e32 v3, 0x7f800000, v6, vcc_lo
	v_add_f32_e32 v12, 1.0, v3
	s_delay_alu instid0(VALU_DEP_1) | instskip(NEXT) | instid1(VALU_DEP_1)
	v_cvt_f64_f32_e32 v[6:7], v12
	v_frexp_exp_i32_f64_e32 v6, v[6:7]
	v_frexp_mant_f32_e32 v7, v12
	s_delay_alu instid0(VALU_DEP_1) | instskip(SKIP_1) | instid1(VALU_DEP_1)
	v_cmp_gt_f32_e32 vcc_lo, 0x3f2aaaab, v7
	v_add_f32_e32 v7, -1.0, v12
	v_sub_f32_e32 v34, v7, v12
	s_delay_alu instid0(VALU_DEP_1) | instskip(NEXT) | instid1(VALU_DEP_1)
	v_dual_sub_f32 v7, v3, v7 :: v_dual_add_f32 v34, 1.0, v34
	v_add_f32_e32 v7, v7, v34
	v_subrev_co_ci_u32_e32 v6, vcc_lo, 0, v6, vcc_lo
	s_delay_alu instid0(VALU_DEP_1) | instskip(SKIP_1) | instid1(VALU_DEP_2)
	v_sub_nc_u32_e32 v13, 0, v6
	v_cvt_f32_i32_e32 v6, v6
	v_ldexp_f32 v12, v12, v13
	v_ldexp_f32 v7, v7, v13
	s_delay_alu instid0(VALU_DEP_2) | instskip(NEXT) | instid1(VALU_DEP_1)
	v_add_f32_e32 v13, -1.0, v12
	v_dual_add_f32 v35, 1.0, v12 :: v_dual_add_f32 v36, 1.0, v13
	s_delay_alu instid0(VALU_DEP_1) | instskip(SKIP_1) | instid1(VALU_DEP_2)
	v_add_f32_e32 v34, -1.0, v35
	v_cmp_eq_f32_e32 vcc_lo, 0x7f800000, v3
	v_sub_f32_e32 v34, v12, v34
	s_delay_alu instid0(VALU_DEP_4) | instskip(NEXT) | instid1(VALU_DEP_2)
	v_sub_f32_e32 v12, v12, v36
	v_add_f32_e32 v34, v7, v34
	s_delay_alu instid0(VALU_DEP_2) | instskip(NEXT) | instid1(VALU_DEP_1)
	v_add_f32_e32 v7, v7, v12
	v_dual_add_f32 v37, v13, v7 :: v_dual_add_f32 v36, v35, v34
	s_delay_alu instid0(VALU_DEP_1) | instskip(NEXT) | instid1(VALU_DEP_2)
	v_sub_f32_e32 v13, v13, v37
	v_rcp_f32_e32 v12, v36
	v_sub_f32_e32 v35, v35, v36
	s_delay_alu instid0(VALU_DEP_1) | instskip(SKIP_2) | instid1(VALU_DEP_1)
	v_dual_add_f32 v7, v7, v13 :: v_dual_add_f32 v34, v34, v35
	s_waitcnt_depctr 0xfff
	v_mul_f32_e32 v38, v37, v12
	v_mul_f32_e32 v39, v36, v38
	s_delay_alu instid0(VALU_DEP_1) | instskip(NEXT) | instid1(VALU_DEP_1)
	v_fma_f32 v35, v38, v36, -v39
	v_fmac_f32_e32 v35, v38, v34
	s_delay_alu instid0(VALU_DEP_1) | instskip(NEXT) | instid1(VALU_DEP_1)
	v_add_f32_e32 v48, v39, v35
	v_sub_f32_e32 v49, v37, v48
	s_delay_alu instid0(VALU_DEP_1) | instskip(SKIP_1) | instid1(VALU_DEP_2)
	v_sub_f32_e32 v37, v37, v49
	v_sub_f32_e32 v13, v48, v39
	;; [unrolled: 1-line block ×3, first 2 shown]
	s_delay_alu instid0(VALU_DEP_2) | instskip(NEXT) | instid1(VALU_DEP_2)
	v_sub_f32_e32 v13, v13, v35
	v_add_f32_e32 v7, v7, v37
	s_delay_alu instid0(VALU_DEP_1) | instskip(NEXT) | instid1(VALU_DEP_1)
	v_add_f32_e32 v7, v13, v7
	v_add_f32_e32 v13, v49, v7
	s_delay_alu instid0(VALU_DEP_1) | instskip(NEXT) | instid1(VALU_DEP_1)
	v_mul_f32_e32 v35, v12, v13
	v_dual_sub_f32 v48, v49, v13 :: v_dual_mul_f32 v37, v36, v35
	s_delay_alu instid0(VALU_DEP_1) | instskip(NEXT) | instid1(VALU_DEP_2)
	v_add_f32_e32 v7, v7, v48
	v_fma_f32 v36, v35, v36, -v37
	s_delay_alu instid0(VALU_DEP_1) | instskip(NEXT) | instid1(VALU_DEP_1)
	v_fmac_f32_e32 v36, v35, v34
	v_add_f32_e32 v34, v37, v36
	s_delay_alu instid0(VALU_DEP_1) | instskip(SKIP_1) | instid1(VALU_DEP_2)
	v_sub_f32_e32 v39, v13, v34
	v_sub_f32_e32 v37, v34, v37
	;; [unrolled: 1-line block ×3, first 2 shown]
	s_delay_alu instid0(VALU_DEP_1) | instskip(NEXT) | instid1(VALU_DEP_1)
	v_sub_f32_e32 v13, v13, v34
	v_dual_sub_f32 v34, v37, v36 :: v_dual_add_f32 v7, v7, v13
	v_add_f32_e32 v13, v38, v35
	s_delay_alu instid0(VALU_DEP_1) | instskip(NEXT) | instid1(VALU_DEP_1)
	v_dual_add_f32 v7, v34, v7 :: v_dual_sub_f32 v34, v13, v38
	v_add_f32_e32 v7, v39, v7
	s_delay_alu instid0(VALU_DEP_1) | instskip(NEXT) | instid1(VALU_DEP_1)
	v_dual_sub_f32 v34, v35, v34 :: v_dual_mul_f32 v7, v12, v7
	v_add_f32_e32 v7, v34, v7
	s_delay_alu instid0(VALU_DEP_1) | instskip(NEXT) | instid1(VALU_DEP_1)
	v_add_f32_e32 v12, v13, v7
	v_mul_f32_e32 v34, v12, v12
	s_delay_alu instid0(VALU_DEP_1) | instskip(SKIP_2) | instid1(VALU_DEP_3)
	v_fmaak_f32 v35, s2, v34, 0x3ecc95a3
	v_mul_f32_e32 v36, v12, v34
	v_cmp_gt_f32_e64 s2, 0x33800000, |v3|
	v_fmaak_f32 v34, v34, v35, 0x3f2aaada
	v_ldexp_f32 v35, v12, 1
	v_sub_f32_e32 v12, v12, v13
	s_delay_alu instid0(VALU_DEP_4) | instskip(NEXT) | instid1(VALU_DEP_3)
	s_or_b32 vcc_lo, vcc_lo, s2
	v_mul_f32_e32 v34, v36, v34
	s_delay_alu instid0(VALU_DEP_2) | instskip(NEXT) | instid1(VALU_DEP_2)
	v_dual_mul_f32 v36, 0x3f317218, v6 :: v_dual_sub_f32 v7, v7, v12
	v_add_f32_e32 v13, v35, v34
	s_delay_alu instid0(VALU_DEP_2) | instskip(NEXT) | instid1(VALU_DEP_2)
	v_ldexp_f32 v7, v7, 1
	v_sub_f32_e32 v12, v13, v35
	s_delay_alu instid0(VALU_DEP_4) | instskip(NEXT) | instid1(VALU_DEP_2)
	v_fma_f32 v35, 0x3f317218, v6, -v36
	v_sub_f32_e32 v12, v34, v12
	s_delay_alu instid0(VALU_DEP_1) | instskip(NEXT) | instid1(VALU_DEP_1)
	v_dual_fmamk_f32 v6, v6, 0xb102e308, v35 :: v_dual_add_f32 v7, v7, v12
	v_add_f32_e32 v12, v36, v6
	s_delay_alu instid0(VALU_DEP_1) | instskip(NEXT) | instid1(VALU_DEP_1)
	v_sub_f32_e32 v36, v12, v36
	v_sub_f32_e32 v6, v6, v36
	s_delay_alu instid0(VALU_DEP_4) | instskip(NEXT) | instid1(VALU_DEP_1)
	v_add_f32_e32 v34, v13, v7
	v_sub_f32_e32 v13, v34, v13
	s_delay_alu instid0(VALU_DEP_1) | instskip(SKIP_1) | instid1(VALU_DEP_1)
	v_sub_f32_e32 v7, v7, v13
	v_add_f32_e32 v35, v12, v34
	v_sub_f32_e32 v37, v35, v12
	s_delay_alu instid0(VALU_DEP_1) | instskip(NEXT) | instid1(VALU_DEP_4)
	v_sub_f32_e32 v13, v34, v37
	v_add_f32_e32 v34, v6, v7
	v_sub_f32_e32 v38, v35, v37
	s_delay_alu instid0(VALU_DEP_1) | instskip(NEXT) | instid1(VALU_DEP_1)
	v_sub_f32_e32 v12, v12, v38
	v_dual_add_f32 v12, v13, v12 :: v_dual_sub_f32 v13, v34, v6
	s_delay_alu instid0(VALU_DEP_1) | instskip(SKIP_1) | instid1(VALU_DEP_2)
	v_dual_add_f32 v12, v34, v12 :: v_dual_sub_f32 v7, v7, v13
	v_sub_f32_e32 v34, v34, v13
	v_add_f32_e32 v36, v35, v12
	s_delay_alu instid0(VALU_DEP_1) | instskip(NEXT) | instid1(VALU_DEP_1)
	v_dual_sub_f32 v6, v6, v34 :: v_dual_sub_f32 v13, v36, v35
	v_dual_add_f32 v6, v7, v6 :: v_dual_sub_f32 v7, v12, v13
	s_delay_alu instid0(VALU_DEP_1) | instskip(NEXT) | instid1(VALU_DEP_1)
	v_add_f32_e32 v6, v6, v7
	v_add_f32_e32 v6, v36, v6
	s_delay_alu instid0(VALU_DEP_1) | instskip(NEXT) | instid1(VALU_DEP_1)
	v_cndmask_b32_e32 v3, v6, v3, vcc_lo
	v_add_f32_e32 v3, v2, v3
.LBB453_340:
	s_or_b32 exec_lo, exec_lo, s1
	s_delay_alu instid0(VALU_DEP_1) | instskip(SKIP_1) | instid1(VALU_DEP_2)
	v_bfe_u32 v2, v3, 16, 1
	v_cmp_o_f32_e32 vcc_lo, v3, v3
	v_add3_u32 v2, v3, v2, 0x7fff
	s_delay_alu instid0(VALU_DEP_1) | instskip(NEXT) | instid1(VALU_DEP_1)
	v_lshrrev_b32_e32 v2, 16, v2
	v_cndmask_b32_e32 v69, 0x7fc0, v2, vcc_lo
	s_delay_alu instid0(VALU_DEP_1) | instskip(NEXT) | instid1(VALU_DEP_1)
	v_lshlrev_b32_e32 v3, 16, v69
	v_max_f32_e32 v2, v3, v3
	s_delay_alu instid0(VALU_DEP_1) | instskip(SKIP_2) | instid1(VALU_DEP_3)
	v_min_f32_e32 v6, v2, v70
	v_max_f32_e32 v2, v2, v70
	v_cmp_u_f32_e32 vcc_lo, v3, v3
	v_cndmask_b32_e32 v6, v6, v3, vcc_lo
	s_delay_alu instid0(VALU_DEP_3) | instskip(NEXT) | instid1(VALU_DEP_2)
	v_cndmask_b32_e32 v2, v2, v3, vcc_lo
	v_cndmask_b32_e64 v6, v6, v33, s14
	s_delay_alu instid0(VALU_DEP_2) | instskip(NEXT) | instid1(VALU_DEP_2)
	v_cndmask_b32_e64 v2, v2, v33, s14
	v_cmp_class_f32_e64 s1, v6, 0x1f8
	s_delay_alu instid0(VALU_DEP_2) | instskip(NEXT) | instid1(VALU_DEP_2)
	v_cmp_neq_f32_e32 vcc_lo, v6, v2
	s_or_b32 s2, vcc_lo, s1
	s_delay_alu instid0(SALU_CYCLE_1)
	s_and_saveexec_b32 s1, s2
	s_cbranch_execz .LBB453_342
; %bb.341:
	v_sub_f32_e32 v3, v6, v2
	s_mov_b32 s2, 0x3e9b6dac
	s_delay_alu instid0(VALU_DEP_1) | instskip(SKIP_1) | instid1(VALU_DEP_2)
	v_mul_f32_e32 v6, 0x3fb8aa3b, v3
	v_cmp_ngt_f32_e32 vcc_lo, 0xc2ce8ed0, v3
	v_fma_f32 v7, 0x3fb8aa3b, v3, -v6
	v_rndne_f32_e32 v12, v6
	s_delay_alu instid0(VALU_DEP_1) | instskip(NEXT) | instid1(VALU_DEP_1)
	v_dual_fmamk_f32 v7, v3, 0x32a5705f, v7 :: v_dual_sub_f32 v6, v6, v12
	v_add_f32_e32 v6, v6, v7
	v_cvt_i32_f32_e32 v7, v12
	s_delay_alu instid0(VALU_DEP_2) | instskip(SKIP_2) | instid1(VALU_DEP_1)
	v_exp_f32_e32 v6, v6
	s_waitcnt_depctr 0xfff
	v_ldexp_f32 v6, v6, v7
	v_cndmask_b32_e32 v6, 0, v6, vcc_lo
	v_cmp_nlt_f32_e32 vcc_lo, 0x42b17218, v3
	s_delay_alu instid0(VALU_DEP_2) | instskip(NEXT) | instid1(VALU_DEP_1)
	v_cndmask_b32_e32 v3, 0x7f800000, v6, vcc_lo
	v_add_f32_e32 v12, 1.0, v3
	s_delay_alu instid0(VALU_DEP_1) | instskip(NEXT) | instid1(VALU_DEP_1)
	v_cvt_f64_f32_e32 v[6:7], v12
	v_frexp_exp_i32_f64_e32 v6, v[6:7]
	v_frexp_mant_f32_e32 v7, v12
	s_delay_alu instid0(VALU_DEP_1) | instskip(SKIP_1) | instid1(VALU_DEP_1)
	v_cmp_gt_f32_e32 vcc_lo, 0x3f2aaaab, v7
	v_add_f32_e32 v7, -1.0, v12
	v_sub_f32_e32 v33, v7, v12
	v_sub_f32_e32 v7, v3, v7
	s_delay_alu instid0(VALU_DEP_2) | instskip(SKIP_1) | instid1(VALU_DEP_1)
	v_add_f32_e32 v33, 1.0, v33
	v_subrev_co_ci_u32_e32 v6, vcc_lo, 0, v6, vcc_lo
	v_sub_nc_u32_e32 v13, 0, v6
	v_cvt_f32_i32_e32 v6, v6
	s_delay_alu instid0(VALU_DEP_2) | instskip(NEXT) | instid1(VALU_DEP_1)
	v_ldexp_f32 v12, v12, v13
	v_dual_add_f32 v34, 1.0, v12 :: v_dual_add_f32 v7, v7, v33
	s_delay_alu instid0(VALU_DEP_1) | instskip(SKIP_1) | instid1(VALU_DEP_3)
	v_ldexp_f32 v7, v7, v13
	v_add_f32_e32 v13, -1.0, v12
	v_add_f32_e32 v33, -1.0, v34
	s_delay_alu instid0(VALU_DEP_2) | instskip(NEXT) | instid1(VALU_DEP_2)
	v_add_f32_e32 v35, 1.0, v13
	v_sub_f32_e32 v33, v12, v33
	s_delay_alu instid0(VALU_DEP_1) | instskip(SKIP_1) | instid1(VALU_DEP_2)
	v_dual_sub_f32 v12, v12, v35 :: v_dual_add_f32 v33, v7, v33
	v_cmp_eq_f32_e32 vcc_lo, 0x7f800000, v3
	v_add_f32_e32 v35, v34, v33
	s_delay_alu instid0(VALU_DEP_1) | instskip(NEXT) | instid1(VALU_DEP_1)
	v_sub_f32_e32 v34, v34, v35
	v_add_f32_e32 v33, v33, v34
	v_add_f32_e32 v7, v7, v12
	v_rcp_f32_e32 v12, v35
	s_delay_alu instid0(VALU_DEP_1) | instskip(SKIP_2) | instid1(VALU_DEP_1)
	v_add_f32_e32 v36, v13, v7
	s_waitcnt_depctr 0xfff
	v_mul_f32_e32 v37, v36, v12
	v_dual_mul_f32 v38, v35, v37 :: v_dual_sub_f32 v13, v13, v36
	s_delay_alu instid0(VALU_DEP_1) | instskip(NEXT) | instid1(VALU_DEP_1)
	v_fma_f32 v34, v37, v35, -v38
	v_fmac_f32_e32 v34, v37, v33
	s_delay_alu instid0(VALU_DEP_3) | instskip(NEXT) | instid1(VALU_DEP_2)
	v_add_f32_e32 v7, v7, v13
	v_add_f32_e32 v39, v38, v34
	s_delay_alu instid0(VALU_DEP_1) | instskip(NEXT) | instid1(VALU_DEP_1)
	v_dual_sub_f32 v48, v36, v39 :: v_dual_sub_f32 v13, v39, v38
	v_dual_sub_f32 v36, v36, v48 :: v_dual_sub_f32 v13, v13, v34
	s_delay_alu instid0(VALU_DEP_1) | instskip(NEXT) | instid1(VALU_DEP_1)
	v_sub_f32_e32 v36, v36, v39
	v_add_f32_e32 v7, v7, v36
	s_delay_alu instid0(VALU_DEP_1) | instskip(NEXT) | instid1(VALU_DEP_1)
	v_add_f32_e32 v7, v13, v7
	v_add_f32_e32 v13, v48, v7
	s_delay_alu instid0(VALU_DEP_1) | instskip(NEXT) | instid1(VALU_DEP_1)
	v_mul_f32_e32 v34, v12, v13
	v_dual_sub_f32 v39, v48, v13 :: v_dual_mul_f32 v36, v35, v34
	s_delay_alu instid0(VALU_DEP_1) | instskip(NEXT) | instid1(VALU_DEP_2)
	v_add_f32_e32 v7, v7, v39
	v_fma_f32 v35, v34, v35, -v36
	s_delay_alu instid0(VALU_DEP_1) | instskip(NEXT) | instid1(VALU_DEP_1)
	v_fmac_f32_e32 v35, v34, v33
	v_add_f32_e32 v33, v36, v35
	s_delay_alu instid0(VALU_DEP_1) | instskip(SKIP_1) | instid1(VALU_DEP_2)
	v_sub_f32_e32 v38, v13, v33
	v_sub_f32_e32 v36, v33, v36
	;; [unrolled: 1-line block ×3, first 2 shown]
	s_delay_alu instid0(VALU_DEP_1) | instskip(NEXT) | instid1(VALU_DEP_3)
	v_sub_f32_e32 v13, v13, v33
	v_sub_f32_e32 v33, v36, v35
	s_delay_alu instid0(VALU_DEP_2) | instskip(SKIP_1) | instid1(VALU_DEP_2)
	v_add_f32_e32 v7, v7, v13
	v_add_f32_e32 v13, v37, v34
	;; [unrolled: 1-line block ×3, first 2 shown]
	s_delay_alu instid0(VALU_DEP_2) | instskip(NEXT) | instid1(VALU_DEP_2)
	v_sub_f32_e32 v33, v13, v37
	v_add_f32_e32 v7, v38, v7
	s_delay_alu instid0(VALU_DEP_2) | instskip(NEXT) | instid1(VALU_DEP_2)
	v_sub_f32_e32 v33, v34, v33
	v_mul_f32_e32 v7, v12, v7
	s_delay_alu instid0(VALU_DEP_1) | instskip(NEXT) | instid1(VALU_DEP_1)
	v_add_f32_e32 v7, v33, v7
	v_add_f32_e32 v12, v13, v7
	s_delay_alu instid0(VALU_DEP_1) | instskip(NEXT) | instid1(VALU_DEP_1)
	v_mul_f32_e32 v33, v12, v12
	v_fmaak_f32 v34, s2, v33, 0x3ecc95a3
	v_mul_f32_e32 v35, v12, v33
	v_cmp_gt_f32_e64 s2, 0x33800000, |v3|
	s_delay_alu instid0(VALU_DEP_3) | instskip(SKIP_2) | instid1(VALU_DEP_4)
	v_fmaak_f32 v33, v33, v34, 0x3f2aaada
	v_ldexp_f32 v34, v12, 1
	v_sub_f32_e32 v12, v12, v13
	s_or_b32 vcc_lo, vcc_lo, s2
	s_delay_alu instid0(VALU_DEP_3) | instskip(SKIP_1) | instid1(VALU_DEP_3)
	v_mul_f32_e32 v33, v35, v33
	v_mul_f32_e32 v35, 0x3f317218, v6
	v_sub_f32_e32 v7, v7, v12
	s_delay_alu instid0(VALU_DEP_3) | instskip(NEXT) | instid1(VALU_DEP_2)
	v_add_f32_e32 v13, v34, v33
	v_ldexp_f32 v7, v7, 1
	s_delay_alu instid0(VALU_DEP_2) | instskip(SKIP_1) | instid1(VALU_DEP_2)
	v_sub_f32_e32 v12, v13, v34
	v_fma_f32 v34, 0x3f317218, v6, -v35
	v_sub_f32_e32 v12, v33, v12
	s_delay_alu instid0(VALU_DEP_1) | instskip(NEXT) | instid1(VALU_DEP_1)
	v_dual_fmamk_f32 v6, v6, 0xb102e308, v34 :: v_dual_add_f32 v7, v7, v12
	v_dual_add_f32 v12, v35, v6 :: v_dual_add_f32 v33, v13, v7
	s_delay_alu instid0(VALU_DEP_1) | instskip(NEXT) | instid1(VALU_DEP_2)
	v_sub_f32_e32 v35, v12, v35
	v_add_f32_e32 v34, v12, v33
	s_delay_alu instid0(VALU_DEP_2) | instskip(NEXT) | instid1(VALU_DEP_1)
	v_dual_sub_f32 v13, v33, v13 :: v_dual_sub_f32 v6, v6, v35
	v_dual_sub_f32 v36, v34, v12 :: v_dual_sub_f32 v7, v7, v13
	s_delay_alu instid0(VALU_DEP_1) | instskip(SKIP_1) | instid1(VALU_DEP_2)
	v_sub_f32_e32 v37, v34, v36
	v_sub_f32_e32 v13, v33, v36
	v_dual_add_f32 v33, v6, v7 :: v_dual_sub_f32 v12, v12, v37
	s_delay_alu instid0(VALU_DEP_1) | instskip(NEXT) | instid1(VALU_DEP_2)
	v_add_f32_e32 v12, v13, v12
	v_sub_f32_e32 v13, v33, v6
	s_delay_alu instid0(VALU_DEP_2) | instskip(NEXT) | instid1(VALU_DEP_2)
	v_add_f32_e32 v12, v33, v12
	v_sub_f32_e32 v33, v33, v13
	v_sub_f32_e32 v7, v7, v13
	s_delay_alu instid0(VALU_DEP_3) | instskip(NEXT) | instid1(VALU_DEP_1)
	v_add_f32_e32 v35, v34, v12
	v_dual_sub_f32 v6, v6, v33 :: v_dual_sub_f32 v13, v35, v34
	s_delay_alu instid0(VALU_DEP_1) | instskip(NEXT) | instid1(VALU_DEP_1)
	v_dual_add_f32 v6, v7, v6 :: v_dual_sub_f32 v7, v12, v13
	v_add_f32_e32 v6, v6, v7
	s_delay_alu instid0(VALU_DEP_1) | instskip(NEXT) | instid1(VALU_DEP_1)
	v_add_f32_e32 v6, v35, v6
	v_cndmask_b32_e32 v3, v6, v3, vcc_lo
	s_delay_alu instid0(VALU_DEP_1)
	v_add_f32_e32 v3, v2, v3
.LBB453_342:
	s_or_b32 exec_lo, exec_lo, s1
	s_delay_alu instid0(VALU_DEP_1) | instskip(SKIP_1) | instid1(VALU_DEP_2)
	v_bfe_u32 v2, v3, 16, 1
	v_cmp_o_f32_e32 vcc_lo, v3, v3
	v_add3_u32 v2, v3, v2, 0x7fff
	s_delay_alu instid0(VALU_DEP_1) | instskip(NEXT) | instid1(VALU_DEP_1)
	v_lshrrev_b32_e32 v2, 16, v2
	v_cndmask_b32_e32 v70, 0x7fc0, v2, vcc_lo
	s_delay_alu instid0(VALU_DEP_1) | instskip(NEXT) | instid1(VALU_DEP_1)
	v_lshlrev_b32_e32 v3, 16, v70
	v_max_f32_e32 v2, v3, v3
	s_delay_alu instid0(VALU_DEP_1) | instskip(SKIP_2) | instid1(VALU_DEP_3)
	v_min_f32_e32 v6, v2, v71
	v_max_f32_e32 v2, v2, v71
	v_cmp_u_f32_e32 vcc_lo, v3, v3
	v_cndmask_b32_e32 v6, v6, v3, vcc_lo
	s_delay_alu instid0(VALU_DEP_3) | instskip(NEXT) | instid1(VALU_DEP_2)
	v_cndmask_b32_e32 v2, v2, v3, vcc_lo
	v_cndmask_b32_e64 v6, v6, v32, s15
	s_delay_alu instid0(VALU_DEP_2) | instskip(NEXT) | instid1(VALU_DEP_2)
	v_cndmask_b32_e64 v2, v2, v32, s15
	v_cmp_class_f32_e64 s1, v6, 0x1f8
	s_delay_alu instid0(VALU_DEP_2) | instskip(NEXT) | instid1(VALU_DEP_2)
	v_cmp_neq_f32_e32 vcc_lo, v6, v2
	s_or_b32 s2, vcc_lo, s1
	s_delay_alu instid0(SALU_CYCLE_1)
	s_and_saveexec_b32 s1, s2
	s_cbranch_execz .LBB453_344
; %bb.343:
	v_sub_f32_e32 v3, v6, v2
	s_mov_b32 s2, 0x3e9b6dac
	s_delay_alu instid0(VALU_DEP_1) | instskip(SKIP_1) | instid1(VALU_DEP_2)
	v_mul_f32_e32 v6, 0x3fb8aa3b, v3
	v_cmp_ngt_f32_e32 vcc_lo, 0xc2ce8ed0, v3
	v_fma_f32 v7, 0x3fb8aa3b, v3, -v6
	v_rndne_f32_e32 v12, v6
	s_delay_alu instid0(VALU_DEP_1) | instskip(NEXT) | instid1(VALU_DEP_1)
	v_dual_fmamk_f32 v7, v3, 0x32a5705f, v7 :: v_dual_sub_f32 v6, v6, v12
	v_add_f32_e32 v6, v6, v7
	v_cvt_i32_f32_e32 v7, v12
	s_delay_alu instid0(VALU_DEP_2) | instskip(SKIP_2) | instid1(VALU_DEP_1)
	v_exp_f32_e32 v6, v6
	s_waitcnt_depctr 0xfff
	v_ldexp_f32 v6, v6, v7
	v_cndmask_b32_e32 v6, 0, v6, vcc_lo
	v_cmp_nlt_f32_e32 vcc_lo, 0x42b17218, v3
	s_delay_alu instid0(VALU_DEP_2) | instskip(NEXT) | instid1(VALU_DEP_1)
	v_cndmask_b32_e32 v3, 0x7f800000, v6, vcc_lo
	v_add_f32_e32 v12, 1.0, v3
	s_delay_alu instid0(VALU_DEP_1) | instskip(NEXT) | instid1(VALU_DEP_1)
	v_cvt_f64_f32_e32 v[6:7], v12
	v_frexp_exp_i32_f64_e32 v6, v[6:7]
	v_frexp_mant_f32_e32 v7, v12
	s_delay_alu instid0(VALU_DEP_1) | instskip(SKIP_1) | instid1(VALU_DEP_1)
	v_cmp_gt_f32_e32 vcc_lo, 0x3f2aaaab, v7
	v_add_f32_e32 v7, -1.0, v12
	v_sub_f32_e32 v32, v7, v12
	s_delay_alu instid0(VALU_DEP_1) | instskip(NEXT) | instid1(VALU_DEP_1)
	v_dual_add_f32 v32, 1.0, v32 :: v_dual_sub_f32 v7, v3, v7
	v_add_f32_e32 v7, v7, v32
	v_subrev_co_ci_u32_e32 v6, vcc_lo, 0, v6, vcc_lo
	v_cmp_eq_f32_e32 vcc_lo, 0x7f800000, v3
	s_delay_alu instid0(VALU_DEP_2) | instskip(SKIP_1) | instid1(VALU_DEP_2)
	v_sub_nc_u32_e32 v13, 0, v6
	v_cvt_f32_i32_e32 v6, v6
	v_ldexp_f32 v12, v12, v13
	v_ldexp_f32 v7, v7, v13
	s_delay_alu instid0(VALU_DEP_2) | instskip(NEXT) | instid1(VALU_DEP_1)
	v_add_f32_e32 v33, 1.0, v12
	v_dual_add_f32 v13, -1.0, v12 :: v_dual_add_f32 v32, -1.0, v33
	s_delay_alu instid0(VALU_DEP_1) | instskip(NEXT) | instid1(VALU_DEP_2)
	v_add_f32_e32 v34, 1.0, v13
	v_sub_f32_e32 v32, v12, v32
	s_delay_alu instid0(VALU_DEP_2) | instskip(NEXT) | instid1(VALU_DEP_2)
	v_sub_f32_e32 v12, v12, v34
	v_add_f32_e32 v32, v7, v32
	s_delay_alu instid0(VALU_DEP_2) | instskip(NEXT) | instid1(VALU_DEP_1)
	v_add_f32_e32 v7, v7, v12
	v_add_f32_e32 v35, v13, v7
	s_delay_alu instid0(VALU_DEP_3) | instskip(NEXT) | instid1(VALU_DEP_2)
	v_add_f32_e32 v34, v33, v32
	v_sub_f32_e32 v13, v13, v35
	s_delay_alu instid0(VALU_DEP_2) | instskip(SKIP_1) | instid1(VALU_DEP_1)
	v_rcp_f32_e32 v12, v34
	v_sub_f32_e32 v33, v33, v34
	v_add_f32_e32 v32, v32, v33
	s_delay_alu instid0(VALU_DEP_3) | instskip(SKIP_2) | instid1(VALU_DEP_1)
	v_add_f32_e32 v7, v7, v13
	s_waitcnt_depctr 0xfff
	v_mul_f32_e32 v36, v35, v12
	v_mul_f32_e32 v37, v34, v36
	s_delay_alu instid0(VALU_DEP_1) | instskip(NEXT) | instid1(VALU_DEP_1)
	v_fma_f32 v33, v36, v34, -v37
	v_fmac_f32_e32 v33, v36, v32
	s_delay_alu instid0(VALU_DEP_1) | instskip(NEXT) | instid1(VALU_DEP_1)
	v_add_f32_e32 v38, v37, v33
	v_sub_f32_e32 v39, v35, v38
	s_delay_alu instid0(VALU_DEP_1) | instskip(NEXT) | instid1(VALU_DEP_1)
	v_sub_f32_e32 v35, v35, v39
	v_sub_f32_e32 v35, v35, v38
	s_delay_alu instid0(VALU_DEP_1) | instskip(SKIP_1) | instid1(VALU_DEP_1)
	v_add_f32_e32 v7, v7, v35
	v_sub_f32_e32 v13, v38, v37
	v_sub_f32_e32 v13, v13, v33
	s_delay_alu instid0(VALU_DEP_1) | instskip(NEXT) | instid1(VALU_DEP_1)
	v_add_f32_e32 v7, v13, v7
	v_add_f32_e32 v13, v39, v7
	s_delay_alu instid0(VALU_DEP_1) | instskip(SKIP_1) | instid1(VALU_DEP_2)
	v_mul_f32_e32 v33, v12, v13
	v_sub_f32_e32 v38, v39, v13
	v_mul_f32_e32 v35, v34, v33
	s_delay_alu instid0(VALU_DEP_2) | instskip(NEXT) | instid1(VALU_DEP_2)
	v_add_f32_e32 v7, v7, v38
	v_fma_f32 v34, v33, v34, -v35
	s_delay_alu instid0(VALU_DEP_1) | instskip(NEXT) | instid1(VALU_DEP_1)
	v_fmac_f32_e32 v34, v33, v32
	v_add_f32_e32 v32, v35, v34
	s_delay_alu instid0(VALU_DEP_1) | instskip(SKIP_1) | instid1(VALU_DEP_2)
	v_sub_f32_e32 v37, v13, v32
	v_sub_f32_e32 v35, v32, v35
	;; [unrolled: 1-line block ×3, first 2 shown]
	s_delay_alu instid0(VALU_DEP_1) | instskip(NEXT) | instid1(VALU_DEP_1)
	v_dual_sub_f32 v13, v13, v32 :: v_dual_sub_f32 v32, v35, v34
	v_add_f32_e32 v7, v7, v13
	v_add_f32_e32 v13, v36, v33
	s_delay_alu instid0(VALU_DEP_1) | instskip(NEXT) | instid1(VALU_DEP_1)
	v_dual_add_f32 v7, v32, v7 :: v_dual_sub_f32 v32, v13, v36
	v_add_f32_e32 v7, v37, v7
	s_delay_alu instid0(VALU_DEP_1) | instskip(NEXT) | instid1(VALU_DEP_1)
	v_dual_sub_f32 v32, v33, v32 :: v_dual_mul_f32 v7, v12, v7
	v_add_f32_e32 v7, v32, v7
	s_delay_alu instid0(VALU_DEP_1) | instskip(NEXT) | instid1(VALU_DEP_1)
	v_add_f32_e32 v12, v13, v7
	v_mul_f32_e32 v32, v12, v12
	s_delay_alu instid0(VALU_DEP_1) | instskip(SKIP_2) | instid1(VALU_DEP_3)
	v_fmaak_f32 v33, s2, v32, 0x3ecc95a3
	v_mul_f32_e32 v34, v12, v32
	v_cmp_gt_f32_e64 s2, 0x33800000, |v3|
	v_fmaak_f32 v32, v32, v33, 0x3f2aaada
	v_ldexp_f32 v33, v12, 1
	v_sub_f32_e32 v12, v12, v13
	s_delay_alu instid0(VALU_DEP_4) | instskip(NEXT) | instid1(VALU_DEP_3)
	s_or_b32 vcc_lo, vcc_lo, s2
	v_mul_f32_e32 v32, v34, v32
	s_delay_alu instid0(VALU_DEP_2) | instskip(NEXT) | instid1(VALU_DEP_2)
	v_dual_mul_f32 v34, 0x3f317218, v6 :: v_dual_sub_f32 v7, v7, v12
	v_add_f32_e32 v13, v33, v32
	s_delay_alu instid0(VALU_DEP_2) | instskip(NEXT) | instid1(VALU_DEP_2)
	v_ldexp_f32 v7, v7, 1
	v_sub_f32_e32 v12, v13, v33
	s_delay_alu instid0(VALU_DEP_4) | instskip(NEXT) | instid1(VALU_DEP_2)
	v_fma_f32 v33, 0x3f317218, v6, -v34
	v_sub_f32_e32 v12, v32, v12
	s_delay_alu instid0(VALU_DEP_1) | instskip(NEXT) | instid1(VALU_DEP_1)
	v_dual_fmamk_f32 v6, v6, 0xb102e308, v33 :: v_dual_add_f32 v7, v7, v12
	v_add_f32_e32 v12, v34, v6
	s_delay_alu instid0(VALU_DEP_2) | instskip(NEXT) | instid1(VALU_DEP_2)
	v_add_f32_e32 v32, v13, v7
	v_sub_f32_e32 v34, v12, v34
	s_delay_alu instid0(VALU_DEP_2) | instskip(NEXT) | instid1(VALU_DEP_2)
	v_add_f32_e32 v33, v12, v32
	v_dual_sub_f32 v13, v32, v13 :: v_dual_sub_f32 v6, v6, v34
	s_delay_alu instid0(VALU_DEP_2) | instskip(NEXT) | instid1(VALU_DEP_1)
	v_sub_f32_e32 v35, v33, v12
	v_dual_sub_f32 v36, v33, v35 :: v_dual_sub_f32 v7, v7, v13
	v_sub_f32_e32 v13, v32, v35
	s_delay_alu instid0(VALU_DEP_2) | instskip(NEXT) | instid1(VALU_DEP_3)
	v_sub_f32_e32 v12, v12, v36
	v_add_f32_e32 v32, v6, v7
	s_delay_alu instid0(VALU_DEP_1) | instskip(NEXT) | instid1(VALU_DEP_1)
	v_dual_add_f32 v12, v13, v12 :: v_dual_sub_f32 v13, v32, v6
	v_dual_add_f32 v12, v32, v12 :: v_dual_sub_f32 v7, v7, v13
	v_sub_f32_e32 v32, v32, v13
	s_delay_alu instid0(VALU_DEP_1) | instskip(NEXT) | instid1(VALU_DEP_1)
	v_sub_f32_e32 v6, v6, v32
	v_add_f32_e32 v6, v7, v6
	s_delay_alu instid0(VALU_DEP_4) | instskip(NEXT) | instid1(VALU_DEP_1)
	v_add_f32_e32 v34, v33, v12
	v_sub_f32_e32 v13, v34, v33
	s_delay_alu instid0(VALU_DEP_1) | instskip(NEXT) | instid1(VALU_DEP_1)
	v_sub_f32_e32 v7, v12, v13
	v_add_f32_e32 v6, v6, v7
	s_delay_alu instid0(VALU_DEP_1) | instskip(NEXT) | instid1(VALU_DEP_1)
	v_add_f32_e32 v6, v34, v6
	v_cndmask_b32_e32 v3, v6, v3, vcc_lo
	s_delay_alu instid0(VALU_DEP_1)
	v_add_f32_e32 v3, v2, v3
.LBB453_344:
	s_or_b32 exec_lo, exec_lo, s1
	s_delay_alu instid0(VALU_DEP_1) | instskip(SKIP_1) | instid1(VALU_DEP_2)
	v_bfe_u32 v2, v3, 16, 1
	v_cmp_o_f32_e32 vcc_lo, v3, v3
	v_add3_u32 v2, v3, v2, 0x7fff
	s_delay_alu instid0(VALU_DEP_1) | instskip(NEXT) | instid1(VALU_DEP_1)
	v_lshrrev_b32_e32 v2, 16, v2
	v_cndmask_b32_e32 v71, 0x7fc0, v2, vcc_lo
	s_delay_alu instid0(VALU_DEP_1) | instskip(NEXT) | instid1(VALU_DEP_1)
	v_lshlrev_b32_e32 v3, 16, v71
	v_max_f32_e32 v2, v3, v3
	s_delay_alu instid0(VALU_DEP_1) | instskip(SKIP_2) | instid1(VALU_DEP_3)
	v_min_f32_e32 v6, v2, v80
	v_max_f32_e32 v2, v2, v80
	v_cmp_u_f32_e32 vcc_lo, v3, v3
	v_cndmask_b32_e32 v6, v6, v3, vcc_lo
	s_delay_alu instid0(VALU_DEP_3) | instskip(NEXT) | instid1(VALU_DEP_2)
	v_cndmask_b32_e32 v2, v2, v3, vcc_lo
	v_cndmask_b32_e64 v6, v6, v31, s16
	s_delay_alu instid0(VALU_DEP_2) | instskip(NEXT) | instid1(VALU_DEP_2)
	v_cndmask_b32_e64 v2, v2, v31, s16
	v_cmp_class_f32_e64 s1, v6, 0x1f8
	s_delay_alu instid0(VALU_DEP_2) | instskip(NEXT) | instid1(VALU_DEP_2)
	v_cmp_neq_f32_e32 vcc_lo, v6, v2
	s_or_b32 s2, vcc_lo, s1
	s_delay_alu instid0(SALU_CYCLE_1)
	s_and_saveexec_b32 s1, s2
	s_cbranch_execz .LBB453_346
; %bb.345:
	v_sub_f32_e32 v3, v6, v2
	s_mov_b32 s2, 0x3e9b6dac
	s_delay_alu instid0(VALU_DEP_1) | instskip(SKIP_1) | instid1(VALU_DEP_2)
	v_mul_f32_e32 v6, 0x3fb8aa3b, v3
	v_cmp_ngt_f32_e32 vcc_lo, 0xc2ce8ed0, v3
	v_fma_f32 v7, 0x3fb8aa3b, v3, -v6
	v_rndne_f32_e32 v12, v6
	s_delay_alu instid0(VALU_DEP_1) | instskip(NEXT) | instid1(VALU_DEP_1)
	v_dual_fmamk_f32 v7, v3, 0x32a5705f, v7 :: v_dual_sub_f32 v6, v6, v12
	v_add_f32_e32 v6, v6, v7
	v_cvt_i32_f32_e32 v7, v12
	s_delay_alu instid0(VALU_DEP_2) | instskip(SKIP_2) | instid1(VALU_DEP_1)
	v_exp_f32_e32 v6, v6
	s_waitcnt_depctr 0xfff
	v_ldexp_f32 v6, v6, v7
	v_cndmask_b32_e32 v6, 0, v6, vcc_lo
	v_cmp_nlt_f32_e32 vcc_lo, 0x42b17218, v3
	s_delay_alu instid0(VALU_DEP_2) | instskip(NEXT) | instid1(VALU_DEP_1)
	v_cndmask_b32_e32 v3, 0x7f800000, v6, vcc_lo
	v_add_f32_e32 v12, 1.0, v3
	s_delay_alu instid0(VALU_DEP_1) | instskip(NEXT) | instid1(VALU_DEP_1)
	v_cvt_f64_f32_e32 v[6:7], v12
	v_frexp_exp_i32_f64_e32 v6, v[6:7]
	v_frexp_mant_f32_e32 v7, v12
	s_delay_alu instid0(VALU_DEP_1) | instskip(SKIP_1) | instid1(VALU_DEP_1)
	v_cmp_gt_f32_e32 vcc_lo, 0x3f2aaaab, v7
	v_add_f32_e32 v7, -1.0, v12
	v_sub_f32_e32 v31, v7, v12
	v_sub_f32_e32 v7, v3, v7
	v_subrev_co_ci_u32_e32 v6, vcc_lo, 0, v6, vcc_lo
	s_delay_alu instid0(VALU_DEP_1) | instskip(SKIP_1) | instid1(VALU_DEP_2)
	v_sub_nc_u32_e32 v13, 0, v6
	v_cvt_f32_i32_e32 v6, v6
	v_ldexp_f32 v12, v12, v13
	s_delay_alu instid0(VALU_DEP_1) | instskip(NEXT) | instid1(VALU_DEP_1)
	v_dual_add_f32 v32, 1.0, v12 :: v_dual_add_f32 v31, 1.0, v31
	v_add_f32_e32 v7, v7, v31
	s_delay_alu instid0(VALU_DEP_2) | instskip(NEXT) | instid1(VALU_DEP_2)
	v_add_f32_e32 v31, -1.0, v32
	v_ldexp_f32 v7, v7, v13
	v_add_f32_e32 v13, -1.0, v12
	s_delay_alu instid0(VALU_DEP_3) | instskip(NEXT) | instid1(VALU_DEP_2)
	v_sub_f32_e32 v31, v12, v31
	v_add_f32_e32 v33, 1.0, v13
	s_delay_alu instid0(VALU_DEP_1) | instskip(NEXT) | instid1(VALU_DEP_1)
	v_dual_add_f32 v31, v7, v31 :: v_dual_sub_f32 v12, v12, v33
	v_add_f32_e32 v33, v32, v31
	v_cmp_eq_f32_e32 vcc_lo, 0x7f800000, v3
	s_delay_alu instid0(VALU_DEP_3) | instskip(NEXT) | instid1(VALU_DEP_3)
	v_add_f32_e32 v7, v7, v12
	v_rcp_f32_e32 v12, v33
	v_sub_f32_e32 v32, v32, v33
	s_delay_alu instid0(VALU_DEP_1) | instskip(SKIP_2) | instid1(VALU_DEP_1)
	v_dual_add_f32 v34, v13, v7 :: v_dual_add_f32 v31, v31, v32
	s_waitcnt_depctr 0xfff
	v_mul_f32_e32 v35, v34, v12
	v_mul_f32_e32 v36, v33, v35
	v_sub_f32_e32 v13, v13, v34
	s_delay_alu instid0(VALU_DEP_2) | instskip(NEXT) | instid1(VALU_DEP_2)
	v_fma_f32 v32, v35, v33, -v36
	v_add_f32_e32 v7, v7, v13
	s_delay_alu instid0(VALU_DEP_2) | instskip(NEXT) | instid1(VALU_DEP_1)
	v_fmac_f32_e32 v32, v35, v31
	v_add_f32_e32 v37, v36, v32
	s_delay_alu instid0(VALU_DEP_1) | instskip(NEXT) | instid1(VALU_DEP_1)
	v_dual_sub_f32 v38, v34, v37 :: v_dual_sub_f32 v13, v37, v36
	v_dual_sub_f32 v34, v34, v38 :: v_dual_sub_f32 v13, v13, v32
	s_delay_alu instid0(VALU_DEP_1) | instskip(NEXT) | instid1(VALU_DEP_1)
	v_sub_f32_e32 v34, v34, v37
	v_add_f32_e32 v7, v7, v34
	s_delay_alu instid0(VALU_DEP_1) | instskip(NEXT) | instid1(VALU_DEP_1)
	v_add_f32_e32 v7, v13, v7
	v_add_f32_e32 v13, v38, v7
	s_delay_alu instid0(VALU_DEP_1) | instskip(NEXT) | instid1(VALU_DEP_1)
	v_mul_f32_e32 v32, v12, v13
	v_dual_sub_f32 v37, v38, v13 :: v_dual_mul_f32 v34, v33, v32
	s_delay_alu instid0(VALU_DEP_1) | instskip(NEXT) | instid1(VALU_DEP_2)
	v_add_f32_e32 v7, v7, v37
	v_fma_f32 v33, v32, v33, -v34
	s_delay_alu instid0(VALU_DEP_1) | instskip(NEXT) | instid1(VALU_DEP_1)
	v_fmac_f32_e32 v33, v32, v31
	v_add_f32_e32 v31, v34, v33
	s_delay_alu instid0(VALU_DEP_1) | instskip(NEXT) | instid1(VALU_DEP_1)
	v_sub_f32_e32 v36, v13, v31
	v_dual_sub_f32 v34, v31, v34 :: v_dual_sub_f32 v13, v13, v36
	s_delay_alu instid0(VALU_DEP_1) | instskip(NEXT) | instid1(VALU_DEP_2)
	v_sub_f32_e32 v13, v13, v31
	v_sub_f32_e32 v31, v34, v33
	s_delay_alu instid0(VALU_DEP_2) | instskip(SKIP_1) | instid1(VALU_DEP_2)
	v_add_f32_e32 v7, v7, v13
	v_add_f32_e32 v13, v35, v32
	v_add_f32_e32 v7, v31, v7
	s_delay_alu instid0(VALU_DEP_2) | instskip(NEXT) | instid1(VALU_DEP_2)
	v_sub_f32_e32 v31, v13, v35
	v_add_f32_e32 v7, v36, v7
	s_delay_alu instid0(VALU_DEP_2) | instskip(NEXT) | instid1(VALU_DEP_2)
	v_sub_f32_e32 v31, v32, v31
	v_mul_f32_e32 v7, v12, v7
	s_delay_alu instid0(VALU_DEP_1) | instskip(NEXT) | instid1(VALU_DEP_1)
	v_add_f32_e32 v7, v31, v7
	v_add_f32_e32 v12, v13, v7
	s_delay_alu instid0(VALU_DEP_1) | instskip(NEXT) | instid1(VALU_DEP_1)
	v_mul_f32_e32 v31, v12, v12
	v_fmaak_f32 v32, s2, v31, 0x3ecc95a3
	v_mul_f32_e32 v33, v12, v31
	v_cmp_gt_f32_e64 s2, 0x33800000, |v3|
	s_delay_alu instid0(VALU_DEP_3) | instskip(SKIP_2) | instid1(VALU_DEP_4)
	v_fmaak_f32 v31, v31, v32, 0x3f2aaada
	v_ldexp_f32 v32, v12, 1
	v_sub_f32_e32 v12, v12, v13
	s_or_b32 vcc_lo, vcc_lo, s2
	s_delay_alu instid0(VALU_DEP_3) | instskip(SKIP_1) | instid1(VALU_DEP_3)
	v_mul_f32_e32 v31, v33, v31
	v_mul_f32_e32 v33, 0x3f317218, v6
	v_sub_f32_e32 v7, v7, v12
	s_delay_alu instid0(VALU_DEP_3) | instskip(NEXT) | instid1(VALU_DEP_2)
	v_add_f32_e32 v13, v32, v31
	v_ldexp_f32 v7, v7, 1
	s_delay_alu instid0(VALU_DEP_2) | instskip(SKIP_1) | instid1(VALU_DEP_2)
	v_sub_f32_e32 v12, v13, v32
	v_fma_f32 v32, 0x3f317218, v6, -v33
	v_sub_f32_e32 v12, v31, v12
	s_delay_alu instid0(VALU_DEP_1) | instskip(NEXT) | instid1(VALU_DEP_1)
	v_dual_fmamk_f32 v6, v6, 0xb102e308, v32 :: v_dual_add_f32 v7, v7, v12
	v_add_f32_e32 v12, v33, v6
	s_delay_alu instid0(VALU_DEP_2) | instskip(NEXT) | instid1(VALU_DEP_2)
	v_add_f32_e32 v31, v13, v7
	v_sub_f32_e32 v33, v12, v33
	s_delay_alu instid0(VALU_DEP_2) | instskip(NEXT) | instid1(VALU_DEP_2)
	v_dual_add_f32 v32, v12, v31 :: v_dual_sub_f32 v13, v31, v13
	v_sub_f32_e32 v6, v6, v33
	s_delay_alu instid0(VALU_DEP_2) | instskip(NEXT) | instid1(VALU_DEP_1)
	v_dual_sub_f32 v34, v32, v12 :: v_dual_sub_f32 v7, v7, v13
	v_sub_f32_e32 v35, v32, v34
	v_sub_f32_e32 v13, v31, v34
	s_delay_alu instid0(VALU_DEP_3) | instskip(NEXT) | instid1(VALU_DEP_3)
	v_add_f32_e32 v31, v6, v7
	v_sub_f32_e32 v12, v12, v35
	s_delay_alu instid0(VALU_DEP_1) | instskip(NEXT) | instid1(VALU_DEP_1)
	v_dual_add_f32 v12, v13, v12 :: v_dual_sub_f32 v13, v31, v6
	v_add_f32_e32 v12, v31, v12
	s_delay_alu instid0(VALU_DEP_2) | instskip(SKIP_1) | instid1(VALU_DEP_2)
	v_sub_f32_e32 v31, v31, v13
	v_sub_f32_e32 v7, v7, v13
	v_dual_add_f32 v33, v32, v12 :: v_dual_sub_f32 v6, v6, v31
	s_delay_alu instid0(VALU_DEP_1) | instskip(NEXT) | instid1(VALU_DEP_1)
	v_dual_sub_f32 v13, v33, v32 :: v_dual_add_f32 v6, v7, v6
	v_sub_f32_e32 v7, v12, v13
	s_delay_alu instid0(VALU_DEP_1) | instskip(NEXT) | instid1(VALU_DEP_1)
	v_add_f32_e32 v6, v6, v7
	v_add_f32_e32 v6, v33, v6
	s_delay_alu instid0(VALU_DEP_1) | instskip(NEXT) | instid1(VALU_DEP_1)
	v_cndmask_b32_e32 v3, v6, v3, vcc_lo
	v_add_f32_e32 v3, v2, v3
.LBB453_346:
	s_or_b32 exec_lo, exec_lo, s1
	s_delay_alu instid0(VALU_DEP_1) | instskip(SKIP_1) | instid1(VALU_DEP_2)
	v_bfe_u32 v2, v3, 16, 1
	v_cmp_o_f32_e32 vcc_lo, v3, v3
	v_add3_u32 v2, v3, v2, 0x7fff
	s_delay_alu instid0(VALU_DEP_1) | instskip(NEXT) | instid1(VALU_DEP_1)
	v_lshrrev_b32_e32 v2, 16, v2
	v_cndmask_b32_e32 v80, 0x7fc0, v2, vcc_lo
	s_delay_alu instid0(VALU_DEP_1) | instskip(NEXT) | instid1(VALU_DEP_1)
	v_lshlrev_b32_e32 v3, 16, v80
	v_max_f32_e32 v2, v3, v3
	s_delay_alu instid0(VALU_DEP_1) | instskip(SKIP_2) | instid1(VALU_DEP_3)
	v_min_f32_e32 v6, v2, v81
	v_max_f32_e32 v2, v2, v81
	v_cmp_u_f32_e32 vcc_lo, v3, v3
	v_cndmask_b32_e32 v6, v6, v3, vcc_lo
	s_delay_alu instid0(VALU_DEP_3) | instskip(NEXT) | instid1(VALU_DEP_2)
	v_cndmask_b32_e32 v2, v2, v3, vcc_lo
	v_cndmask_b32_e64 v6, v6, v30, s17
	s_delay_alu instid0(VALU_DEP_2) | instskip(NEXT) | instid1(VALU_DEP_2)
	v_cndmask_b32_e64 v2, v2, v30, s17
	v_cmp_class_f32_e64 s1, v6, 0x1f8
	s_delay_alu instid0(VALU_DEP_2) | instskip(NEXT) | instid1(VALU_DEP_2)
	v_cmp_neq_f32_e32 vcc_lo, v6, v2
	s_or_b32 s2, vcc_lo, s1
	s_delay_alu instid0(SALU_CYCLE_1)
	s_and_saveexec_b32 s1, s2
	s_cbranch_execz .LBB453_348
; %bb.347:
	v_sub_f32_e32 v3, v6, v2
	s_mov_b32 s2, 0x3e9b6dac
	s_delay_alu instid0(VALU_DEP_1) | instskip(SKIP_1) | instid1(VALU_DEP_2)
	v_mul_f32_e32 v6, 0x3fb8aa3b, v3
	v_cmp_ngt_f32_e32 vcc_lo, 0xc2ce8ed0, v3
	v_fma_f32 v7, 0x3fb8aa3b, v3, -v6
	v_rndne_f32_e32 v12, v6
	s_delay_alu instid0(VALU_DEP_1) | instskip(NEXT) | instid1(VALU_DEP_1)
	v_dual_fmamk_f32 v7, v3, 0x32a5705f, v7 :: v_dual_sub_f32 v6, v6, v12
	v_add_f32_e32 v6, v6, v7
	v_cvt_i32_f32_e32 v7, v12
	s_delay_alu instid0(VALU_DEP_2) | instskip(SKIP_2) | instid1(VALU_DEP_1)
	v_exp_f32_e32 v6, v6
	s_waitcnt_depctr 0xfff
	v_ldexp_f32 v6, v6, v7
	v_cndmask_b32_e32 v6, 0, v6, vcc_lo
	v_cmp_nlt_f32_e32 vcc_lo, 0x42b17218, v3
	s_delay_alu instid0(VALU_DEP_2) | instskip(NEXT) | instid1(VALU_DEP_1)
	v_cndmask_b32_e32 v3, 0x7f800000, v6, vcc_lo
	v_add_f32_e32 v12, 1.0, v3
	s_delay_alu instid0(VALU_DEP_1) | instskip(NEXT) | instid1(VALU_DEP_1)
	v_cvt_f64_f32_e32 v[6:7], v12
	v_frexp_exp_i32_f64_e32 v6, v[6:7]
	v_frexp_mant_f32_e32 v7, v12
	s_delay_alu instid0(VALU_DEP_1) | instskip(SKIP_1) | instid1(VALU_DEP_1)
	v_cmp_gt_f32_e32 vcc_lo, 0x3f2aaaab, v7
	v_add_f32_e32 v7, -1.0, v12
	v_sub_f32_e32 v30, v7, v12
	s_delay_alu instid0(VALU_DEP_1) | instskip(NEXT) | instid1(VALU_DEP_1)
	v_dual_sub_f32 v7, v3, v7 :: v_dual_add_f32 v30, 1.0, v30
	v_add_f32_e32 v7, v7, v30
	v_subrev_co_ci_u32_e32 v6, vcc_lo, 0, v6, vcc_lo
	s_delay_alu instid0(VALU_DEP_1) | instskip(SKIP_1) | instid1(VALU_DEP_2)
	v_sub_nc_u32_e32 v13, 0, v6
	v_cvt_f32_i32_e32 v6, v6
	v_ldexp_f32 v12, v12, v13
	v_ldexp_f32 v7, v7, v13
	s_delay_alu instid0(VALU_DEP_2) | instskip(NEXT) | instid1(VALU_DEP_1)
	v_add_f32_e32 v13, -1.0, v12
	v_dual_add_f32 v31, 1.0, v12 :: v_dual_add_f32 v32, 1.0, v13
	s_delay_alu instid0(VALU_DEP_1) | instskip(SKIP_1) | instid1(VALU_DEP_2)
	v_add_f32_e32 v30, -1.0, v31
	v_cmp_eq_f32_e32 vcc_lo, 0x7f800000, v3
	v_sub_f32_e32 v30, v12, v30
	s_delay_alu instid0(VALU_DEP_4) | instskip(NEXT) | instid1(VALU_DEP_2)
	v_sub_f32_e32 v12, v12, v32
	v_add_f32_e32 v30, v7, v30
	s_delay_alu instid0(VALU_DEP_2) | instskip(NEXT) | instid1(VALU_DEP_1)
	v_add_f32_e32 v7, v7, v12
	v_dual_add_f32 v33, v13, v7 :: v_dual_add_f32 v32, v31, v30
	s_delay_alu instid0(VALU_DEP_1) | instskip(NEXT) | instid1(VALU_DEP_2)
	v_sub_f32_e32 v13, v13, v33
	v_rcp_f32_e32 v12, v32
	v_sub_f32_e32 v31, v31, v32
	s_delay_alu instid0(VALU_DEP_1) | instskip(SKIP_2) | instid1(VALU_DEP_1)
	v_dual_add_f32 v7, v7, v13 :: v_dual_add_f32 v30, v30, v31
	s_waitcnt_depctr 0xfff
	v_mul_f32_e32 v34, v33, v12
	v_mul_f32_e32 v35, v32, v34
	s_delay_alu instid0(VALU_DEP_1) | instskip(NEXT) | instid1(VALU_DEP_1)
	v_fma_f32 v31, v34, v32, -v35
	v_fmac_f32_e32 v31, v34, v30
	s_delay_alu instid0(VALU_DEP_1) | instskip(NEXT) | instid1(VALU_DEP_1)
	v_add_f32_e32 v36, v35, v31
	v_sub_f32_e32 v37, v33, v36
	s_delay_alu instid0(VALU_DEP_1) | instskip(SKIP_1) | instid1(VALU_DEP_2)
	v_sub_f32_e32 v33, v33, v37
	v_sub_f32_e32 v13, v36, v35
	;; [unrolled: 1-line block ×3, first 2 shown]
	s_delay_alu instid0(VALU_DEP_2) | instskip(NEXT) | instid1(VALU_DEP_2)
	v_sub_f32_e32 v13, v13, v31
	v_add_f32_e32 v7, v7, v33
	s_delay_alu instid0(VALU_DEP_1) | instskip(NEXT) | instid1(VALU_DEP_1)
	v_add_f32_e32 v7, v13, v7
	v_add_f32_e32 v13, v37, v7
	s_delay_alu instid0(VALU_DEP_1) | instskip(NEXT) | instid1(VALU_DEP_1)
	v_mul_f32_e32 v31, v12, v13
	v_dual_sub_f32 v36, v37, v13 :: v_dual_mul_f32 v33, v32, v31
	s_delay_alu instid0(VALU_DEP_1) | instskip(NEXT) | instid1(VALU_DEP_2)
	v_add_f32_e32 v7, v7, v36
	v_fma_f32 v32, v31, v32, -v33
	s_delay_alu instid0(VALU_DEP_1) | instskip(NEXT) | instid1(VALU_DEP_1)
	v_fmac_f32_e32 v32, v31, v30
	v_add_f32_e32 v30, v33, v32
	s_delay_alu instid0(VALU_DEP_1) | instskip(SKIP_1) | instid1(VALU_DEP_2)
	v_sub_f32_e32 v35, v13, v30
	v_sub_f32_e32 v33, v30, v33
	;; [unrolled: 1-line block ×3, first 2 shown]
	s_delay_alu instid0(VALU_DEP_1) | instskip(NEXT) | instid1(VALU_DEP_1)
	v_sub_f32_e32 v13, v13, v30
	v_dual_sub_f32 v30, v33, v32 :: v_dual_add_f32 v7, v7, v13
	v_add_f32_e32 v13, v34, v31
	s_delay_alu instid0(VALU_DEP_1) | instskip(NEXT) | instid1(VALU_DEP_1)
	v_dual_add_f32 v7, v30, v7 :: v_dual_sub_f32 v30, v13, v34
	v_add_f32_e32 v7, v35, v7
	s_delay_alu instid0(VALU_DEP_1) | instskip(NEXT) | instid1(VALU_DEP_1)
	v_dual_sub_f32 v30, v31, v30 :: v_dual_mul_f32 v7, v12, v7
	v_add_f32_e32 v7, v30, v7
	s_delay_alu instid0(VALU_DEP_1) | instskip(NEXT) | instid1(VALU_DEP_1)
	v_add_f32_e32 v12, v13, v7
	v_mul_f32_e32 v30, v12, v12
	s_delay_alu instid0(VALU_DEP_1) | instskip(SKIP_2) | instid1(VALU_DEP_3)
	v_fmaak_f32 v31, s2, v30, 0x3ecc95a3
	v_mul_f32_e32 v32, v12, v30
	v_cmp_gt_f32_e64 s2, 0x33800000, |v3|
	v_fmaak_f32 v30, v30, v31, 0x3f2aaada
	v_ldexp_f32 v31, v12, 1
	v_sub_f32_e32 v12, v12, v13
	s_delay_alu instid0(VALU_DEP_4) | instskip(NEXT) | instid1(VALU_DEP_3)
	s_or_b32 vcc_lo, vcc_lo, s2
	v_mul_f32_e32 v30, v32, v30
	s_delay_alu instid0(VALU_DEP_2) | instskip(NEXT) | instid1(VALU_DEP_2)
	v_dual_mul_f32 v32, 0x3f317218, v6 :: v_dual_sub_f32 v7, v7, v12
	v_add_f32_e32 v13, v31, v30
	s_delay_alu instid0(VALU_DEP_2) | instskip(NEXT) | instid1(VALU_DEP_2)
	v_ldexp_f32 v7, v7, 1
	v_sub_f32_e32 v12, v13, v31
	s_delay_alu instid0(VALU_DEP_4) | instskip(NEXT) | instid1(VALU_DEP_2)
	v_fma_f32 v31, 0x3f317218, v6, -v32
	v_sub_f32_e32 v12, v30, v12
	s_delay_alu instid0(VALU_DEP_1) | instskip(NEXT) | instid1(VALU_DEP_1)
	v_dual_fmamk_f32 v6, v6, 0xb102e308, v31 :: v_dual_add_f32 v7, v7, v12
	v_add_f32_e32 v12, v32, v6
	s_delay_alu instid0(VALU_DEP_1) | instskip(NEXT) | instid1(VALU_DEP_1)
	v_sub_f32_e32 v32, v12, v32
	v_sub_f32_e32 v6, v6, v32
	s_delay_alu instid0(VALU_DEP_4) | instskip(NEXT) | instid1(VALU_DEP_1)
	v_add_f32_e32 v30, v13, v7
	v_sub_f32_e32 v13, v30, v13
	s_delay_alu instid0(VALU_DEP_1) | instskip(SKIP_1) | instid1(VALU_DEP_1)
	v_sub_f32_e32 v7, v7, v13
	v_add_f32_e32 v31, v12, v30
	v_sub_f32_e32 v33, v31, v12
	s_delay_alu instid0(VALU_DEP_1) | instskip(NEXT) | instid1(VALU_DEP_4)
	v_sub_f32_e32 v13, v30, v33
	v_add_f32_e32 v30, v6, v7
	v_sub_f32_e32 v34, v31, v33
	s_delay_alu instid0(VALU_DEP_1) | instskip(NEXT) | instid1(VALU_DEP_1)
	v_sub_f32_e32 v12, v12, v34
	v_dual_add_f32 v12, v13, v12 :: v_dual_sub_f32 v13, v30, v6
	s_delay_alu instid0(VALU_DEP_1) | instskip(SKIP_1) | instid1(VALU_DEP_2)
	v_dual_add_f32 v12, v30, v12 :: v_dual_sub_f32 v7, v7, v13
	v_sub_f32_e32 v30, v30, v13
	v_add_f32_e32 v32, v31, v12
	s_delay_alu instid0(VALU_DEP_1) | instskip(NEXT) | instid1(VALU_DEP_1)
	v_dual_sub_f32 v6, v6, v30 :: v_dual_sub_f32 v13, v32, v31
	v_dual_add_f32 v6, v7, v6 :: v_dual_sub_f32 v7, v12, v13
	s_delay_alu instid0(VALU_DEP_1) | instskip(NEXT) | instid1(VALU_DEP_1)
	v_add_f32_e32 v6, v6, v7
	v_add_f32_e32 v6, v32, v6
	s_delay_alu instid0(VALU_DEP_1) | instskip(NEXT) | instid1(VALU_DEP_1)
	v_cndmask_b32_e32 v3, v6, v3, vcc_lo
	v_add_f32_e32 v3, v2, v3
.LBB453_348:
	s_or_b32 exec_lo, exec_lo, s1
	s_delay_alu instid0(VALU_DEP_1) | instskip(SKIP_1) | instid1(VALU_DEP_2)
	v_bfe_u32 v2, v3, 16, 1
	v_cmp_o_f32_e32 vcc_lo, v3, v3
	v_add3_u32 v2, v3, v2, 0x7fff
	s_delay_alu instid0(VALU_DEP_1) | instskip(NEXT) | instid1(VALU_DEP_1)
	v_lshrrev_b32_e32 v2, 16, v2
	v_cndmask_b32_e32 v81, 0x7fc0, v2, vcc_lo
	s_delay_alu instid0(VALU_DEP_1) | instskip(NEXT) | instid1(VALU_DEP_1)
	v_lshlrev_b32_e32 v3, 16, v81
	v_max_f32_e32 v2, v3, v3
	s_delay_alu instid0(VALU_DEP_1) | instskip(SKIP_2) | instid1(VALU_DEP_3)
	v_min_f32_e32 v6, v2, v82
	v_max_f32_e32 v2, v2, v82
	v_cmp_u_f32_e32 vcc_lo, v3, v3
	v_cndmask_b32_e32 v6, v6, v3, vcc_lo
	s_delay_alu instid0(VALU_DEP_3) | instskip(NEXT) | instid1(VALU_DEP_2)
	v_cndmask_b32_e32 v2, v2, v3, vcc_lo
	v_cndmask_b32_e64 v6, v6, v29, s18
	s_delay_alu instid0(VALU_DEP_2) | instskip(NEXT) | instid1(VALU_DEP_2)
	v_cndmask_b32_e64 v2, v2, v29, s18
	v_cmp_class_f32_e64 s1, v6, 0x1f8
	s_delay_alu instid0(VALU_DEP_2) | instskip(NEXT) | instid1(VALU_DEP_2)
	v_cmp_neq_f32_e32 vcc_lo, v6, v2
	s_or_b32 s2, vcc_lo, s1
	s_delay_alu instid0(SALU_CYCLE_1)
	s_and_saveexec_b32 s1, s2
	s_cbranch_execz .LBB453_350
; %bb.349:
	v_sub_f32_e32 v3, v6, v2
	s_mov_b32 s2, 0x3e9b6dac
	s_delay_alu instid0(VALU_DEP_1) | instskip(SKIP_1) | instid1(VALU_DEP_2)
	v_mul_f32_e32 v6, 0x3fb8aa3b, v3
	v_cmp_ngt_f32_e32 vcc_lo, 0xc2ce8ed0, v3
	v_fma_f32 v7, 0x3fb8aa3b, v3, -v6
	v_rndne_f32_e32 v12, v6
	s_delay_alu instid0(VALU_DEP_1) | instskip(NEXT) | instid1(VALU_DEP_1)
	v_dual_fmamk_f32 v7, v3, 0x32a5705f, v7 :: v_dual_sub_f32 v6, v6, v12
	v_add_f32_e32 v6, v6, v7
	v_cvt_i32_f32_e32 v7, v12
	s_delay_alu instid0(VALU_DEP_2) | instskip(SKIP_2) | instid1(VALU_DEP_1)
	v_exp_f32_e32 v6, v6
	s_waitcnt_depctr 0xfff
	v_ldexp_f32 v6, v6, v7
	v_cndmask_b32_e32 v6, 0, v6, vcc_lo
	v_cmp_nlt_f32_e32 vcc_lo, 0x42b17218, v3
	s_delay_alu instid0(VALU_DEP_2) | instskip(NEXT) | instid1(VALU_DEP_1)
	v_cndmask_b32_e32 v3, 0x7f800000, v6, vcc_lo
	v_add_f32_e32 v12, 1.0, v3
	s_delay_alu instid0(VALU_DEP_1) | instskip(NEXT) | instid1(VALU_DEP_1)
	v_cvt_f64_f32_e32 v[6:7], v12
	v_frexp_exp_i32_f64_e32 v6, v[6:7]
	v_frexp_mant_f32_e32 v7, v12
	s_delay_alu instid0(VALU_DEP_1) | instskip(SKIP_1) | instid1(VALU_DEP_1)
	v_cmp_gt_f32_e32 vcc_lo, 0x3f2aaaab, v7
	v_add_f32_e32 v7, -1.0, v12
	v_sub_f32_e32 v29, v7, v12
	v_sub_f32_e32 v7, v3, v7
	s_delay_alu instid0(VALU_DEP_2) | instskip(SKIP_1) | instid1(VALU_DEP_1)
	v_add_f32_e32 v29, 1.0, v29
	v_subrev_co_ci_u32_e32 v6, vcc_lo, 0, v6, vcc_lo
	v_sub_nc_u32_e32 v13, 0, v6
	v_cvt_f32_i32_e32 v6, v6
	s_delay_alu instid0(VALU_DEP_2) | instskip(NEXT) | instid1(VALU_DEP_1)
	v_ldexp_f32 v12, v12, v13
	v_dual_add_f32 v30, 1.0, v12 :: v_dual_add_f32 v7, v7, v29
	s_delay_alu instid0(VALU_DEP_1) | instskip(SKIP_1) | instid1(VALU_DEP_3)
	v_ldexp_f32 v7, v7, v13
	v_add_f32_e32 v13, -1.0, v12
	v_add_f32_e32 v29, -1.0, v30
	s_delay_alu instid0(VALU_DEP_2) | instskip(NEXT) | instid1(VALU_DEP_2)
	v_add_f32_e32 v31, 1.0, v13
	v_sub_f32_e32 v29, v12, v29
	s_delay_alu instid0(VALU_DEP_1) | instskip(SKIP_1) | instid1(VALU_DEP_2)
	v_dual_sub_f32 v12, v12, v31 :: v_dual_add_f32 v29, v7, v29
	v_cmp_eq_f32_e32 vcc_lo, 0x7f800000, v3
	v_add_f32_e32 v31, v30, v29
	s_delay_alu instid0(VALU_DEP_1) | instskip(NEXT) | instid1(VALU_DEP_1)
	v_sub_f32_e32 v30, v30, v31
	v_add_f32_e32 v29, v29, v30
	v_add_f32_e32 v7, v7, v12
	v_rcp_f32_e32 v12, v31
	s_delay_alu instid0(VALU_DEP_1) | instskip(SKIP_2) | instid1(VALU_DEP_1)
	v_add_f32_e32 v32, v13, v7
	s_waitcnt_depctr 0xfff
	v_mul_f32_e32 v33, v32, v12
	v_dual_mul_f32 v34, v31, v33 :: v_dual_sub_f32 v13, v13, v32
	s_delay_alu instid0(VALU_DEP_1) | instskip(NEXT) | instid1(VALU_DEP_1)
	v_fma_f32 v30, v33, v31, -v34
	v_fmac_f32_e32 v30, v33, v29
	s_delay_alu instid0(VALU_DEP_3) | instskip(NEXT) | instid1(VALU_DEP_2)
	v_add_f32_e32 v7, v7, v13
	v_add_f32_e32 v35, v34, v30
	s_delay_alu instid0(VALU_DEP_1) | instskip(NEXT) | instid1(VALU_DEP_1)
	v_dual_sub_f32 v36, v32, v35 :: v_dual_sub_f32 v13, v35, v34
	v_dual_sub_f32 v32, v32, v36 :: v_dual_sub_f32 v13, v13, v30
	s_delay_alu instid0(VALU_DEP_1) | instskip(NEXT) | instid1(VALU_DEP_1)
	v_sub_f32_e32 v32, v32, v35
	v_add_f32_e32 v7, v7, v32
	s_delay_alu instid0(VALU_DEP_1) | instskip(NEXT) | instid1(VALU_DEP_1)
	v_add_f32_e32 v7, v13, v7
	v_add_f32_e32 v13, v36, v7
	s_delay_alu instid0(VALU_DEP_1) | instskip(NEXT) | instid1(VALU_DEP_1)
	v_mul_f32_e32 v30, v12, v13
	v_dual_sub_f32 v35, v36, v13 :: v_dual_mul_f32 v32, v31, v30
	s_delay_alu instid0(VALU_DEP_1) | instskip(NEXT) | instid1(VALU_DEP_2)
	v_add_f32_e32 v7, v7, v35
	v_fma_f32 v31, v30, v31, -v32
	s_delay_alu instid0(VALU_DEP_1) | instskip(NEXT) | instid1(VALU_DEP_1)
	v_fmac_f32_e32 v31, v30, v29
	v_add_f32_e32 v29, v32, v31
	s_delay_alu instid0(VALU_DEP_1) | instskip(SKIP_1) | instid1(VALU_DEP_2)
	v_sub_f32_e32 v34, v13, v29
	v_sub_f32_e32 v32, v29, v32
	;; [unrolled: 1-line block ×3, first 2 shown]
	s_delay_alu instid0(VALU_DEP_1) | instskip(NEXT) | instid1(VALU_DEP_3)
	v_sub_f32_e32 v13, v13, v29
	v_sub_f32_e32 v29, v32, v31
	s_delay_alu instid0(VALU_DEP_2) | instskip(SKIP_1) | instid1(VALU_DEP_2)
	v_add_f32_e32 v7, v7, v13
	v_add_f32_e32 v13, v33, v30
	;; [unrolled: 1-line block ×3, first 2 shown]
	s_delay_alu instid0(VALU_DEP_2) | instskip(NEXT) | instid1(VALU_DEP_2)
	v_sub_f32_e32 v29, v13, v33
	v_add_f32_e32 v7, v34, v7
	s_delay_alu instid0(VALU_DEP_2) | instskip(NEXT) | instid1(VALU_DEP_2)
	v_sub_f32_e32 v29, v30, v29
	v_mul_f32_e32 v7, v12, v7
	s_delay_alu instid0(VALU_DEP_1) | instskip(NEXT) | instid1(VALU_DEP_1)
	v_add_f32_e32 v7, v29, v7
	v_add_f32_e32 v12, v13, v7
	s_delay_alu instid0(VALU_DEP_1) | instskip(NEXT) | instid1(VALU_DEP_1)
	v_mul_f32_e32 v29, v12, v12
	v_fmaak_f32 v30, s2, v29, 0x3ecc95a3
	v_mul_f32_e32 v31, v12, v29
	v_cmp_gt_f32_e64 s2, 0x33800000, |v3|
	s_delay_alu instid0(VALU_DEP_3) | instskip(SKIP_2) | instid1(VALU_DEP_4)
	v_fmaak_f32 v29, v29, v30, 0x3f2aaada
	v_ldexp_f32 v30, v12, 1
	v_sub_f32_e32 v12, v12, v13
	s_or_b32 vcc_lo, vcc_lo, s2
	s_delay_alu instid0(VALU_DEP_3) | instskip(SKIP_1) | instid1(VALU_DEP_3)
	v_mul_f32_e32 v29, v31, v29
	v_mul_f32_e32 v31, 0x3f317218, v6
	v_sub_f32_e32 v7, v7, v12
	s_delay_alu instid0(VALU_DEP_3) | instskip(NEXT) | instid1(VALU_DEP_2)
	v_add_f32_e32 v13, v30, v29
	v_ldexp_f32 v7, v7, 1
	s_delay_alu instid0(VALU_DEP_2) | instskip(SKIP_1) | instid1(VALU_DEP_2)
	v_sub_f32_e32 v12, v13, v30
	v_fma_f32 v30, 0x3f317218, v6, -v31
	v_sub_f32_e32 v12, v29, v12
	s_delay_alu instid0(VALU_DEP_1) | instskip(NEXT) | instid1(VALU_DEP_1)
	v_dual_fmamk_f32 v6, v6, 0xb102e308, v30 :: v_dual_add_f32 v7, v7, v12
	v_dual_add_f32 v12, v31, v6 :: v_dual_add_f32 v29, v13, v7
	s_delay_alu instid0(VALU_DEP_1) | instskip(NEXT) | instid1(VALU_DEP_2)
	v_sub_f32_e32 v31, v12, v31
	v_add_f32_e32 v30, v12, v29
	s_delay_alu instid0(VALU_DEP_2) | instskip(NEXT) | instid1(VALU_DEP_1)
	v_dual_sub_f32 v13, v29, v13 :: v_dual_sub_f32 v6, v6, v31
	v_dual_sub_f32 v32, v30, v12 :: v_dual_sub_f32 v7, v7, v13
	s_delay_alu instid0(VALU_DEP_1) | instskip(SKIP_1) | instid1(VALU_DEP_2)
	v_sub_f32_e32 v33, v30, v32
	v_sub_f32_e32 v13, v29, v32
	v_dual_add_f32 v29, v6, v7 :: v_dual_sub_f32 v12, v12, v33
	s_delay_alu instid0(VALU_DEP_1) | instskip(NEXT) | instid1(VALU_DEP_2)
	v_add_f32_e32 v12, v13, v12
	v_sub_f32_e32 v13, v29, v6
	s_delay_alu instid0(VALU_DEP_2) | instskip(NEXT) | instid1(VALU_DEP_2)
	v_add_f32_e32 v12, v29, v12
	v_sub_f32_e32 v29, v29, v13
	v_sub_f32_e32 v7, v7, v13
	s_delay_alu instid0(VALU_DEP_3) | instskip(NEXT) | instid1(VALU_DEP_1)
	v_add_f32_e32 v31, v30, v12
	v_dual_sub_f32 v6, v6, v29 :: v_dual_sub_f32 v13, v31, v30
	s_delay_alu instid0(VALU_DEP_1) | instskip(NEXT) | instid1(VALU_DEP_1)
	v_dual_add_f32 v6, v7, v6 :: v_dual_sub_f32 v7, v12, v13
	v_add_f32_e32 v6, v6, v7
	s_delay_alu instid0(VALU_DEP_1) | instskip(NEXT) | instid1(VALU_DEP_1)
	v_add_f32_e32 v6, v31, v6
	v_cndmask_b32_e32 v3, v6, v3, vcc_lo
	s_delay_alu instid0(VALU_DEP_1)
	v_add_f32_e32 v3, v2, v3
.LBB453_350:
	s_or_b32 exec_lo, exec_lo, s1
	s_delay_alu instid0(VALU_DEP_1) | instskip(SKIP_1) | instid1(VALU_DEP_2)
	v_bfe_u32 v2, v3, 16, 1
	v_cmp_o_f32_e32 vcc_lo, v3, v3
	v_add3_u32 v2, v3, v2, 0x7fff
	s_delay_alu instid0(VALU_DEP_1) | instskip(NEXT) | instid1(VALU_DEP_1)
	v_lshrrev_b32_e32 v2, 16, v2
	v_cndmask_b32_e32 v82, 0x7fc0, v2, vcc_lo
	s_delay_alu instid0(VALU_DEP_1) | instskip(NEXT) | instid1(VALU_DEP_1)
	v_lshlrev_b32_e32 v3, 16, v82
	v_max_f32_e32 v2, v3, v3
	s_delay_alu instid0(VALU_DEP_1) | instskip(SKIP_2) | instid1(VALU_DEP_3)
	v_min_f32_e32 v6, v2, v83
	v_max_f32_e32 v2, v2, v83
	v_cmp_u_f32_e32 vcc_lo, v3, v3
	v_cndmask_b32_e32 v6, v6, v3, vcc_lo
	s_delay_alu instid0(VALU_DEP_3) | instskip(NEXT) | instid1(VALU_DEP_2)
	v_cndmask_b32_e32 v2, v2, v3, vcc_lo
	v_cndmask_b32_e64 v6, v6, v28, s19
	s_delay_alu instid0(VALU_DEP_2) | instskip(NEXT) | instid1(VALU_DEP_2)
	v_cndmask_b32_e64 v2, v2, v28, s19
	v_cmp_class_f32_e64 s1, v6, 0x1f8
	s_delay_alu instid0(VALU_DEP_2) | instskip(NEXT) | instid1(VALU_DEP_2)
	v_cmp_neq_f32_e32 vcc_lo, v6, v2
	s_or_b32 s2, vcc_lo, s1
	s_delay_alu instid0(SALU_CYCLE_1)
	s_and_saveexec_b32 s1, s2
	s_cbranch_execz .LBB453_352
; %bb.351:
	v_sub_f32_e32 v3, v6, v2
	s_mov_b32 s2, 0x3e9b6dac
	s_delay_alu instid0(VALU_DEP_1) | instskip(SKIP_1) | instid1(VALU_DEP_2)
	v_mul_f32_e32 v6, 0x3fb8aa3b, v3
	v_cmp_ngt_f32_e32 vcc_lo, 0xc2ce8ed0, v3
	v_fma_f32 v7, 0x3fb8aa3b, v3, -v6
	v_rndne_f32_e32 v12, v6
	s_delay_alu instid0(VALU_DEP_1) | instskip(NEXT) | instid1(VALU_DEP_1)
	v_dual_fmamk_f32 v7, v3, 0x32a5705f, v7 :: v_dual_sub_f32 v6, v6, v12
	v_add_f32_e32 v6, v6, v7
	v_cvt_i32_f32_e32 v7, v12
	s_delay_alu instid0(VALU_DEP_2) | instskip(SKIP_2) | instid1(VALU_DEP_1)
	v_exp_f32_e32 v6, v6
	s_waitcnt_depctr 0xfff
	v_ldexp_f32 v6, v6, v7
	v_cndmask_b32_e32 v6, 0, v6, vcc_lo
	v_cmp_nlt_f32_e32 vcc_lo, 0x42b17218, v3
	s_delay_alu instid0(VALU_DEP_2) | instskip(NEXT) | instid1(VALU_DEP_1)
	v_cndmask_b32_e32 v3, 0x7f800000, v6, vcc_lo
	v_add_f32_e32 v12, 1.0, v3
	s_delay_alu instid0(VALU_DEP_1) | instskip(NEXT) | instid1(VALU_DEP_1)
	v_cvt_f64_f32_e32 v[6:7], v12
	v_frexp_exp_i32_f64_e32 v6, v[6:7]
	v_frexp_mant_f32_e32 v7, v12
	s_delay_alu instid0(VALU_DEP_1) | instskip(SKIP_1) | instid1(VALU_DEP_1)
	v_cmp_gt_f32_e32 vcc_lo, 0x3f2aaaab, v7
	v_add_f32_e32 v7, -1.0, v12
	v_sub_f32_e32 v28, v7, v12
	s_delay_alu instid0(VALU_DEP_1) | instskip(NEXT) | instid1(VALU_DEP_1)
	v_dual_add_f32 v28, 1.0, v28 :: v_dual_sub_f32 v7, v3, v7
	v_add_f32_e32 v7, v7, v28
	v_subrev_co_ci_u32_e32 v6, vcc_lo, 0, v6, vcc_lo
	v_cmp_eq_f32_e32 vcc_lo, 0x7f800000, v3
	s_delay_alu instid0(VALU_DEP_2) | instskip(SKIP_1) | instid1(VALU_DEP_2)
	v_sub_nc_u32_e32 v13, 0, v6
	v_cvt_f32_i32_e32 v6, v6
	v_ldexp_f32 v12, v12, v13
	v_ldexp_f32 v7, v7, v13
	s_delay_alu instid0(VALU_DEP_2) | instskip(NEXT) | instid1(VALU_DEP_1)
	v_add_f32_e32 v29, 1.0, v12
	v_dual_add_f32 v13, -1.0, v12 :: v_dual_add_f32 v28, -1.0, v29
	s_delay_alu instid0(VALU_DEP_1) | instskip(NEXT) | instid1(VALU_DEP_2)
	v_add_f32_e32 v30, 1.0, v13
	v_sub_f32_e32 v28, v12, v28
	s_delay_alu instid0(VALU_DEP_2) | instskip(NEXT) | instid1(VALU_DEP_2)
	v_sub_f32_e32 v12, v12, v30
	v_add_f32_e32 v28, v7, v28
	s_delay_alu instid0(VALU_DEP_2) | instskip(NEXT) | instid1(VALU_DEP_1)
	v_add_f32_e32 v7, v7, v12
	v_add_f32_e32 v31, v13, v7
	s_delay_alu instid0(VALU_DEP_3) | instskip(NEXT) | instid1(VALU_DEP_2)
	v_add_f32_e32 v30, v29, v28
	v_sub_f32_e32 v13, v13, v31
	s_delay_alu instid0(VALU_DEP_2) | instskip(SKIP_1) | instid1(VALU_DEP_1)
	v_rcp_f32_e32 v12, v30
	v_sub_f32_e32 v29, v29, v30
	v_add_f32_e32 v28, v28, v29
	s_delay_alu instid0(VALU_DEP_3) | instskip(SKIP_2) | instid1(VALU_DEP_1)
	v_add_f32_e32 v7, v7, v13
	s_waitcnt_depctr 0xfff
	v_mul_f32_e32 v32, v31, v12
	v_mul_f32_e32 v33, v30, v32
	s_delay_alu instid0(VALU_DEP_1) | instskip(NEXT) | instid1(VALU_DEP_1)
	v_fma_f32 v29, v32, v30, -v33
	v_fmac_f32_e32 v29, v32, v28
	s_delay_alu instid0(VALU_DEP_1) | instskip(NEXT) | instid1(VALU_DEP_1)
	v_add_f32_e32 v34, v33, v29
	v_sub_f32_e32 v35, v31, v34
	s_delay_alu instid0(VALU_DEP_1) | instskip(NEXT) | instid1(VALU_DEP_1)
	v_sub_f32_e32 v31, v31, v35
	v_sub_f32_e32 v31, v31, v34
	s_delay_alu instid0(VALU_DEP_1) | instskip(SKIP_1) | instid1(VALU_DEP_1)
	v_add_f32_e32 v7, v7, v31
	v_sub_f32_e32 v13, v34, v33
	v_sub_f32_e32 v13, v13, v29
	s_delay_alu instid0(VALU_DEP_1) | instskip(NEXT) | instid1(VALU_DEP_1)
	v_add_f32_e32 v7, v13, v7
	v_add_f32_e32 v13, v35, v7
	s_delay_alu instid0(VALU_DEP_1) | instskip(SKIP_1) | instid1(VALU_DEP_2)
	v_mul_f32_e32 v29, v12, v13
	v_sub_f32_e32 v34, v35, v13
	v_mul_f32_e32 v31, v30, v29
	s_delay_alu instid0(VALU_DEP_2) | instskip(NEXT) | instid1(VALU_DEP_2)
	v_add_f32_e32 v7, v7, v34
	v_fma_f32 v30, v29, v30, -v31
	s_delay_alu instid0(VALU_DEP_1) | instskip(NEXT) | instid1(VALU_DEP_1)
	v_fmac_f32_e32 v30, v29, v28
	v_add_f32_e32 v28, v31, v30
	s_delay_alu instid0(VALU_DEP_1) | instskip(SKIP_1) | instid1(VALU_DEP_2)
	v_sub_f32_e32 v33, v13, v28
	v_sub_f32_e32 v31, v28, v31
	;; [unrolled: 1-line block ×3, first 2 shown]
	s_delay_alu instid0(VALU_DEP_1) | instskip(NEXT) | instid1(VALU_DEP_1)
	v_dual_sub_f32 v13, v13, v28 :: v_dual_sub_f32 v28, v31, v30
	v_add_f32_e32 v7, v7, v13
	v_add_f32_e32 v13, v32, v29
	s_delay_alu instid0(VALU_DEP_1) | instskip(NEXT) | instid1(VALU_DEP_1)
	v_dual_add_f32 v7, v28, v7 :: v_dual_sub_f32 v28, v13, v32
	v_add_f32_e32 v7, v33, v7
	s_delay_alu instid0(VALU_DEP_1) | instskip(NEXT) | instid1(VALU_DEP_1)
	v_dual_sub_f32 v28, v29, v28 :: v_dual_mul_f32 v7, v12, v7
	v_add_f32_e32 v7, v28, v7
	s_delay_alu instid0(VALU_DEP_1) | instskip(NEXT) | instid1(VALU_DEP_1)
	v_add_f32_e32 v12, v13, v7
	v_mul_f32_e32 v28, v12, v12
	s_delay_alu instid0(VALU_DEP_1) | instskip(SKIP_2) | instid1(VALU_DEP_3)
	v_fmaak_f32 v29, s2, v28, 0x3ecc95a3
	v_mul_f32_e32 v30, v12, v28
	v_cmp_gt_f32_e64 s2, 0x33800000, |v3|
	v_fmaak_f32 v28, v28, v29, 0x3f2aaada
	v_ldexp_f32 v29, v12, 1
	v_sub_f32_e32 v12, v12, v13
	s_delay_alu instid0(VALU_DEP_4) | instskip(NEXT) | instid1(VALU_DEP_3)
	s_or_b32 vcc_lo, vcc_lo, s2
	v_mul_f32_e32 v28, v30, v28
	s_delay_alu instid0(VALU_DEP_2) | instskip(NEXT) | instid1(VALU_DEP_2)
	v_dual_mul_f32 v30, 0x3f317218, v6 :: v_dual_sub_f32 v7, v7, v12
	v_add_f32_e32 v13, v29, v28
	s_delay_alu instid0(VALU_DEP_2) | instskip(NEXT) | instid1(VALU_DEP_2)
	v_ldexp_f32 v7, v7, 1
	v_sub_f32_e32 v12, v13, v29
	s_delay_alu instid0(VALU_DEP_4) | instskip(NEXT) | instid1(VALU_DEP_2)
	v_fma_f32 v29, 0x3f317218, v6, -v30
	v_sub_f32_e32 v12, v28, v12
	s_delay_alu instid0(VALU_DEP_1) | instskip(NEXT) | instid1(VALU_DEP_1)
	v_dual_fmamk_f32 v6, v6, 0xb102e308, v29 :: v_dual_add_f32 v7, v7, v12
	v_add_f32_e32 v12, v30, v6
	s_delay_alu instid0(VALU_DEP_2) | instskip(NEXT) | instid1(VALU_DEP_2)
	v_add_f32_e32 v28, v13, v7
	v_sub_f32_e32 v30, v12, v30
	s_delay_alu instid0(VALU_DEP_2) | instskip(NEXT) | instid1(VALU_DEP_2)
	v_add_f32_e32 v29, v12, v28
	v_dual_sub_f32 v13, v28, v13 :: v_dual_sub_f32 v6, v6, v30
	s_delay_alu instid0(VALU_DEP_2) | instskip(NEXT) | instid1(VALU_DEP_1)
	v_sub_f32_e32 v31, v29, v12
	v_dual_sub_f32 v32, v29, v31 :: v_dual_sub_f32 v7, v7, v13
	v_sub_f32_e32 v13, v28, v31
	s_delay_alu instid0(VALU_DEP_2) | instskip(NEXT) | instid1(VALU_DEP_3)
	v_sub_f32_e32 v12, v12, v32
	v_add_f32_e32 v28, v6, v7
	s_delay_alu instid0(VALU_DEP_1) | instskip(NEXT) | instid1(VALU_DEP_1)
	v_dual_add_f32 v12, v13, v12 :: v_dual_sub_f32 v13, v28, v6
	v_dual_add_f32 v12, v28, v12 :: v_dual_sub_f32 v7, v7, v13
	v_sub_f32_e32 v28, v28, v13
	s_delay_alu instid0(VALU_DEP_1) | instskip(NEXT) | instid1(VALU_DEP_1)
	v_sub_f32_e32 v6, v6, v28
	v_add_f32_e32 v6, v7, v6
	s_delay_alu instid0(VALU_DEP_4) | instskip(NEXT) | instid1(VALU_DEP_1)
	v_add_f32_e32 v30, v29, v12
	v_sub_f32_e32 v13, v30, v29
	s_delay_alu instid0(VALU_DEP_1) | instskip(NEXT) | instid1(VALU_DEP_1)
	v_sub_f32_e32 v7, v12, v13
	v_add_f32_e32 v6, v6, v7
	s_delay_alu instid0(VALU_DEP_1) | instskip(NEXT) | instid1(VALU_DEP_1)
	v_add_f32_e32 v6, v30, v6
	v_cndmask_b32_e32 v3, v6, v3, vcc_lo
	s_delay_alu instid0(VALU_DEP_1)
	v_add_f32_e32 v3, v2, v3
.LBB453_352:
	s_or_b32 exec_lo, exec_lo, s1
	s_delay_alu instid0(VALU_DEP_1) | instskip(SKIP_1) | instid1(VALU_DEP_2)
	v_bfe_u32 v2, v3, 16, 1
	v_cmp_o_f32_e32 vcc_lo, v3, v3
	v_add3_u32 v2, v3, v2, 0x7fff
	s_delay_alu instid0(VALU_DEP_1) | instskip(NEXT) | instid1(VALU_DEP_1)
	v_lshrrev_b32_e32 v2, 16, v2
	v_cndmask_b32_e32 v83, 0x7fc0, v2, vcc_lo
	s_delay_alu instid0(VALU_DEP_1) | instskip(NEXT) | instid1(VALU_DEP_1)
	v_lshlrev_b32_e32 v3, 16, v83
	v_max_f32_e32 v2, v3, v3
	s_delay_alu instid0(VALU_DEP_1) | instskip(SKIP_2) | instid1(VALU_DEP_3)
	v_min_f32_e32 v6, v2, v84
	v_max_f32_e32 v2, v2, v84
	v_cmp_u_f32_e32 vcc_lo, v3, v3
	v_cndmask_b32_e32 v6, v6, v3, vcc_lo
	s_delay_alu instid0(VALU_DEP_3) | instskip(NEXT) | instid1(VALU_DEP_2)
	v_cndmask_b32_e32 v2, v2, v3, vcc_lo
	v_cndmask_b32_e64 v6, v6, v27, s20
	s_delay_alu instid0(VALU_DEP_2) | instskip(NEXT) | instid1(VALU_DEP_2)
	v_cndmask_b32_e64 v2, v2, v27, s20
	v_cmp_class_f32_e64 s1, v6, 0x1f8
	s_delay_alu instid0(VALU_DEP_2) | instskip(NEXT) | instid1(VALU_DEP_2)
	v_cmp_neq_f32_e32 vcc_lo, v6, v2
	s_or_b32 s2, vcc_lo, s1
	s_delay_alu instid0(SALU_CYCLE_1)
	s_and_saveexec_b32 s1, s2
	s_cbranch_execz .LBB453_354
; %bb.353:
	v_sub_f32_e32 v3, v6, v2
	s_mov_b32 s2, 0x3e9b6dac
	s_delay_alu instid0(VALU_DEP_1) | instskip(SKIP_1) | instid1(VALU_DEP_2)
	v_mul_f32_e32 v6, 0x3fb8aa3b, v3
	v_cmp_ngt_f32_e32 vcc_lo, 0xc2ce8ed0, v3
	v_fma_f32 v7, 0x3fb8aa3b, v3, -v6
	v_rndne_f32_e32 v12, v6
	s_delay_alu instid0(VALU_DEP_1) | instskip(NEXT) | instid1(VALU_DEP_1)
	v_dual_fmamk_f32 v7, v3, 0x32a5705f, v7 :: v_dual_sub_f32 v6, v6, v12
	v_add_f32_e32 v6, v6, v7
	v_cvt_i32_f32_e32 v7, v12
	s_delay_alu instid0(VALU_DEP_2) | instskip(SKIP_2) | instid1(VALU_DEP_1)
	v_exp_f32_e32 v6, v6
	s_waitcnt_depctr 0xfff
	v_ldexp_f32 v6, v6, v7
	v_cndmask_b32_e32 v6, 0, v6, vcc_lo
	v_cmp_nlt_f32_e32 vcc_lo, 0x42b17218, v3
	s_delay_alu instid0(VALU_DEP_2) | instskip(NEXT) | instid1(VALU_DEP_1)
	v_cndmask_b32_e32 v3, 0x7f800000, v6, vcc_lo
	v_add_f32_e32 v12, 1.0, v3
	s_delay_alu instid0(VALU_DEP_1) | instskip(NEXT) | instid1(VALU_DEP_1)
	v_cvt_f64_f32_e32 v[6:7], v12
	v_frexp_exp_i32_f64_e32 v6, v[6:7]
	v_frexp_mant_f32_e32 v7, v12
	s_delay_alu instid0(VALU_DEP_1) | instskip(SKIP_1) | instid1(VALU_DEP_1)
	v_cmp_gt_f32_e32 vcc_lo, 0x3f2aaaab, v7
	v_add_f32_e32 v7, -1.0, v12
	v_sub_f32_e32 v27, v7, v12
	v_sub_f32_e32 v7, v3, v7
	v_subrev_co_ci_u32_e32 v6, vcc_lo, 0, v6, vcc_lo
	s_delay_alu instid0(VALU_DEP_1) | instskip(SKIP_1) | instid1(VALU_DEP_2)
	v_sub_nc_u32_e32 v13, 0, v6
	v_cvt_f32_i32_e32 v6, v6
	v_ldexp_f32 v12, v12, v13
	s_delay_alu instid0(VALU_DEP_1) | instskip(NEXT) | instid1(VALU_DEP_1)
	v_dual_add_f32 v28, 1.0, v12 :: v_dual_add_f32 v27, 1.0, v27
	v_add_f32_e32 v7, v7, v27
	s_delay_alu instid0(VALU_DEP_2) | instskip(NEXT) | instid1(VALU_DEP_2)
	v_add_f32_e32 v27, -1.0, v28
	v_ldexp_f32 v7, v7, v13
	v_add_f32_e32 v13, -1.0, v12
	s_delay_alu instid0(VALU_DEP_3) | instskip(NEXT) | instid1(VALU_DEP_2)
	v_sub_f32_e32 v27, v12, v27
	v_add_f32_e32 v29, 1.0, v13
	s_delay_alu instid0(VALU_DEP_1) | instskip(NEXT) | instid1(VALU_DEP_1)
	v_dual_add_f32 v27, v7, v27 :: v_dual_sub_f32 v12, v12, v29
	v_add_f32_e32 v29, v28, v27
	v_cmp_eq_f32_e32 vcc_lo, 0x7f800000, v3
	s_delay_alu instid0(VALU_DEP_3) | instskip(NEXT) | instid1(VALU_DEP_3)
	v_add_f32_e32 v7, v7, v12
	v_rcp_f32_e32 v12, v29
	v_sub_f32_e32 v28, v28, v29
	s_delay_alu instid0(VALU_DEP_1) | instskip(SKIP_2) | instid1(VALU_DEP_1)
	v_dual_add_f32 v30, v13, v7 :: v_dual_add_f32 v27, v27, v28
	s_waitcnt_depctr 0xfff
	v_mul_f32_e32 v31, v30, v12
	v_mul_f32_e32 v32, v29, v31
	v_sub_f32_e32 v13, v13, v30
	s_delay_alu instid0(VALU_DEP_2) | instskip(NEXT) | instid1(VALU_DEP_2)
	v_fma_f32 v28, v31, v29, -v32
	v_add_f32_e32 v7, v7, v13
	s_delay_alu instid0(VALU_DEP_2) | instskip(NEXT) | instid1(VALU_DEP_1)
	v_fmac_f32_e32 v28, v31, v27
	v_add_f32_e32 v33, v32, v28
	s_delay_alu instid0(VALU_DEP_1) | instskip(NEXT) | instid1(VALU_DEP_1)
	v_dual_sub_f32 v34, v30, v33 :: v_dual_sub_f32 v13, v33, v32
	v_dual_sub_f32 v30, v30, v34 :: v_dual_sub_f32 v13, v13, v28
	s_delay_alu instid0(VALU_DEP_1) | instskip(NEXT) | instid1(VALU_DEP_1)
	v_sub_f32_e32 v30, v30, v33
	v_add_f32_e32 v7, v7, v30
	s_delay_alu instid0(VALU_DEP_1) | instskip(NEXT) | instid1(VALU_DEP_1)
	v_add_f32_e32 v7, v13, v7
	v_add_f32_e32 v13, v34, v7
	s_delay_alu instid0(VALU_DEP_1) | instskip(NEXT) | instid1(VALU_DEP_1)
	v_mul_f32_e32 v28, v12, v13
	v_dual_sub_f32 v33, v34, v13 :: v_dual_mul_f32 v30, v29, v28
	s_delay_alu instid0(VALU_DEP_1) | instskip(NEXT) | instid1(VALU_DEP_2)
	v_add_f32_e32 v7, v7, v33
	v_fma_f32 v29, v28, v29, -v30
	s_delay_alu instid0(VALU_DEP_1) | instskip(NEXT) | instid1(VALU_DEP_1)
	v_fmac_f32_e32 v29, v28, v27
	v_add_f32_e32 v27, v30, v29
	s_delay_alu instid0(VALU_DEP_1) | instskip(NEXT) | instid1(VALU_DEP_1)
	v_sub_f32_e32 v32, v13, v27
	v_dual_sub_f32 v30, v27, v30 :: v_dual_sub_f32 v13, v13, v32
	s_delay_alu instid0(VALU_DEP_1) | instskip(NEXT) | instid1(VALU_DEP_2)
	v_sub_f32_e32 v13, v13, v27
	v_sub_f32_e32 v27, v30, v29
	s_delay_alu instid0(VALU_DEP_2) | instskip(SKIP_1) | instid1(VALU_DEP_2)
	v_add_f32_e32 v7, v7, v13
	v_add_f32_e32 v13, v31, v28
	;; [unrolled: 1-line block ×3, first 2 shown]
	s_delay_alu instid0(VALU_DEP_2) | instskip(NEXT) | instid1(VALU_DEP_2)
	v_sub_f32_e32 v27, v13, v31
	v_add_f32_e32 v7, v32, v7
	s_delay_alu instid0(VALU_DEP_2) | instskip(NEXT) | instid1(VALU_DEP_2)
	v_sub_f32_e32 v27, v28, v27
	v_mul_f32_e32 v7, v12, v7
	s_delay_alu instid0(VALU_DEP_1) | instskip(NEXT) | instid1(VALU_DEP_1)
	v_add_f32_e32 v7, v27, v7
	v_add_f32_e32 v12, v13, v7
	s_delay_alu instid0(VALU_DEP_1) | instskip(NEXT) | instid1(VALU_DEP_1)
	v_mul_f32_e32 v27, v12, v12
	v_fmaak_f32 v28, s2, v27, 0x3ecc95a3
	v_mul_f32_e32 v29, v12, v27
	v_cmp_gt_f32_e64 s2, 0x33800000, |v3|
	s_delay_alu instid0(VALU_DEP_3) | instskip(SKIP_2) | instid1(VALU_DEP_4)
	v_fmaak_f32 v27, v27, v28, 0x3f2aaada
	v_ldexp_f32 v28, v12, 1
	v_sub_f32_e32 v12, v12, v13
	s_or_b32 vcc_lo, vcc_lo, s2
	s_delay_alu instid0(VALU_DEP_3) | instskip(SKIP_1) | instid1(VALU_DEP_3)
	v_mul_f32_e32 v27, v29, v27
	v_mul_f32_e32 v29, 0x3f317218, v6
	v_sub_f32_e32 v7, v7, v12
	s_delay_alu instid0(VALU_DEP_3) | instskip(NEXT) | instid1(VALU_DEP_2)
	v_add_f32_e32 v13, v28, v27
	v_ldexp_f32 v7, v7, 1
	s_delay_alu instid0(VALU_DEP_2) | instskip(SKIP_1) | instid1(VALU_DEP_2)
	v_sub_f32_e32 v12, v13, v28
	v_fma_f32 v28, 0x3f317218, v6, -v29
	v_sub_f32_e32 v12, v27, v12
	s_delay_alu instid0(VALU_DEP_1) | instskip(NEXT) | instid1(VALU_DEP_1)
	v_dual_fmamk_f32 v6, v6, 0xb102e308, v28 :: v_dual_add_f32 v7, v7, v12
	v_add_f32_e32 v12, v29, v6
	s_delay_alu instid0(VALU_DEP_2) | instskip(NEXT) | instid1(VALU_DEP_2)
	v_add_f32_e32 v27, v13, v7
	v_sub_f32_e32 v29, v12, v29
	s_delay_alu instid0(VALU_DEP_2) | instskip(NEXT) | instid1(VALU_DEP_2)
	v_dual_add_f32 v28, v12, v27 :: v_dual_sub_f32 v13, v27, v13
	v_sub_f32_e32 v6, v6, v29
	s_delay_alu instid0(VALU_DEP_2) | instskip(NEXT) | instid1(VALU_DEP_1)
	v_dual_sub_f32 v30, v28, v12 :: v_dual_sub_f32 v7, v7, v13
	v_sub_f32_e32 v31, v28, v30
	v_sub_f32_e32 v13, v27, v30
	s_delay_alu instid0(VALU_DEP_3) | instskip(NEXT) | instid1(VALU_DEP_3)
	v_add_f32_e32 v27, v6, v7
	v_sub_f32_e32 v12, v12, v31
	s_delay_alu instid0(VALU_DEP_1) | instskip(NEXT) | instid1(VALU_DEP_1)
	v_dual_add_f32 v12, v13, v12 :: v_dual_sub_f32 v13, v27, v6
	v_add_f32_e32 v12, v27, v12
	s_delay_alu instid0(VALU_DEP_2) | instskip(SKIP_1) | instid1(VALU_DEP_2)
	v_sub_f32_e32 v27, v27, v13
	v_sub_f32_e32 v7, v7, v13
	v_dual_add_f32 v29, v28, v12 :: v_dual_sub_f32 v6, v6, v27
	s_delay_alu instid0(VALU_DEP_1) | instskip(NEXT) | instid1(VALU_DEP_1)
	v_dual_sub_f32 v13, v29, v28 :: v_dual_add_f32 v6, v7, v6
	v_sub_f32_e32 v7, v12, v13
	s_delay_alu instid0(VALU_DEP_1) | instskip(NEXT) | instid1(VALU_DEP_1)
	v_add_f32_e32 v6, v6, v7
	v_add_f32_e32 v6, v29, v6
	s_delay_alu instid0(VALU_DEP_1) | instskip(NEXT) | instid1(VALU_DEP_1)
	v_cndmask_b32_e32 v3, v6, v3, vcc_lo
	v_add_f32_e32 v3, v2, v3
.LBB453_354:
	s_or_b32 exec_lo, exec_lo, s1
	s_delay_alu instid0(VALU_DEP_1) | instskip(SKIP_1) | instid1(VALU_DEP_2)
	v_bfe_u32 v2, v3, 16, 1
	v_cmp_o_f32_e32 vcc_lo, v3, v3
	v_add3_u32 v2, v3, v2, 0x7fff
	s_delay_alu instid0(VALU_DEP_1) | instskip(NEXT) | instid1(VALU_DEP_1)
	v_lshrrev_b32_e32 v2, 16, v2
	v_cndmask_b32_e32 v84, 0x7fc0, v2, vcc_lo
	s_delay_alu instid0(VALU_DEP_1) | instskip(NEXT) | instid1(VALU_DEP_1)
	v_lshlrev_b32_e32 v3, 16, v84
	v_max_f32_e32 v2, v3, v3
	s_delay_alu instid0(VALU_DEP_1) | instskip(SKIP_2) | instid1(VALU_DEP_3)
	v_min_f32_e32 v6, v2, v85
	v_max_f32_e32 v2, v2, v85
	v_cmp_u_f32_e32 vcc_lo, v3, v3
	v_cndmask_b32_e32 v6, v6, v3, vcc_lo
	s_delay_alu instid0(VALU_DEP_3) | instskip(NEXT) | instid1(VALU_DEP_2)
	v_cndmask_b32_e32 v2, v2, v3, vcc_lo
	v_cndmask_b32_e64 v6, v6, v26, s21
	s_delay_alu instid0(VALU_DEP_2) | instskip(NEXT) | instid1(VALU_DEP_2)
	v_cndmask_b32_e64 v2, v2, v26, s21
	v_cmp_class_f32_e64 s1, v6, 0x1f8
	s_delay_alu instid0(VALU_DEP_2) | instskip(NEXT) | instid1(VALU_DEP_2)
	v_cmp_neq_f32_e32 vcc_lo, v6, v2
	s_or_b32 s2, vcc_lo, s1
	s_delay_alu instid0(SALU_CYCLE_1)
	s_and_saveexec_b32 s1, s2
	s_cbranch_execz .LBB453_356
; %bb.355:
	v_sub_f32_e32 v3, v6, v2
	s_mov_b32 s2, 0x3e9b6dac
	s_delay_alu instid0(VALU_DEP_1) | instskip(SKIP_1) | instid1(VALU_DEP_2)
	v_mul_f32_e32 v6, 0x3fb8aa3b, v3
	v_cmp_ngt_f32_e32 vcc_lo, 0xc2ce8ed0, v3
	v_fma_f32 v7, 0x3fb8aa3b, v3, -v6
	v_rndne_f32_e32 v12, v6
	s_delay_alu instid0(VALU_DEP_1) | instskip(NEXT) | instid1(VALU_DEP_1)
	v_dual_fmamk_f32 v7, v3, 0x32a5705f, v7 :: v_dual_sub_f32 v6, v6, v12
	v_add_f32_e32 v6, v6, v7
	v_cvt_i32_f32_e32 v7, v12
	s_delay_alu instid0(VALU_DEP_2) | instskip(SKIP_2) | instid1(VALU_DEP_1)
	v_exp_f32_e32 v6, v6
	s_waitcnt_depctr 0xfff
	v_ldexp_f32 v6, v6, v7
	v_cndmask_b32_e32 v6, 0, v6, vcc_lo
	v_cmp_nlt_f32_e32 vcc_lo, 0x42b17218, v3
	s_delay_alu instid0(VALU_DEP_2) | instskip(NEXT) | instid1(VALU_DEP_1)
	v_cndmask_b32_e32 v3, 0x7f800000, v6, vcc_lo
	v_add_f32_e32 v12, 1.0, v3
	s_delay_alu instid0(VALU_DEP_1) | instskip(NEXT) | instid1(VALU_DEP_1)
	v_cvt_f64_f32_e32 v[6:7], v12
	v_frexp_exp_i32_f64_e32 v6, v[6:7]
	v_frexp_mant_f32_e32 v7, v12
	s_delay_alu instid0(VALU_DEP_1) | instskip(SKIP_1) | instid1(VALU_DEP_1)
	v_cmp_gt_f32_e32 vcc_lo, 0x3f2aaaab, v7
	v_add_f32_e32 v7, -1.0, v12
	v_sub_f32_e32 v26, v7, v12
	s_delay_alu instid0(VALU_DEP_1) | instskip(NEXT) | instid1(VALU_DEP_1)
	v_dual_sub_f32 v7, v3, v7 :: v_dual_add_f32 v26, 1.0, v26
	v_add_f32_e32 v7, v7, v26
	v_subrev_co_ci_u32_e32 v6, vcc_lo, 0, v6, vcc_lo
	s_delay_alu instid0(VALU_DEP_1) | instskip(SKIP_1) | instid1(VALU_DEP_2)
	v_sub_nc_u32_e32 v13, 0, v6
	v_cvt_f32_i32_e32 v6, v6
	v_ldexp_f32 v12, v12, v13
	v_ldexp_f32 v7, v7, v13
	s_delay_alu instid0(VALU_DEP_2) | instskip(NEXT) | instid1(VALU_DEP_1)
	v_add_f32_e32 v13, -1.0, v12
	v_dual_add_f32 v27, 1.0, v12 :: v_dual_add_f32 v28, 1.0, v13
	s_delay_alu instid0(VALU_DEP_1) | instskip(SKIP_1) | instid1(VALU_DEP_2)
	v_add_f32_e32 v26, -1.0, v27
	v_cmp_eq_f32_e32 vcc_lo, 0x7f800000, v3
	v_sub_f32_e32 v26, v12, v26
	s_delay_alu instid0(VALU_DEP_4) | instskip(NEXT) | instid1(VALU_DEP_2)
	v_sub_f32_e32 v12, v12, v28
	v_add_f32_e32 v26, v7, v26
	s_delay_alu instid0(VALU_DEP_2) | instskip(NEXT) | instid1(VALU_DEP_1)
	v_add_f32_e32 v7, v7, v12
	v_dual_add_f32 v29, v13, v7 :: v_dual_add_f32 v28, v27, v26
	s_delay_alu instid0(VALU_DEP_1) | instskip(NEXT) | instid1(VALU_DEP_2)
	v_sub_f32_e32 v13, v13, v29
	v_rcp_f32_e32 v12, v28
	v_sub_f32_e32 v27, v27, v28
	s_delay_alu instid0(VALU_DEP_1) | instskip(SKIP_2) | instid1(VALU_DEP_1)
	v_dual_add_f32 v7, v7, v13 :: v_dual_add_f32 v26, v26, v27
	s_waitcnt_depctr 0xfff
	v_mul_f32_e32 v30, v29, v12
	v_mul_f32_e32 v31, v28, v30
	s_delay_alu instid0(VALU_DEP_1) | instskip(NEXT) | instid1(VALU_DEP_1)
	v_fma_f32 v27, v30, v28, -v31
	v_fmac_f32_e32 v27, v30, v26
	s_delay_alu instid0(VALU_DEP_1) | instskip(NEXT) | instid1(VALU_DEP_1)
	v_add_f32_e32 v32, v31, v27
	v_sub_f32_e32 v33, v29, v32
	s_delay_alu instid0(VALU_DEP_1) | instskip(SKIP_1) | instid1(VALU_DEP_2)
	v_sub_f32_e32 v29, v29, v33
	v_sub_f32_e32 v13, v32, v31
	;; [unrolled: 1-line block ×3, first 2 shown]
	s_delay_alu instid0(VALU_DEP_2) | instskip(NEXT) | instid1(VALU_DEP_2)
	v_sub_f32_e32 v13, v13, v27
	v_add_f32_e32 v7, v7, v29
	s_delay_alu instid0(VALU_DEP_1) | instskip(NEXT) | instid1(VALU_DEP_1)
	v_add_f32_e32 v7, v13, v7
	v_add_f32_e32 v13, v33, v7
	s_delay_alu instid0(VALU_DEP_1) | instskip(NEXT) | instid1(VALU_DEP_1)
	v_mul_f32_e32 v27, v12, v13
	v_dual_sub_f32 v32, v33, v13 :: v_dual_mul_f32 v29, v28, v27
	s_delay_alu instid0(VALU_DEP_1) | instskip(NEXT) | instid1(VALU_DEP_2)
	v_add_f32_e32 v7, v7, v32
	v_fma_f32 v28, v27, v28, -v29
	s_delay_alu instid0(VALU_DEP_1) | instskip(NEXT) | instid1(VALU_DEP_1)
	v_fmac_f32_e32 v28, v27, v26
	v_add_f32_e32 v26, v29, v28
	s_delay_alu instid0(VALU_DEP_1) | instskip(SKIP_1) | instid1(VALU_DEP_2)
	v_sub_f32_e32 v31, v13, v26
	v_sub_f32_e32 v29, v26, v29
	;; [unrolled: 1-line block ×3, first 2 shown]
	s_delay_alu instid0(VALU_DEP_1) | instskip(NEXT) | instid1(VALU_DEP_1)
	v_sub_f32_e32 v13, v13, v26
	v_dual_sub_f32 v26, v29, v28 :: v_dual_add_f32 v7, v7, v13
	v_add_f32_e32 v13, v30, v27
	s_delay_alu instid0(VALU_DEP_1) | instskip(NEXT) | instid1(VALU_DEP_1)
	v_dual_add_f32 v7, v26, v7 :: v_dual_sub_f32 v26, v13, v30
	v_add_f32_e32 v7, v31, v7
	s_delay_alu instid0(VALU_DEP_1) | instskip(NEXT) | instid1(VALU_DEP_1)
	v_dual_sub_f32 v26, v27, v26 :: v_dual_mul_f32 v7, v12, v7
	v_add_f32_e32 v7, v26, v7
	s_delay_alu instid0(VALU_DEP_1) | instskip(NEXT) | instid1(VALU_DEP_1)
	v_add_f32_e32 v12, v13, v7
	v_mul_f32_e32 v26, v12, v12
	s_delay_alu instid0(VALU_DEP_1) | instskip(SKIP_2) | instid1(VALU_DEP_3)
	v_fmaak_f32 v27, s2, v26, 0x3ecc95a3
	v_mul_f32_e32 v28, v12, v26
	v_cmp_gt_f32_e64 s2, 0x33800000, |v3|
	v_fmaak_f32 v26, v26, v27, 0x3f2aaada
	v_ldexp_f32 v27, v12, 1
	v_sub_f32_e32 v12, v12, v13
	s_delay_alu instid0(VALU_DEP_4) | instskip(NEXT) | instid1(VALU_DEP_3)
	s_or_b32 vcc_lo, vcc_lo, s2
	v_mul_f32_e32 v26, v28, v26
	s_delay_alu instid0(VALU_DEP_2) | instskip(NEXT) | instid1(VALU_DEP_2)
	v_dual_mul_f32 v28, 0x3f317218, v6 :: v_dual_sub_f32 v7, v7, v12
	v_add_f32_e32 v13, v27, v26
	s_delay_alu instid0(VALU_DEP_2) | instskip(NEXT) | instid1(VALU_DEP_2)
	v_ldexp_f32 v7, v7, 1
	v_sub_f32_e32 v12, v13, v27
	s_delay_alu instid0(VALU_DEP_4) | instskip(NEXT) | instid1(VALU_DEP_2)
	v_fma_f32 v27, 0x3f317218, v6, -v28
	v_sub_f32_e32 v12, v26, v12
	s_delay_alu instid0(VALU_DEP_1) | instskip(NEXT) | instid1(VALU_DEP_1)
	v_dual_fmamk_f32 v6, v6, 0xb102e308, v27 :: v_dual_add_f32 v7, v7, v12
	v_add_f32_e32 v12, v28, v6
	s_delay_alu instid0(VALU_DEP_1) | instskip(NEXT) | instid1(VALU_DEP_1)
	v_sub_f32_e32 v28, v12, v28
	v_sub_f32_e32 v6, v6, v28
	s_delay_alu instid0(VALU_DEP_4) | instskip(NEXT) | instid1(VALU_DEP_1)
	v_add_f32_e32 v26, v13, v7
	v_sub_f32_e32 v13, v26, v13
	s_delay_alu instid0(VALU_DEP_1) | instskip(SKIP_1) | instid1(VALU_DEP_1)
	v_sub_f32_e32 v7, v7, v13
	v_add_f32_e32 v27, v12, v26
	v_sub_f32_e32 v29, v27, v12
	s_delay_alu instid0(VALU_DEP_1) | instskip(NEXT) | instid1(VALU_DEP_4)
	v_sub_f32_e32 v13, v26, v29
	v_add_f32_e32 v26, v6, v7
	v_sub_f32_e32 v30, v27, v29
	s_delay_alu instid0(VALU_DEP_1) | instskip(NEXT) | instid1(VALU_DEP_1)
	v_sub_f32_e32 v12, v12, v30
	v_dual_add_f32 v12, v13, v12 :: v_dual_sub_f32 v13, v26, v6
	s_delay_alu instid0(VALU_DEP_1) | instskip(SKIP_1) | instid1(VALU_DEP_2)
	v_dual_add_f32 v12, v26, v12 :: v_dual_sub_f32 v7, v7, v13
	v_sub_f32_e32 v26, v26, v13
	v_add_f32_e32 v28, v27, v12
	s_delay_alu instid0(VALU_DEP_1) | instskip(NEXT) | instid1(VALU_DEP_1)
	v_dual_sub_f32 v6, v6, v26 :: v_dual_sub_f32 v13, v28, v27
	v_dual_add_f32 v6, v7, v6 :: v_dual_sub_f32 v7, v12, v13
	s_delay_alu instid0(VALU_DEP_1) | instskip(NEXT) | instid1(VALU_DEP_1)
	v_add_f32_e32 v6, v6, v7
	v_add_f32_e32 v6, v28, v6
	s_delay_alu instid0(VALU_DEP_1) | instskip(NEXT) | instid1(VALU_DEP_1)
	v_cndmask_b32_e32 v3, v6, v3, vcc_lo
	v_add_f32_e32 v3, v2, v3
.LBB453_356:
	s_or_b32 exec_lo, exec_lo, s1
	s_delay_alu instid0(VALU_DEP_1) | instskip(SKIP_2) | instid1(VALU_DEP_2)
	v_bfe_u32 v2, v3, 16, 1
	v_cmp_o_f32_e32 vcc_lo, v3, v3
	s_mov_b32 s1, exec_lo
	v_add3_u32 v2, v3, v2, 0x7fff
	s_delay_alu instid0(VALU_DEP_1) | instskip(NEXT) | instid1(VALU_DEP_1)
	v_lshrrev_b32_e32 v2, 16, v2
	v_cndmask_b32_e32 v85, 0x7fc0, v2, vcc_lo
	v_cmpx_eq_u32_e32 63, v0
	s_cbranch_execz .LBB453_358
; %bb.357:
	s_delay_alu instid0(VALU_DEP_2) | instskip(NEXT) | instid1(VALU_DEP_1)
	v_and_b32_e32 v2, 0xffff, v85
	v_or_b32_e32 v2, 0x20000, v2
	flat_store_b32 v[14:15], v2 offset:128
.LBB453_358:
	s_or_b32 exec_lo, exec_lo, s1
.LBB453_359:
	v_add_co_u32 v2, vcc_lo, v10, v16
	v_add_co_ci_u32_e32 v3, vcc_lo, v11, v17, vcc_lo
	v_perm_b32 v6, v21, v20, 0x5040100
	s_delay_alu instid0(VALU_DEP_3) | instskip(NEXT) | instid1(VALU_DEP_3)
	v_add_co_u32 v2, vcc_lo, v2, s28
	v_add_co_ci_u32_e32 v3, vcc_lo, s29, v3, vcc_lo
	v_perm_b32 v7, v19, v18, 0x5040100
	v_perm_b32 v10, v144, v135, 0x5040100
	;; [unrolled: 1-line block ×10, first 2 shown]
	s_waitcnt lgkmcnt(0)
	s_waitcnt_vscnt null, 0x0
	s_barrier
	buffer_gl0_inv
	s_and_saveexec_b32 s1, s0
	s_delay_alu instid0(SALU_CYCLE_1)
	s_xor_b32 s0, exec_lo, s1
	s_cbranch_execz .LBB453_361
; %bb.360:
	v_add_co_u32 v0, vcc_lo, v2, v24
	ds_store_2addr_b32 v1, v7, v6 offset1:1
	ds_store_2addr_b32 v1, v11, v10 offset0:2 offset1:3
	ds_store_2addr_b32 v1, v13, v12 offset0:4 offset1:5
	;; [unrolled: 1-line block ×4, first 2 shown]
	ds_store_b32 v1, v18 offset:40
	s_waitcnt lgkmcnt(0)
	s_barrier
	buffer_gl0_inv
	ds_load_u16 v4, v24
	ds_load_u16 v5, v24 offset:128
	ds_load_u16 v6, v24 offset:256
	;; [unrolled: 1-line block ×15, first 2 shown]
	v_add_co_ci_u32_e32 v1, vcc_lo, 0, v3, vcc_lo
	ds_load_u16 v2, v24 offset:2048
	ds_load_u16 v3, v24 offset:2176
	;; [unrolled: 1-line block ×6, first 2 shown]
                                        ; implicit-def: $vgpr25
                                        ; implicit-def: $vgpr24
	s_waitcnt lgkmcnt(21)
	flat_store_b16 v[0:1], v4
	s_waitcnt lgkmcnt(21)
	flat_store_b16 v[0:1], v5 offset:128
	s_waitcnt lgkmcnt(21)
	flat_store_b16 v[0:1], v6 offset:256
	;; [unrolled: 2-line block ×21, first 2 shown]
                                        ; implicit-def: $vgpr2_vgpr3_vgpr4_vgpr5
                                        ; implicit-def: $vgpr6_vgpr7_vgpr8_vgpr9
                                        ; implicit-def: $vgpr0
                                        ; implicit-def: $vgpr1
                                        ; implicit-def: $vgpr22
                                        ; implicit-def: $vgpr23
                                        ; implicit-def: $vgpr2
                                        ; implicit-def: $vgpr3
                                        ; implicit-def: $vgpr6
                                        ; implicit-def: $vgpr7
                                        ; implicit-def: $vgpr10
                                        ; implicit-def: $vgpr11
                                        ; implicit-def: $vgpr12
                                        ; implicit-def: $vgpr13
                                        ; implicit-def: $vgpr14
                                        ; implicit-def: $vgpr15
                                        ; implicit-def: $vgpr16
                                        ; implicit-def: $vgpr17
                                        ; implicit-def: $vgpr18
.LBB453_361:
	s_and_not1_saveexec_b32 s1, s0
	s_cbranch_execz .LBB453_489
; %bb.362:
	ds_store_2addr_b32 v1, v7, v6 offset1:1
	ds_store_2addr_b32 v1, v11, v10 offset0:2 offset1:3
	ds_store_2addr_b32 v1, v13, v12 offset0:4 offset1:5
	;; [unrolled: 1-line block ×4, first 2 shown]
	ds_store_b32 v1, v18 offset:40
	s_waitcnt lgkmcnt(0)
	s_waitcnt_vscnt null, 0x0
	s_barrier
	buffer_gl0_inv
	ds_load_u16 v7, v24
	ds_load_u16 v6, v24 offset:128
	ds_load_u16 v11, v24 offset:256
	;; [unrolled: 1-line block ×21, first 2 shown]
	v_add_co_u32 v2, vcc_lo, v2, v24
	v_mov_b32_e32 v1, 0
	v_add_co_ci_u32_e32 v3, vcc_lo, 0, v3, vcc_lo
	s_mov_b32 s0, exec_lo
	v_cmpx_lt_u32_e64 v0, v22
	s_cbranch_execz .LBB453_364
; %bb.363:
	s_waitcnt lgkmcnt(21)
	flat_store_b16 v[2:3], v7
.LBB453_364:
	s_or_b32 exec_lo, exec_lo, s0
	v_add_nc_u32_e32 v24, 64, v0
	s_mov_b32 s0, exec_lo
	s_delay_alu instid0(VALU_DEP_1)
	v_cmpx_lt_u32_e64 v24, v22
	s_cbranch_execz .LBB453_366
; %bb.365:
	s_waitcnt lgkmcnt(20)
	flat_store_b16 v[2:3], v6 offset:128
.LBB453_366:
	s_or_b32 exec_lo, exec_lo, s0
	v_add_nc_u32_e32 v24, 0x80, v0
	s_mov_b32 s0, exec_lo
	s_delay_alu instid0(VALU_DEP_1)
	v_cmpx_lt_u32_e64 v24, v22
	s_cbranch_execz .LBB453_368
; %bb.367:
	s_waitcnt lgkmcnt(19)
	flat_store_b16 v[2:3], v11 offset:256
.LBB453_368:
	;; [unrolled: 10-line block ×15, first 2 shown]
	s_or_b32 exec_lo, exec_lo, s0
	v_or_b32_e32 v24, 0x400, v0
	s_mov_b32 s0, exec_lo
	s_delay_alu instid0(VALU_DEP_1)
	v_cmpx_lt_u32_e64 v24, v22
	s_cbranch_execz .LBB453_396
; %bb.395:
	s_waitcnt lgkmcnt(5)
	flat_store_b16 v[2:3], v29 offset:2048
.LBB453_396:
	s_or_b32 exec_lo, exec_lo, s0
	v_add_nc_u32_e32 v24, 0x440, v0
	s_mov_b32 s0, exec_lo
	s_delay_alu instid0(VALU_DEP_1)
	v_cmpx_lt_u32_e64 v24, v22
	s_cbranch_execz .LBB453_398
; %bb.397:
	s_waitcnt lgkmcnt(4)
	flat_store_b16 v[2:3], v27 offset:2176
.LBB453_398:
	s_or_b32 exec_lo, exec_lo, s0
	v_add_nc_u32_e32 v24, 0x480, v0
	;; [unrolled: 10-line block ×5, first 2 shown]
	s_mov_b32 s0, exec_lo
	s_delay_alu instid0(VALU_DEP_1)
	v_cmpx_lt_u32_e64 v24, v22
	s_cbranch_execz .LBB453_406
; %bb.405:
	s_waitcnt lgkmcnt(0)
	flat_store_b16 v[2:3], v33 offset:2688
.LBB453_406:
	s_or_b32 exec_lo, exec_lo, s0
	s_delay_alu instid0(SALU_CYCLE_1)
	s_mov_b32 s2, exec_lo
	v_cmpx_lt_u64_e32 1, v[8:9]
	s_cbranch_execz .LBB453_488
; %bb.407:
	s_add_u32 s0, 0, 0x2e8b0a00
	s_addc_u32 s3, 0, 42
	s_mul_hi_u32 s5, s0, 0xffffffea
	s_add_i32 s3, s3, 0xba2e890
	s_sub_i32 s5, s5, s0
	s_mul_i32 s6, s3, 0xffffffea
	s_mul_i32 s4, s0, 0xffffffea
	s_add_i32 s5, s5, s6
	s_mul_hi_u32 s7, s3, s4
	s_mul_i32 s6, s3, s4
	s_mul_i32 s8, s0, s5
	s_mul_hi_u32 s4, s0, s4
	s_mul_hi_u32 s9, s0, s5
	s_add_u32 s4, s4, s8
	s_addc_u32 s8, 0, s9
	s_mul_hi_u32 s9, s3, s5
	s_add_u32 s4, s4, s6
	s_addc_u32 s4, s8, s7
	s_mul_i32 s5, s3, s5
	s_addc_u32 s6, s9, 0
	s_add_u32 s4, s4, s5
	v_add_co_u32 v2, vcc_lo, v22, -1
	v_add_co_u32 v24, s0, s0, s4
	s_addc_u32 s4, 0, s6
	s_cmp_lg_u32 s0, 0
	v_add_co_ci_u32_e32 v3, vcc_lo, -1, v23, vcc_lo
	s_addc_u32 s0, s3, s4
	v_mul_hi_u32 v34, v2, v24
	v_mad_u64_u32 v[8:9], null, v2, s0, 0
	s_delay_alu instid0(VALU_DEP_3) | instskip(NEXT) | instid1(VALU_DEP_2)
	v_mad_u64_u32 v[22:23], null, v3, v24, 0
	v_add_co_u32 v24, vcc_lo, v34, v8
	s_delay_alu instid0(VALU_DEP_3) | instskip(SKIP_1) | instid1(VALU_DEP_3)
	v_add_co_ci_u32_e32 v34, vcc_lo, 0, v9, vcc_lo
	v_mad_u64_u32 v[8:9], null, v3, s0, 0
	v_add_co_u32 v22, vcc_lo, v24, v22
	s_delay_alu instid0(VALU_DEP_3) | instskip(NEXT) | instid1(VALU_DEP_3)
	v_add_co_ci_u32_e32 v22, vcc_lo, v34, v23, vcc_lo
	v_add_co_ci_u32_e32 v9, vcc_lo, 0, v9, vcc_lo
	s_delay_alu instid0(VALU_DEP_2) | instskip(NEXT) | instid1(VALU_DEP_2)
	v_add_co_u32 v24, vcc_lo, v22, v8
	v_add_co_ci_u32_e32 v34, vcc_lo, 0, v9, vcc_lo
	s_delay_alu instid0(VALU_DEP_2) | instskip(SKIP_1) | instid1(VALU_DEP_1)
	v_mad_u64_u32 v[8:9], null, v24, 22, 0
	s_waitcnt lgkmcnt(17)
	v_mad_u64_u32 v[22:23], null, v34, 22, v[9:10]
	s_delay_alu instid0(VALU_DEP_2) | instskip(NEXT) | instid1(VALU_DEP_2)
	v_sub_co_u32 v8, vcc_lo, v2, v8
	v_sub_co_ci_u32_e32 v9, vcc_lo, v3, v22, vcc_lo
	s_delay_alu instid0(VALU_DEP_2) | instskip(NEXT) | instid1(VALU_DEP_2)
	v_sub_co_u32 v22, vcc_lo, v8, 22
	v_subrev_co_ci_u32_e32 v23, vcc_lo, 0, v9, vcc_lo
	s_delay_alu instid0(VALU_DEP_2)
	v_cmp_lt_u32_e32 vcc_lo, 21, v22
	v_cmp_eq_u32_e64 s0, 0, v9
	v_cndmask_b32_e64 v22, 0, -1, vcc_lo
	v_add_co_u32 v35, vcc_lo, v24, 2
	v_add_co_ci_u32_e32 v36, vcc_lo, 0, v34, vcc_lo
	v_cmp_lt_u32_e32 vcc_lo, 21, v8
	v_cndmask_b32_e64 v8, 0, -1, vcc_lo
	v_cmp_eq_u32_e32 vcc_lo, 0, v23
	s_delay_alu instid0(VALU_DEP_2) | instskip(SKIP_3) | instid1(VALU_DEP_3)
	v_cndmask_b32_e64 v8, -1, v8, s0
	v_cndmask_b32_e32 v22, -1, v22, vcc_lo
	v_add_co_u32 v23, vcc_lo, v24, 1
	v_add_co_ci_u32_e32 v37, vcc_lo, 0, v34, vcc_lo
	v_cmp_ne_u32_e32 vcc_lo, 0, v22
	s_delay_alu instid0(VALU_DEP_2) | instskip(SKIP_1) | instid1(VALU_DEP_2)
	v_dual_cndmask_b32 v9, v37, v36 :: v_dual_cndmask_b32 v22, v23, v35
	v_cmp_ne_u32_e32 vcc_lo, 0, v8
	v_dual_cndmask_b32 v9, v34, v9 :: v_dual_cndmask_b32 v8, v24, v22
	s_delay_alu instid0(VALU_DEP_1)
	v_cmp_eq_u64_e32 vcc_lo, v[8:9], v[0:1]
	s_and_b32 exec_lo, exec_lo, vcc_lo
	s_cbranch_execz .LBB453_488
; %bb.408:
	v_mul_hi_u32_u24_e32 v1, 22, v0
	v_sub_co_u32 v0, vcc_lo, v2, v25
	s_mov_b32 s0, 0
	s_mov_b32 s4, 0
	s_delay_alu instid0(VALU_DEP_2) | instskip(SKIP_1) | instid1(VALU_DEP_1)
	v_sub_co_ci_u32_e32 v1, vcc_lo, v3, v1, vcc_lo
	s_mov_b32 s3, exec_lo
	v_cmpx_lt_i64_e32 10, v[0:1]
	s_xor_b32 s3, exec_lo, s3
	s_cbranch_execnz .LBB453_412
; %bb.409:
	s_or_saveexec_b32 s3, s3
	s_mov_b32 s5, 0
	s_xor_b32 exec_lo, exec_lo, s3
	s_cbranch_execnz .LBB453_453
.LBB453_410:
	s_or_b32 exec_lo, exec_lo, s3
	s_and_saveexec_b32 s3, s4
	s_cbranch_execnz .LBB453_464
.LBB453_411:
	s_or_b32 exec_lo, exec_lo, s3
	s_and_saveexec_b32 s3, s0
	s_cbranch_execnz .LBB453_465
	s_branch .LBB453_469
.LBB453_412:
	s_mov_b32 s5, 0
	s_mov_b32 s4, exec_lo
	v_cmpx_lt_i64_e32 15, v[0:1]
	s_xor_b32 s4, exec_lo, s4
	s_cbranch_execz .LBB453_434
; %bb.413:
	s_mov_b32 s6, exec_lo
                                        ; implicit-def: $vgpr16
	v_cmpx_lt_i64_e32 18, v[0:1]
	s_xor_b32 s6, exec_lo, s6
	s_cbranch_execz .LBB453_423
; %bb.414:
	s_mov_b32 s7, 0
	s_mov_b32 s5, exec_lo
                                        ; implicit-def: $vgpr16
	v_cmpx_lt_i64_e32 19, v[0:1]
	s_xor_b32 s5, exec_lo, s5
	s_cbranch_execz .LBB453_420
; %bb.415:
	s_mov_b32 s7, exec_lo
	v_cmpx_lt_i64_e32 20, v[0:1]
	s_xor_b32 s7, exec_lo, s7
	s_cbranch_execz .LBB453_417
; %bb.416:
	s_waitcnt lgkmcnt(0)
	flat_store_b16 v[4:5], v33
                                        ; implicit-def: $vgpr21
.LBB453_417:
	s_or_saveexec_b32 s7, s7
	s_mov_b32 s8, 0
	s_xor_b32 exec_lo, exec_lo, s7
; %bb.418:
	s_delay_alu instid0(SALU_CYCLE_1)
	s_mov_b32 s8, exec_lo
; %bb.419:
	s_or_b32 exec_lo, exec_lo, s7
	s_waitcnt lgkmcnt(1)
	v_mov_b32_e32 v16, v21
	s_and_b32 s7, s8, exec_lo
                                        ; implicit-def: $vgpr32
.LBB453_420:
	s_and_not1_saveexec_b32 s5, s5
	s_cbranch_execz .LBB453_422
; %bb.421:
	s_waitcnt lgkmcnt(2)
	flat_store_b16 v[4:5], v32
                                        ; implicit-def: $vgpr16
.LBB453_422:
	s_or_b32 exec_lo, exec_lo, s5
	s_delay_alu instid0(SALU_CYCLE_1)
	s_and_b32 s5, s7, exec_lo
                                        ; implicit-def: $vgpr29
                                        ; implicit-def: $vgpr27
                                        ; implicit-def: $vgpr31
.LBB453_423:
	s_and_not1_saveexec_b32 s6, s6
	s_cbranch_execz .LBB453_433
; %bb.424:
	s_mov_b32 s7, exec_lo
	v_cmpx_lt_i64_e32 16, v[0:1]
	s_xor_b32 s7, exec_lo, s7
	s_cbranch_execz .LBB453_430
; %bb.425:
	s_mov_b32 s8, exec_lo
	v_cmpx_lt_i64_e32 17, v[0:1]
	s_xor_b32 s8, exec_lo, s8
	s_cbranch_execz .LBB453_427
; %bb.426:
	s_waitcnt lgkmcnt(3)
	flat_store_b16 v[4:5], v31
                                        ; implicit-def: $vgpr27
.LBB453_427:
	s_and_not1_saveexec_b32 s8, s8
	s_cbranch_execz .LBB453_429
; %bb.428:
	s_waitcnt lgkmcnt(4)
	flat_store_b16 v[4:5], v27
.LBB453_429:
	s_or_b32 exec_lo, exec_lo, s8
                                        ; implicit-def: $vgpr29
.LBB453_430:
	s_and_not1_saveexec_b32 s7, s7
	s_cbranch_execz .LBB453_432
; %bb.431:
	s_waitcnt lgkmcnt(5)
	flat_store_b16 v[4:5], v29
.LBB453_432:
	s_or_b32 exec_lo, exec_lo, s7
                                        ; implicit-def: $vgpr16
.LBB453_433:
	s_delay_alu instid0(SALU_CYCLE_1) | instskip(NEXT) | instid1(SALU_CYCLE_1)
	s_or_b32 exec_lo, exec_lo, s6
	s_and_b32 s5, s5, exec_lo
                                        ; implicit-def: $vgpr28
                                        ; implicit-def: $vgpr26
                                        ; implicit-def: $vgpr20
                                        ; implicit-def: $vgpr30
.LBB453_434:
	s_and_not1_saveexec_b32 s4, s4
	s_cbranch_execz .LBB453_452
; %bb.435:
	s_mov_b32 s6, exec_lo
	v_cmpx_lt_i64_e32 12, v[0:1]
	s_xor_b32 s6, exec_lo, s6
	s_cbranch_execz .LBB453_445
; %bb.436:
	s_mov_b32 s7, exec_lo
	v_cmpx_lt_i64_e32 13, v[0:1]
	s_xor_b32 s7, exec_lo, s7
	;; [unrolled: 5-line block ×3, first 2 shown]
	s_cbranch_execz .LBB453_439
; %bb.438:
	s_waitcnt lgkmcnt(6)
	flat_store_b16 v[4:5], v30
                                        ; implicit-def: $vgpr20
.LBB453_439:
	s_and_not1_saveexec_b32 s8, s8
	s_cbranch_execz .LBB453_441
; %bb.440:
	s_waitcnt lgkmcnt(7)
	flat_store_b16 v[4:5], v20
.LBB453_441:
	s_or_b32 exec_lo, exec_lo, s8
                                        ; implicit-def: $vgpr28
.LBB453_442:
	s_and_not1_saveexec_b32 s7, s7
	s_cbranch_execz .LBB453_444
; %bb.443:
	s_waitcnt lgkmcnt(8)
	flat_store_b16 v[4:5], v28
.LBB453_444:
	s_or_b32 exec_lo, exec_lo, s7
                                        ; implicit-def: $vgpr16
                                        ; implicit-def: $vgpr26
.LBB453_445:
	s_or_saveexec_b32 s6, s6
	s_mov_b32 s7, s5
	s_xor_b32 exec_lo, exec_lo, s6
	s_cbranch_execz .LBB453_451
; %bb.446:
	s_mov_b32 s7, exec_lo
	v_cmpx_lt_i64_e32 11, v[0:1]
	s_xor_b32 s7, exec_lo, s7
	s_cbranch_execz .LBB453_448
; %bb.447:
	s_waitcnt lgkmcnt(9)
	flat_store_b16 v[4:5], v26
                                        ; implicit-def: $vgpr16
.LBB453_448:
	s_or_saveexec_b32 s7, s7
	s_mov_b32 s8, s5
	s_xor_b32 exec_lo, exec_lo, s7
; %bb.449:
	s_delay_alu instid0(SALU_CYCLE_1)
	s_or_b32 s8, s5, exec_lo
; %bb.450:
	s_or_b32 exec_lo, exec_lo, s7
	s_delay_alu instid0(SALU_CYCLE_1) | instskip(SKIP_1) | instid1(SALU_CYCLE_1)
	s_and_not1_b32 s7, s5, exec_lo
	s_and_b32 s8, s8, exec_lo
	s_or_b32 s7, s7, s8
.LBB453_451:
	s_or_b32 exec_lo, exec_lo, s6
	s_delay_alu instid0(SALU_CYCLE_1) | instskip(SKIP_1) | instid1(SALU_CYCLE_1)
	s_and_not1_b32 s5, s5, exec_lo
	s_and_b32 s6, s7, exec_lo
	s_or_b32 s5, s5, s6
.LBB453_452:
	s_or_b32 exec_lo, exec_lo, s4
	s_delay_alu instid0(SALU_CYCLE_1)
	s_and_b32 s4, s5, exec_lo
                                        ; implicit-def: $vgpr18
                                        ; implicit-def: $vgpr19
                                        ; implicit-def: $vgpr17
	s_or_saveexec_b32 s3, s3
	s_mov_b32 s5, 0
	s_xor_b32 exec_lo, exec_lo, s3
	s_cbranch_execz .LBB453_410
.LBB453_453:
	s_mov_b32 s6, 0
	s_mov_b32 s5, -1
	s_mov_b32 s7, s4
	s_mov_b32 s0, exec_lo
                                        ; implicit-def: $vgpr16
	v_cmpx_lt_i64_e32 5, v[0:1]
	s_cbranch_execz .LBB453_463
; %bb.454:
	s_mov_b32 s6, -1
	s_mov_b32 s7, s4
	s_mov_b32 s5, exec_lo
	v_cmpx_lt_i64_e32 7, v[0:1]
	s_cbranch_execz .LBB453_462
; %bb.455:
	s_mov_b32 s6, exec_lo
	v_cmpx_lt_i64_e32 8, v[0:1]
	s_cbranch_execz .LBB453_461
; %bb.456:
	s_mov_b32 s7, exec_lo
	v_cmpx_lt_i64_e32 9, v[0:1]
	s_xor_b32 s7, exec_lo, s7
; %bb.457:
                                        ; implicit-def: $vgpr19
; %bb.458:
	s_delay_alu instid0(SALU_CYCLE_1)
	s_and_not1_saveexec_b32 s7, s7
	s_cbranch_execz .LBB453_460
; %bb.459:
	s_waitcnt lgkmcnt(11)
	v_mov_b32_e32 v17, v19
.LBB453_460:
	s_or_b32 exec_lo, exec_lo, s7
	s_waitcnt lgkmcnt(11)
	s_delay_alu instid0(VALU_DEP_1)
	v_mov_b32_e32 v18, v17
.LBB453_461:
	s_or_b32 exec_lo, exec_lo, s6
	s_delay_alu instid0(SALU_CYCLE_1)
	s_xor_b32 s6, exec_lo, -1
	s_or_b32 s7, s4, exec_lo
.LBB453_462:
	s_or_b32 exec_lo, exec_lo, s5
	s_waitcnt lgkmcnt(10)
	v_mov_b32_e32 v16, v18
	s_and_not1_b32 s8, s4, exec_lo
	s_and_b32 s7, s7, exec_lo
	s_xor_b32 s5, exec_lo, -1
	s_and_b32 s6, s6, exec_lo
	s_or_b32 s7, s8, s7
.LBB453_463:
	s_or_b32 exec_lo, exec_lo, s0
	s_delay_alu instid0(SALU_CYCLE_1)
	s_and_not1_b32 s4, s4, exec_lo
	s_and_b32 s7, s7, exec_lo
	s_and_b32 s5, s5, exec_lo
	;; [unrolled: 1-line block ×3, first 2 shown]
	s_or_b32 s4, s4, s7
	s_or_b32 exec_lo, exec_lo, s3
	s_and_saveexec_b32 s3, s4
	s_cbranch_execz .LBB453_411
.LBB453_464:
	s_waitcnt lgkmcnt(10)
	flat_store_b16 v[4:5], v16
	s_or_b32 exec_lo, exec_lo, s3
	s_and_saveexec_b32 s3, s0
	s_cbranch_execz .LBB453_469
.LBB453_465:
	s_mov_b32 s0, exec_lo
	v_cmpx_lt_i64_e32 6, v[0:1]
	s_xor_b32 s0, exec_lo, s0
	s_cbranch_execz .LBB453_467
; %bb.466:
	s_waitcnt lgkmcnt(14)
	flat_store_b16 v[4:5], v15
                                        ; implicit-def: $vgpr14
.LBB453_467:
	s_and_not1_saveexec_b32 s0, s0
	s_cbranch_execz .LBB453_469
; %bb.468:
	s_waitcnt lgkmcnt(15)
	flat_store_b16 v[4:5], v14
.LBB453_469:
	s_or_b32 exec_lo, exec_lo, s3
	s_delay_alu instid0(SALU_CYCLE_1)
	s_and_b32 exec_lo, exec_lo, s5
	s_cbranch_execz .LBB453_488
; %bb.470:
	s_mov_b32 s0, exec_lo
	v_cmpx_lt_i64_e32 2, v[0:1]
	s_xor_b32 s0, exec_lo, s0
	s_cbranch_execz .LBB453_480
; %bb.471:
	s_mov_b32 s3, exec_lo
	v_cmpx_lt_i64_e32 3, v[0:1]
	s_xor_b32 s3, exec_lo, s3
	;; [unrolled: 5-line block ×3, first 2 shown]
	s_cbranch_execz .LBB453_474
; %bb.473:
	s_waitcnt lgkmcnt(16)
	flat_store_b16 v[4:5], v13
                                        ; implicit-def: $vgpr4_vgpr5
                                        ; implicit-def: $vgpr10
.LBB453_474:
	s_and_not1_saveexec_b32 s4, s4
	s_cbranch_execz .LBB453_476
; %bb.475:
	flat_store_b16 v[4:5], v10
.LBB453_476:
	s_or_b32 exec_lo, exec_lo, s4
                                        ; implicit-def: $vgpr4_vgpr5
                                        ; implicit-def: $vgpr12
.LBB453_477:
	s_and_not1_saveexec_b32 s3, s3
	s_cbranch_execz .LBB453_479
; %bb.478:
	flat_store_b16 v[4:5], v12
.LBB453_479:
	s_or_b32 exec_lo, exec_lo, s3
                                        ; implicit-def: $vgpr0_vgpr1
                                        ; implicit-def: $vgpr4_vgpr5
                                        ; implicit-def: $vgpr11
                                        ; implicit-def: $vgpr6
                                        ; implicit-def: $vgpr7
.LBB453_480:
	s_and_not1_saveexec_b32 s0, s0
	s_cbranch_execz .LBB453_488
; %bb.481:
	s_mov_b32 s0, exec_lo
	v_cmpx_lt_i64_e32 1, v[0:1]
	s_xor_b32 s0, exec_lo, s0
	s_cbranch_execz .LBB453_483
; %bb.482:
	flat_store_b16 v[4:5], v11
                                        ; implicit-def: $vgpr4_vgpr5
                                        ; implicit-def: $vgpr6
                                        ; implicit-def: $vgpr0_vgpr1
                                        ; implicit-def: $vgpr7
.LBB453_483:
	s_and_not1_saveexec_b32 s0, s0
	s_cbranch_execz .LBB453_488
; %bb.484:
	s_mov_b32 s0, exec_lo
	v_cmpx_ne_u64_e32 1, v[0:1]
	s_xor_b32 s0, exec_lo, s0
	s_cbranch_execz .LBB453_486
; %bb.485:
	flat_store_b16 v[4:5], v7
                                        ; implicit-def: $vgpr4_vgpr5
                                        ; implicit-def: $vgpr6
.LBB453_486:
	s_and_not1_saveexec_b32 s0, s0
	s_cbranch_execz .LBB453_488
; %bb.487:
	flat_store_b16 v[4:5], v6
.LBB453_488:
	s_or_b32 exec_lo, exec_lo, s2
.LBB453_489:
	s_delay_alu instid0(SALU_CYCLE_1)
	s_or_b32 exec_lo, exec_lo, s1
	v_readlane_b32 s30, v40, 0
	v_readlane_b32 s31, v40, 1
	s_or_saveexec_b32 s0, -1
	scratch_load_b32 v40, off, s32          ; 4-byte Folded Reload
	s_mov_b32 exec_lo, s0
	s_waitcnt vmcnt(0) lgkmcnt(0)
	s_setpc_b64 s[30:31]
.Lfunc_end453:
	.size	_ZZZN7rocprim17ROCPRIM_400000_NS6detail9scan_implILNS1_25lookback_scan_determinismE0ELb0ELb0ENS0_14default_configEPKN3c108BFloat16EPS6_S6_ZZZN2at6native31launch_logcumsumexp_cuda_kernelERKNSA_10TensorBaseESE_lENKUlvE_clEvENKUlvE4_clEvEUlS6_S6_E_S6_EEDaPvRmT3_T4_T5_mT6_P12ihipStream_tbENKUlT_T0_E_clISt17integral_constantIbLb0EESV_EEDaSQ_SR_ENKUlSQ_E_clINS1_13target_configIS4_NS1_20scan_config_selectorIS6_EENS1_11comp_targetILNS1_3genE9ELNS1_11target_archE1100ELNS1_3gpuE3ELNS1_3repE0EEELNS0_4arch9wavefront6targetE0EEEEEDaSQ_, .Lfunc_end453-_ZZZN7rocprim17ROCPRIM_400000_NS6detail9scan_implILNS1_25lookback_scan_determinismE0ELb0ELb0ENS0_14default_configEPKN3c108BFloat16EPS6_S6_ZZZN2at6native31launch_logcumsumexp_cuda_kernelERKNSA_10TensorBaseESE_lENKUlvE_clEvENKUlvE4_clEvEUlS6_S6_E_S6_EEDaPvRmT3_T4_T5_mT6_P12ihipStream_tbENKUlT_T0_E_clISt17integral_constantIbLb0EESV_EEDaSQ_SR_ENKUlSQ_E_clINS1_13target_configIS4_NS1_20scan_config_selectorIS6_EENS1_11comp_targetILNS1_3genE9ELNS1_11target_archE1100ELNS1_3gpuE3ELNS1_3repE0EEELNS0_4arch9wavefront6targetE0EEEEEDaSQ_
                                        ; -- End function
	.section	.AMDGPU.csdata,"",@progbits
; Function info:
; codeLenInByte = 118020
; NumSgprs: 37
; NumVgprs: 197
; ScratchSize: 8
; MemoryBound: 0
	.section	.text._ZN7rocprim17ROCPRIM_400000_NS6detail17trampoline_kernelINS0_14default_configENS1_20scan_config_selectorIN3c108BFloat16EEEZZNS1_9scan_implILNS1_25lookback_scan_determinismE0ELb0ELb0ES3_PKS6_PS6_S6_ZZZN2at6native31launch_logcumsumexp_cuda_kernelERKNSD_10TensorBaseESH_lENKUlvE_clEvENKUlvE4_clEvEUlS6_S6_E_S6_EEDaPvRmT3_T4_T5_mT6_P12ihipStream_tbENKUlT_T0_E_clISt17integral_constantIbLb0EESY_EEDaST_SU_EUlST_E_NS1_11comp_targetILNS1_3genE9ELNS1_11target_archE1100ELNS1_3gpuE3ELNS1_3repE0EEENS1_30default_config_static_selectorELNS0_4arch9wavefront6targetE0EEEvT1_,"axG",@progbits,_ZN7rocprim17ROCPRIM_400000_NS6detail17trampoline_kernelINS0_14default_configENS1_20scan_config_selectorIN3c108BFloat16EEEZZNS1_9scan_implILNS1_25lookback_scan_determinismE0ELb0ELb0ES3_PKS6_PS6_S6_ZZZN2at6native31launch_logcumsumexp_cuda_kernelERKNSD_10TensorBaseESH_lENKUlvE_clEvENKUlvE4_clEvEUlS6_S6_E_S6_EEDaPvRmT3_T4_T5_mT6_P12ihipStream_tbENKUlT_T0_E_clISt17integral_constantIbLb0EESY_EEDaST_SU_EUlST_E_NS1_11comp_targetILNS1_3genE9ELNS1_11target_archE1100ELNS1_3gpuE3ELNS1_3repE0EEENS1_30default_config_static_selectorELNS0_4arch9wavefront6targetE0EEEvT1_,comdat
	.globl	_ZN7rocprim17ROCPRIM_400000_NS6detail17trampoline_kernelINS0_14default_configENS1_20scan_config_selectorIN3c108BFloat16EEEZZNS1_9scan_implILNS1_25lookback_scan_determinismE0ELb0ELb0ES3_PKS6_PS6_S6_ZZZN2at6native31launch_logcumsumexp_cuda_kernelERKNSD_10TensorBaseESH_lENKUlvE_clEvENKUlvE4_clEvEUlS6_S6_E_S6_EEDaPvRmT3_T4_T5_mT6_P12ihipStream_tbENKUlT_T0_E_clISt17integral_constantIbLb0EESY_EEDaST_SU_EUlST_E_NS1_11comp_targetILNS1_3genE9ELNS1_11target_archE1100ELNS1_3gpuE3ELNS1_3repE0EEENS1_30default_config_static_selectorELNS0_4arch9wavefront6targetE0EEEvT1_ ; -- Begin function _ZN7rocprim17ROCPRIM_400000_NS6detail17trampoline_kernelINS0_14default_configENS1_20scan_config_selectorIN3c108BFloat16EEEZZNS1_9scan_implILNS1_25lookback_scan_determinismE0ELb0ELb0ES3_PKS6_PS6_S6_ZZZN2at6native31launch_logcumsumexp_cuda_kernelERKNSD_10TensorBaseESH_lENKUlvE_clEvENKUlvE4_clEvEUlS6_S6_E_S6_EEDaPvRmT3_T4_T5_mT6_P12ihipStream_tbENKUlT_T0_E_clISt17integral_constantIbLb0EESY_EEDaST_SU_EUlST_E_NS1_11comp_targetILNS1_3genE9ELNS1_11target_archE1100ELNS1_3gpuE3ELNS1_3repE0EEENS1_30default_config_static_selectorELNS0_4arch9wavefront6targetE0EEEvT1_
	.p2align	8
	.type	_ZN7rocprim17ROCPRIM_400000_NS6detail17trampoline_kernelINS0_14default_configENS1_20scan_config_selectorIN3c108BFloat16EEEZZNS1_9scan_implILNS1_25lookback_scan_determinismE0ELb0ELb0ES3_PKS6_PS6_S6_ZZZN2at6native31launch_logcumsumexp_cuda_kernelERKNSD_10TensorBaseESH_lENKUlvE_clEvENKUlvE4_clEvEUlS6_S6_E_S6_EEDaPvRmT3_T4_T5_mT6_P12ihipStream_tbENKUlT_T0_E_clISt17integral_constantIbLb0EESY_EEDaST_SU_EUlST_E_NS1_11comp_targetILNS1_3genE9ELNS1_11target_archE1100ELNS1_3gpuE3ELNS1_3repE0EEENS1_30default_config_static_selectorELNS0_4arch9wavefront6targetE0EEEvT1_,@function
_ZN7rocprim17ROCPRIM_400000_NS6detail17trampoline_kernelINS0_14default_configENS1_20scan_config_selectorIN3c108BFloat16EEEZZNS1_9scan_implILNS1_25lookback_scan_determinismE0ELb0ELb0ES3_PKS6_PS6_S6_ZZZN2at6native31launch_logcumsumexp_cuda_kernelERKNSD_10TensorBaseESH_lENKUlvE_clEvENKUlvE4_clEvEUlS6_S6_E_S6_EEDaPvRmT3_T4_T5_mT6_P12ihipStream_tbENKUlT_T0_E_clISt17integral_constantIbLb0EESY_EEDaST_SU_EUlST_E_NS1_11comp_targetILNS1_3genE9ELNS1_11target_archE1100ELNS1_3gpuE3ELNS1_3repE0EEENS1_30default_config_static_selectorELNS0_4arch9wavefront6targetE0EEEvT1_: ; @_ZN7rocprim17ROCPRIM_400000_NS6detail17trampoline_kernelINS0_14default_configENS1_20scan_config_selectorIN3c108BFloat16EEEZZNS1_9scan_implILNS1_25lookback_scan_determinismE0ELb0ELb0ES3_PKS6_PS6_S6_ZZZN2at6native31launch_logcumsumexp_cuda_kernelERKNSD_10TensorBaseESH_lENKUlvE_clEvENKUlvE4_clEvEUlS6_S6_E_S6_EEDaPvRmT3_T4_T5_mT6_P12ihipStream_tbENKUlT_T0_E_clISt17integral_constantIbLb0EESY_EEDaST_SU_EUlST_E_NS1_11comp_targetILNS1_3genE9ELNS1_11target_archE1100ELNS1_3gpuE3ELNS1_3repE0EEENS1_30default_config_static_selectorELNS0_4arch9wavefront6targetE0EEEvT1_
; %bb.0:
	s_clause 0x2
	s_load_b256 s[16:23], s[0:1], 0x0
	s_load_b256 s[24:31], s[0:1], 0x20
	;; [unrolled: 1-line block ×3, first 2 shown]
	v_mov_b32_e32 v31, v0
	s_mov_b64 s[2:3], src_private_base
	s_add_u32 s8, s0, 0x60
	s_mov_b32 s12, s15
	s_addc_u32 s9, s1, 0
	s_movk_i32 s32, 0x70
	s_getpc_b64 s[0:1]
	s_add_u32 s0, s0, _ZZZN7rocprim17ROCPRIM_400000_NS6detail9scan_implILNS1_25lookback_scan_determinismE0ELb0ELb0ENS0_14default_configEPKN3c108BFloat16EPS6_S6_ZZZN2at6native31launch_logcumsumexp_cuda_kernelERKNSA_10TensorBaseESE_lENKUlvE_clEvENKUlvE4_clEvEUlS6_S6_E_S6_EEDaPvRmT3_T4_T5_mT6_P12ihipStream_tbENKUlT_T0_E_clISt17integral_constantIbLb0EESV_EEDaSQ_SR_ENKUlSQ_E_clINS1_13target_configIS4_NS1_20scan_config_selectorIS6_EENS1_11comp_targetILNS1_3genE9ELNS1_11target_archE1100ELNS1_3gpuE3ELNS1_3repE0EEELNS0_4arch9wavefront6targetE0EEEEEDaSQ_@rel32@lo+4
	s_addc_u32 s1, s1, _ZZZN7rocprim17ROCPRIM_400000_NS6detail9scan_implILNS1_25lookback_scan_determinismE0ELb0ELb0ENS0_14default_configEPKN3c108BFloat16EPS6_S6_ZZZN2at6native31launch_logcumsumexp_cuda_kernelERKNSA_10TensorBaseESE_lENKUlvE_clEvENKUlvE4_clEvEUlS6_S6_E_S6_EEDaPvRmT3_T4_T5_mT6_P12ihipStream_tbENKUlT_T0_E_clISt17integral_constantIbLb0EESV_EEDaSQ_SR_ENKUlSQ_E_clINS1_13target_configIS4_NS1_20scan_config_selectorIS6_EENS1_11comp_targetILNS1_3genE9ELNS1_11target_archE1100ELNS1_3gpuE3ELNS1_3repE0EEELNS0_4arch9wavefront6targetE0EEEEEDaSQ_@rel32@hi+12
	s_waitcnt lgkmcnt(0)
	v_dual_mov_b32 v0, s16 :: v_dual_mov_b32 v1, s17
	v_dual_mov_b32 v2, s18 :: v_dual_mov_b32 v3, s19
	;; [unrolled: 1-line block ×12, first 2 shown]
	s_clause 0x5
	scratch_store_b128 off, v[0:3], off
	scratch_store_b128 off, v[4:7], off offset:16
	scratch_store_b128 off, v[8:11], off offset:32
	;; [unrolled: 1-line block ×5, first 2 shown]
	v_dual_mov_b32 v0, 0 :: v_dual_mov_b32 v1, s3
	s_swappc_b64 s[30:31], s[0:1]
	s_endpgm
	.section	.rodata,"a",@progbits
	.p2align	6, 0x0
	.amdhsa_kernel _ZN7rocprim17ROCPRIM_400000_NS6detail17trampoline_kernelINS0_14default_configENS1_20scan_config_selectorIN3c108BFloat16EEEZZNS1_9scan_implILNS1_25lookback_scan_determinismE0ELb0ELb0ES3_PKS6_PS6_S6_ZZZN2at6native31launch_logcumsumexp_cuda_kernelERKNSD_10TensorBaseESH_lENKUlvE_clEvENKUlvE4_clEvEUlS6_S6_E_S6_EEDaPvRmT3_T4_T5_mT6_P12ihipStream_tbENKUlT_T0_E_clISt17integral_constantIbLb0EESY_EEDaST_SU_EUlST_E_NS1_11comp_targetILNS1_3genE9ELNS1_11target_archE1100ELNS1_3gpuE3ELNS1_3repE0EEENS1_30default_config_static_selectorELNS0_4arch9wavefront6targetE0EEEvT1_
		.amdhsa_group_segment_fixed_size 2816
		.amdhsa_private_segment_fixed_size 120
		.amdhsa_kernarg_size 352
		.amdhsa_user_sgpr_count 15
		.amdhsa_user_sgpr_dispatch_ptr 0
		.amdhsa_user_sgpr_queue_ptr 0
		.amdhsa_user_sgpr_kernarg_segment_ptr 1
		.amdhsa_user_sgpr_dispatch_id 0
		.amdhsa_user_sgpr_private_segment_size 0
		.amdhsa_wavefront_size32 1
		.amdhsa_uses_dynamic_stack 0
		.amdhsa_enable_private_segment 1
		.amdhsa_system_sgpr_workgroup_id_x 1
		.amdhsa_system_sgpr_workgroup_id_y 0
		.amdhsa_system_sgpr_workgroup_id_z 0
		.amdhsa_system_sgpr_workgroup_info 0
		.amdhsa_system_vgpr_workitem_id 0
		.amdhsa_next_free_vgpr 197
		.amdhsa_next_free_sgpr 44
		.amdhsa_reserve_vcc 1
		.amdhsa_float_round_mode_32 0
		.amdhsa_float_round_mode_16_64 0
		.amdhsa_float_denorm_mode_32 3
		.amdhsa_float_denorm_mode_16_64 3
		.amdhsa_dx10_clamp 1
		.amdhsa_ieee_mode 1
		.amdhsa_fp16_overflow 0
		.amdhsa_workgroup_processor_mode 1
		.amdhsa_memory_ordered 1
		.amdhsa_forward_progress 0
		.amdhsa_shared_vgpr_count 0
		.amdhsa_exception_fp_ieee_invalid_op 0
		.amdhsa_exception_fp_denorm_src 0
		.amdhsa_exception_fp_ieee_div_zero 0
		.amdhsa_exception_fp_ieee_overflow 0
		.amdhsa_exception_fp_ieee_underflow 0
		.amdhsa_exception_fp_ieee_inexact 0
		.amdhsa_exception_int_div_zero 0
	.end_amdhsa_kernel
	.section	.text._ZN7rocprim17ROCPRIM_400000_NS6detail17trampoline_kernelINS0_14default_configENS1_20scan_config_selectorIN3c108BFloat16EEEZZNS1_9scan_implILNS1_25lookback_scan_determinismE0ELb0ELb0ES3_PKS6_PS6_S6_ZZZN2at6native31launch_logcumsumexp_cuda_kernelERKNSD_10TensorBaseESH_lENKUlvE_clEvENKUlvE4_clEvEUlS6_S6_E_S6_EEDaPvRmT3_T4_T5_mT6_P12ihipStream_tbENKUlT_T0_E_clISt17integral_constantIbLb0EESY_EEDaST_SU_EUlST_E_NS1_11comp_targetILNS1_3genE9ELNS1_11target_archE1100ELNS1_3gpuE3ELNS1_3repE0EEENS1_30default_config_static_selectorELNS0_4arch9wavefront6targetE0EEEvT1_,"axG",@progbits,_ZN7rocprim17ROCPRIM_400000_NS6detail17trampoline_kernelINS0_14default_configENS1_20scan_config_selectorIN3c108BFloat16EEEZZNS1_9scan_implILNS1_25lookback_scan_determinismE0ELb0ELb0ES3_PKS6_PS6_S6_ZZZN2at6native31launch_logcumsumexp_cuda_kernelERKNSD_10TensorBaseESH_lENKUlvE_clEvENKUlvE4_clEvEUlS6_S6_E_S6_EEDaPvRmT3_T4_T5_mT6_P12ihipStream_tbENKUlT_T0_E_clISt17integral_constantIbLb0EESY_EEDaST_SU_EUlST_E_NS1_11comp_targetILNS1_3genE9ELNS1_11target_archE1100ELNS1_3gpuE3ELNS1_3repE0EEENS1_30default_config_static_selectorELNS0_4arch9wavefront6targetE0EEEvT1_,comdat
.Lfunc_end454:
	.size	_ZN7rocprim17ROCPRIM_400000_NS6detail17trampoline_kernelINS0_14default_configENS1_20scan_config_selectorIN3c108BFloat16EEEZZNS1_9scan_implILNS1_25lookback_scan_determinismE0ELb0ELb0ES3_PKS6_PS6_S6_ZZZN2at6native31launch_logcumsumexp_cuda_kernelERKNSD_10TensorBaseESH_lENKUlvE_clEvENKUlvE4_clEvEUlS6_S6_E_S6_EEDaPvRmT3_T4_T5_mT6_P12ihipStream_tbENKUlT_T0_E_clISt17integral_constantIbLb0EESY_EEDaST_SU_EUlST_E_NS1_11comp_targetILNS1_3genE9ELNS1_11target_archE1100ELNS1_3gpuE3ELNS1_3repE0EEENS1_30default_config_static_selectorELNS0_4arch9wavefront6targetE0EEEvT1_, .Lfunc_end454-_ZN7rocprim17ROCPRIM_400000_NS6detail17trampoline_kernelINS0_14default_configENS1_20scan_config_selectorIN3c108BFloat16EEEZZNS1_9scan_implILNS1_25lookback_scan_determinismE0ELb0ELb0ES3_PKS6_PS6_S6_ZZZN2at6native31launch_logcumsumexp_cuda_kernelERKNSD_10TensorBaseESH_lENKUlvE_clEvENKUlvE4_clEvEUlS6_S6_E_S6_EEDaPvRmT3_T4_T5_mT6_P12ihipStream_tbENKUlT_T0_E_clISt17integral_constantIbLb0EESY_EEDaST_SU_EUlST_E_NS1_11comp_targetILNS1_3genE9ELNS1_11target_archE1100ELNS1_3gpuE3ELNS1_3repE0EEENS1_30default_config_static_selectorELNS0_4arch9wavefront6targetE0EEEvT1_
                                        ; -- End function
	.section	.AMDGPU.csdata,"",@progbits
; Kernel info:
; codeLenInByte = 244
; NumSgprs: 46
; NumVgprs: 197
; ScratchSize: 120
; MemoryBound: 0
; FloatMode: 240
; IeeeMode: 1
; LDSByteSize: 2816 bytes/workgroup (compile time only)
; SGPRBlocks: 5
; VGPRBlocks: 24
; NumSGPRsForWavesPerEU: 46
; NumVGPRsForWavesPerEU: 197
; Occupancy: 7
; WaveLimiterHint : 1
; COMPUTE_PGM_RSRC2:SCRATCH_EN: 1
; COMPUTE_PGM_RSRC2:USER_SGPR: 15
; COMPUTE_PGM_RSRC2:TRAP_HANDLER: 0
; COMPUTE_PGM_RSRC2:TGID_X_EN: 1
; COMPUTE_PGM_RSRC2:TGID_Y_EN: 0
; COMPUTE_PGM_RSRC2:TGID_Z_EN: 0
; COMPUTE_PGM_RSRC2:TIDIG_COMP_CNT: 0
	.section	.text._ZN7rocprim17ROCPRIM_400000_NS6detail17trampoline_kernelINS0_14default_configENS1_20scan_config_selectorIN3c108BFloat16EEEZZNS1_9scan_implILNS1_25lookback_scan_determinismE0ELb0ELb0ES3_PKS6_PS6_S6_ZZZN2at6native31launch_logcumsumexp_cuda_kernelERKNSD_10TensorBaseESH_lENKUlvE_clEvENKUlvE4_clEvEUlS6_S6_E_S6_EEDaPvRmT3_T4_T5_mT6_P12ihipStream_tbENKUlT_T0_E_clISt17integral_constantIbLb0EESY_EEDaST_SU_EUlST_E_NS1_11comp_targetILNS1_3genE8ELNS1_11target_archE1030ELNS1_3gpuE2ELNS1_3repE0EEENS1_30default_config_static_selectorELNS0_4arch9wavefront6targetE0EEEvT1_,"axG",@progbits,_ZN7rocprim17ROCPRIM_400000_NS6detail17trampoline_kernelINS0_14default_configENS1_20scan_config_selectorIN3c108BFloat16EEEZZNS1_9scan_implILNS1_25lookback_scan_determinismE0ELb0ELb0ES3_PKS6_PS6_S6_ZZZN2at6native31launch_logcumsumexp_cuda_kernelERKNSD_10TensorBaseESH_lENKUlvE_clEvENKUlvE4_clEvEUlS6_S6_E_S6_EEDaPvRmT3_T4_T5_mT6_P12ihipStream_tbENKUlT_T0_E_clISt17integral_constantIbLb0EESY_EEDaST_SU_EUlST_E_NS1_11comp_targetILNS1_3genE8ELNS1_11target_archE1030ELNS1_3gpuE2ELNS1_3repE0EEENS1_30default_config_static_selectorELNS0_4arch9wavefront6targetE0EEEvT1_,comdat
	.globl	_ZN7rocprim17ROCPRIM_400000_NS6detail17trampoline_kernelINS0_14default_configENS1_20scan_config_selectorIN3c108BFloat16EEEZZNS1_9scan_implILNS1_25lookback_scan_determinismE0ELb0ELb0ES3_PKS6_PS6_S6_ZZZN2at6native31launch_logcumsumexp_cuda_kernelERKNSD_10TensorBaseESH_lENKUlvE_clEvENKUlvE4_clEvEUlS6_S6_E_S6_EEDaPvRmT3_T4_T5_mT6_P12ihipStream_tbENKUlT_T0_E_clISt17integral_constantIbLb0EESY_EEDaST_SU_EUlST_E_NS1_11comp_targetILNS1_3genE8ELNS1_11target_archE1030ELNS1_3gpuE2ELNS1_3repE0EEENS1_30default_config_static_selectorELNS0_4arch9wavefront6targetE0EEEvT1_ ; -- Begin function _ZN7rocprim17ROCPRIM_400000_NS6detail17trampoline_kernelINS0_14default_configENS1_20scan_config_selectorIN3c108BFloat16EEEZZNS1_9scan_implILNS1_25lookback_scan_determinismE0ELb0ELb0ES3_PKS6_PS6_S6_ZZZN2at6native31launch_logcumsumexp_cuda_kernelERKNSD_10TensorBaseESH_lENKUlvE_clEvENKUlvE4_clEvEUlS6_S6_E_S6_EEDaPvRmT3_T4_T5_mT6_P12ihipStream_tbENKUlT_T0_E_clISt17integral_constantIbLb0EESY_EEDaST_SU_EUlST_E_NS1_11comp_targetILNS1_3genE8ELNS1_11target_archE1030ELNS1_3gpuE2ELNS1_3repE0EEENS1_30default_config_static_selectorELNS0_4arch9wavefront6targetE0EEEvT1_
	.p2align	8
	.type	_ZN7rocprim17ROCPRIM_400000_NS6detail17trampoline_kernelINS0_14default_configENS1_20scan_config_selectorIN3c108BFloat16EEEZZNS1_9scan_implILNS1_25lookback_scan_determinismE0ELb0ELb0ES3_PKS6_PS6_S6_ZZZN2at6native31launch_logcumsumexp_cuda_kernelERKNSD_10TensorBaseESH_lENKUlvE_clEvENKUlvE4_clEvEUlS6_S6_E_S6_EEDaPvRmT3_T4_T5_mT6_P12ihipStream_tbENKUlT_T0_E_clISt17integral_constantIbLb0EESY_EEDaST_SU_EUlST_E_NS1_11comp_targetILNS1_3genE8ELNS1_11target_archE1030ELNS1_3gpuE2ELNS1_3repE0EEENS1_30default_config_static_selectorELNS0_4arch9wavefront6targetE0EEEvT1_,@function
_ZN7rocprim17ROCPRIM_400000_NS6detail17trampoline_kernelINS0_14default_configENS1_20scan_config_selectorIN3c108BFloat16EEEZZNS1_9scan_implILNS1_25lookback_scan_determinismE0ELb0ELb0ES3_PKS6_PS6_S6_ZZZN2at6native31launch_logcumsumexp_cuda_kernelERKNSD_10TensorBaseESH_lENKUlvE_clEvENKUlvE4_clEvEUlS6_S6_E_S6_EEDaPvRmT3_T4_T5_mT6_P12ihipStream_tbENKUlT_T0_E_clISt17integral_constantIbLb0EESY_EEDaST_SU_EUlST_E_NS1_11comp_targetILNS1_3genE8ELNS1_11target_archE1030ELNS1_3gpuE2ELNS1_3repE0EEENS1_30default_config_static_selectorELNS0_4arch9wavefront6targetE0EEEvT1_: ; @_ZN7rocprim17ROCPRIM_400000_NS6detail17trampoline_kernelINS0_14default_configENS1_20scan_config_selectorIN3c108BFloat16EEEZZNS1_9scan_implILNS1_25lookback_scan_determinismE0ELb0ELb0ES3_PKS6_PS6_S6_ZZZN2at6native31launch_logcumsumexp_cuda_kernelERKNSD_10TensorBaseESH_lENKUlvE_clEvENKUlvE4_clEvEUlS6_S6_E_S6_EEDaPvRmT3_T4_T5_mT6_P12ihipStream_tbENKUlT_T0_E_clISt17integral_constantIbLb0EESY_EEDaST_SU_EUlST_E_NS1_11comp_targetILNS1_3genE8ELNS1_11target_archE1030ELNS1_3gpuE2ELNS1_3repE0EEENS1_30default_config_static_selectorELNS0_4arch9wavefront6targetE0EEEvT1_
; %bb.0:
	.section	.rodata,"a",@progbits
	.p2align	6, 0x0
	.amdhsa_kernel _ZN7rocprim17ROCPRIM_400000_NS6detail17trampoline_kernelINS0_14default_configENS1_20scan_config_selectorIN3c108BFloat16EEEZZNS1_9scan_implILNS1_25lookback_scan_determinismE0ELb0ELb0ES3_PKS6_PS6_S6_ZZZN2at6native31launch_logcumsumexp_cuda_kernelERKNSD_10TensorBaseESH_lENKUlvE_clEvENKUlvE4_clEvEUlS6_S6_E_S6_EEDaPvRmT3_T4_T5_mT6_P12ihipStream_tbENKUlT_T0_E_clISt17integral_constantIbLb0EESY_EEDaST_SU_EUlST_E_NS1_11comp_targetILNS1_3genE8ELNS1_11target_archE1030ELNS1_3gpuE2ELNS1_3repE0EEENS1_30default_config_static_selectorELNS0_4arch9wavefront6targetE0EEEvT1_
		.amdhsa_group_segment_fixed_size 0
		.amdhsa_private_segment_fixed_size 0
		.amdhsa_kernarg_size 96
		.amdhsa_user_sgpr_count 15
		.amdhsa_user_sgpr_dispatch_ptr 0
		.amdhsa_user_sgpr_queue_ptr 0
		.amdhsa_user_sgpr_kernarg_segment_ptr 1
		.amdhsa_user_sgpr_dispatch_id 0
		.amdhsa_user_sgpr_private_segment_size 0
		.amdhsa_wavefront_size32 1
		.amdhsa_uses_dynamic_stack 0
		.amdhsa_enable_private_segment 0
		.amdhsa_system_sgpr_workgroup_id_x 1
		.amdhsa_system_sgpr_workgroup_id_y 0
		.amdhsa_system_sgpr_workgroup_id_z 0
		.amdhsa_system_sgpr_workgroup_info 0
		.amdhsa_system_vgpr_workitem_id 0
		.amdhsa_next_free_vgpr 1
		.amdhsa_next_free_sgpr 1
		.amdhsa_reserve_vcc 0
		.amdhsa_float_round_mode_32 0
		.amdhsa_float_round_mode_16_64 0
		.amdhsa_float_denorm_mode_32 3
		.amdhsa_float_denorm_mode_16_64 3
		.amdhsa_dx10_clamp 1
		.amdhsa_ieee_mode 1
		.amdhsa_fp16_overflow 0
		.amdhsa_workgroup_processor_mode 1
		.amdhsa_memory_ordered 1
		.amdhsa_forward_progress 0
		.amdhsa_shared_vgpr_count 0
		.amdhsa_exception_fp_ieee_invalid_op 0
		.amdhsa_exception_fp_denorm_src 0
		.amdhsa_exception_fp_ieee_div_zero 0
		.amdhsa_exception_fp_ieee_overflow 0
		.amdhsa_exception_fp_ieee_underflow 0
		.amdhsa_exception_fp_ieee_inexact 0
		.amdhsa_exception_int_div_zero 0
	.end_amdhsa_kernel
	.section	.text._ZN7rocprim17ROCPRIM_400000_NS6detail17trampoline_kernelINS0_14default_configENS1_20scan_config_selectorIN3c108BFloat16EEEZZNS1_9scan_implILNS1_25lookback_scan_determinismE0ELb0ELb0ES3_PKS6_PS6_S6_ZZZN2at6native31launch_logcumsumexp_cuda_kernelERKNSD_10TensorBaseESH_lENKUlvE_clEvENKUlvE4_clEvEUlS6_S6_E_S6_EEDaPvRmT3_T4_T5_mT6_P12ihipStream_tbENKUlT_T0_E_clISt17integral_constantIbLb0EESY_EEDaST_SU_EUlST_E_NS1_11comp_targetILNS1_3genE8ELNS1_11target_archE1030ELNS1_3gpuE2ELNS1_3repE0EEENS1_30default_config_static_selectorELNS0_4arch9wavefront6targetE0EEEvT1_,"axG",@progbits,_ZN7rocprim17ROCPRIM_400000_NS6detail17trampoline_kernelINS0_14default_configENS1_20scan_config_selectorIN3c108BFloat16EEEZZNS1_9scan_implILNS1_25lookback_scan_determinismE0ELb0ELb0ES3_PKS6_PS6_S6_ZZZN2at6native31launch_logcumsumexp_cuda_kernelERKNSD_10TensorBaseESH_lENKUlvE_clEvENKUlvE4_clEvEUlS6_S6_E_S6_EEDaPvRmT3_T4_T5_mT6_P12ihipStream_tbENKUlT_T0_E_clISt17integral_constantIbLb0EESY_EEDaST_SU_EUlST_E_NS1_11comp_targetILNS1_3genE8ELNS1_11target_archE1030ELNS1_3gpuE2ELNS1_3repE0EEENS1_30default_config_static_selectorELNS0_4arch9wavefront6targetE0EEEvT1_,comdat
.Lfunc_end455:
	.size	_ZN7rocprim17ROCPRIM_400000_NS6detail17trampoline_kernelINS0_14default_configENS1_20scan_config_selectorIN3c108BFloat16EEEZZNS1_9scan_implILNS1_25lookback_scan_determinismE0ELb0ELb0ES3_PKS6_PS6_S6_ZZZN2at6native31launch_logcumsumexp_cuda_kernelERKNSD_10TensorBaseESH_lENKUlvE_clEvENKUlvE4_clEvEUlS6_S6_E_S6_EEDaPvRmT3_T4_T5_mT6_P12ihipStream_tbENKUlT_T0_E_clISt17integral_constantIbLb0EESY_EEDaST_SU_EUlST_E_NS1_11comp_targetILNS1_3genE8ELNS1_11target_archE1030ELNS1_3gpuE2ELNS1_3repE0EEENS1_30default_config_static_selectorELNS0_4arch9wavefront6targetE0EEEvT1_, .Lfunc_end455-_ZN7rocprim17ROCPRIM_400000_NS6detail17trampoline_kernelINS0_14default_configENS1_20scan_config_selectorIN3c108BFloat16EEEZZNS1_9scan_implILNS1_25lookback_scan_determinismE0ELb0ELb0ES3_PKS6_PS6_S6_ZZZN2at6native31launch_logcumsumexp_cuda_kernelERKNSD_10TensorBaseESH_lENKUlvE_clEvENKUlvE4_clEvEUlS6_S6_E_S6_EEDaPvRmT3_T4_T5_mT6_P12ihipStream_tbENKUlT_T0_E_clISt17integral_constantIbLb0EESY_EEDaST_SU_EUlST_E_NS1_11comp_targetILNS1_3genE8ELNS1_11target_archE1030ELNS1_3gpuE2ELNS1_3repE0EEENS1_30default_config_static_selectorELNS0_4arch9wavefront6targetE0EEEvT1_
                                        ; -- End function
	.section	.AMDGPU.csdata,"",@progbits
; Kernel info:
; codeLenInByte = 0
; NumSgprs: 0
; NumVgprs: 0
; ScratchSize: 0
; MemoryBound: 0
; FloatMode: 240
; IeeeMode: 1
; LDSByteSize: 0 bytes/workgroup (compile time only)
; SGPRBlocks: 0
; VGPRBlocks: 0
; NumSGPRsForWavesPerEU: 1
; NumVGPRsForWavesPerEU: 1
; Occupancy: 16
; WaveLimiterHint : 0
; COMPUTE_PGM_RSRC2:SCRATCH_EN: 0
; COMPUTE_PGM_RSRC2:USER_SGPR: 15
; COMPUTE_PGM_RSRC2:TRAP_HANDLER: 0
; COMPUTE_PGM_RSRC2:TGID_X_EN: 1
; COMPUTE_PGM_RSRC2:TGID_Y_EN: 0
; COMPUTE_PGM_RSRC2:TGID_Z_EN: 0
; COMPUTE_PGM_RSRC2:TIDIG_COMP_CNT: 0
	.section	.text._ZN7rocprim17ROCPRIM_400000_NS6detail17trampoline_kernelINS0_14default_configENS1_25transform_config_selectorIN3c108BFloat16ELb1EEEZNS1_14transform_implILb1ES3_S7_PS6_S9_NS0_8identityIS6_EEEE10hipError_tT2_T3_mT4_P12ihipStream_tbEUlT_E_NS1_11comp_targetILNS1_3genE0ELNS1_11target_archE4294967295ELNS1_3gpuE0ELNS1_3repE0EEENS1_30default_config_static_selectorELNS0_4arch9wavefront6targetE0EEEvT1_,"axG",@progbits,_ZN7rocprim17ROCPRIM_400000_NS6detail17trampoline_kernelINS0_14default_configENS1_25transform_config_selectorIN3c108BFloat16ELb1EEEZNS1_14transform_implILb1ES3_S7_PS6_S9_NS0_8identityIS6_EEEE10hipError_tT2_T3_mT4_P12ihipStream_tbEUlT_E_NS1_11comp_targetILNS1_3genE0ELNS1_11target_archE4294967295ELNS1_3gpuE0ELNS1_3repE0EEENS1_30default_config_static_selectorELNS0_4arch9wavefront6targetE0EEEvT1_,comdat
	.protected	_ZN7rocprim17ROCPRIM_400000_NS6detail17trampoline_kernelINS0_14default_configENS1_25transform_config_selectorIN3c108BFloat16ELb1EEEZNS1_14transform_implILb1ES3_S7_PS6_S9_NS0_8identityIS6_EEEE10hipError_tT2_T3_mT4_P12ihipStream_tbEUlT_E_NS1_11comp_targetILNS1_3genE0ELNS1_11target_archE4294967295ELNS1_3gpuE0ELNS1_3repE0EEENS1_30default_config_static_selectorELNS0_4arch9wavefront6targetE0EEEvT1_ ; -- Begin function _ZN7rocprim17ROCPRIM_400000_NS6detail17trampoline_kernelINS0_14default_configENS1_25transform_config_selectorIN3c108BFloat16ELb1EEEZNS1_14transform_implILb1ES3_S7_PS6_S9_NS0_8identityIS6_EEEE10hipError_tT2_T3_mT4_P12ihipStream_tbEUlT_E_NS1_11comp_targetILNS1_3genE0ELNS1_11target_archE4294967295ELNS1_3gpuE0ELNS1_3repE0EEENS1_30default_config_static_selectorELNS0_4arch9wavefront6targetE0EEEvT1_
	.globl	_ZN7rocprim17ROCPRIM_400000_NS6detail17trampoline_kernelINS0_14default_configENS1_25transform_config_selectorIN3c108BFloat16ELb1EEEZNS1_14transform_implILb1ES3_S7_PS6_S9_NS0_8identityIS6_EEEE10hipError_tT2_T3_mT4_P12ihipStream_tbEUlT_E_NS1_11comp_targetILNS1_3genE0ELNS1_11target_archE4294967295ELNS1_3gpuE0ELNS1_3repE0EEENS1_30default_config_static_selectorELNS0_4arch9wavefront6targetE0EEEvT1_
	.p2align	8
	.type	_ZN7rocprim17ROCPRIM_400000_NS6detail17trampoline_kernelINS0_14default_configENS1_25transform_config_selectorIN3c108BFloat16ELb1EEEZNS1_14transform_implILb1ES3_S7_PS6_S9_NS0_8identityIS6_EEEE10hipError_tT2_T3_mT4_P12ihipStream_tbEUlT_E_NS1_11comp_targetILNS1_3genE0ELNS1_11target_archE4294967295ELNS1_3gpuE0ELNS1_3repE0EEENS1_30default_config_static_selectorELNS0_4arch9wavefront6targetE0EEEvT1_,@function
_ZN7rocprim17ROCPRIM_400000_NS6detail17trampoline_kernelINS0_14default_configENS1_25transform_config_selectorIN3c108BFloat16ELb1EEEZNS1_14transform_implILb1ES3_S7_PS6_S9_NS0_8identityIS6_EEEE10hipError_tT2_T3_mT4_P12ihipStream_tbEUlT_E_NS1_11comp_targetILNS1_3genE0ELNS1_11target_archE4294967295ELNS1_3gpuE0ELNS1_3repE0EEENS1_30default_config_static_selectorELNS0_4arch9wavefront6targetE0EEEvT1_: ; @_ZN7rocprim17ROCPRIM_400000_NS6detail17trampoline_kernelINS0_14default_configENS1_25transform_config_selectorIN3c108BFloat16ELb1EEEZNS1_14transform_implILb1ES3_S7_PS6_S9_NS0_8identityIS6_EEEE10hipError_tT2_T3_mT4_P12ihipStream_tbEUlT_E_NS1_11comp_targetILNS1_3genE0ELNS1_11target_archE4294967295ELNS1_3gpuE0ELNS1_3repE0EEENS1_30default_config_static_selectorELNS0_4arch9wavefront6targetE0EEEvT1_
; %bb.0:
	.section	.rodata,"a",@progbits
	.p2align	6, 0x0
	.amdhsa_kernel _ZN7rocprim17ROCPRIM_400000_NS6detail17trampoline_kernelINS0_14default_configENS1_25transform_config_selectorIN3c108BFloat16ELb1EEEZNS1_14transform_implILb1ES3_S7_PS6_S9_NS0_8identityIS6_EEEE10hipError_tT2_T3_mT4_P12ihipStream_tbEUlT_E_NS1_11comp_targetILNS1_3genE0ELNS1_11target_archE4294967295ELNS1_3gpuE0ELNS1_3repE0EEENS1_30default_config_static_selectorELNS0_4arch9wavefront6targetE0EEEvT1_
		.amdhsa_group_segment_fixed_size 0
		.amdhsa_private_segment_fixed_size 0
		.amdhsa_kernarg_size 40
		.amdhsa_user_sgpr_count 15
		.amdhsa_user_sgpr_dispatch_ptr 0
		.amdhsa_user_sgpr_queue_ptr 0
		.amdhsa_user_sgpr_kernarg_segment_ptr 1
		.amdhsa_user_sgpr_dispatch_id 0
		.amdhsa_user_sgpr_private_segment_size 0
		.amdhsa_wavefront_size32 1
		.amdhsa_uses_dynamic_stack 0
		.amdhsa_enable_private_segment 0
		.amdhsa_system_sgpr_workgroup_id_x 1
		.amdhsa_system_sgpr_workgroup_id_y 0
		.amdhsa_system_sgpr_workgroup_id_z 0
		.amdhsa_system_sgpr_workgroup_info 0
		.amdhsa_system_vgpr_workitem_id 0
		.amdhsa_next_free_vgpr 1
		.amdhsa_next_free_sgpr 1
		.amdhsa_reserve_vcc 0
		.amdhsa_float_round_mode_32 0
		.amdhsa_float_round_mode_16_64 0
		.amdhsa_float_denorm_mode_32 3
		.amdhsa_float_denorm_mode_16_64 3
		.amdhsa_dx10_clamp 1
		.amdhsa_ieee_mode 1
		.amdhsa_fp16_overflow 0
		.amdhsa_workgroup_processor_mode 1
		.amdhsa_memory_ordered 1
		.amdhsa_forward_progress 0
		.amdhsa_shared_vgpr_count 0
		.amdhsa_exception_fp_ieee_invalid_op 0
		.amdhsa_exception_fp_denorm_src 0
		.amdhsa_exception_fp_ieee_div_zero 0
		.amdhsa_exception_fp_ieee_overflow 0
		.amdhsa_exception_fp_ieee_underflow 0
		.amdhsa_exception_fp_ieee_inexact 0
		.amdhsa_exception_int_div_zero 0
	.end_amdhsa_kernel
	.section	.text._ZN7rocprim17ROCPRIM_400000_NS6detail17trampoline_kernelINS0_14default_configENS1_25transform_config_selectorIN3c108BFloat16ELb1EEEZNS1_14transform_implILb1ES3_S7_PS6_S9_NS0_8identityIS6_EEEE10hipError_tT2_T3_mT4_P12ihipStream_tbEUlT_E_NS1_11comp_targetILNS1_3genE0ELNS1_11target_archE4294967295ELNS1_3gpuE0ELNS1_3repE0EEENS1_30default_config_static_selectorELNS0_4arch9wavefront6targetE0EEEvT1_,"axG",@progbits,_ZN7rocprim17ROCPRIM_400000_NS6detail17trampoline_kernelINS0_14default_configENS1_25transform_config_selectorIN3c108BFloat16ELb1EEEZNS1_14transform_implILb1ES3_S7_PS6_S9_NS0_8identityIS6_EEEE10hipError_tT2_T3_mT4_P12ihipStream_tbEUlT_E_NS1_11comp_targetILNS1_3genE0ELNS1_11target_archE4294967295ELNS1_3gpuE0ELNS1_3repE0EEENS1_30default_config_static_selectorELNS0_4arch9wavefront6targetE0EEEvT1_,comdat
.Lfunc_end456:
	.size	_ZN7rocprim17ROCPRIM_400000_NS6detail17trampoline_kernelINS0_14default_configENS1_25transform_config_selectorIN3c108BFloat16ELb1EEEZNS1_14transform_implILb1ES3_S7_PS6_S9_NS0_8identityIS6_EEEE10hipError_tT2_T3_mT4_P12ihipStream_tbEUlT_E_NS1_11comp_targetILNS1_3genE0ELNS1_11target_archE4294967295ELNS1_3gpuE0ELNS1_3repE0EEENS1_30default_config_static_selectorELNS0_4arch9wavefront6targetE0EEEvT1_, .Lfunc_end456-_ZN7rocprim17ROCPRIM_400000_NS6detail17trampoline_kernelINS0_14default_configENS1_25transform_config_selectorIN3c108BFloat16ELb1EEEZNS1_14transform_implILb1ES3_S7_PS6_S9_NS0_8identityIS6_EEEE10hipError_tT2_T3_mT4_P12ihipStream_tbEUlT_E_NS1_11comp_targetILNS1_3genE0ELNS1_11target_archE4294967295ELNS1_3gpuE0ELNS1_3repE0EEENS1_30default_config_static_selectorELNS0_4arch9wavefront6targetE0EEEvT1_
                                        ; -- End function
	.section	.AMDGPU.csdata,"",@progbits
; Kernel info:
; codeLenInByte = 0
; NumSgprs: 0
; NumVgprs: 0
; ScratchSize: 0
; MemoryBound: 0
; FloatMode: 240
; IeeeMode: 1
; LDSByteSize: 0 bytes/workgroup (compile time only)
; SGPRBlocks: 0
; VGPRBlocks: 0
; NumSGPRsForWavesPerEU: 1
; NumVGPRsForWavesPerEU: 1
; Occupancy: 16
; WaveLimiterHint : 0
; COMPUTE_PGM_RSRC2:SCRATCH_EN: 0
; COMPUTE_PGM_RSRC2:USER_SGPR: 15
; COMPUTE_PGM_RSRC2:TRAP_HANDLER: 0
; COMPUTE_PGM_RSRC2:TGID_X_EN: 1
; COMPUTE_PGM_RSRC2:TGID_Y_EN: 0
; COMPUTE_PGM_RSRC2:TGID_Z_EN: 0
; COMPUTE_PGM_RSRC2:TIDIG_COMP_CNT: 0
	.section	.text._ZN7rocprim17ROCPRIM_400000_NS6detail17trampoline_kernelINS0_14default_configENS1_25transform_config_selectorIN3c108BFloat16ELb1EEEZNS1_14transform_implILb1ES3_S7_PS6_S9_NS0_8identityIS6_EEEE10hipError_tT2_T3_mT4_P12ihipStream_tbEUlT_E_NS1_11comp_targetILNS1_3genE10ELNS1_11target_archE1201ELNS1_3gpuE5ELNS1_3repE0EEENS1_30default_config_static_selectorELNS0_4arch9wavefront6targetE0EEEvT1_,"axG",@progbits,_ZN7rocprim17ROCPRIM_400000_NS6detail17trampoline_kernelINS0_14default_configENS1_25transform_config_selectorIN3c108BFloat16ELb1EEEZNS1_14transform_implILb1ES3_S7_PS6_S9_NS0_8identityIS6_EEEE10hipError_tT2_T3_mT4_P12ihipStream_tbEUlT_E_NS1_11comp_targetILNS1_3genE10ELNS1_11target_archE1201ELNS1_3gpuE5ELNS1_3repE0EEENS1_30default_config_static_selectorELNS0_4arch9wavefront6targetE0EEEvT1_,comdat
	.protected	_ZN7rocprim17ROCPRIM_400000_NS6detail17trampoline_kernelINS0_14default_configENS1_25transform_config_selectorIN3c108BFloat16ELb1EEEZNS1_14transform_implILb1ES3_S7_PS6_S9_NS0_8identityIS6_EEEE10hipError_tT2_T3_mT4_P12ihipStream_tbEUlT_E_NS1_11comp_targetILNS1_3genE10ELNS1_11target_archE1201ELNS1_3gpuE5ELNS1_3repE0EEENS1_30default_config_static_selectorELNS0_4arch9wavefront6targetE0EEEvT1_ ; -- Begin function _ZN7rocprim17ROCPRIM_400000_NS6detail17trampoline_kernelINS0_14default_configENS1_25transform_config_selectorIN3c108BFloat16ELb1EEEZNS1_14transform_implILb1ES3_S7_PS6_S9_NS0_8identityIS6_EEEE10hipError_tT2_T3_mT4_P12ihipStream_tbEUlT_E_NS1_11comp_targetILNS1_3genE10ELNS1_11target_archE1201ELNS1_3gpuE5ELNS1_3repE0EEENS1_30default_config_static_selectorELNS0_4arch9wavefront6targetE0EEEvT1_
	.globl	_ZN7rocprim17ROCPRIM_400000_NS6detail17trampoline_kernelINS0_14default_configENS1_25transform_config_selectorIN3c108BFloat16ELb1EEEZNS1_14transform_implILb1ES3_S7_PS6_S9_NS0_8identityIS6_EEEE10hipError_tT2_T3_mT4_P12ihipStream_tbEUlT_E_NS1_11comp_targetILNS1_3genE10ELNS1_11target_archE1201ELNS1_3gpuE5ELNS1_3repE0EEENS1_30default_config_static_selectorELNS0_4arch9wavefront6targetE0EEEvT1_
	.p2align	8
	.type	_ZN7rocprim17ROCPRIM_400000_NS6detail17trampoline_kernelINS0_14default_configENS1_25transform_config_selectorIN3c108BFloat16ELb1EEEZNS1_14transform_implILb1ES3_S7_PS6_S9_NS0_8identityIS6_EEEE10hipError_tT2_T3_mT4_P12ihipStream_tbEUlT_E_NS1_11comp_targetILNS1_3genE10ELNS1_11target_archE1201ELNS1_3gpuE5ELNS1_3repE0EEENS1_30default_config_static_selectorELNS0_4arch9wavefront6targetE0EEEvT1_,@function
_ZN7rocprim17ROCPRIM_400000_NS6detail17trampoline_kernelINS0_14default_configENS1_25transform_config_selectorIN3c108BFloat16ELb1EEEZNS1_14transform_implILb1ES3_S7_PS6_S9_NS0_8identityIS6_EEEE10hipError_tT2_T3_mT4_P12ihipStream_tbEUlT_E_NS1_11comp_targetILNS1_3genE10ELNS1_11target_archE1201ELNS1_3gpuE5ELNS1_3repE0EEENS1_30default_config_static_selectorELNS0_4arch9wavefront6targetE0EEEvT1_: ; @_ZN7rocprim17ROCPRIM_400000_NS6detail17trampoline_kernelINS0_14default_configENS1_25transform_config_selectorIN3c108BFloat16ELb1EEEZNS1_14transform_implILb1ES3_S7_PS6_S9_NS0_8identityIS6_EEEE10hipError_tT2_T3_mT4_P12ihipStream_tbEUlT_E_NS1_11comp_targetILNS1_3genE10ELNS1_11target_archE1201ELNS1_3gpuE5ELNS1_3repE0EEENS1_30default_config_static_selectorELNS0_4arch9wavefront6targetE0EEEvT1_
; %bb.0:
	.section	.rodata,"a",@progbits
	.p2align	6, 0x0
	.amdhsa_kernel _ZN7rocprim17ROCPRIM_400000_NS6detail17trampoline_kernelINS0_14default_configENS1_25transform_config_selectorIN3c108BFloat16ELb1EEEZNS1_14transform_implILb1ES3_S7_PS6_S9_NS0_8identityIS6_EEEE10hipError_tT2_T3_mT4_P12ihipStream_tbEUlT_E_NS1_11comp_targetILNS1_3genE10ELNS1_11target_archE1201ELNS1_3gpuE5ELNS1_3repE0EEENS1_30default_config_static_selectorELNS0_4arch9wavefront6targetE0EEEvT1_
		.amdhsa_group_segment_fixed_size 0
		.amdhsa_private_segment_fixed_size 0
		.amdhsa_kernarg_size 40
		.amdhsa_user_sgpr_count 15
		.amdhsa_user_sgpr_dispatch_ptr 0
		.amdhsa_user_sgpr_queue_ptr 0
		.amdhsa_user_sgpr_kernarg_segment_ptr 1
		.amdhsa_user_sgpr_dispatch_id 0
		.amdhsa_user_sgpr_private_segment_size 0
		.amdhsa_wavefront_size32 1
		.amdhsa_uses_dynamic_stack 0
		.amdhsa_enable_private_segment 0
		.amdhsa_system_sgpr_workgroup_id_x 1
		.amdhsa_system_sgpr_workgroup_id_y 0
		.amdhsa_system_sgpr_workgroup_id_z 0
		.amdhsa_system_sgpr_workgroup_info 0
		.amdhsa_system_vgpr_workitem_id 0
		.amdhsa_next_free_vgpr 1
		.amdhsa_next_free_sgpr 1
		.amdhsa_reserve_vcc 0
		.amdhsa_float_round_mode_32 0
		.amdhsa_float_round_mode_16_64 0
		.amdhsa_float_denorm_mode_32 3
		.amdhsa_float_denorm_mode_16_64 3
		.amdhsa_dx10_clamp 1
		.amdhsa_ieee_mode 1
		.amdhsa_fp16_overflow 0
		.amdhsa_workgroup_processor_mode 1
		.amdhsa_memory_ordered 1
		.amdhsa_forward_progress 0
		.amdhsa_shared_vgpr_count 0
		.amdhsa_exception_fp_ieee_invalid_op 0
		.amdhsa_exception_fp_denorm_src 0
		.amdhsa_exception_fp_ieee_div_zero 0
		.amdhsa_exception_fp_ieee_overflow 0
		.amdhsa_exception_fp_ieee_underflow 0
		.amdhsa_exception_fp_ieee_inexact 0
		.amdhsa_exception_int_div_zero 0
	.end_amdhsa_kernel
	.section	.text._ZN7rocprim17ROCPRIM_400000_NS6detail17trampoline_kernelINS0_14default_configENS1_25transform_config_selectorIN3c108BFloat16ELb1EEEZNS1_14transform_implILb1ES3_S7_PS6_S9_NS0_8identityIS6_EEEE10hipError_tT2_T3_mT4_P12ihipStream_tbEUlT_E_NS1_11comp_targetILNS1_3genE10ELNS1_11target_archE1201ELNS1_3gpuE5ELNS1_3repE0EEENS1_30default_config_static_selectorELNS0_4arch9wavefront6targetE0EEEvT1_,"axG",@progbits,_ZN7rocprim17ROCPRIM_400000_NS6detail17trampoline_kernelINS0_14default_configENS1_25transform_config_selectorIN3c108BFloat16ELb1EEEZNS1_14transform_implILb1ES3_S7_PS6_S9_NS0_8identityIS6_EEEE10hipError_tT2_T3_mT4_P12ihipStream_tbEUlT_E_NS1_11comp_targetILNS1_3genE10ELNS1_11target_archE1201ELNS1_3gpuE5ELNS1_3repE0EEENS1_30default_config_static_selectorELNS0_4arch9wavefront6targetE0EEEvT1_,comdat
.Lfunc_end457:
	.size	_ZN7rocprim17ROCPRIM_400000_NS6detail17trampoline_kernelINS0_14default_configENS1_25transform_config_selectorIN3c108BFloat16ELb1EEEZNS1_14transform_implILb1ES3_S7_PS6_S9_NS0_8identityIS6_EEEE10hipError_tT2_T3_mT4_P12ihipStream_tbEUlT_E_NS1_11comp_targetILNS1_3genE10ELNS1_11target_archE1201ELNS1_3gpuE5ELNS1_3repE0EEENS1_30default_config_static_selectorELNS0_4arch9wavefront6targetE0EEEvT1_, .Lfunc_end457-_ZN7rocprim17ROCPRIM_400000_NS6detail17trampoline_kernelINS0_14default_configENS1_25transform_config_selectorIN3c108BFloat16ELb1EEEZNS1_14transform_implILb1ES3_S7_PS6_S9_NS0_8identityIS6_EEEE10hipError_tT2_T3_mT4_P12ihipStream_tbEUlT_E_NS1_11comp_targetILNS1_3genE10ELNS1_11target_archE1201ELNS1_3gpuE5ELNS1_3repE0EEENS1_30default_config_static_selectorELNS0_4arch9wavefront6targetE0EEEvT1_
                                        ; -- End function
	.section	.AMDGPU.csdata,"",@progbits
; Kernel info:
; codeLenInByte = 0
; NumSgprs: 0
; NumVgprs: 0
; ScratchSize: 0
; MemoryBound: 0
; FloatMode: 240
; IeeeMode: 1
; LDSByteSize: 0 bytes/workgroup (compile time only)
; SGPRBlocks: 0
; VGPRBlocks: 0
; NumSGPRsForWavesPerEU: 1
; NumVGPRsForWavesPerEU: 1
; Occupancy: 16
; WaveLimiterHint : 0
; COMPUTE_PGM_RSRC2:SCRATCH_EN: 0
; COMPUTE_PGM_RSRC2:USER_SGPR: 15
; COMPUTE_PGM_RSRC2:TRAP_HANDLER: 0
; COMPUTE_PGM_RSRC2:TGID_X_EN: 1
; COMPUTE_PGM_RSRC2:TGID_Y_EN: 0
; COMPUTE_PGM_RSRC2:TGID_Z_EN: 0
; COMPUTE_PGM_RSRC2:TIDIG_COMP_CNT: 0
	.section	.text._ZN7rocprim17ROCPRIM_400000_NS6detail17trampoline_kernelINS0_14default_configENS1_25transform_config_selectorIN3c108BFloat16ELb1EEEZNS1_14transform_implILb1ES3_S7_PS6_S9_NS0_8identityIS6_EEEE10hipError_tT2_T3_mT4_P12ihipStream_tbEUlT_E_NS1_11comp_targetILNS1_3genE5ELNS1_11target_archE942ELNS1_3gpuE9ELNS1_3repE0EEENS1_30default_config_static_selectorELNS0_4arch9wavefront6targetE0EEEvT1_,"axG",@progbits,_ZN7rocprim17ROCPRIM_400000_NS6detail17trampoline_kernelINS0_14default_configENS1_25transform_config_selectorIN3c108BFloat16ELb1EEEZNS1_14transform_implILb1ES3_S7_PS6_S9_NS0_8identityIS6_EEEE10hipError_tT2_T3_mT4_P12ihipStream_tbEUlT_E_NS1_11comp_targetILNS1_3genE5ELNS1_11target_archE942ELNS1_3gpuE9ELNS1_3repE0EEENS1_30default_config_static_selectorELNS0_4arch9wavefront6targetE0EEEvT1_,comdat
	.protected	_ZN7rocprim17ROCPRIM_400000_NS6detail17trampoline_kernelINS0_14default_configENS1_25transform_config_selectorIN3c108BFloat16ELb1EEEZNS1_14transform_implILb1ES3_S7_PS6_S9_NS0_8identityIS6_EEEE10hipError_tT2_T3_mT4_P12ihipStream_tbEUlT_E_NS1_11comp_targetILNS1_3genE5ELNS1_11target_archE942ELNS1_3gpuE9ELNS1_3repE0EEENS1_30default_config_static_selectorELNS0_4arch9wavefront6targetE0EEEvT1_ ; -- Begin function _ZN7rocprim17ROCPRIM_400000_NS6detail17trampoline_kernelINS0_14default_configENS1_25transform_config_selectorIN3c108BFloat16ELb1EEEZNS1_14transform_implILb1ES3_S7_PS6_S9_NS0_8identityIS6_EEEE10hipError_tT2_T3_mT4_P12ihipStream_tbEUlT_E_NS1_11comp_targetILNS1_3genE5ELNS1_11target_archE942ELNS1_3gpuE9ELNS1_3repE0EEENS1_30default_config_static_selectorELNS0_4arch9wavefront6targetE0EEEvT1_
	.globl	_ZN7rocprim17ROCPRIM_400000_NS6detail17trampoline_kernelINS0_14default_configENS1_25transform_config_selectorIN3c108BFloat16ELb1EEEZNS1_14transform_implILb1ES3_S7_PS6_S9_NS0_8identityIS6_EEEE10hipError_tT2_T3_mT4_P12ihipStream_tbEUlT_E_NS1_11comp_targetILNS1_3genE5ELNS1_11target_archE942ELNS1_3gpuE9ELNS1_3repE0EEENS1_30default_config_static_selectorELNS0_4arch9wavefront6targetE0EEEvT1_
	.p2align	8
	.type	_ZN7rocprim17ROCPRIM_400000_NS6detail17trampoline_kernelINS0_14default_configENS1_25transform_config_selectorIN3c108BFloat16ELb1EEEZNS1_14transform_implILb1ES3_S7_PS6_S9_NS0_8identityIS6_EEEE10hipError_tT2_T3_mT4_P12ihipStream_tbEUlT_E_NS1_11comp_targetILNS1_3genE5ELNS1_11target_archE942ELNS1_3gpuE9ELNS1_3repE0EEENS1_30default_config_static_selectorELNS0_4arch9wavefront6targetE0EEEvT1_,@function
_ZN7rocprim17ROCPRIM_400000_NS6detail17trampoline_kernelINS0_14default_configENS1_25transform_config_selectorIN3c108BFloat16ELb1EEEZNS1_14transform_implILb1ES3_S7_PS6_S9_NS0_8identityIS6_EEEE10hipError_tT2_T3_mT4_P12ihipStream_tbEUlT_E_NS1_11comp_targetILNS1_3genE5ELNS1_11target_archE942ELNS1_3gpuE9ELNS1_3repE0EEENS1_30default_config_static_selectorELNS0_4arch9wavefront6targetE0EEEvT1_: ; @_ZN7rocprim17ROCPRIM_400000_NS6detail17trampoline_kernelINS0_14default_configENS1_25transform_config_selectorIN3c108BFloat16ELb1EEEZNS1_14transform_implILb1ES3_S7_PS6_S9_NS0_8identityIS6_EEEE10hipError_tT2_T3_mT4_P12ihipStream_tbEUlT_E_NS1_11comp_targetILNS1_3genE5ELNS1_11target_archE942ELNS1_3gpuE9ELNS1_3repE0EEENS1_30default_config_static_selectorELNS0_4arch9wavefront6targetE0EEEvT1_
; %bb.0:
	.section	.rodata,"a",@progbits
	.p2align	6, 0x0
	.amdhsa_kernel _ZN7rocprim17ROCPRIM_400000_NS6detail17trampoline_kernelINS0_14default_configENS1_25transform_config_selectorIN3c108BFloat16ELb1EEEZNS1_14transform_implILb1ES3_S7_PS6_S9_NS0_8identityIS6_EEEE10hipError_tT2_T3_mT4_P12ihipStream_tbEUlT_E_NS1_11comp_targetILNS1_3genE5ELNS1_11target_archE942ELNS1_3gpuE9ELNS1_3repE0EEENS1_30default_config_static_selectorELNS0_4arch9wavefront6targetE0EEEvT1_
		.amdhsa_group_segment_fixed_size 0
		.amdhsa_private_segment_fixed_size 0
		.amdhsa_kernarg_size 40
		.amdhsa_user_sgpr_count 15
		.amdhsa_user_sgpr_dispatch_ptr 0
		.amdhsa_user_sgpr_queue_ptr 0
		.amdhsa_user_sgpr_kernarg_segment_ptr 1
		.amdhsa_user_sgpr_dispatch_id 0
		.amdhsa_user_sgpr_private_segment_size 0
		.amdhsa_wavefront_size32 1
		.amdhsa_uses_dynamic_stack 0
		.amdhsa_enable_private_segment 0
		.amdhsa_system_sgpr_workgroup_id_x 1
		.amdhsa_system_sgpr_workgroup_id_y 0
		.amdhsa_system_sgpr_workgroup_id_z 0
		.amdhsa_system_sgpr_workgroup_info 0
		.amdhsa_system_vgpr_workitem_id 0
		.amdhsa_next_free_vgpr 1
		.amdhsa_next_free_sgpr 1
		.amdhsa_reserve_vcc 0
		.amdhsa_float_round_mode_32 0
		.amdhsa_float_round_mode_16_64 0
		.amdhsa_float_denorm_mode_32 3
		.amdhsa_float_denorm_mode_16_64 3
		.amdhsa_dx10_clamp 1
		.amdhsa_ieee_mode 1
		.amdhsa_fp16_overflow 0
		.amdhsa_workgroup_processor_mode 1
		.amdhsa_memory_ordered 1
		.amdhsa_forward_progress 0
		.amdhsa_shared_vgpr_count 0
		.amdhsa_exception_fp_ieee_invalid_op 0
		.amdhsa_exception_fp_denorm_src 0
		.amdhsa_exception_fp_ieee_div_zero 0
		.amdhsa_exception_fp_ieee_overflow 0
		.amdhsa_exception_fp_ieee_underflow 0
		.amdhsa_exception_fp_ieee_inexact 0
		.amdhsa_exception_int_div_zero 0
	.end_amdhsa_kernel
	.section	.text._ZN7rocprim17ROCPRIM_400000_NS6detail17trampoline_kernelINS0_14default_configENS1_25transform_config_selectorIN3c108BFloat16ELb1EEEZNS1_14transform_implILb1ES3_S7_PS6_S9_NS0_8identityIS6_EEEE10hipError_tT2_T3_mT4_P12ihipStream_tbEUlT_E_NS1_11comp_targetILNS1_3genE5ELNS1_11target_archE942ELNS1_3gpuE9ELNS1_3repE0EEENS1_30default_config_static_selectorELNS0_4arch9wavefront6targetE0EEEvT1_,"axG",@progbits,_ZN7rocprim17ROCPRIM_400000_NS6detail17trampoline_kernelINS0_14default_configENS1_25transform_config_selectorIN3c108BFloat16ELb1EEEZNS1_14transform_implILb1ES3_S7_PS6_S9_NS0_8identityIS6_EEEE10hipError_tT2_T3_mT4_P12ihipStream_tbEUlT_E_NS1_11comp_targetILNS1_3genE5ELNS1_11target_archE942ELNS1_3gpuE9ELNS1_3repE0EEENS1_30default_config_static_selectorELNS0_4arch9wavefront6targetE0EEEvT1_,comdat
.Lfunc_end458:
	.size	_ZN7rocprim17ROCPRIM_400000_NS6detail17trampoline_kernelINS0_14default_configENS1_25transform_config_selectorIN3c108BFloat16ELb1EEEZNS1_14transform_implILb1ES3_S7_PS6_S9_NS0_8identityIS6_EEEE10hipError_tT2_T3_mT4_P12ihipStream_tbEUlT_E_NS1_11comp_targetILNS1_3genE5ELNS1_11target_archE942ELNS1_3gpuE9ELNS1_3repE0EEENS1_30default_config_static_selectorELNS0_4arch9wavefront6targetE0EEEvT1_, .Lfunc_end458-_ZN7rocprim17ROCPRIM_400000_NS6detail17trampoline_kernelINS0_14default_configENS1_25transform_config_selectorIN3c108BFloat16ELb1EEEZNS1_14transform_implILb1ES3_S7_PS6_S9_NS0_8identityIS6_EEEE10hipError_tT2_T3_mT4_P12ihipStream_tbEUlT_E_NS1_11comp_targetILNS1_3genE5ELNS1_11target_archE942ELNS1_3gpuE9ELNS1_3repE0EEENS1_30default_config_static_selectorELNS0_4arch9wavefront6targetE0EEEvT1_
                                        ; -- End function
	.section	.AMDGPU.csdata,"",@progbits
; Kernel info:
; codeLenInByte = 0
; NumSgprs: 0
; NumVgprs: 0
; ScratchSize: 0
; MemoryBound: 0
; FloatMode: 240
; IeeeMode: 1
; LDSByteSize: 0 bytes/workgroup (compile time only)
; SGPRBlocks: 0
; VGPRBlocks: 0
; NumSGPRsForWavesPerEU: 1
; NumVGPRsForWavesPerEU: 1
; Occupancy: 16
; WaveLimiterHint : 0
; COMPUTE_PGM_RSRC2:SCRATCH_EN: 0
; COMPUTE_PGM_RSRC2:USER_SGPR: 15
; COMPUTE_PGM_RSRC2:TRAP_HANDLER: 0
; COMPUTE_PGM_RSRC2:TGID_X_EN: 1
; COMPUTE_PGM_RSRC2:TGID_Y_EN: 0
; COMPUTE_PGM_RSRC2:TGID_Z_EN: 0
; COMPUTE_PGM_RSRC2:TIDIG_COMP_CNT: 0
	.section	.text._ZN7rocprim17ROCPRIM_400000_NS6detail17trampoline_kernelINS0_14default_configENS1_25transform_config_selectorIN3c108BFloat16ELb1EEEZNS1_14transform_implILb1ES3_S7_PS6_S9_NS0_8identityIS6_EEEE10hipError_tT2_T3_mT4_P12ihipStream_tbEUlT_E_NS1_11comp_targetILNS1_3genE4ELNS1_11target_archE910ELNS1_3gpuE8ELNS1_3repE0EEENS1_30default_config_static_selectorELNS0_4arch9wavefront6targetE0EEEvT1_,"axG",@progbits,_ZN7rocprim17ROCPRIM_400000_NS6detail17trampoline_kernelINS0_14default_configENS1_25transform_config_selectorIN3c108BFloat16ELb1EEEZNS1_14transform_implILb1ES3_S7_PS6_S9_NS0_8identityIS6_EEEE10hipError_tT2_T3_mT4_P12ihipStream_tbEUlT_E_NS1_11comp_targetILNS1_3genE4ELNS1_11target_archE910ELNS1_3gpuE8ELNS1_3repE0EEENS1_30default_config_static_selectorELNS0_4arch9wavefront6targetE0EEEvT1_,comdat
	.protected	_ZN7rocprim17ROCPRIM_400000_NS6detail17trampoline_kernelINS0_14default_configENS1_25transform_config_selectorIN3c108BFloat16ELb1EEEZNS1_14transform_implILb1ES3_S7_PS6_S9_NS0_8identityIS6_EEEE10hipError_tT2_T3_mT4_P12ihipStream_tbEUlT_E_NS1_11comp_targetILNS1_3genE4ELNS1_11target_archE910ELNS1_3gpuE8ELNS1_3repE0EEENS1_30default_config_static_selectorELNS0_4arch9wavefront6targetE0EEEvT1_ ; -- Begin function _ZN7rocprim17ROCPRIM_400000_NS6detail17trampoline_kernelINS0_14default_configENS1_25transform_config_selectorIN3c108BFloat16ELb1EEEZNS1_14transform_implILb1ES3_S7_PS6_S9_NS0_8identityIS6_EEEE10hipError_tT2_T3_mT4_P12ihipStream_tbEUlT_E_NS1_11comp_targetILNS1_3genE4ELNS1_11target_archE910ELNS1_3gpuE8ELNS1_3repE0EEENS1_30default_config_static_selectorELNS0_4arch9wavefront6targetE0EEEvT1_
	.globl	_ZN7rocprim17ROCPRIM_400000_NS6detail17trampoline_kernelINS0_14default_configENS1_25transform_config_selectorIN3c108BFloat16ELb1EEEZNS1_14transform_implILb1ES3_S7_PS6_S9_NS0_8identityIS6_EEEE10hipError_tT2_T3_mT4_P12ihipStream_tbEUlT_E_NS1_11comp_targetILNS1_3genE4ELNS1_11target_archE910ELNS1_3gpuE8ELNS1_3repE0EEENS1_30default_config_static_selectorELNS0_4arch9wavefront6targetE0EEEvT1_
	.p2align	8
	.type	_ZN7rocprim17ROCPRIM_400000_NS6detail17trampoline_kernelINS0_14default_configENS1_25transform_config_selectorIN3c108BFloat16ELb1EEEZNS1_14transform_implILb1ES3_S7_PS6_S9_NS0_8identityIS6_EEEE10hipError_tT2_T3_mT4_P12ihipStream_tbEUlT_E_NS1_11comp_targetILNS1_3genE4ELNS1_11target_archE910ELNS1_3gpuE8ELNS1_3repE0EEENS1_30default_config_static_selectorELNS0_4arch9wavefront6targetE0EEEvT1_,@function
_ZN7rocprim17ROCPRIM_400000_NS6detail17trampoline_kernelINS0_14default_configENS1_25transform_config_selectorIN3c108BFloat16ELb1EEEZNS1_14transform_implILb1ES3_S7_PS6_S9_NS0_8identityIS6_EEEE10hipError_tT2_T3_mT4_P12ihipStream_tbEUlT_E_NS1_11comp_targetILNS1_3genE4ELNS1_11target_archE910ELNS1_3gpuE8ELNS1_3repE0EEENS1_30default_config_static_selectorELNS0_4arch9wavefront6targetE0EEEvT1_: ; @_ZN7rocprim17ROCPRIM_400000_NS6detail17trampoline_kernelINS0_14default_configENS1_25transform_config_selectorIN3c108BFloat16ELb1EEEZNS1_14transform_implILb1ES3_S7_PS6_S9_NS0_8identityIS6_EEEE10hipError_tT2_T3_mT4_P12ihipStream_tbEUlT_E_NS1_11comp_targetILNS1_3genE4ELNS1_11target_archE910ELNS1_3gpuE8ELNS1_3repE0EEENS1_30default_config_static_selectorELNS0_4arch9wavefront6targetE0EEEvT1_
; %bb.0:
	.section	.rodata,"a",@progbits
	.p2align	6, 0x0
	.amdhsa_kernel _ZN7rocprim17ROCPRIM_400000_NS6detail17trampoline_kernelINS0_14default_configENS1_25transform_config_selectorIN3c108BFloat16ELb1EEEZNS1_14transform_implILb1ES3_S7_PS6_S9_NS0_8identityIS6_EEEE10hipError_tT2_T3_mT4_P12ihipStream_tbEUlT_E_NS1_11comp_targetILNS1_3genE4ELNS1_11target_archE910ELNS1_3gpuE8ELNS1_3repE0EEENS1_30default_config_static_selectorELNS0_4arch9wavefront6targetE0EEEvT1_
		.amdhsa_group_segment_fixed_size 0
		.amdhsa_private_segment_fixed_size 0
		.amdhsa_kernarg_size 40
		.amdhsa_user_sgpr_count 15
		.amdhsa_user_sgpr_dispatch_ptr 0
		.amdhsa_user_sgpr_queue_ptr 0
		.amdhsa_user_sgpr_kernarg_segment_ptr 1
		.amdhsa_user_sgpr_dispatch_id 0
		.amdhsa_user_sgpr_private_segment_size 0
		.amdhsa_wavefront_size32 1
		.amdhsa_uses_dynamic_stack 0
		.amdhsa_enable_private_segment 0
		.amdhsa_system_sgpr_workgroup_id_x 1
		.amdhsa_system_sgpr_workgroup_id_y 0
		.amdhsa_system_sgpr_workgroup_id_z 0
		.amdhsa_system_sgpr_workgroup_info 0
		.amdhsa_system_vgpr_workitem_id 0
		.amdhsa_next_free_vgpr 1
		.amdhsa_next_free_sgpr 1
		.amdhsa_reserve_vcc 0
		.amdhsa_float_round_mode_32 0
		.amdhsa_float_round_mode_16_64 0
		.amdhsa_float_denorm_mode_32 3
		.amdhsa_float_denorm_mode_16_64 3
		.amdhsa_dx10_clamp 1
		.amdhsa_ieee_mode 1
		.amdhsa_fp16_overflow 0
		.amdhsa_workgroup_processor_mode 1
		.amdhsa_memory_ordered 1
		.amdhsa_forward_progress 0
		.amdhsa_shared_vgpr_count 0
		.amdhsa_exception_fp_ieee_invalid_op 0
		.amdhsa_exception_fp_denorm_src 0
		.amdhsa_exception_fp_ieee_div_zero 0
		.amdhsa_exception_fp_ieee_overflow 0
		.amdhsa_exception_fp_ieee_underflow 0
		.amdhsa_exception_fp_ieee_inexact 0
		.amdhsa_exception_int_div_zero 0
	.end_amdhsa_kernel
	.section	.text._ZN7rocprim17ROCPRIM_400000_NS6detail17trampoline_kernelINS0_14default_configENS1_25transform_config_selectorIN3c108BFloat16ELb1EEEZNS1_14transform_implILb1ES3_S7_PS6_S9_NS0_8identityIS6_EEEE10hipError_tT2_T3_mT4_P12ihipStream_tbEUlT_E_NS1_11comp_targetILNS1_3genE4ELNS1_11target_archE910ELNS1_3gpuE8ELNS1_3repE0EEENS1_30default_config_static_selectorELNS0_4arch9wavefront6targetE0EEEvT1_,"axG",@progbits,_ZN7rocprim17ROCPRIM_400000_NS6detail17trampoline_kernelINS0_14default_configENS1_25transform_config_selectorIN3c108BFloat16ELb1EEEZNS1_14transform_implILb1ES3_S7_PS6_S9_NS0_8identityIS6_EEEE10hipError_tT2_T3_mT4_P12ihipStream_tbEUlT_E_NS1_11comp_targetILNS1_3genE4ELNS1_11target_archE910ELNS1_3gpuE8ELNS1_3repE0EEENS1_30default_config_static_selectorELNS0_4arch9wavefront6targetE0EEEvT1_,comdat
.Lfunc_end459:
	.size	_ZN7rocprim17ROCPRIM_400000_NS6detail17trampoline_kernelINS0_14default_configENS1_25transform_config_selectorIN3c108BFloat16ELb1EEEZNS1_14transform_implILb1ES3_S7_PS6_S9_NS0_8identityIS6_EEEE10hipError_tT2_T3_mT4_P12ihipStream_tbEUlT_E_NS1_11comp_targetILNS1_3genE4ELNS1_11target_archE910ELNS1_3gpuE8ELNS1_3repE0EEENS1_30default_config_static_selectorELNS0_4arch9wavefront6targetE0EEEvT1_, .Lfunc_end459-_ZN7rocprim17ROCPRIM_400000_NS6detail17trampoline_kernelINS0_14default_configENS1_25transform_config_selectorIN3c108BFloat16ELb1EEEZNS1_14transform_implILb1ES3_S7_PS6_S9_NS0_8identityIS6_EEEE10hipError_tT2_T3_mT4_P12ihipStream_tbEUlT_E_NS1_11comp_targetILNS1_3genE4ELNS1_11target_archE910ELNS1_3gpuE8ELNS1_3repE0EEENS1_30default_config_static_selectorELNS0_4arch9wavefront6targetE0EEEvT1_
                                        ; -- End function
	.section	.AMDGPU.csdata,"",@progbits
; Kernel info:
; codeLenInByte = 0
; NumSgprs: 0
; NumVgprs: 0
; ScratchSize: 0
; MemoryBound: 0
; FloatMode: 240
; IeeeMode: 1
; LDSByteSize: 0 bytes/workgroup (compile time only)
; SGPRBlocks: 0
; VGPRBlocks: 0
; NumSGPRsForWavesPerEU: 1
; NumVGPRsForWavesPerEU: 1
; Occupancy: 16
; WaveLimiterHint : 0
; COMPUTE_PGM_RSRC2:SCRATCH_EN: 0
; COMPUTE_PGM_RSRC2:USER_SGPR: 15
; COMPUTE_PGM_RSRC2:TRAP_HANDLER: 0
; COMPUTE_PGM_RSRC2:TGID_X_EN: 1
; COMPUTE_PGM_RSRC2:TGID_Y_EN: 0
; COMPUTE_PGM_RSRC2:TGID_Z_EN: 0
; COMPUTE_PGM_RSRC2:TIDIG_COMP_CNT: 0
	.section	.text._ZN7rocprim17ROCPRIM_400000_NS6detail17trampoline_kernelINS0_14default_configENS1_25transform_config_selectorIN3c108BFloat16ELb1EEEZNS1_14transform_implILb1ES3_S7_PS6_S9_NS0_8identityIS6_EEEE10hipError_tT2_T3_mT4_P12ihipStream_tbEUlT_E_NS1_11comp_targetILNS1_3genE3ELNS1_11target_archE908ELNS1_3gpuE7ELNS1_3repE0EEENS1_30default_config_static_selectorELNS0_4arch9wavefront6targetE0EEEvT1_,"axG",@progbits,_ZN7rocprim17ROCPRIM_400000_NS6detail17trampoline_kernelINS0_14default_configENS1_25transform_config_selectorIN3c108BFloat16ELb1EEEZNS1_14transform_implILb1ES3_S7_PS6_S9_NS0_8identityIS6_EEEE10hipError_tT2_T3_mT4_P12ihipStream_tbEUlT_E_NS1_11comp_targetILNS1_3genE3ELNS1_11target_archE908ELNS1_3gpuE7ELNS1_3repE0EEENS1_30default_config_static_selectorELNS0_4arch9wavefront6targetE0EEEvT1_,comdat
	.protected	_ZN7rocprim17ROCPRIM_400000_NS6detail17trampoline_kernelINS0_14default_configENS1_25transform_config_selectorIN3c108BFloat16ELb1EEEZNS1_14transform_implILb1ES3_S7_PS6_S9_NS0_8identityIS6_EEEE10hipError_tT2_T3_mT4_P12ihipStream_tbEUlT_E_NS1_11comp_targetILNS1_3genE3ELNS1_11target_archE908ELNS1_3gpuE7ELNS1_3repE0EEENS1_30default_config_static_selectorELNS0_4arch9wavefront6targetE0EEEvT1_ ; -- Begin function _ZN7rocprim17ROCPRIM_400000_NS6detail17trampoline_kernelINS0_14default_configENS1_25transform_config_selectorIN3c108BFloat16ELb1EEEZNS1_14transform_implILb1ES3_S7_PS6_S9_NS0_8identityIS6_EEEE10hipError_tT2_T3_mT4_P12ihipStream_tbEUlT_E_NS1_11comp_targetILNS1_3genE3ELNS1_11target_archE908ELNS1_3gpuE7ELNS1_3repE0EEENS1_30default_config_static_selectorELNS0_4arch9wavefront6targetE0EEEvT1_
	.globl	_ZN7rocprim17ROCPRIM_400000_NS6detail17trampoline_kernelINS0_14default_configENS1_25transform_config_selectorIN3c108BFloat16ELb1EEEZNS1_14transform_implILb1ES3_S7_PS6_S9_NS0_8identityIS6_EEEE10hipError_tT2_T3_mT4_P12ihipStream_tbEUlT_E_NS1_11comp_targetILNS1_3genE3ELNS1_11target_archE908ELNS1_3gpuE7ELNS1_3repE0EEENS1_30default_config_static_selectorELNS0_4arch9wavefront6targetE0EEEvT1_
	.p2align	8
	.type	_ZN7rocprim17ROCPRIM_400000_NS6detail17trampoline_kernelINS0_14default_configENS1_25transform_config_selectorIN3c108BFloat16ELb1EEEZNS1_14transform_implILb1ES3_S7_PS6_S9_NS0_8identityIS6_EEEE10hipError_tT2_T3_mT4_P12ihipStream_tbEUlT_E_NS1_11comp_targetILNS1_3genE3ELNS1_11target_archE908ELNS1_3gpuE7ELNS1_3repE0EEENS1_30default_config_static_selectorELNS0_4arch9wavefront6targetE0EEEvT1_,@function
_ZN7rocprim17ROCPRIM_400000_NS6detail17trampoline_kernelINS0_14default_configENS1_25transform_config_selectorIN3c108BFloat16ELb1EEEZNS1_14transform_implILb1ES3_S7_PS6_S9_NS0_8identityIS6_EEEE10hipError_tT2_T3_mT4_P12ihipStream_tbEUlT_E_NS1_11comp_targetILNS1_3genE3ELNS1_11target_archE908ELNS1_3gpuE7ELNS1_3repE0EEENS1_30default_config_static_selectorELNS0_4arch9wavefront6targetE0EEEvT1_: ; @_ZN7rocprim17ROCPRIM_400000_NS6detail17trampoline_kernelINS0_14default_configENS1_25transform_config_selectorIN3c108BFloat16ELb1EEEZNS1_14transform_implILb1ES3_S7_PS6_S9_NS0_8identityIS6_EEEE10hipError_tT2_T3_mT4_P12ihipStream_tbEUlT_E_NS1_11comp_targetILNS1_3genE3ELNS1_11target_archE908ELNS1_3gpuE7ELNS1_3repE0EEENS1_30default_config_static_selectorELNS0_4arch9wavefront6targetE0EEEvT1_
; %bb.0:
	.section	.rodata,"a",@progbits
	.p2align	6, 0x0
	.amdhsa_kernel _ZN7rocprim17ROCPRIM_400000_NS6detail17trampoline_kernelINS0_14default_configENS1_25transform_config_selectorIN3c108BFloat16ELb1EEEZNS1_14transform_implILb1ES3_S7_PS6_S9_NS0_8identityIS6_EEEE10hipError_tT2_T3_mT4_P12ihipStream_tbEUlT_E_NS1_11comp_targetILNS1_3genE3ELNS1_11target_archE908ELNS1_3gpuE7ELNS1_3repE0EEENS1_30default_config_static_selectorELNS0_4arch9wavefront6targetE0EEEvT1_
		.amdhsa_group_segment_fixed_size 0
		.amdhsa_private_segment_fixed_size 0
		.amdhsa_kernarg_size 40
		.amdhsa_user_sgpr_count 15
		.amdhsa_user_sgpr_dispatch_ptr 0
		.amdhsa_user_sgpr_queue_ptr 0
		.amdhsa_user_sgpr_kernarg_segment_ptr 1
		.amdhsa_user_sgpr_dispatch_id 0
		.amdhsa_user_sgpr_private_segment_size 0
		.amdhsa_wavefront_size32 1
		.amdhsa_uses_dynamic_stack 0
		.amdhsa_enable_private_segment 0
		.amdhsa_system_sgpr_workgroup_id_x 1
		.amdhsa_system_sgpr_workgroup_id_y 0
		.amdhsa_system_sgpr_workgroup_id_z 0
		.amdhsa_system_sgpr_workgroup_info 0
		.amdhsa_system_vgpr_workitem_id 0
		.amdhsa_next_free_vgpr 1
		.amdhsa_next_free_sgpr 1
		.amdhsa_reserve_vcc 0
		.amdhsa_float_round_mode_32 0
		.amdhsa_float_round_mode_16_64 0
		.amdhsa_float_denorm_mode_32 3
		.amdhsa_float_denorm_mode_16_64 3
		.amdhsa_dx10_clamp 1
		.amdhsa_ieee_mode 1
		.amdhsa_fp16_overflow 0
		.amdhsa_workgroup_processor_mode 1
		.amdhsa_memory_ordered 1
		.amdhsa_forward_progress 0
		.amdhsa_shared_vgpr_count 0
		.amdhsa_exception_fp_ieee_invalid_op 0
		.amdhsa_exception_fp_denorm_src 0
		.amdhsa_exception_fp_ieee_div_zero 0
		.amdhsa_exception_fp_ieee_overflow 0
		.amdhsa_exception_fp_ieee_underflow 0
		.amdhsa_exception_fp_ieee_inexact 0
		.amdhsa_exception_int_div_zero 0
	.end_amdhsa_kernel
	.section	.text._ZN7rocprim17ROCPRIM_400000_NS6detail17trampoline_kernelINS0_14default_configENS1_25transform_config_selectorIN3c108BFloat16ELb1EEEZNS1_14transform_implILb1ES3_S7_PS6_S9_NS0_8identityIS6_EEEE10hipError_tT2_T3_mT4_P12ihipStream_tbEUlT_E_NS1_11comp_targetILNS1_3genE3ELNS1_11target_archE908ELNS1_3gpuE7ELNS1_3repE0EEENS1_30default_config_static_selectorELNS0_4arch9wavefront6targetE0EEEvT1_,"axG",@progbits,_ZN7rocprim17ROCPRIM_400000_NS6detail17trampoline_kernelINS0_14default_configENS1_25transform_config_selectorIN3c108BFloat16ELb1EEEZNS1_14transform_implILb1ES3_S7_PS6_S9_NS0_8identityIS6_EEEE10hipError_tT2_T3_mT4_P12ihipStream_tbEUlT_E_NS1_11comp_targetILNS1_3genE3ELNS1_11target_archE908ELNS1_3gpuE7ELNS1_3repE0EEENS1_30default_config_static_selectorELNS0_4arch9wavefront6targetE0EEEvT1_,comdat
.Lfunc_end460:
	.size	_ZN7rocprim17ROCPRIM_400000_NS6detail17trampoline_kernelINS0_14default_configENS1_25transform_config_selectorIN3c108BFloat16ELb1EEEZNS1_14transform_implILb1ES3_S7_PS6_S9_NS0_8identityIS6_EEEE10hipError_tT2_T3_mT4_P12ihipStream_tbEUlT_E_NS1_11comp_targetILNS1_3genE3ELNS1_11target_archE908ELNS1_3gpuE7ELNS1_3repE0EEENS1_30default_config_static_selectorELNS0_4arch9wavefront6targetE0EEEvT1_, .Lfunc_end460-_ZN7rocprim17ROCPRIM_400000_NS6detail17trampoline_kernelINS0_14default_configENS1_25transform_config_selectorIN3c108BFloat16ELb1EEEZNS1_14transform_implILb1ES3_S7_PS6_S9_NS0_8identityIS6_EEEE10hipError_tT2_T3_mT4_P12ihipStream_tbEUlT_E_NS1_11comp_targetILNS1_3genE3ELNS1_11target_archE908ELNS1_3gpuE7ELNS1_3repE0EEENS1_30default_config_static_selectorELNS0_4arch9wavefront6targetE0EEEvT1_
                                        ; -- End function
	.section	.AMDGPU.csdata,"",@progbits
; Kernel info:
; codeLenInByte = 0
; NumSgprs: 0
; NumVgprs: 0
; ScratchSize: 0
; MemoryBound: 0
; FloatMode: 240
; IeeeMode: 1
; LDSByteSize: 0 bytes/workgroup (compile time only)
; SGPRBlocks: 0
; VGPRBlocks: 0
; NumSGPRsForWavesPerEU: 1
; NumVGPRsForWavesPerEU: 1
; Occupancy: 16
; WaveLimiterHint : 0
; COMPUTE_PGM_RSRC2:SCRATCH_EN: 0
; COMPUTE_PGM_RSRC2:USER_SGPR: 15
; COMPUTE_PGM_RSRC2:TRAP_HANDLER: 0
; COMPUTE_PGM_RSRC2:TGID_X_EN: 1
; COMPUTE_PGM_RSRC2:TGID_Y_EN: 0
; COMPUTE_PGM_RSRC2:TGID_Z_EN: 0
; COMPUTE_PGM_RSRC2:TIDIG_COMP_CNT: 0
	.section	.text._ZN7rocprim17ROCPRIM_400000_NS6detail17trampoline_kernelINS0_14default_configENS1_25transform_config_selectorIN3c108BFloat16ELb1EEEZNS1_14transform_implILb1ES3_S7_PS6_S9_NS0_8identityIS6_EEEE10hipError_tT2_T3_mT4_P12ihipStream_tbEUlT_E_NS1_11comp_targetILNS1_3genE2ELNS1_11target_archE906ELNS1_3gpuE6ELNS1_3repE0EEENS1_30default_config_static_selectorELNS0_4arch9wavefront6targetE0EEEvT1_,"axG",@progbits,_ZN7rocprim17ROCPRIM_400000_NS6detail17trampoline_kernelINS0_14default_configENS1_25transform_config_selectorIN3c108BFloat16ELb1EEEZNS1_14transform_implILb1ES3_S7_PS6_S9_NS0_8identityIS6_EEEE10hipError_tT2_T3_mT4_P12ihipStream_tbEUlT_E_NS1_11comp_targetILNS1_3genE2ELNS1_11target_archE906ELNS1_3gpuE6ELNS1_3repE0EEENS1_30default_config_static_selectorELNS0_4arch9wavefront6targetE0EEEvT1_,comdat
	.protected	_ZN7rocprim17ROCPRIM_400000_NS6detail17trampoline_kernelINS0_14default_configENS1_25transform_config_selectorIN3c108BFloat16ELb1EEEZNS1_14transform_implILb1ES3_S7_PS6_S9_NS0_8identityIS6_EEEE10hipError_tT2_T3_mT4_P12ihipStream_tbEUlT_E_NS1_11comp_targetILNS1_3genE2ELNS1_11target_archE906ELNS1_3gpuE6ELNS1_3repE0EEENS1_30default_config_static_selectorELNS0_4arch9wavefront6targetE0EEEvT1_ ; -- Begin function _ZN7rocprim17ROCPRIM_400000_NS6detail17trampoline_kernelINS0_14default_configENS1_25transform_config_selectorIN3c108BFloat16ELb1EEEZNS1_14transform_implILb1ES3_S7_PS6_S9_NS0_8identityIS6_EEEE10hipError_tT2_T3_mT4_P12ihipStream_tbEUlT_E_NS1_11comp_targetILNS1_3genE2ELNS1_11target_archE906ELNS1_3gpuE6ELNS1_3repE0EEENS1_30default_config_static_selectorELNS0_4arch9wavefront6targetE0EEEvT1_
	.globl	_ZN7rocprim17ROCPRIM_400000_NS6detail17trampoline_kernelINS0_14default_configENS1_25transform_config_selectorIN3c108BFloat16ELb1EEEZNS1_14transform_implILb1ES3_S7_PS6_S9_NS0_8identityIS6_EEEE10hipError_tT2_T3_mT4_P12ihipStream_tbEUlT_E_NS1_11comp_targetILNS1_3genE2ELNS1_11target_archE906ELNS1_3gpuE6ELNS1_3repE0EEENS1_30default_config_static_selectorELNS0_4arch9wavefront6targetE0EEEvT1_
	.p2align	8
	.type	_ZN7rocprim17ROCPRIM_400000_NS6detail17trampoline_kernelINS0_14default_configENS1_25transform_config_selectorIN3c108BFloat16ELb1EEEZNS1_14transform_implILb1ES3_S7_PS6_S9_NS0_8identityIS6_EEEE10hipError_tT2_T3_mT4_P12ihipStream_tbEUlT_E_NS1_11comp_targetILNS1_3genE2ELNS1_11target_archE906ELNS1_3gpuE6ELNS1_3repE0EEENS1_30default_config_static_selectorELNS0_4arch9wavefront6targetE0EEEvT1_,@function
_ZN7rocprim17ROCPRIM_400000_NS6detail17trampoline_kernelINS0_14default_configENS1_25transform_config_selectorIN3c108BFloat16ELb1EEEZNS1_14transform_implILb1ES3_S7_PS6_S9_NS0_8identityIS6_EEEE10hipError_tT2_T3_mT4_P12ihipStream_tbEUlT_E_NS1_11comp_targetILNS1_3genE2ELNS1_11target_archE906ELNS1_3gpuE6ELNS1_3repE0EEENS1_30default_config_static_selectorELNS0_4arch9wavefront6targetE0EEEvT1_: ; @_ZN7rocprim17ROCPRIM_400000_NS6detail17trampoline_kernelINS0_14default_configENS1_25transform_config_selectorIN3c108BFloat16ELb1EEEZNS1_14transform_implILb1ES3_S7_PS6_S9_NS0_8identityIS6_EEEE10hipError_tT2_T3_mT4_P12ihipStream_tbEUlT_E_NS1_11comp_targetILNS1_3genE2ELNS1_11target_archE906ELNS1_3gpuE6ELNS1_3repE0EEENS1_30default_config_static_selectorELNS0_4arch9wavefront6targetE0EEEvT1_
; %bb.0:
	.section	.rodata,"a",@progbits
	.p2align	6, 0x0
	.amdhsa_kernel _ZN7rocprim17ROCPRIM_400000_NS6detail17trampoline_kernelINS0_14default_configENS1_25transform_config_selectorIN3c108BFloat16ELb1EEEZNS1_14transform_implILb1ES3_S7_PS6_S9_NS0_8identityIS6_EEEE10hipError_tT2_T3_mT4_P12ihipStream_tbEUlT_E_NS1_11comp_targetILNS1_3genE2ELNS1_11target_archE906ELNS1_3gpuE6ELNS1_3repE0EEENS1_30default_config_static_selectorELNS0_4arch9wavefront6targetE0EEEvT1_
		.amdhsa_group_segment_fixed_size 0
		.amdhsa_private_segment_fixed_size 0
		.amdhsa_kernarg_size 40
		.amdhsa_user_sgpr_count 15
		.amdhsa_user_sgpr_dispatch_ptr 0
		.amdhsa_user_sgpr_queue_ptr 0
		.amdhsa_user_sgpr_kernarg_segment_ptr 1
		.amdhsa_user_sgpr_dispatch_id 0
		.amdhsa_user_sgpr_private_segment_size 0
		.amdhsa_wavefront_size32 1
		.amdhsa_uses_dynamic_stack 0
		.amdhsa_enable_private_segment 0
		.amdhsa_system_sgpr_workgroup_id_x 1
		.amdhsa_system_sgpr_workgroup_id_y 0
		.amdhsa_system_sgpr_workgroup_id_z 0
		.amdhsa_system_sgpr_workgroup_info 0
		.amdhsa_system_vgpr_workitem_id 0
		.amdhsa_next_free_vgpr 1
		.amdhsa_next_free_sgpr 1
		.amdhsa_reserve_vcc 0
		.amdhsa_float_round_mode_32 0
		.amdhsa_float_round_mode_16_64 0
		.amdhsa_float_denorm_mode_32 3
		.amdhsa_float_denorm_mode_16_64 3
		.amdhsa_dx10_clamp 1
		.amdhsa_ieee_mode 1
		.amdhsa_fp16_overflow 0
		.amdhsa_workgroup_processor_mode 1
		.amdhsa_memory_ordered 1
		.amdhsa_forward_progress 0
		.amdhsa_shared_vgpr_count 0
		.amdhsa_exception_fp_ieee_invalid_op 0
		.amdhsa_exception_fp_denorm_src 0
		.amdhsa_exception_fp_ieee_div_zero 0
		.amdhsa_exception_fp_ieee_overflow 0
		.amdhsa_exception_fp_ieee_underflow 0
		.amdhsa_exception_fp_ieee_inexact 0
		.amdhsa_exception_int_div_zero 0
	.end_amdhsa_kernel
	.section	.text._ZN7rocprim17ROCPRIM_400000_NS6detail17trampoline_kernelINS0_14default_configENS1_25transform_config_selectorIN3c108BFloat16ELb1EEEZNS1_14transform_implILb1ES3_S7_PS6_S9_NS0_8identityIS6_EEEE10hipError_tT2_T3_mT4_P12ihipStream_tbEUlT_E_NS1_11comp_targetILNS1_3genE2ELNS1_11target_archE906ELNS1_3gpuE6ELNS1_3repE0EEENS1_30default_config_static_selectorELNS0_4arch9wavefront6targetE0EEEvT1_,"axG",@progbits,_ZN7rocprim17ROCPRIM_400000_NS6detail17trampoline_kernelINS0_14default_configENS1_25transform_config_selectorIN3c108BFloat16ELb1EEEZNS1_14transform_implILb1ES3_S7_PS6_S9_NS0_8identityIS6_EEEE10hipError_tT2_T3_mT4_P12ihipStream_tbEUlT_E_NS1_11comp_targetILNS1_3genE2ELNS1_11target_archE906ELNS1_3gpuE6ELNS1_3repE0EEENS1_30default_config_static_selectorELNS0_4arch9wavefront6targetE0EEEvT1_,comdat
.Lfunc_end461:
	.size	_ZN7rocprim17ROCPRIM_400000_NS6detail17trampoline_kernelINS0_14default_configENS1_25transform_config_selectorIN3c108BFloat16ELb1EEEZNS1_14transform_implILb1ES3_S7_PS6_S9_NS0_8identityIS6_EEEE10hipError_tT2_T3_mT4_P12ihipStream_tbEUlT_E_NS1_11comp_targetILNS1_3genE2ELNS1_11target_archE906ELNS1_3gpuE6ELNS1_3repE0EEENS1_30default_config_static_selectorELNS0_4arch9wavefront6targetE0EEEvT1_, .Lfunc_end461-_ZN7rocprim17ROCPRIM_400000_NS6detail17trampoline_kernelINS0_14default_configENS1_25transform_config_selectorIN3c108BFloat16ELb1EEEZNS1_14transform_implILb1ES3_S7_PS6_S9_NS0_8identityIS6_EEEE10hipError_tT2_T3_mT4_P12ihipStream_tbEUlT_E_NS1_11comp_targetILNS1_3genE2ELNS1_11target_archE906ELNS1_3gpuE6ELNS1_3repE0EEENS1_30default_config_static_selectorELNS0_4arch9wavefront6targetE0EEEvT1_
                                        ; -- End function
	.section	.AMDGPU.csdata,"",@progbits
; Kernel info:
; codeLenInByte = 0
; NumSgprs: 0
; NumVgprs: 0
; ScratchSize: 0
; MemoryBound: 0
; FloatMode: 240
; IeeeMode: 1
; LDSByteSize: 0 bytes/workgroup (compile time only)
; SGPRBlocks: 0
; VGPRBlocks: 0
; NumSGPRsForWavesPerEU: 1
; NumVGPRsForWavesPerEU: 1
; Occupancy: 16
; WaveLimiterHint : 0
; COMPUTE_PGM_RSRC2:SCRATCH_EN: 0
; COMPUTE_PGM_RSRC2:USER_SGPR: 15
; COMPUTE_PGM_RSRC2:TRAP_HANDLER: 0
; COMPUTE_PGM_RSRC2:TGID_X_EN: 1
; COMPUTE_PGM_RSRC2:TGID_Y_EN: 0
; COMPUTE_PGM_RSRC2:TGID_Z_EN: 0
; COMPUTE_PGM_RSRC2:TIDIG_COMP_CNT: 0
	.section	.text._ZN7rocprim17ROCPRIM_400000_NS6detail17trampoline_kernelINS0_14default_configENS1_25transform_config_selectorIN3c108BFloat16ELb1EEEZNS1_14transform_implILb1ES3_S7_PS6_S9_NS0_8identityIS6_EEEE10hipError_tT2_T3_mT4_P12ihipStream_tbEUlT_E_NS1_11comp_targetILNS1_3genE9ELNS1_11target_archE1100ELNS1_3gpuE3ELNS1_3repE0EEENS1_30default_config_static_selectorELNS0_4arch9wavefront6targetE0EEEvT1_,"axG",@progbits,_ZN7rocprim17ROCPRIM_400000_NS6detail17trampoline_kernelINS0_14default_configENS1_25transform_config_selectorIN3c108BFloat16ELb1EEEZNS1_14transform_implILb1ES3_S7_PS6_S9_NS0_8identityIS6_EEEE10hipError_tT2_T3_mT4_P12ihipStream_tbEUlT_E_NS1_11comp_targetILNS1_3genE9ELNS1_11target_archE1100ELNS1_3gpuE3ELNS1_3repE0EEENS1_30default_config_static_selectorELNS0_4arch9wavefront6targetE0EEEvT1_,comdat
	.protected	_ZN7rocprim17ROCPRIM_400000_NS6detail17trampoline_kernelINS0_14default_configENS1_25transform_config_selectorIN3c108BFloat16ELb1EEEZNS1_14transform_implILb1ES3_S7_PS6_S9_NS0_8identityIS6_EEEE10hipError_tT2_T3_mT4_P12ihipStream_tbEUlT_E_NS1_11comp_targetILNS1_3genE9ELNS1_11target_archE1100ELNS1_3gpuE3ELNS1_3repE0EEENS1_30default_config_static_selectorELNS0_4arch9wavefront6targetE0EEEvT1_ ; -- Begin function _ZN7rocprim17ROCPRIM_400000_NS6detail17trampoline_kernelINS0_14default_configENS1_25transform_config_selectorIN3c108BFloat16ELb1EEEZNS1_14transform_implILb1ES3_S7_PS6_S9_NS0_8identityIS6_EEEE10hipError_tT2_T3_mT4_P12ihipStream_tbEUlT_E_NS1_11comp_targetILNS1_3genE9ELNS1_11target_archE1100ELNS1_3gpuE3ELNS1_3repE0EEENS1_30default_config_static_selectorELNS0_4arch9wavefront6targetE0EEEvT1_
	.globl	_ZN7rocprim17ROCPRIM_400000_NS6detail17trampoline_kernelINS0_14default_configENS1_25transform_config_selectorIN3c108BFloat16ELb1EEEZNS1_14transform_implILb1ES3_S7_PS6_S9_NS0_8identityIS6_EEEE10hipError_tT2_T3_mT4_P12ihipStream_tbEUlT_E_NS1_11comp_targetILNS1_3genE9ELNS1_11target_archE1100ELNS1_3gpuE3ELNS1_3repE0EEENS1_30default_config_static_selectorELNS0_4arch9wavefront6targetE0EEEvT1_
	.p2align	8
	.type	_ZN7rocprim17ROCPRIM_400000_NS6detail17trampoline_kernelINS0_14default_configENS1_25transform_config_selectorIN3c108BFloat16ELb1EEEZNS1_14transform_implILb1ES3_S7_PS6_S9_NS0_8identityIS6_EEEE10hipError_tT2_T3_mT4_P12ihipStream_tbEUlT_E_NS1_11comp_targetILNS1_3genE9ELNS1_11target_archE1100ELNS1_3gpuE3ELNS1_3repE0EEENS1_30default_config_static_selectorELNS0_4arch9wavefront6targetE0EEEvT1_,@function
_ZN7rocprim17ROCPRIM_400000_NS6detail17trampoline_kernelINS0_14default_configENS1_25transform_config_selectorIN3c108BFloat16ELb1EEEZNS1_14transform_implILb1ES3_S7_PS6_S9_NS0_8identityIS6_EEEE10hipError_tT2_T3_mT4_P12ihipStream_tbEUlT_E_NS1_11comp_targetILNS1_3genE9ELNS1_11target_archE1100ELNS1_3gpuE3ELNS1_3repE0EEENS1_30default_config_static_selectorELNS0_4arch9wavefront6targetE0EEEvT1_: ; @_ZN7rocprim17ROCPRIM_400000_NS6detail17trampoline_kernelINS0_14default_configENS1_25transform_config_selectorIN3c108BFloat16ELb1EEEZNS1_14transform_implILb1ES3_S7_PS6_S9_NS0_8identityIS6_EEEE10hipError_tT2_T3_mT4_P12ihipStream_tbEUlT_E_NS1_11comp_targetILNS1_3genE9ELNS1_11target_archE1100ELNS1_3gpuE3ELNS1_3repE0EEENS1_30default_config_static_selectorELNS0_4arch9wavefront6targetE0EEEvT1_
; %bb.0:
	s_load_b256 s[4:11], s[0:1], 0x0
	s_waitcnt lgkmcnt(0)
	s_load_b32 s9, s[0:1], 0x28
	s_lshl_b64 s[0:1], s[6:7], 1
	s_delay_alu instid0(SALU_CYCLE_1)
	s_add_u32 s4, s4, s0
	s_addc_u32 s5, s5, s1
	s_add_u32 s6, s10, s0
	s_addc_u32 s7, s11, s1
	s_lshl_b32 s0, s15, 11
	s_mov_b32 s1, 0
	s_waitcnt lgkmcnt(0)
	s_add_i32 s9, s9, -1
	s_lshl_b64 s[2:3], s[0:1], 1
	s_mov_b32 s1, -1
	s_add_u32 s4, s4, s2
	s_addc_u32 s5, s5, s3
	s_cmp_lg_u32 s15, s9
	s_cbranch_scc0 .LBB462_2
; %bb.1:
	v_lshlrev_b32_e32 v1, 2, v0
	s_add_u32 s10, s6, s2
	s_addc_u32 s11, s7, s3
	s_mov_b32 s1, 0
	global_load_b32 v2, v1, s[4:5] slc dlc
	s_waitcnt vmcnt(0)
	global_store_b32 v1, v2, s[10:11]
.LBB462_2:
	s_and_not1_b32 vcc_lo, exec_lo, s1
	s_cbranch_vccnz .LBB462_13
; %bb.3:
	s_sub_i32 s1, s8, s0
	v_lshlrev_b32_e32 v3, 1, v0
	v_cmp_gt_u32_e32 vcc_lo, s1, v0
                                        ; implicit-def: $vgpr2
	s_and_saveexec_b32 s0, vcc_lo
	s_cbranch_execz .LBB462_5
; %bb.4:
	global_load_u16 v2, v3, s[4:5]
.LBB462_5:
	s_or_b32 exec_lo, exec_lo, s0
	v_or_b32_e32 v1, 0x400, v0
	s_delay_alu instid0(VALU_DEP_1) | instskip(SKIP_1) | instid1(VALU_DEP_1)
	v_cmp_gt_u32_e64 s0, s1, v1
	v_cmp_le_u32_e64 s1, s1, v1
	s_and_saveexec_b32 s8, s1
	s_delay_alu instid0(SALU_CYCLE_1)
	s_xor_b32 s1, exec_lo, s8
; %bb.6:
	v_mov_b32_e32 v1, 0
                                        ; implicit-def: $vgpr3
; %bb.7:
	s_or_saveexec_b32 s1, s1
                                        ; implicit-def: $vgpr4
	s_delay_alu instid0(SALU_CYCLE_1)
	s_xor_b32 exec_lo, exec_lo, s1
	s_cbranch_execz .LBB462_9
; %bb.8:
	global_load_u16 v4, v3, s[4:5] offset:2048
	v_mov_b32_e32 v1, 0
.LBB462_9:
	s_or_b32 exec_lo, exec_lo, s1
	s_delay_alu instid0(VALU_DEP_1) | instskip(SKIP_2) | instid1(VALU_DEP_1)
	v_lshlrev_b64 v[0:1], 1, v[0:1]
	s_add_u32 s1, s6, s2
	s_addc_u32 s2, s7, s3
	v_add_co_u32 v0, s1, s1, v0
	s_delay_alu instid0(VALU_DEP_1) | instskip(SKIP_1) | instid1(SALU_CYCLE_1)
	v_add_co_ci_u32_e64 v1, s1, s2, v1, s1
	s_and_saveexec_b32 s1, vcc_lo
	s_xor_b32 s1, exec_lo, s1
	s_cbranch_execz .LBB462_11
; %bb.10:
	s_waitcnt vmcnt(0)
	global_store_b16 v[0:1], v2, off
.LBB462_11:
	s_or_b32 exec_lo, exec_lo, s1
	s_and_saveexec_b32 s1, s0
	s_cbranch_execz .LBB462_13
; %bb.12:
	s_waitcnt vmcnt(0)
	global_store_b16 v[0:1], v4, off offset:2048
.LBB462_13:
	s_nop 0
	s_sendmsg sendmsg(MSG_DEALLOC_VGPRS)
	s_endpgm
	.section	.rodata,"a",@progbits
	.p2align	6, 0x0
	.amdhsa_kernel _ZN7rocprim17ROCPRIM_400000_NS6detail17trampoline_kernelINS0_14default_configENS1_25transform_config_selectorIN3c108BFloat16ELb1EEEZNS1_14transform_implILb1ES3_S7_PS6_S9_NS0_8identityIS6_EEEE10hipError_tT2_T3_mT4_P12ihipStream_tbEUlT_E_NS1_11comp_targetILNS1_3genE9ELNS1_11target_archE1100ELNS1_3gpuE3ELNS1_3repE0EEENS1_30default_config_static_selectorELNS0_4arch9wavefront6targetE0EEEvT1_
		.amdhsa_group_segment_fixed_size 0
		.amdhsa_private_segment_fixed_size 0
		.amdhsa_kernarg_size 296
		.amdhsa_user_sgpr_count 15
		.amdhsa_user_sgpr_dispatch_ptr 0
		.amdhsa_user_sgpr_queue_ptr 0
		.amdhsa_user_sgpr_kernarg_segment_ptr 1
		.amdhsa_user_sgpr_dispatch_id 0
		.amdhsa_user_sgpr_private_segment_size 0
		.amdhsa_wavefront_size32 1
		.amdhsa_uses_dynamic_stack 0
		.amdhsa_enable_private_segment 0
		.amdhsa_system_sgpr_workgroup_id_x 1
		.amdhsa_system_sgpr_workgroup_id_y 0
		.amdhsa_system_sgpr_workgroup_id_z 0
		.amdhsa_system_sgpr_workgroup_info 0
		.amdhsa_system_vgpr_workitem_id 0
		.amdhsa_next_free_vgpr 5
		.amdhsa_next_free_sgpr 16
		.amdhsa_reserve_vcc 1
		.amdhsa_float_round_mode_32 0
		.amdhsa_float_round_mode_16_64 0
		.amdhsa_float_denorm_mode_32 3
		.amdhsa_float_denorm_mode_16_64 3
		.amdhsa_dx10_clamp 1
		.amdhsa_ieee_mode 1
		.amdhsa_fp16_overflow 0
		.amdhsa_workgroup_processor_mode 1
		.amdhsa_memory_ordered 1
		.amdhsa_forward_progress 0
		.amdhsa_shared_vgpr_count 0
		.amdhsa_exception_fp_ieee_invalid_op 0
		.amdhsa_exception_fp_denorm_src 0
		.amdhsa_exception_fp_ieee_div_zero 0
		.amdhsa_exception_fp_ieee_overflow 0
		.amdhsa_exception_fp_ieee_underflow 0
		.amdhsa_exception_fp_ieee_inexact 0
		.amdhsa_exception_int_div_zero 0
	.end_amdhsa_kernel
	.section	.text._ZN7rocprim17ROCPRIM_400000_NS6detail17trampoline_kernelINS0_14default_configENS1_25transform_config_selectorIN3c108BFloat16ELb1EEEZNS1_14transform_implILb1ES3_S7_PS6_S9_NS0_8identityIS6_EEEE10hipError_tT2_T3_mT4_P12ihipStream_tbEUlT_E_NS1_11comp_targetILNS1_3genE9ELNS1_11target_archE1100ELNS1_3gpuE3ELNS1_3repE0EEENS1_30default_config_static_selectorELNS0_4arch9wavefront6targetE0EEEvT1_,"axG",@progbits,_ZN7rocprim17ROCPRIM_400000_NS6detail17trampoline_kernelINS0_14default_configENS1_25transform_config_selectorIN3c108BFloat16ELb1EEEZNS1_14transform_implILb1ES3_S7_PS6_S9_NS0_8identityIS6_EEEE10hipError_tT2_T3_mT4_P12ihipStream_tbEUlT_E_NS1_11comp_targetILNS1_3genE9ELNS1_11target_archE1100ELNS1_3gpuE3ELNS1_3repE0EEENS1_30default_config_static_selectorELNS0_4arch9wavefront6targetE0EEEvT1_,comdat
.Lfunc_end462:
	.size	_ZN7rocprim17ROCPRIM_400000_NS6detail17trampoline_kernelINS0_14default_configENS1_25transform_config_selectorIN3c108BFloat16ELb1EEEZNS1_14transform_implILb1ES3_S7_PS6_S9_NS0_8identityIS6_EEEE10hipError_tT2_T3_mT4_P12ihipStream_tbEUlT_E_NS1_11comp_targetILNS1_3genE9ELNS1_11target_archE1100ELNS1_3gpuE3ELNS1_3repE0EEENS1_30default_config_static_selectorELNS0_4arch9wavefront6targetE0EEEvT1_, .Lfunc_end462-_ZN7rocprim17ROCPRIM_400000_NS6detail17trampoline_kernelINS0_14default_configENS1_25transform_config_selectorIN3c108BFloat16ELb1EEEZNS1_14transform_implILb1ES3_S7_PS6_S9_NS0_8identityIS6_EEEE10hipError_tT2_T3_mT4_P12ihipStream_tbEUlT_E_NS1_11comp_targetILNS1_3genE9ELNS1_11target_archE1100ELNS1_3gpuE3ELNS1_3repE0EEENS1_30default_config_static_selectorELNS0_4arch9wavefront6targetE0EEEvT1_
                                        ; -- End function
	.section	.AMDGPU.csdata,"",@progbits
; Kernel info:
; codeLenInByte = 336
; NumSgprs: 18
; NumVgprs: 5
; ScratchSize: 0
; MemoryBound: 0
; FloatMode: 240
; IeeeMode: 1
; LDSByteSize: 0 bytes/workgroup (compile time only)
; SGPRBlocks: 2
; VGPRBlocks: 0
; NumSGPRsForWavesPerEU: 18
; NumVGPRsForWavesPerEU: 5
; Occupancy: 16
; WaveLimiterHint : 0
; COMPUTE_PGM_RSRC2:SCRATCH_EN: 0
; COMPUTE_PGM_RSRC2:USER_SGPR: 15
; COMPUTE_PGM_RSRC2:TRAP_HANDLER: 0
; COMPUTE_PGM_RSRC2:TGID_X_EN: 1
; COMPUTE_PGM_RSRC2:TGID_Y_EN: 0
; COMPUTE_PGM_RSRC2:TGID_Z_EN: 0
; COMPUTE_PGM_RSRC2:TIDIG_COMP_CNT: 0
	.section	.text._ZN7rocprim17ROCPRIM_400000_NS6detail17trampoline_kernelINS0_14default_configENS1_25transform_config_selectorIN3c108BFloat16ELb1EEEZNS1_14transform_implILb1ES3_S7_PS6_S9_NS0_8identityIS6_EEEE10hipError_tT2_T3_mT4_P12ihipStream_tbEUlT_E_NS1_11comp_targetILNS1_3genE8ELNS1_11target_archE1030ELNS1_3gpuE2ELNS1_3repE0EEENS1_30default_config_static_selectorELNS0_4arch9wavefront6targetE0EEEvT1_,"axG",@progbits,_ZN7rocprim17ROCPRIM_400000_NS6detail17trampoline_kernelINS0_14default_configENS1_25transform_config_selectorIN3c108BFloat16ELb1EEEZNS1_14transform_implILb1ES3_S7_PS6_S9_NS0_8identityIS6_EEEE10hipError_tT2_T3_mT4_P12ihipStream_tbEUlT_E_NS1_11comp_targetILNS1_3genE8ELNS1_11target_archE1030ELNS1_3gpuE2ELNS1_3repE0EEENS1_30default_config_static_selectorELNS0_4arch9wavefront6targetE0EEEvT1_,comdat
	.protected	_ZN7rocprim17ROCPRIM_400000_NS6detail17trampoline_kernelINS0_14default_configENS1_25transform_config_selectorIN3c108BFloat16ELb1EEEZNS1_14transform_implILb1ES3_S7_PS6_S9_NS0_8identityIS6_EEEE10hipError_tT2_T3_mT4_P12ihipStream_tbEUlT_E_NS1_11comp_targetILNS1_3genE8ELNS1_11target_archE1030ELNS1_3gpuE2ELNS1_3repE0EEENS1_30default_config_static_selectorELNS0_4arch9wavefront6targetE0EEEvT1_ ; -- Begin function _ZN7rocprim17ROCPRIM_400000_NS6detail17trampoline_kernelINS0_14default_configENS1_25transform_config_selectorIN3c108BFloat16ELb1EEEZNS1_14transform_implILb1ES3_S7_PS6_S9_NS0_8identityIS6_EEEE10hipError_tT2_T3_mT4_P12ihipStream_tbEUlT_E_NS1_11comp_targetILNS1_3genE8ELNS1_11target_archE1030ELNS1_3gpuE2ELNS1_3repE0EEENS1_30default_config_static_selectorELNS0_4arch9wavefront6targetE0EEEvT1_
	.globl	_ZN7rocprim17ROCPRIM_400000_NS6detail17trampoline_kernelINS0_14default_configENS1_25transform_config_selectorIN3c108BFloat16ELb1EEEZNS1_14transform_implILb1ES3_S7_PS6_S9_NS0_8identityIS6_EEEE10hipError_tT2_T3_mT4_P12ihipStream_tbEUlT_E_NS1_11comp_targetILNS1_3genE8ELNS1_11target_archE1030ELNS1_3gpuE2ELNS1_3repE0EEENS1_30default_config_static_selectorELNS0_4arch9wavefront6targetE0EEEvT1_
	.p2align	8
	.type	_ZN7rocprim17ROCPRIM_400000_NS6detail17trampoline_kernelINS0_14default_configENS1_25transform_config_selectorIN3c108BFloat16ELb1EEEZNS1_14transform_implILb1ES3_S7_PS6_S9_NS0_8identityIS6_EEEE10hipError_tT2_T3_mT4_P12ihipStream_tbEUlT_E_NS1_11comp_targetILNS1_3genE8ELNS1_11target_archE1030ELNS1_3gpuE2ELNS1_3repE0EEENS1_30default_config_static_selectorELNS0_4arch9wavefront6targetE0EEEvT1_,@function
_ZN7rocprim17ROCPRIM_400000_NS6detail17trampoline_kernelINS0_14default_configENS1_25transform_config_selectorIN3c108BFloat16ELb1EEEZNS1_14transform_implILb1ES3_S7_PS6_S9_NS0_8identityIS6_EEEE10hipError_tT2_T3_mT4_P12ihipStream_tbEUlT_E_NS1_11comp_targetILNS1_3genE8ELNS1_11target_archE1030ELNS1_3gpuE2ELNS1_3repE0EEENS1_30default_config_static_selectorELNS0_4arch9wavefront6targetE0EEEvT1_: ; @_ZN7rocprim17ROCPRIM_400000_NS6detail17trampoline_kernelINS0_14default_configENS1_25transform_config_selectorIN3c108BFloat16ELb1EEEZNS1_14transform_implILb1ES3_S7_PS6_S9_NS0_8identityIS6_EEEE10hipError_tT2_T3_mT4_P12ihipStream_tbEUlT_E_NS1_11comp_targetILNS1_3genE8ELNS1_11target_archE1030ELNS1_3gpuE2ELNS1_3repE0EEENS1_30default_config_static_selectorELNS0_4arch9wavefront6targetE0EEEvT1_
; %bb.0:
	.section	.rodata,"a",@progbits
	.p2align	6, 0x0
	.amdhsa_kernel _ZN7rocprim17ROCPRIM_400000_NS6detail17trampoline_kernelINS0_14default_configENS1_25transform_config_selectorIN3c108BFloat16ELb1EEEZNS1_14transform_implILb1ES3_S7_PS6_S9_NS0_8identityIS6_EEEE10hipError_tT2_T3_mT4_P12ihipStream_tbEUlT_E_NS1_11comp_targetILNS1_3genE8ELNS1_11target_archE1030ELNS1_3gpuE2ELNS1_3repE0EEENS1_30default_config_static_selectorELNS0_4arch9wavefront6targetE0EEEvT1_
		.amdhsa_group_segment_fixed_size 0
		.amdhsa_private_segment_fixed_size 0
		.amdhsa_kernarg_size 40
		.amdhsa_user_sgpr_count 15
		.amdhsa_user_sgpr_dispatch_ptr 0
		.amdhsa_user_sgpr_queue_ptr 0
		.amdhsa_user_sgpr_kernarg_segment_ptr 1
		.amdhsa_user_sgpr_dispatch_id 0
		.amdhsa_user_sgpr_private_segment_size 0
		.amdhsa_wavefront_size32 1
		.amdhsa_uses_dynamic_stack 0
		.amdhsa_enable_private_segment 0
		.amdhsa_system_sgpr_workgroup_id_x 1
		.amdhsa_system_sgpr_workgroup_id_y 0
		.amdhsa_system_sgpr_workgroup_id_z 0
		.amdhsa_system_sgpr_workgroup_info 0
		.amdhsa_system_vgpr_workitem_id 0
		.amdhsa_next_free_vgpr 1
		.amdhsa_next_free_sgpr 1
		.amdhsa_reserve_vcc 0
		.amdhsa_float_round_mode_32 0
		.amdhsa_float_round_mode_16_64 0
		.amdhsa_float_denorm_mode_32 3
		.amdhsa_float_denorm_mode_16_64 3
		.amdhsa_dx10_clamp 1
		.amdhsa_ieee_mode 1
		.amdhsa_fp16_overflow 0
		.amdhsa_workgroup_processor_mode 1
		.amdhsa_memory_ordered 1
		.amdhsa_forward_progress 0
		.amdhsa_shared_vgpr_count 0
		.amdhsa_exception_fp_ieee_invalid_op 0
		.amdhsa_exception_fp_denorm_src 0
		.amdhsa_exception_fp_ieee_div_zero 0
		.amdhsa_exception_fp_ieee_overflow 0
		.amdhsa_exception_fp_ieee_underflow 0
		.amdhsa_exception_fp_ieee_inexact 0
		.amdhsa_exception_int_div_zero 0
	.end_amdhsa_kernel
	.section	.text._ZN7rocprim17ROCPRIM_400000_NS6detail17trampoline_kernelINS0_14default_configENS1_25transform_config_selectorIN3c108BFloat16ELb1EEEZNS1_14transform_implILb1ES3_S7_PS6_S9_NS0_8identityIS6_EEEE10hipError_tT2_T3_mT4_P12ihipStream_tbEUlT_E_NS1_11comp_targetILNS1_3genE8ELNS1_11target_archE1030ELNS1_3gpuE2ELNS1_3repE0EEENS1_30default_config_static_selectorELNS0_4arch9wavefront6targetE0EEEvT1_,"axG",@progbits,_ZN7rocprim17ROCPRIM_400000_NS6detail17trampoline_kernelINS0_14default_configENS1_25transform_config_selectorIN3c108BFloat16ELb1EEEZNS1_14transform_implILb1ES3_S7_PS6_S9_NS0_8identityIS6_EEEE10hipError_tT2_T3_mT4_P12ihipStream_tbEUlT_E_NS1_11comp_targetILNS1_3genE8ELNS1_11target_archE1030ELNS1_3gpuE2ELNS1_3repE0EEENS1_30default_config_static_selectorELNS0_4arch9wavefront6targetE0EEEvT1_,comdat
.Lfunc_end463:
	.size	_ZN7rocprim17ROCPRIM_400000_NS6detail17trampoline_kernelINS0_14default_configENS1_25transform_config_selectorIN3c108BFloat16ELb1EEEZNS1_14transform_implILb1ES3_S7_PS6_S9_NS0_8identityIS6_EEEE10hipError_tT2_T3_mT4_P12ihipStream_tbEUlT_E_NS1_11comp_targetILNS1_3genE8ELNS1_11target_archE1030ELNS1_3gpuE2ELNS1_3repE0EEENS1_30default_config_static_selectorELNS0_4arch9wavefront6targetE0EEEvT1_, .Lfunc_end463-_ZN7rocprim17ROCPRIM_400000_NS6detail17trampoline_kernelINS0_14default_configENS1_25transform_config_selectorIN3c108BFloat16ELb1EEEZNS1_14transform_implILb1ES3_S7_PS6_S9_NS0_8identityIS6_EEEE10hipError_tT2_T3_mT4_P12ihipStream_tbEUlT_E_NS1_11comp_targetILNS1_3genE8ELNS1_11target_archE1030ELNS1_3gpuE2ELNS1_3repE0EEENS1_30default_config_static_selectorELNS0_4arch9wavefront6targetE0EEEvT1_
                                        ; -- End function
	.section	.AMDGPU.csdata,"",@progbits
; Kernel info:
; codeLenInByte = 0
; NumSgprs: 0
; NumVgprs: 0
; ScratchSize: 0
; MemoryBound: 0
; FloatMode: 240
; IeeeMode: 1
; LDSByteSize: 0 bytes/workgroup (compile time only)
; SGPRBlocks: 0
; VGPRBlocks: 0
; NumSGPRsForWavesPerEU: 1
; NumVGPRsForWavesPerEU: 1
; Occupancy: 16
; WaveLimiterHint : 0
; COMPUTE_PGM_RSRC2:SCRATCH_EN: 0
; COMPUTE_PGM_RSRC2:USER_SGPR: 15
; COMPUTE_PGM_RSRC2:TRAP_HANDLER: 0
; COMPUTE_PGM_RSRC2:TGID_X_EN: 1
; COMPUTE_PGM_RSRC2:TGID_Y_EN: 0
; COMPUTE_PGM_RSRC2:TGID_Z_EN: 0
; COMPUTE_PGM_RSRC2:TIDIG_COMP_CNT: 0
	.section	.text._ZN7rocprim17ROCPRIM_400000_NS6detail17trampoline_kernelINS0_14default_configENS1_20scan_config_selectorIN3c108BFloat16EEEZZNS1_9scan_implILNS1_25lookback_scan_determinismE0ELb0ELb0ES3_PKS6_PS6_S6_ZZZN2at6native31launch_logcumsumexp_cuda_kernelERKNSD_10TensorBaseESH_lENKUlvE_clEvENKUlvE4_clEvEUlS6_S6_E_S6_EEDaPvRmT3_T4_T5_mT6_P12ihipStream_tbENKUlT_T0_E_clISt17integral_constantIbLb0EESY_EEDaST_SU_EUlST_E0_NS1_11comp_targetILNS1_3genE0ELNS1_11target_archE4294967295ELNS1_3gpuE0ELNS1_3repE0EEENS1_30default_config_static_selectorELNS0_4arch9wavefront6targetE0EEEvT1_,"axG",@progbits,_ZN7rocprim17ROCPRIM_400000_NS6detail17trampoline_kernelINS0_14default_configENS1_20scan_config_selectorIN3c108BFloat16EEEZZNS1_9scan_implILNS1_25lookback_scan_determinismE0ELb0ELb0ES3_PKS6_PS6_S6_ZZZN2at6native31launch_logcumsumexp_cuda_kernelERKNSD_10TensorBaseESH_lENKUlvE_clEvENKUlvE4_clEvEUlS6_S6_E_S6_EEDaPvRmT3_T4_T5_mT6_P12ihipStream_tbENKUlT_T0_E_clISt17integral_constantIbLb0EESY_EEDaST_SU_EUlST_E0_NS1_11comp_targetILNS1_3genE0ELNS1_11target_archE4294967295ELNS1_3gpuE0ELNS1_3repE0EEENS1_30default_config_static_selectorELNS0_4arch9wavefront6targetE0EEEvT1_,comdat
	.globl	_ZN7rocprim17ROCPRIM_400000_NS6detail17trampoline_kernelINS0_14default_configENS1_20scan_config_selectorIN3c108BFloat16EEEZZNS1_9scan_implILNS1_25lookback_scan_determinismE0ELb0ELb0ES3_PKS6_PS6_S6_ZZZN2at6native31launch_logcumsumexp_cuda_kernelERKNSD_10TensorBaseESH_lENKUlvE_clEvENKUlvE4_clEvEUlS6_S6_E_S6_EEDaPvRmT3_T4_T5_mT6_P12ihipStream_tbENKUlT_T0_E_clISt17integral_constantIbLb0EESY_EEDaST_SU_EUlST_E0_NS1_11comp_targetILNS1_3genE0ELNS1_11target_archE4294967295ELNS1_3gpuE0ELNS1_3repE0EEENS1_30default_config_static_selectorELNS0_4arch9wavefront6targetE0EEEvT1_ ; -- Begin function _ZN7rocprim17ROCPRIM_400000_NS6detail17trampoline_kernelINS0_14default_configENS1_20scan_config_selectorIN3c108BFloat16EEEZZNS1_9scan_implILNS1_25lookback_scan_determinismE0ELb0ELb0ES3_PKS6_PS6_S6_ZZZN2at6native31launch_logcumsumexp_cuda_kernelERKNSD_10TensorBaseESH_lENKUlvE_clEvENKUlvE4_clEvEUlS6_S6_E_S6_EEDaPvRmT3_T4_T5_mT6_P12ihipStream_tbENKUlT_T0_E_clISt17integral_constantIbLb0EESY_EEDaST_SU_EUlST_E0_NS1_11comp_targetILNS1_3genE0ELNS1_11target_archE4294967295ELNS1_3gpuE0ELNS1_3repE0EEENS1_30default_config_static_selectorELNS0_4arch9wavefront6targetE0EEEvT1_
	.p2align	8
	.type	_ZN7rocprim17ROCPRIM_400000_NS6detail17trampoline_kernelINS0_14default_configENS1_20scan_config_selectorIN3c108BFloat16EEEZZNS1_9scan_implILNS1_25lookback_scan_determinismE0ELb0ELb0ES3_PKS6_PS6_S6_ZZZN2at6native31launch_logcumsumexp_cuda_kernelERKNSD_10TensorBaseESH_lENKUlvE_clEvENKUlvE4_clEvEUlS6_S6_E_S6_EEDaPvRmT3_T4_T5_mT6_P12ihipStream_tbENKUlT_T0_E_clISt17integral_constantIbLb0EESY_EEDaST_SU_EUlST_E0_NS1_11comp_targetILNS1_3genE0ELNS1_11target_archE4294967295ELNS1_3gpuE0ELNS1_3repE0EEENS1_30default_config_static_selectorELNS0_4arch9wavefront6targetE0EEEvT1_,@function
_ZN7rocprim17ROCPRIM_400000_NS6detail17trampoline_kernelINS0_14default_configENS1_20scan_config_selectorIN3c108BFloat16EEEZZNS1_9scan_implILNS1_25lookback_scan_determinismE0ELb0ELb0ES3_PKS6_PS6_S6_ZZZN2at6native31launch_logcumsumexp_cuda_kernelERKNSD_10TensorBaseESH_lENKUlvE_clEvENKUlvE4_clEvEUlS6_S6_E_S6_EEDaPvRmT3_T4_T5_mT6_P12ihipStream_tbENKUlT_T0_E_clISt17integral_constantIbLb0EESY_EEDaST_SU_EUlST_E0_NS1_11comp_targetILNS1_3genE0ELNS1_11target_archE4294967295ELNS1_3gpuE0ELNS1_3repE0EEENS1_30default_config_static_selectorELNS0_4arch9wavefront6targetE0EEEvT1_: ; @_ZN7rocprim17ROCPRIM_400000_NS6detail17trampoline_kernelINS0_14default_configENS1_20scan_config_selectorIN3c108BFloat16EEEZZNS1_9scan_implILNS1_25lookback_scan_determinismE0ELb0ELb0ES3_PKS6_PS6_S6_ZZZN2at6native31launch_logcumsumexp_cuda_kernelERKNSD_10TensorBaseESH_lENKUlvE_clEvENKUlvE4_clEvEUlS6_S6_E_S6_EEDaPvRmT3_T4_T5_mT6_P12ihipStream_tbENKUlT_T0_E_clISt17integral_constantIbLb0EESY_EEDaST_SU_EUlST_E0_NS1_11comp_targetILNS1_3genE0ELNS1_11target_archE4294967295ELNS1_3gpuE0ELNS1_3repE0EEENS1_30default_config_static_selectorELNS0_4arch9wavefront6targetE0EEEvT1_
; %bb.0:
	.section	.rodata,"a",@progbits
	.p2align	6, 0x0
	.amdhsa_kernel _ZN7rocprim17ROCPRIM_400000_NS6detail17trampoline_kernelINS0_14default_configENS1_20scan_config_selectorIN3c108BFloat16EEEZZNS1_9scan_implILNS1_25lookback_scan_determinismE0ELb0ELb0ES3_PKS6_PS6_S6_ZZZN2at6native31launch_logcumsumexp_cuda_kernelERKNSD_10TensorBaseESH_lENKUlvE_clEvENKUlvE4_clEvEUlS6_S6_E_S6_EEDaPvRmT3_T4_T5_mT6_P12ihipStream_tbENKUlT_T0_E_clISt17integral_constantIbLb0EESY_EEDaST_SU_EUlST_E0_NS1_11comp_targetILNS1_3genE0ELNS1_11target_archE4294967295ELNS1_3gpuE0ELNS1_3repE0EEENS1_30default_config_static_selectorELNS0_4arch9wavefront6targetE0EEEvT1_
		.amdhsa_group_segment_fixed_size 0
		.amdhsa_private_segment_fixed_size 0
		.amdhsa_kernarg_size 32
		.amdhsa_user_sgpr_count 15
		.amdhsa_user_sgpr_dispatch_ptr 0
		.amdhsa_user_sgpr_queue_ptr 0
		.amdhsa_user_sgpr_kernarg_segment_ptr 1
		.amdhsa_user_sgpr_dispatch_id 0
		.amdhsa_user_sgpr_private_segment_size 0
		.amdhsa_wavefront_size32 1
		.amdhsa_uses_dynamic_stack 0
		.amdhsa_enable_private_segment 0
		.amdhsa_system_sgpr_workgroup_id_x 1
		.amdhsa_system_sgpr_workgroup_id_y 0
		.amdhsa_system_sgpr_workgroup_id_z 0
		.amdhsa_system_sgpr_workgroup_info 0
		.amdhsa_system_vgpr_workitem_id 0
		.amdhsa_next_free_vgpr 1
		.amdhsa_next_free_sgpr 1
		.amdhsa_reserve_vcc 0
		.amdhsa_float_round_mode_32 0
		.amdhsa_float_round_mode_16_64 0
		.amdhsa_float_denorm_mode_32 3
		.amdhsa_float_denorm_mode_16_64 3
		.amdhsa_dx10_clamp 1
		.amdhsa_ieee_mode 1
		.amdhsa_fp16_overflow 0
		.amdhsa_workgroup_processor_mode 1
		.amdhsa_memory_ordered 1
		.amdhsa_forward_progress 0
		.amdhsa_shared_vgpr_count 0
		.amdhsa_exception_fp_ieee_invalid_op 0
		.amdhsa_exception_fp_denorm_src 0
		.amdhsa_exception_fp_ieee_div_zero 0
		.amdhsa_exception_fp_ieee_overflow 0
		.amdhsa_exception_fp_ieee_underflow 0
		.amdhsa_exception_fp_ieee_inexact 0
		.amdhsa_exception_int_div_zero 0
	.end_amdhsa_kernel
	.section	.text._ZN7rocprim17ROCPRIM_400000_NS6detail17trampoline_kernelINS0_14default_configENS1_20scan_config_selectorIN3c108BFloat16EEEZZNS1_9scan_implILNS1_25lookback_scan_determinismE0ELb0ELb0ES3_PKS6_PS6_S6_ZZZN2at6native31launch_logcumsumexp_cuda_kernelERKNSD_10TensorBaseESH_lENKUlvE_clEvENKUlvE4_clEvEUlS6_S6_E_S6_EEDaPvRmT3_T4_T5_mT6_P12ihipStream_tbENKUlT_T0_E_clISt17integral_constantIbLb0EESY_EEDaST_SU_EUlST_E0_NS1_11comp_targetILNS1_3genE0ELNS1_11target_archE4294967295ELNS1_3gpuE0ELNS1_3repE0EEENS1_30default_config_static_selectorELNS0_4arch9wavefront6targetE0EEEvT1_,"axG",@progbits,_ZN7rocprim17ROCPRIM_400000_NS6detail17trampoline_kernelINS0_14default_configENS1_20scan_config_selectorIN3c108BFloat16EEEZZNS1_9scan_implILNS1_25lookback_scan_determinismE0ELb0ELb0ES3_PKS6_PS6_S6_ZZZN2at6native31launch_logcumsumexp_cuda_kernelERKNSD_10TensorBaseESH_lENKUlvE_clEvENKUlvE4_clEvEUlS6_S6_E_S6_EEDaPvRmT3_T4_T5_mT6_P12ihipStream_tbENKUlT_T0_E_clISt17integral_constantIbLb0EESY_EEDaST_SU_EUlST_E0_NS1_11comp_targetILNS1_3genE0ELNS1_11target_archE4294967295ELNS1_3gpuE0ELNS1_3repE0EEENS1_30default_config_static_selectorELNS0_4arch9wavefront6targetE0EEEvT1_,comdat
.Lfunc_end464:
	.size	_ZN7rocprim17ROCPRIM_400000_NS6detail17trampoline_kernelINS0_14default_configENS1_20scan_config_selectorIN3c108BFloat16EEEZZNS1_9scan_implILNS1_25lookback_scan_determinismE0ELb0ELb0ES3_PKS6_PS6_S6_ZZZN2at6native31launch_logcumsumexp_cuda_kernelERKNSD_10TensorBaseESH_lENKUlvE_clEvENKUlvE4_clEvEUlS6_S6_E_S6_EEDaPvRmT3_T4_T5_mT6_P12ihipStream_tbENKUlT_T0_E_clISt17integral_constantIbLb0EESY_EEDaST_SU_EUlST_E0_NS1_11comp_targetILNS1_3genE0ELNS1_11target_archE4294967295ELNS1_3gpuE0ELNS1_3repE0EEENS1_30default_config_static_selectorELNS0_4arch9wavefront6targetE0EEEvT1_, .Lfunc_end464-_ZN7rocprim17ROCPRIM_400000_NS6detail17trampoline_kernelINS0_14default_configENS1_20scan_config_selectorIN3c108BFloat16EEEZZNS1_9scan_implILNS1_25lookback_scan_determinismE0ELb0ELb0ES3_PKS6_PS6_S6_ZZZN2at6native31launch_logcumsumexp_cuda_kernelERKNSD_10TensorBaseESH_lENKUlvE_clEvENKUlvE4_clEvEUlS6_S6_E_S6_EEDaPvRmT3_T4_T5_mT6_P12ihipStream_tbENKUlT_T0_E_clISt17integral_constantIbLb0EESY_EEDaST_SU_EUlST_E0_NS1_11comp_targetILNS1_3genE0ELNS1_11target_archE4294967295ELNS1_3gpuE0ELNS1_3repE0EEENS1_30default_config_static_selectorELNS0_4arch9wavefront6targetE0EEEvT1_
                                        ; -- End function
	.section	.AMDGPU.csdata,"",@progbits
; Kernel info:
; codeLenInByte = 0
; NumSgprs: 0
; NumVgprs: 0
; ScratchSize: 0
; MemoryBound: 0
; FloatMode: 240
; IeeeMode: 1
; LDSByteSize: 0 bytes/workgroup (compile time only)
; SGPRBlocks: 0
; VGPRBlocks: 0
; NumSGPRsForWavesPerEU: 1
; NumVGPRsForWavesPerEU: 1
; Occupancy: 16
; WaveLimiterHint : 0
; COMPUTE_PGM_RSRC2:SCRATCH_EN: 0
; COMPUTE_PGM_RSRC2:USER_SGPR: 15
; COMPUTE_PGM_RSRC2:TRAP_HANDLER: 0
; COMPUTE_PGM_RSRC2:TGID_X_EN: 1
; COMPUTE_PGM_RSRC2:TGID_Y_EN: 0
; COMPUTE_PGM_RSRC2:TGID_Z_EN: 0
; COMPUTE_PGM_RSRC2:TIDIG_COMP_CNT: 0
	.section	.text._ZN7rocprim17ROCPRIM_400000_NS6detail17trampoline_kernelINS0_14default_configENS1_20scan_config_selectorIN3c108BFloat16EEEZZNS1_9scan_implILNS1_25lookback_scan_determinismE0ELb0ELb0ES3_PKS6_PS6_S6_ZZZN2at6native31launch_logcumsumexp_cuda_kernelERKNSD_10TensorBaseESH_lENKUlvE_clEvENKUlvE4_clEvEUlS6_S6_E_S6_EEDaPvRmT3_T4_T5_mT6_P12ihipStream_tbENKUlT_T0_E_clISt17integral_constantIbLb0EESY_EEDaST_SU_EUlST_E0_NS1_11comp_targetILNS1_3genE5ELNS1_11target_archE942ELNS1_3gpuE9ELNS1_3repE0EEENS1_30default_config_static_selectorELNS0_4arch9wavefront6targetE0EEEvT1_,"axG",@progbits,_ZN7rocprim17ROCPRIM_400000_NS6detail17trampoline_kernelINS0_14default_configENS1_20scan_config_selectorIN3c108BFloat16EEEZZNS1_9scan_implILNS1_25lookback_scan_determinismE0ELb0ELb0ES3_PKS6_PS6_S6_ZZZN2at6native31launch_logcumsumexp_cuda_kernelERKNSD_10TensorBaseESH_lENKUlvE_clEvENKUlvE4_clEvEUlS6_S6_E_S6_EEDaPvRmT3_T4_T5_mT6_P12ihipStream_tbENKUlT_T0_E_clISt17integral_constantIbLb0EESY_EEDaST_SU_EUlST_E0_NS1_11comp_targetILNS1_3genE5ELNS1_11target_archE942ELNS1_3gpuE9ELNS1_3repE0EEENS1_30default_config_static_selectorELNS0_4arch9wavefront6targetE0EEEvT1_,comdat
	.globl	_ZN7rocprim17ROCPRIM_400000_NS6detail17trampoline_kernelINS0_14default_configENS1_20scan_config_selectorIN3c108BFloat16EEEZZNS1_9scan_implILNS1_25lookback_scan_determinismE0ELb0ELb0ES3_PKS6_PS6_S6_ZZZN2at6native31launch_logcumsumexp_cuda_kernelERKNSD_10TensorBaseESH_lENKUlvE_clEvENKUlvE4_clEvEUlS6_S6_E_S6_EEDaPvRmT3_T4_T5_mT6_P12ihipStream_tbENKUlT_T0_E_clISt17integral_constantIbLb0EESY_EEDaST_SU_EUlST_E0_NS1_11comp_targetILNS1_3genE5ELNS1_11target_archE942ELNS1_3gpuE9ELNS1_3repE0EEENS1_30default_config_static_selectorELNS0_4arch9wavefront6targetE0EEEvT1_ ; -- Begin function _ZN7rocprim17ROCPRIM_400000_NS6detail17trampoline_kernelINS0_14default_configENS1_20scan_config_selectorIN3c108BFloat16EEEZZNS1_9scan_implILNS1_25lookback_scan_determinismE0ELb0ELb0ES3_PKS6_PS6_S6_ZZZN2at6native31launch_logcumsumexp_cuda_kernelERKNSD_10TensorBaseESH_lENKUlvE_clEvENKUlvE4_clEvEUlS6_S6_E_S6_EEDaPvRmT3_T4_T5_mT6_P12ihipStream_tbENKUlT_T0_E_clISt17integral_constantIbLb0EESY_EEDaST_SU_EUlST_E0_NS1_11comp_targetILNS1_3genE5ELNS1_11target_archE942ELNS1_3gpuE9ELNS1_3repE0EEENS1_30default_config_static_selectorELNS0_4arch9wavefront6targetE0EEEvT1_
	.p2align	8
	.type	_ZN7rocprim17ROCPRIM_400000_NS6detail17trampoline_kernelINS0_14default_configENS1_20scan_config_selectorIN3c108BFloat16EEEZZNS1_9scan_implILNS1_25lookback_scan_determinismE0ELb0ELb0ES3_PKS6_PS6_S6_ZZZN2at6native31launch_logcumsumexp_cuda_kernelERKNSD_10TensorBaseESH_lENKUlvE_clEvENKUlvE4_clEvEUlS6_S6_E_S6_EEDaPvRmT3_T4_T5_mT6_P12ihipStream_tbENKUlT_T0_E_clISt17integral_constantIbLb0EESY_EEDaST_SU_EUlST_E0_NS1_11comp_targetILNS1_3genE5ELNS1_11target_archE942ELNS1_3gpuE9ELNS1_3repE0EEENS1_30default_config_static_selectorELNS0_4arch9wavefront6targetE0EEEvT1_,@function
_ZN7rocprim17ROCPRIM_400000_NS6detail17trampoline_kernelINS0_14default_configENS1_20scan_config_selectorIN3c108BFloat16EEEZZNS1_9scan_implILNS1_25lookback_scan_determinismE0ELb0ELb0ES3_PKS6_PS6_S6_ZZZN2at6native31launch_logcumsumexp_cuda_kernelERKNSD_10TensorBaseESH_lENKUlvE_clEvENKUlvE4_clEvEUlS6_S6_E_S6_EEDaPvRmT3_T4_T5_mT6_P12ihipStream_tbENKUlT_T0_E_clISt17integral_constantIbLb0EESY_EEDaST_SU_EUlST_E0_NS1_11comp_targetILNS1_3genE5ELNS1_11target_archE942ELNS1_3gpuE9ELNS1_3repE0EEENS1_30default_config_static_selectorELNS0_4arch9wavefront6targetE0EEEvT1_: ; @_ZN7rocprim17ROCPRIM_400000_NS6detail17trampoline_kernelINS0_14default_configENS1_20scan_config_selectorIN3c108BFloat16EEEZZNS1_9scan_implILNS1_25lookback_scan_determinismE0ELb0ELb0ES3_PKS6_PS6_S6_ZZZN2at6native31launch_logcumsumexp_cuda_kernelERKNSD_10TensorBaseESH_lENKUlvE_clEvENKUlvE4_clEvEUlS6_S6_E_S6_EEDaPvRmT3_T4_T5_mT6_P12ihipStream_tbENKUlT_T0_E_clISt17integral_constantIbLb0EESY_EEDaST_SU_EUlST_E0_NS1_11comp_targetILNS1_3genE5ELNS1_11target_archE942ELNS1_3gpuE9ELNS1_3repE0EEENS1_30default_config_static_selectorELNS0_4arch9wavefront6targetE0EEEvT1_
; %bb.0:
	.section	.rodata,"a",@progbits
	.p2align	6, 0x0
	.amdhsa_kernel _ZN7rocprim17ROCPRIM_400000_NS6detail17trampoline_kernelINS0_14default_configENS1_20scan_config_selectorIN3c108BFloat16EEEZZNS1_9scan_implILNS1_25lookback_scan_determinismE0ELb0ELb0ES3_PKS6_PS6_S6_ZZZN2at6native31launch_logcumsumexp_cuda_kernelERKNSD_10TensorBaseESH_lENKUlvE_clEvENKUlvE4_clEvEUlS6_S6_E_S6_EEDaPvRmT3_T4_T5_mT6_P12ihipStream_tbENKUlT_T0_E_clISt17integral_constantIbLb0EESY_EEDaST_SU_EUlST_E0_NS1_11comp_targetILNS1_3genE5ELNS1_11target_archE942ELNS1_3gpuE9ELNS1_3repE0EEENS1_30default_config_static_selectorELNS0_4arch9wavefront6targetE0EEEvT1_
		.amdhsa_group_segment_fixed_size 0
		.amdhsa_private_segment_fixed_size 0
		.amdhsa_kernarg_size 32
		.amdhsa_user_sgpr_count 15
		.amdhsa_user_sgpr_dispatch_ptr 0
		.amdhsa_user_sgpr_queue_ptr 0
		.amdhsa_user_sgpr_kernarg_segment_ptr 1
		.amdhsa_user_sgpr_dispatch_id 0
		.amdhsa_user_sgpr_private_segment_size 0
		.amdhsa_wavefront_size32 1
		.amdhsa_uses_dynamic_stack 0
		.amdhsa_enable_private_segment 0
		.amdhsa_system_sgpr_workgroup_id_x 1
		.amdhsa_system_sgpr_workgroup_id_y 0
		.amdhsa_system_sgpr_workgroup_id_z 0
		.amdhsa_system_sgpr_workgroup_info 0
		.amdhsa_system_vgpr_workitem_id 0
		.amdhsa_next_free_vgpr 1
		.amdhsa_next_free_sgpr 1
		.amdhsa_reserve_vcc 0
		.amdhsa_float_round_mode_32 0
		.amdhsa_float_round_mode_16_64 0
		.amdhsa_float_denorm_mode_32 3
		.amdhsa_float_denorm_mode_16_64 3
		.amdhsa_dx10_clamp 1
		.amdhsa_ieee_mode 1
		.amdhsa_fp16_overflow 0
		.amdhsa_workgroup_processor_mode 1
		.amdhsa_memory_ordered 1
		.amdhsa_forward_progress 0
		.amdhsa_shared_vgpr_count 0
		.amdhsa_exception_fp_ieee_invalid_op 0
		.amdhsa_exception_fp_denorm_src 0
		.amdhsa_exception_fp_ieee_div_zero 0
		.amdhsa_exception_fp_ieee_overflow 0
		.amdhsa_exception_fp_ieee_underflow 0
		.amdhsa_exception_fp_ieee_inexact 0
		.amdhsa_exception_int_div_zero 0
	.end_amdhsa_kernel
	.section	.text._ZN7rocprim17ROCPRIM_400000_NS6detail17trampoline_kernelINS0_14default_configENS1_20scan_config_selectorIN3c108BFloat16EEEZZNS1_9scan_implILNS1_25lookback_scan_determinismE0ELb0ELb0ES3_PKS6_PS6_S6_ZZZN2at6native31launch_logcumsumexp_cuda_kernelERKNSD_10TensorBaseESH_lENKUlvE_clEvENKUlvE4_clEvEUlS6_S6_E_S6_EEDaPvRmT3_T4_T5_mT6_P12ihipStream_tbENKUlT_T0_E_clISt17integral_constantIbLb0EESY_EEDaST_SU_EUlST_E0_NS1_11comp_targetILNS1_3genE5ELNS1_11target_archE942ELNS1_3gpuE9ELNS1_3repE0EEENS1_30default_config_static_selectorELNS0_4arch9wavefront6targetE0EEEvT1_,"axG",@progbits,_ZN7rocprim17ROCPRIM_400000_NS6detail17trampoline_kernelINS0_14default_configENS1_20scan_config_selectorIN3c108BFloat16EEEZZNS1_9scan_implILNS1_25lookback_scan_determinismE0ELb0ELb0ES3_PKS6_PS6_S6_ZZZN2at6native31launch_logcumsumexp_cuda_kernelERKNSD_10TensorBaseESH_lENKUlvE_clEvENKUlvE4_clEvEUlS6_S6_E_S6_EEDaPvRmT3_T4_T5_mT6_P12ihipStream_tbENKUlT_T0_E_clISt17integral_constantIbLb0EESY_EEDaST_SU_EUlST_E0_NS1_11comp_targetILNS1_3genE5ELNS1_11target_archE942ELNS1_3gpuE9ELNS1_3repE0EEENS1_30default_config_static_selectorELNS0_4arch9wavefront6targetE0EEEvT1_,comdat
.Lfunc_end465:
	.size	_ZN7rocprim17ROCPRIM_400000_NS6detail17trampoline_kernelINS0_14default_configENS1_20scan_config_selectorIN3c108BFloat16EEEZZNS1_9scan_implILNS1_25lookback_scan_determinismE0ELb0ELb0ES3_PKS6_PS6_S6_ZZZN2at6native31launch_logcumsumexp_cuda_kernelERKNSD_10TensorBaseESH_lENKUlvE_clEvENKUlvE4_clEvEUlS6_S6_E_S6_EEDaPvRmT3_T4_T5_mT6_P12ihipStream_tbENKUlT_T0_E_clISt17integral_constantIbLb0EESY_EEDaST_SU_EUlST_E0_NS1_11comp_targetILNS1_3genE5ELNS1_11target_archE942ELNS1_3gpuE9ELNS1_3repE0EEENS1_30default_config_static_selectorELNS0_4arch9wavefront6targetE0EEEvT1_, .Lfunc_end465-_ZN7rocprim17ROCPRIM_400000_NS6detail17trampoline_kernelINS0_14default_configENS1_20scan_config_selectorIN3c108BFloat16EEEZZNS1_9scan_implILNS1_25lookback_scan_determinismE0ELb0ELb0ES3_PKS6_PS6_S6_ZZZN2at6native31launch_logcumsumexp_cuda_kernelERKNSD_10TensorBaseESH_lENKUlvE_clEvENKUlvE4_clEvEUlS6_S6_E_S6_EEDaPvRmT3_T4_T5_mT6_P12ihipStream_tbENKUlT_T0_E_clISt17integral_constantIbLb0EESY_EEDaST_SU_EUlST_E0_NS1_11comp_targetILNS1_3genE5ELNS1_11target_archE942ELNS1_3gpuE9ELNS1_3repE0EEENS1_30default_config_static_selectorELNS0_4arch9wavefront6targetE0EEEvT1_
                                        ; -- End function
	.section	.AMDGPU.csdata,"",@progbits
; Kernel info:
; codeLenInByte = 0
; NumSgprs: 0
; NumVgprs: 0
; ScratchSize: 0
; MemoryBound: 0
; FloatMode: 240
; IeeeMode: 1
; LDSByteSize: 0 bytes/workgroup (compile time only)
; SGPRBlocks: 0
; VGPRBlocks: 0
; NumSGPRsForWavesPerEU: 1
; NumVGPRsForWavesPerEU: 1
; Occupancy: 16
; WaveLimiterHint : 0
; COMPUTE_PGM_RSRC2:SCRATCH_EN: 0
; COMPUTE_PGM_RSRC2:USER_SGPR: 15
; COMPUTE_PGM_RSRC2:TRAP_HANDLER: 0
; COMPUTE_PGM_RSRC2:TGID_X_EN: 1
; COMPUTE_PGM_RSRC2:TGID_Y_EN: 0
; COMPUTE_PGM_RSRC2:TGID_Z_EN: 0
; COMPUTE_PGM_RSRC2:TIDIG_COMP_CNT: 0
	.section	.text._ZN7rocprim17ROCPRIM_400000_NS6detail17trampoline_kernelINS0_14default_configENS1_20scan_config_selectorIN3c108BFloat16EEEZZNS1_9scan_implILNS1_25lookback_scan_determinismE0ELb0ELb0ES3_PKS6_PS6_S6_ZZZN2at6native31launch_logcumsumexp_cuda_kernelERKNSD_10TensorBaseESH_lENKUlvE_clEvENKUlvE4_clEvEUlS6_S6_E_S6_EEDaPvRmT3_T4_T5_mT6_P12ihipStream_tbENKUlT_T0_E_clISt17integral_constantIbLb0EESY_EEDaST_SU_EUlST_E0_NS1_11comp_targetILNS1_3genE4ELNS1_11target_archE910ELNS1_3gpuE8ELNS1_3repE0EEENS1_30default_config_static_selectorELNS0_4arch9wavefront6targetE0EEEvT1_,"axG",@progbits,_ZN7rocprim17ROCPRIM_400000_NS6detail17trampoline_kernelINS0_14default_configENS1_20scan_config_selectorIN3c108BFloat16EEEZZNS1_9scan_implILNS1_25lookback_scan_determinismE0ELb0ELb0ES3_PKS6_PS6_S6_ZZZN2at6native31launch_logcumsumexp_cuda_kernelERKNSD_10TensorBaseESH_lENKUlvE_clEvENKUlvE4_clEvEUlS6_S6_E_S6_EEDaPvRmT3_T4_T5_mT6_P12ihipStream_tbENKUlT_T0_E_clISt17integral_constantIbLb0EESY_EEDaST_SU_EUlST_E0_NS1_11comp_targetILNS1_3genE4ELNS1_11target_archE910ELNS1_3gpuE8ELNS1_3repE0EEENS1_30default_config_static_selectorELNS0_4arch9wavefront6targetE0EEEvT1_,comdat
	.globl	_ZN7rocprim17ROCPRIM_400000_NS6detail17trampoline_kernelINS0_14default_configENS1_20scan_config_selectorIN3c108BFloat16EEEZZNS1_9scan_implILNS1_25lookback_scan_determinismE0ELb0ELb0ES3_PKS6_PS6_S6_ZZZN2at6native31launch_logcumsumexp_cuda_kernelERKNSD_10TensorBaseESH_lENKUlvE_clEvENKUlvE4_clEvEUlS6_S6_E_S6_EEDaPvRmT3_T4_T5_mT6_P12ihipStream_tbENKUlT_T0_E_clISt17integral_constantIbLb0EESY_EEDaST_SU_EUlST_E0_NS1_11comp_targetILNS1_3genE4ELNS1_11target_archE910ELNS1_3gpuE8ELNS1_3repE0EEENS1_30default_config_static_selectorELNS0_4arch9wavefront6targetE0EEEvT1_ ; -- Begin function _ZN7rocprim17ROCPRIM_400000_NS6detail17trampoline_kernelINS0_14default_configENS1_20scan_config_selectorIN3c108BFloat16EEEZZNS1_9scan_implILNS1_25lookback_scan_determinismE0ELb0ELb0ES3_PKS6_PS6_S6_ZZZN2at6native31launch_logcumsumexp_cuda_kernelERKNSD_10TensorBaseESH_lENKUlvE_clEvENKUlvE4_clEvEUlS6_S6_E_S6_EEDaPvRmT3_T4_T5_mT6_P12ihipStream_tbENKUlT_T0_E_clISt17integral_constantIbLb0EESY_EEDaST_SU_EUlST_E0_NS1_11comp_targetILNS1_3genE4ELNS1_11target_archE910ELNS1_3gpuE8ELNS1_3repE0EEENS1_30default_config_static_selectorELNS0_4arch9wavefront6targetE0EEEvT1_
	.p2align	8
	.type	_ZN7rocprim17ROCPRIM_400000_NS6detail17trampoline_kernelINS0_14default_configENS1_20scan_config_selectorIN3c108BFloat16EEEZZNS1_9scan_implILNS1_25lookback_scan_determinismE0ELb0ELb0ES3_PKS6_PS6_S6_ZZZN2at6native31launch_logcumsumexp_cuda_kernelERKNSD_10TensorBaseESH_lENKUlvE_clEvENKUlvE4_clEvEUlS6_S6_E_S6_EEDaPvRmT3_T4_T5_mT6_P12ihipStream_tbENKUlT_T0_E_clISt17integral_constantIbLb0EESY_EEDaST_SU_EUlST_E0_NS1_11comp_targetILNS1_3genE4ELNS1_11target_archE910ELNS1_3gpuE8ELNS1_3repE0EEENS1_30default_config_static_selectorELNS0_4arch9wavefront6targetE0EEEvT1_,@function
_ZN7rocprim17ROCPRIM_400000_NS6detail17trampoline_kernelINS0_14default_configENS1_20scan_config_selectorIN3c108BFloat16EEEZZNS1_9scan_implILNS1_25lookback_scan_determinismE0ELb0ELb0ES3_PKS6_PS6_S6_ZZZN2at6native31launch_logcumsumexp_cuda_kernelERKNSD_10TensorBaseESH_lENKUlvE_clEvENKUlvE4_clEvEUlS6_S6_E_S6_EEDaPvRmT3_T4_T5_mT6_P12ihipStream_tbENKUlT_T0_E_clISt17integral_constantIbLb0EESY_EEDaST_SU_EUlST_E0_NS1_11comp_targetILNS1_3genE4ELNS1_11target_archE910ELNS1_3gpuE8ELNS1_3repE0EEENS1_30default_config_static_selectorELNS0_4arch9wavefront6targetE0EEEvT1_: ; @_ZN7rocprim17ROCPRIM_400000_NS6detail17trampoline_kernelINS0_14default_configENS1_20scan_config_selectorIN3c108BFloat16EEEZZNS1_9scan_implILNS1_25lookback_scan_determinismE0ELb0ELb0ES3_PKS6_PS6_S6_ZZZN2at6native31launch_logcumsumexp_cuda_kernelERKNSD_10TensorBaseESH_lENKUlvE_clEvENKUlvE4_clEvEUlS6_S6_E_S6_EEDaPvRmT3_T4_T5_mT6_P12ihipStream_tbENKUlT_T0_E_clISt17integral_constantIbLb0EESY_EEDaST_SU_EUlST_E0_NS1_11comp_targetILNS1_3genE4ELNS1_11target_archE910ELNS1_3gpuE8ELNS1_3repE0EEENS1_30default_config_static_selectorELNS0_4arch9wavefront6targetE0EEEvT1_
; %bb.0:
	.section	.rodata,"a",@progbits
	.p2align	6, 0x0
	.amdhsa_kernel _ZN7rocprim17ROCPRIM_400000_NS6detail17trampoline_kernelINS0_14default_configENS1_20scan_config_selectorIN3c108BFloat16EEEZZNS1_9scan_implILNS1_25lookback_scan_determinismE0ELb0ELb0ES3_PKS6_PS6_S6_ZZZN2at6native31launch_logcumsumexp_cuda_kernelERKNSD_10TensorBaseESH_lENKUlvE_clEvENKUlvE4_clEvEUlS6_S6_E_S6_EEDaPvRmT3_T4_T5_mT6_P12ihipStream_tbENKUlT_T0_E_clISt17integral_constantIbLb0EESY_EEDaST_SU_EUlST_E0_NS1_11comp_targetILNS1_3genE4ELNS1_11target_archE910ELNS1_3gpuE8ELNS1_3repE0EEENS1_30default_config_static_selectorELNS0_4arch9wavefront6targetE0EEEvT1_
		.amdhsa_group_segment_fixed_size 0
		.amdhsa_private_segment_fixed_size 0
		.amdhsa_kernarg_size 32
		.amdhsa_user_sgpr_count 15
		.amdhsa_user_sgpr_dispatch_ptr 0
		.amdhsa_user_sgpr_queue_ptr 0
		.amdhsa_user_sgpr_kernarg_segment_ptr 1
		.amdhsa_user_sgpr_dispatch_id 0
		.amdhsa_user_sgpr_private_segment_size 0
		.amdhsa_wavefront_size32 1
		.amdhsa_uses_dynamic_stack 0
		.amdhsa_enable_private_segment 0
		.amdhsa_system_sgpr_workgroup_id_x 1
		.amdhsa_system_sgpr_workgroup_id_y 0
		.amdhsa_system_sgpr_workgroup_id_z 0
		.amdhsa_system_sgpr_workgroup_info 0
		.amdhsa_system_vgpr_workitem_id 0
		.amdhsa_next_free_vgpr 1
		.amdhsa_next_free_sgpr 1
		.amdhsa_reserve_vcc 0
		.amdhsa_float_round_mode_32 0
		.amdhsa_float_round_mode_16_64 0
		.amdhsa_float_denorm_mode_32 3
		.amdhsa_float_denorm_mode_16_64 3
		.amdhsa_dx10_clamp 1
		.amdhsa_ieee_mode 1
		.amdhsa_fp16_overflow 0
		.amdhsa_workgroup_processor_mode 1
		.amdhsa_memory_ordered 1
		.amdhsa_forward_progress 0
		.amdhsa_shared_vgpr_count 0
		.amdhsa_exception_fp_ieee_invalid_op 0
		.amdhsa_exception_fp_denorm_src 0
		.amdhsa_exception_fp_ieee_div_zero 0
		.amdhsa_exception_fp_ieee_overflow 0
		.amdhsa_exception_fp_ieee_underflow 0
		.amdhsa_exception_fp_ieee_inexact 0
		.amdhsa_exception_int_div_zero 0
	.end_amdhsa_kernel
	.section	.text._ZN7rocprim17ROCPRIM_400000_NS6detail17trampoline_kernelINS0_14default_configENS1_20scan_config_selectorIN3c108BFloat16EEEZZNS1_9scan_implILNS1_25lookback_scan_determinismE0ELb0ELb0ES3_PKS6_PS6_S6_ZZZN2at6native31launch_logcumsumexp_cuda_kernelERKNSD_10TensorBaseESH_lENKUlvE_clEvENKUlvE4_clEvEUlS6_S6_E_S6_EEDaPvRmT3_T4_T5_mT6_P12ihipStream_tbENKUlT_T0_E_clISt17integral_constantIbLb0EESY_EEDaST_SU_EUlST_E0_NS1_11comp_targetILNS1_3genE4ELNS1_11target_archE910ELNS1_3gpuE8ELNS1_3repE0EEENS1_30default_config_static_selectorELNS0_4arch9wavefront6targetE0EEEvT1_,"axG",@progbits,_ZN7rocprim17ROCPRIM_400000_NS6detail17trampoline_kernelINS0_14default_configENS1_20scan_config_selectorIN3c108BFloat16EEEZZNS1_9scan_implILNS1_25lookback_scan_determinismE0ELb0ELb0ES3_PKS6_PS6_S6_ZZZN2at6native31launch_logcumsumexp_cuda_kernelERKNSD_10TensorBaseESH_lENKUlvE_clEvENKUlvE4_clEvEUlS6_S6_E_S6_EEDaPvRmT3_T4_T5_mT6_P12ihipStream_tbENKUlT_T0_E_clISt17integral_constantIbLb0EESY_EEDaST_SU_EUlST_E0_NS1_11comp_targetILNS1_3genE4ELNS1_11target_archE910ELNS1_3gpuE8ELNS1_3repE0EEENS1_30default_config_static_selectorELNS0_4arch9wavefront6targetE0EEEvT1_,comdat
.Lfunc_end466:
	.size	_ZN7rocprim17ROCPRIM_400000_NS6detail17trampoline_kernelINS0_14default_configENS1_20scan_config_selectorIN3c108BFloat16EEEZZNS1_9scan_implILNS1_25lookback_scan_determinismE0ELb0ELb0ES3_PKS6_PS6_S6_ZZZN2at6native31launch_logcumsumexp_cuda_kernelERKNSD_10TensorBaseESH_lENKUlvE_clEvENKUlvE4_clEvEUlS6_S6_E_S6_EEDaPvRmT3_T4_T5_mT6_P12ihipStream_tbENKUlT_T0_E_clISt17integral_constantIbLb0EESY_EEDaST_SU_EUlST_E0_NS1_11comp_targetILNS1_3genE4ELNS1_11target_archE910ELNS1_3gpuE8ELNS1_3repE0EEENS1_30default_config_static_selectorELNS0_4arch9wavefront6targetE0EEEvT1_, .Lfunc_end466-_ZN7rocprim17ROCPRIM_400000_NS6detail17trampoline_kernelINS0_14default_configENS1_20scan_config_selectorIN3c108BFloat16EEEZZNS1_9scan_implILNS1_25lookback_scan_determinismE0ELb0ELb0ES3_PKS6_PS6_S6_ZZZN2at6native31launch_logcumsumexp_cuda_kernelERKNSD_10TensorBaseESH_lENKUlvE_clEvENKUlvE4_clEvEUlS6_S6_E_S6_EEDaPvRmT3_T4_T5_mT6_P12ihipStream_tbENKUlT_T0_E_clISt17integral_constantIbLb0EESY_EEDaST_SU_EUlST_E0_NS1_11comp_targetILNS1_3genE4ELNS1_11target_archE910ELNS1_3gpuE8ELNS1_3repE0EEENS1_30default_config_static_selectorELNS0_4arch9wavefront6targetE0EEEvT1_
                                        ; -- End function
	.section	.AMDGPU.csdata,"",@progbits
; Kernel info:
; codeLenInByte = 0
; NumSgprs: 0
; NumVgprs: 0
; ScratchSize: 0
; MemoryBound: 0
; FloatMode: 240
; IeeeMode: 1
; LDSByteSize: 0 bytes/workgroup (compile time only)
; SGPRBlocks: 0
; VGPRBlocks: 0
; NumSGPRsForWavesPerEU: 1
; NumVGPRsForWavesPerEU: 1
; Occupancy: 16
; WaveLimiterHint : 0
; COMPUTE_PGM_RSRC2:SCRATCH_EN: 0
; COMPUTE_PGM_RSRC2:USER_SGPR: 15
; COMPUTE_PGM_RSRC2:TRAP_HANDLER: 0
; COMPUTE_PGM_RSRC2:TGID_X_EN: 1
; COMPUTE_PGM_RSRC2:TGID_Y_EN: 0
; COMPUTE_PGM_RSRC2:TGID_Z_EN: 0
; COMPUTE_PGM_RSRC2:TIDIG_COMP_CNT: 0
	.section	.text._ZN7rocprim17ROCPRIM_400000_NS6detail17trampoline_kernelINS0_14default_configENS1_20scan_config_selectorIN3c108BFloat16EEEZZNS1_9scan_implILNS1_25lookback_scan_determinismE0ELb0ELb0ES3_PKS6_PS6_S6_ZZZN2at6native31launch_logcumsumexp_cuda_kernelERKNSD_10TensorBaseESH_lENKUlvE_clEvENKUlvE4_clEvEUlS6_S6_E_S6_EEDaPvRmT3_T4_T5_mT6_P12ihipStream_tbENKUlT_T0_E_clISt17integral_constantIbLb0EESY_EEDaST_SU_EUlST_E0_NS1_11comp_targetILNS1_3genE3ELNS1_11target_archE908ELNS1_3gpuE7ELNS1_3repE0EEENS1_30default_config_static_selectorELNS0_4arch9wavefront6targetE0EEEvT1_,"axG",@progbits,_ZN7rocprim17ROCPRIM_400000_NS6detail17trampoline_kernelINS0_14default_configENS1_20scan_config_selectorIN3c108BFloat16EEEZZNS1_9scan_implILNS1_25lookback_scan_determinismE0ELb0ELb0ES3_PKS6_PS6_S6_ZZZN2at6native31launch_logcumsumexp_cuda_kernelERKNSD_10TensorBaseESH_lENKUlvE_clEvENKUlvE4_clEvEUlS6_S6_E_S6_EEDaPvRmT3_T4_T5_mT6_P12ihipStream_tbENKUlT_T0_E_clISt17integral_constantIbLb0EESY_EEDaST_SU_EUlST_E0_NS1_11comp_targetILNS1_3genE3ELNS1_11target_archE908ELNS1_3gpuE7ELNS1_3repE0EEENS1_30default_config_static_selectorELNS0_4arch9wavefront6targetE0EEEvT1_,comdat
	.globl	_ZN7rocprim17ROCPRIM_400000_NS6detail17trampoline_kernelINS0_14default_configENS1_20scan_config_selectorIN3c108BFloat16EEEZZNS1_9scan_implILNS1_25lookback_scan_determinismE0ELb0ELb0ES3_PKS6_PS6_S6_ZZZN2at6native31launch_logcumsumexp_cuda_kernelERKNSD_10TensorBaseESH_lENKUlvE_clEvENKUlvE4_clEvEUlS6_S6_E_S6_EEDaPvRmT3_T4_T5_mT6_P12ihipStream_tbENKUlT_T0_E_clISt17integral_constantIbLb0EESY_EEDaST_SU_EUlST_E0_NS1_11comp_targetILNS1_3genE3ELNS1_11target_archE908ELNS1_3gpuE7ELNS1_3repE0EEENS1_30default_config_static_selectorELNS0_4arch9wavefront6targetE0EEEvT1_ ; -- Begin function _ZN7rocprim17ROCPRIM_400000_NS6detail17trampoline_kernelINS0_14default_configENS1_20scan_config_selectorIN3c108BFloat16EEEZZNS1_9scan_implILNS1_25lookback_scan_determinismE0ELb0ELb0ES3_PKS6_PS6_S6_ZZZN2at6native31launch_logcumsumexp_cuda_kernelERKNSD_10TensorBaseESH_lENKUlvE_clEvENKUlvE4_clEvEUlS6_S6_E_S6_EEDaPvRmT3_T4_T5_mT6_P12ihipStream_tbENKUlT_T0_E_clISt17integral_constantIbLb0EESY_EEDaST_SU_EUlST_E0_NS1_11comp_targetILNS1_3genE3ELNS1_11target_archE908ELNS1_3gpuE7ELNS1_3repE0EEENS1_30default_config_static_selectorELNS0_4arch9wavefront6targetE0EEEvT1_
	.p2align	8
	.type	_ZN7rocprim17ROCPRIM_400000_NS6detail17trampoline_kernelINS0_14default_configENS1_20scan_config_selectorIN3c108BFloat16EEEZZNS1_9scan_implILNS1_25lookback_scan_determinismE0ELb0ELb0ES3_PKS6_PS6_S6_ZZZN2at6native31launch_logcumsumexp_cuda_kernelERKNSD_10TensorBaseESH_lENKUlvE_clEvENKUlvE4_clEvEUlS6_S6_E_S6_EEDaPvRmT3_T4_T5_mT6_P12ihipStream_tbENKUlT_T0_E_clISt17integral_constantIbLb0EESY_EEDaST_SU_EUlST_E0_NS1_11comp_targetILNS1_3genE3ELNS1_11target_archE908ELNS1_3gpuE7ELNS1_3repE0EEENS1_30default_config_static_selectorELNS0_4arch9wavefront6targetE0EEEvT1_,@function
_ZN7rocprim17ROCPRIM_400000_NS6detail17trampoline_kernelINS0_14default_configENS1_20scan_config_selectorIN3c108BFloat16EEEZZNS1_9scan_implILNS1_25lookback_scan_determinismE0ELb0ELb0ES3_PKS6_PS6_S6_ZZZN2at6native31launch_logcumsumexp_cuda_kernelERKNSD_10TensorBaseESH_lENKUlvE_clEvENKUlvE4_clEvEUlS6_S6_E_S6_EEDaPvRmT3_T4_T5_mT6_P12ihipStream_tbENKUlT_T0_E_clISt17integral_constantIbLb0EESY_EEDaST_SU_EUlST_E0_NS1_11comp_targetILNS1_3genE3ELNS1_11target_archE908ELNS1_3gpuE7ELNS1_3repE0EEENS1_30default_config_static_selectorELNS0_4arch9wavefront6targetE0EEEvT1_: ; @_ZN7rocprim17ROCPRIM_400000_NS6detail17trampoline_kernelINS0_14default_configENS1_20scan_config_selectorIN3c108BFloat16EEEZZNS1_9scan_implILNS1_25lookback_scan_determinismE0ELb0ELb0ES3_PKS6_PS6_S6_ZZZN2at6native31launch_logcumsumexp_cuda_kernelERKNSD_10TensorBaseESH_lENKUlvE_clEvENKUlvE4_clEvEUlS6_S6_E_S6_EEDaPvRmT3_T4_T5_mT6_P12ihipStream_tbENKUlT_T0_E_clISt17integral_constantIbLb0EESY_EEDaST_SU_EUlST_E0_NS1_11comp_targetILNS1_3genE3ELNS1_11target_archE908ELNS1_3gpuE7ELNS1_3repE0EEENS1_30default_config_static_selectorELNS0_4arch9wavefront6targetE0EEEvT1_
; %bb.0:
	.section	.rodata,"a",@progbits
	.p2align	6, 0x0
	.amdhsa_kernel _ZN7rocprim17ROCPRIM_400000_NS6detail17trampoline_kernelINS0_14default_configENS1_20scan_config_selectorIN3c108BFloat16EEEZZNS1_9scan_implILNS1_25lookback_scan_determinismE0ELb0ELb0ES3_PKS6_PS6_S6_ZZZN2at6native31launch_logcumsumexp_cuda_kernelERKNSD_10TensorBaseESH_lENKUlvE_clEvENKUlvE4_clEvEUlS6_S6_E_S6_EEDaPvRmT3_T4_T5_mT6_P12ihipStream_tbENKUlT_T0_E_clISt17integral_constantIbLb0EESY_EEDaST_SU_EUlST_E0_NS1_11comp_targetILNS1_3genE3ELNS1_11target_archE908ELNS1_3gpuE7ELNS1_3repE0EEENS1_30default_config_static_selectorELNS0_4arch9wavefront6targetE0EEEvT1_
		.amdhsa_group_segment_fixed_size 0
		.amdhsa_private_segment_fixed_size 0
		.amdhsa_kernarg_size 32
		.amdhsa_user_sgpr_count 15
		.amdhsa_user_sgpr_dispatch_ptr 0
		.amdhsa_user_sgpr_queue_ptr 0
		.amdhsa_user_sgpr_kernarg_segment_ptr 1
		.amdhsa_user_sgpr_dispatch_id 0
		.amdhsa_user_sgpr_private_segment_size 0
		.amdhsa_wavefront_size32 1
		.amdhsa_uses_dynamic_stack 0
		.amdhsa_enable_private_segment 0
		.amdhsa_system_sgpr_workgroup_id_x 1
		.amdhsa_system_sgpr_workgroup_id_y 0
		.amdhsa_system_sgpr_workgroup_id_z 0
		.amdhsa_system_sgpr_workgroup_info 0
		.amdhsa_system_vgpr_workitem_id 0
		.amdhsa_next_free_vgpr 1
		.amdhsa_next_free_sgpr 1
		.amdhsa_reserve_vcc 0
		.amdhsa_float_round_mode_32 0
		.amdhsa_float_round_mode_16_64 0
		.amdhsa_float_denorm_mode_32 3
		.amdhsa_float_denorm_mode_16_64 3
		.amdhsa_dx10_clamp 1
		.amdhsa_ieee_mode 1
		.amdhsa_fp16_overflow 0
		.amdhsa_workgroup_processor_mode 1
		.amdhsa_memory_ordered 1
		.amdhsa_forward_progress 0
		.amdhsa_shared_vgpr_count 0
		.amdhsa_exception_fp_ieee_invalid_op 0
		.amdhsa_exception_fp_denorm_src 0
		.amdhsa_exception_fp_ieee_div_zero 0
		.amdhsa_exception_fp_ieee_overflow 0
		.amdhsa_exception_fp_ieee_underflow 0
		.amdhsa_exception_fp_ieee_inexact 0
		.amdhsa_exception_int_div_zero 0
	.end_amdhsa_kernel
	.section	.text._ZN7rocprim17ROCPRIM_400000_NS6detail17trampoline_kernelINS0_14default_configENS1_20scan_config_selectorIN3c108BFloat16EEEZZNS1_9scan_implILNS1_25lookback_scan_determinismE0ELb0ELb0ES3_PKS6_PS6_S6_ZZZN2at6native31launch_logcumsumexp_cuda_kernelERKNSD_10TensorBaseESH_lENKUlvE_clEvENKUlvE4_clEvEUlS6_S6_E_S6_EEDaPvRmT3_T4_T5_mT6_P12ihipStream_tbENKUlT_T0_E_clISt17integral_constantIbLb0EESY_EEDaST_SU_EUlST_E0_NS1_11comp_targetILNS1_3genE3ELNS1_11target_archE908ELNS1_3gpuE7ELNS1_3repE0EEENS1_30default_config_static_selectorELNS0_4arch9wavefront6targetE0EEEvT1_,"axG",@progbits,_ZN7rocprim17ROCPRIM_400000_NS6detail17trampoline_kernelINS0_14default_configENS1_20scan_config_selectorIN3c108BFloat16EEEZZNS1_9scan_implILNS1_25lookback_scan_determinismE0ELb0ELb0ES3_PKS6_PS6_S6_ZZZN2at6native31launch_logcumsumexp_cuda_kernelERKNSD_10TensorBaseESH_lENKUlvE_clEvENKUlvE4_clEvEUlS6_S6_E_S6_EEDaPvRmT3_T4_T5_mT6_P12ihipStream_tbENKUlT_T0_E_clISt17integral_constantIbLb0EESY_EEDaST_SU_EUlST_E0_NS1_11comp_targetILNS1_3genE3ELNS1_11target_archE908ELNS1_3gpuE7ELNS1_3repE0EEENS1_30default_config_static_selectorELNS0_4arch9wavefront6targetE0EEEvT1_,comdat
.Lfunc_end467:
	.size	_ZN7rocprim17ROCPRIM_400000_NS6detail17trampoline_kernelINS0_14default_configENS1_20scan_config_selectorIN3c108BFloat16EEEZZNS1_9scan_implILNS1_25lookback_scan_determinismE0ELb0ELb0ES3_PKS6_PS6_S6_ZZZN2at6native31launch_logcumsumexp_cuda_kernelERKNSD_10TensorBaseESH_lENKUlvE_clEvENKUlvE4_clEvEUlS6_S6_E_S6_EEDaPvRmT3_T4_T5_mT6_P12ihipStream_tbENKUlT_T0_E_clISt17integral_constantIbLb0EESY_EEDaST_SU_EUlST_E0_NS1_11comp_targetILNS1_3genE3ELNS1_11target_archE908ELNS1_3gpuE7ELNS1_3repE0EEENS1_30default_config_static_selectorELNS0_4arch9wavefront6targetE0EEEvT1_, .Lfunc_end467-_ZN7rocprim17ROCPRIM_400000_NS6detail17trampoline_kernelINS0_14default_configENS1_20scan_config_selectorIN3c108BFloat16EEEZZNS1_9scan_implILNS1_25lookback_scan_determinismE0ELb0ELb0ES3_PKS6_PS6_S6_ZZZN2at6native31launch_logcumsumexp_cuda_kernelERKNSD_10TensorBaseESH_lENKUlvE_clEvENKUlvE4_clEvEUlS6_S6_E_S6_EEDaPvRmT3_T4_T5_mT6_P12ihipStream_tbENKUlT_T0_E_clISt17integral_constantIbLb0EESY_EEDaST_SU_EUlST_E0_NS1_11comp_targetILNS1_3genE3ELNS1_11target_archE908ELNS1_3gpuE7ELNS1_3repE0EEENS1_30default_config_static_selectorELNS0_4arch9wavefront6targetE0EEEvT1_
                                        ; -- End function
	.section	.AMDGPU.csdata,"",@progbits
; Kernel info:
; codeLenInByte = 0
; NumSgprs: 0
; NumVgprs: 0
; ScratchSize: 0
; MemoryBound: 0
; FloatMode: 240
; IeeeMode: 1
; LDSByteSize: 0 bytes/workgroup (compile time only)
; SGPRBlocks: 0
; VGPRBlocks: 0
; NumSGPRsForWavesPerEU: 1
; NumVGPRsForWavesPerEU: 1
; Occupancy: 16
; WaveLimiterHint : 0
; COMPUTE_PGM_RSRC2:SCRATCH_EN: 0
; COMPUTE_PGM_RSRC2:USER_SGPR: 15
; COMPUTE_PGM_RSRC2:TRAP_HANDLER: 0
; COMPUTE_PGM_RSRC2:TGID_X_EN: 1
; COMPUTE_PGM_RSRC2:TGID_Y_EN: 0
; COMPUTE_PGM_RSRC2:TGID_Z_EN: 0
; COMPUTE_PGM_RSRC2:TIDIG_COMP_CNT: 0
	.section	.text._ZN7rocprim17ROCPRIM_400000_NS6detail17trampoline_kernelINS0_14default_configENS1_20scan_config_selectorIN3c108BFloat16EEEZZNS1_9scan_implILNS1_25lookback_scan_determinismE0ELb0ELb0ES3_PKS6_PS6_S6_ZZZN2at6native31launch_logcumsumexp_cuda_kernelERKNSD_10TensorBaseESH_lENKUlvE_clEvENKUlvE4_clEvEUlS6_S6_E_S6_EEDaPvRmT3_T4_T5_mT6_P12ihipStream_tbENKUlT_T0_E_clISt17integral_constantIbLb0EESY_EEDaST_SU_EUlST_E0_NS1_11comp_targetILNS1_3genE2ELNS1_11target_archE906ELNS1_3gpuE6ELNS1_3repE0EEENS1_30default_config_static_selectorELNS0_4arch9wavefront6targetE0EEEvT1_,"axG",@progbits,_ZN7rocprim17ROCPRIM_400000_NS6detail17trampoline_kernelINS0_14default_configENS1_20scan_config_selectorIN3c108BFloat16EEEZZNS1_9scan_implILNS1_25lookback_scan_determinismE0ELb0ELb0ES3_PKS6_PS6_S6_ZZZN2at6native31launch_logcumsumexp_cuda_kernelERKNSD_10TensorBaseESH_lENKUlvE_clEvENKUlvE4_clEvEUlS6_S6_E_S6_EEDaPvRmT3_T4_T5_mT6_P12ihipStream_tbENKUlT_T0_E_clISt17integral_constantIbLb0EESY_EEDaST_SU_EUlST_E0_NS1_11comp_targetILNS1_3genE2ELNS1_11target_archE906ELNS1_3gpuE6ELNS1_3repE0EEENS1_30default_config_static_selectorELNS0_4arch9wavefront6targetE0EEEvT1_,comdat
	.globl	_ZN7rocprim17ROCPRIM_400000_NS6detail17trampoline_kernelINS0_14default_configENS1_20scan_config_selectorIN3c108BFloat16EEEZZNS1_9scan_implILNS1_25lookback_scan_determinismE0ELb0ELb0ES3_PKS6_PS6_S6_ZZZN2at6native31launch_logcumsumexp_cuda_kernelERKNSD_10TensorBaseESH_lENKUlvE_clEvENKUlvE4_clEvEUlS6_S6_E_S6_EEDaPvRmT3_T4_T5_mT6_P12ihipStream_tbENKUlT_T0_E_clISt17integral_constantIbLb0EESY_EEDaST_SU_EUlST_E0_NS1_11comp_targetILNS1_3genE2ELNS1_11target_archE906ELNS1_3gpuE6ELNS1_3repE0EEENS1_30default_config_static_selectorELNS0_4arch9wavefront6targetE0EEEvT1_ ; -- Begin function _ZN7rocprim17ROCPRIM_400000_NS6detail17trampoline_kernelINS0_14default_configENS1_20scan_config_selectorIN3c108BFloat16EEEZZNS1_9scan_implILNS1_25lookback_scan_determinismE0ELb0ELb0ES3_PKS6_PS6_S6_ZZZN2at6native31launch_logcumsumexp_cuda_kernelERKNSD_10TensorBaseESH_lENKUlvE_clEvENKUlvE4_clEvEUlS6_S6_E_S6_EEDaPvRmT3_T4_T5_mT6_P12ihipStream_tbENKUlT_T0_E_clISt17integral_constantIbLb0EESY_EEDaST_SU_EUlST_E0_NS1_11comp_targetILNS1_3genE2ELNS1_11target_archE906ELNS1_3gpuE6ELNS1_3repE0EEENS1_30default_config_static_selectorELNS0_4arch9wavefront6targetE0EEEvT1_
	.p2align	8
	.type	_ZN7rocprim17ROCPRIM_400000_NS6detail17trampoline_kernelINS0_14default_configENS1_20scan_config_selectorIN3c108BFloat16EEEZZNS1_9scan_implILNS1_25lookback_scan_determinismE0ELb0ELb0ES3_PKS6_PS6_S6_ZZZN2at6native31launch_logcumsumexp_cuda_kernelERKNSD_10TensorBaseESH_lENKUlvE_clEvENKUlvE4_clEvEUlS6_S6_E_S6_EEDaPvRmT3_T4_T5_mT6_P12ihipStream_tbENKUlT_T0_E_clISt17integral_constantIbLb0EESY_EEDaST_SU_EUlST_E0_NS1_11comp_targetILNS1_3genE2ELNS1_11target_archE906ELNS1_3gpuE6ELNS1_3repE0EEENS1_30default_config_static_selectorELNS0_4arch9wavefront6targetE0EEEvT1_,@function
_ZN7rocprim17ROCPRIM_400000_NS6detail17trampoline_kernelINS0_14default_configENS1_20scan_config_selectorIN3c108BFloat16EEEZZNS1_9scan_implILNS1_25lookback_scan_determinismE0ELb0ELb0ES3_PKS6_PS6_S6_ZZZN2at6native31launch_logcumsumexp_cuda_kernelERKNSD_10TensorBaseESH_lENKUlvE_clEvENKUlvE4_clEvEUlS6_S6_E_S6_EEDaPvRmT3_T4_T5_mT6_P12ihipStream_tbENKUlT_T0_E_clISt17integral_constantIbLb0EESY_EEDaST_SU_EUlST_E0_NS1_11comp_targetILNS1_3genE2ELNS1_11target_archE906ELNS1_3gpuE6ELNS1_3repE0EEENS1_30default_config_static_selectorELNS0_4arch9wavefront6targetE0EEEvT1_: ; @_ZN7rocprim17ROCPRIM_400000_NS6detail17trampoline_kernelINS0_14default_configENS1_20scan_config_selectorIN3c108BFloat16EEEZZNS1_9scan_implILNS1_25lookback_scan_determinismE0ELb0ELb0ES3_PKS6_PS6_S6_ZZZN2at6native31launch_logcumsumexp_cuda_kernelERKNSD_10TensorBaseESH_lENKUlvE_clEvENKUlvE4_clEvEUlS6_S6_E_S6_EEDaPvRmT3_T4_T5_mT6_P12ihipStream_tbENKUlT_T0_E_clISt17integral_constantIbLb0EESY_EEDaST_SU_EUlST_E0_NS1_11comp_targetILNS1_3genE2ELNS1_11target_archE906ELNS1_3gpuE6ELNS1_3repE0EEENS1_30default_config_static_selectorELNS0_4arch9wavefront6targetE0EEEvT1_
; %bb.0:
	.section	.rodata,"a",@progbits
	.p2align	6, 0x0
	.amdhsa_kernel _ZN7rocprim17ROCPRIM_400000_NS6detail17trampoline_kernelINS0_14default_configENS1_20scan_config_selectorIN3c108BFloat16EEEZZNS1_9scan_implILNS1_25lookback_scan_determinismE0ELb0ELb0ES3_PKS6_PS6_S6_ZZZN2at6native31launch_logcumsumexp_cuda_kernelERKNSD_10TensorBaseESH_lENKUlvE_clEvENKUlvE4_clEvEUlS6_S6_E_S6_EEDaPvRmT3_T4_T5_mT6_P12ihipStream_tbENKUlT_T0_E_clISt17integral_constantIbLb0EESY_EEDaST_SU_EUlST_E0_NS1_11comp_targetILNS1_3genE2ELNS1_11target_archE906ELNS1_3gpuE6ELNS1_3repE0EEENS1_30default_config_static_selectorELNS0_4arch9wavefront6targetE0EEEvT1_
		.amdhsa_group_segment_fixed_size 0
		.amdhsa_private_segment_fixed_size 0
		.amdhsa_kernarg_size 32
		.amdhsa_user_sgpr_count 15
		.amdhsa_user_sgpr_dispatch_ptr 0
		.amdhsa_user_sgpr_queue_ptr 0
		.amdhsa_user_sgpr_kernarg_segment_ptr 1
		.amdhsa_user_sgpr_dispatch_id 0
		.amdhsa_user_sgpr_private_segment_size 0
		.amdhsa_wavefront_size32 1
		.amdhsa_uses_dynamic_stack 0
		.amdhsa_enable_private_segment 0
		.amdhsa_system_sgpr_workgroup_id_x 1
		.amdhsa_system_sgpr_workgroup_id_y 0
		.amdhsa_system_sgpr_workgroup_id_z 0
		.amdhsa_system_sgpr_workgroup_info 0
		.amdhsa_system_vgpr_workitem_id 0
		.amdhsa_next_free_vgpr 1
		.amdhsa_next_free_sgpr 1
		.amdhsa_reserve_vcc 0
		.amdhsa_float_round_mode_32 0
		.amdhsa_float_round_mode_16_64 0
		.amdhsa_float_denorm_mode_32 3
		.amdhsa_float_denorm_mode_16_64 3
		.amdhsa_dx10_clamp 1
		.amdhsa_ieee_mode 1
		.amdhsa_fp16_overflow 0
		.amdhsa_workgroup_processor_mode 1
		.amdhsa_memory_ordered 1
		.amdhsa_forward_progress 0
		.amdhsa_shared_vgpr_count 0
		.amdhsa_exception_fp_ieee_invalid_op 0
		.amdhsa_exception_fp_denorm_src 0
		.amdhsa_exception_fp_ieee_div_zero 0
		.amdhsa_exception_fp_ieee_overflow 0
		.amdhsa_exception_fp_ieee_underflow 0
		.amdhsa_exception_fp_ieee_inexact 0
		.amdhsa_exception_int_div_zero 0
	.end_amdhsa_kernel
	.section	.text._ZN7rocprim17ROCPRIM_400000_NS6detail17trampoline_kernelINS0_14default_configENS1_20scan_config_selectorIN3c108BFloat16EEEZZNS1_9scan_implILNS1_25lookback_scan_determinismE0ELb0ELb0ES3_PKS6_PS6_S6_ZZZN2at6native31launch_logcumsumexp_cuda_kernelERKNSD_10TensorBaseESH_lENKUlvE_clEvENKUlvE4_clEvEUlS6_S6_E_S6_EEDaPvRmT3_T4_T5_mT6_P12ihipStream_tbENKUlT_T0_E_clISt17integral_constantIbLb0EESY_EEDaST_SU_EUlST_E0_NS1_11comp_targetILNS1_3genE2ELNS1_11target_archE906ELNS1_3gpuE6ELNS1_3repE0EEENS1_30default_config_static_selectorELNS0_4arch9wavefront6targetE0EEEvT1_,"axG",@progbits,_ZN7rocprim17ROCPRIM_400000_NS6detail17trampoline_kernelINS0_14default_configENS1_20scan_config_selectorIN3c108BFloat16EEEZZNS1_9scan_implILNS1_25lookback_scan_determinismE0ELb0ELb0ES3_PKS6_PS6_S6_ZZZN2at6native31launch_logcumsumexp_cuda_kernelERKNSD_10TensorBaseESH_lENKUlvE_clEvENKUlvE4_clEvEUlS6_S6_E_S6_EEDaPvRmT3_T4_T5_mT6_P12ihipStream_tbENKUlT_T0_E_clISt17integral_constantIbLb0EESY_EEDaST_SU_EUlST_E0_NS1_11comp_targetILNS1_3genE2ELNS1_11target_archE906ELNS1_3gpuE6ELNS1_3repE0EEENS1_30default_config_static_selectorELNS0_4arch9wavefront6targetE0EEEvT1_,comdat
.Lfunc_end468:
	.size	_ZN7rocprim17ROCPRIM_400000_NS6detail17trampoline_kernelINS0_14default_configENS1_20scan_config_selectorIN3c108BFloat16EEEZZNS1_9scan_implILNS1_25lookback_scan_determinismE0ELb0ELb0ES3_PKS6_PS6_S6_ZZZN2at6native31launch_logcumsumexp_cuda_kernelERKNSD_10TensorBaseESH_lENKUlvE_clEvENKUlvE4_clEvEUlS6_S6_E_S6_EEDaPvRmT3_T4_T5_mT6_P12ihipStream_tbENKUlT_T0_E_clISt17integral_constantIbLb0EESY_EEDaST_SU_EUlST_E0_NS1_11comp_targetILNS1_3genE2ELNS1_11target_archE906ELNS1_3gpuE6ELNS1_3repE0EEENS1_30default_config_static_selectorELNS0_4arch9wavefront6targetE0EEEvT1_, .Lfunc_end468-_ZN7rocprim17ROCPRIM_400000_NS6detail17trampoline_kernelINS0_14default_configENS1_20scan_config_selectorIN3c108BFloat16EEEZZNS1_9scan_implILNS1_25lookback_scan_determinismE0ELb0ELb0ES3_PKS6_PS6_S6_ZZZN2at6native31launch_logcumsumexp_cuda_kernelERKNSD_10TensorBaseESH_lENKUlvE_clEvENKUlvE4_clEvEUlS6_S6_E_S6_EEDaPvRmT3_T4_T5_mT6_P12ihipStream_tbENKUlT_T0_E_clISt17integral_constantIbLb0EESY_EEDaST_SU_EUlST_E0_NS1_11comp_targetILNS1_3genE2ELNS1_11target_archE906ELNS1_3gpuE6ELNS1_3repE0EEENS1_30default_config_static_selectorELNS0_4arch9wavefront6targetE0EEEvT1_
                                        ; -- End function
	.section	.AMDGPU.csdata,"",@progbits
; Kernel info:
; codeLenInByte = 0
; NumSgprs: 0
; NumVgprs: 0
; ScratchSize: 0
; MemoryBound: 0
; FloatMode: 240
; IeeeMode: 1
; LDSByteSize: 0 bytes/workgroup (compile time only)
; SGPRBlocks: 0
; VGPRBlocks: 0
; NumSGPRsForWavesPerEU: 1
; NumVGPRsForWavesPerEU: 1
; Occupancy: 16
; WaveLimiterHint : 0
; COMPUTE_PGM_RSRC2:SCRATCH_EN: 0
; COMPUTE_PGM_RSRC2:USER_SGPR: 15
; COMPUTE_PGM_RSRC2:TRAP_HANDLER: 0
; COMPUTE_PGM_RSRC2:TGID_X_EN: 1
; COMPUTE_PGM_RSRC2:TGID_Y_EN: 0
; COMPUTE_PGM_RSRC2:TGID_Z_EN: 0
; COMPUTE_PGM_RSRC2:TIDIG_COMP_CNT: 0
	.section	.text._ZN7rocprim17ROCPRIM_400000_NS6detail17trampoline_kernelINS0_14default_configENS1_20scan_config_selectorIN3c108BFloat16EEEZZNS1_9scan_implILNS1_25lookback_scan_determinismE0ELb0ELb0ES3_PKS6_PS6_S6_ZZZN2at6native31launch_logcumsumexp_cuda_kernelERKNSD_10TensorBaseESH_lENKUlvE_clEvENKUlvE4_clEvEUlS6_S6_E_S6_EEDaPvRmT3_T4_T5_mT6_P12ihipStream_tbENKUlT_T0_E_clISt17integral_constantIbLb0EESY_EEDaST_SU_EUlST_E0_NS1_11comp_targetILNS1_3genE10ELNS1_11target_archE1201ELNS1_3gpuE5ELNS1_3repE0EEENS1_30default_config_static_selectorELNS0_4arch9wavefront6targetE0EEEvT1_,"axG",@progbits,_ZN7rocprim17ROCPRIM_400000_NS6detail17trampoline_kernelINS0_14default_configENS1_20scan_config_selectorIN3c108BFloat16EEEZZNS1_9scan_implILNS1_25lookback_scan_determinismE0ELb0ELb0ES3_PKS6_PS6_S6_ZZZN2at6native31launch_logcumsumexp_cuda_kernelERKNSD_10TensorBaseESH_lENKUlvE_clEvENKUlvE4_clEvEUlS6_S6_E_S6_EEDaPvRmT3_T4_T5_mT6_P12ihipStream_tbENKUlT_T0_E_clISt17integral_constantIbLb0EESY_EEDaST_SU_EUlST_E0_NS1_11comp_targetILNS1_3genE10ELNS1_11target_archE1201ELNS1_3gpuE5ELNS1_3repE0EEENS1_30default_config_static_selectorELNS0_4arch9wavefront6targetE0EEEvT1_,comdat
	.globl	_ZN7rocprim17ROCPRIM_400000_NS6detail17trampoline_kernelINS0_14default_configENS1_20scan_config_selectorIN3c108BFloat16EEEZZNS1_9scan_implILNS1_25lookback_scan_determinismE0ELb0ELb0ES3_PKS6_PS6_S6_ZZZN2at6native31launch_logcumsumexp_cuda_kernelERKNSD_10TensorBaseESH_lENKUlvE_clEvENKUlvE4_clEvEUlS6_S6_E_S6_EEDaPvRmT3_T4_T5_mT6_P12ihipStream_tbENKUlT_T0_E_clISt17integral_constantIbLb0EESY_EEDaST_SU_EUlST_E0_NS1_11comp_targetILNS1_3genE10ELNS1_11target_archE1201ELNS1_3gpuE5ELNS1_3repE0EEENS1_30default_config_static_selectorELNS0_4arch9wavefront6targetE0EEEvT1_ ; -- Begin function _ZN7rocprim17ROCPRIM_400000_NS6detail17trampoline_kernelINS0_14default_configENS1_20scan_config_selectorIN3c108BFloat16EEEZZNS1_9scan_implILNS1_25lookback_scan_determinismE0ELb0ELb0ES3_PKS6_PS6_S6_ZZZN2at6native31launch_logcumsumexp_cuda_kernelERKNSD_10TensorBaseESH_lENKUlvE_clEvENKUlvE4_clEvEUlS6_S6_E_S6_EEDaPvRmT3_T4_T5_mT6_P12ihipStream_tbENKUlT_T0_E_clISt17integral_constantIbLb0EESY_EEDaST_SU_EUlST_E0_NS1_11comp_targetILNS1_3genE10ELNS1_11target_archE1201ELNS1_3gpuE5ELNS1_3repE0EEENS1_30default_config_static_selectorELNS0_4arch9wavefront6targetE0EEEvT1_
	.p2align	8
	.type	_ZN7rocprim17ROCPRIM_400000_NS6detail17trampoline_kernelINS0_14default_configENS1_20scan_config_selectorIN3c108BFloat16EEEZZNS1_9scan_implILNS1_25lookback_scan_determinismE0ELb0ELb0ES3_PKS6_PS6_S6_ZZZN2at6native31launch_logcumsumexp_cuda_kernelERKNSD_10TensorBaseESH_lENKUlvE_clEvENKUlvE4_clEvEUlS6_S6_E_S6_EEDaPvRmT3_T4_T5_mT6_P12ihipStream_tbENKUlT_T0_E_clISt17integral_constantIbLb0EESY_EEDaST_SU_EUlST_E0_NS1_11comp_targetILNS1_3genE10ELNS1_11target_archE1201ELNS1_3gpuE5ELNS1_3repE0EEENS1_30default_config_static_selectorELNS0_4arch9wavefront6targetE0EEEvT1_,@function
_ZN7rocprim17ROCPRIM_400000_NS6detail17trampoline_kernelINS0_14default_configENS1_20scan_config_selectorIN3c108BFloat16EEEZZNS1_9scan_implILNS1_25lookback_scan_determinismE0ELb0ELb0ES3_PKS6_PS6_S6_ZZZN2at6native31launch_logcumsumexp_cuda_kernelERKNSD_10TensorBaseESH_lENKUlvE_clEvENKUlvE4_clEvEUlS6_S6_E_S6_EEDaPvRmT3_T4_T5_mT6_P12ihipStream_tbENKUlT_T0_E_clISt17integral_constantIbLb0EESY_EEDaST_SU_EUlST_E0_NS1_11comp_targetILNS1_3genE10ELNS1_11target_archE1201ELNS1_3gpuE5ELNS1_3repE0EEENS1_30default_config_static_selectorELNS0_4arch9wavefront6targetE0EEEvT1_: ; @_ZN7rocprim17ROCPRIM_400000_NS6detail17trampoline_kernelINS0_14default_configENS1_20scan_config_selectorIN3c108BFloat16EEEZZNS1_9scan_implILNS1_25lookback_scan_determinismE0ELb0ELb0ES3_PKS6_PS6_S6_ZZZN2at6native31launch_logcumsumexp_cuda_kernelERKNSD_10TensorBaseESH_lENKUlvE_clEvENKUlvE4_clEvEUlS6_S6_E_S6_EEDaPvRmT3_T4_T5_mT6_P12ihipStream_tbENKUlT_T0_E_clISt17integral_constantIbLb0EESY_EEDaST_SU_EUlST_E0_NS1_11comp_targetILNS1_3genE10ELNS1_11target_archE1201ELNS1_3gpuE5ELNS1_3repE0EEENS1_30default_config_static_selectorELNS0_4arch9wavefront6targetE0EEEvT1_
; %bb.0:
	.section	.rodata,"a",@progbits
	.p2align	6, 0x0
	.amdhsa_kernel _ZN7rocprim17ROCPRIM_400000_NS6detail17trampoline_kernelINS0_14default_configENS1_20scan_config_selectorIN3c108BFloat16EEEZZNS1_9scan_implILNS1_25lookback_scan_determinismE0ELb0ELb0ES3_PKS6_PS6_S6_ZZZN2at6native31launch_logcumsumexp_cuda_kernelERKNSD_10TensorBaseESH_lENKUlvE_clEvENKUlvE4_clEvEUlS6_S6_E_S6_EEDaPvRmT3_T4_T5_mT6_P12ihipStream_tbENKUlT_T0_E_clISt17integral_constantIbLb0EESY_EEDaST_SU_EUlST_E0_NS1_11comp_targetILNS1_3genE10ELNS1_11target_archE1201ELNS1_3gpuE5ELNS1_3repE0EEENS1_30default_config_static_selectorELNS0_4arch9wavefront6targetE0EEEvT1_
		.amdhsa_group_segment_fixed_size 0
		.amdhsa_private_segment_fixed_size 0
		.amdhsa_kernarg_size 32
		.amdhsa_user_sgpr_count 15
		.amdhsa_user_sgpr_dispatch_ptr 0
		.amdhsa_user_sgpr_queue_ptr 0
		.amdhsa_user_sgpr_kernarg_segment_ptr 1
		.amdhsa_user_sgpr_dispatch_id 0
		.amdhsa_user_sgpr_private_segment_size 0
		.amdhsa_wavefront_size32 1
		.amdhsa_uses_dynamic_stack 0
		.amdhsa_enable_private_segment 0
		.amdhsa_system_sgpr_workgroup_id_x 1
		.amdhsa_system_sgpr_workgroup_id_y 0
		.amdhsa_system_sgpr_workgroup_id_z 0
		.amdhsa_system_sgpr_workgroup_info 0
		.amdhsa_system_vgpr_workitem_id 0
		.amdhsa_next_free_vgpr 1
		.amdhsa_next_free_sgpr 1
		.amdhsa_reserve_vcc 0
		.amdhsa_float_round_mode_32 0
		.amdhsa_float_round_mode_16_64 0
		.amdhsa_float_denorm_mode_32 3
		.amdhsa_float_denorm_mode_16_64 3
		.amdhsa_dx10_clamp 1
		.amdhsa_ieee_mode 1
		.amdhsa_fp16_overflow 0
		.amdhsa_workgroup_processor_mode 1
		.amdhsa_memory_ordered 1
		.amdhsa_forward_progress 0
		.amdhsa_shared_vgpr_count 0
		.amdhsa_exception_fp_ieee_invalid_op 0
		.amdhsa_exception_fp_denorm_src 0
		.amdhsa_exception_fp_ieee_div_zero 0
		.amdhsa_exception_fp_ieee_overflow 0
		.amdhsa_exception_fp_ieee_underflow 0
		.amdhsa_exception_fp_ieee_inexact 0
		.amdhsa_exception_int_div_zero 0
	.end_amdhsa_kernel
	.section	.text._ZN7rocprim17ROCPRIM_400000_NS6detail17trampoline_kernelINS0_14default_configENS1_20scan_config_selectorIN3c108BFloat16EEEZZNS1_9scan_implILNS1_25lookback_scan_determinismE0ELb0ELb0ES3_PKS6_PS6_S6_ZZZN2at6native31launch_logcumsumexp_cuda_kernelERKNSD_10TensorBaseESH_lENKUlvE_clEvENKUlvE4_clEvEUlS6_S6_E_S6_EEDaPvRmT3_T4_T5_mT6_P12ihipStream_tbENKUlT_T0_E_clISt17integral_constantIbLb0EESY_EEDaST_SU_EUlST_E0_NS1_11comp_targetILNS1_3genE10ELNS1_11target_archE1201ELNS1_3gpuE5ELNS1_3repE0EEENS1_30default_config_static_selectorELNS0_4arch9wavefront6targetE0EEEvT1_,"axG",@progbits,_ZN7rocprim17ROCPRIM_400000_NS6detail17trampoline_kernelINS0_14default_configENS1_20scan_config_selectorIN3c108BFloat16EEEZZNS1_9scan_implILNS1_25lookback_scan_determinismE0ELb0ELb0ES3_PKS6_PS6_S6_ZZZN2at6native31launch_logcumsumexp_cuda_kernelERKNSD_10TensorBaseESH_lENKUlvE_clEvENKUlvE4_clEvEUlS6_S6_E_S6_EEDaPvRmT3_T4_T5_mT6_P12ihipStream_tbENKUlT_T0_E_clISt17integral_constantIbLb0EESY_EEDaST_SU_EUlST_E0_NS1_11comp_targetILNS1_3genE10ELNS1_11target_archE1201ELNS1_3gpuE5ELNS1_3repE0EEENS1_30default_config_static_selectorELNS0_4arch9wavefront6targetE0EEEvT1_,comdat
.Lfunc_end469:
	.size	_ZN7rocprim17ROCPRIM_400000_NS6detail17trampoline_kernelINS0_14default_configENS1_20scan_config_selectorIN3c108BFloat16EEEZZNS1_9scan_implILNS1_25lookback_scan_determinismE0ELb0ELb0ES3_PKS6_PS6_S6_ZZZN2at6native31launch_logcumsumexp_cuda_kernelERKNSD_10TensorBaseESH_lENKUlvE_clEvENKUlvE4_clEvEUlS6_S6_E_S6_EEDaPvRmT3_T4_T5_mT6_P12ihipStream_tbENKUlT_T0_E_clISt17integral_constantIbLb0EESY_EEDaST_SU_EUlST_E0_NS1_11comp_targetILNS1_3genE10ELNS1_11target_archE1201ELNS1_3gpuE5ELNS1_3repE0EEENS1_30default_config_static_selectorELNS0_4arch9wavefront6targetE0EEEvT1_, .Lfunc_end469-_ZN7rocprim17ROCPRIM_400000_NS6detail17trampoline_kernelINS0_14default_configENS1_20scan_config_selectorIN3c108BFloat16EEEZZNS1_9scan_implILNS1_25lookback_scan_determinismE0ELb0ELb0ES3_PKS6_PS6_S6_ZZZN2at6native31launch_logcumsumexp_cuda_kernelERKNSD_10TensorBaseESH_lENKUlvE_clEvENKUlvE4_clEvEUlS6_S6_E_S6_EEDaPvRmT3_T4_T5_mT6_P12ihipStream_tbENKUlT_T0_E_clISt17integral_constantIbLb0EESY_EEDaST_SU_EUlST_E0_NS1_11comp_targetILNS1_3genE10ELNS1_11target_archE1201ELNS1_3gpuE5ELNS1_3repE0EEENS1_30default_config_static_selectorELNS0_4arch9wavefront6targetE0EEEvT1_
                                        ; -- End function
	.section	.AMDGPU.csdata,"",@progbits
; Kernel info:
; codeLenInByte = 0
; NumSgprs: 0
; NumVgprs: 0
; ScratchSize: 0
; MemoryBound: 0
; FloatMode: 240
; IeeeMode: 1
; LDSByteSize: 0 bytes/workgroup (compile time only)
; SGPRBlocks: 0
; VGPRBlocks: 0
; NumSGPRsForWavesPerEU: 1
; NumVGPRsForWavesPerEU: 1
; Occupancy: 16
; WaveLimiterHint : 0
; COMPUTE_PGM_RSRC2:SCRATCH_EN: 0
; COMPUTE_PGM_RSRC2:USER_SGPR: 15
; COMPUTE_PGM_RSRC2:TRAP_HANDLER: 0
; COMPUTE_PGM_RSRC2:TGID_X_EN: 1
; COMPUTE_PGM_RSRC2:TGID_Y_EN: 0
; COMPUTE_PGM_RSRC2:TGID_Z_EN: 0
; COMPUTE_PGM_RSRC2:TIDIG_COMP_CNT: 0
	.section	.text._ZN7rocprim17ROCPRIM_400000_NS6detail17trampoline_kernelINS0_14default_configENS1_20scan_config_selectorIN3c108BFloat16EEEZZNS1_9scan_implILNS1_25lookback_scan_determinismE0ELb0ELb0ES3_PKS6_PS6_S6_ZZZN2at6native31launch_logcumsumexp_cuda_kernelERKNSD_10TensorBaseESH_lENKUlvE_clEvENKUlvE4_clEvEUlS6_S6_E_S6_EEDaPvRmT3_T4_T5_mT6_P12ihipStream_tbENKUlT_T0_E_clISt17integral_constantIbLb0EESY_EEDaST_SU_EUlST_E0_NS1_11comp_targetILNS1_3genE10ELNS1_11target_archE1200ELNS1_3gpuE4ELNS1_3repE0EEENS1_30default_config_static_selectorELNS0_4arch9wavefront6targetE0EEEvT1_,"axG",@progbits,_ZN7rocprim17ROCPRIM_400000_NS6detail17trampoline_kernelINS0_14default_configENS1_20scan_config_selectorIN3c108BFloat16EEEZZNS1_9scan_implILNS1_25lookback_scan_determinismE0ELb0ELb0ES3_PKS6_PS6_S6_ZZZN2at6native31launch_logcumsumexp_cuda_kernelERKNSD_10TensorBaseESH_lENKUlvE_clEvENKUlvE4_clEvEUlS6_S6_E_S6_EEDaPvRmT3_T4_T5_mT6_P12ihipStream_tbENKUlT_T0_E_clISt17integral_constantIbLb0EESY_EEDaST_SU_EUlST_E0_NS1_11comp_targetILNS1_3genE10ELNS1_11target_archE1200ELNS1_3gpuE4ELNS1_3repE0EEENS1_30default_config_static_selectorELNS0_4arch9wavefront6targetE0EEEvT1_,comdat
	.globl	_ZN7rocprim17ROCPRIM_400000_NS6detail17trampoline_kernelINS0_14default_configENS1_20scan_config_selectorIN3c108BFloat16EEEZZNS1_9scan_implILNS1_25lookback_scan_determinismE0ELb0ELb0ES3_PKS6_PS6_S6_ZZZN2at6native31launch_logcumsumexp_cuda_kernelERKNSD_10TensorBaseESH_lENKUlvE_clEvENKUlvE4_clEvEUlS6_S6_E_S6_EEDaPvRmT3_T4_T5_mT6_P12ihipStream_tbENKUlT_T0_E_clISt17integral_constantIbLb0EESY_EEDaST_SU_EUlST_E0_NS1_11comp_targetILNS1_3genE10ELNS1_11target_archE1200ELNS1_3gpuE4ELNS1_3repE0EEENS1_30default_config_static_selectorELNS0_4arch9wavefront6targetE0EEEvT1_ ; -- Begin function _ZN7rocprim17ROCPRIM_400000_NS6detail17trampoline_kernelINS0_14default_configENS1_20scan_config_selectorIN3c108BFloat16EEEZZNS1_9scan_implILNS1_25lookback_scan_determinismE0ELb0ELb0ES3_PKS6_PS6_S6_ZZZN2at6native31launch_logcumsumexp_cuda_kernelERKNSD_10TensorBaseESH_lENKUlvE_clEvENKUlvE4_clEvEUlS6_S6_E_S6_EEDaPvRmT3_T4_T5_mT6_P12ihipStream_tbENKUlT_T0_E_clISt17integral_constantIbLb0EESY_EEDaST_SU_EUlST_E0_NS1_11comp_targetILNS1_3genE10ELNS1_11target_archE1200ELNS1_3gpuE4ELNS1_3repE0EEENS1_30default_config_static_selectorELNS0_4arch9wavefront6targetE0EEEvT1_
	.p2align	8
	.type	_ZN7rocprim17ROCPRIM_400000_NS6detail17trampoline_kernelINS0_14default_configENS1_20scan_config_selectorIN3c108BFloat16EEEZZNS1_9scan_implILNS1_25lookback_scan_determinismE0ELb0ELb0ES3_PKS6_PS6_S6_ZZZN2at6native31launch_logcumsumexp_cuda_kernelERKNSD_10TensorBaseESH_lENKUlvE_clEvENKUlvE4_clEvEUlS6_S6_E_S6_EEDaPvRmT3_T4_T5_mT6_P12ihipStream_tbENKUlT_T0_E_clISt17integral_constantIbLb0EESY_EEDaST_SU_EUlST_E0_NS1_11comp_targetILNS1_3genE10ELNS1_11target_archE1200ELNS1_3gpuE4ELNS1_3repE0EEENS1_30default_config_static_selectorELNS0_4arch9wavefront6targetE0EEEvT1_,@function
_ZN7rocprim17ROCPRIM_400000_NS6detail17trampoline_kernelINS0_14default_configENS1_20scan_config_selectorIN3c108BFloat16EEEZZNS1_9scan_implILNS1_25lookback_scan_determinismE0ELb0ELb0ES3_PKS6_PS6_S6_ZZZN2at6native31launch_logcumsumexp_cuda_kernelERKNSD_10TensorBaseESH_lENKUlvE_clEvENKUlvE4_clEvEUlS6_S6_E_S6_EEDaPvRmT3_T4_T5_mT6_P12ihipStream_tbENKUlT_T0_E_clISt17integral_constantIbLb0EESY_EEDaST_SU_EUlST_E0_NS1_11comp_targetILNS1_3genE10ELNS1_11target_archE1200ELNS1_3gpuE4ELNS1_3repE0EEENS1_30default_config_static_selectorELNS0_4arch9wavefront6targetE0EEEvT1_: ; @_ZN7rocprim17ROCPRIM_400000_NS6detail17trampoline_kernelINS0_14default_configENS1_20scan_config_selectorIN3c108BFloat16EEEZZNS1_9scan_implILNS1_25lookback_scan_determinismE0ELb0ELb0ES3_PKS6_PS6_S6_ZZZN2at6native31launch_logcumsumexp_cuda_kernelERKNSD_10TensorBaseESH_lENKUlvE_clEvENKUlvE4_clEvEUlS6_S6_E_S6_EEDaPvRmT3_T4_T5_mT6_P12ihipStream_tbENKUlT_T0_E_clISt17integral_constantIbLb0EESY_EEDaST_SU_EUlST_E0_NS1_11comp_targetILNS1_3genE10ELNS1_11target_archE1200ELNS1_3gpuE4ELNS1_3repE0EEENS1_30default_config_static_selectorELNS0_4arch9wavefront6targetE0EEEvT1_
; %bb.0:
	.section	.rodata,"a",@progbits
	.p2align	6, 0x0
	.amdhsa_kernel _ZN7rocprim17ROCPRIM_400000_NS6detail17trampoline_kernelINS0_14default_configENS1_20scan_config_selectorIN3c108BFloat16EEEZZNS1_9scan_implILNS1_25lookback_scan_determinismE0ELb0ELb0ES3_PKS6_PS6_S6_ZZZN2at6native31launch_logcumsumexp_cuda_kernelERKNSD_10TensorBaseESH_lENKUlvE_clEvENKUlvE4_clEvEUlS6_S6_E_S6_EEDaPvRmT3_T4_T5_mT6_P12ihipStream_tbENKUlT_T0_E_clISt17integral_constantIbLb0EESY_EEDaST_SU_EUlST_E0_NS1_11comp_targetILNS1_3genE10ELNS1_11target_archE1200ELNS1_3gpuE4ELNS1_3repE0EEENS1_30default_config_static_selectorELNS0_4arch9wavefront6targetE0EEEvT1_
		.amdhsa_group_segment_fixed_size 0
		.amdhsa_private_segment_fixed_size 0
		.amdhsa_kernarg_size 32
		.amdhsa_user_sgpr_count 15
		.amdhsa_user_sgpr_dispatch_ptr 0
		.amdhsa_user_sgpr_queue_ptr 0
		.amdhsa_user_sgpr_kernarg_segment_ptr 1
		.amdhsa_user_sgpr_dispatch_id 0
		.amdhsa_user_sgpr_private_segment_size 0
		.amdhsa_wavefront_size32 1
		.amdhsa_uses_dynamic_stack 0
		.amdhsa_enable_private_segment 0
		.amdhsa_system_sgpr_workgroup_id_x 1
		.amdhsa_system_sgpr_workgroup_id_y 0
		.amdhsa_system_sgpr_workgroup_id_z 0
		.amdhsa_system_sgpr_workgroup_info 0
		.amdhsa_system_vgpr_workitem_id 0
		.amdhsa_next_free_vgpr 1
		.amdhsa_next_free_sgpr 1
		.amdhsa_reserve_vcc 0
		.amdhsa_float_round_mode_32 0
		.amdhsa_float_round_mode_16_64 0
		.amdhsa_float_denorm_mode_32 3
		.amdhsa_float_denorm_mode_16_64 3
		.amdhsa_dx10_clamp 1
		.amdhsa_ieee_mode 1
		.amdhsa_fp16_overflow 0
		.amdhsa_workgroup_processor_mode 1
		.amdhsa_memory_ordered 1
		.amdhsa_forward_progress 0
		.amdhsa_shared_vgpr_count 0
		.amdhsa_exception_fp_ieee_invalid_op 0
		.amdhsa_exception_fp_denorm_src 0
		.amdhsa_exception_fp_ieee_div_zero 0
		.amdhsa_exception_fp_ieee_overflow 0
		.amdhsa_exception_fp_ieee_underflow 0
		.amdhsa_exception_fp_ieee_inexact 0
		.amdhsa_exception_int_div_zero 0
	.end_amdhsa_kernel
	.section	.text._ZN7rocprim17ROCPRIM_400000_NS6detail17trampoline_kernelINS0_14default_configENS1_20scan_config_selectorIN3c108BFloat16EEEZZNS1_9scan_implILNS1_25lookback_scan_determinismE0ELb0ELb0ES3_PKS6_PS6_S6_ZZZN2at6native31launch_logcumsumexp_cuda_kernelERKNSD_10TensorBaseESH_lENKUlvE_clEvENKUlvE4_clEvEUlS6_S6_E_S6_EEDaPvRmT3_T4_T5_mT6_P12ihipStream_tbENKUlT_T0_E_clISt17integral_constantIbLb0EESY_EEDaST_SU_EUlST_E0_NS1_11comp_targetILNS1_3genE10ELNS1_11target_archE1200ELNS1_3gpuE4ELNS1_3repE0EEENS1_30default_config_static_selectorELNS0_4arch9wavefront6targetE0EEEvT1_,"axG",@progbits,_ZN7rocprim17ROCPRIM_400000_NS6detail17trampoline_kernelINS0_14default_configENS1_20scan_config_selectorIN3c108BFloat16EEEZZNS1_9scan_implILNS1_25lookback_scan_determinismE0ELb0ELb0ES3_PKS6_PS6_S6_ZZZN2at6native31launch_logcumsumexp_cuda_kernelERKNSD_10TensorBaseESH_lENKUlvE_clEvENKUlvE4_clEvEUlS6_S6_E_S6_EEDaPvRmT3_T4_T5_mT6_P12ihipStream_tbENKUlT_T0_E_clISt17integral_constantIbLb0EESY_EEDaST_SU_EUlST_E0_NS1_11comp_targetILNS1_3genE10ELNS1_11target_archE1200ELNS1_3gpuE4ELNS1_3repE0EEENS1_30default_config_static_selectorELNS0_4arch9wavefront6targetE0EEEvT1_,comdat
.Lfunc_end470:
	.size	_ZN7rocprim17ROCPRIM_400000_NS6detail17trampoline_kernelINS0_14default_configENS1_20scan_config_selectorIN3c108BFloat16EEEZZNS1_9scan_implILNS1_25lookback_scan_determinismE0ELb0ELb0ES3_PKS6_PS6_S6_ZZZN2at6native31launch_logcumsumexp_cuda_kernelERKNSD_10TensorBaseESH_lENKUlvE_clEvENKUlvE4_clEvEUlS6_S6_E_S6_EEDaPvRmT3_T4_T5_mT6_P12ihipStream_tbENKUlT_T0_E_clISt17integral_constantIbLb0EESY_EEDaST_SU_EUlST_E0_NS1_11comp_targetILNS1_3genE10ELNS1_11target_archE1200ELNS1_3gpuE4ELNS1_3repE0EEENS1_30default_config_static_selectorELNS0_4arch9wavefront6targetE0EEEvT1_, .Lfunc_end470-_ZN7rocprim17ROCPRIM_400000_NS6detail17trampoline_kernelINS0_14default_configENS1_20scan_config_selectorIN3c108BFloat16EEEZZNS1_9scan_implILNS1_25lookback_scan_determinismE0ELb0ELb0ES3_PKS6_PS6_S6_ZZZN2at6native31launch_logcumsumexp_cuda_kernelERKNSD_10TensorBaseESH_lENKUlvE_clEvENKUlvE4_clEvEUlS6_S6_E_S6_EEDaPvRmT3_T4_T5_mT6_P12ihipStream_tbENKUlT_T0_E_clISt17integral_constantIbLb0EESY_EEDaST_SU_EUlST_E0_NS1_11comp_targetILNS1_3genE10ELNS1_11target_archE1200ELNS1_3gpuE4ELNS1_3repE0EEENS1_30default_config_static_selectorELNS0_4arch9wavefront6targetE0EEEvT1_
                                        ; -- End function
	.section	.AMDGPU.csdata,"",@progbits
; Kernel info:
; codeLenInByte = 0
; NumSgprs: 0
; NumVgprs: 0
; ScratchSize: 0
; MemoryBound: 0
; FloatMode: 240
; IeeeMode: 1
; LDSByteSize: 0 bytes/workgroup (compile time only)
; SGPRBlocks: 0
; VGPRBlocks: 0
; NumSGPRsForWavesPerEU: 1
; NumVGPRsForWavesPerEU: 1
; Occupancy: 16
; WaveLimiterHint : 0
; COMPUTE_PGM_RSRC2:SCRATCH_EN: 0
; COMPUTE_PGM_RSRC2:USER_SGPR: 15
; COMPUTE_PGM_RSRC2:TRAP_HANDLER: 0
; COMPUTE_PGM_RSRC2:TGID_X_EN: 1
; COMPUTE_PGM_RSRC2:TGID_Y_EN: 0
; COMPUTE_PGM_RSRC2:TGID_Z_EN: 0
; COMPUTE_PGM_RSRC2:TIDIG_COMP_CNT: 0
	.section	.text._ZN7rocprim17ROCPRIM_400000_NS6detail17trampoline_kernelINS0_14default_configENS1_20scan_config_selectorIN3c108BFloat16EEEZZNS1_9scan_implILNS1_25lookback_scan_determinismE0ELb0ELb0ES3_PKS6_PS6_S6_ZZZN2at6native31launch_logcumsumexp_cuda_kernelERKNSD_10TensorBaseESH_lENKUlvE_clEvENKUlvE4_clEvEUlS6_S6_E_S6_EEDaPvRmT3_T4_T5_mT6_P12ihipStream_tbENKUlT_T0_E_clISt17integral_constantIbLb0EESY_EEDaST_SU_EUlST_E0_NS1_11comp_targetILNS1_3genE9ELNS1_11target_archE1100ELNS1_3gpuE3ELNS1_3repE0EEENS1_30default_config_static_selectorELNS0_4arch9wavefront6targetE0EEEvT1_,"axG",@progbits,_ZN7rocprim17ROCPRIM_400000_NS6detail17trampoline_kernelINS0_14default_configENS1_20scan_config_selectorIN3c108BFloat16EEEZZNS1_9scan_implILNS1_25lookback_scan_determinismE0ELb0ELb0ES3_PKS6_PS6_S6_ZZZN2at6native31launch_logcumsumexp_cuda_kernelERKNSD_10TensorBaseESH_lENKUlvE_clEvENKUlvE4_clEvEUlS6_S6_E_S6_EEDaPvRmT3_T4_T5_mT6_P12ihipStream_tbENKUlT_T0_E_clISt17integral_constantIbLb0EESY_EEDaST_SU_EUlST_E0_NS1_11comp_targetILNS1_3genE9ELNS1_11target_archE1100ELNS1_3gpuE3ELNS1_3repE0EEENS1_30default_config_static_selectorELNS0_4arch9wavefront6targetE0EEEvT1_,comdat
	.globl	_ZN7rocprim17ROCPRIM_400000_NS6detail17trampoline_kernelINS0_14default_configENS1_20scan_config_selectorIN3c108BFloat16EEEZZNS1_9scan_implILNS1_25lookback_scan_determinismE0ELb0ELb0ES3_PKS6_PS6_S6_ZZZN2at6native31launch_logcumsumexp_cuda_kernelERKNSD_10TensorBaseESH_lENKUlvE_clEvENKUlvE4_clEvEUlS6_S6_E_S6_EEDaPvRmT3_T4_T5_mT6_P12ihipStream_tbENKUlT_T0_E_clISt17integral_constantIbLb0EESY_EEDaST_SU_EUlST_E0_NS1_11comp_targetILNS1_3genE9ELNS1_11target_archE1100ELNS1_3gpuE3ELNS1_3repE0EEENS1_30default_config_static_selectorELNS0_4arch9wavefront6targetE0EEEvT1_ ; -- Begin function _ZN7rocprim17ROCPRIM_400000_NS6detail17trampoline_kernelINS0_14default_configENS1_20scan_config_selectorIN3c108BFloat16EEEZZNS1_9scan_implILNS1_25lookback_scan_determinismE0ELb0ELb0ES3_PKS6_PS6_S6_ZZZN2at6native31launch_logcumsumexp_cuda_kernelERKNSD_10TensorBaseESH_lENKUlvE_clEvENKUlvE4_clEvEUlS6_S6_E_S6_EEDaPvRmT3_T4_T5_mT6_P12ihipStream_tbENKUlT_T0_E_clISt17integral_constantIbLb0EESY_EEDaST_SU_EUlST_E0_NS1_11comp_targetILNS1_3genE9ELNS1_11target_archE1100ELNS1_3gpuE3ELNS1_3repE0EEENS1_30default_config_static_selectorELNS0_4arch9wavefront6targetE0EEEvT1_
	.p2align	8
	.type	_ZN7rocprim17ROCPRIM_400000_NS6detail17trampoline_kernelINS0_14default_configENS1_20scan_config_selectorIN3c108BFloat16EEEZZNS1_9scan_implILNS1_25lookback_scan_determinismE0ELb0ELb0ES3_PKS6_PS6_S6_ZZZN2at6native31launch_logcumsumexp_cuda_kernelERKNSD_10TensorBaseESH_lENKUlvE_clEvENKUlvE4_clEvEUlS6_S6_E_S6_EEDaPvRmT3_T4_T5_mT6_P12ihipStream_tbENKUlT_T0_E_clISt17integral_constantIbLb0EESY_EEDaST_SU_EUlST_E0_NS1_11comp_targetILNS1_3genE9ELNS1_11target_archE1100ELNS1_3gpuE3ELNS1_3repE0EEENS1_30default_config_static_selectorELNS0_4arch9wavefront6targetE0EEEvT1_,@function
_ZN7rocprim17ROCPRIM_400000_NS6detail17trampoline_kernelINS0_14default_configENS1_20scan_config_selectorIN3c108BFloat16EEEZZNS1_9scan_implILNS1_25lookback_scan_determinismE0ELb0ELb0ES3_PKS6_PS6_S6_ZZZN2at6native31launch_logcumsumexp_cuda_kernelERKNSD_10TensorBaseESH_lENKUlvE_clEvENKUlvE4_clEvEUlS6_S6_E_S6_EEDaPvRmT3_T4_T5_mT6_P12ihipStream_tbENKUlT_T0_E_clISt17integral_constantIbLb0EESY_EEDaST_SU_EUlST_E0_NS1_11comp_targetILNS1_3genE9ELNS1_11target_archE1100ELNS1_3gpuE3ELNS1_3repE0EEENS1_30default_config_static_selectorELNS0_4arch9wavefront6targetE0EEEvT1_: ; @_ZN7rocprim17ROCPRIM_400000_NS6detail17trampoline_kernelINS0_14default_configENS1_20scan_config_selectorIN3c108BFloat16EEEZZNS1_9scan_implILNS1_25lookback_scan_determinismE0ELb0ELb0ES3_PKS6_PS6_S6_ZZZN2at6native31launch_logcumsumexp_cuda_kernelERKNSD_10TensorBaseESH_lENKUlvE_clEvENKUlvE4_clEvEUlS6_S6_E_S6_EEDaPvRmT3_T4_T5_mT6_P12ihipStream_tbENKUlT_T0_E_clISt17integral_constantIbLb0EESY_EEDaST_SU_EUlST_E0_NS1_11comp_targetILNS1_3genE9ELNS1_11target_archE1100ELNS1_3gpuE3ELNS1_3repE0EEENS1_30default_config_static_selectorELNS0_4arch9wavefront6targetE0EEEvT1_
; %bb.0:
	s_load_b128 s[24:27], s[0:1], 0x0
	v_dual_mov_b32 v1, 0 :: v_dual_lshlrev_b32 v12, 1, v0
	s_waitcnt lgkmcnt(0)
	global_load_u16 v2, v1, s[24:25]
	v_cmp_gt_u32_e32 vcc_lo, s26, v0
	s_waitcnt vmcnt(0)
	v_mov_b32_e32 v3, v2
	s_and_saveexec_b32 s2, vcc_lo
	s_cbranch_execz .LBB471_2
; %bb.1:
	global_load_u16 v3, v12, s[24:25]
.LBB471_2:
	s_or_b32 exec_lo, exec_lo, s2
	v_or_b32_e32 v1, 64, v0
	v_mov_b32_e32 v4, v2
	s_delay_alu instid0(VALU_DEP_2) | instskip(NEXT) | instid1(VALU_DEP_1)
	v_cmp_gt_u32_e64 s2, s26, v1
	s_and_saveexec_b32 s3, s2
	s_cbranch_execz .LBB471_4
; %bb.3:
	global_load_u16 v4, v12, s[24:25] offset:128
.LBB471_4:
	s_or_b32 exec_lo, exec_lo, s3
	v_or_b32_e32 v1, 0x80, v0
	v_mov_b32_e32 v5, v2
	s_delay_alu instid0(VALU_DEP_2) | instskip(NEXT) | instid1(VALU_DEP_1)
	v_cmp_gt_u32_e64 s3, s26, v1
	s_and_saveexec_b32 s4, s3
	s_cbranch_execz .LBB471_6
; %bb.5:
	global_load_u16 v5, v12, s[24:25] offset:256
.LBB471_6:
	;; [unrolled: 10-line block ×20, first 2 shown]
	s_or_b32 exec_lo, exec_lo, s22
	v_or_b32_e32 v1, 0x540, v0
	s_delay_alu instid0(VALU_DEP_1) | instskip(SKIP_1) | instid1(VALU_DEP_1)
	v_cmp_gt_u32_e64 s22, s26, v1
	v_cmp_le_u32_e64 s23, s26, v1
	s_and_saveexec_b32 s26, s23
	s_delay_alu instid0(SALU_CYCLE_1)
	s_xor_b32 s23, exec_lo, s26
; %bb.43:
	v_mov_b32_e32 v1, 0
; %bb.44:
	s_and_not1_saveexec_b32 s23, s23
	s_cbranch_execz .LBB471_46
; %bb.45:
	global_load_u16 v2, v12, s[24:25] offset:2688
	v_mov_b32_e32 v1, 0
.LBB471_46:
	s_or_b32 exec_lo, exec_lo, s23
	s_waitcnt vmcnt(0)
	ds_store_b16 v12, v3
	ds_store_b16 v12, v4 offset:128
	ds_store_b16 v12, v5 offset:256
	;; [unrolled: 1-line block ×15, first 2 shown]
	v_mad_u32_u24 v14, v0, 42, v12
	ds_store_b16 v12, v20 offset:2048
	ds_store_b16 v12, v21 offset:2176
	;; [unrolled: 1-line block ×6, first 2 shown]
	s_waitcnt lgkmcnt(0)
	s_barrier
	buffer_gl0_inv
	ds_load_2addr_b32 v[2:3], v14 offset1:1
	ds_load_2addr_b32 v[10:11], v14 offset0:2 offset1:3
	ds_load_2addr_b32 v[8:9], v14 offset0:4 offset1:5
	;; [unrolled: 1-line block ×4, first 2 shown]
	ds_load_b32 v42, v14 offset:40
	s_waitcnt lgkmcnt(0)
	s_barrier
	buffer_gl0_inv
	v_lshlrev_b32_e32 v46, 16, v2
	s_delay_alu instid0(VALU_DEP_1) | instskip(SKIP_1) | instid1(VALU_DEP_1)
	v_max_f32_e32 v49, v46, v46
	v_and_b32_e32 v13, 0xffff0000, v2
	v_max_f32_e32 v17, v13, v13
	v_cmp_u_f32_e64 s45, v46, v46
	s_delay_alu instid0(VALU_DEP_2) | instskip(SKIP_2) | instid1(VALU_DEP_3)
	v_max_f32_e32 v48, v49, v17
	v_min_f32_e32 v47, v49, v17
	v_cmp_u_f32_e64 s23, v13, v13
	v_cndmask_b32_e64 v15, v48, v46, s45
	s_delay_alu instid0(VALU_DEP_3) | instskip(NEXT) | instid1(VALU_DEP_1)
	v_cndmask_b32_e64 v14, v47, v46, s45
	v_cndmask_b32_e64 v16, v14, v13, s23
	s_delay_alu instid0(VALU_DEP_3) | instskip(SKIP_1) | instid1(VALU_DEP_3)
	v_cndmask_b32_e64 v14, v15, v13, s23
	v_mov_b32_e32 v15, v46
	v_cmp_class_f32_e64 s25, v16, 0x1f8
	s_delay_alu instid0(VALU_DEP_3) | instskip(NEXT) | instid1(VALU_DEP_1)
	v_cmp_neq_f32_e64 s24, v16, v14
	s_or_b32 s24, s24, s25
	s_delay_alu instid0(SALU_CYCLE_1)
	s_and_saveexec_b32 s25, s24
	s_cbranch_execz .LBB471_48
; %bb.47:
	v_sub_f32_e32 v15, v16, v14
	s_delay_alu instid0(VALU_DEP_1) | instskip(SKIP_1) | instid1(VALU_DEP_2)
	v_mul_f32_e32 v16, 0x3fb8aa3b, v15
	v_cmp_ngt_f32_e64 s24, 0xc2ce8ed0, v15
	v_fma_f32 v18, 0x3fb8aa3b, v15, -v16
	v_rndne_f32_e32 v19, v16
	s_delay_alu instid0(VALU_DEP_2) | instskip(NEXT) | instid1(VALU_DEP_2)
	v_fmamk_f32 v18, v15, 0x32a5705f, v18
	v_sub_f32_e32 v16, v16, v19
	s_delay_alu instid0(VALU_DEP_1) | instskip(SKIP_1) | instid1(VALU_DEP_2)
	v_add_f32_e32 v16, v16, v18
	v_cvt_i32_f32_e32 v18, v19
	v_exp_f32_e32 v16, v16
	s_waitcnt_depctr 0xfff
	v_ldexp_f32 v16, v16, v18
	s_delay_alu instid0(VALU_DEP_1) | instskip(SKIP_1) | instid1(VALU_DEP_1)
	v_cndmask_b32_e64 v16, 0, v16, s24
	v_cmp_nlt_f32_e64 s24, 0x42b17218, v15
	v_cndmask_b32_e64 v18, 0x7f800000, v16, s24
	s_delay_alu instid0(VALU_DEP_1) | instskip(SKIP_1) | instid1(VALU_DEP_2)
	v_add_f32_e32 v19, 1.0, v18
	v_cmp_gt_f32_e64 s26, 0x33800000, |v18|
	v_cvt_f64_f32_e32 v[15:16], v19
	s_delay_alu instid0(VALU_DEP_1) | instskip(SKIP_1) | instid1(VALU_DEP_1)
	v_frexp_exp_i32_f64_e32 v15, v[15:16]
	v_frexp_mant_f32_e32 v16, v19
	v_cmp_gt_f32_e64 s24, 0x3f2aaaab, v16
	v_add_f32_e32 v16, -1.0, v19
	s_delay_alu instid0(VALU_DEP_1) | instskip(NEXT) | instid1(VALU_DEP_1)
	v_sub_f32_e32 v21, v16, v19
	v_add_f32_e32 v21, 1.0, v21
	s_delay_alu instid0(VALU_DEP_4) | instskip(SKIP_1) | instid1(VALU_DEP_1)
	v_subrev_co_ci_u32_e64 v15, s24, 0, v15, s24
	s_mov_b32 s24, 0x3e9b6dac
	v_sub_nc_u32_e32 v20, 0, v15
	v_cvt_f32_i32_e32 v15, v15
	s_delay_alu instid0(VALU_DEP_2) | instskip(NEXT) | instid1(VALU_DEP_1)
	v_ldexp_f32 v19, v19, v20
	v_add_f32_e32 v22, 1.0, v19
	v_sub_f32_e32 v16, v18, v16
	s_delay_alu instid0(VALU_DEP_1) | instskip(NEXT) | instid1(VALU_DEP_1)
	v_add_f32_e32 v16, v16, v21
	v_ldexp_f32 v16, v16, v20
	v_add_f32_e32 v20, -1.0, v19
	s_delay_alu instid0(VALU_DEP_1) | instskip(SKIP_1) | instid1(VALU_DEP_1)
	v_add_f32_e32 v23, 1.0, v20
	v_add_f32_e32 v21, -1.0, v22
	v_sub_f32_e32 v21, v19, v21
	s_delay_alu instid0(VALU_DEP_3) | instskip(NEXT) | instid1(VALU_DEP_2)
	v_sub_f32_e32 v19, v19, v23
	v_add_f32_e32 v21, v16, v21
	s_delay_alu instid0(VALU_DEP_1) | instskip(NEXT) | instid1(VALU_DEP_1)
	v_dual_add_f32 v16, v16, v19 :: v_dual_add_f32 v23, v22, v21
	v_rcp_f32_e32 v19, v23
	v_sub_f32_e32 v22, v22, v23
	s_delay_alu instid0(VALU_DEP_1) | instskip(NEXT) | instid1(VALU_DEP_1)
	v_dual_add_f32 v24, v20, v16 :: v_dual_add_f32 v21, v21, v22
	v_sub_f32_e32 v20, v20, v24
	s_waitcnt_depctr 0xfff
	v_mul_f32_e32 v25, v24, v19
	v_add_f32_e32 v16, v16, v20
	s_delay_alu instid0(VALU_DEP_2) | instskip(NEXT) | instid1(VALU_DEP_1)
	v_mul_f32_e32 v26, v23, v25
	v_fma_f32 v22, v25, v23, -v26
	s_delay_alu instid0(VALU_DEP_1) | instskip(NEXT) | instid1(VALU_DEP_1)
	v_fmac_f32_e32 v22, v25, v21
	v_add_f32_e32 v27, v26, v22
	s_delay_alu instid0(VALU_DEP_1) | instskip(SKIP_1) | instid1(VALU_DEP_2)
	v_sub_f32_e32 v28, v24, v27
	v_sub_f32_e32 v20, v27, v26
	;; [unrolled: 1-line block ×3, first 2 shown]
	s_delay_alu instid0(VALU_DEP_2) | instskip(NEXT) | instid1(VALU_DEP_2)
	v_sub_f32_e32 v20, v20, v22
	v_sub_f32_e32 v24, v24, v27
	s_delay_alu instid0(VALU_DEP_1) | instskip(NEXT) | instid1(VALU_DEP_1)
	v_add_f32_e32 v16, v16, v24
	v_add_f32_e32 v16, v20, v16
	s_delay_alu instid0(VALU_DEP_1) | instskip(NEXT) | instid1(VALU_DEP_1)
	v_add_f32_e32 v20, v28, v16
	v_mul_f32_e32 v22, v19, v20
	s_delay_alu instid0(VALU_DEP_1) | instskip(NEXT) | instid1(VALU_DEP_1)
	v_mul_f32_e32 v24, v23, v22
	v_fma_f32 v23, v22, v23, -v24
	s_delay_alu instid0(VALU_DEP_1) | instskip(SKIP_1) | instid1(VALU_DEP_2)
	v_fmac_f32_e32 v23, v22, v21
	v_sub_f32_e32 v27, v28, v20
	v_add_f32_e32 v21, v24, v23
	s_delay_alu instid0(VALU_DEP_2) | instskip(NEXT) | instid1(VALU_DEP_2)
	v_add_f32_e32 v16, v16, v27
	v_sub_f32_e32 v26, v20, v21
	v_sub_f32_e32 v24, v21, v24
	s_delay_alu instid0(VALU_DEP_2) | instskip(NEXT) | instid1(VALU_DEP_1)
	v_sub_f32_e32 v20, v20, v26
	v_sub_f32_e32 v20, v20, v21
	s_delay_alu instid0(VALU_DEP_3) | instskip(NEXT) | instid1(VALU_DEP_2)
	v_sub_f32_e32 v21, v24, v23
	v_add_f32_e32 v16, v16, v20
	v_add_f32_e32 v20, v25, v22
	s_delay_alu instid0(VALU_DEP_1) | instskip(NEXT) | instid1(VALU_DEP_1)
	v_dual_add_f32 v16, v21, v16 :: v_dual_sub_f32 v21, v20, v25
	v_add_f32_e32 v16, v26, v16
	s_delay_alu instid0(VALU_DEP_1) | instskip(NEXT) | instid1(VALU_DEP_1)
	v_dual_sub_f32 v21, v22, v21 :: v_dual_mul_f32 v16, v19, v16
	v_add_f32_e32 v16, v21, v16
	s_delay_alu instid0(VALU_DEP_1) | instskip(NEXT) | instid1(VALU_DEP_1)
	v_add_f32_e32 v19, v20, v16
	v_mul_f32_e32 v21, v19, v19
	s_delay_alu instid0(VALU_DEP_1) | instskip(SKIP_2) | instid1(VALU_DEP_3)
	v_fmaak_f32 v22, s24, v21, 0x3ecc95a3
	v_mul_f32_e32 v23, v19, v21
	v_cmp_eq_f32_e64 s24, 0x7f800000, v18
	v_fmaak_f32 v21, v21, v22, 0x3f2aaada
	v_ldexp_f32 v22, v19, 1
	v_sub_f32_e32 v19, v19, v20
	s_delay_alu instid0(VALU_DEP_4) | instskip(NEXT) | instid1(VALU_DEP_3)
	s_or_b32 s24, s24, s26
	v_mul_f32_e32 v21, v23, v21
	v_mul_f32_e32 v23, 0x3f317218, v15
	s_delay_alu instid0(VALU_DEP_3) | instskip(NEXT) | instid1(VALU_DEP_3)
	v_sub_f32_e32 v16, v16, v19
	v_add_f32_e32 v20, v22, v21
	s_delay_alu instid0(VALU_DEP_2) | instskip(NEXT) | instid1(VALU_DEP_2)
	v_ldexp_f32 v16, v16, 1
	v_sub_f32_e32 v19, v20, v22
	v_fma_f32 v22, 0x3f317218, v15, -v23
	s_delay_alu instid0(VALU_DEP_2) | instskip(NEXT) | instid1(VALU_DEP_1)
	v_sub_f32_e32 v19, v21, v19
	v_dual_fmamk_f32 v15, v15, 0xb102e308, v22 :: v_dual_add_f32 v16, v16, v19
	s_delay_alu instid0(VALU_DEP_1) | instskip(NEXT) | instid1(VALU_DEP_2)
	v_add_f32_e32 v19, v23, v15
	v_add_f32_e32 v21, v20, v16
	s_delay_alu instid0(VALU_DEP_2) | instskip(NEXT) | instid1(VALU_DEP_2)
	v_sub_f32_e32 v23, v19, v23
	v_add_f32_e32 v22, v19, v21
	s_delay_alu instid0(VALU_DEP_2) | instskip(NEXT) | instid1(VALU_DEP_2)
	v_dual_sub_f32 v20, v21, v20 :: v_dual_sub_f32 v15, v15, v23
	v_sub_f32_e32 v24, v22, v19
	s_delay_alu instid0(VALU_DEP_2) | instskip(NEXT) | instid1(VALU_DEP_2)
	v_sub_f32_e32 v16, v16, v20
	v_sub_f32_e32 v25, v22, v24
	;; [unrolled: 1-line block ×3, first 2 shown]
	s_delay_alu instid0(VALU_DEP_3) | instskip(NEXT) | instid1(VALU_DEP_3)
	v_add_f32_e32 v21, v15, v16
	v_sub_f32_e32 v19, v19, v25
	s_delay_alu instid0(VALU_DEP_1) | instskip(NEXT) | instid1(VALU_DEP_3)
	v_add_f32_e32 v19, v20, v19
	v_sub_f32_e32 v20, v21, v15
	s_delay_alu instid0(VALU_DEP_2) | instskip(NEXT) | instid1(VALU_DEP_2)
	v_add_f32_e32 v19, v21, v19
	v_sub_f32_e32 v21, v21, v20
	s_delay_alu instid0(VALU_DEP_1) | instskip(NEXT) | instid1(VALU_DEP_1)
	v_dual_sub_f32 v16, v16, v20 :: v_dual_sub_f32 v15, v15, v21
	v_add_f32_e32 v15, v16, v15
	s_delay_alu instid0(VALU_DEP_4) | instskip(NEXT) | instid1(VALU_DEP_1)
	v_add_f32_e32 v23, v22, v19
	v_sub_f32_e32 v20, v23, v22
	s_delay_alu instid0(VALU_DEP_1) | instskip(NEXT) | instid1(VALU_DEP_1)
	v_sub_f32_e32 v16, v19, v20
	v_add_f32_e32 v15, v15, v16
	s_delay_alu instid0(VALU_DEP_1) | instskip(NEXT) | instid1(VALU_DEP_1)
	v_add_f32_e32 v15, v23, v15
	v_cndmask_b32_e64 v15, v15, v18, s24
	s_delay_alu instid0(VALU_DEP_1)
	v_add_f32_e32 v15, v14, v15
.LBB471_48:
	s_or_b32 exec_lo, exec_lo, s25
	s_delay_alu instid0(VALU_DEP_1) | instskip(SKIP_1) | instid1(VALU_DEP_2)
	v_bfe_u32 v14, v15, 16, 1
	v_cmp_o_f32_e64 s24, v15, v15
	v_add3_u32 v14, v15, v14, 0x7fff
	s_delay_alu instid0(VALU_DEP_1) | instskip(NEXT) | instid1(VALU_DEP_1)
	v_and_b32_e32 v16, 0xffff0000, v14
	v_cndmask_b32_e64 v18, 0x7fc00000, v16, s24
	s_delay_alu instid0(VALU_DEP_1) | instskip(NEXT) | instid1(VALU_DEP_1)
	v_dual_max_f32 v15, v18, v18 :: v_dual_lshlrev_b32 v14, 16, v3
	v_max_f32_e32 v16, v14, v14
	v_cmp_u_f32_e64 s24, v18, v18
	s_delay_alu instid0(VALU_DEP_2) | instskip(SKIP_1) | instid1(VALU_DEP_2)
	v_min_f32_e32 v19, v15, v16
	v_max_f32_e32 v15, v15, v16
	v_cndmask_b32_e64 v19, v19, v18, s24
	s_delay_alu instid0(VALU_DEP_2) | instskip(SKIP_1) | instid1(VALU_DEP_1)
	v_cndmask_b32_e64 v15, v15, v18, s24
	v_cmp_u_f32_e64 s24, v14, v14
	v_cndmask_b32_e64 v19, v19, v14, s24
	s_delay_alu instid0(VALU_DEP_3) | instskip(NEXT) | instid1(VALU_DEP_2)
	v_cndmask_b32_e64 v15, v15, v14, s24
	v_cmp_class_f32_e64 s26, v19, 0x1f8
	s_delay_alu instid0(VALU_DEP_2) | instskip(NEXT) | instid1(VALU_DEP_1)
	v_cmp_neq_f32_e64 s25, v19, v15
	s_or_b32 s25, s25, s26
	s_delay_alu instid0(SALU_CYCLE_1)
	s_and_saveexec_b32 s26, s25
	s_cbranch_execz .LBB471_50
; %bb.49:
	v_sub_f32_e32 v18, v19, v15
	s_delay_alu instid0(VALU_DEP_1) | instskip(SKIP_1) | instid1(VALU_DEP_2)
	v_mul_f32_e32 v19, 0x3fb8aa3b, v18
	v_cmp_ngt_f32_e64 s25, 0xc2ce8ed0, v18
	v_fma_f32 v20, 0x3fb8aa3b, v18, -v19
	v_rndne_f32_e32 v21, v19
	s_delay_alu instid0(VALU_DEP_1) | instskip(NEXT) | instid1(VALU_DEP_1)
	v_dual_fmamk_f32 v20, v18, 0x32a5705f, v20 :: v_dual_sub_f32 v19, v19, v21
	v_add_f32_e32 v19, v19, v20
	v_cvt_i32_f32_e32 v20, v21
	s_delay_alu instid0(VALU_DEP_2) | instskip(SKIP_2) | instid1(VALU_DEP_1)
	v_exp_f32_e32 v19, v19
	s_waitcnt_depctr 0xfff
	v_ldexp_f32 v19, v19, v20
	v_cndmask_b32_e64 v19, 0, v19, s25
	v_cmp_nlt_f32_e64 s25, 0x42b17218, v18
	s_delay_alu instid0(VALU_DEP_1) | instskip(NEXT) | instid1(VALU_DEP_1)
	v_cndmask_b32_e64 v20, 0x7f800000, v19, s25
	v_add_f32_e32 v21, 1.0, v20
	v_cmp_gt_f32_e64 s27, 0x33800000, |v20|
	s_delay_alu instid0(VALU_DEP_2) | instskip(NEXT) | instid1(VALU_DEP_1)
	v_cvt_f64_f32_e32 v[18:19], v21
	v_frexp_exp_i32_f64_e32 v18, v[18:19]
	v_frexp_mant_f32_e32 v19, v21
	s_delay_alu instid0(VALU_DEP_1) | instskip(SKIP_1) | instid1(VALU_DEP_1)
	v_cmp_gt_f32_e64 s25, 0x3f2aaaab, v19
	v_add_f32_e32 v19, -1.0, v21
	v_sub_f32_e32 v23, v19, v21
	v_sub_f32_e32 v19, v20, v19
	s_delay_alu instid0(VALU_DEP_4) | instskip(SKIP_1) | instid1(VALU_DEP_1)
	v_subrev_co_ci_u32_e64 v18, s25, 0, v18, s25
	s_mov_b32 s25, 0x3e9b6dac
	v_sub_nc_u32_e32 v22, 0, v18
	v_cvt_f32_i32_e32 v18, v18
	s_delay_alu instid0(VALU_DEP_2) | instskip(NEXT) | instid1(VALU_DEP_1)
	v_ldexp_f32 v21, v21, v22
	v_dual_add_f32 v24, 1.0, v21 :: v_dual_add_f32 v23, 1.0, v23
	s_delay_alu instid0(VALU_DEP_1) | instskip(NEXT) | instid1(VALU_DEP_2)
	v_add_f32_e32 v19, v19, v23
	v_add_f32_e32 v23, -1.0, v24
	s_delay_alu instid0(VALU_DEP_2) | instskip(NEXT) | instid1(VALU_DEP_2)
	v_ldexp_f32 v19, v19, v22
	v_dual_add_f32 v22, -1.0, v21 :: v_dual_sub_f32 v23, v21, v23
	s_delay_alu instid0(VALU_DEP_1) | instskip(NEXT) | instid1(VALU_DEP_2)
	v_add_f32_e32 v25, 1.0, v22
	v_add_f32_e32 v23, v19, v23
	s_delay_alu instid0(VALU_DEP_2) | instskip(NEXT) | instid1(VALU_DEP_2)
	v_sub_f32_e32 v21, v21, v25
	v_add_f32_e32 v25, v24, v23
	s_delay_alu instid0(VALU_DEP_2) | instskip(NEXT) | instid1(VALU_DEP_2)
	v_add_f32_e32 v19, v19, v21
	v_rcp_f32_e32 v21, v25
	v_sub_f32_e32 v24, v24, v25
	s_delay_alu instid0(VALU_DEP_1) | instskip(NEXT) | instid1(VALU_DEP_1)
	v_dual_add_f32 v26, v22, v19 :: v_dual_add_f32 v23, v23, v24
	v_sub_f32_e32 v22, v22, v26
	s_waitcnt_depctr 0xfff
	v_mul_f32_e32 v27, v26, v21
	s_delay_alu instid0(VALU_DEP_1) | instskip(NEXT) | instid1(VALU_DEP_1)
	v_dual_add_f32 v19, v19, v22 :: v_dual_mul_f32 v28, v25, v27
	v_fma_f32 v24, v27, v25, -v28
	s_delay_alu instid0(VALU_DEP_1) | instskip(NEXT) | instid1(VALU_DEP_1)
	v_fmac_f32_e32 v24, v27, v23
	v_add_f32_e32 v29, v28, v24
	s_delay_alu instid0(VALU_DEP_1) | instskip(SKIP_1) | instid1(VALU_DEP_2)
	v_sub_f32_e32 v30, v26, v29
	v_sub_f32_e32 v22, v29, v28
	;; [unrolled: 1-line block ×3, first 2 shown]
	s_delay_alu instid0(VALU_DEP_2) | instskip(NEXT) | instid1(VALU_DEP_2)
	v_sub_f32_e32 v22, v22, v24
	v_sub_f32_e32 v26, v26, v29
	s_delay_alu instid0(VALU_DEP_1) | instskip(NEXT) | instid1(VALU_DEP_1)
	v_add_f32_e32 v19, v19, v26
	v_add_f32_e32 v19, v22, v19
	s_delay_alu instid0(VALU_DEP_1) | instskip(NEXT) | instid1(VALU_DEP_1)
	v_add_f32_e32 v22, v30, v19
	v_mul_f32_e32 v24, v21, v22
	s_delay_alu instid0(VALU_DEP_1) | instskip(NEXT) | instid1(VALU_DEP_1)
	v_dual_sub_f32 v29, v30, v22 :: v_dual_mul_f32 v26, v25, v24
	v_add_f32_e32 v19, v19, v29
	s_delay_alu instid0(VALU_DEP_2) | instskip(NEXT) | instid1(VALU_DEP_1)
	v_fma_f32 v25, v24, v25, -v26
	v_fmac_f32_e32 v25, v24, v23
	s_delay_alu instid0(VALU_DEP_1) | instskip(NEXT) | instid1(VALU_DEP_1)
	v_add_f32_e32 v23, v26, v25
	v_sub_f32_e32 v28, v22, v23
	v_sub_f32_e32 v26, v23, v26
	s_delay_alu instid0(VALU_DEP_2) | instskip(NEXT) | instid1(VALU_DEP_1)
	v_sub_f32_e32 v22, v22, v28
	v_sub_f32_e32 v22, v22, v23
	s_delay_alu instid0(VALU_DEP_3) | instskip(NEXT) | instid1(VALU_DEP_2)
	v_sub_f32_e32 v23, v26, v25
	v_add_f32_e32 v19, v19, v22
	v_add_f32_e32 v22, v27, v24
	s_delay_alu instid0(VALU_DEP_2) | instskip(NEXT) | instid1(VALU_DEP_2)
	v_add_f32_e32 v19, v23, v19
	v_sub_f32_e32 v23, v22, v27
	s_delay_alu instid0(VALU_DEP_2) | instskip(NEXT) | instid1(VALU_DEP_2)
	v_add_f32_e32 v19, v28, v19
	v_sub_f32_e32 v23, v24, v23
	s_delay_alu instid0(VALU_DEP_2) | instskip(NEXT) | instid1(VALU_DEP_1)
	v_mul_f32_e32 v19, v21, v19
	v_add_f32_e32 v19, v23, v19
	s_delay_alu instid0(VALU_DEP_1) | instskip(NEXT) | instid1(VALU_DEP_1)
	v_add_f32_e32 v21, v22, v19
	v_mul_f32_e32 v23, v21, v21
	s_delay_alu instid0(VALU_DEP_1) | instskip(SKIP_2) | instid1(VALU_DEP_3)
	v_fmaak_f32 v24, s25, v23, 0x3ecc95a3
	v_mul_f32_e32 v25, v21, v23
	v_cmp_eq_f32_e64 s25, 0x7f800000, v20
	v_fmaak_f32 v23, v23, v24, 0x3f2aaada
	v_ldexp_f32 v24, v21, 1
	v_sub_f32_e32 v21, v21, v22
	s_delay_alu instid0(VALU_DEP_4) | instskip(NEXT) | instid1(VALU_DEP_3)
	s_or_b32 s25, s25, s27
	v_mul_f32_e32 v23, v25, v23
	v_mul_f32_e32 v25, 0x3f317218, v18
	s_delay_alu instid0(VALU_DEP_2) | instskip(NEXT) | instid1(VALU_DEP_1)
	v_dual_sub_f32 v19, v19, v21 :: v_dual_add_f32 v22, v24, v23
	v_ldexp_f32 v19, v19, 1
	s_delay_alu instid0(VALU_DEP_2) | instskip(NEXT) | instid1(VALU_DEP_4)
	v_sub_f32_e32 v21, v22, v24
	v_fma_f32 v24, 0x3f317218, v18, -v25
	s_delay_alu instid0(VALU_DEP_1) | instskip(NEXT) | instid1(VALU_DEP_1)
	v_dual_sub_f32 v21, v23, v21 :: v_dual_fmamk_f32 v18, v18, 0xb102e308, v24
	v_add_f32_e32 v19, v19, v21
	s_delay_alu instid0(VALU_DEP_2) | instskip(NEXT) | instid1(VALU_DEP_2)
	v_add_f32_e32 v21, v25, v18
	v_add_f32_e32 v23, v22, v19
	s_delay_alu instid0(VALU_DEP_2) | instskip(NEXT) | instid1(VALU_DEP_2)
	v_sub_f32_e32 v25, v21, v25
	v_add_f32_e32 v24, v21, v23
	v_sub_f32_e32 v22, v23, v22
	s_delay_alu instid0(VALU_DEP_3) | instskip(NEXT) | instid1(VALU_DEP_2)
	v_sub_f32_e32 v18, v18, v25
	v_dual_sub_f32 v26, v24, v21 :: v_dual_sub_f32 v19, v19, v22
	s_delay_alu instid0(VALU_DEP_1) | instskip(NEXT) | instid1(VALU_DEP_2)
	v_sub_f32_e32 v27, v24, v26
	v_dual_sub_f32 v22, v23, v26 :: v_dual_add_f32 v23, v18, v19
	s_delay_alu instid0(VALU_DEP_2) | instskip(NEXT) | instid1(VALU_DEP_1)
	v_sub_f32_e32 v21, v21, v27
	v_dual_add_f32 v21, v22, v21 :: v_dual_sub_f32 v22, v23, v18
	s_delay_alu instid0(VALU_DEP_1) | instskip(NEXT) | instid1(VALU_DEP_2)
	v_add_f32_e32 v21, v23, v21
	v_sub_f32_e32 v23, v23, v22
	v_sub_f32_e32 v19, v19, v22
	s_delay_alu instid0(VALU_DEP_2) | instskip(NEXT) | instid1(VALU_DEP_1)
	v_dual_add_f32 v25, v24, v21 :: v_dual_sub_f32 v18, v18, v23
	v_sub_f32_e32 v22, v25, v24
	s_delay_alu instid0(VALU_DEP_2) | instskip(NEXT) | instid1(VALU_DEP_2)
	v_add_f32_e32 v18, v19, v18
	v_sub_f32_e32 v19, v21, v22
	s_delay_alu instid0(VALU_DEP_1) | instskip(NEXT) | instid1(VALU_DEP_1)
	v_add_f32_e32 v18, v18, v19
	v_add_f32_e32 v18, v25, v18
	s_delay_alu instid0(VALU_DEP_1) | instskip(NEXT) | instid1(VALU_DEP_1)
	v_cndmask_b32_e64 v18, v18, v20, s25
	v_add_f32_e32 v18, v15, v18
.LBB471_50:
	s_or_b32 exec_lo, exec_lo, s26
	s_delay_alu instid0(VALU_DEP_1) | instskip(SKIP_1) | instid1(VALU_DEP_2)
	v_bfe_u32 v15, v18, 16, 1
	v_cmp_o_f32_e64 s25, v18, v18
	v_add3_u32 v15, v18, v15, 0x7fff
	s_delay_alu instid0(VALU_DEP_1) | instskip(NEXT) | instid1(VALU_DEP_1)
	v_and_b32_e32 v15, 0xffff0000, v15
	v_cndmask_b32_e64 v19, 0x7fc00000, v15, s25
	s_delay_alu instid0(VALU_DEP_1) | instskip(SKIP_2) | instid1(VALU_DEP_2)
	v_max_f32_e32 v15, v19, v19
	v_and_b32_e32 v3, 0xffff0000, v3
	v_cmp_u_f32_e64 s25, v19, v19
	v_max_f32_e32 v18, v3, v3
	s_delay_alu instid0(VALU_DEP_1) | instskip(SKIP_1) | instid1(VALU_DEP_2)
	v_min_f32_e32 v20, v15, v18
	v_max_f32_e32 v15, v15, v18
	v_cndmask_b32_e64 v20, v20, v19, s25
	s_delay_alu instid0(VALU_DEP_2) | instskip(SKIP_1) | instid1(VALU_DEP_1)
	v_cndmask_b32_e64 v15, v15, v19, s25
	v_cmp_u_f32_e64 s25, v3, v3
	v_cndmask_b32_e64 v20, v20, v3, s25
	s_delay_alu instid0(VALU_DEP_3) | instskip(NEXT) | instid1(VALU_DEP_2)
	v_cndmask_b32_e64 v15, v15, v3, s25
	v_cmp_class_f32_e64 s27, v20, 0x1f8
	s_delay_alu instid0(VALU_DEP_2) | instskip(NEXT) | instid1(VALU_DEP_1)
	v_cmp_neq_f32_e64 s26, v20, v15
	s_or_b32 s26, s26, s27
	s_delay_alu instid0(SALU_CYCLE_1)
	s_and_saveexec_b32 s27, s26
	s_cbranch_execz .LBB471_52
; %bb.51:
	v_sub_f32_e32 v19, v20, v15
	s_delay_alu instid0(VALU_DEP_1) | instskip(SKIP_1) | instid1(VALU_DEP_2)
	v_mul_f32_e32 v20, 0x3fb8aa3b, v19
	v_cmp_ngt_f32_e64 s26, 0xc2ce8ed0, v19
	v_fma_f32 v21, 0x3fb8aa3b, v19, -v20
	v_rndne_f32_e32 v22, v20
	s_delay_alu instid0(VALU_DEP_1) | instskip(NEXT) | instid1(VALU_DEP_1)
	v_dual_fmamk_f32 v21, v19, 0x32a5705f, v21 :: v_dual_sub_f32 v20, v20, v22
	v_add_f32_e32 v20, v20, v21
	v_cvt_i32_f32_e32 v21, v22
	s_delay_alu instid0(VALU_DEP_2) | instskip(SKIP_2) | instid1(VALU_DEP_1)
	v_exp_f32_e32 v20, v20
	s_waitcnt_depctr 0xfff
	v_ldexp_f32 v20, v20, v21
	v_cndmask_b32_e64 v20, 0, v20, s26
	v_cmp_nlt_f32_e64 s26, 0x42b17218, v19
	s_delay_alu instid0(VALU_DEP_1) | instskip(NEXT) | instid1(VALU_DEP_1)
	v_cndmask_b32_e64 v21, 0x7f800000, v20, s26
	v_add_f32_e32 v22, 1.0, v21
	v_cmp_gt_f32_e64 s28, 0x33800000, |v21|
	s_delay_alu instid0(VALU_DEP_2) | instskip(NEXT) | instid1(VALU_DEP_1)
	v_cvt_f64_f32_e32 v[19:20], v22
	v_frexp_exp_i32_f64_e32 v19, v[19:20]
	v_frexp_mant_f32_e32 v20, v22
	s_delay_alu instid0(VALU_DEP_1) | instskip(SKIP_1) | instid1(VALU_DEP_1)
	v_cmp_gt_f32_e64 s26, 0x3f2aaaab, v20
	v_add_f32_e32 v20, -1.0, v22
	v_sub_f32_e32 v24, v20, v22
	v_sub_f32_e32 v20, v21, v20
	s_delay_alu instid0(VALU_DEP_4) | instskip(SKIP_1) | instid1(VALU_DEP_1)
	v_subrev_co_ci_u32_e64 v19, s26, 0, v19, s26
	s_mov_b32 s26, 0x3e9b6dac
	v_sub_nc_u32_e32 v23, 0, v19
	v_cvt_f32_i32_e32 v19, v19
	s_delay_alu instid0(VALU_DEP_2) | instskip(NEXT) | instid1(VALU_DEP_1)
	v_ldexp_f32 v22, v22, v23
	v_dual_add_f32 v25, 1.0, v22 :: v_dual_add_f32 v24, 1.0, v24
	s_delay_alu instid0(VALU_DEP_1) | instskip(NEXT) | instid1(VALU_DEP_2)
	v_add_f32_e32 v20, v20, v24
	v_add_f32_e32 v24, -1.0, v25
	s_delay_alu instid0(VALU_DEP_2) | instskip(NEXT) | instid1(VALU_DEP_2)
	v_ldexp_f32 v20, v20, v23
	v_dual_add_f32 v23, -1.0, v22 :: v_dual_sub_f32 v24, v22, v24
	s_delay_alu instid0(VALU_DEP_1) | instskip(NEXT) | instid1(VALU_DEP_2)
	v_add_f32_e32 v26, 1.0, v23
	v_add_f32_e32 v24, v20, v24
	s_delay_alu instid0(VALU_DEP_2) | instskip(NEXT) | instid1(VALU_DEP_2)
	v_sub_f32_e32 v22, v22, v26
	v_add_f32_e32 v26, v25, v24
	s_delay_alu instid0(VALU_DEP_2) | instskip(NEXT) | instid1(VALU_DEP_2)
	v_add_f32_e32 v20, v20, v22
	v_rcp_f32_e32 v22, v26
	v_sub_f32_e32 v25, v25, v26
	s_delay_alu instid0(VALU_DEP_1) | instskip(NEXT) | instid1(VALU_DEP_1)
	v_dual_add_f32 v27, v23, v20 :: v_dual_add_f32 v24, v24, v25
	v_sub_f32_e32 v23, v23, v27
	s_waitcnt_depctr 0xfff
	v_mul_f32_e32 v28, v27, v22
	s_delay_alu instid0(VALU_DEP_1) | instskip(NEXT) | instid1(VALU_DEP_1)
	v_dual_add_f32 v20, v20, v23 :: v_dual_mul_f32 v29, v26, v28
	v_fma_f32 v25, v28, v26, -v29
	s_delay_alu instid0(VALU_DEP_1) | instskip(NEXT) | instid1(VALU_DEP_1)
	v_fmac_f32_e32 v25, v28, v24
	v_add_f32_e32 v30, v29, v25
	s_delay_alu instid0(VALU_DEP_1) | instskip(SKIP_1) | instid1(VALU_DEP_2)
	v_sub_f32_e32 v31, v27, v30
	v_sub_f32_e32 v23, v30, v29
	;; [unrolled: 1-line block ×3, first 2 shown]
	s_delay_alu instid0(VALU_DEP_2) | instskip(NEXT) | instid1(VALU_DEP_2)
	v_sub_f32_e32 v23, v23, v25
	v_sub_f32_e32 v27, v27, v30
	s_delay_alu instid0(VALU_DEP_1) | instskip(NEXT) | instid1(VALU_DEP_1)
	v_add_f32_e32 v20, v20, v27
	v_add_f32_e32 v20, v23, v20
	s_delay_alu instid0(VALU_DEP_1) | instskip(NEXT) | instid1(VALU_DEP_1)
	v_add_f32_e32 v23, v31, v20
	v_mul_f32_e32 v25, v22, v23
	s_delay_alu instid0(VALU_DEP_1) | instskip(NEXT) | instid1(VALU_DEP_1)
	v_dual_sub_f32 v30, v31, v23 :: v_dual_mul_f32 v27, v26, v25
	v_add_f32_e32 v20, v20, v30
	s_delay_alu instid0(VALU_DEP_2) | instskip(NEXT) | instid1(VALU_DEP_1)
	v_fma_f32 v26, v25, v26, -v27
	v_fmac_f32_e32 v26, v25, v24
	s_delay_alu instid0(VALU_DEP_1) | instskip(NEXT) | instid1(VALU_DEP_1)
	v_add_f32_e32 v24, v27, v26
	v_sub_f32_e32 v29, v23, v24
	v_sub_f32_e32 v27, v24, v27
	s_delay_alu instid0(VALU_DEP_2) | instskip(NEXT) | instid1(VALU_DEP_1)
	v_sub_f32_e32 v23, v23, v29
	v_sub_f32_e32 v23, v23, v24
	s_delay_alu instid0(VALU_DEP_3) | instskip(NEXT) | instid1(VALU_DEP_2)
	v_sub_f32_e32 v24, v27, v26
	v_add_f32_e32 v20, v20, v23
	v_add_f32_e32 v23, v28, v25
	s_delay_alu instid0(VALU_DEP_2) | instskip(NEXT) | instid1(VALU_DEP_2)
	v_add_f32_e32 v20, v24, v20
	v_sub_f32_e32 v24, v23, v28
	s_delay_alu instid0(VALU_DEP_2) | instskip(NEXT) | instid1(VALU_DEP_2)
	v_add_f32_e32 v20, v29, v20
	v_sub_f32_e32 v24, v25, v24
	s_delay_alu instid0(VALU_DEP_2) | instskip(NEXT) | instid1(VALU_DEP_1)
	v_mul_f32_e32 v20, v22, v20
	v_add_f32_e32 v20, v24, v20
	s_delay_alu instid0(VALU_DEP_1) | instskip(NEXT) | instid1(VALU_DEP_1)
	v_add_f32_e32 v22, v23, v20
	v_mul_f32_e32 v24, v22, v22
	s_delay_alu instid0(VALU_DEP_1) | instskip(SKIP_2) | instid1(VALU_DEP_3)
	v_fmaak_f32 v25, s26, v24, 0x3ecc95a3
	v_mul_f32_e32 v26, v22, v24
	v_cmp_eq_f32_e64 s26, 0x7f800000, v21
	v_fmaak_f32 v24, v24, v25, 0x3f2aaada
	v_ldexp_f32 v25, v22, 1
	v_sub_f32_e32 v22, v22, v23
	s_delay_alu instid0(VALU_DEP_4) | instskip(NEXT) | instid1(VALU_DEP_3)
	s_or_b32 s26, s26, s28
	v_mul_f32_e32 v24, v26, v24
	v_mul_f32_e32 v26, 0x3f317218, v19
	s_delay_alu instid0(VALU_DEP_2) | instskip(NEXT) | instid1(VALU_DEP_1)
	v_dual_sub_f32 v20, v20, v22 :: v_dual_add_f32 v23, v25, v24
	v_ldexp_f32 v20, v20, 1
	s_delay_alu instid0(VALU_DEP_2) | instskip(NEXT) | instid1(VALU_DEP_4)
	v_sub_f32_e32 v22, v23, v25
	v_fma_f32 v25, 0x3f317218, v19, -v26
	s_delay_alu instid0(VALU_DEP_1) | instskip(NEXT) | instid1(VALU_DEP_1)
	v_dual_sub_f32 v22, v24, v22 :: v_dual_fmamk_f32 v19, v19, 0xb102e308, v25
	v_add_f32_e32 v20, v20, v22
	s_delay_alu instid0(VALU_DEP_2) | instskip(NEXT) | instid1(VALU_DEP_2)
	v_add_f32_e32 v22, v26, v19
	v_add_f32_e32 v24, v23, v20
	s_delay_alu instid0(VALU_DEP_2) | instskip(NEXT) | instid1(VALU_DEP_2)
	v_sub_f32_e32 v26, v22, v26
	v_add_f32_e32 v25, v22, v24
	v_sub_f32_e32 v23, v24, v23
	s_delay_alu instid0(VALU_DEP_3) | instskip(NEXT) | instid1(VALU_DEP_2)
	v_sub_f32_e32 v19, v19, v26
	v_dual_sub_f32 v27, v25, v22 :: v_dual_sub_f32 v20, v20, v23
	s_delay_alu instid0(VALU_DEP_1) | instskip(NEXT) | instid1(VALU_DEP_2)
	v_sub_f32_e32 v28, v25, v27
	v_dual_sub_f32 v23, v24, v27 :: v_dual_add_f32 v24, v19, v20
	s_delay_alu instid0(VALU_DEP_2) | instskip(NEXT) | instid1(VALU_DEP_1)
	v_sub_f32_e32 v22, v22, v28
	v_dual_add_f32 v22, v23, v22 :: v_dual_sub_f32 v23, v24, v19
	s_delay_alu instid0(VALU_DEP_1) | instskip(NEXT) | instid1(VALU_DEP_2)
	v_add_f32_e32 v22, v24, v22
	v_sub_f32_e32 v24, v24, v23
	v_sub_f32_e32 v20, v20, v23
	s_delay_alu instid0(VALU_DEP_2) | instskip(NEXT) | instid1(VALU_DEP_1)
	v_dual_add_f32 v26, v25, v22 :: v_dual_sub_f32 v19, v19, v24
	v_sub_f32_e32 v23, v26, v25
	s_delay_alu instid0(VALU_DEP_2) | instskip(NEXT) | instid1(VALU_DEP_2)
	v_add_f32_e32 v19, v20, v19
	v_sub_f32_e32 v20, v22, v23
	s_delay_alu instid0(VALU_DEP_1) | instskip(NEXT) | instid1(VALU_DEP_1)
	v_add_f32_e32 v19, v19, v20
	v_add_f32_e32 v19, v26, v19
	s_delay_alu instid0(VALU_DEP_1) | instskip(NEXT) | instid1(VALU_DEP_1)
	v_cndmask_b32_e64 v19, v19, v21, s26
	v_add_f32_e32 v19, v15, v19
.LBB471_52:
	s_or_b32 exec_lo, exec_lo, s27
	s_delay_alu instid0(VALU_DEP_1) | instskip(SKIP_1) | instid1(VALU_DEP_2)
	v_bfe_u32 v15, v19, 16, 1
	v_cmp_o_f32_e64 s26, v19, v19
	v_add3_u32 v15, v19, v15, 0x7fff
	s_delay_alu instid0(VALU_DEP_1) | instskip(NEXT) | instid1(VALU_DEP_1)
	v_and_b32_e32 v20, 0xffff0000, v15
	v_cndmask_b32_e64 v21, 0x7fc00000, v20, s26
	s_delay_alu instid0(VALU_DEP_1) | instskip(SKIP_2) | instid1(VALU_DEP_2)
	v_max_f32_e32 v19, v21, v21
	v_lshlrev_b32_e32 v15, 16, v10
	v_cmp_u_f32_e64 s26, v21, v21
	v_max_f32_e32 v20, v15, v15
	s_delay_alu instid0(VALU_DEP_1) | instskip(SKIP_1) | instid1(VALU_DEP_2)
	v_min_f32_e32 v22, v19, v20
	v_max_f32_e32 v19, v19, v20
	v_cndmask_b32_e64 v22, v22, v21, s26
	s_delay_alu instid0(VALU_DEP_2) | instskip(SKIP_1) | instid1(VALU_DEP_1)
	v_cndmask_b32_e64 v19, v19, v21, s26
	v_cmp_u_f32_e64 s26, v15, v15
	v_cndmask_b32_e64 v22, v22, v15, s26
	s_delay_alu instid0(VALU_DEP_3) | instskip(NEXT) | instid1(VALU_DEP_2)
	v_cndmask_b32_e64 v19, v19, v15, s26
	v_cmp_class_f32_e64 s28, v22, 0x1f8
	s_delay_alu instid0(VALU_DEP_2) | instskip(NEXT) | instid1(VALU_DEP_1)
	v_cmp_neq_f32_e64 s27, v22, v19
	s_or_b32 s27, s27, s28
	s_delay_alu instid0(SALU_CYCLE_1)
	s_and_saveexec_b32 s28, s27
	s_cbranch_execz .LBB471_54
; %bb.53:
	v_sub_f32_e32 v21, v22, v19
	s_delay_alu instid0(VALU_DEP_1) | instskip(SKIP_1) | instid1(VALU_DEP_2)
	v_mul_f32_e32 v22, 0x3fb8aa3b, v21
	v_cmp_ngt_f32_e64 s27, 0xc2ce8ed0, v21
	v_fma_f32 v23, 0x3fb8aa3b, v21, -v22
	v_rndne_f32_e32 v24, v22
	s_delay_alu instid0(VALU_DEP_1) | instskip(NEXT) | instid1(VALU_DEP_1)
	v_dual_fmamk_f32 v23, v21, 0x32a5705f, v23 :: v_dual_sub_f32 v22, v22, v24
	v_add_f32_e32 v22, v22, v23
	v_cvt_i32_f32_e32 v23, v24
	s_delay_alu instid0(VALU_DEP_2) | instskip(SKIP_2) | instid1(VALU_DEP_1)
	v_exp_f32_e32 v22, v22
	s_waitcnt_depctr 0xfff
	v_ldexp_f32 v22, v22, v23
	v_cndmask_b32_e64 v22, 0, v22, s27
	v_cmp_nlt_f32_e64 s27, 0x42b17218, v21
	s_delay_alu instid0(VALU_DEP_1) | instskip(NEXT) | instid1(VALU_DEP_1)
	v_cndmask_b32_e64 v23, 0x7f800000, v22, s27
	v_add_f32_e32 v24, 1.0, v23
	v_cmp_gt_f32_e64 s29, 0x33800000, |v23|
	s_delay_alu instid0(VALU_DEP_2) | instskip(NEXT) | instid1(VALU_DEP_1)
	v_cvt_f64_f32_e32 v[21:22], v24
	v_frexp_exp_i32_f64_e32 v21, v[21:22]
	v_frexp_mant_f32_e32 v22, v24
	s_delay_alu instid0(VALU_DEP_1) | instskip(SKIP_1) | instid1(VALU_DEP_1)
	v_cmp_gt_f32_e64 s27, 0x3f2aaaab, v22
	v_add_f32_e32 v22, -1.0, v24
	v_sub_f32_e32 v26, v22, v24
	v_sub_f32_e32 v22, v23, v22
	s_delay_alu instid0(VALU_DEP_4) | instskip(SKIP_1) | instid1(VALU_DEP_1)
	v_subrev_co_ci_u32_e64 v21, s27, 0, v21, s27
	s_mov_b32 s27, 0x3e9b6dac
	v_sub_nc_u32_e32 v25, 0, v21
	v_cvt_f32_i32_e32 v21, v21
	s_delay_alu instid0(VALU_DEP_2) | instskip(NEXT) | instid1(VALU_DEP_1)
	v_ldexp_f32 v24, v24, v25
	v_dual_add_f32 v27, 1.0, v24 :: v_dual_add_f32 v26, 1.0, v26
	s_delay_alu instid0(VALU_DEP_1) | instskip(NEXT) | instid1(VALU_DEP_2)
	v_add_f32_e32 v22, v22, v26
	v_add_f32_e32 v26, -1.0, v27
	s_delay_alu instid0(VALU_DEP_2) | instskip(NEXT) | instid1(VALU_DEP_2)
	v_ldexp_f32 v22, v22, v25
	v_dual_add_f32 v25, -1.0, v24 :: v_dual_sub_f32 v26, v24, v26
	s_delay_alu instid0(VALU_DEP_1) | instskip(NEXT) | instid1(VALU_DEP_2)
	v_add_f32_e32 v28, 1.0, v25
	v_add_f32_e32 v26, v22, v26
	s_delay_alu instid0(VALU_DEP_2) | instskip(NEXT) | instid1(VALU_DEP_2)
	v_sub_f32_e32 v24, v24, v28
	v_add_f32_e32 v28, v27, v26
	s_delay_alu instid0(VALU_DEP_2) | instskip(NEXT) | instid1(VALU_DEP_2)
	v_add_f32_e32 v22, v22, v24
	v_rcp_f32_e32 v24, v28
	v_sub_f32_e32 v27, v27, v28
	s_delay_alu instid0(VALU_DEP_1) | instskip(NEXT) | instid1(VALU_DEP_1)
	v_dual_add_f32 v29, v25, v22 :: v_dual_add_f32 v26, v26, v27
	v_sub_f32_e32 v25, v25, v29
	s_waitcnt_depctr 0xfff
	v_mul_f32_e32 v30, v29, v24
	s_delay_alu instid0(VALU_DEP_1) | instskip(NEXT) | instid1(VALU_DEP_1)
	v_dual_add_f32 v22, v22, v25 :: v_dual_mul_f32 v31, v28, v30
	v_fma_f32 v27, v30, v28, -v31
	s_delay_alu instid0(VALU_DEP_1) | instskip(NEXT) | instid1(VALU_DEP_1)
	v_fmac_f32_e32 v27, v30, v26
	v_add_f32_e32 v32, v31, v27
	s_delay_alu instid0(VALU_DEP_1) | instskip(SKIP_1) | instid1(VALU_DEP_2)
	v_sub_f32_e32 v33, v29, v32
	v_sub_f32_e32 v25, v32, v31
	;; [unrolled: 1-line block ×3, first 2 shown]
	s_delay_alu instid0(VALU_DEP_2) | instskip(NEXT) | instid1(VALU_DEP_2)
	v_sub_f32_e32 v25, v25, v27
	v_sub_f32_e32 v29, v29, v32
	s_delay_alu instid0(VALU_DEP_1) | instskip(NEXT) | instid1(VALU_DEP_1)
	v_add_f32_e32 v22, v22, v29
	v_add_f32_e32 v22, v25, v22
	s_delay_alu instid0(VALU_DEP_1) | instskip(NEXT) | instid1(VALU_DEP_1)
	v_add_f32_e32 v25, v33, v22
	v_mul_f32_e32 v27, v24, v25
	s_delay_alu instid0(VALU_DEP_1) | instskip(NEXT) | instid1(VALU_DEP_1)
	v_dual_sub_f32 v32, v33, v25 :: v_dual_mul_f32 v29, v28, v27
	v_add_f32_e32 v22, v22, v32
	s_delay_alu instid0(VALU_DEP_2) | instskip(NEXT) | instid1(VALU_DEP_1)
	v_fma_f32 v28, v27, v28, -v29
	v_fmac_f32_e32 v28, v27, v26
	s_delay_alu instid0(VALU_DEP_1) | instskip(NEXT) | instid1(VALU_DEP_1)
	v_add_f32_e32 v26, v29, v28
	v_sub_f32_e32 v31, v25, v26
	v_sub_f32_e32 v29, v26, v29
	s_delay_alu instid0(VALU_DEP_2) | instskip(NEXT) | instid1(VALU_DEP_1)
	v_sub_f32_e32 v25, v25, v31
	v_sub_f32_e32 v25, v25, v26
	s_delay_alu instid0(VALU_DEP_3) | instskip(NEXT) | instid1(VALU_DEP_2)
	v_sub_f32_e32 v26, v29, v28
	v_add_f32_e32 v22, v22, v25
	v_add_f32_e32 v25, v30, v27
	s_delay_alu instid0(VALU_DEP_2) | instskip(NEXT) | instid1(VALU_DEP_2)
	v_add_f32_e32 v22, v26, v22
	v_sub_f32_e32 v26, v25, v30
	s_delay_alu instid0(VALU_DEP_2) | instskip(NEXT) | instid1(VALU_DEP_2)
	v_add_f32_e32 v22, v31, v22
	v_sub_f32_e32 v26, v27, v26
	s_delay_alu instid0(VALU_DEP_2) | instskip(NEXT) | instid1(VALU_DEP_1)
	v_mul_f32_e32 v22, v24, v22
	v_add_f32_e32 v22, v26, v22
	s_delay_alu instid0(VALU_DEP_1) | instskip(NEXT) | instid1(VALU_DEP_1)
	v_add_f32_e32 v24, v25, v22
	v_mul_f32_e32 v26, v24, v24
	s_delay_alu instid0(VALU_DEP_1) | instskip(SKIP_2) | instid1(VALU_DEP_3)
	v_fmaak_f32 v27, s27, v26, 0x3ecc95a3
	v_mul_f32_e32 v28, v24, v26
	v_cmp_eq_f32_e64 s27, 0x7f800000, v23
	v_fmaak_f32 v26, v26, v27, 0x3f2aaada
	v_ldexp_f32 v27, v24, 1
	v_sub_f32_e32 v24, v24, v25
	s_delay_alu instid0(VALU_DEP_4) | instskip(NEXT) | instid1(VALU_DEP_3)
	s_or_b32 s27, s27, s29
	v_mul_f32_e32 v26, v28, v26
	v_mul_f32_e32 v28, 0x3f317218, v21
	s_delay_alu instid0(VALU_DEP_2) | instskip(NEXT) | instid1(VALU_DEP_1)
	v_dual_sub_f32 v22, v22, v24 :: v_dual_add_f32 v25, v27, v26
	v_ldexp_f32 v22, v22, 1
	s_delay_alu instid0(VALU_DEP_2) | instskip(NEXT) | instid1(VALU_DEP_4)
	v_sub_f32_e32 v24, v25, v27
	v_fma_f32 v27, 0x3f317218, v21, -v28
	s_delay_alu instid0(VALU_DEP_1) | instskip(NEXT) | instid1(VALU_DEP_1)
	v_dual_sub_f32 v24, v26, v24 :: v_dual_fmamk_f32 v21, v21, 0xb102e308, v27
	v_add_f32_e32 v22, v22, v24
	s_delay_alu instid0(VALU_DEP_2) | instskip(NEXT) | instid1(VALU_DEP_2)
	v_add_f32_e32 v24, v28, v21
	v_add_f32_e32 v26, v25, v22
	s_delay_alu instid0(VALU_DEP_2) | instskip(NEXT) | instid1(VALU_DEP_2)
	v_sub_f32_e32 v28, v24, v28
	v_add_f32_e32 v27, v24, v26
	v_sub_f32_e32 v25, v26, v25
	s_delay_alu instid0(VALU_DEP_3) | instskip(NEXT) | instid1(VALU_DEP_2)
	v_sub_f32_e32 v21, v21, v28
	v_dual_sub_f32 v29, v27, v24 :: v_dual_sub_f32 v22, v22, v25
	s_delay_alu instid0(VALU_DEP_1) | instskip(NEXT) | instid1(VALU_DEP_2)
	v_sub_f32_e32 v30, v27, v29
	v_dual_sub_f32 v25, v26, v29 :: v_dual_add_f32 v26, v21, v22
	s_delay_alu instid0(VALU_DEP_2) | instskip(NEXT) | instid1(VALU_DEP_1)
	v_sub_f32_e32 v24, v24, v30
	v_dual_add_f32 v24, v25, v24 :: v_dual_sub_f32 v25, v26, v21
	s_delay_alu instid0(VALU_DEP_1) | instskip(NEXT) | instid1(VALU_DEP_2)
	v_add_f32_e32 v24, v26, v24
	v_sub_f32_e32 v26, v26, v25
	v_sub_f32_e32 v22, v22, v25
	s_delay_alu instid0(VALU_DEP_2) | instskip(NEXT) | instid1(VALU_DEP_1)
	v_dual_add_f32 v28, v27, v24 :: v_dual_sub_f32 v21, v21, v26
	v_sub_f32_e32 v25, v28, v27
	s_delay_alu instid0(VALU_DEP_2) | instskip(NEXT) | instid1(VALU_DEP_2)
	v_add_f32_e32 v21, v22, v21
	v_sub_f32_e32 v22, v24, v25
	s_delay_alu instid0(VALU_DEP_1) | instskip(NEXT) | instid1(VALU_DEP_1)
	v_add_f32_e32 v21, v21, v22
	v_add_f32_e32 v21, v28, v21
	s_delay_alu instid0(VALU_DEP_1) | instskip(NEXT) | instid1(VALU_DEP_1)
	v_cndmask_b32_e64 v21, v21, v23, s27
	v_add_f32_e32 v21, v19, v21
.LBB471_54:
	s_or_b32 exec_lo, exec_lo, s28
	s_delay_alu instid0(VALU_DEP_1) | instskip(SKIP_1) | instid1(VALU_DEP_2)
	v_bfe_u32 v19, v21, 16, 1
	v_cmp_o_f32_e64 s27, v21, v21
	v_add3_u32 v19, v21, v19, 0x7fff
	s_delay_alu instid0(VALU_DEP_1) | instskip(NEXT) | instid1(VALU_DEP_1)
	v_and_b32_e32 v19, 0xffff0000, v19
	v_cndmask_b32_e64 v22, 0x7fc00000, v19, s27
	s_delay_alu instid0(VALU_DEP_1) | instskip(SKIP_2) | instid1(VALU_DEP_2)
	v_max_f32_e32 v19, v22, v22
	v_and_b32_e32 v10, 0xffff0000, v10
	v_cmp_u_f32_e64 s27, v22, v22
	v_max_f32_e32 v21, v10, v10
	s_delay_alu instid0(VALU_DEP_1) | instskip(SKIP_1) | instid1(VALU_DEP_2)
	v_min_f32_e32 v23, v19, v21
	v_max_f32_e32 v19, v19, v21
	v_cndmask_b32_e64 v23, v23, v22, s27
	s_delay_alu instid0(VALU_DEP_2) | instskip(SKIP_1) | instid1(VALU_DEP_1)
	v_cndmask_b32_e64 v19, v19, v22, s27
	v_cmp_u_f32_e64 s27, v10, v10
	v_cndmask_b32_e64 v23, v23, v10, s27
	s_delay_alu instid0(VALU_DEP_3) | instskip(NEXT) | instid1(VALU_DEP_2)
	v_cndmask_b32_e64 v19, v19, v10, s27
	v_cmp_class_f32_e64 s29, v23, 0x1f8
	s_delay_alu instid0(VALU_DEP_2) | instskip(NEXT) | instid1(VALU_DEP_1)
	v_cmp_neq_f32_e64 s28, v23, v19
	s_or_b32 s28, s28, s29
	s_delay_alu instid0(SALU_CYCLE_1)
	s_and_saveexec_b32 s29, s28
	s_cbranch_execz .LBB471_56
; %bb.55:
	v_sub_f32_e32 v22, v23, v19
	s_delay_alu instid0(VALU_DEP_1) | instskip(SKIP_1) | instid1(VALU_DEP_2)
	v_mul_f32_e32 v23, 0x3fb8aa3b, v22
	v_cmp_ngt_f32_e64 s28, 0xc2ce8ed0, v22
	v_fma_f32 v24, 0x3fb8aa3b, v22, -v23
	v_rndne_f32_e32 v25, v23
	s_delay_alu instid0(VALU_DEP_1) | instskip(NEXT) | instid1(VALU_DEP_1)
	v_dual_fmamk_f32 v24, v22, 0x32a5705f, v24 :: v_dual_sub_f32 v23, v23, v25
	v_add_f32_e32 v23, v23, v24
	v_cvt_i32_f32_e32 v24, v25
	s_delay_alu instid0(VALU_DEP_2) | instskip(SKIP_2) | instid1(VALU_DEP_1)
	v_exp_f32_e32 v23, v23
	s_waitcnt_depctr 0xfff
	v_ldexp_f32 v23, v23, v24
	v_cndmask_b32_e64 v23, 0, v23, s28
	v_cmp_nlt_f32_e64 s28, 0x42b17218, v22
	s_delay_alu instid0(VALU_DEP_1) | instskip(NEXT) | instid1(VALU_DEP_1)
	v_cndmask_b32_e64 v24, 0x7f800000, v23, s28
	v_add_f32_e32 v25, 1.0, v24
	v_cmp_gt_f32_e64 s30, 0x33800000, |v24|
	s_delay_alu instid0(VALU_DEP_2) | instskip(NEXT) | instid1(VALU_DEP_1)
	v_cvt_f64_f32_e32 v[22:23], v25
	v_frexp_exp_i32_f64_e32 v22, v[22:23]
	v_frexp_mant_f32_e32 v23, v25
	s_delay_alu instid0(VALU_DEP_1) | instskip(SKIP_1) | instid1(VALU_DEP_1)
	v_cmp_gt_f32_e64 s28, 0x3f2aaaab, v23
	v_add_f32_e32 v23, -1.0, v25
	v_sub_f32_e32 v27, v23, v25
	v_sub_f32_e32 v23, v24, v23
	s_delay_alu instid0(VALU_DEP_4) | instskip(SKIP_1) | instid1(VALU_DEP_1)
	v_subrev_co_ci_u32_e64 v22, s28, 0, v22, s28
	s_mov_b32 s28, 0x3e9b6dac
	v_sub_nc_u32_e32 v26, 0, v22
	v_cvt_f32_i32_e32 v22, v22
	s_delay_alu instid0(VALU_DEP_2) | instskip(NEXT) | instid1(VALU_DEP_1)
	v_ldexp_f32 v25, v25, v26
	v_dual_add_f32 v28, 1.0, v25 :: v_dual_add_f32 v27, 1.0, v27
	s_delay_alu instid0(VALU_DEP_1) | instskip(NEXT) | instid1(VALU_DEP_2)
	v_add_f32_e32 v23, v23, v27
	v_add_f32_e32 v27, -1.0, v28
	s_delay_alu instid0(VALU_DEP_2) | instskip(NEXT) | instid1(VALU_DEP_2)
	v_ldexp_f32 v23, v23, v26
	v_dual_add_f32 v26, -1.0, v25 :: v_dual_sub_f32 v27, v25, v27
	s_delay_alu instid0(VALU_DEP_1) | instskip(NEXT) | instid1(VALU_DEP_2)
	v_add_f32_e32 v29, 1.0, v26
	v_add_f32_e32 v27, v23, v27
	s_delay_alu instid0(VALU_DEP_2) | instskip(NEXT) | instid1(VALU_DEP_2)
	v_sub_f32_e32 v25, v25, v29
	v_add_f32_e32 v29, v28, v27
	s_delay_alu instid0(VALU_DEP_2) | instskip(NEXT) | instid1(VALU_DEP_2)
	v_add_f32_e32 v23, v23, v25
	v_rcp_f32_e32 v25, v29
	v_sub_f32_e32 v28, v28, v29
	s_delay_alu instid0(VALU_DEP_1) | instskip(NEXT) | instid1(VALU_DEP_1)
	v_dual_add_f32 v30, v26, v23 :: v_dual_add_f32 v27, v27, v28
	v_sub_f32_e32 v26, v26, v30
	s_waitcnt_depctr 0xfff
	v_mul_f32_e32 v31, v30, v25
	s_delay_alu instid0(VALU_DEP_1) | instskip(NEXT) | instid1(VALU_DEP_1)
	v_dual_add_f32 v23, v23, v26 :: v_dual_mul_f32 v32, v29, v31
	v_fma_f32 v28, v31, v29, -v32
	s_delay_alu instid0(VALU_DEP_1) | instskip(NEXT) | instid1(VALU_DEP_1)
	v_fmac_f32_e32 v28, v31, v27
	v_add_f32_e32 v33, v32, v28
	s_delay_alu instid0(VALU_DEP_1) | instskip(SKIP_1) | instid1(VALU_DEP_2)
	v_sub_f32_e32 v34, v30, v33
	v_sub_f32_e32 v26, v33, v32
	;; [unrolled: 1-line block ×3, first 2 shown]
	s_delay_alu instid0(VALU_DEP_2) | instskip(NEXT) | instid1(VALU_DEP_2)
	v_sub_f32_e32 v26, v26, v28
	v_sub_f32_e32 v30, v30, v33
	s_delay_alu instid0(VALU_DEP_1) | instskip(NEXT) | instid1(VALU_DEP_1)
	v_add_f32_e32 v23, v23, v30
	v_add_f32_e32 v23, v26, v23
	s_delay_alu instid0(VALU_DEP_1) | instskip(NEXT) | instid1(VALU_DEP_1)
	v_add_f32_e32 v26, v34, v23
	v_mul_f32_e32 v28, v25, v26
	s_delay_alu instid0(VALU_DEP_1) | instskip(NEXT) | instid1(VALU_DEP_1)
	v_dual_sub_f32 v33, v34, v26 :: v_dual_mul_f32 v30, v29, v28
	v_add_f32_e32 v23, v23, v33
	s_delay_alu instid0(VALU_DEP_2) | instskip(NEXT) | instid1(VALU_DEP_1)
	v_fma_f32 v29, v28, v29, -v30
	v_fmac_f32_e32 v29, v28, v27
	s_delay_alu instid0(VALU_DEP_1) | instskip(NEXT) | instid1(VALU_DEP_1)
	v_add_f32_e32 v27, v30, v29
	v_sub_f32_e32 v32, v26, v27
	v_sub_f32_e32 v30, v27, v30
	s_delay_alu instid0(VALU_DEP_2) | instskip(NEXT) | instid1(VALU_DEP_1)
	v_sub_f32_e32 v26, v26, v32
	v_sub_f32_e32 v26, v26, v27
	s_delay_alu instid0(VALU_DEP_3) | instskip(NEXT) | instid1(VALU_DEP_2)
	v_sub_f32_e32 v27, v30, v29
	v_add_f32_e32 v23, v23, v26
	v_add_f32_e32 v26, v31, v28
	s_delay_alu instid0(VALU_DEP_2) | instskip(NEXT) | instid1(VALU_DEP_2)
	v_add_f32_e32 v23, v27, v23
	v_sub_f32_e32 v27, v26, v31
	s_delay_alu instid0(VALU_DEP_2) | instskip(NEXT) | instid1(VALU_DEP_2)
	v_add_f32_e32 v23, v32, v23
	v_sub_f32_e32 v27, v28, v27
	s_delay_alu instid0(VALU_DEP_2) | instskip(NEXT) | instid1(VALU_DEP_1)
	v_mul_f32_e32 v23, v25, v23
	v_add_f32_e32 v23, v27, v23
	s_delay_alu instid0(VALU_DEP_1) | instskip(NEXT) | instid1(VALU_DEP_1)
	v_add_f32_e32 v25, v26, v23
	v_mul_f32_e32 v27, v25, v25
	s_delay_alu instid0(VALU_DEP_1) | instskip(SKIP_2) | instid1(VALU_DEP_3)
	v_fmaak_f32 v28, s28, v27, 0x3ecc95a3
	v_mul_f32_e32 v29, v25, v27
	v_cmp_eq_f32_e64 s28, 0x7f800000, v24
	v_fmaak_f32 v27, v27, v28, 0x3f2aaada
	v_ldexp_f32 v28, v25, 1
	v_sub_f32_e32 v25, v25, v26
	s_delay_alu instid0(VALU_DEP_4) | instskip(NEXT) | instid1(VALU_DEP_3)
	s_or_b32 s28, s28, s30
	v_mul_f32_e32 v27, v29, v27
	v_mul_f32_e32 v29, 0x3f317218, v22
	s_delay_alu instid0(VALU_DEP_2) | instskip(NEXT) | instid1(VALU_DEP_1)
	v_dual_sub_f32 v23, v23, v25 :: v_dual_add_f32 v26, v28, v27
	v_ldexp_f32 v23, v23, 1
	s_delay_alu instid0(VALU_DEP_2) | instskip(NEXT) | instid1(VALU_DEP_4)
	v_sub_f32_e32 v25, v26, v28
	v_fma_f32 v28, 0x3f317218, v22, -v29
	s_delay_alu instid0(VALU_DEP_1) | instskip(NEXT) | instid1(VALU_DEP_1)
	v_dual_sub_f32 v25, v27, v25 :: v_dual_fmamk_f32 v22, v22, 0xb102e308, v28
	v_add_f32_e32 v23, v23, v25
	s_delay_alu instid0(VALU_DEP_2) | instskip(NEXT) | instid1(VALU_DEP_2)
	v_add_f32_e32 v25, v29, v22
	v_add_f32_e32 v27, v26, v23
	s_delay_alu instid0(VALU_DEP_2) | instskip(NEXT) | instid1(VALU_DEP_2)
	v_sub_f32_e32 v29, v25, v29
	v_add_f32_e32 v28, v25, v27
	v_sub_f32_e32 v26, v27, v26
	s_delay_alu instid0(VALU_DEP_3) | instskip(NEXT) | instid1(VALU_DEP_2)
	v_sub_f32_e32 v22, v22, v29
	v_dual_sub_f32 v30, v28, v25 :: v_dual_sub_f32 v23, v23, v26
	s_delay_alu instid0(VALU_DEP_1) | instskip(NEXT) | instid1(VALU_DEP_2)
	v_sub_f32_e32 v31, v28, v30
	v_dual_sub_f32 v26, v27, v30 :: v_dual_add_f32 v27, v22, v23
	s_delay_alu instid0(VALU_DEP_2) | instskip(NEXT) | instid1(VALU_DEP_1)
	v_sub_f32_e32 v25, v25, v31
	v_dual_add_f32 v25, v26, v25 :: v_dual_sub_f32 v26, v27, v22
	s_delay_alu instid0(VALU_DEP_1) | instskip(NEXT) | instid1(VALU_DEP_2)
	v_add_f32_e32 v25, v27, v25
	v_sub_f32_e32 v27, v27, v26
	v_sub_f32_e32 v23, v23, v26
	s_delay_alu instid0(VALU_DEP_2) | instskip(NEXT) | instid1(VALU_DEP_1)
	v_dual_add_f32 v29, v28, v25 :: v_dual_sub_f32 v22, v22, v27
	v_sub_f32_e32 v26, v29, v28
	s_delay_alu instid0(VALU_DEP_2) | instskip(NEXT) | instid1(VALU_DEP_2)
	v_add_f32_e32 v22, v23, v22
	v_sub_f32_e32 v23, v25, v26
	s_delay_alu instid0(VALU_DEP_1) | instskip(NEXT) | instid1(VALU_DEP_1)
	v_add_f32_e32 v22, v22, v23
	v_add_f32_e32 v22, v29, v22
	s_delay_alu instid0(VALU_DEP_1) | instskip(NEXT) | instid1(VALU_DEP_1)
	v_cndmask_b32_e64 v22, v22, v24, s28
	v_add_f32_e32 v22, v19, v22
.LBB471_56:
	s_or_b32 exec_lo, exec_lo, s29
	s_delay_alu instid0(VALU_DEP_1) | instskip(SKIP_1) | instid1(VALU_DEP_2)
	v_bfe_u32 v19, v22, 16, 1
	v_cmp_o_f32_e64 s28, v22, v22
	v_add3_u32 v19, v22, v19, 0x7fff
	s_delay_alu instid0(VALU_DEP_1) | instskip(SKIP_1) | instid1(VALU_DEP_2)
	v_and_b32_e32 v23, 0xffff0000, v19
	v_lshlrev_b32_e32 v19, 16, v11
	v_cndmask_b32_e64 v24, 0x7fc00000, v23, s28
	s_delay_alu instid0(VALU_DEP_1) | instskip(SKIP_1) | instid1(VALU_DEP_2)
	v_dual_max_f32 v23, v19, v19 :: v_dual_max_f32 v22, v24, v24
	v_cmp_u_f32_e64 s28, v24, v24
	v_min_f32_e32 v25, v22, v23
	v_max_f32_e32 v22, v22, v23
	s_delay_alu instid0(VALU_DEP_2) | instskip(NEXT) | instid1(VALU_DEP_2)
	v_cndmask_b32_e64 v25, v25, v24, s28
	v_cndmask_b32_e64 v22, v22, v24, s28
	v_cmp_u_f32_e64 s28, v19, v19
	s_delay_alu instid0(VALU_DEP_1) | instskip(NEXT) | instid1(VALU_DEP_3)
	v_cndmask_b32_e64 v25, v25, v19, s28
	v_cndmask_b32_e64 v22, v22, v19, s28
	s_delay_alu instid0(VALU_DEP_2) | instskip(NEXT) | instid1(VALU_DEP_2)
	v_cmp_class_f32_e64 s30, v25, 0x1f8
	v_cmp_neq_f32_e64 s29, v25, v22
	s_delay_alu instid0(VALU_DEP_1) | instskip(NEXT) | instid1(SALU_CYCLE_1)
	s_or_b32 s29, s29, s30
	s_and_saveexec_b32 s30, s29
	s_cbranch_execz .LBB471_58
; %bb.57:
	v_sub_f32_e32 v24, v25, v22
	s_delay_alu instid0(VALU_DEP_1) | instskip(SKIP_1) | instid1(VALU_DEP_2)
	v_mul_f32_e32 v25, 0x3fb8aa3b, v24
	v_cmp_ngt_f32_e64 s29, 0xc2ce8ed0, v24
	v_fma_f32 v26, 0x3fb8aa3b, v24, -v25
	v_rndne_f32_e32 v27, v25
	s_delay_alu instid0(VALU_DEP_1) | instskip(NEXT) | instid1(VALU_DEP_1)
	v_dual_fmamk_f32 v26, v24, 0x32a5705f, v26 :: v_dual_sub_f32 v25, v25, v27
	v_add_f32_e32 v25, v25, v26
	v_cvt_i32_f32_e32 v26, v27
	s_delay_alu instid0(VALU_DEP_2) | instskip(SKIP_2) | instid1(VALU_DEP_1)
	v_exp_f32_e32 v25, v25
	s_waitcnt_depctr 0xfff
	v_ldexp_f32 v25, v25, v26
	v_cndmask_b32_e64 v25, 0, v25, s29
	v_cmp_nlt_f32_e64 s29, 0x42b17218, v24
	s_delay_alu instid0(VALU_DEP_1) | instskip(NEXT) | instid1(VALU_DEP_1)
	v_cndmask_b32_e64 v26, 0x7f800000, v25, s29
	v_add_f32_e32 v27, 1.0, v26
	v_cmp_gt_f32_e64 s31, 0x33800000, |v26|
	s_delay_alu instid0(VALU_DEP_2) | instskip(NEXT) | instid1(VALU_DEP_1)
	v_cvt_f64_f32_e32 v[24:25], v27
	v_frexp_exp_i32_f64_e32 v24, v[24:25]
	v_frexp_mant_f32_e32 v25, v27
	s_delay_alu instid0(VALU_DEP_1) | instskip(SKIP_1) | instid1(VALU_DEP_1)
	v_cmp_gt_f32_e64 s29, 0x3f2aaaab, v25
	v_add_f32_e32 v25, -1.0, v27
	v_sub_f32_e32 v29, v25, v27
	v_sub_f32_e32 v25, v26, v25
	s_delay_alu instid0(VALU_DEP_4) | instskip(SKIP_1) | instid1(VALU_DEP_1)
	v_subrev_co_ci_u32_e64 v24, s29, 0, v24, s29
	s_mov_b32 s29, 0x3e9b6dac
	v_sub_nc_u32_e32 v28, 0, v24
	v_cvt_f32_i32_e32 v24, v24
	s_delay_alu instid0(VALU_DEP_2) | instskip(NEXT) | instid1(VALU_DEP_1)
	v_ldexp_f32 v27, v27, v28
	v_dual_add_f32 v30, 1.0, v27 :: v_dual_add_f32 v29, 1.0, v29
	s_delay_alu instid0(VALU_DEP_1) | instskip(NEXT) | instid1(VALU_DEP_2)
	v_add_f32_e32 v25, v25, v29
	v_add_f32_e32 v29, -1.0, v30
	s_delay_alu instid0(VALU_DEP_2) | instskip(NEXT) | instid1(VALU_DEP_2)
	v_ldexp_f32 v25, v25, v28
	v_dual_add_f32 v28, -1.0, v27 :: v_dual_sub_f32 v29, v27, v29
	s_delay_alu instid0(VALU_DEP_1) | instskip(NEXT) | instid1(VALU_DEP_2)
	v_add_f32_e32 v31, 1.0, v28
	v_add_f32_e32 v29, v25, v29
	s_delay_alu instid0(VALU_DEP_2) | instskip(NEXT) | instid1(VALU_DEP_2)
	v_sub_f32_e32 v27, v27, v31
	v_add_f32_e32 v31, v30, v29
	s_delay_alu instid0(VALU_DEP_2) | instskip(NEXT) | instid1(VALU_DEP_2)
	v_add_f32_e32 v25, v25, v27
	v_rcp_f32_e32 v27, v31
	v_sub_f32_e32 v30, v30, v31
	s_delay_alu instid0(VALU_DEP_1) | instskip(NEXT) | instid1(VALU_DEP_1)
	v_dual_add_f32 v32, v28, v25 :: v_dual_add_f32 v29, v29, v30
	v_sub_f32_e32 v28, v28, v32
	s_waitcnt_depctr 0xfff
	v_mul_f32_e32 v33, v32, v27
	s_delay_alu instid0(VALU_DEP_1) | instskip(NEXT) | instid1(VALU_DEP_1)
	v_dual_add_f32 v25, v25, v28 :: v_dual_mul_f32 v34, v31, v33
	v_fma_f32 v30, v33, v31, -v34
	s_delay_alu instid0(VALU_DEP_1) | instskip(NEXT) | instid1(VALU_DEP_1)
	v_fmac_f32_e32 v30, v33, v29
	v_add_f32_e32 v35, v34, v30
	s_delay_alu instid0(VALU_DEP_1) | instskip(SKIP_1) | instid1(VALU_DEP_2)
	v_sub_f32_e32 v36, v32, v35
	v_sub_f32_e32 v28, v35, v34
	;; [unrolled: 1-line block ×3, first 2 shown]
	s_delay_alu instid0(VALU_DEP_2) | instskip(NEXT) | instid1(VALU_DEP_2)
	v_sub_f32_e32 v28, v28, v30
	v_sub_f32_e32 v32, v32, v35
	s_delay_alu instid0(VALU_DEP_1) | instskip(NEXT) | instid1(VALU_DEP_1)
	v_add_f32_e32 v25, v25, v32
	v_add_f32_e32 v25, v28, v25
	s_delay_alu instid0(VALU_DEP_1) | instskip(NEXT) | instid1(VALU_DEP_1)
	v_add_f32_e32 v28, v36, v25
	v_mul_f32_e32 v30, v27, v28
	s_delay_alu instid0(VALU_DEP_1) | instskip(NEXT) | instid1(VALU_DEP_1)
	v_dual_sub_f32 v35, v36, v28 :: v_dual_mul_f32 v32, v31, v30
	v_add_f32_e32 v25, v25, v35
	s_delay_alu instid0(VALU_DEP_2) | instskip(NEXT) | instid1(VALU_DEP_1)
	v_fma_f32 v31, v30, v31, -v32
	v_fmac_f32_e32 v31, v30, v29
	s_delay_alu instid0(VALU_DEP_1) | instskip(NEXT) | instid1(VALU_DEP_1)
	v_add_f32_e32 v29, v32, v31
	v_sub_f32_e32 v34, v28, v29
	v_sub_f32_e32 v32, v29, v32
	s_delay_alu instid0(VALU_DEP_2) | instskip(NEXT) | instid1(VALU_DEP_1)
	v_sub_f32_e32 v28, v28, v34
	v_sub_f32_e32 v28, v28, v29
	s_delay_alu instid0(VALU_DEP_3) | instskip(NEXT) | instid1(VALU_DEP_2)
	v_sub_f32_e32 v29, v32, v31
	v_add_f32_e32 v25, v25, v28
	v_add_f32_e32 v28, v33, v30
	s_delay_alu instid0(VALU_DEP_2) | instskip(NEXT) | instid1(VALU_DEP_2)
	v_add_f32_e32 v25, v29, v25
	v_sub_f32_e32 v29, v28, v33
	s_delay_alu instid0(VALU_DEP_2) | instskip(NEXT) | instid1(VALU_DEP_2)
	v_add_f32_e32 v25, v34, v25
	v_sub_f32_e32 v29, v30, v29
	s_delay_alu instid0(VALU_DEP_2) | instskip(NEXT) | instid1(VALU_DEP_1)
	v_mul_f32_e32 v25, v27, v25
	v_add_f32_e32 v25, v29, v25
	s_delay_alu instid0(VALU_DEP_1) | instskip(NEXT) | instid1(VALU_DEP_1)
	v_add_f32_e32 v27, v28, v25
	v_mul_f32_e32 v29, v27, v27
	s_delay_alu instid0(VALU_DEP_1) | instskip(SKIP_2) | instid1(VALU_DEP_3)
	v_fmaak_f32 v30, s29, v29, 0x3ecc95a3
	v_mul_f32_e32 v31, v27, v29
	v_cmp_eq_f32_e64 s29, 0x7f800000, v26
	v_fmaak_f32 v29, v29, v30, 0x3f2aaada
	v_ldexp_f32 v30, v27, 1
	v_sub_f32_e32 v27, v27, v28
	s_delay_alu instid0(VALU_DEP_4) | instskip(NEXT) | instid1(VALU_DEP_3)
	s_or_b32 s29, s29, s31
	v_mul_f32_e32 v29, v31, v29
	v_mul_f32_e32 v31, 0x3f317218, v24
	s_delay_alu instid0(VALU_DEP_2) | instskip(NEXT) | instid1(VALU_DEP_1)
	v_dual_sub_f32 v25, v25, v27 :: v_dual_add_f32 v28, v30, v29
	v_ldexp_f32 v25, v25, 1
	s_delay_alu instid0(VALU_DEP_2) | instskip(NEXT) | instid1(VALU_DEP_4)
	v_sub_f32_e32 v27, v28, v30
	v_fma_f32 v30, 0x3f317218, v24, -v31
	s_delay_alu instid0(VALU_DEP_1) | instskip(NEXT) | instid1(VALU_DEP_1)
	v_dual_sub_f32 v27, v29, v27 :: v_dual_fmamk_f32 v24, v24, 0xb102e308, v30
	v_add_f32_e32 v25, v25, v27
	s_delay_alu instid0(VALU_DEP_2) | instskip(NEXT) | instid1(VALU_DEP_2)
	v_add_f32_e32 v27, v31, v24
	v_add_f32_e32 v29, v28, v25
	s_delay_alu instid0(VALU_DEP_2) | instskip(NEXT) | instid1(VALU_DEP_2)
	v_sub_f32_e32 v31, v27, v31
	v_add_f32_e32 v30, v27, v29
	v_sub_f32_e32 v28, v29, v28
	s_delay_alu instid0(VALU_DEP_3) | instskip(NEXT) | instid1(VALU_DEP_2)
	v_sub_f32_e32 v24, v24, v31
	v_dual_sub_f32 v32, v30, v27 :: v_dual_sub_f32 v25, v25, v28
	s_delay_alu instid0(VALU_DEP_1) | instskip(NEXT) | instid1(VALU_DEP_2)
	v_sub_f32_e32 v33, v30, v32
	v_dual_sub_f32 v28, v29, v32 :: v_dual_add_f32 v29, v24, v25
	s_delay_alu instid0(VALU_DEP_2) | instskip(NEXT) | instid1(VALU_DEP_1)
	v_sub_f32_e32 v27, v27, v33
	v_dual_add_f32 v27, v28, v27 :: v_dual_sub_f32 v28, v29, v24
	s_delay_alu instid0(VALU_DEP_1) | instskip(NEXT) | instid1(VALU_DEP_2)
	v_add_f32_e32 v27, v29, v27
	v_sub_f32_e32 v29, v29, v28
	v_sub_f32_e32 v25, v25, v28
	s_delay_alu instid0(VALU_DEP_2) | instskip(NEXT) | instid1(VALU_DEP_1)
	v_dual_add_f32 v31, v30, v27 :: v_dual_sub_f32 v24, v24, v29
	v_sub_f32_e32 v28, v31, v30
	s_delay_alu instid0(VALU_DEP_2) | instskip(NEXT) | instid1(VALU_DEP_2)
	v_add_f32_e32 v24, v25, v24
	v_sub_f32_e32 v25, v27, v28
	s_delay_alu instid0(VALU_DEP_1) | instskip(NEXT) | instid1(VALU_DEP_1)
	v_add_f32_e32 v24, v24, v25
	v_add_f32_e32 v24, v31, v24
	s_delay_alu instid0(VALU_DEP_1) | instskip(NEXT) | instid1(VALU_DEP_1)
	v_cndmask_b32_e64 v24, v24, v26, s29
	v_add_f32_e32 v24, v22, v24
.LBB471_58:
	s_or_b32 exec_lo, exec_lo, s30
	s_delay_alu instid0(VALU_DEP_1) | instskip(SKIP_1) | instid1(VALU_DEP_2)
	v_bfe_u32 v22, v24, 16, 1
	v_cmp_o_f32_e64 s29, v24, v24
	v_add3_u32 v22, v24, v22, 0x7fff
	s_delay_alu instid0(VALU_DEP_1) | instskip(NEXT) | instid1(VALU_DEP_1)
	v_and_b32_e32 v22, 0xffff0000, v22
	v_cndmask_b32_e64 v25, 0x7fc00000, v22, s29
	s_delay_alu instid0(VALU_DEP_1) | instskip(NEXT) | instid1(VALU_DEP_1)
	v_dual_max_f32 v22, v25, v25 :: v_dual_and_b32 v11, 0xffff0000, v11
	v_max_f32_e32 v24, v11, v11
	v_cmp_u_f32_e64 s29, v25, v25
	s_delay_alu instid0(VALU_DEP_2) | instskip(SKIP_1) | instid1(VALU_DEP_2)
	v_min_f32_e32 v26, v22, v24
	v_max_f32_e32 v22, v22, v24
	v_cndmask_b32_e64 v26, v26, v25, s29
	s_delay_alu instid0(VALU_DEP_2) | instskip(SKIP_1) | instid1(VALU_DEP_1)
	v_cndmask_b32_e64 v22, v22, v25, s29
	v_cmp_u_f32_e64 s29, v11, v11
	v_cndmask_b32_e64 v26, v26, v11, s29
	s_delay_alu instid0(VALU_DEP_3) | instskip(NEXT) | instid1(VALU_DEP_2)
	v_cndmask_b32_e64 v22, v22, v11, s29
	v_cmp_class_f32_e64 s31, v26, 0x1f8
	s_delay_alu instid0(VALU_DEP_2) | instskip(NEXT) | instid1(VALU_DEP_1)
	v_cmp_neq_f32_e64 s30, v26, v22
	s_or_b32 s30, s30, s31
	s_delay_alu instid0(SALU_CYCLE_1)
	s_and_saveexec_b32 s31, s30
	s_cbranch_execz .LBB471_60
; %bb.59:
	v_sub_f32_e32 v25, v26, v22
	s_delay_alu instid0(VALU_DEP_1) | instskip(SKIP_1) | instid1(VALU_DEP_2)
	v_mul_f32_e32 v26, 0x3fb8aa3b, v25
	v_cmp_ngt_f32_e64 s30, 0xc2ce8ed0, v25
	v_fma_f32 v27, 0x3fb8aa3b, v25, -v26
	v_rndne_f32_e32 v28, v26
	s_delay_alu instid0(VALU_DEP_1) | instskip(NEXT) | instid1(VALU_DEP_1)
	v_dual_fmamk_f32 v27, v25, 0x32a5705f, v27 :: v_dual_sub_f32 v26, v26, v28
	v_add_f32_e32 v26, v26, v27
	v_cvt_i32_f32_e32 v27, v28
	s_delay_alu instid0(VALU_DEP_2) | instskip(SKIP_2) | instid1(VALU_DEP_1)
	v_exp_f32_e32 v26, v26
	s_waitcnt_depctr 0xfff
	v_ldexp_f32 v26, v26, v27
	v_cndmask_b32_e64 v26, 0, v26, s30
	v_cmp_nlt_f32_e64 s30, 0x42b17218, v25
	s_delay_alu instid0(VALU_DEP_1) | instskip(NEXT) | instid1(VALU_DEP_1)
	v_cndmask_b32_e64 v27, 0x7f800000, v26, s30
	v_add_f32_e32 v28, 1.0, v27
	v_cmp_gt_f32_e64 s33, 0x33800000, |v27|
	s_delay_alu instid0(VALU_DEP_2) | instskip(NEXT) | instid1(VALU_DEP_1)
	v_cvt_f64_f32_e32 v[25:26], v28
	v_frexp_exp_i32_f64_e32 v25, v[25:26]
	v_frexp_mant_f32_e32 v26, v28
	s_delay_alu instid0(VALU_DEP_1) | instskip(SKIP_1) | instid1(VALU_DEP_1)
	v_cmp_gt_f32_e64 s30, 0x3f2aaaab, v26
	v_add_f32_e32 v26, -1.0, v28
	v_sub_f32_e32 v30, v26, v28
	v_sub_f32_e32 v26, v27, v26
	s_delay_alu instid0(VALU_DEP_4) | instskip(SKIP_1) | instid1(VALU_DEP_1)
	v_subrev_co_ci_u32_e64 v25, s30, 0, v25, s30
	s_mov_b32 s30, 0x3e9b6dac
	v_sub_nc_u32_e32 v29, 0, v25
	v_cvt_f32_i32_e32 v25, v25
	s_delay_alu instid0(VALU_DEP_2) | instskip(NEXT) | instid1(VALU_DEP_1)
	v_ldexp_f32 v28, v28, v29
	v_dual_add_f32 v31, 1.0, v28 :: v_dual_add_f32 v30, 1.0, v30
	s_delay_alu instid0(VALU_DEP_1) | instskip(NEXT) | instid1(VALU_DEP_2)
	v_add_f32_e32 v26, v26, v30
	v_add_f32_e32 v30, -1.0, v31
	s_delay_alu instid0(VALU_DEP_2) | instskip(NEXT) | instid1(VALU_DEP_2)
	v_ldexp_f32 v26, v26, v29
	v_dual_add_f32 v29, -1.0, v28 :: v_dual_sub_f32 v30, v28, v30
	s_delay_alu instid0(VALU_DEP_1) | instskip(NEXT) | instid1(VALU_DEP_2)
	v_add_f32_e32 v32, 1.0, v29
	v_add_f32_e32 v30, v26, v30
	s_delay_alu instid0(VALU_DEP_2) | instskip(NEXT) | instid1(VALU_DEP_2)
	v_sub_f32_e32 v28, v28, v32
	v_add_f32_e32 v32, v31, v30
	s_delay_alu instid0(VALU_DEP_2) | instskip(NEXT) | instid1(VALU_DEP_2)
	v_add_f32_e32 v26, v26, v28
	v_rcp_f32_e32 v28, v32
	v_sub_f32_e32 v31, v31, v32
	s_delay_alu instid0(VALU_DEP_1) | instskip(NEXT) | instid1(VALU_DEP_1)
	v_dual_add_f32 v33, v29, v26 :: v_dual_add_f32 v30, v30, v31
	v_sub_f32_e32 v29, v29, v33
	s_waitcnt_depctr 0xfff
	v_mul_f32_e32 v34, v33, v28
	s_delay_alu instid0(VALU_DEP_1) | instskip(NEXT) | instid1(VALU_DEP_1)
	v_dual_add_f32 v26, v26, v29 :: v_dual_mul_f32 v35, v32, v34
	v_fma_f32 v31, v34, v32, -v35
	s_delay_alu instid0(VALU_DEP_1) | instskip(NEXT) | instid1(VALU_DEP_1)
	v_fmac_f32_e32 v31, v34, v30
	v_add_f32_e32 v36, v35, v31
	s_delay_alu instid0(VALU_DEP_1) | instskip(SKIP_1) | instid1(VALU_DEP_2)
	v_sub_f32_e32 v37, v33, v36
	v_sub_f32_e32 v29, v36, v35
	;; [unrolled: 1-line block ×3, first 2 shown]
	s_delay_alu instid0(VALU_DEP_2) | instskip(NEXT) | instid1(VALU_DEP_2)
	v_sub_f32_e32 v29, v29, v31
	v_sub_f32_e32 v33, v33, v36
	s_delay_alu instid0(VALU_DEP_1) | instskip(NEXT) | instid1(VALU_DEP_1)
	v_add_f32_e32 v26, v26, v33
	v_add_f32_e32 v26, v29, v26
	s_delay_alu instid0(VALU_DEP_1) | instskip(NEXT) | instid1(VALU_DEP_1)
	v_add_f32_e32 v29, v37, v26
	v_mul_f32_e32 v31, v28, v29
	s_delay_alu instid0(VALU_DEP_1) | instskip(NEXT) | instid1(VALU_DEP_1)
	v_dual_sub_f32 v36, v37, v29 :: v_dual_mul_f32 v33, v32, v31
	v_add_f32_e32 v26, v26, v36
	s_delay_alu instid0(VALU_DEP_2) | instskip(NEXT) | instid1(VALU_DEP_1)
	v_fma_f32 v32, v31, v32, -v33
	v_fmac_f32_e32 v32, v31, v30
	s_delay_alu instid0(VALU_DEP_1) | instskip(NEXT) | instid1(VALU_DEP_1)
	v_add_f32_e32 v30, v33, v32
	v_sub_f32_e32 v35, v29, v30
	v_sub_f32_e32 v33, v30, v33
	s_delay_alu instid0(VALU_DEP_2) | instskip(NEXT) | instid1(VALU_DEP_1)
	v_sub_f32_e32 v29, v29, v35
	v_sub_f32_e32 v29, v29, v30
	s_delay_alu instid0(VALU_DEP_3) | instskip(NEXT) | instid1(VALU_DEP_2)
	v_sub_f32_e32 v30, v33, v32
	v_add_f32_e32 v26, v26, v29
	v_add_f32_e32 v29, v34, v31
	s_delay_alu instid0(VALU_DEP_2) | instskip(NEXT) | instid1(VALU_DEP_2)
	v_add_f32_e32 v26, v30, v26
	v_sub_f32_e32 v30, v29, v34
	s_delay_alu instid0(VALU_DEP_2) | instskip(NEXT) | instid1(VALU_DEP_2)
	v_add_f32_e32 v26, v35, v26
	v_sub_f32_e32 v30, v31, v30
	s_delay_alu instid0(VALU_DEP_2) | instskip(NEXT) | instid1(VALU_DEP_1)
	v_mul_f32_e32 v26, v28, v26
	v_add_f32_e32 v26, v30, v26
	s_delay_alu instid0(VALU_DEP_1) | instskip(NEXT) | instid1(VALU_DEP_1)
	v_add_f32_e32 v28, v29, v26
	v_mul_f32_e32 v30, v28, v28
	s_delay_alu instid0(VALU_DEP_1) | instskip(SKIP_2) | instid1(VALU_DEP_3)
	v_fmaak_f32 v31, s30, v30, 0x3ecc95a3
	v_mul_f32_e32 v32, v28, v30
	v_cmp_eq_f32_e64 s30, 0x7f800000, v27
	v_fmaak_f32 v30, v30, v31, 0x3f2aaada
	v_ldexp_f32 v31, v28, 1
	v_sub_f32_e32 v28, v28, v29
	s_delay_alu instid0(VALU_DEP_4) | instskip(NEXT) | instid1(VALU_DEP_3)
	s_or_b32 s30, s30, s33
	v_mul_f32_e32 v30, v32, v30
	v_mul_f32_e32 v32, 0x3f317218, v25
	s_delay_alu instid0(VALU_DEP_2) | instskip(NEXT) | instid1(VALU_DEP_1)
	v_dual_sub_f32 v26, v26, v28 :: v_dual_add_f32 v29, v31, v30
	v_ldexp_f32 v26, v26, 1
	s_delay_alu instid0(VALU_DEP_2) | instskip(NEXT) | instid1(VALU_DEP_4)
	v_sub_f32_e32 v28, v29, v31
	v_fma_f32 v31, 0x3f317218, v25, -v32
	s_delay_alu instid0(VALU_DEP_1) | instskip(NEXT) | instid1(VALU_DEP_1)
	v_dual_sub_f32 v28, v30, v28 :: v_dual_fmamk_f32 v25, v25, 0xb102e308, v31
	v_add_f32_e32 v26, v26, v28
	s_delay_alu instid0(VALU_DEP_2) | instskip(NEXT) | instid1(VALU_DEP_2)
	v_add_f32_e32 v28, v32, v25
	v_add_f32_e32 v30, v29, v26
	s_delay_alu instid0(VALU_DEP_2) | instskip(NEXT) | instid1(VALU_DEP_2)
	v_sub_f32_e32 v32, v28, v32
	v_add_f32_e32 v31, v28, v30
	v_sub_f32_e32 v29, v30, v29
	s_delay_alu instid0(VALU_DEP_3) | instskip(NEXT) | instid1(VALU_DEP_2)
	v_sub_f32_e32 v25, v25, v32
	v_dual_sub_f32 v33, v31, v28 :: v_dual_sub_f32 v26, v26, v29
	s_delay_alu instid0(VALU_DEP_1) | instskip(NEXT) | instid1(VALU_DEP_2)
	v_sub_f32_e32 v34, v31, v33
	v_dual_sub_f32 v29, v30, v33 :: v_dual_add_f32 v30, v25, v26
	s_delay_alu instid0(VALU_DEP_2) | instskip(NEXT) | instid1(VALU_DEP_1)
	v_sub_f32_e32 v28, v28, v34
	v_dual_add_f32 v28, v29, v28 :: v_dual_sub_f32 v29, v30, v25
	s_delay_alu instid0(VALU_DEP_1) | instskip(NEXT) | instid1(VALU_DEP_2)
	v_add_f32_e32 v28, v30, v28
	v_sub_f32_e32 v30, v30, v29
	v_sub_f32_e32 v26, v26, v29
	s_delay_alu instid0(VALU_DEP_2) | instskip(NEXT) | instid1(VALU_DEP_1)
	v_dual_add_f32 v32, v31, v28 :: v_dual_sub_f32 v25, v25, v30
	v_sub_f32_e32 v29, v32, v31
	s_delay_alu instid0(VALU_DEP_2) | instskip(NEXT) | instid1(VALU_DEP_2)
	v_add_f32_e32 v25, v26, v25
	v_sub_f32_e32 v26, v28, v29
	s_delay_alu instid0(VALU_DEP_1) | instskip(NEXT) | instid1(VALU_DEP_1)
	v_add_f32_e32 v25, v25, v26
	v_add_f32_e32 v25, v32, v25
	s_delay_alu instid0(VALU_DEP_1) | instskip(NEXT) | instid1(VALU_DEP_1)
	v_cndmask_b32_e64 v25, v25, v27, s30
	v_add_f32_e32 v25, v22, v25
.LBB471_60:
	s_or_b32 exec_lo, exec_lo, s31
	s_delay_alu instid0(VALU_DEP_1) | instskip(SKIP_1) | instid1(VALU_DEP_2)
	v_bfe_u32 v22, v25, 16, 1
	v_cmp_o_f32_e64 s30, v25, v25
	v_add3_u32 v22, v25, v22, 0x7fff
	s_delay_alu instid0(VALU_DEP_1) | instskip(NEXT) | instid1(VALU_DEP_1)
	v_and_b32_e32 v26, 0xffff0000, v22
	v_cndmask_b32_e64 v27, 0x7fc00000, v26, s30
	s_delay_alu instid0(VALU_DEP_1) | instskip(SKIP_1) | instid1(VALU_DEP_2)
	v_dual_max_f32 v25, v27, v27 :: v_dual_lshlrev_b32 v22, 16, v8
	v_cmp_u_f32_e64 s30, v27, v27
	v_max_f32_e32 v26, v22, v22
	s_delay_alu instid0(VALU_DEP_1) | instskip(SKIP_1) | instid1(VALU_DEP_2)
	v_min_f32_e32 v28, v25, v26
	v_max_f32_e32 v25, v25, v26
	v_cndmask_b32_e64 v28, v28, v27, s30
	s_delay_alu instid0(VALU_DEP_2) | instskip(SKIP_1) | instid1(VALU_DEP_1)
	v_cndmask_b32_e64 v25, v25, v27, s30
	v_cmp_u_f32_e64 s30, v22, v22
	v_cndmask_b32_e64 v28, v28, v22, s30
	s_delay_alu instid0(VALU_DEP_3) | instskip(NEXT) | instid1(VALU_DEP_2)
	v_cndmask_b32_e64 v25, v25, v22, s30
	v_cmp_class_f32_e64 s33, v28, 0x1f8
	s_delay_alu instid0(VALU_DEP_2) | instskip(NEXT) | instid1(VALU_DEP_1)
	v_cmp_neq_f32_e64 s31, v28, v25
	s_or_b32 s31, s31, s33
	s_delay_alu instid0(SALU_CYCLE_1)
	s_and_saveexec_b32 s33, s31
	s_cbranch_execz .LBB471_62
; %bb.61:
	v_sub_f32_e32 v27, v28, v25
	s_delay_alu instid0(VALU_DEP_1) | instskip(SKIP_1) | instid1(VALU_DEP_2)
	v_mul_f32_e32 v28, 0x3fb8aa3b, v27
	v_cmp_ngt_f32_e64 s31, 0xc2ce8ed0, v27
	v_fma_f32 v29, 0x3fb8aa3b, v27, -v28
	v_rndne_f32_e32 v30, v28
	s_delay_alu instid0(VALU_DEP_1) | instskip(NEXT) | instid1(VALU_DEP_1)
	v_dual_fmamk_f32 v29, v27, 0x32a5705f, v29 :: v_dual_sub_f32 v28, v28, v30
	v_add_f32_e32 v28, v28, v29
	v_cvt_i32_f32_e32 v29, v30
	s_delay_alu instid0(VALU_DEP_2) | instskip(SKIP_2) | instid1(VALU_DEP_1)
	v_exp_f32_e32 v28, v28
	s_waitcnt_depctr 0xfff
	v_ldexp_f32 v28, v28, v29
	v_cndmask_b32_e64 v28, 0, v28, s31
	v_cmp_nlt_f32_e64 s31, 0x42b17218, v27
	s_delay_alu instid0(VALU_DEP_1) | instskip(NEXT) | instid1(VALU_DEP_1)
	v_cndmask_b32_e64 v29, 0x7f800000, v28, s31
	v_add_f32_e32 v30, 1.0, v29
	v_cmp_gt_f32_e64 s34, 0x33800000, |v29|
	s_delay_alu instid0(VALU_DEP_2) | instskip(NEXT) | instid1(VALU_DEP_1)
	v_cvt_f64_f32_e32 v[27:28], v30
	v_frexp_exp_i32_f64_e32 v27, v[27:28]
	v_frexp_mant_f32_e32 v28, v30
	s_delay_alu instid0(VALU_DEP_1) | instskip(SKIP_1) | instid1(VALU_DEP_1)
	v_cmp_gt_f32_e64 s31, 0x3f2aaaab, v28
	v_add_f32_e32 v28, -1.0, v30
	v_sub_f32_e32 v32, v28, v30
	v_sub_f32_e32 v28, v29, v28
	s_delay_alu instid0(VALU_DEP_4) | instskip(SKIP_1) | instid1(VALU_DEP_1)
	v_subrev_co_ci_u32_e64 v27, s31, 0, v27, s31
	s_mov_b32 s31, 0x3e9b6dac
	v_sub_nc_u32_e32 v31, 0, v27
	v_cvt_f32_i32_e32 v27, v27
	s_delay_alu instid0(VALU_DEP_2) | instskip(NEXT) | instid1(VALU_DEP_1)
	v_ldexp_f32 v30, v30, v31
	v_dual_add_f32 v33, 1.0, v30 :: v_dual_add_f32 v32, 1.0, v32
	s_delay_alu instid0(VALU_DEP_1) | instskip(NEXT) | instid1(VALU_DEP_2)
	v_add_f32_e32 v28, v28, v32
	v_add_f32_e32 v32, -1.0, v33
	s_delay_alu instid0(VALU_DEP_2) | instskip(NEXT) | instid1(VALU_DEP_2)
	v_ldexp_f32 v28, v28, v31
	v_dual_add_f32 v31, -1.0, v30 :: v_dual_sub_f32 v32, v30, v32
	s_delay_alu instid0(VALU_DEP_1) | instskip(NEXT) | instid1(VALU_DEP_2)
	v_add_f32_e32 v34, 1.0, v31
	v_add_f32_e32 v32, v28, v32
	s_delay_alu instid0(VALU_DEP_2) | instskip(NEXT) | instid1(VALU_DEP_2)
	v_sub_f32_e32 v30, v30, v34
	v_add_f32_e32 v34, v33, v32
	s_delay_alu instid0(VALU_DEP_2) | instskip(NEXT) | instid1(VALU_DEP_2)
	v_add_f32_e32 v28, v28, v30
	v_rcp_f32_e32 v30, v34
	v_sub_f32_e32 v33, v33, v34
	s_delay_alu instid0(VALU_DEP_1) | instskip(NEXT) | instid1(VALU_DEP_1)
	v_dual_add_f32 v35, v31, v28 :: v_dual_add_f32 v32, v32, v33
	v_sub_f32_e32 v31, v31, v35
	s_waitcnt_depctr 0xfff
	v_mul_f32_e32 v36, v35, v30
	s_delay_alu instid0(VALU_DEP_1) | instskip(NEXT) | instid1(VALU_DEP_1)
	v_dual_add_f32 v28, v28, v31 :: v_dual_mul_f32 v37, v34, v36
	v_fma_f32 v33, v36, v34, -v37
	s_delay_alu instid0(VALU_DEP_1) | instskip(NEXT) | instid1(VALU_DEP_1)
	v_fmac_f32_e32 v33, v36, v32
	v_add_f32_e32 v38, v37, v33
	s_delay_alu instid0(VALU_DEP_1) | instskip(SKIP_1) | instid1(VALU_DEP_2)
	v_sub_f32_e32 v39, v35, v38
	v_sub_f32_e32 v31, v38, v37
	;; [unrolled: 1-line block ×3, first 2 shown]
	s_delay_alu instid0(VALU_DEP_2) | instskip(NEXT) | instid1(VALU_DEP_2)
	v_sub_f32_e32 v31, v31, v33
	v_sub_f32_e32 v35, v35, v38
	s_delay_alu instid0(VALU_DEP_1) | instskip(NEXT) | instid1(VALU_DEP_1)
	v_add_f32_e32 v28, v28, v35
	v_add_f32_e32 v28, v31, v28
	s_delay_alu instid0(VALU_DEP_1) | instskip(NEXT) | instid1(VALU_DEP_1)
	v_add_f32_e32 v31, v39, v28
	v_mul_f32_e32 v33, v30, v31
	s_delay_alu instid0(VALU_DEP_1) | instskip(NEXT) | instid1(VALU_DEP_1)
	v_dual_sub_f32 v38, v39, v31 :: v_dual_mul_f32 v35, v34, v33
	v_add_f32_e32 v28, v28, v38
	s_delay_alu instid0(VALU_DEP_2) | instskip(NEXT) | instid1(VALU_DEP_1)
	v_fma_f32 v34, v33, v34, -v35
	v_fmac_f32_e32 v34, v33, v32
	s_delay_alu instid0(VALU_DEP_1) | instskip(NEXT) | instid1(VALU_DEP_1)
	v_add_f32_e32 v32, v35, v34
	v_sub_f32_e32 v37, v31, v32
	v_sub_f32_e32 v35, v32, v35
	s_delay_alu instid0(VALU_DEP_2) | instskip(NEXT) | instid1(VALU_DEP_1)
	v_sub_f32_e32 v31, v31, v37
	v_sub_f32_e32 v31, v31, v32
	s_delay_alu instid0(VALU_DEP_3) | instskip(NEXT) | instid1(VALU_DEP_2)
	v_sub_f32_e32 v32, v35, v34
	v_add_f32_e32 v28, v28, v31
	v_add_f32_e32 v31, v36, v33
	s_delay_alu instid0(VALU_DEP_2) | instskip(NEXT) | instid1(VALU_DEP_2)
	v_add_f32_e32 v28, v32, v28
	v_sub_f32_e32 v32, v31, v36
	s_delay_alu instid0(VALU_DEP_2) | instskip(NEXT) | instid1(VALU_DEP_2)
	v_add_f32_e32 v28, v37, v28
	v_sub_f32_e32 v32, v33, v32
	s_delay_alu instid0(VALU_DEP_2) | instskip(NEXT) | instid1(VALU_DEP_1)
	v_mul_f32_e32 v28, v30, v28
	v_add_f32_e32 v28, v32, v28
	s_delay_alu instid0(VALU_DEP_1) | instskip(NEXT) | instid1(VALU_DEP_1)
	v_add_f32_e32 v30, v31, v28
	v_mul_f32_e32 v32, v30, v30
	s_delay_alu instid0(VALU_DEP_1) | instskip(SKIP_2) | instid1(VALU_DEP_3)
	v_fmaak_f32 v33, s31, v32, 0x3ecc95a3
	v_mul_f32_e32 v34, v30, v32
	v_cmp_eq_f32_e64 s31, 0x7f800000, v29
	v_fmaak_f32 v32, v32, v33, 0x3f2aaada
	v_ldexp_f32 v33, v30, 1
	v_sub_f32_e32 v30, v30, v31
	s_delay_alu instid0(VALU_DEP_4) | instskip(NEXT) | instid1(VALU_DEP_3)
	s_or_b32 s31, s31, s34
	v_mul_f32_e32 v32, v34, v32
	v_mul_f32_e32 v34, 0x3f317218, v27
	s_delay_alu instid0(VALU_DEP_2) | instskip(NEXT) | instid1(VALU_DEP_1)
	v_dual_sub_f32 v28, v28, v30 :: v_dual_add_f32 v31, v33, v32
	v_ldexp_f32 v28, v28, 1
	s_delay_alu instid0(VALU_DEP_2) | instskip(NEXT) | instid1(VALU_DEP_4)
	v_sub_f32_e32 v30, v31, v33
	v_fma_f32 v33, 0x3f317218, v27, -v34
	s_delay_alu instid0(VALU_DEP_1) | instskip(NEXT) | instid1(VALU_DEP_1)
	v_dual_sub_f32 v30, v32, v30 :: v_dual_fmamk_f32 v27, v27, 0xb102e308, v33
	v_add_f32_e32 v28, v28, v30
	s_delay_alu instid0(VALU_DEP_2) | instskip(NEXT) | instid1(VALU_DEP_2)
	v_add_f32_e32 v30, v34, v27
	v_add_f32_e32 v32, v31, v28
	s_delay_alu instid0(VALU_DEP_2) | instskip(NEXT) | instid1(VALU_DEP_2)
	v_sub_f32_e32 v34, v30, v34
	v_add_f32_e32 v33, v30, v32
	v_sub_f32_e32 v31, v32, v31
	s_delay_alu instid0(VALU_DEP_3) | instskip(NEXT) | instid1(VALU_DEP_2)
	v_sub_f32_e32 v27, v27, v34
	v_dual_sub_f32 v35, v33, v30 :: v_dual_sub_f32 v28, v28, v31
	s_delay_alu instid0(VALU_DEP_1) | instskip(NEXT) | instid1(VALU_DEP_2)
	v_sub_f32_e32 v36, v33, v35
	v_dual_sub_f32 v31, v32, v35 :: v_dual_add_f32 v32, v27, v28
	s_delay_alu instid0(VALU_DEP_2) | instskip(NEXT) | instid1(VALU_DEP_1)
	v_sub_f32_e32 v30, v30, v36
	v_dual_add_f32 v30, v31, v30 :: v_dual_sub_f32 v31, v32, v27
	s_delay_alu instid0(VALU_DEP_1) | instskip(NEXT) | instid1(VALU_DEP_2)
	v_add_f32_e32 v30, v32, v30
	v_sub_f32_e32 v32, v32, v31
	v_sub_f32_e32 v28, v28, v31
	s_delay_alu instid0(VALU_DEP_2) | instskip(NEXT) | instid1(VALU_DEP_1)
	v_dual_add_f32 v34, v33, v30 :: v_dual_sub_f32 v27, v27, v32
	v_sub_f32_e32 v31, v34, v33
	s_delay_alu instid0(VALU_DEP_2) | instskip(NEXT) | instid1(VALU_DEP_2)
	v_add_f32_e32 v27, v28, v27
	v_sub_f32_e32 v28, v30, v31
	s_delay_alu instid0(VALU_DEP_1) | instskip(NEXT) | instid1(VALU_DEP_1)
	v_add_f32_e32 v27, v27, v28
	v_add_f32_e32 v27, v34, v27
	s_delay_alu instid0(VALU_DEP_1) | instskip(NEXT) | instid1(VALU_DEP_1)
	v_cndmask_b32_e64 v27, v27, v29, s31
	v_add_f32_e32 v27, v25, v27
.LBB471_62:
	s_or_b32 exec_lo, exec_lo, s33
	s_delay_alu instid0(VALU_DEP_1) | instskip(SKIP_1) | instid1(VALU_DEP_2)
	v_bfe_u32 v25, v27, 16, 1
	v_cmp_o_f32_e64 s31, v27, v27
	v_add3_u32 v25, v27, v25, 0x7fff
	s_delay_alu instid0(VALU_DEP_1) | instskip(NEXT) | instid1(VALU_DEP_1)
	v_and_b32_e32 v25, 0xffff0000, v25
	v_cndmask_b32_e64 v28, 0x7fc00000, v25, s31
	s_delay_alu instid0(VALU_DEP_1) | instskip(SKIP_2) | instid1(VALU_DEP_2)
	v_max_f32_e32 v25, v28, v28
	v_and_b32_e32 v8, 0xffff0000, v8
	v_cmp_u_f32_e64 s31, v28, v28
	v_max_f32_e32 v27, v8, v8
	s_delay_alu instid0(VALU_DEP_1) | instskip(SKIP_1) | instid1(VALU_DEP_2)
	v_min_f32_e32 v29, v25, v27
	v_max_f32_e32 v25, v25, v27
	v_cndmask_b32_e64 v29, v29, v28, s31
	s_delay_alu instid0(VALU_DEP_2) | instskip(SKIP_1) | instid1(VALU_DEP_1)
	v_cndmask_b32_e64 v25, v25, v28, s31
	v_cmp_u_f32_e64 s31, v8, v8
	v_cndmask_b32_e64 v29, v29, v8, s31
	s_delay_alu instid0(VALU_DEP_3) | instskip(NEXT) | instid1(VALU_DEP_2)
	v_cndmask_b32_e64 v25, v25, v8, s31
	v_cmp_class_f32_e64 s34, v29, 0x1f8
	s_delay_alu instid0(VALU_DEP_2) | instskip(NEXT) | instid1(VALU_DEP_1)
	v_cmp_neq_f32_e64 s33, v29, v25
	s_or_b32 s33, s33, s34
	s_delay_alu instid0(SALU_CYCLE_1)
	s_and_saveexec_b32 s34, s33
	s_cbranch_execz .LBB471_64
; %bb.63:
	v_sub_f32_e32 v28, v29, v25
	s_delay_alu instid0(VALU_DEP_1) | instskip(SKIP_1) | instid1(VALU_DEP_2)
	v_mul_f32_e32 v29, 0x3fb8aa3b, v28
	v_cmp_ngt_f32_e64 s33, 0xc2ce8ed0, v28
	v_fma_f32 v30, 0x3fb8aa3b, v28, -v29
	v_rndne_f32_e32 v31, v29
	s_delay_alu instid0(VALU_DEP_1) | instskip(NEXT) | instid1(VALU_DEP_1)
	v_dual_fmamk_f32 v30, v28, 0x32a5705f, v30 :: v_dual_sub_f32 v29, v29, v31
	v_add_f32_e32 v29, v29, v30
	v_cvt_i32_f32_e32 v30, v31
	s_delay_alu instid0(VALU_DEP_2) | instskip(SKIP_2) | instid1(VALU_DEP_1)
	v_exp_f32_e32 v29, v29
	s_waitcnt_depctr 0xfff
	v_ldexp_f32 v29, v29, v30
	v_cndmask_b32_e64 v29, 0, v29, s33
	v_cmp_nlt_f32_e64 s33, 0x42b17218, v28
	s_delay_alu instid0(VALU_DEP_1) | instskip(NEXT) | instid1(VALU_DEP_1)
	v_cndmask_b32_e64 v30, 0x7f800000, v29, s33
	v_add_f32_e32 v31, 1.0, v30
	v_cmp_gt_f32_e64 s35, 0x33800000, |v30|
	s_delay_alu instid0(VALU_DEP_2) | instskip(NEXT) | instid1(VALU_DEP_1)
	v_cvt_f64_f32_e32 v[28:29], v31
	v_frexp_exp_i32_f64_e32 v28, v[28:29]
	v_frexp_mant_f32_e32 v29, v31
	s_delay_alu instid0(VALU_DEP_1) | instskip(SKIP_1) | instid1(VALU_DEP_1)
	v_cmp_gt_f32_e64 s33, 0x3f2aaaab, v29
	v_add_f32_e32 v29, -1.0, v31
	v_sub_f32_e32 v33, v29, v31
	v_sub_f32_e32 v29, v30, v29
	s_delay_alu instid0(VALU_DEP_4) | instskip(SKIP_1) | instid1(VALU_DEP_1)
	v_subrev_co_ci_u32_e64 v28, s33, 0, v28, s33
	s_mov_b32 s33, 0x3e9b6dac
	v_sub_nc_u32_e32 v32, 0, v28
	v_cvt_f32_i32_e32 v28, v28
	s_delay_alu instid0(VALU_DEP_2) | instskip(NEXT) | instid1(VALU_DEP_1)
	v_ldexp_f32 v31, v31, v32
	v_dual_add_f32 v34, 1.0, v31 :: v_dual_add_f32 v33, 1.0, v33
	s_delay_alu instid0(VALU_DEP_1) | instskip(NEXT) | instid1(VALU_DEP_2)
	v_add_f32_e32 v29, v29, v33
	v_add_f32_e32 v33, -1.0, v34
	s_delay_alu instid0(VALU_DEP_2) | instskip(NEXT) | instid1(VALU_DEP_2)
	v_ldexp_f32 v29, v29, v32
	v_dual_add_f32 v32, -1.0, v31 :: v_dual_sub_f32 v33, v31, v33
	s_delay_alu instid0(VALU_DEP_1) | instskip(NEXT) | instid1(VALU_DEP_2)
	v_add_f32_e32 v35, 1.0, v32
	v_add_f32_e32 v33, v29, v33
	s_delay_alu instid0(VALU_DEP_2) | instskip(NEXT) | instid1(VALU_DEP_2)
	v_sub_f32_e32 v31, v31, v35
	v_add_f32_e32 v35, v34, v33
	s_delay_alu instid0(VALU_DEP_2) | instskip(NEXT) | instid1(VALU_DEP_2)
	v_add_f32_e32 v29, v29, v31
	v_rcp_f32_e32 v31, v35
	v_sub_f32_e32 v34, v34, v35
	s_delay_alu instid0(VALU_DEP_1) | instskip(NEXT) | instid1(VALU_DEP_1)
	v_dual_add_f32 v36, v32, v29 :: v_dual_add_f32 v33, v33, v34
	v_sub_f32_e32 v32, v32, v36
	s_waitcnt_depctr 0xfff
	v_mul_f32_e32 v37, v36, v31
	s_delay_alu instid0(VALU_DEP_1) | instskip(NEXT) | instid1(VALU_DEP_1)
	v_dual_add_f32 v29, v29, v32 :: v_dual_mul_f32 v38, v35, v37
	v_fma_f32 v34, v37, v35, -v38
	s_delay_alu instid0(VALU_DEP_1) | instskip(NEXT) | instid1(VALU_DEP_1)
	v_fmac_f32_e32 v34, v37, v33
	v_add_f32_e32 v39, v38, v34
	s_delay_alu instid0(VALU_DEP_1) | instskip(SKIP_1) | instid1(VALU_DEP_2)
	v_sub_f32_e32 v40, v36, v39
	v_sub_f32_e32 v32, v39, v38
	;; [unrolled: 1-line block ×3, first 2 shown]
	s_delay_alu instid0(VALU_DEP_2) | instskip(NEXT) | instid1(VALU_DEP_2)
	v_sub_f32_e32 v32, v32, v34
	v_sub_f32_e32 v36, v36, v39
	s_delay_alu instid0(VALU_DEP_1) | instskip(NEXT) | instid1(VALU_DEP_1)
	v_add_f32_e32 v29, v29, v36
	v_add_f32_e32 v29, v32, v29
	s_delay_alu instid0(VALU_DEP_1) | instskip(NEXT) | instid1(VALU_DEP_1)
	v_add_f32_e32 v32, v40, v29
	v_mul_f32_e32 v34, v31, v32
	s_delay_alu instid0(VALU_DEP_1) | instskip(NEXT) | instid1(VALU_DEP_1)
	v_dual_sub_f32 v39, v40, v32 :: v_dual_mul_f32 v36, v35, v34
	v_add_f32_e32 v29, v29, v39
	s_delay_alu instid0(VALU_DEP_2) | instskip(NEXT) | instid1(VALU_DEP_1)
	v_fma_f32 v35, v34, v35, -v36
	v_fmac_f32_e32 v35, v34, v33
	s_delay_alu instid0(VALU_DEP_1) | instskip(NEXT) | instid1(VALU_DEP_1)
	v_add_f32_e32 v33, v36, v35
	v_sub_f32_e32 v38, v32, v33
	v_sub_f32_e32 v36, v33, v36
	s_delay_alu instid0(VALU_DEP_2) | instskip(NEXT) | instid1(VALU_DEP_1)
	v_sub_f32_e32 v32, v32, v38
	v_sub_f32_e32 v32, v32, v33
	s_delay_alu instid0(VALU_DEP_3) | instskip(NEXT) | instid1(VALU_DEP_2)
	v_sub_f32_e32 v33, v36, v35
	v_add_f32_e32 v29, v29, v32
	v_add_f32_e32 v32, v37, v34
	s_delay_alu instid0(VALU_DEP_2) | instskip(NEXT) | instid1(VALU_DEP_2)
	v_add_f32_e32 v29, v33, v29
	v_sub_f32_e32 v33, v32, v37
	s_delay_alu instid0(VALU_DEP_2) | instskip(NEXT) | instid1(VALU_DEP_2)
	v_add_f32_e32 v29, v38, v29
	v_sub_f32_e32 v33, v34, v33
	s_delay_alu instid0(VALU_DEP_2) | instskip(NEXT) | instid1(VALU_DEP_1)
	v_mul_f32_e32 v29, v31, v29
	v_add_f32_e32 v29, v33, v29
	s_delay_alu instid0(VALU_DEP_1) | instskip(NEXT) | instid1(VALU_DEP_1)
	v_add_f32_e32 v31, v32, v29
	v_mul_f32_e32 v33, v31, v31
	s_delay_alu instid0(VALU_DEP_1) | instskip(SKIP_2) | instid1(VALU_DEP_3)
	v_fmaak_f32 v34, s33, v33, 0x3ecc95a3
	v_mul_f32_e32 v35, v31, v33
	v_cmp_eq_f32_e64 s33, 0x7f800000, v30
	v_fmaak_f32 v33, v33, v34, 0x3f2aaada
	v_ldexp_f32 v34, v31, 1
	v_sub_f32_e32 v31, v31, v32
	s_delay_alu instid0(VALU_DEP_4) | instskip(NEXT) | instid1(VALU_DEP_3)
	s_or_b32 s33, s33, s35
	v_mul_f32_e32 v33, v35, v33
	v_mul_f32_e32 v35, 0x3f317218, v28
	s_delay_alu instid0(VALU_DEP_2) | instskip(NEXT) | instid1(VALU_DEP_1)
	v_dual_sub_f32 v29, v29, v31 :: v_dual_add_f32 v32, v34, v33
	v_ldexp_f32 v29, v29, 1
	s_delay_alu instid0(VALU_DEP_2) | instskip(NEXT) | instid1(VALU_DEP_4)
	v_sub_f32_e32 v31, v32, v34
	v_fma_f32 v34, 0x3f317218, v28, -v35
	s_delay_alu instid0(VALU_DEP_1) | instskip(NEXT) | instid1(VALU_DEP_1)
	v_dual_sub_f32 v31, v33, v31 :: v_dual_fmamk_f32 v28, v28, 0xb102e308, v34
	v_add_f32_e32 v29, v29, v31
	s_delay_alu instid0(VALU_DEP_2) | instskip(NEXT) | instid1(VALU_DEP_2)
	v_add_f32_e32 v31, v35, v28
	v_add_f32_e32 v33, v32, v29
	s_delay_alu instid0(VALU_DEP_2) | instskip(NEXT) | instid1(VALU_DEP_2)
	v_sub_f32_e32 v35, v31, v35
	v_add_f32_e32 v34, v31, v33
	v_sub_f32_e32 v32, v33, v32
	s_delay_alu instid0(VALU_DEP_3) | instskip(NEXT) | instid1(VALU_DEP_2)
	v_sub_f32_e32 v28, v28, v35
	v_dual_sub_f32 v36, v34, v31 :: v_dual_sub_f32 v29, v29, v32
	s_delay_alu instid0(VALU_DEP_1) | instskip(NEXT) | instid1(VALU_DEP_2)
	v_sub_f32_e32 v37, v34, v36
	v_dual_sub_f32 v32, v33, v36 :: v_dual_add_f32 v33, v28, v29
	s_delay_alu instid0(VALU_DEP_2) | instskip(NEXT) | instid1(VALU_DEP_1)
	v_sub_f32_e32 v31, v31, v37
	v_dual_add_f32 v31, v32, v31 :: v_dual_sub_f32 v32, v33, v28
	s_delay_alu instid0(VALU_DEP_1) | instskip(NEXT) | instid1(VALU_DEP_2)
	v_add_f32_e32 v31, v33, v31
	v_sub_f32_e32 v33, v33, v32
	v_sub_f32_e32 v29, v29, v32
	s_delay_alu instid0(VALU_DEP_2) | instskip(NEXT) | instid1(VALU_DEP_1)
	v_dual_add_f32 v35, v34, v31 :: v_dual_sub_f32 v28, v28, v33
	v_sub_f32_e32 v32, v35, v34
	s_delay_alu instid0(VALU_DEP_2) | instskip(NEXT) | instid1(VALU_DEP_2)
	v_add_f32_e32 v28, v29, v28
	v_sub_f32_e32 v29, v31, v32
	s_delay_alu instid0(VALU_DEP_1) | instskip(NEXT) | instid1(VALU_DEP_1)
	v_add_f32_e32 v28, v28, v29
	v_add_f32_e32 v28, v35, v28
	s_delay_alu instid0(VALU_DEP_1) | instskip(NEXT) | instid1(VALU_DEP_1)
	v_cndmask_b32_e64 v28, v28, v30, s33
	v_add_f32_e32 v28, v25, v28
.LBB471_64:
	s_or_b32 exec_lo, exec_lo, s34
	s_delay_alu instid0(VALU_DEP_1) | instskip(SKIP_1) | instid1(VALU_DEP_2)
	v_bfe_u32 v25, v28, 16, 1
	v_cmp_o_f32_e64 s33, v28, v28
	v_add3_u32 v25, v28, v25, 0x7fff
	s_delay_alu instid0(VALU_DEP_1) | instskip(SKIP_1) | instid1(VALU_DEP_2)
	v_and_b32_e32 v29, 0xffff0000, v25
	v_lshlrev_b32_e32 v25, 16, v9
	v_cndmask_b32_e64 v30, 0x7fc00000, v29, s33
	s_delay_alu instid0(VALU_DEP_1) | instskip(SKIP_1) | instid1(VALU_DEP_2)
	v_dual_max_f32 v29, v25, v25 :: v_dual_max_f32 v28, v30, v30
	v_cmp_u_f32_e64 s33, v30, v30
	v_min_f32_e32 v31, v28, v29
	v_max_f32_e32 v28, v28, v29
	s_delay_alu instid0(VALU_DEP_2) | instskip(NEXT) | instid1(VALU_DEP_2)
	v_cndmask_b32_e64 v31, v31, v30, s33
	v_cndmask_b32_e64 v28, v28, v30, s33
	v_cmp_u_f32_e64 s33, v25, v25
	s_delay_alu instid0(VALU_DEP_1) | instskip(NEXT) | instid1(VALU_DEP_3)
	v_cndmask_b32_e64 v31, v31, v25, s33
	v_cndmask_b32_e64 v28, v28, v25, s33
	s_delay_alu instid0(VALU_DEP_2) | instskip(NEXT) | instid1(VALU_DEP_2)
	v_cmp_class_f32_e64 s35, v31, 0x1f8
	v_cmp_neq_f32_e64 s34, v31, v28
	s_delay_alu instid0(VALU_DEP_1) | instskip(NEXT) | instid1(SALU_CYCLE_1)
	s_or_b32 s34, s34, s35
	s_and_saveexec_b32 s35, s34
	s_cbranch_execz .LBB471_66
; %bb.65:
	v_sub_f32_e32 v30, v31, v28
	s_delay_alu instid0(VALU_DEP_1) | instskip(SKIP_1) | instid1(VALU_DEP_2)
	v_mul_f32_e32 v31, 0x3fb8aa3b, v30
	v_cmp_ngt_f32_e64 s34, 0xc2ce8ed0, v30
	v_fma_f32 v32, 0x3fb8aa3b, v30, -v31
	v_rndne_f32_e32 v33, v31
	s_delay_alu instid0(VALU_DEP_1) | instskip(NEXT) | instid1(VALU_DEP_1)
	v_dual_fmamk_f32 v32, v30, 0x32a5705f, v32 :: v_dual_sub_f32 v31, v31, v33
	v_add_f32_e32 v31, v31, v32
	v_cvt_i32_f32_e32 v32, v33
	s_delay_alu instid0(VALU_DEP_2) | instskip(SKIP_2) | instid1(VALU_DEP_1)
	v_exp_f32_e32 v31, v31
	s_waitcnt_depctr 0xfff
	v_ldexp_f32 v31, v31, v32
	v_cndmask_b32_e64 v31, 0, v31, s34
	v_cmp_nlt_f32_e64 s34, 0x42b17218, v30
	s_delay_alu instid0(VALU_DEP_1) | instskip(NEXT) | instid1(VALU_DEP_1)
	v_cndmask_b32_e64 v32, 0x7f800000, v31, s34
	v_add_f32_e32 v33, 1.0, v32
	v_cmp_gt_f32_e64 s36, 0x33800000, |v32|
	s_delay_alu instid0(VALU_DEP_2) | instskip(NEXT) | instid1(VALU_DEP_1)
	v_cvt_f64_f32_e32 v[30:31], v33
	v_frexp_exp_i32_f64_e32 v30, v[30:31]
	v_frexp_mant_f32_e32 v31, v33
	s_delay_alu instid0(VALU_DEP_1) | instskip(SKIP_1) | instid1(VALU_DEP_1)
	v_cmp_gt_f32_e64 s34, 0x3f2aaaab, v31
	v_add_f32_e32 v31, -1.0, v33
	v_sub_f32_e32 v35, v31, v33
	v_sub_f32_e32 v31, v32, v31
	s_delay_alu instid0(VALU_DEP_4) | instskip(SKIP_1) | instid1(VALU_DEP_1)
	v_subrev_co_ci_u32_e64 v30, s34, 0, v30, s34
	s_mov_b32 s34, 0x3e9b6dac
	v_sub_nc_u32_e32 v34, 0, v30
	v_cvt_f32_i32_e32 v30, v30
	s_delay_alu instid0(VALU_DEP_2) | instskip(NEXT) | instid1(VALU_DEP_1)
	v_ldexp_f32 v33, v33, v34
	v_dual_add_f32 v36, 1.0, v33 :: v_dual_add_f32 v35, 1.0, v35
	s_delay_alu instid0(VALU_DEP_1) | instskip(NEXT) | instid1(VALU_DEP_2)
	v_add_f32_e32 v31, v31, v35
	v_add_f32_e32 v35, -1.0, v36
	s_delay_alu instid0(VALU_DEP_2) | instskip(NEXT) | instid1(VALU_DEP_2)
	v_ldexp_f32 v31, v31, v34
	v_dual_add_f32 v34, -1.0, v33 :: v_dual_sub_f32 v35, v33, v35
	s_delay_alu instid0(VALU_DEP_1) | instskip(NEXT) | instid1(VALU_DEP_2)
	v_add_f32_e32 v37, 1.0, v34
	v_add_f32_e32 v35, v31, v35
	s_delay_alu instid0(VALU_DEP_2) | instskip(NEXT) | instid1(VALU_DEP_2)
	v_sub_f32_e32 v33, v33, v37
	v_add_f32_e32 v37, v36, v35
	s_delay_alu instid0(VALU_DEP_2) | instskip(NEXT) | instid1(VALU_DEP_2)
	v_add_f32_e32 v31, v31, v33
	v_rcp_f32_e32 v33, v37
	v_sub_f32_e32 v36, v36, v37
	s_delay_alu instid0(VALU_DEP_1) | instskip(NEXT) | instid1(VALU_DEP_1)
	v_dual_add_f32 v38, v34, v31 :: v_dual_add_f32 v35, v35, v36
	v_sub_f32_e32 v34, v34, v38
	s_waitcnt_depctr 0xfff
	v_mul_f32_e32 v39, v38, v33
	s_delay_alu instid0(VALU_DEP_1) | instskip(NEXT) | instid1(VALU_DEP_1)
	v_dual_add_f32 v31, v31, v34 :: v_dual_mul_f32 v40, v37, v39
	v_fma_f32 v36, v39, v37, -v40
	s_delay_alu instid0(VALU_DEP_1) | instskip(NEXT) | instid1(VALU_DEP_1)
	v_fmac_f32_e32 v36, v39, v35
	v_add_f32_e32 v41, v40, v36
	s_delay_alu instid0(VALU_DEP_1) | instskip(NEXT) | instid1(VALU_DEP_1)
	v_dual_sub_f32 v43, v38, v41 :: v_dual_sub_f32 v34, v41, v40
	v_sub_f32_e32 v38, v38, v43
	s_delay_alu instid0(VALU_DEP_2) | instskip(NEXT) | instid1(VALU_DEP_2)
	v_sub_f32_e32 v34, v34, v36
	v_sub_f32_e32 v38, v38, v41
	s_delay_alu instid0(VALU_DEP_1) | instskip(NEXT) | instid1(VALU_DEP_1)
	v_add_f32_e32 v31, v31, v38
	v_add_f32_e32 v31, v34, v31
	s_delay_alu instid0(VALU_DEP_1) | instskip(NEXT) | instid1(VALU_DEP_1)
	v_add_f32_e32 v34, v43, v31
	v_mul_f32_e32 v36, v33, v34
	s_delay_alu instid0(VALU_DEP_1) | instskip(NEXT) | instid1(VALU_DEP_1)
	v_dual_sub_f32 v41, v43, v34 :: v_dual_mul_f32 v38, v37, v36
	v_add_f32_e32 v31, v31, v41
	s_delay_alu instid0(VALU_DEP_2) | instskip(NEXT) | instid1(VALU_DEP_1)
	v_fma_f32 v37, v36, v37, -v38
	v_fmac_f32_e32 v37, v36, v35
	s_delay_alu instid0(VALU_DEP_1) | instskip(NEXT) | instid1(VALU_DEP_1)
	v_add_f32_e32 v35, v38, v37
	v_sub_f32_e32 v40, v34, v35
	v_sub_f32_e32 v38, v35, v38
	s_delay_alu instid0(VALU_DEP_2) | instskip(NEXT) | instid1(VALU_DEP_1)
	v_sub_f32_e32 v34, v34, v40
	v_sub_f32_e32 v34, v34, v35
	s_delay_alu instid0(VALU_DEP_3) | instskip(NEXT) | instid1(VALU_DEP_2)
	v_sub_f32_e32 v35, v38, v37
	v_add_f32_e32 v31, v31, v34
	v_add_f32_e32 v34, v39, v36
	s_delay_alu instid0(VALU_DEP_2) | instskip(NEXT) | instid1(VALU_DEP_2)
	v_add_f32_e32 v31, v35, v31
	v_sub_f32_e32 v35, v34, v39
	s_delay_alu instid0(VALU_DEP_2) | instskip(NEXT) | instid1(VALU_DEP_2)
	v_add_f32_e32 v31, v40, v31
	v_sub_f32_e32 v35, v36, v35
	s_delay_alu instid0(VALU_DEP_2) | instskip(NEXT) | instid1(VALU_DEP_1)
	v_mul_f32_e32 v31, v33, v31
	v_add_f32_e32 v31, v35, v31
	s_delay_alu instid0(VALU_DEP_1) | instskip(NEXT) | instid1(VALU_DEP_1)
	v_add_f32_e32 v33, v34, v31
	v_mul_f32_e32 v35, v33, v33
	s_delay_alu instid0(VALU_DEP_1) | instskip(SKIP_2) | instid1(VALU_DEP_3)
	v_fmaak_f32 v36, s34, v35, 0x3ecc95a3
	v_mul_f32_e32 v37, v33, v35
	v_cmp_eq_f32_e64 s34, 0x7f800000, v32
	v_fmaak_f32 v35, v35, v36, 0x3f2aaada
	v_ldexp_f32 v36, v33, 1
	v_sub_f32_e32 v33, v33, v34
	s_delay_alu instid0(VALU_DEP_4) | instskip(NEXT) | instid1(VALU_DEP_3)
	s_or_b32 s34, s34, s36
	v_mul_f32_e32 v35, v37, v35
	v_mul_f32_e32 v37, 0x3f317218, v30
	s_delay_alu instid0(VALU_DEP_2) | instskip(NEXT) | instid1(VALU_DEP_1)
	v_dual_sub_f32 v31, v31, v33 :: v_dual_add_f32 v34, v36, v35
	v_ldexp_f32 v31, v31, 1
	s_delay_alu instid0(VALU_DEP_2) | instskip(NEXT) | instid1(VALU_DEP_4)
	v_sub_f32_e32 v33, v34, v36
	v_fma_f32 v36, 0x3f317218, v30, -v37
	s_delay_alu instid0(VALU_DEP_1) | instskip(NEXT) | instid1(VALU_DEP_1)
	v_dual_sub_f32 v33, v35, v33 :: v_dual_fmamk_f32 v30, v30, 0xb102e308, v36
	v_add_f32_e32 v31, v31, v33
	s_delay_alu instid0(VALU_DEP_2) | instskip(NEXT) | instid1(VALU_DEP_2)
	v_add_f32_e32 v33, v37, v30
	v_add_f32_e32 v35, v34, v31
	s_delay_alu instid0(VALU_DEP_2) | instskip(NEXT) | instid1(VALU_DEP_2)
	v_sub_f32_e32 v37, v33, v37
	v_add_f32_e32 v36, v33, v35
	v_sub_f32_e32 v34, v35, v34
	s_delay_alu instid0(VALU_DEP_3) | instskip(NEXT) | instid1(VALU_DEP_2)
	v_sub_f32_e32 v30, v30, v37
	v_dual_sub_f32 v38, v36, v33 :: v_dual_sub_f32 v31, v31, v34
	s_delay_alu instid0(VALU_DEP_1) | instskip(NEXT) | instid1(VALU_DEP_2)
	v_sub_f32_e32 v39, v36, v38
	v_dual_sub_f32 v34, v35, v38 :: v_dual_add_f32 v35, v30, v31
	s_delay_alu instid0(VALU_DEP_2) | instskip(NEXT) | instid1(VALU_DEP_1)
	v_sub_f32_e32 v33, v33, v39
	v_dual_add_f32 v33, v34, v33 :: v_dual_sub_f32 v34, v35, v30
	s_delay_alu instid0(VALU_DEP_1) | instskip(NEXT) | instid1(VALU_DEP_2)
	v_add_f32_e32 v33, v35, v33
	v_sub_f32_e32 v35, v35, v34
	v_sub_f32_e32 v31, v31, v34
	s_delay_alu instid0(VALU_DEP_2) | instskip(NEXT) | instid1(VALU_DEP_1)
	v_dual_add_f32 v37, v36, v33 :: v_dual_sub_f32 v30, v30, v35
	v_sub_f32_e32 v34, v37, v36
	s_delay_alu instid0(VALU_DEP_2) | instskip(NEXT) | instid1(VALU_DEP_2)
	v_add_f32_e32 v30, v31, v30
	v_sub_f32_e32 v31, v33, v34
	s_delay_alu instid0(VALU_DEP_1) | instskip(NEXT) | instid1(VALU_DEP_1)
	v_add_f32_e32 v30, v30, v31
	v_add_f32_e32 v30, v37, v30
	s_delay_alu instid0(VALU_DEP_1) | instskip(NEXT) | instid1(VALU_DEP_1)
	v_cndmask_b32_e64 v30, v30, v32, s34
	v_add_f32_e32 v30, v28, v30
.LBB471_66:
	s_or_b32 exec_lo, exec_lo, s35
	s_delay_alu instid0(VALU_DEP_1) | instskip(SKIP_1) | instid1(VALU_DEP_2)
	v_bfe_u32 v28, v30, 16, 1
	v_cmp_o_f32_e64 s34, v30, v30
	v_add3_u32 v28, v30, v28, 0x7fff
	s_delay_alu instid0(VALU_DEP_1) | instskip(NEXT) | instid1(VALU_DEP_1)
	v_and_b32_e32 v28, 0xffff0000, v28
	v_cndmask_b32_e64 v31, 0x7fc00000, v28, s34
	s_delay_alu instid0(VALU_DEP_1) | instskip(NEXT) | instid1(VALU_DEP_1)
	v_dual_max_f32 v28, v31, v31 :: v_dual_and_b32 v9, 0xffff0000, v9
	v_max_f32_e32 v30, v9, v9
	v_cmp_u_f32_e64 s34, v31, v31
	s_delay_alu instid0(VALU_DEP_2) | instskip(SKIP_1) | instid1(VALU_DEP_2)
	v_min_f32_e32 v32, v28, v30
	v_max_f32_e32 v28, v28, v30
	v_cndmask_b32_e64 v32, v32, v31, s34
	s_delay_alu instid0(VALU_DEP_2) | instskip(SKIP_1) | instid1(VALU_DEP_1)
	v_cndmask_b32_e64 v28, v28, v31, s34
	v_cmp_u_f32_e64 s34, v9, v9
	v_cndmask_b32_e64 v32, v32, v9, s34
	s_delay_alu instid0(VALU_DEP_3) | instskip(NEXT) | instid1(VALU_DEP_2)
	v_cndmask_b32_e64 v28, v28, v9, s34
	v_cmp_class_f32_e64 s36, v32, 0x1f8
	s_delay_alu instid0(VALU_DEP_2) | instskip(NEXT) | instid1(VALU_DEP_1)
	v_cmp_neq_f32_e64 s35, v32, v28
	s_or_b32 s35, s35, s36
	s_delay_alu instid0(SALU_CYCLE_1)
	s_and_saveexec_b32 s36, s35
	s_cbranch_execz .LBB471_68
; %bb.67:
	v_sub_f32_e32 v31, v32, v28
	s_delay_alu instid0(VALU_DEP_1) | instskip(SKIP_1) | instid1(VALU_DEP_2)
	v_mul_f32_e32 v32, 0x3fb8aa3b, v31
	v_cmp_ngt_f32_e64 s35, 0xc2ce8ed0, v31
	v_fma_f32 v33, 0x3fb8aa3b, v31, -v32
	v_rndne_f32_e32 v34, v32
	s_delay_alu instid0(VALU_DEP_1) | instskip(NEXT) | instid1(VALU_DEP_1)
	v_dual_fmamk_f32 v33, v31, 0x32a5705f, v33 :: v_dual_sub_f32 v32, v32, v34
	v_add_f32_e32 v32, v32, v33
	v_cvt_i32_f32_e32 v33, v34
	s_delay_alu instid0(VALU_DEP_2) | instskip(SKIP_2) | instid1(VALU_DEP_1)
	v_exp_f32_e32 v32, v32
	s_waitcnt_depctr 0xfff
	v_ldexp_f32 v32, v32, v33
	v_cndmask_b32_e64 v32, 0, v32, s35
	v_cmp_nlt_f32_e64 s35, 0x42b17218, v31
	s_delay_alu instid0(VALU_DEP_1) | instskip(NEXT) | instid1(VALU_DEP_1)
	v_cndmask_b32_e64 v33, 0x7f800000, v32, s35
	v_add_f32_e32 v34, 1.0, v33
	v_cmp_gt_f32_e64 s37, 0x33800000, |v33|
	s_delay_alu instid0(VALU_DEP_2) | instskip(NEXT) | instid1(VALU_DEP_1)
	v_cvt_f64_f32_e32 v[31:32], v34
	v_frexp_exp_i32_f64_e32 v31, v[31:32]
	v_frexp_mant_f32_e32 v32, v34
	s_delay_alu instid0(VALU_DEP_1) | instskip(SKIP_1) | instid1(VALU_DEP_1)
	v_cmp_gt_f32_e64 s35, 0x3f2aaaab, v32
	v_add_f32_e32 v32, -1.0, v34
	v_sub_f32_e32 v36, v32, v34
	v_sub_f32_e32 v32, v33, v32
	s_delay_alu instid0(VALU_DEP_4) | instskip(SKIP_1) | instid1(VALU_DEP_1)
	v_subrev_co_ci_u32_e64 v31, s35, 0, v31, s35
	s_mov_b32 s35, 0x3e9b6dac
	v_sub_nc_u32_e32 v35, 0, v31
	v_cvt_f32_i32_e32 v31, v31
	s_delay_alu instid0(VALU_DEP_2) | instskip(NEXT) | instid1(VALU_DEP_1)
	v_ldexp_f32 v34, v34, v35
	v_dual_add_f32 v37, 1.0, v34 :: v_dual_add_f32 v36, 1.0, v36
	s_delay_alu instid0(VALU_DEP_1) | instskip(NEXT) | instid1(VALU_DEP_2)
	v_add_f32_e32 v32, v32, v36
	v_add_f32_e32 v36, -1.0, v37
	s_delay_alu instid0(VALU_DEP_2) | instskip(NEXT) | instid1(VALU_DEP_2)
	v_ldexp_f32 v32, v32, v35
	v_dual_add_f32 v35, -1.0, v34 :: v_dual_sub_f32 v36, v34, v36
	s_delay_alu instid0(VALU_DEP_1) | instskip(NEXT) | instid1(VALU_DEP_2)
	v_add_f32_e32 v38, 1.0, v35
	v_add_f32_e32 v36, v32, v36
	s_delay_alu instid0(VALU_DEP_2) | instskip(NEXT) | instid1(VALU_DEP_2)
	v_sub_f32_e32 v34, v34, v38
	v_add_f32_e32 v38, v37, v36
	s_delay_alu instid0(VALU_DEP_2) | instskip(NEXT) | instid1(VALU_DEP_2)
	v_add_f32_e32 v32, v32, v34
	v_rcp_f32_e32 v34, v38
	v_sub_f32_e32 v37, v37, v38
	s_delay_alu instid0(VALU_DEP_1) | instskip(NEXT) | instid1(VALU_DEP_1)
	v_dual_add_f32 v39, v35, v32 :: v_dual_add_f32 v36, v36, v37
	v_sub_f32_e32 v35, v35, v39
	s_waitcnt_depctr 0xfff
	v_mul_f32_e32 v40, v39, v34
	s_delay_alu instid0(VALU_DEP_1) | instskip(NEXT) | instid1(VALU_DEP_1)
	v_dual_add_f32 v32, v32, v35 :: v_dual_mul_f32 v41, v38, v40
	v_fma_f32 v37, v40, v38, -v41
	s_delay_alu instid0(VALU_DEP_1) | instskip(NEXT) | instid1(VALU_DEP_1)
	v_fmac_f32_e32 v37, v40, v36
	v_add_f32_e32 v43, v41, v37
	s_delay_alu instid0(VALU_DEP_1) | instskip(SKIP_1) | instid1(VALU_DEP_2)
	v_sub_f32_e32 v44, v39, v43
	v_sub_f32_e32 v35, v43, v41
	;; [unrolled: 1-line block ×3, first 2 shown]
	s_delay_alu instid0(VALU_DEP_2) | instskip(NEXT) | instid1(VALU_DEP_2)
	v_sub_f32_e32 v35, v35, v37
	v_sub_f32_e32 v39, v39, v43
	s_delay_alu instid0(VALU_DEP_1) | instskip(NEXT) | instid1(VALU_DEP_1)
	v_add_f32_e32 v32, v32, v39
	v_add_f32_e32 v32, v35, v32
	s_delay_alu instid0(VALU_DEP_1) | instskip(NEXT) | instid1(VALU_DEP_1)
	v_add_f32_e32 v35, v44, v32
	v_sub_f32_e32 v43, v44, v35
	v_mul_f32_e32 v37, v34, v35
	s_delay_alu instid0(VALU_DEP_1) | instskip(NEXT) | instid1(VALU_DEP_1)
	v_mul_f32_e32 v39, v38, v37
	v_fma_f32 v38, v37, v38, -v39
	s_delay_alu instid0(VALU_DEP_1) | instskip(NEXT) | instid1(VALU_DEP_1)
	v_fmac_f32_e32 v38, v37, v36
	v_add_f32_e32 v36, v39, v38
	s_delay_alu instid0(VALU_DEP_1) | instskip(SKIP_1) | instid1(VALU_DEP_2)
	v_sub_f32_e32 v41, v35, v36
	v_sub_f32_e32 v39, v36, v39
	v_dual_sub_f32 v35, v35, v41 :: v_dual_add_f32 v32, v32, v43
	s_delay_alu instid0(VALU_DEP_1) | instskip(NEXT) | instid1(VALU_DEP_3)
	v_sub_f32_e32 v35, v35, v36
	v_sub_f32_e32 v36, v39, v38
	s_delay_alu instid0(VALU_DEP_2) | instskip(SKIP_1) | instid1(VALU_DEP_2)
	v_add_f32_e32 v32, v32, v35
	v_add_f32_e32 v35, v40, v37
	v_add_f32_e32 v32, v36, v32
	s_delay_alu instid0(VALU_DEP_2) | instskip(NEXT) | instid1(VALU_DEP_2)
	v_sub_f32_e32 v36, v35, v40
	v_add_f32_e32 v32, v41, v32
	s_delay_alu instid0(VALU_DEP_2) | instskip(NEXT) | instid1(VALU_DEP_2)
	v_sub_f32_e32 v36, v37, v36
	v_mul_f32_e32 v32, v34, v32
	s_delay_alu instid0(VALU_DEP_1) | instskip(NEXT) | instid1(VALU_DEP_1)
	v_add_f32_e32 v32, v36, v32
	v_add_f32_e32 v34, v35, v32
	s_delay_alu instid0(VALU_DEP_1) | instskip(NEXT) | instid1(VALU_DEP_1)
	v_mul_f32_e32 v36, v34, v34
	v_fmaak_f32 v37, s35, v36, 0x3ecc95a3
	v_mul_f32_e32 v38, v34, v36
	v_cmp_eq_f32_e64 s35, 0x7f800000, v33
	s_delay_alu instid0(VALU_DEP_3) | instskip(SKIP_1) | instid1(VALU_DEP_3)
	v_fmaak_f32 v36, v36, v37, 0x3f2aaada
	v_ldexp_f32 v37, v34, 1
	s_or_b32 s35, s35, s37
	s_delay_alu instid0(VALU_DEP_2) | instskip(NEXT) | instid1(VALU_DEP_1)
	v_mul_f32_e32 v36, v38, v36
	v_dual_sub_f32 v34, v34, v35 :: v_dual_add_f32 v35, v37, v36
	s_delay_alu instid0(VALU_DEP_1) | instskip(NEXT) | instid1(VALU_DEP_2)
	v_sub_f32_e32 v32, v32, v34
	v_sub_f32_e32 v34, v35, v37
	s_delay_alu instid0(VALU_DEP_2) | instskip(NEXT) | instid1(VALU_DEP_2)
	v_ldexp_f32 v32, v32, 1
	v_sub_f32_e32 v34, v36, v34
	s_delay_alu instid0(VALU_DEP_1) | instskip(NEXT) | instid1(VALU_DEP_1)
	v_add_f32_e32 v32, v32, v34
	v_add_f32_e32 v36, v35, v32
	v_mul_f32_e32 v38, 0x3f317218, v31
	s_delay_alu instid0(VALU_DEP_2) | instskip(NEXT) | instid1(VALU_DEP_2)
	v_sub_f32_e32 v35, v36, v35
	v_fma_f32 v37, 0x3f317218, v31, -v38
	s_delay_alu instid0(VALU_DEP_1) | instskip(NEXT) | instid1(VALU_DEP_1)
	v_dual_sub_f32 v32, v32, v35 :: v_dual_fmamk_f32 v31, v31, 0xb102e308, v37
	v_add_f32_e32 v34, v38, v31
	s_delay_alu instid0(VALU_DEP_1) | instskip(SKIP_1) | instid1(VALU_DEP_2)
	v_add_f32_e32 v37, v34, v36
	v_sub_f32_e32 v38, v34, v38
	v_sub_f32_e32 v39, v37, v34
	s_delay_alu instid0(VALU_DEP_1) | instskip(NEXT) | instid1(VALU_DEP_1)
	v_dual_sub_f32 v31, v31, v38 :: v_dual_sub_f32 v40, v37, v39
	v_dual_sub_f32 v35, v36, v39 :: v_dual_add_f32 v36, v31, v32
	s_delay_alu instid0(VALU_DEP_2) | instskip(NEXT) | instid1(VALU_DEP_1)
	v_sub_f32_e32 v34, v34, v40
	v_dual_add_f32 v34, v35, v34 :: v_dual_sub_f32 v35, v36, v31
	s_delay_alu instid0(VALU_DEP_1) | instskip(NEXT) | instid1(VALU_DEP_2)
	v_add_f32_e32 v34, v36, v34
	v_sub_f32_e32 v36, v36, v35
	v_sub_f32_e32 v32, v32, v35
	s_delay_alu instid0(VALU_DEP_2) | instskip(NEXT) | instid1(VALU_DEP_1)
	v_dual_add_f32 v38, v37, v34 :: v_dual_sub_f32 v31, v31, v36
	v_sub_f32_e32 v35, v38, v37
	s_delay_alu instid0(VALU_DEP_2) | instskip(NEXT) | instid1(VALU_DEP_2)
	v_add_f32_e32 v31, v32, v31
	v_sub_f32_e32 v32, v34, v35
	s_delay_alu instid0(VALU_DEP_1) | instskip(NEXT) | instid1(VALU_DEP_1)
	v_add_f32_e32 v31, v31, v32
	v_add_f32_e32 v31, v38, v31
	s_delay_alu instid0(VALU_DEP_1) | instskip(NEXT) | instid1(VALU_DEP_1)
	v_cndmask_b32_e64 v31, v31, v33, s35
	v_add_f32_e32 v31, v28, v31
.LBB471_68:
	s_or_b32 exec_lo, exec_lo, s36
	s_delay_alu instid0(VALU_DEP_1) | instskip(SKIP_1) | instid1(VALU_DEP_2)
	v_bfe_u32 v28, v31, 16, 1
	v_cmp_o_f32_e64 s35, v31, v31
	v_add3_u32 v28, v31, v28, 0x7fff
	s_delay_alu instid0(VALU_DEP_1) | instskip(NEXT) | instid1(VALU_DEP_1)
	v_and_b32_e32 v32, 0xffff0000, v28
	v_cndmask_b32_e64 v33, 0x7fc00000, v32, s35
	s_delay_alu instid0(VALU_DEP_1) | instskip(SKIP_1) | instid1(VALU_DEP_2)
	v_dual_max_f32 v31, v33, v33 :: v_dual_lshlrev_b32 v28, 16, v6
	v_cmp_u_f32_e64 s35, v33, v33
	v_max_f32_e32 v32, v28, v28
	s_delay_alu instid0(VALU_DEP_1) | instskip(SKIP_1) | instid1(VALU_DEP_2)
	v_min_f32_e32 v34, v31, v32
	v_max_f32_e32 v31, v31, v32
	v_cndmask_b32_e64 v34, v34, v33, s35
	s_delay_alu instid0(VALU_DEP_2) | instskip(SKIP_1) | instid1(VALU_DEP_1)
	v_cndmask_b32_e64 v31, v31, v33, s35
	v_cmp_u_f32_e64 s35, v28, v28
	v_cndmask_b32_e64 v34, v34, v28, s35
	s_delay_alu instid0(VALU_DEP_3) | instskip(NEXT) | instid1(VALU_DEP_2)
	v_cndmask_b32_e64 v31, v31, v28, s35
	v_cmp_class_f32_e64 s37, v34, 0x1f8
	s_delay_alu instid0(VALU_DEP_2) | instskip(NEXT) | instid1(VALU_DEP_1)
	v_cmp_neq_f32_e64 s36, v34, v31
	s_or_b32 s36, s36, s37
	s_delay_alu instid0(SALU_CYCLE_1)
	s_and_saveexec_b32 s37, s36
	s_cbranch_execz .LBB471_70
; %bb.69:
	v_sub_f32_e32 v33, v34, v31
	s_delay_alu instid0(VALU_DEP_1) | instskip(SKIP_1) | instid1(VALU_DEP_2)
	v_mul_f32_e32 v34, 0x3fb8aa3b, v33
	v_cmp_ngt_f32_e64 s36, 0xc2ce8ed0, v33
	v_fma_f32 v35, 0x3fb8aa3b, v33, -v34
	v_rndne_f32_e32 v36, v34
	s_delay_alu instid0(VALU_DEP_1) | instskip(NEXT) | instid1(VALU_DEP_1)
	v_dual_fmamk_f32 v35, v33, 0x32a5705f, v35 :: v_dual_sub_f32 v34, v34, v36
	v_add_f32_e32 v34, v34, v35
	v_cvt_i32_f32_e32 v35, v36
	s_delay_alu instid0(VALU_DEP_2) | instskip(SKIP_2) | instid1(VALU_DEP_1)
	v_exp_f32_e32 v34, v34
	s_waitcnt_depctr 0xfff
	v_ldexp_f32 v34, v34, v35
	v_cndmask_b32_e64 v34, 0, v34, s36
	v_cmp_nlt_f32_e64 s36, 0x42b17218, v33
	s_delay_alu instid0(VALU_DEP_1) | instskip(NEXT) | instid1(VALU_DEP_1)
	v_cndmask_b32_e64 v35, 0x7f800000, v34, s36
	v_add_f32_e32 v36, 1.0, v35
	v_cmp_gt_f32_e64 s38, 0x33800000, |v35|
	s_delay_alu instid0(VALU_DEP_2) | instskip(NEXT) | instid1(VALU_DEP_1)
	v_cvt_f64_f32_e32 v[33:34], v36
	v_frexp_exp_i32_f64_e32 v33, v[33:34]
	v_frexp_mant_f32_e32 v34, v36
	s_delay_alu instid0(VALU_DEP_1) | instskip(SKIP_1) | instid1(VALU_DEP_1)
	v_cmp_gt_f32_e64 s36, 0x3f2aaaab, v34
	v_add_f32_e32 v34, -1.0, v36
	v_sub_f32_e32 v38, v34, v36
	v_sub_f32_e32 v34, v35, v34
	s_delay_alu instid0(VALU_DEP_4) | instskip(SKIP_1) | instid1(VALU_DEP_1)
	v_subrev_co_ci_u32_e64 v33, s36, 0, v33, s36
	s_mov_b32 s36, 0x3e9b6dac
	v_sub_nc_u32_e32 v37, 0, v33
	v_cvt_f32_i32_e32 v33, v33
	s_delay_alu instid0(VALU_DEP_2) | instskip(NEXT) | instid1(VALU_DEP_1)
	v_ldexp_f32 v36, v36, v37
	v_dual_add_f32 v39, 1.0, v36 :: v_dual_add_f32 v38, 1.0, v38
	s_delay_alu instid0(VALU_DEP_1) | instskip(NEXT) | instid1(VALU_DEP_2)
	v_add_f32_e32 v34, v34, v38
	v_add_f32_e32 v38, -1.0, v39
	s_delay_alu instid0(VALU_DEP_2) | instskip(NEXT) | instid1(VALU_DEP_2)
	v_ldexp_f32 v34, v34, v37
	v_dual_add_f32 v37, -1.0, v36 :: v_dual_sub_f32 v38, v36, v38
	s_delay_alu instid0(VALU_DEP_1) | instskip(NEXT) | instid1(VALU_DEP_2)
	v_add_f32_e32 v40, 1.0, v37
	v_add_f32_e32 v38, v34, v38
	s_delay_alu instid0(VALU_DEP_2) | instskip(NEXT) | instid1(VALU_DEP_2)
	v_sub_f32_e32 v36, v36, v40
	v_add_f32_e32 v40, v39, v38
	s_delay_alu instid0(VALU_DEP_2) | instskip(NEXT) | instid1(VALU_DEP_2)
	v_add_f32_e32 v34, v34, v36
	v_rcp_f32_e32 v36, v40
	v_sub_f32_e32 v39, v39, v40
	s_delay_alu instid0(VALU_DEP_1) | instskip(NEXT) | instid1(VALU_DEP_1)
	v_dual_add_f32 v41, v37, v34 :: v_dual_add_f32 v38, v38, v39
	v_sub_f32_e32 v37, v37, v41
	s_waitcnt_depctr 0xfff
	v_dual_mul_f32 v43, v41, v36 :: v_dual_add_f32 v34, v34, v37
	s_delay_alu instid0(VALU_DEP_1) | instskip(NEXT) | instid1(VALU_DEP_1)
	v_mul_f32_e32 v44, v40, v43
	v_fma_f32 v39, v43, v40, -v44
	s_delay_alu instid0(VALU_DEP_1) | instskip(NEXT) | instid1(VALU_DEP_1)
	v_fmac_f32_e32 v39, v43, v38
	v_add_f32_e32 v45, v44, v39
	s_delay_alu instid0(VALU_DEP_1) | instskip(SKIP_1) | instid1(VALU_DEP_2)
	v_sub_f32_e32 v50, v41, v45
	v_sub_f32_e32 v37, v45, v44
	;; [unrolled: 1-line block ×3, first 2 shown]
	s_delay_alu instid0(VALU_DEP_2) | instskip(NEXT) | instid1(VALU_DEP_2)
	v_sub_f32_e32 v37, v37, v39
	v_sub_f32_e32 v41, v41, v45
	s_delay_alu instid0(VALU_DEP_1) | instskip(NEXT) | instid1(VALU_DEP_1)
	v_add_f32_e32 v34, v34, v41
	v_add_f32_e32 v34, v37, v34
	s_delay_alu instid0(VALU_DEP_1) | instskip(NEXT) | instid1(VALU_DEP_1)
	v_add_f32_e32 v37, v50, v34
	v_sub_f32_e32 v45, v50, v37
	v_mul_f32_e32 v39, v36, v37
	s_delay_alu instid0(VALU_DEP_1) | instskip(NEXT) | instid1(VALU_DEP_1)
	v_dual_add_f32 v34, v34, v45 :: v_dual_mul_f32 v41, v40, v39
	v_fma_f32 v40, v39, v40, -v41
	s_delay_alu instid0(VALU_DEP_1) | instskip(NEXT) | instid1(VALU_DEP_1)
	v_fmac_f32_e32 v40, v39, v38
	v_add_f32_e32 v38, v41, v40
	s_delay_alu instid0(VALU_DEP_1) | instskip(NEXT) | instid1(VALU_DEP_1)
	v_dual_sub_f32 v44, v37, v38 :: v_dual_sub_f32 v41, v38, v41
	v_sub_f32_e32 v37, v37, v44
	s_delay_alu instid0(VALU_DEP_1) | instskip(NEXT) | instid1(VALU_DEP_3)
	v_sub_f32_e32 v37, v37, v38
	v_sub_f32_e32 v38, v41, v40
	s_delay_alu instid0(VALU_DEP_2) | instskip(NEXT) | instid1(VALU_DEP_1)
	v_dual_add_f32 v34, v34, v37 :: v_dual_add_f32 v37, v43, v39
	v_add_f32_e32 v34, v38, v34
	s_delay_alu instid0(VALU_DEP_2) | instskip(NEXT) | instid1(VALU_DEP_2)
	v_sub_f32_e32 v38, v37, v43
	v_add_f32_e32 v34, v44, v34
	s_delay_alu instid0(VALU_DEP_2) | instskip(NEXT) | instid1(VALU_DEP_2)
	v_sub_f32_e32 v38, v39, v38
	v_mul_f32_e32 v34, v36, v34
	s_delay_alu instid0(VALU_DEP_1) | instskip(NEXT) | instid1(VALU_DEP_1)
	v_add_f32_e32 v34, v38, v34
	v_add_f32_e32 v36, v37, v34
	s_delay_alu instid0(VALU_DEP_1) | instskip(NEXT) | instid1(VALU_DEP_1)
	v_mul_f32_e32 v38, v36, v36
	v_fmaak_f32 v39, s36, v38, 0x3ecc95a3
	v_mul_f32_e32 v40, v36, v38
	v_cmp_eq_f32_e64 s36, 0x7f800000, v35
	s_delay_alu instid0(VALU_DEP_3) | instskip(SKIP_2) | instid1(VALU_DEP_4)
	v_fmaak_f32 v38, v38, v39, 0x3f2aaada
	v_ldexp_f32 v39, v36, 1
	v_sub_f32_e32 v36, v36, v37
	s_or_b32 s36, s36, s38
	s_delay_alu instid0(VALU_DEP_3) | instskip(NEXT) | instid1(VALU_DEP_1)
	v_mul_f32_e32 v38, v40, v38
	v_dual_sub_f32 v34, v34, v36 :: v_dual_add_f32 v37, v39, v38
	s_delay_alu instid0(VALU_DEP_1) | instskip(NEXT) | instid1(VALU_DEP_2)
	v_ldexp_f32 v34, v34, 1
	v_sub_f32_e32 v36, v37, v39
	s_delay_alu instid0(VALU_DEP_1) | instskip(NEXT) | instid1(VALU_DEP_1)
	v_sub_f32_e32 v36, v38, v36
	v_add_f32_e32 v34, v34, v36
	s_delay_alu instid0(VALU_DEP_1) | instskip(SKIP_1) | instid1(VALU_DEP_2)
	v_add_f32_e32 v38, v37, v34
	v_mul_f32_e32 v40, 0x3f317218, v33
	v_sub_f32_e32 v37, v38, v37
	s_delay_alu instid0(VALU_DEP_2) | instskip(NEXT) | instid1(VALU_DEP_1)
	v_fma_f32 v39, 0x3f317218, v33, -v40
	v_dual_sub_f32 v34, v34, v37 :: v_dual_fmamk_f32 v33, v33, 0xb102e308, v39
	s_delay_alu instid0(VALU_DEP_1) | instskip(NEXT) | instid1(VALU_DEP_1)
	v_add_f32_e32 v36, v40, v33
	v_add_f32_e32 v39, v36, v38
	v_sub_f32_e32 v40, v36, v40
	s_delay_alu instid0(VALU_DEP_2) | instskip(NEXT) | instid1(VALU_DEP_2)
	v_sub_f32_e32 v41, v39, v36
	v_sub_f32_e32 v33, v33, v40
	s_delay_alu instid0(VALU_DEP_2) | instskip(NEXT) | instid1(VALU_DEP_2)
	v_sub_f32_e32 v43, v39, v41
	v_dual_sub_f32 v37, v38, v41 :: v_dual_add_f32 v38, v33, v34
	s_delay_alu instid0(VALU_DEP_2) | instskip(NEXT) | instid1(VALU_DEP_1)
	v_sub_f32_e32 v36, v36, v43
	v_dual_add_f32 v36, v37, v36 :: v_dual_sub_f32 v37, v38, v33
	s_delay_alu instid0(VALU_DEP_1) | instskip(NEXT) | instid1(VALU_DEP_2)
	v_add_f32_e32 v36, v38, v36
	v_sub_f32_e32 v38, v38, v37
	v_sub_f32_e32 v34, v34, v37
	s_delay_alu instid0(VALU_DEP_2) | instskip(NEXT) | instid1(VALU_DEP_1)
	v_dual_add_f32 v40, v39, v36 :: v_dual_sub_f32 v33, v33, v38
	v_sub_f32_e32 v37, v40, v39
	s_delay_alu instid0(VALU_DEP_2) | instskip(NEXT) | instid1(VALU_DEP_2)
	v_add_f32_e32 v33, v34, v33
	v_sub_f32_e32 v34, v36, v37
	s_delay_alu instid0(VALU_DEP_1) | instskip(NEXT) | instid1(VALU_DEP_1)
	v_add_f32_e32 v33, v33, v34
	v_add_f32_e32 v33, v40, v33
	s_delay_alu instid0(VALU_DEP_1) | instskip(NEXT) | instid1(VALU_DEP_1)
	v_cndmask_b32_e64 v33, v33, v35, s36
	v_add_f32_e32 v33, v31, v33
.LBB471_70:
	s_or_b32 exec_lo, exec_lo, s37
	s_delay_alu instid0(VALU_DEP_1) | instskip(SKIP_1) | instid1(VALU_DEP_2)
	v_bfe_u32 v31, v33, 16, 1
	v_cmp_o_f32_e64 s36, v33, v33
	v_add3_u32 v31, v33, v31, 0x7fff
	s_delay_alu instid0(VALU_DEP_1) | instskip(NEXT) | instid1(VALU_DEP_1)
	v_and_b32_e32 v31, 0xffff0000, v31
	v_cndmask_b32_e64 v34, 0x7fc00000, v31, s36
	s_delay_alu instid0(VALU_DEP_1) | instskip(SKIP_2) | instid1(VALU_DEP_2)
	v_max_f32_e32 v31, v34, v34
	v_and_b32_e32 v6, 0xffff0000, v6
	v_cmp_u_f32_e64 s36, v34, v34
	v_max_f32_e32 v33, v6, v6
	s_delay_alu instid0(VALU_DEP_1) | instskip(SKIP_1) | instid1(VALU_DEP_2)
	v_min_f32_e32 v35, v31, v33
	v_max_f32_e32 v31, v31, v33
	v_cndmask_b32_e64 v35, v35, v34, s36
	s_delay_alu instid0(VALU_DEP_2) | instskip(SKIP_1) | instid1(VALU_DEP_1)
	v_cndmask_b32_e64 v31, v31, v34, s36
	v_cmp_u_f32_e64 s36, v6, v6
	v_cndmask_b32_e64 v35, v35, v6, s36
	s_delay_alu instid0(VALU_DEP_3) | instskip(NEXT) | instid1(VALU_DEP_2)
	v_cndmask_b32_e64 v31, v31, v6, s36
	v_cmp_class_f32_e64 s38, v35, 0x1f8
	s_delay_alu instid0(VALU_DEP_2) | instskip(NEXT) | instid1(VALU_DEP_1)
	v_cmp_neq_f32_e64 s37, v35, v31
	s_or_b32 s37, s37, s38
	s_delay_alu instid0(SALU_CYCLE_1)
	s_and_saveexec_b32 s38, s37
	s_cbranch_execz .LBB471_72
; %bb.71:
	v_sub_f32_e32 v34, v35, v31
	s_delay_alu instid0(VALU_DEP_1) | instskip(SKIP_1) | instid1(VALU_DEP_2)
	v_mul_f32_e32 v35, 0x3fb8aa3b, v34
	v_cmp_ngt_f32_e64 s37, 0xc2ce8ed0, v34
	v_fma_f32 v36, 0x3fb8aa3b, v34, -v35
	v_rndne_f32_e32 v37, v35
	s_delay_alu instid0(VALU_DEP_1) | instskip(NEXT) | instid1(VALU_DEP_1)
	v_dual_fmamk_f32 v36, v34, 0x32a5705f, v36 :: v_dual_sub_f32 v35, v35, v37
	v_add_f32_e32 v35, v35, v36
	v_cvt_i32_f32_e32 v36, v37
	s_delay_alu instid0(VALU_DEP_2) | instskip(SKIP_2) | instid1(VALU_DEP_1)
	v_exp_f32_e32 v35, v35
	s_waitcnt_depctr 0xfff
	v_ldexp_f32 v35, v35, v36
	v_cndmask_b32_e64 v35, 0, v35, s37
	v_cmp_nlt_f32_e64 s37, 0x42b17218, v34
	s_delay_alu instid0(VALU_DEP_1) | instskip(NEXT) | instid1(VALU_DEP_1)
	v_cndmask_b32_e64 v36, 0x7f800000, v35, s37
	v_add_f32_e32 v37, 1.0, v36
	v_cmp_gt_f32_e64 s39, 0x33800000, |v36|
	s_delay_alu instid0(VALU_DEP_2) | instskip(NEXT) | instid1(VALU_DEP_1)
	v_cvt_f64_f32_e32 v[34:35], v37
	v_frexp_exp_i32_f64_e32 v34, v[34:35]
	v_frexp_mant_f32_e32 v35, v37
	s_delay_alu instid0(VALU_DEP_1) | instskip(SKIP_1) | instid1(VALU_DEP_1)
	v_cmp_gt_f32_e64 s37, 0x3f2aaaab, v35
	v_add_f32_e32 v35, -1.0, v37
	v_sub_f32_e32 v39, v35, v37
	v_sub_f32_e32 v35, v36, v35
	s_delay_alu instid0(VALU_DEP_4) | instskip(SKIP_1) | instid1(VALU_DEP_1)
	v_subrev_co_ci_u32_e64 v34, s37, 0, v34, s37
	s_mov_b32 s37, 0x3e9b6dac
	v_sub_nc_u32_e32 v38, 0, v34
	v_cvt_f32_i32_e32 v34, v34
	s_delay_alu instid0(VALU_DEP_2) | instskip(NEXT) | instid1(VALU_DEP_1)
	v_ldexp_f32 v37, v37, v38
	v_dual_add_f32 v40, 1.0, v37 :: v_dual_add_f32 v39, 1.0, v39
	s_delay_alu instid0(VALU_DEP_1) | instskip(NEXT) | instid1(VALU_DEP_1)
	v_add_f32_e32 v35, v35, v39
	v_ldexp_f32 v35, v35, v38
	s_delay_alu instid0(VALU_DEP_3) | instskip(NEXT) | instid1(VALU_DEP_1)
	v_dual_add_f32 v38, -1.0, v37 :: v_dual_add_f32 v39, -1.0, v40
	v_add_f32_e32 v41, 1.0, v38
	s_delay_alu instid0(VALU_DEP_2) | instskip(NEXT) | instid1(VALU_DEP_2)
	v_sub_f32_e32 v39, v37, v39
	v_sub_f32_e32 v37, v37, v41
	s_delay_alu instid0(VALU_DEP_2) | instskip(NEXT) | instid1(VALU_DEP_2)
	v_add_f32_e32 v39, v35, v39
	v_add_f32_e32 v35, v35, v37
	s_delay_alu instid0(VALU_DEP_2) | instskip(NEXT) | instid1(VALU_DEP_2)
	v_add_f32_e32 v41, v40, v39
	v_add_f32_e32 v43, v38, v35
	s_delay_alu instid0(VALU_DEP_2) | instskip(SKIP_1) | instid1(VALU_DEP_1)
	v_rcp_f32_e32 v37, v41
	v_sub_f32_e32 v40, v40, v41
	v_dual_sub_f32 v38, v38, v43 :: v_dual_add_f32 v39, v39, v40
	s_delay_alu instid0(VALU_DEP_1) | instskip(SKIP_2) | instid1(VALU_DEP_1)
	v_add_f32_e32 v35, v35, v38
	s_waitcnt_depctr 0xfff
	v_mul_f32_e32 v44, v43, v37
	v_mul_f32_e32 v45, v41, v44
	s_delay_alu instid0(VALU_DEP_1) | instskip(NEXT) | instid1(VALU_DEP_1)
	v_fma_f32 v40, v44, v41, -v45
	v_fmac_f32_e32 v40, v44, v39
	s_delay_alu instid0(VALU_DEP_1) | instskip(NEXT) | instid1(VALU_DEP_1)
	v_add_f32_e32 v50, v45, v40
	v_dual_sub_f32 v51, v43, v50 :: v_dual_sub_f32 v38, v50, v45
	s_delay_alu instid0(VALU_DEP_1) | instskip(NEXT) | instid1(VALU_DEP_1)
	v_dual_sub_f32 v43, v43, v51 :: v_dual_sub_f32 v38, v38, v40
	v_sub_f32_e32 v43, v43, v50
	s_delay_alu instid0(VALU_DEP_1) | instskip(NEXT) | instid1(VALU_DEP_1)
	v_add_f32_e32 v35, v35, v43
	v_add_f32_e32 v35, v38, v35
	s_delay_alu instid0(VALU_DEP_1) | instskip(NEXT) | instid1(VALU_DEP_1)
	v_add_f32_e32 v38, v51, v35
	v_mul_f32_e32 v40, v37, v38
	s_delay_alu instid0(VALU_DEP_1) | instskip(NEXT) | instid1(VALU_DEP_1)
	v_dual_sub_f32 v50, v51, v38 :: v_dual_mul_f32 v43, v41, v40
	v_add_f32_e32 v35, v35, v50
	s_delay_alu instid0(VALU_DEP_2) | instskip(NEXT) | instid1(VALU_DEP_1)
	v_fma_f32 v41, v40, v41, -v43
	v_fmac_f32_e32 v41, v40, v39
	s_delay_alu instid0(VALU_DEP_1) | instskip(NEXT) | instid1(VALU_DEP_1)
	v_add_f32_e32 v39, v43, v41
	v_sub_f32_e32 v45, v38, v39
	s_delay_alu instid0(VALU_DEP_1) | instskip(NEXT) | instid1(VALU_DEP_1)
	v_dual_sub_f32 v43, v39, v43 :: v_dual_sub_f32 v38, v38, v45
	v_dual_sub_f32 v38, v38, v39 :: v_dual_sub_f32 v39, v43, v41
	s_delay_alu instid0(VALU_DEP_1) | instskip(NEXT) | instid1(VALU_DEP_1)
	v_dual_add_f32 v35, v35, v38 :: v_dual_add_f32 v38, v44, v40
	v_add_f32_e32 v35, v39, v35
	s_delay_alu instid0(VALU_DEP_2) | instskip(NEXT) | instid1(VALU_DEP_2)
	v_sub_f32_e32 v39, v38, v44
	v_add_f32_e32 v35, v45, v35
	s_delay_alu instid0(VALU_DEP_2) | instskip(NEXT) | instid1(VALU_DEP_2)
	v_sub_f32_e32 v39, v40, v39
	v_mul_f32_e32 v35, v37, v35
	s_delay_alu instid0(VALU_DEP_1) | instskip(NEXT) | instid1(VALU_DEP_1)
	v_add_f32_e32 v35, v39, v35
	v_add_f32_e32 v37, v38, v35
	s_delay_alu instid0(VALU_DEP_1) | instskip(NEXT) | instid1(VALU_DEP_1)
	v_mul_f32_e32 v39, v37, v37
	v_fmaak_f32 v40, s37, v39, 0x3ecc95a3
	v_mul_f32_e32 v41, v37, v39
	v_cmp_eq_f32_e64 s37, 0x7f800000, v36
	s_delay_alu instid0(VALU_DEP_3) | instskip(SKIP_2) | instid1(VALU_DEP_4)
	v_fmaak_f32 v39, v39, v40, 0x3f2aaada
	v_ldexp_f32 v40, v37, 1
	v_sub_f32_e32 v37, v37, v38
	s_or_b32 s37, s37, s39
	s_delay_alu instid0(VALU_DEP_3) | instskip(SKIP_1) | instid1(VALU_DEP_2)
	v_mul_f32_e32 v39, v41, v39
	v_mul_f32_e32 v41, 0x3f317218, v34
	v_dual_sub_f32 v35, v35, v37 :: v_dual_add_f32 v38, v40, v39
	s_delay_alu instid0(VALU_DEP_1) | instskip(NEXT) | instid1(VALU_DEP_2)
	v_ldexp_f32 v35, v35, 1
	v_sub_f32_e32 v37, v38, v40
	s_delay_alu instid0(VALU_DEP_4) | instskip(NEXT) | instid1(VALU_DEP_1)
	v_fma_f32 v40, 0x3f317218, v34, -v41
	v_dual_sub_f32 v37, v39, v37 :: v_dual_fmamk_f32 v34, v34, 0xb102e308, v40
	s_delay_alu instid0(VALU_DEP_1) | instskip(NEXT) | instid1(VALU_DEP_2)
	v_add_f32_e32 v35, v35, v37
	v_add_f32_e32 v37, v41, v34
	s_delay_alu instid0(VALU_DEP_2) | instskip(NEXT) | instid1(VALU_DEP_2)
	v_add_f32_e32 v39, v38, v35
	v_sub_f32_e32 v41, v37, v41
	s_delay_alu instid0(VALU_DEP_2) | instskip(SKIP_1) | instid1(VALU_DEP_3)
	v_add_f32_e32 v40, v37, v39
	v_sub_f32_e32 v38, v39, v38
	v_sub_f32_e32 v34, v34, v41
	s_delay_alu instid0(VALU_DEP_3) | instskip(NEXT) | instid1(VALU_DEP_3)
	v_sub_f32_e32 v43, v40, v37
	v_sub_f32_e32 v35, v35, v38
	s_delay_alu instid0(VALU_DEP_2) | instskip(SKIP_1) | instid1(VALU_DEP_3)
	v_sub_f32_e32 v38, v39, v43
	v_sub_f32_e32 v44, v40, v43
	v_add_f32_e32 v39, v34, v35
	s_delay_alu instid0(VALU_DEP_2) | instskip(NEXT) | instid1(VALU_DEP_1)
	v_sub_f32_e32 v37, v37, v44
	v_dual_add_f32 v37, v38, v37 :: v_dual_sub_f32 v38, v39, v34
	s_delay_alu instid0(VALU_DEP_1) | instskip(NEXT) | instid1(VALU_DEP_2)
	v_add_f32_e32 v37, v39, v37
	v_sub_f32_e32 v39, v39, v38
	v_sub_f32_e32 v35, v35, v38
	s_delay_alu instid0(VALU_DEP_2) | instskip(NEXT) | instid1(VALU_DEP_1)
	v_dual_add_f32 v41, v40, v37 :: v_dual_sub_f32 v34, v34, v39
	v_sub_f32_e32 v38, v41, v40
	s_delay_alu instid0(VALU_DEP_2) | instskip(NEXT) | instid1(VALU_DEP_2)
	v_add_f32_e32 v34, v35, v34
	v_sub_f32_e32 v35, v37, v38
	s_delay_alu instid0(VALU_DEP_1) | instskip(NEXT) | instid1(VALU_DEP_1)
	v_add_f32_e32 v34, v34, v35
	v_add_f32_e32 v34, v41, v34
	s_delay_alu instid0(VALU_DEP_1) | instskip(NEXT) | instid1(VALU_DEP_1)
	v_cndmask_b32_e64 v34, v34, v36, s37
	v_add_f32_e32 v34, v31, v34
.LBB471_72:
	s_or_b32 exec_lo, exec_lo, s38
	s_delay_alu instid0(VALU_DEP_1) | instskip(SKIP_1) | instid1(VALU_DEP_2)
	v_bfe_u32 v31, v34, 16, 1
	v_cmp_o_f32_e64 s37, v34, v34
	v_add3_u32 v31, v34, v31, 0x7fff
	s_delay_alu instid0(VALU_DEP_1) | instskip(SKIP_1) | instid1(VALU_DEP_2)
	v_and_b32_e32 v35, 0xffff0000, v31
	v_lshlrev_b32_e32 v31, 16, v7
	v_cndmask_b32_e64 v36, 0x7fc00000, v35, s37
	s_delay_alu instid0(VALU_DEP_1) | instskip(SKIP_1) | instid1(VALU_DEP_2)
	v_dual_max_f32 v35, v31, v31 :: v_dual_max_f32 v34, v36, v36
	v_cmp_u_f32_e64 s37, v36, v36
	v_min_f32_e32 v37, v34, v35
	v_max_f32_e32 v34, v34, v35
	s_delay_alu instid0(VALU_DEP_2) | instskip(NEXT) | instid1(VALU_DEP_2)
	v_cndmask_b32_e64 v37, v37, v36, s37
	v_cndmask_b32_e64 v34, v34, v36, s37
	v_cmp_u_f32_e64 s37, v31, v31
	s_delay_alu instid0(VALU_DEP_1) | instskip(NEXT) | instid1(VALU_DEP_3)
	v_cndmask_b32_e64 v37, v37, v31, s37
	v_cndmask_b32_e64 v34, v34, v31, s37
	s_delay_alu instid0(VALU_DEP_2) | instskip(NEXT) | instid1(VALU_DEP_2)
	v_cmp_class_f32_e64 s39, v37, 0x1f8
	v_cmp_neq_f32_e64 s38, v37, v34
	s_delay_alu instid0(VALU_DEP_1) | instskip(NEXT) | instid1(SALU_CYCLE_1)
	s_or_b32 s38, s38, s39
	s_and_saveexec_b32 s39, s38
	s_cbranch_execz .LBB471_74
; %bb.73:
	v_sub_f32_e32 v36, v37, v34
	s_delay_alu instid0(VALU_DEP_1) | instskip(SKIP_1) | instid1(VALU_DEP_2)
	v_mul_f32_e32 v37, 0x3fb8aa3b, v36
	v_cmp_ngt_f32_e64 s38, 0xc2ce8ed0, v36
	v_fma_f32 v38, 0x3fb8aa3b, v36, -v37
	v_rndne_f32_e32 v39, v37
	s_delay_alu instid0(VALU_DEP_1) | instskip(NEXT) | instid1(VALU_DEP_1)
	v_dual_fmamk_f32 v38, v36, 0x32a5705f, v38 :: v_dual_sub_f32 v37, v37, v39
	v_add_f32_e32 v37, v37, v38
	v_cvt_i32_f32_e32 v38, v39
	s_delay_alu instid0(VALU_DEP_2) | instskip(SKIP_2) | instid1(VALU_DEP_1)
	v_exp_f32_e32 v37, v37
	s_waitcnt_depctr 0xfff
	v_ldexp_f32 v37, v37, v38
	v_cndmask_b32_e64 v37, 0, v37, s38
	v_cmp_nlt_f32_e64 s38, 0x42b17218, v36
	s_delay_alu instid0(VALU_DEP_1) | instskip(NEXT) | instid1(VALU_DEP_1)
	v_cndmask_b32_e64 v38, 0x7f800000, v37, s38
	v_add_f32_e32 v39, 1.0, v38
	v_cmp_gt_f32_e64 s40, 0x33800000, |v38|
	s_delay_alu instid0(VALU_DEP_2) | instskip(NEXT) | instid1(VALU_DEP_1)
	v_cvt_f64_f32_e32 v[36:37], v39
	v_frexp_exp_i32_f64_e32 v36, v[36:37]
	v_frexp_mant_f32_e32 v37, v39
	s_delay_alu instid0(VALU_DEP_1) | instskip(SKIP_1) | instid1(VALU_DEP_1)
	v_cmp_gt_f32_e64 s38, 0x3f2aaaab, v37
	v_add_f32_e32 v37, -1.0, v39
	v_sub_f32_e32 v41, v37, v39
	v_sub_f32_e32 v37, v38, v37
	s_delay_alu instid0(VALU_DEP_2) | instskip(NEXT) | instid1(VALU_DEP_1)
	v_add_f32_e32 v41, 1.0, v41
	v_add_f32_e32 v37, v37, v41
	v_subrev_co_ci_u32_e64 v36, s38, 0, v36, s38
	s_mov_b32 s38, 0x3e9b6dac
	s_delay_alu instid0(VALU_DEP_1) | instskip(SKIP_1) | instid1(VALU_DEP_2)
	v_sub_nc_u32_e32 v40, 0, v36
	v_cvt_f32_i32_e32 v36, v36
	v_ldexp_f32 v39, v39, v40
	v_ldexp_f32 v37, v37, v40
	s_delay_alu instid0(VALU_DEP_2) | instskip(SKIP_1) | instid1(VALU_DEP_1)
	v_add_f32_e32 v43, 1.0, v39
	v_add_f32_e32 v40, -1.0, v39
	v_dual_add_f32 v41, -1.0, v43 :: v_dual_add_f32 v44, 1.0, v40
	s_delay_alu instid0(VALU_DEP_1) | instskip(NEXT) | instid1(VALU_DEP_2)
	v_sub_f32_e32 v41, v39, v41
	v_sub_f32_e32 v39, v39, v44
	s_delay_alu instid0(VALU_DEP_2) | instskip(NEXT) | instid1(VALU_DEP_1)
	v_add_f32_e32 v41, v37, v41
	v_add_f32_e32 v44, v43, v41
	s_delay_alu instid0(VALU_DEP_1) | instskip(NEXT) | instid1(VALU_DEP_1)
	v_sub_f32_e32 v43, v43, v44
	v_add_f32_e32 v41, v41, v43
	v_add_f32_e32 v37, v37, v39
	v_rcp_f32_e32 v39, v44
	s_delay_alu instid0(VALU_DEP_1) | instskip(NEXT) | instid1(VALU_DEP_1)
	v_add_f32_e32 v45, v40, v37
	v_sub_f32_e32 v40, v40, v45
	s_waitcnt_depctr 0xfff
	v_mul_f32_e32 v50, v45, v39
	v_add_f32_e32 v37, v37, v40
	s_delay_alu instid0(VALU_DEP_2) | instskip(NEXT) | instid1(VALU_DEP_1)
	v_mul_f32_e32 v51, v44, v50
	v_fma_f32 v43, v50, v44, -v51
	s_delay_alu instid0(VALU_DEP_1) | instskip(NEXT) | instid1(VALU_DEP_1)
	v_fmac_f32_e32 v43, v50, v41
	v_add_f32_e32 v52, v51, v43
	s_delay_alu instid0(VALU_DEP_1) | instskip(NEXT) | instid1(VALU_DEP_1)
	v_dual_sub_f32 v53, v45, v52 :: v_dual_sub_f32 v40, v52, v51
	v_dual_sub_f32 v45, v45, v53 :: v_dual_sub_f32 v40, v40, v43
	s_delay_alu instid0(VALU_DEP_1) | instskip(NEXT) | instid1(VALU_DEP_1)
	v_sub_f32_e32 v45, v45, v52
	v_add_f32_e32 v37, v37, v45
	s_delay_alu instid0(VALU_DEP_1) | instskip(NEXT) | instid1(VALU_DEP_1)
	v_add_f32_e32 v37, v40, v37
	v_add_f32_e32 v40, v53, v37
	s_delay_alu instid0(VALU_DEP_1) | instskip(NEXT) | instid1(VALU_DEP_1)
	v_mul_f32_e32 v43, v39, v40
	v_dual_sub_f32 v52, v53, v40 :: v_dual_mul_f32 v45, v44, v43
	s_delay_alu instid0(VALU_DEP_1) | instskip(NEXT) | instid1(VALU_DEP_2)
	v_add_f32_e32 v37, v37, v52
	v_fma_f32 v44, v43, v44, -v45
	s_delay_alu instid0(VALU_DEP_1) | instskip(NEXT) | instid1(VALU_DEP_1)
	v_fmac_f32_e32 v44, v43, v41
	v_add_f32_e32 v41, v45, v44
	s_delay_alu instid0(VALU_DEP_1) | instskip(NEXT) | instid1(VALU_DEP_1)
	v_sub_f32_e32 v51, v40, v41
	v_dual_sub_f32 v45, v41, v45 :: v_dual_sub_f32 v40, v40, v51
	s_delay_alu instid0(VALU_DEP_1) | instskip(NEXT) | instid1(VALU_DEP_1)
	v_dual_sub_f32 v40, v40, v41 :: v_dual_sub_f32 v41, v45, v44
	v_dual_add_f32 v37, v37, v40 :: v_dual_add_f32 v40, v50, v43
	s_delay_alu instid0(VALU_DEP_1) | instskip(NEXT) | instid1(VALU_DEP_2)
	v_add_f32_e32 v37, v41, v37
	v_sub_f32_e32 v41, v40, v50
	s_delay_alu instid0(VALU_DEP_2) | instskip(NEXT) | instid1(VALU_DEP_2)
	v_add_f32_e32 v37, v51, v37
	v_sub_f32_e32 v41, v43, v41
	s_delay_alu instid0(VALU_DEP_2) | instskip(NEXT) | instid1(VALU_DEP_1)
	v_mul_f32_e32 v37, v39, v37
	v_add_f32_e32 v37, v41, v37
	s_delay_alu instid0(VALU_DEP_1) | instskip(NEXT) | instid1(VALU_DEP_1)
	v_add_f32_e32 v39, v40, v37
	v_mul_f32_e32 v41, v39, v39
	s_delay_alu instid0(VALU_DEP_1) | instskip(SKIP_2) | instid1(VALU_DEP_3)
	v_fmaak_f32 v43, s38, v41, 0x3ecc95a3
	v_mul_f32_e32 v44, v39, v41
	v_cmp_eq_f32_e64 s38, 0x7f800000, v38
	v_fmaak_f32 v41, v41, v43, 0x3f2aaada
	v_ldexp_f32 v43, v39, 1
	v_sub_f32_e32 v39, v39, v40
	s_delay_alu instid0(VALU_DEP_4) | instskip(NEXT) | instid1(VALU_DEP_3)
	s_or_b32 s38, s38, s40
	v_dual_mul_f32 v41, v44, v41 :: v_dual_mul_f32 v44, 0x3f317218, v36
	s_delay_alu instid0(VALU_DEP_1) | instskip(NEXT) | instid1(VALU_DEP_1)
	v_dual_sub_f32 v37, v37, v39 :: v_dual_add_f32 v40, v43, v41
	v_ldexp_f32 v37, v37, 1
	s_delay_alu instid0(VALU_DEP_2) | instskip(NEXT) | instid1(VALU_DEP_4)
	v_sub_f32_e32 v39, v40, v43
	v_fma_f32 v43, 0x3f317218, v36, -v44
	s_delay_alu instid0(VALU_DEP_1) | instskip(NEXT) | instid1(VALU_DEP_1)
	v_dual_sub_f32 v39, v41, v39 :: v_dual_fmamk_f32 v36, v36, 0xb102e308, v43
	v_add_f32_e32 v37, v37, v39
	s_delay_alu instid0(VALU_DEP_2) | instskip(NEXT) | instid1(VALU_DEP_1)
	v_add_f32_e32 v39, v44, v36
	v_dual_add_f32 v41, v40, v37 :: v_dual_sub_f32 v44, v39, v44
	s_delay_alu instid0(VALU_DEP_1) | instskip(NEXT) | instid1(VALU_DEP_1)
	v_dual_add_f32 v43, v39, v41 :: v_dual_sub_f32 v40, v41, v40
	v_dual_sub_f32 v36, v36, v44 :: v_dual_sub_f32 v45, v43, v39
	s_delay_alu instid0(VALU_DEP_1) | instskip(SKIP_1) | instid1(VALU_DEP_2)
	v_dual_sub_f32 v37, v37, v40 :: v_dual_sub_f32 v50, v43, v45
	v_sub_f32_e32 v40, v41, v45
	v_add_f32_e32 v41, v36, v37
	s_delay_alu instid0(VALU_DEP_3) | instskip(NEXT) | instid1(VALU_DEP_1)
	v_sub_f32_e32 v39, v39, v50
	v_dual_add_f32 v39, v40, v39 :: v_dual_sub_f32 v40, v41, v36
	s_delay_alu instid0(VALU_DEP_1) | instskip(NEXT) | instid1(VALU_DEP_2)
	v_add_f32_e32 v39, v41, v39
	v_sub_f32_e32 v41, v41, v40
	s_delay_alu instid0(VALU_DEP_2) | instskip(NEXT) | instid1(VALU_DEP_2)
	v_dual_sub_f32 v37, v37, v40 :: v_dual_add_f32 v44, v43, v39
	v_sub_f32_e32 v36, v36, v41
	s_delay_alu instid0(VALU_DEP_2) | instskip(NEXT) | instid1(VALU_DEP_2)
	v_sub_f32_e32 v40, v44, v43
	v_add_f32_e32 v36, v37, v36
	s_delay_alu instid0(VALU_DEP_2) | instskip(NEXT) | instid1(VALU_DEP_1)
	v_sub_f32_e32 v37, v39, v40
	v_add_f32_e32 v36, v36, v37
	s_delay_alu instid0(VALU_DEP_1) | instskip(NEXT) | instid1(VALU_DEP_1)
	v_add_f32_e32 v36, v44, v36
	v_cndmask_b32_e64 v36, v36, v38, s38
	s_delay_alu instid0(VALU_DEP_1)
	v_add_f32_e32 v36, v34, v36
.LBB471_74:
	s_or_b32 exec_lo, exec_lo, s39
	s_delay_alu instid0(VALU_DEP_1) | instskip(SKIP_1) | instid1(VALU_DEP_2)
	v_bfe_u32 v34, v36, 16, 1
	v_cmp_o_f32_e64 s38, v36, v36
	v_add3_u32 v34, v36, v34, 0x7fff
	s_delay_alu instid0(VALU_DEP_1) | instskip(NEXT) | instid1(VALU_DEP_1)
	v_and_b32_e32 v34, 0xffff0000, v34
	v_cndmask_b32_e64 v37, 0x7fc00000, v34, s38
	s_delay_alu instid0(VALU_DEP_1) | instskip(NEXT) | instid1(VALU_DEP_1)
	v_dual_max_f32 v34, v37, v37 :: v_dual_and_b32 v7, 0xffff0000, v7
	v_max_f32_e32 v36, v7, v7
	v_cmp_u_f32_e64 s38, v37, v37
	s_delay_alu instid0(VALU_DEP_2) | instskip(SKIP_1) | instid1(VALU_DEP_2)
	v_min_f32_e32 v38, v34, v36
	v_max_f32_e32 v34, v34, v36
	v_cndmask_b32_e64 v38, v38, v37, s38
	s_delay_alu instid0(VALU_DEP_2) | instskip(SKIP_1) | instid1(VALU_DEP_1)
	v_cndmask_b32_e64 v34, v34, v37, s38
	v_cmp_u_f32_e64 s38, v7, v7
	v_cndmask_b32_e64 v38, v38, v7, s38
	s_delay_alu instid0(VALU_DEP_3) | instskip(NEXT) | instid1(VALU_DEP_2)
	v_cndmask_b32_e64 v34, v34, v7, s38
	v_cmp_class_f32_e64 s40, v38, 0x1f8
	s_delay_alu instid0(VALU_DEP_2) | instskip(NEXT) | instid1(VALU_DEP_1)
	v_cmp_neq_f32_e64 s39, v38, v34
	s_or_b32 s39, s39, s40
	s_delay_alu instid0(SALU_CYCLE_1)
	s_and_saveexec_b32 s40, s39
	s_cbranch_execz .LBB471_76
; %bb.75:
	v_sub_f32_e32 v37, v38, v34
	s_delay_alu instid0(VALU_DEP_1) | instskip(SKIP_1) | instid1(VALU_DEP_2)
	v_mul_f32_e32 v38, 0x3fb8aa3b, v37
	v_cmp_ngt_f32_e64 s39, 0xc2ce8ed0, v37
	v_fma_f32 v39, 0x3fb8aa3b, v37, -v38
	v_rndne_f32_e32 v40, v38
	s_delay_alu instid0(VALU_DEP_1) | instskip(NEXT) | instid1(VALU_DEP_1)
	v_dual_fmamk_f32 v39, v37, 0x32a5705f, v39 :: v_dual_sub_f32 v38, v38, v40
	v_add_f32_e32 v38, v38, v39
	v_cvt_i32_f32_e32 v39, v40
	s_delay_alu instid0(VALU_DEP_2) | instskip(SKIP_2) | instid1(VALU_DEP_1)
	v_exp_f32_e32 v38, v38
	s_waitcnt_depctr 0xfff
	v_ldexp_f32 v38, v38, v39
	v_cndmask_b32_e64 v38, 0, v38, s39
	v_cmp_nlt_f32_e64 s39, 0x42b17218, v37
	s_delay_alu instid0(VALU_DEP_1) | instskip(NEXT) | instid1(VALU_DEP_1)
	v_cndmask_b32_e64 v39, 0x7f800000, v38, s39
	v_add_f32_e32 v40, 1.0, v39
	v_cmp_gt_f32_e64 s41, 0x33800000, |v39|
	s_delay_alu instid0(VALU_DEP_2) | instskip(NEXT) | instid1(VALU_DEP_1)
	v_cvt_f64_f32_e32 v[37:38], v40
	v_frexp_exp_i32_f64_e32 v37, v[37:38]
	v_frexp_mant_f32_e32 v38, v40
	s_delay_alu instid0(VALU_DEP_1) | instskip(SKIP_1) | instid1(VALU_DEP_1)
	v_cmp_gt_f32_e64 s39, 0x3f2aaaab, v38
	v_add_f32_e32 v38, -1.0, v40
	v_dual_sub_f32 v43, v38, v40 :: v_dual_sub_f32 v38, v39, v38
	s_delay_alu instid0(VALU_DEP_1) | instskip(NEXT) | instid1(VALU_DEP_4)
	v_add_f32_e32 v43, 1.0, v43
	v_subrev_co_ci_u32_e64 v37, s39, 0, v37, s39
	s_mov_b32 s39, 0x3e9b6dac
	s_delay_alu instid0(VALU_DEP_1) | instskip(SKIP_1) | instid1(VALU_DEP_2)
	v_sub_nc_u32_e32 v41, 0, v37
	v_cvt_f32_i32_e32 v37, v37
	v_ldexp_f32 v40, v40, v41
	v_add_f32_e32 v38, v38, v43
	s_delay_alu instid0(VALU_DEP_1) | instskip(NEXT) | instid1(VALU_DEP_3)
	v_ldexp_f32 v38, v38, v41
	v_add_f32_e32 v41, -1.0, v40
	s_delay_alu instid0(VALU_DEP_1) | instskip(NEXT) | instid1(VALU_DEP_1)
	v_dual_add_f32 v44, 1.0, v40 :: v_dual_add_f32 v45, 1.0, v41
	v_add_f32_e32 v43, -1.0, v44
	s_delay_alu instid0(VALU_DEP_1) | instskip(NEXT) | instid1(VALU_DEP_1)
	v_sub_f32_e32 v43, v40, v43
	v_dual_sub_f32 v40, v40, v45 :: v_dual_add_f32 v43, v38, v43
	s_delay_alu instid0(VALU_DEP_1) | instskip(NEXT) | instid1(VALU_DEP_1)
	v_dual_add_f32 v38, v38, v40 :: v_dual_add_f32 v45, v44, v43
	v_rcp_f32_e32 v40, v45
	v_sub_f32_e32 v44, v44, v45
	s_delay_alu instid0(VALU_DEP_1) | instskip(NEXT) | instid1(VALU_DEP_1)
	v_dual_add_f32 v50, v41, v38 :: v_dual_add_f32 v43, v43, v44
	v_sub_f32_e32 v41, v41, v50
	s_waitcnt_depctr 0xfff
	v_mul_f32_e32 v51, v50, v40
	v_add_f32_e32 v38, v38, v41
	s_delay_alu instid0(VALU_DEP_2) | instskip(NEXT) | instid1(VALU_DEP_1)
	v_mul_f32_e32 v52, v45, v51
	v_fma_f32 v44, v51, v45, -v52
	s_delay_alu instid0(VALU_DEP_1) | instskip(NEXT) | instid1(VALU_DEP_1)
	v_fmac_f32_e32 v44, v51, v43
	v_add_f32_e32 v53, v52, v44
	s_delay_alu instid0(VALU_DEP_1) | instskip(NEXT) | instid1(VALU_DEP_1)
	v_sub_f32_e32 v54, v50, v53
	v_dual_sub_f32 v50, v50, v54 :: v_dual_sub_f32 v41, v53, v52
	s_delay_alu instid0(VALU_DEP_1) | instskip(NEXT) | instid1(VALU_DEP_1)
	v_dual_sub_f32 v50, v50, v53 :: v_dual_sub_f32 v41, v41, v44
	v_add_f32_e32 v38, v38, v50
	s_delay_alu instid0(VALU_DEP_1) | instskip(NEXT) | instid1(VALU_DEP_1)
	v_add_f32_e32 v38, v41, v38
	v_add_f32_e32 v41, v54, v38
	s_delay_alu instid0(VALU_DEP_1) | instskip(NEXT) | instid1(VALU_DEP_1)
	v_mul_f32_e32 v44, v40, v41
	v_dual_sub_f32 v53, v54, v41 :: v_dual_mul_f32 v50, v45, v44
	s_delay_alu instid0(VALU_DEP_1) | instskip(NEXT) | instid1(VALU_DEP_2)
	v_add_f32_e32 v38, v38, v53
	v_fma_f32 v45, v44, v45, -v50
	s_delay_alu instid0(VALU_DEP_1) | instskip(NEXT) | instid1(VALU_DEP_1)
	v_fmac_f32_e32 v45, v44, v43
	v_add_f32_e32 v43, v50, v45
	s_delay_alu instid0(VALU_DEP_1) | instskip(SKIP_1) | instid1(VALU_DEP_1)
	v_sub_f32_e32 v50, v43, v50
	v_sub_f32_e32 v52, v41, v43
	;; [unrolled: 1-line block ×3, first 2 shown]
	s_delay_alu instid0(VALU_DEP_1) | instskip(NEXT) | instid1(VALU_DEP_4)
	v_sub_f32_e32 v41, v41, v43
	v_sub_f32_e32 v43, v50, v45
	s_delay_alu instid0(VALU_DEP_2) | instskip(NEXT) | instid1(VALU_DEP_1)
	v_dual_add_f32 v38, v38, v41 :: v_dual_add_f32 v41, v51, v44
	v_dual_add_f32 v38, v43, v38 :: v_dual_sub_f32 v43, v41, v51
	s_delay_alu instid0(VALU_DEP_1) | instskip(NEXT) | instid1(VALU_DEP_2)
	v_add_f32_e32 v38, v52, v38
	v_sub_f32_e32 v43, v44, v43
	s_delay_alu instid0(VALU_DEP_2) | instskip(NEXT) | instid1(VALU_DEP_1)
	v_mul_f32_e32 v38, v40, v38
	v_add_f32_e32 v38, v43, v38
	s_delay_alu instid0(VALU_DEP_1) | instskip(NEXT) | instid1(VALU_DEP_1)
	v_add_f32_e32 v40, v41, v38
	v_mul_f32_e32 v43, v40, v40
	s_delay_alu instid0(VALU_DEP_1) | instskip(SKIP_2) | instid1(VALU_DEP_3)
	v_fmaak_f32 v44, s39, v43, 0x3ecc95a3
	v_mul_f32_e32 v45, v40, v43
	v_cmp_eq_f32_e64 s39, 0x7f800000, v39
	v_fmaak_f32 v43, v43, v44, 0x3f2aaada
	v_ldexp_f32 v44, v40, 1
	v_sub_f32_e32 v40, v40, v41
	s_delay_alu instid0(VALU_DEP_4) | instskip(NEXT) | instid1(VALU_DEP_3)
	s_or_b32 s39, s39, s41
	v_mul_f32_e32 v43, v45, v43
	s_delay_alu instid0(VALU_DEP_2) | instskip(NEXT) | instid1(VALU_DEP_2)
	v_dual_mul_f32 v45, 0x3f317218, v37 :: v_dual_sub_f32 v38, v38, v40
	v_add_f32_e32 v41, v44, v43
	s_delay_alu instid0(VALU_DEP_2) | instskip(NEXT) | instid1(VALU_DEP_2)
	v_ldexp_f32 v38, v38, 1
	v_sub_f32_e32 v40, v41, v44
	s_delay_alu instid0(VALU_DEP_4) | instskip(NEXT) | instid1(VALU_DEP_1)
	v_fma_f32 v44, 0x3f317218, v37, -v45
	v_dual_sub_f32 v40, v43, v40 :: v_dual_fmamk_f32 v37, v37, 0xb102e308, v44
	s_delay_alu instid0(VALU_DEP_1) | instskip(NEXT) | instid1(VALU_DEP_2)
	v_add_f32_e32 v38, v38, v40
	v_add_f32_e32 v40, v45, v37
	s_delay_alu instid0(VALU_DEP_1) | instskip(NEXT) | instid1(VALU_DEP_3)
	v_sub_f32_e32 v45, v40, v45
	v_add_f32_e32 v43, v41, v38
	s_delay_alu instid0(VALU_DEP_1) | instskip(SKIP_1) | instid1(VALU_DEP_1)
	v_dual_sub_f32 v37, v37, v45 :: v_dual_add_f32 v44, v40, v43
	v_sub_f32_e32 v41, v43, v41
	v_sub_f32_e32 v38, v38, v41
	s_delay_alu instid0(VALU_DEP_3) | instskip(NEXT) | instid1(VALU_DEP_1)
	v_sub_f32_e32 v50, v44, v40
	v_sub_f32_e32 v41, v43, v50
	s_delay_alu instid0(VALU_DEP_3) | instskip(SKIP_1) | instid1(VALU_DEP_1)
	v_add_f32_e32 v43, v37, v38
	v_sub_f32_e32 v51, v44, v50
	v_sub_f32_e32 v40, v40, v51
	s_delay_alu instid0(VALU_DEP_1) | instskip(NEXT) | instid1(VALU_DEP_1)
	v_dual_add_f32 v40, v41, v40 :: v_dual_sub_f32 v41, v43, v37
	v_add_f32_e32 v40, v43, v40
	s_delay_alu instid0(VALU_DEP_2) | instskip(NEXT) | instid1(VALU_DEP_1)
	v_sub_f32_e32 v43, v43, v41
	v_sub_f32_e32 v37, v37, v43
	s_delay_alu instid0(VALU_DEP_3) | instskip(NEXT) | instid1(VALU_DEP_1)
	v_dual_add_f32 v45, v44, v40 :: v_dual_sub_f32 v38, v38, v41
	v_sub_f32_e32 v41, v45, v44
	s_delay_alu instid0(VALU_DEP_2) | instskip(NEXT) | instid1(VALU_DEP_2)
	v_add_f32_e32 v37, v38, v37
	v_sub_f32_e32 v38, v40, v41
	s_delay_alu instid0(VALU_DEP_1) | instskip(NEXT) | instid1(VALU_DEP_1)
	v_add_f32_e32 v37, v37, v38
	v_add_f32_e32 v37, v45, v37
	s_delay_alu instid0(VALU_DEP_1) | instskip(NEXT) | instid1(VALU_DEP_1)
	v_cndmask_b32_e64 v37, v37, v39, s39
	v_add_f32_e32 v37, v34, v37
.LBB471_76:
	s_or_b32 exec_lo, exec_lo, s40
	s_delay_alu instid0(VALU_DEP_1) | instskip(SKIP_1) | instid1(VALU_DEP_2)
	v_bfe_u32 v34, v37, 16, 1
	v_cmp_o_f32_e64 s39, v37, v37
	v_add3_u32 v34, v37, v34, 0x7fff
	s_delay_alu instid0(VALU_DEP_1) | instskip(NEXT) | instid1(VALU_DEP_1)
	v_and_b32_e32 v38, 0xffff0000, v34
	v_cndmask_b32_e64 v39, 0x7fc00000, v38, s39
	s_delay_alu instid0(VALU_DEP_1) | instskip(SKIP_1) | instid1(VALU_DEP_2)
	v_dual_max_f32 v37, v39, v39 :: v_dual_lshlrev_b32 v34, 16, v4
	v_cmp_u_f32_e64 s39, v39, v39
	v_max_f32_e32 v38, v34, v34
	s_delay_alu instid0(VALU_DEP_1) | instskip(SKIP_1) | instid1(VALU_DEP_2)
	v_min_f32_e32 v40, v37, v38
	v_max_f32_e32 v37, v37, v38
	v_cndmask_b32_e64 v40, v40, v39, s39
	s_delay_alu instid0(VALU_DEP_2) | instskip(SKIP_1) | instid1(VALU_DEP_1)
	v_cndmask_b32_e64 v37, v37, v39, s39
	v_cmp_u_f32_e64 s39, v34, v34
	v_cndmask_b32_e64 v40, v40, v34, s39
	s_delay_alu instid0(VALU_DEP_3) | instskip(NEXT) | instid1(VALU_DEP_2)
	v_cndmask_b32_e64 v37, v37, v34, s39
	v_cmp_class_f32_e64 s41, v40, 0x1f8
	s_delay_alu instid0(VALU_DEP_2) | instskip(NEXT) | instid1(VALU_DEP_1)
	v_cmp_neq_f32_e64 s40, v40, v37
	s_or_b32 s40, s40, s41
	s_delay_alu instid0(SALU_CYCLE_1)
	s_and_saveexec_b32 s41, s40
	s_cbranch_execz .LBB471_78
; %bb.77:
	v_sub_f32_e32 v39, v40, v37
	s_delay_alu instid0(VALU_DEP_1) | instskip(SKIP_1) | instid1(VALU_DEP_2)
	v_mul_f32_e32 v40, 0x3fb8aa3b, v39
	v_cmp_ngt_f32_e64 s40, 0xc2ce8ed0, v39
	v_fma_f32 v41, 0x3fb8aa3b, v39, -v40
	v_rndne_f32_e32 v43, v40
	s_delay_alu instid0(VALU_DEP_1) | instskip(NEXT) | instid1(VALU_DEP_1)
	v_dual_fmamk_f32 v41, v39, 0x32a5705f, v41 :: v_dual_sub_f32 v40, v40, v43
	v_add_f32_e32 v40, v40, v41
	v_cvt_i32_f32_e32 v41, v43
	s_delay_alu instid0(VALU_DEP_2) | instskip(SKIP_2) | instid1(VALU_DEP_1)
	v_exp_f32_e32 v40, v40
	s_waitcnt_depctr 0xfff
	v_ldexp_f32 v40, v40, v41
	v_cndmask_b32_e64 v40, 0, v40, s40
	v_cmp_nlt_f32_e64 s40, 0x42b17218, v39
	s_delay_alu instid0(VALU_DEP_1) | instskip(NEXT) | instid1(VALU_DEP_1)
	v_cndmask_b32_e64 v41, 0x7f800000, v40, s40
	v_add_f32_e32 v43, 1.0, v41
	v_cmp_gt_f32_e64 s42, 0x33800000, |v41|
	s_delay_alu instid0(VALU_DEP_2) | instskip(NEXT) | instid1(VALU_DEP_1)
	v_cvt_f64_f32_e32 v[39:40], v43
	v_frexp_exp_i32_f64_e32 v39, v[39:40]
	v_frexp_mant_f32_e32 v40, v43
	s_delay_alu instid0(VALU_DEP_1) | instskip(SKIP_1) | instid1(VALU_DEP_1)
	v_cmp_gt_f32_e64 s40, 0x3f2aaaab, v40
	v_add_f32_e32 v40, -1.0, v43
	v_dual_sub_f32 v45, v40, v43 :: v_dual_sub_f32 v40, v41, v40
	s_delay_alu instid0(VALU_DEP_3) | instskip(SKIP_1) | instid1(VALU_DEP_1)
	v_subrev_co_ci_u32_e64 v39, s40, 0, v39, s40
	s_mov_b32 s40, 0x3e9b6dac
	v_sub_nc_u32_e32 v44, 0, v39
	v_cvt_f32_i32_e32 v39, v39
	s_delay_alu instid0(VALU_DEP_2) | instskip(NEXT) | instid1(VALU_DEP_1)
	v_ldexp_f32 v43, v43, v44
	v_dual_add_f32 v45, 1.0, v45 :: v_dual_add_f32 v50, 1.0, v43
	s_delay_alu instid0(VALU_DEP_1) | instskip(NEXT) | instid1(VALU_DEP_1)
	v_dual_add_f32 v40, v40, v45 :: v_dual_add_f32 v45, -1.0, v50
	v_ldexp_f32 v40, v40, v44
	s_delay_alu instid0(VALU_DEP_2) | instskip(NEXT) | instid1(VALU_DEP_1)
	v_dual_add_f32 v44, -1.0, v43 :: v_dual_sub_f32 v45, v43, v45
	v_add_f32_e32 v51, 1.0, v44
	s_delay_alu instid0(VALU_DEP_2) | instskip(NEXT) | instid1(VALU_DEP_2)
	v_add_f32_e32 v45, v40, v45
	v_sub_f32_e32 v43, v43, v51
	s_delay_alu instid0(VALU_DEP_1) | instskip(NEXT) | instid1(VALU_DEP_1)
	v_dual_add_f32 v51, v50, v45 :: v_dual_add_f32 v40, v40, v43
	v_rcp_f32_e32 v43, v51
	v_sub_f32_e32 v50, v50, v51
	s_delay_alu instid0(VALU_DEP_1) | instskip(NEXT) | instid1(VALU_DEP_1)
	v_dual_add_f32 v52, v44, v40 :: v_dual_add_f32 v45, v45, v50
	v_sub_f32_e32 v44, v44, v52
	s_waitcnt_depctr 0xfff
	v_mul_f32_e32 v53, v52, v43
	v_add_f32_e32 v40, v40, v44
	s_delay_alu instid0(VALU_DEP_2) | instskip(NEXT) | instid1(VALU_DEP_1)
	v_mul_f32_e32 v54, v51, v53
	v_fma_f32 v50, v53, v51, -v54
	s_delay_alu instid0(VALU_DEP_1) | instskip(NEXT) | instid1(VALU_DEP_1)
	v_fmac_f32_e32 v50, v53, v45
	v_add_f32_e32 v55, v54, v50
	s_delay_alu instid0(VALU_DEP_1) | instskip(SKIP_1) | instid1(VALU_DEP_2)
	v_sub_f32_e32 v56, v52, v55
	v_sub_f32_e32 v44, v55, v54
	;; [unrolled: 1-line block ×3, first 2 shown]
	s_delay_alu instid0(VALU_DEP_2) | instskip(NEXT) | instid1(VALU_DEP_2)
	v_sub_f32_e32 v44, v44, v50
	v_sub_f32_e32 v52, v52, v55
	s_delay_alu instid0(VALU_DEP_1) | instskip(NEXT) | instid1(VALU_DEP_1)
	v_add_f32_e32 v40, v40, v52
	v_add_f32_e32 v40, v44, v40
	s_delay_alu instid0(VALU_DEP_1) | instskip(NEXT) | instid1(VALU_DEP_1)
	v_add_f32_e32 v44, v56, v40
	v_mul_f32_e32 v50, v43, v44
	s_delay_alu instid0(VALU_DEP_1) | instskip(NEXT) | instid1(VALU_DEP_1)
	v_mul_f32_e32 v52, v51, v50
	v_fma_f32 v51, v50, v51, -v52
	s_delay_alu instid0(VALU_DEP_1) | instskip(SKIP_1) | instid1(VALU_DEP_2)
	v_fmac_f32_e32 v51, v50, v45
	v_sub_f32_e32 v55, v56, v44
	v_add_f32_e32 v45, v52, v51
	s_delay_alu instid0(VALU_DEP_2) | instskip(NEXT) | instid1(VALU_DEP_2)
	v_add_f32_e32 v40, v40, v55
	v_sub_f32_e32 v54, v44, v45
	v_sub_f32_e32 v52, v45, v52
	s_delay_alu instid0(VALU_DEP_2) | instskip(NEXT) | instid1(VALU_DEP_1)
	v_sub_f32_e32 v44, v44, v54
	v_sub_f32_e32 v44, v44, v45
	s_delay_alu instid0(VALU_DEP_3) | instskip(NEXT) | instid1(VALU_DEP_2)
	v_sub_f32_e32 v45, v52, v51
	v_add_f32_e32 v40, v40, v44
	v_add_f32_e32 v44, v53, v50
	s_delay_alu instid0(VALU_DEP_1) | instskip(NEXT) | instid1(VALU_DEP_1)
	v_dual_add_f32 v40, v45, v40 :: v_dual_sub_f32 v45, v44, v53
	v_add_f32_e32 v40, v54, v40
	s_delay_alu instid0(VALU_DEP_1) | instskip(NEXT) | instid1(VALU_DEP_1)
	v_dual_sub_f32 v45, v50, v45 :: v_dual_mul_f32 v40, v43, v40
	v_add_f32_e32 v40, v45, v40
	s_delay_alu instid0(VALU_DEP_1) | instskip(NEXT) | instid1(VALU_DEP_1)
	v_add_f32_e32 v43, v44, v40
	v_mul_f32_e32 v45, v43, v43
	s_delay_alu instid0(VALU_DEP_1) | instskip(SKIP_2) | instid1(VALU_DEP_3)
	v_fmaak_f32 v50, s40, v45, 0x3ecc95a3
	v_mul_f32_e32 v51, v43, v45
	v_cmp_eq_f32_e64 s40, 0x7f800000, v41
	v_fmaak_f32 v45, v45, v50, 0x3f2aaada
	v_ldexp_f32 v50, v43, 1
	v_sub_f32_e32 v43, v43, v44
	s_delay_alu instid0(VALU_DEP_4) | instskip(NEXT) | instid1(VALU_DEP_3)
	s_or_b32 s40, s40, s42
	v_mul_f32_e32 v45, v51, v45
	v_mul_f32_e32 v51, 0x3f317218, v39
	s_delay_alu instid0(VALU_DEP_3) | instskip(NEXT) | instid1(VALU_DEP_3)
	v_sub_f32_e32 v40, v40, v43
	v_add_f32_e32 v44, v50, v45
	s_delay_alu instid0(VALU_DEP_2) | instskip(NEXT) | instid1(VALU_DEP_2)
	v_ldexp_f32 v40, v40, 1
	v_sub_f32_e32 v43, v44, v50
	v_fma_f32 v50, 0x3f317218, v39, -v51
	s_delay_alu instid0(VALU_DEP_2) | instskip(NEXT) | instid1(VALU_DEP_1)
	v_sub_f32_e32 v43, v45, v43
	v_dual_fmamk_f32 v39, v39, 0xb102e308, v50 :: v_dual_add_f32 v40, v40, v43
	s_delay_alu instid0(VALU_DEP_1) | instskip(NEXT) | instid1(VALU_DEP_2)
	v_add_f32_e32 v43, v51, v39
	v_add_f32_e32 v45, v44, v40
	s_delay_alu instid0(VALU_DEP_2) | instskip(NEXT) | instid1(VALU_DEP_2)
	v_sub_f32_e32 v51, v43, v51
	v_add_f32_e32 v50, v43, v45
	s_delay_alu instid0(VALU_DEP_2) | instskip(NEXT) | instid1(VALU_DEP_2)
	v_sub_f32_e32 v39, v39, v51
	v_sub_f32_e32 v52, v50, v43
	;; [unrolled: 1-line block ×3, first 2 shown]
	s_delay_alu instid0(VALU_DEP_2) | instskip(NEXT) | instid1(VALU_DEP_2)
	v_sub_f32_e32 v53, v50, v52
	v_sub_f32_e32 v40, v40, v44
	s_delay_alu instid0(VALU_DEP_2) | instskip(NEXT) | instid1(VALU_DEP_2)
	v_dual_sub_f32 v44, v45, v52 :: v_dual_sub_f32 v43, v43, v53
	v_add_f32_e32 v45, v39, v40
	s_delay_alu instid0(VALU_DEP_2) | instskip(NEXT) | instid1(VALU_DEP_2)
	v_add_f32_e32 v43, v44, v43
	v_sub_f32_e32 v44, v45, v39
	s_delay_alu instid0(VALU_DEP_2) | instskip(NEXT) | instid1(VALU_DEP_2)
	v_add_f32_e32 v43, v45, v43
	v_sub_f32_e32 v45, v45, v44
	s_delay_alu instid0(VALU_DEP_2) | instskip(NEXT) | instid1(VALU_DEP_2)
	v_dual_sub_f32 v40, v40, v44 :: v_dual_add_f32 v51, v50, v43
	v_sub_f32_e32 v39, v39, v45
	s_delay_alu instid0(VALU_DEP_1) | instskip(NEXT) | instid1(VALU_DEP_1)
	v_dual_sub_f32 v44, v51, v50 :: v_dual_add_f32 v39, v40, v39
	v_sub_f32_e32 v40, v43, v44
	s_delay_alu instid0(VALU_DEP_1) | instskip(NEXT) | instid1(VALU_DEP_1)
	v_add_f32_e32 v39, v39, v40
	v_add_f32_e32 v39, v51, v39
	s_delay_alu instid0(VALU_DEP_1) | instskip(NEXT) | instid1(VALU_DEP_1)
	v_cndmask_b32_e64 v39, v39, v41, s40
	v_add_f32_e32 v39, v37, v39
.LBB471_78:
	s_or_b32 exec_lo, exec_lo, s41
	s_delay_alu instid0(VALU_DEP_1) | instskip(SKIP_1) | instid1(VALU_DEP_2)
	v_bfe_u32 v37, v39, 16, 1
	v_cmp_o_f32_e64 s40, v39, v39
	v_add3_u32 v37, v39, v37, 0x7fff
	s_delay_alu instid0(VALU_DEP_1) | instskip(NEXT) | instid1(VALU_DEP_1)
	v_and_b32_e32 v37, 0xffff0000, v37
	v_cndmask_b32_e64 v40, 0x7fc00000, v37, s40
	s_delay_alu instid0(VALU_DEP_1) | instskip(SKIP_2) | instid1(VALU_DEP_2)
	v_max_f32_e32 v37, v40, v40
	v_and_b32_e32 v4, 0xffff0000, v4
	v_cmp_u_f32_e64 s40, v40, v40
	v_max_f32_e32 v39, v4, v4
	s_delay_alu instid0(VALU_DEP_1) | instskip(SKIP_1) | instid1(VALU_DEP_2)
	v_min_f32_e32 v41, v37, v39
	v_max_f32_e32 v37, v37, v39
	v_cndmask_b32_e64 v41, v41, v40, s40
	s_delay_alu instid0(VALU_DEP_2) | instskip(SKIP_1) | instid1(VALU_DEP_1)
	v_cndmask_b32_e64 v37, v37, v40, s40
	v_cmp_u_f32_e64 s40, v4, v4
	v_cndmask_b32_e64 v41, v41, v4, s40
	s_delay_alu instid0(VALU_DEP_3) | instskip(NEXT) | instid1(VALU_DEP_2)
	v_cndmask_b32_e64 v37, v37, v4, s40
	v_cmp_class_f32_e64 s42, v41, 0x1f8
	s_delay_alu instid0(VALU_DEP_2) | instskip(NEXT) | instid1(VALU_DEP_1)
	v_cmp_neq_f32_e64 s41, v41, v37
	s_or_b32 s41, s41, s42
	s_delay_alu instid0(SALU_CYCLE_1)
	s_and_saveexec_b32 s42, s41
	s_cbranch_execz .LBB471_80
; %bb.79:
	v_sub_f32_e32 v40, v41, v37
	s_delay_alu instid0(VALU_DEP_1) | instskip(SKIP_1) | instid1(VALU_DEP_2)
	v_mul_f32_e32 v41, 0x3fb8aa3b, v40
	v_cmp_ngt_f32_e64 s41, 0xc2ce8ed0, v40
	v_fma_f32 v43, 0x3fb8aa3b, v40, -v41
	v_rndne_f32_e32 v44, v41
	s_delay_alu instid0(VALU_DEP_2) | instskip(NEXT) | instid1(VALU_DEP_2)
	v_fmamk_f32 v43, v40, 0x32a5705f, v43
	v_sub_f32_e32 v41, v41, v44
	s_delay_alu instid0(VALU_DEP_1) | instskip(SKIP_1) | instid1(VALU_DEP_2)
	v_add_f32_e32 v41, v41, v43
	v_cvt_i32_f32_e32 v43, v44
	v_exp_f32_e32 v41, v41
	s_waitcnt_depctr 0xfff
	v_ldexp_f32 v41, v41, v43
	s_delay_alu instid0(VALU_DEP_1) | instskip(SKIP_1) | instid1(VALU_DEP_1)
	v_cndmask_b32_e64 v41, 0, v41, s41
	v_cmp_nlt_f32_e64 s41, 0x42b17218, v40
	v_cndmask_b32_e64 v43, 0x7f800000, v41, s41
	s_delay_alu instid0(VALU_DEP_1) | instskip(SKIP_1) | instid1(VALU_DEP_2)
	v_add_f32_e32 v44, 1.0, v43
	v_cmp_gt_f32_e64 s43, 0x33800000, |v43|
	v_cvt_f64_f32_e32 v[40:41], v44
	s_delay_alu instid0(VALU_DEP_1) | instskip(SKIP_1) | instid1(VALU_DEP_1)
	v_frexp_exp_i32_f64_e32 v40, v[40:41]
	v_frexp_mant_f32_e32 v41, v44
	v_cmp_gt_f32_e64 s41, 0x3f2aaaab, v41
	v_add_f32_e32 v41, -1.0, v44
	s_delay_alu instid0(VALU_DEP_1) | instskip(NEXT) | instid1(VALU_DEP_1)
	v_sub_f32_e32 v50, v41, v44
	v_add_f32_e32 v50, 1.0, v50
	s_delay_alu instid0(VALU_DEP_4) | instskip(SKIP_1) | instid1(VALU_DEP_1)
	v_subrev_co_ci_u32_e64 v40, s41, 0, v40, s41
	s_mov_b32 s41, 0x3e9b6dac
	v_sub_nc_u32_e32 v45, 0, v40
	v_cvt_f32_i32_e32 v40, v40
	s_delay_alu instid0(VALU_DEP_2) | instskip(NEXT) | instid1(VALU_DEP_1)
	v_ldexp_f32 v44, v44, v45
	v_add_f32_e32 v51, 1.0, v44
	v_sub_f32_e32 v41, v43, v41
	s_delay_alu instid0(VALU_DEP_1) | instskip(NEXT) | instid1(VALU_DEP_1)
	v_add_f32_e32 v41, v41, v50
	v_ldexp_f32 v41, v41, v45
	v_add_f32_e32 v45, -1.0, v44
	s_delay_alu instid0(VALU_DEP_1) | instskip(SKIP_1) | instid1(VALU_DEP_1)
	v_add_f32_e32 v52, 1.0, v45
	v_add_f32_e32 v50, -1.0, v51
	v_sub_f32_e32 v50, v44, v50
	s_delay_alu instid0(VALU_DEP_3) | instskip(NEXT) | instid1(VALU_DEP_2)
	v_sub_f32_e32 v44, v44, v52
	v_add_f32_e32 v50, v41, v50
	s_delay_alu instid0(VALU_DEP_1) | instskip(NEXT) | instid1(VALU_DEP_1)
	v_dual_add_f32 v41, v41, v44 :: v_dual_add_f32 v52, v51, v50
	v_rcp_f32_e32 v44, v52
	v_sub_f32_e32 v51, v51, v52
	s_delay_alu instid0(VALU_DEP_1) | instskip(NEXT) | instid1(VALU_DEP_1)
	v_dual_add_f32 v53, v45, v41 :: v_dual_add_f32 v50, v50, v51
	v_sub_f32_e32 v45, v45, v53
	s_waitcnt_depctr 0xfff
	v_mul_f32_e32 v54, v53, v44
	v_add_f32_e32 v41, v41, v45
	s_delay_alu instid0(VALU_DEP_2) | instskip(NEXT) | instid1(VALU_DEP_1)
	v_mul_f32_e32 v55, v52, v54
	v_fma_f32 v51, v54, v52, -v55
	s_delay_alu instid0(VALU_DEP_1) | instskip(NEXT) | instid1(VALU_DEP_1)
	v_fmac_f32_e32 v51, v54, v50
	v_add_f32_e32 v56, v55, v51
	s_delay_alu instid0(VALU_DEP_1) | instskip(SKIP_1) | instid1(VALU_DEP_2)
	v_sub_f32_e32 v57, v53, v56
	v_sub_f32_e32 v45, v56, v55
	v_sub_f32_e32 v53, v53, v57
	s_delay_alu instid0(VALU_DEP_2) | instskip(NEXT) | instid1(VALU_DEP_2)
	v_sub_f32_e32 v45, v45, v51
	v_sub_f32_e32 v53, v53, v56
	s_delay_alu instid0(VALU_DEP_1) | instskip(NEXT) | instid1(VALU_DEP_1)
	v_add_f32_e32 v41, v41, v53
	v_add_f32_e32 v41, v45, v41
	s_delay_alu instid0(VALU_DEP_1) | instskip(NEXT) | instid1(VALU_DEP_1)
	v_add_f32_e32 v45, v57, v41
	v_mul_f32_e32 v51, v44, v45
	s_delay_alu instid0(VALU_DEP_1) | instskip(NEXT) | instid1(VALU_DEP_1)
	v_mul_f32_e32 v53, v52, v51
	v_fma_f32 v52, v51, v52, -v53
	s_delay_alu instid0(VALU_DEP_1) | instskip(SKIP_1) | instid1(VALU_DEP_2)
	v_fmac_f32_e32 v52, v51, v50
	v_sub_f32_e32 v56, v57, v45
	v_add_f32_e32 v50, v53, v52
	s_delay_alu instid0(VALU_DEP_2) | instskip(NEXT) | instid1(VALU_DEP_2)
	v_add_f32_e32 v41, v41, v56
	v_sub_f32_e32 v55, v45, v50
	v_sub_f32_e32 v53, v50, v53
	s_delay_alu instid0(VALU_DEP_2) | instskip(NEXT) | instid1(VALU_DEP_1)
	v_sub_f32_e32 v45, v45, v55
	v_sub_f32_e32 v45, v45, v50
	s_delay_alu instid0(VALU_DEP_3) | instskip(NEXT) | instid1(VALU_DEP_2)
	v_sub_f32_e32 v50, v53, v52
	v_add_f32_e32 v41, v41, v45
	v_add_f32_e32 v45, v54, v51
	s_delay_alu instid0(VALU_DEP_1) | instskip(NEXT) | instid1(VALU_DEP_1)
	v_dual_add_f32 v41, v50, v41 :: v_dual_sub_f32 v50, v45, v54
	v_add_f32_e32 v41, v55, v41
	s_delay_alu instid0(VALU_DEP_1) | instskip(NEXT) | instid1(VALU_DEP_1)
	v_dual_sub_f32 v50, v51, v50 :: v_dual_mul_f32 v41, v44, v41
	v_add_f32_e32 v41, v50, v41
	s_delay_alu instid0(VALU_DEP_1) | instskip(NEXT) | instid1(VALU_DEP_1)
	v_add_f32_e32 v44, v45, v41
	v_mul_f32_e32 v50, v44, v44
	s_delay_alu instid0(VALU_DEP_1) | instskip(SKIP_2) | instid1(VALU_DEP_3)
	v_fmaak_f32 v51, s41, v50, 0x3ecc95a3
	v_mul_f32_e32 v52, v44, v50
	v_cmp_eq_f32_e64 s41, 0x7f800000, v43
	v_fmaak_f32 v50, v50, v51, 0x3f2aaada
	v_ldexp_f32 v51, v44, 1
	v_sub_f32_e32 v44, v44, v45
	s_delay_alu instid0(VALU_DEP_4) | instskip(NEXT) | instid1(VALU_DEP_3)
	s_or_b32 s41, s41, s43
	v_mul_f32_e32 v50, v52, v50
	v_mul_f32_e32 v52, 0x3f317218, v40
	s_delay_alu instid0(VALU_DEP_3) | instskip(NEXT) | instid1(VALU_DEP_3)
	v_sub_f32_e32 v41, v41, v44
	v_add_f32_e32 v45, v51, v50
	s_delay_alu instid0(VALU_DEP_2) | instskip(NEXT) | instid1(VALU_DEP_2)
	v_ldexp_f32 v41, v41, 1
	v_sub_f32_e32 v44, v45, v51
	v_fma_f32 v51, 0x3f317218, v40, -v52
	s_delay_alu instid0(VALU_DEP_2) | instskip(NEXT) | instid1(VALU_DEP_1)
	v_sub_f32_e32 v44, v50, v44
	v_dual_fmamk_f32 v40, v40, 0xb102e308, v51 :: v_dual_add_f32 v41, v41, v44
	s_delay_alu instid0(VALU_DEP_1) | instskip(NEXT) | instid1(VALU_DEP_2)
	v_add_f32_e32 v44, v52, v40
	v_add_f32_e32 v50, v45, v41
	s_delay_alu instid0(VALU_DEP_2) | instskip(NEXT) | instid1(VALU_DEP_2)
	v_sub_f32_e32 v52, v44, v52
	v_add_f32_e32 v51, v44, v50
	s_delay_alu instid0(VALU_DEP_2) | instskip(NEXT) | instid1(VALU_DEP_2)
	v_dual_sub_f32 v45, v50, v45 :: v_dual_sub_f32 v40, v40, v52
	v_sub_f32_e32 v53, v51, v44
	s_delay_alu instid0(VALU_DEP_2) | instskip(NEXT) | instid1(VALU_DEP_2)
	v_sub_f32_e32 v41, v41, v45
	v_sub_f32_e32 v54, v51, v53
	;; [unrolled: 1-line block ×3, first 2 shown]
	s_delay_alu instid0(VALU_DEP_3) | instskip(NEXT) | instid1(VALU_DEP_3)
	v_add_f32_e32 v50, v40, v41
	v_sub_f32_e32 v44, v44, v54
	s_delay_alu instid0(VALU_DEP_1) | instskip(NEXT) | instid1(VALU_DEP_3)
	v_add_f32_e32 v44, v45, v44
	v_sub_f32_e32 v45, v50, v40
	s_delay_alu instid0(VALU_DEP_2) | instskip(NEXT) | instid1(VALU_DEP_2)
	v_add_f32_e32 v44, v50, v44
	v_sub_f32_e32 v50, v50, v45
	s_delay_alu instid0(VALU_DEP_1) | instskip(NEXT) | instid1(VALU_DEP_1)
	v_dual_sub_f32 v41, v41, v45 :: v_dual_sub_f32 v40, v40, v50
	v_add_f32_e32 v40, v41, v40
	s_delay_alu instid0(VALU_DEP_4) | instskip(NEXT) | instid1(VALU_DEP_1)
	v_add_f32_e32 v52, v51, v44
	v_sub_f32_e32 v45, v52, v51
	s_delay_alu instid0(VALU_DEP_1) | instskip(NEXT) | instid1(VALU_DEP_1)
	v_sub_f32_e32 v41, v44, v45
	v_add_f32_e32 v40, v40, v41
	s_delay_alu instid0(VALU_DEP_1) | instskip(NEXT) | instid1(VALU_DEP_1)
	v_add_f32_e32 v40, v52, v40
	v_cndmask_b32_e64 v40, v40, v43, s41
	s_delay_alu instid0(VALU_DEP_1)
	v_add_f32_e32 v40, v37, v40
.LBB471_80:
	s_or_b32 exec_lo, exec_lo, s42
	s_delay_alu instid0(VALU_DEP_1) | instskip(SKIP_1) | instid1(VALU_DEP_2)
	v_bfe_u32 v37, v40, 16, 1
	v_cmp_o_f32_e64 s41, v40, v40
	v_add3_u32 v37, v40, v37, 0x7fff
	s_delay_alu instid0(VALU_DEP_1) | instskip(SKIP_1) | instid1(VALU_DEP_2)
	v_and_b32_e32 v41, 0xffff0000, v37
	v_lshlrev_b32_e32 v37, 16, v5
	v_cndmask_b32_e64 v43, 0x7fc00000, v41, s41
	s_delay_alu instid0(VALU_DEP_1) | instskip(SKIP_1) | instid1(VALU_DEP_2)
	v_dual_max_f32 v41, v37, v37 :: v_dual_max_f32 v40, v43, v43
	v_cmp_u_f32_e64 s41, v43, v43
	v_min_f32_e32 v44, v40, v41
	v_max_f32_e32 v40, v40, v41
	s_delay_alu instid0(VALU_DEP_2) | instskip(NEXT) | instid1(VALU_DEP_2)
	v_cndmask_b32_e64 v44, v44, v43, s41
	v_cndmask_b32_e64 v40, v40, v43, s41
	v_cmp_u_f32_e64 s41, v37, v37
	s_delay_alu instid0(VALU_DEP_1) | instskip(NEXT) | instid1(VALU_DEP_3)
	v_cndmask_b32_e64 v44, v44, v37, s41
	v_cndmask_b32_e64 v40, v40, v37, s41
	s_delay_alu instid0(VALU_DEP_2) | instskip(NEXT) | instid1(VALU_DEP_2)
	v_cmp_class_f32_e64 s43, v44, 0x1f8
	v_cmp_neq_f32_e64 s42, v44, v40
	s_delay_alu instid0(VALU_DEP_1) | instskip(NEXT) | instid1(SALU_CYCLE_1)
	s_or_b32 s42, s42, s43
	s_and_saveexec_b32 s43, s42
	s_cbranch_execz .LBB471_82
; %bb.81:
	v_sub_f32_e32 v43, v44, v40
	s_delay_alu instid0(VALU_DEP_1) | instskip(SKIP_1) | instid1(VALU_DEP_2)
	v_mul_f32_e32 v44, 0x3fb8aa3b, v43
	v_cmp_ngt_f32_e64 s42, 0xc2ce8ed0, v43
	v_fma_f32 v45, 0x3fb8aa3b, v43, -v44
	v_rndne_f32_e32 v50, v44
	s_delay_alu instid0(VALU_DEP_1) | instskip(NEXT) | instid1(VALU_DEP_1)
	v_dual_fmamk_f32 v45, v43, 0x32a5705f, v45 :: v_dual_sub_f32 v44, v44, v50
	v_add_f32_e32 v44, v44, v45
	v_cvt_i32_f32_e32 v45, v50
	s_delay_alu instid0(VALU_DEP_2) | instskip(SKIP_2) | instid1(VALU_DEP_1)
	v_exp_f32_e32 v44, v44
	s_waitcnt_depctr 0xfff
	v_ldexp_f32 v44, v44, v45
	v_cndmask_b32_e64 v44, 0, v44, s42
	v_cmp_nlt_f32_e64 s42, 0x42b17218, v43
	s_delay_alu instid0(VALU_DEP_1) | instskip(NEXT) | instid1(VALU_DEP_1)
	v_cndmask_b32_e64 v45, 0x7f800000, v44, s42
	v_add_f32_e32 v50, 1.0, v45
	v_cmp_gt_f32_e64 s44, 0x33800000, |v45|
	s_delay_alu instid0(VALU_DEP_2) | instskip(NEXT) | instid1(VALU_DEP_1)
	v_cvt_f64_f32_e32 v[43:44], v50
	v_frexp_exp_i32_f64_e32 v43, v[43:44]
	v_frexp_mant_f32_e32 v44, v50
	s_delay_alu instid0(VALU_DEP_1) | instskip(SKIP_1) | instid1(VALU_DEP_1)
	v_cmp_gt_f32_e64 s42, 0x3f2aaaab, v44
	v_add_f32_e32 v44, -1.0, v50
	v_sub_f32_e32 v52, v44, v50
	v_sub_f32_e32 v44, v45, v44
	s_delay_alu instid0(VALU_DEP_4) | instskip(SKIP_1) | instid1(VALU_DEP_1)
	v_subrev_co_ci_u32_e64 v43, s42, 0, v43, s42
	s_mov_b32 s42, 0x3e9b6dac
	v_sub_nc_u32_e32 v51, 0, v43
	v_cvt_f32_i32_e32 v43, v43
	s_delay_alu instid0(VALU_DEP_2) | instskip(NEXT) | instid1(VALU_DEP_1)
	v_ldexp_f32 v50, v50, v51
	v_dual_add_f32 v53, 1.0, v50 :: v_dual_add_f32 v52, 1.0, v52
	s_delay_alu instid0(VALU_DEP_1) | instskip(NEXT) | instid1(VALU_DEP_2)
	v_add_f32_e32 v44, v44, v52
	v_add_f32_e32 v52, -1.0, v53
	s_delay_alu instid0(VALU_DEP_2) | instskip(NEXT) | instid1(VALU_DEP_2)
	v_ldexp_f32 v44, v44, v51
	v_dual_add_f32 v51, -1.0, v50 :: v_dual_sub_f32 v52, v50, v52
	s_delay_alu instid0(VALU_DEP_1) | instskip(NEXT) | instid1(VALU_DEP_2)
	v_add_f32_e32 v54, 1.0, v51
	v_add_f32_e32 v52, v44, v52
	s_delay_alu instid0(VALU_DEP_2) | instskip(NEXT) | instid1(VALU_DEP_2)
	v_sub_f32_e32 v50, v50, v54
	v_add_f32_e32 v54, v53, v52
	s_delay_alu instid0(VALU_DEP_2) | instskip(NEXT) | instid1(VALU_DEP_2)
	v_add_f32_e32 v44, v44, v50
	v_rcp_f32_e32 v50, v54
	v_sub_f32_e32 v53, v53, v54
	s_delay_alu instid0(VALU_DEP_1) | instskip(NEXT) | instid1(VALU_DEP_1)
	v_dual_add_f32 v55, v51, v44 :: v_dual_add_f32 v52, v52, v53
	v_sub_f32_e32 v51, v51, v55
	s_waitcnt_depctr 0xfff
	v_mul_f32_e32 v56, v55, v50
	s_delay_alu instid0(VALU_DEP_1) | instskip(NEXT) | instid1(VALU_DEP_1)
	v_dual_add_f32 v44, v44, v51 :: v_dual_mul_f32 v57, v54, v56
	v_fma_f32 v53, v56, v54, -v57
	s_delay_alu instid0(VALU_DEP_1) | instskip(NEXT) | instid1(VALU_DEP_1)
	v_fmac_f32_e32 v53, v56, v52
	v_add_f32_e32 v58, v57, v53
	s_delay_alu instid0(VALU_DEP_1) | instskip(SKIP_1) | instid1(VALU_DEP_2)
	v_sub_f32_e32 v59, v55, v58
	v_sub_f32_e32 v51, v58, v57
	;; [unrolled: 1-line block ×3, first 2 shown]
	s_delay_alu instid0(VALU_DEP_2) | instskip(NEXT) | instid1(VALU_DEP_2)
	v_sub_f32_e32 v51, v51, v53
	v_sub_f32_e32 v55, v55, v58
	s_delay_alu instid0(VALU_DEP_1) | instskip(NEXT) | instid1(VALU_DEP_1)
	v_add_f32_e32 v44, v44, v55
	v_add_f32_e32 v44, v51, v44
	s_delay_alu instid0(VALU_DEP_1) | instskip(NEXT) | instid1(VALU_DEP_1)
	v_add_f32_e32 v51, v59, v44
	v_mul_f32_e32 v53, v50, v51
	s_delay_alu instid0(VALU_DEP_1) | instskip(NEXT) | instid1(VALU_DEP_1)
	v_dual_sub_f32 v58, v59, v51 :: v_dual_mul_f32 v55, v54, v53
	v_add_f32_e32 v44, v44, v58
	s_delay_alu instid0(VALU_DEP_2) | instskip(NEXT) | instid1(VALU_DEP_1)
	v_fma_f32 v54, v53, v54, -v55
	v_fmac_f32_e32 v54, v53, v52
	s_delay_alu instid0(VALU_DEP_1) | instskip(NEXT) | instid1(VALU_DEP_1)
	v_add_f32_e32 v52, v55, v54
	v_sub_f32_e32 v57, v51, v52
	v_sub_f32_e32 v55, v52, v55
	s_delay_alu instid0(VALU_DEP_2) | instskip(NEXT) | instid1(VALU_DEP_1)
	v_sub_f32_e32 v51, v51, v57
	v_sub_f32_e32 v51, v51, v52
	s_delay_alu instid0(VALU_DEP_3) | instskip(NEXT) | instid1(VALU_DEP_2)
	v_sub_f32_e32 v52, v55, v54
	v_add_f32_e32 v44, v44, v51
	v_add_f32_e32 v51, v56, v53
	s_delay_alu instid0(VALU_DEP_2) | instskip(NEXT) | instid1(VALU_DEP_2)
	v_add_f32_e32 v44, v52, v44
	v_sub_f32_e32 v52, v51, v56
	s_delay_alu instid0(VALU_DEP_2) | instskip(NEXT) | instid1(VALU_DEP_2)
	v_add_f32_e32 v44, v57, v44
	v_sub_f32_e32 v52, v53, v52
	s_delay_alu instid0(VALU_DEP_2) | instskip(NEXT) | instid1(VALU_DEP_1)
	v_mul_f32_e32 v44, v50, v44
	v_add_f32_e32 v44, v52, v44
	s_delay_alu instid0(VALU_DEP_1) | instskip(NEXT) | instid1(VALU_DEP_1)
	v_add_f32_e32 v50, v51, v44
	v_mul_f32_e32 v52, v50, v50
	s_delay_alu instid0(VALU_DEP_1) | instskip(SKIP_2) | instid1(VALU_DEP_3)
	v_fmaak_f32 v53, s42, v52, 0x3ecc95a3
	v_mul_f32_e32 v54, v50, v52
	v_cmp_eq_f32_e64 s42, 0x7f800000, v45
	v_fmaak_f32 v52, v52, v53, 0x3f2aaada
	v_ldexp_f32 v53, v50, 1
	v_sub_f32_e32 v50, v50, v51
	s_delay_alu instid0(VALU_DEP_4) | instskip(NEXT) | instid1(VALU_DEP_3)
	s_or_b32 s42, s42, s44
	v_mul_f32_e32 v52, v54, v52
	v_mul_f32_e32 v54, 0x3f317218, v43
	s_delay_alu instid0(VALU_DEP_2) | instskip(NEXT) | instid1(VALU_DEP_1)
	v_dual_sub_f32 v44, v44, v50 :: v_dual_add_f32 v51, v53, v52
	v_ldexp_f32 v44, v44, 1
	s_delay_alu instid0(VALU_DEP_2) | instskip(NEXT) | instid1(VALU_DEP_4)
	v_sub_f32_e32 v50, v51, v53
	v_fma_f32 v53, 0x3f317218, v43, -v54
	s_delay_alu instid0(VALU_DEP_1) | instskip(NEXT) | instid1(VALU_DEP_1)
	v_dual_sub_f32 v50, v52, v50 :: v_dual_fmamk_f32 v43, v43, 0xb102e308, v53
	v_add_f32_e32 v44, v44, v50
	s_delay_alu instid0(VALU_DEP_2) | instskip(NEXT) | instid1(VALU_DEP_2)
	v_add_f32_e32 v50, v54, v43
	v_add_f32_e32 v52, v51, v44
	s_delay_alu instid0(VALU_DEP_2) | instskip(NEXT) | instid1(VALU_DEP_2)
	v_sub_f32_e32 v54, v50, v54
	v_add_f32_e32 v53, v50, v52
	v_sub_f32_e32 v51, v52, v51
	s_delay_alu instid0(VALU_DEP_3) | instskip(NEXT) | instid1(VALU_DEP_2)
	v_sub_f32_e32 v43, v43, v54
	v_dual_sub_f32 v55, v53, v50 :: v_dual_sub_f32 v44, v44, v51
	s_delay_alu instid0(VALU_DEP_1) | instskip(NEXT) | instid1(VALU_DEP_2)
	v_sub_f32_e32 v56, v53, v55
	v_dual_sub_f32 v51, v52, v55 :: v_dual_add_f32 v52, v43, v44
	s_delay_alu instid0(VALU_DEP_2) | instskip(NEXT) | instid1(VALU_DEP_1)
	v_sub_f32_e32 v50, v50, v56
	v_dual_add_f32 v50, v51, v50 :: v_dual_sub_f32 v51, v52, v43
	s_delay_alu instid0(VALU_DEP_1) | instskip(NEXT) | instid1(VALU_DEP_2)
	v_add_f32_e32 v50, v52, v50
	v_sub_f32_e32 v52, v52, v51
	v_sub_f32_e32 v44, v44, v51
	s_delay_alu instid0(VALU_DEP_2) | instskip(NEXT) | instid1(VALU_DEP_1)
	v_dual_add_f32 v54, v53, v50 :: v_dual_sub_f32 v43, v43, v52
	v_sub_f32_e32 v51, v54, v53
	s_delay_alu instid0(VALU_DEP_2) | instskip(NEXT) | instid1(VALU_DEP_2)
	v_add_f32_e32 v43, v44, v43
	v_sub_f32_e32 v44, v50, v51
	s_delay_alu instid0(VALU_DEP_1) | instskip(NEXT) | instid1(VALU_DEP_1)
	v_add_f32_e32 v43, v43, v44
	v_add_f32_e32 v43, v54, v43
	s_delay_alu instid0(VALU_DEP_1) | instskip(NEXT) | instid1(VALU_DEP_1)
	v_cndmask_b32_e64 v43, v43, v45, s42
	v_add_f32_e32 v43, v40, v43
.LBB471_82:
	s_or_b32 exec_lo, exec_lo, s43
	s_delay_alu instid0(VALU_DEP_1) | instskip(SKIP_2) | instid1(VALU_DEP_3)
	v_bfe_u32 v40, v43, 16, 1
	v_and_b32_e32 v5, 0xffff0000, v5
	v_cmp_o_f32_e64 s42, v43, v43
	v_add3_u32 v40, v43, v40, 0x7fff
	s_delay_alu instid0(VALU_DEP_1) | instskip(NEXT) | instid1(VALU_DEP_1)
	v_dual_max_f32 v43, v5, v5 :: v_dual_and_b32 v40, 0xffff0000, v40
	v_cndmask_b32_e64 v44, 0x7fc00000, v40, s42
	s_delay_alu instid0(VALU_DEP_1) | instskip(SKIP_1) | instid1(VALU_DEP_2)
	v_max_f32_e32 v40, v44, v44
	v_cmp_u_f32_e64 s42, v44, v44
	v_min_f32_e32 v45, v40, v43
	v_max_f32_e32 v40, v40, v43
	s_delay_alu instid0(VALU_DEP_2) | instskip(NEXT) | instid1(VALU_DEP_2)
	v_cndmask_b32_e64 v45, v45, v44, s42
	v_cndmask_b32_e64 v40, v40, v44, s42
	v_cmp_u_f32_e64 s42, v5, v5
	s_delay_alu instid0(VALU_DEP_1) | instskip(NEXT) | instid1(VALU_DEP_3)
	v_cndmask_b32_e64 v45, v45, v5, s42
	v_cndmask_b32_e64 v40, v40, v5, s42
	s_delay_alu instid0(VALU_DEP_2) | instskip(NEXT) | instid1(VALU_DEP_2)
	v_cmp_class_f32_e64 s44, v45, 0x1f8
	v_cmp_neq_f32_e64 s43, v45, v40
	s_delay_alu instid0(VALU_DEP_1) | instskip(NEXT) | instid1(SALU_CYCLE_1)
	s_or_b32 s43, s43, s44
	s_and_saveexec_b32 s44, s43
	s_cbranch_execz .LBB471_84
; %bb.83:
	v_sub_f32_e32 v44, v45, v40
	s_delay_alu instid0(VALU_DEP_1) | instskip(SKIP_1) | instid1(VALU_DEP_2)
	v_mul_f32_e32 v45, 0x3fb8aa3b, v44
	v_cmp_ngt_f32_e64 s43, 0xc2ce8ed0, v44
	v_fma_f32 v50, 0x3fb8aa3b, v44, -v45
	v_rndne_f32_e32 v51, v45
	s_delay_alu instid0(VALU_DEP_1) | instskip(NEXT) | instid1(VALU_DEP_1)
	v_dual_fmamk_f32 v50, v44, 0x32a5705f, v50 :: v_dual_sub_f32 v45, v45, v51
	v_add_f32_e32 v45, v45, v50
	v_cvt_i32_f32_e32 v50, v51
	s_delay_alu instid0(VALU_DEP_2) | instskip(SKIP_2) | instid1(VALU_DEP_1)
	v_exp_f32_e32 v45, v45
	s_waitcnt_depctr 0xfff
	v_ldexp_f32 v45, v45, v50
	v_cndmask_b32_e64 v45, 0, v45, s43
	v_cmp_nlt_f32_e64 s43, 0x42b17218, v44
	s_delay_alu instid0(VALU_DEP_1) | instskip(NEXT) | instid1(VALU_DEP_1)
	v_cndmask_b32_e64 v50, 0x7f800000, v45, s43
	v_add_f32_e32 v51, 1.0, v50
	v_cmp_gt_f32_e64 s46, 0x33800000, |v50|
	s_delay_alu instid0(VALU_DEP_2) | instskip(NEXT) | instid1(VALU_DEP_1)
	v_cvt_f64_f32_e32 v[44:45], v51
	v_frexp_exp_i32_f64_e32 v44, v[44:45]
	v_frexp_mant_f32_e32 v45, v51
	s_delay_alu instid0(VALU_DEP_1) | instskip(SKIP_1) | instid1(VALU_DEP_1)
	v_cmp_gt_f32_e64 s43, 0x3f2aaaab, v45
	v_add_f32_e32 v45, -1.0, v51
	v_sub_f32_e32 v53, v45, v51
	v_sub_f32_e32 v45, v50, v45
	s_delay_alu instid0(VALU_DEP_4) | instskip(SKIP_1) | instid1(VALU_DEP_1)
	v_subrev_co_ci_u32_e64 v44, s43, 0, v44, s43
	s_mov_b32 s43, 0x3e9b6dac
	v_sub_nc_u32_e32 v52, 0, v44
	v_cvt_f32_i32_e32 v44, v44
	s_delay_alu instid0(VALU_DEP_2) | instskip(NEXT) | instid1(VALU_DEP_1)
	v_ldexp_f32 v51, v51, v52
	v_dual_add_f32 v54, 1.0, v51 :: v_dual_add_f32 v53, 1.0, v53
	s_delay_alu instid0(VALU_DEP_1) | instskip(NEXT) | instid1(VALU_DEP_2)
	v_add_f32_e32 v45, v45, v53
	v_add_f32_e32 v53, -1.0, v54
	s_delay_alu instid0(VALU_DEP_2) | instskip(NEXT) | instid1(VALU_DEP_2)
	v_ldexp_f32 v45, v45, v52
	v_dual_add_f32 v52, -1.0, v51 :: v_dual_sub_f32 v53, v51, v53
	s_delay_alu instid0(VALU_DEP_1) | instskip(NEXT) | instid1(VALU_DEP_2)
	v_add_f32_e32 v55, 1.0, v52
	v_add_f32_e32 v53, v45, v53
	s_delay_alu instid0(VALU_DEP_2) | instskip(NEXT) | instid1(VALU_DEP_2)
	v_sub_f32_e32 v51, v51, v55
	v_add_f32_e32 v55, v54, v53
	s_delay_alu instid0(VALU_DEP_2) | instskip(NEXT) | instid1(VALU_DEP_2)
	v_add_f32_e32 v45, v45, v51
	v_rcp_f32_e32 v51, v55
	v_sub_f32_e32 v54, v54, v55
	s_delay_alu instid0(VALU_DEP_1) | instskip(NEXT) | instid1(VALU_DEP_1)
	v_dual_add_f32 v56, v52, v45 :: v_dual_add_f32 v53, v53, v54
	v_sub_f32_e32 v52, v52, v56
	s_waitcnt_depctr 0xfff
	v_mul_f32_e32 v57, v56, v51
	s_delay_alu instid0(VALU_DEP_1) | instskip(NEXT) | instid1(VALU_DEP_1)
	v_dual_add_f32 v45, v45, v52 :: v_dual_mul_f32 v58, v55, v57
	v_fma_f32 v54, v57, v55, -v58
	s_delay_alu instid0(VALU_DEP_1) | instskip(NEXT) | instid1(VALU_DEP_1)
	v_fmac_f32_e32 v54, v57, v53
	v_add_f32_e32 v59, v58, v54
	s_delay_alu instid0(VALU_DEP_1) | instskip(SKIP_1) | instid1(VALU_DEP_2)
	v_sub_f32_e32 v60, v56, v59
	v_sub_f32_e32 v52, v59, v58
	;; [unrolled: 1-line block ×3, first 2 shown]
	s_delay_alu instid0(VALU_DEP_2) | instskip(NEXT) | instid1(VALU_DEP_2)
	v_sub_f32_e32 v52, v52, v54
	v_sub_f32_e32 v56, v56, v59
	s_delay_alu instid0(VALU_DEP_1) | instskip(NEXT) | instid1(VALU_DEP_1)
	v_add_f32_e32 v45, v45, v56
	v_add_f32_e32 v45, v52, v45
	s_delay_alu instid0(VALU_DEP_1) | instskip(NEXT) | instid1(VALU_DEP_1)
	v_add_f32_e32 v52, v60, v45
	v_mul_f32_e32 v54, v51, v52
	s_delay_alu instid0(VALU_DEP_1) | instskip(NEXT) | instid1(VALU_DEP_1)
	v_dual_sub_f32 v59, v60, v52 :: v_dual_mul_f32 v56, v55, v54
	v_add_f32_e32 v45, v45, v59
	s_delay_alu instid0(VALU_DEP_2) | instskip(NEXT) | instid1(VALU_DEP_1)
	v_fma_f32 v55, v54, v55, -v56
	v_fmac_f32_e32 v55, v54, v53
	s_delay_alu instid0(VALU_DEP_1) | instskip(NEXT) | instid1(VALU_DEP_1)
	v_add_f32_e32 v53, v56, v55
	v_sub_f32_e32 v58, v52, v53
	v_sub_f32_e32 v56, v53, v56
	s_delay_alu instid0(VALU_DEP_2) | instskip(NEXT) | instid1(VALU_DEP_1)
	v_sub_f32_e32 v52, v52, v58
	v_sub_f32_e32 v52, v52, v53
	s_delay_alu instid0(VALU_DEP_3) | instskip(NEXT) | instid1(VALU_DEP_2)
	v_sub_f32_e32 v53, v56, v55
	v_add_f32_e32 v45, v45, v52
	v_add_f32_e32 v52, v57, v54
	s_delay_alu instid0(VALU_DEP_2) | instskip(NEXT) | instid1(VALU_DEP_2)
	v_add_f32_e32 v45, v53, v45
	v_sub_f32_e32 v53, v52, v57
	s_delay_alu instid0(VALU_DEP_2) | instskip(NEXT) | instid1(VALU_DEP_2)
	v_add_f32_e32 v45, v58, v45
	v_sub_f32_e32 v53, v54, v53
	s_delay_alu instid0(VALU_DEP_2) | instskip(NEXT) | instid1(VALU_DEP_1)
	v_mul_f32_e32 v45, v51, v45
	v_add_f32_e32 v45, v53, v45
	s_delay_alu instid0(VALU_DEP_1) | instskip(NEXT) | instid1(VALU_DEP_1)
	v_add_f32_e32 v51, v52, v45
	v_mul_f32_e32 v53, v51, v51
	s_delay_alu instid0(VALU_DEP_1) | instskip(SKIP_2) | instid1(VALU_DEP_3)
	v_fmaak_f32 v54, s43, v53, 0x3ecc95a3
	v_mul_f32_e32 v55, v51, v53
	v_cmp_eq_f32_e64 s43, 0x7f800000, v50
	v_fmaak_f32 v53, v53, v54, 0x3f2aaada
	v_ldexp_f32 v54, v51, 1
	v_sub_f32_e32 v51, v51, v52
	s_delay_alu instid0(VALU_DEP_4) | instskip(NEXT) | instid1(VALU_DEP_3)
	s_or_b32 s43, s43, s46
	v_mul_f32_e32 v53, v55, v53
	v_mul_f32_e32 v55, 0x3f317218, v44
	s_delay_alu instid0(VALU_DEP_2) | instskip(NEXT) | instid1(VALU_DEP_1)
	v_dual_sub_f32 v45, v45, v51 :: v_dual_add_f32 v52, v54, v53
	v_ldexp_f32 v45, v45, 1
	s_delay_alu instid0(VALU_DEP_2) | instskip(NEXT) | instid1(VALU_DEP_4)
	v_sub_f32_e32 v51, v52, v54
	v_fma_f32 v54, 0x3f317218, v44, -v55
	s_delay_alu instid0(VALU_DEP_1) | instskip(NEXT) | instid1(VALU_DEP_1)
	v_dual_sub_f32 v51, v53, v51 :: v_dual_fmamk_f32 v44, v44, 0xb102e308, v54
	v_add_f32_e32 v45, v45, v51
	s_delay_alu instid0(VALU_DEP_2) | instskip(NEXT) | instid1(VALU_DEP_2)
	v_add_f32_e32 v51, v55, v44
	v_add_f32_e32 v53, v52, v45
	s_delay_alu instid0(VALU_DEP_2) | instskip(NEXT) | instid1(VALU_DEP_2)
	v_sub_f32_e32 v55, v51, v55
	v_add_f32_e32 v54, v51, v53
	v_sub_f32_e32 v52, v53, v52
	s_delay_alu instid0(VALU_DEP_3) | instskip(NEXT) | instid1(VALU_DEP_2)
	v_sub_f32_e32 v44, v44, v55
	v_dual_sub_f32 v56, v54, v51 :: v_dual_sub_f32 v45, v45, v52
	s_delay_alu instid0(VALU_DEP_1) | instskip(NEXT) | instid1(VALU_DEP_2)
	v_sub_f32_e32 v57, v54, v56
	v_dual_sub_f32 v52, v53, v56 :: v_dual_add_f32 v53, v44, v45
	s_delay_alu instid0(VALU_DEP_2) | instskip(NEXT) | instid1(VALU_DEP_1)
	v_sub_f32_e32 v51, v51, v57
	v_dual_add_f32 v51, v52, v51 :: v_dual_sub_f32 v52, v53, v44
	s_delay_alu instid0(VALU_DEP_1) | instskip(NEXT) | instid1(VALU_DEP_2)
	v_add_f32_e32 v51, v53, v51
	v_sub_f32_e32 v53, v53, v52
	v_sub_f32_e32 v45, v45, v52
	s_delay_alu instid0(VALU_DEP_2) | instskip(NEXT) | instid1(VALU_DEP_1)
	v_dual_add_f32 v55, v54, v51 :: v_dual_sub_f32 v44, v44, v53
	v_sub_f32_e32 v52, v55, v54
	s_delay_alu instid0(VALU_DEP_2) | instskip(NEXT) | instid1(VALU_DEP_2)
	v_add_f32_e32 v44, v45, v44
	v_sub_f32_e32 v45, v51, v52
	s_delay_alu instid0(VALU_DEP_1) | instskip(NEXT) | instid1(VALU_DEP_1)
	v_add_f32_e32 v44, v44, v45
	v_add_f32_e32 v44, v55, v44
	s_delay_alu instid0(VALU_DEP_1) | instskip(NEXT) | instid1(VALU_DEP_1)
	v_cndmask_b32_e64 v44, v44, v50, s43
	v_add_f32_e32 v44, v40, v44
.LBB471_84:
	s_or_b32 exec_lo, exec_lo, s44
	s_delay_alu instid0(VALU_DEP_1) | instskip(SKIP_1) | instid1(VALU_DEP_2)
	v_bfe_u32 v40, v44, 16, 1
	v_cmp_o_f32_e64 s43, v44, v44
	v_add3_u32 v40, v44, v40, 0x7fff
	s_delay_alu instid0(VALU_DEP_1) | instskip(NEXT) | instid1(VALU_DEP_1)
	v_and_b32_e32 v45, 0xffff0000, v40
	v_cndmask_b32_e64 v50, 0x7fc00000, v45, s43
	s_delay_alu instid0(VALU_DEP_1) | instskip(SKIP_2) | instid1(VALU_DEP_2)
	v_max_f32_e32 v45, v50, v50
	v_lshlrev_b32_e32 v40, 16, v42
	v_cmp_u_f32_e64 s43, v50, v50
	v_max_f32_e32 v44, v40, v40
	s_delay_alu instid0(VALU_DEP_1) | instskip(SKIP_1) | instid1(VALU_DEP_2)
	v_min_f32_e32 v51, v45, v44
	v_max_f32_e32 v45, v45, v44
	v_cndmask_b32_e64 v51, v51, v50, s43
	s_delay_alu instid0(VALU_DEP_2) | instskip(SKIP_1) | instid1(VALU_DEP_1)
	v_cndmask_b32_e64 v45, v45, v50, s43
	v_cmp_u_f32_e64 s43, v40, v40
	v_cndmask_b32_e64 v51, v51, v40, s43
	s_delay_alu instid0(VALU_DEP_3) | instskip(NEXT) | instid1(VALU_DEP_2)
	v_cndmask_b32_e64 v45, v45, v40, s43
	v_cmp_class_f32_e64 s46, v51, 0x1f8
	s_delay_alu instid0(VALU_DEP_2) | instskip(NEXT) | instid1(VALU_DEP_1)
	v_cmp_neq_f32_e64 s44, v51, v45
	s_or_b32 s44, s44, s46
	s_delay_alu instid0(SALU_CYCLE_1)
	s_and_saveexec_b32 s46, s44
	s_cbranch_execz .LBB471_86
; %bb.85:
	v_sub_f32_e32 v50, v51, v45
	s_delay_alu instid0(VALU_DEP_1) | instskip(SKIP_1) | instid1(VALU_DEP_2)
	v_mul_f32_e32 v51, 0x3fb8aa3b, v50
	v_cmp_ngt_f32_e64 s44, 0xc2ce8ed0, v50
	v_fma_f32 v52, 0x3fb8aa3b, v50, -v51
	v_rndne_f32_e32 v53, v51
	s_delay_alu instid0(VALU_DEP_1) | instskip(NEXT) | instid1(VALU_DEP_1)
	v_dual_fmamk_f32 v52, v50, 0x32a5705f, v52 :: v_dual_sub_f32 v51, v51, v53
	v_add_f32_e32 v51, v51, v52
	v_cvt_i32_f32_e32 v52, v53
	s_delay_alu instid0(VALU_DEP_2) | instskip(SKIP_2) | instid1(VALU_DEP_1)
	v_exp_f32_e32 v51, v51
	s_waitcnt_depctr 0xfff
	v_ldexp_f32 v51, v51, v52
	v_cndmask_b32_e64 v51, 0, v51, s44
	v_cmp_nlt_f32_e64 s44, 0x42b17218, v50
	s_delay_alu instid0(VALU_DEP_1) | instskip(NEXT) | instid1(VALU_DEP_1)
	v_cndmask_b32_e64 v52, 0x7f800000, v51, s44
	v_add_f32_e32 v53, 1.0, v52
	v_cmp_gt_f32_e64 s47, 0x33800000, |v52|
	s_delay_alu instid0(VALU_DEP_2) | instskip(NEXT) | instid1(VALU_DEP_1)
	v_cvt_f64_f32_e32 v[50:51], v53
	v_frexp_exp_i32_f64_e32 v50, v[50:51]
	v_frexp_mant_f32_e32 v51, v53
	s_delay_alu instid0(VALU_DEP_1) | instskip(SKIP_1) | instid1(VALU_DEP_1)
	v_cmp_gt_f32_e64 s44, 0x3f2aaaab, v51
	v_add_f32_e32 v51, -1.0, v53
	v_sub_f32_e32 v55, v51, v53
	v_sub_f32_e32 v51, v52, v51
	s_delay_alu instid0(VALU_DEP_4) | instskip(SKIP_1) | instid1(VALU_DEP_1)
	v_subrev_co_ci_u32_e64 v50, s44, 0, v50, s44
	s_mov_b32 s44, 0x3e9b6dac
	v_sub_nc_u32_e32 v54, 0, v50
	v_cvt_f32_i32_e32 v50, v50
	s_delay_alu instid0(VALU_DEP_2) | instskip(NEXT) | instid1(VALU_DEP_1)
	v_ldexp_f32 v53, v53, v54
	v_dual_add_f32 v56, 1.0, v53 :: v_dual_add_f32 v55, 1.0, v55
	s_delay_alu instid0(VALU_DEP_1) | instskip(NEXT) | instid1(VALU_DEP_2)
	v_add_f32_e32 v51, v51, v55
	v_add_f32_e32 v55, -1.0, v56
	s_delay_alu instid0(VALU_DEP_2) | instskip(NEXT) | instid1(VALU_DEP_2)
	v_ldexp_f32 v51, v51, v54
	v_dual_add_f32 v54, -1.0, v53 :: v_dual_sub_f32 v55, v53, v55
	s_delay_alu instid0(VALU_DEP_1) | instskip(NEXT) | instid1(VALU_DEP_2)
	v_add_f32_e32 v57, 1.0, v54
	v_add_f32_e32 v55, v51, v55
	s_delay_alu instid0(VALU_DEP_2) | instskip(NEXT) | instid1(VALU_DEP_2)
	v_sub_f32_e32 v53, v53, v57
	v_add_f32_e32 v57, v56, v55
	s_delay_alu instid0(VALU_DEP_2) | instskip(NEXT) | instid1(VALU_DEP_2)
	v_add_f32_e32 v51, v51, v53
	v_rcp_f32_e32 v53, v57
	v_sub_f32_e32 v56, v56, v57
	s_delay_alu instid0(VALU_DEP_1) | instskip(NEXT) | instid1(VALU_DEP_1)
	v_dual_add_f32 v58, v54, v51 :: v_dual_add_f32 v55, v55, v56
	v_sub_f32_e32 v54, v54, v58
	s_waitcnt_depctr 0xfff
	v_mul_f32_e32 v59, v58, v53
	s_delay_alu instid0(VALU_DEP_1) | instskip(NEXT) | instid1(VALU_DEP_1)
	v_dual_add_f32 v51, v51, v54 :: v_dual_mul_f32 v60, v57, v59
	v_fma_f32 v56, v59, v57, -v60
	s_delay_alu instid0(VALU_DEP_1) | instskip(NEXT) | instid1(VALU_DEP_1)
	v_fmac_f32_e32 v56, v59, v55
	v_add_f32_e32 v61, v60, v56
	s_delay_alu instid0(VALU_DEP_1) | instskip(SKIP_1) | instid1(VALU_DEP_2)
	v_sub_f32_e32 v62, v58, v61
	v_sub_f32_e32 v54, v61, v60
	;; [unrolled: 1-line block ×3, first 2 shown]
	s_delay_alu instid0(VALU_DEP_2) | instskip(NEXT) | instid1(VALU_DEP_2)
	v_sub_f32_e32 v54, v54, v56
	v_sub_f32_e32 v58, v58, v61
	s_delay_alu instid0(VALU_DEP_1) | instskip(NEXT) | instid1(VALU_DEP_1)
	v_add_f32_e32 v51, v51, v58
	v_add_f32_e32 v51, v54, v51
	s_delay_alu instid0(VALU_DEP_1) | instskip(NEXT) | instid1(VALU_DEP_1)
	v_add_f32_e32 v54, v62, v51
	v_mul_f32_e32 v56, v53, v54
	s_delay_alu instid0(VALU_DEP_1) | instskip(NEXT) | instid1(VALU_DEP_1)
	v_dual_sub_f32 v61, v62, v54 :: v_dual_mul_f32 v58, v57, v56
	v_add_f32_e32 v51, v51, v61
	s_delay_alu instid0(VALU_DEP_2) | instskip(NEXT) | instid1(VALU_DEP_1)
	v_fma_f32 v57, v56, v57, -v58
	v_fmac_f32_e32 v57, v56, v55
	s_delay_alu instid0(VALU_DEP_1) | instskip(NEXT) | instid1(VALU_DEP_1)
	v_add_f32_e32 v55, v58, v57
	v_sub_f32_e32 v60, v54, v55
	v_sub_f32_e32 v58, v55, v58
	s_delay_alu instid0(VALU_DEP_2) | instskip(NEXT) | instid1(VALU_DEP_1)
	v_sub_f32_e32 v54, v54, v60
	v_sub_f32_e32 v54, v54, v55
	s_delay_alu instid0(VALU_DEP_3) | instskip(NEXT) | instid1(VALU_DEP_2)
	v_sub_f32_e32 v55, v58, v57
	v_add_f32_e32 v51, v51, v54
	v_add_f32_e32 v54, v59, v56
	s_delay_alu instid0(VALU_DEP_2) | instskip(NEXT) | instid1(VALU_DEP_2)
	v_add_f32_e32 v51, v55, v51
	v_sub_f32_e32 v55, v54, v59
	s_delay_alu instid0(VALU_DEP_2) | instskip(NEXT) | instid1(VALU_DEP_2)
	v_add_f32_e32 v51, v60, v51
	v_sub_f32_e32 v55, v56, v55
	s_delay_alu instid0(VALU_DEP_2) | instskip(NEXT) | instid1(VALU_DEP_1)
	v_mul_f32_e32 v51, v53, v51
	v_add_f32_e32 v51, v55, v51
	s_delay_alu instid0(VALU_DEP_1) | instskip(NEXT) | instid1(VALU_DEP_1)
	v_add_f32_e32 v53, v54, v51
	v_mul_f32_e32 v55, v53, v53
	s_delay_alu instid0(VALU_DEP_1) | instskip(SKIP_2) | instid1(VALU_DEP_3)
	v_fmaak_f32 v56, s44, v55, 0x3ecc95a3
	v_mul_f32_e32 v57, v53, v55
	v_cmp_eq_f32_e64 s44, 0x7f800000, v52
	v_fmaak_f32 v55, v55, v56, 0x3f2aaada
	v_ldexp_f32 v56, v53, 1
	v_sub_f32_e32 v53, v53, v54
	s_delay_alu instid0(VALU_DEP_4) | instskip(NEXT) | instid1(VALU_DEP_3)
	s_or_b32 s44, s44, s47
	v_mul_f32_e32 v55, v57, v55
	v_mul_f32_e32 v57, 0x3f317218, v50
	s_delay_alu instid0(VALU_DEP_2) | instskip(NEXT) | instid1(VALU_DEP_1)
	v_dual_sub_f32 v51, v51, v53 :: v_dual_add_f32 v54, v56, v55
	v_ldexp_f32 v51, v51, 1
	s_delay_alu instid0(VALU_DEP_2) | instskip(NEXT) | instid1(VALU_DEP_4)
	v_sub_f32_e32 v53, v54, v56
	v_fma_f32 v56, 0x3f317218, v50, -v57
	s_delay_alu instid0(VALU_DEP_1) | instskip(NEXT) | instid1(VALU_DEP_1)
	v_dual_sub_f32 v53, v55, v53 :: v_dual_fmamk_f32 v50, v50, 0xb102e308, v56
	v_add_f32_e32 v51, v51, v53
	s_delay_alu instid0(VALU_DEP_2) | instskip(NEXT) | instid1(VALU_DEP_2)
	v_add_f32_e32 v53, v57, v50
	v_add_f32_e32 v55, v54, v51
	s_delay_alu instid0(VALU_DEP_2) | instskip(NEXT) | instid1(VALU_DEP_2)
	v_sub_f32_e32 v57, v53, v57
	v_add_f32_e32 v56, v53, v55
	v_sub_f32_e32 v54, v55, v54
	s_delay_alu instid0(VALU_DEP_3) | instskip(NEXT) | instid1(VALU_DEP_2)
	v_sub_f32_e32 v50, v50, v57
	v_dual_sub_f32 v58, v56, v53 :: v_dual_sub_f32 v51, v51, v54
	s_delay_alu instid0(VALU_DEP_1) | instskip(NEXT) | instid1(VALU_DEP_2)
	v_sub_f32_e32 v59, v56, v58
	v_dual_sub_f32 v54, v55, v58 :: v_dual_add_f32 v55, v50, v51
	s_delay_alu instid0(VALU_DEP_2) | instskip(NEXT) | instid1(VALU_DEP_1)
	v_sub_f32_e32 v53, v53, v59
	v_dual_add_f32 v53, v54, v53 :: v_dual_sub_f32 v54, v55, v50
	s_delay_alu instid0(VALU_DEP_1) | instskip(NEXT) | instid1(VALU_DEP_2)
	v_add_f32_e32 v53, v55, v53
	v_sub_f32_e32 v55, v55, v54
	v_sub_f32_e32 v51, v51, v54
	s_delay_alu instid0(VALU_DEP_2) | instskip(NEXT) | instid1(VALU_DEP_1)
	v_dual_add_f32 v57, v56, v53 :: v_dual_sub_f32 v50, v50, v55
	v_sub_f32_e32 v54, v57, v56
	s_delay_alu instid0(VALU_DEP_2) | instskip(NEXT) | instid1(VALU_DEP_2)
	v_add_f32_e32 v50, v51, v50
	v_sub_f32_e32 v51, v53, v54
	s_delay_alu instid0(VALU_DEP_1) | instskip(NEXT) | instid1(VALU_DEP_1)
	v_add_f32_e32 v50, v50, v51
	v_add_f32_e32 v50, v57, v50
	s_delay_alu instid0(VALU_DEP_1) | instskip(NEXT) | instid1(VALU_DEP_1)
	v_cndmask_b32_e64 v50, v50, v52, s44
	v_add_f32_e32 v50, v45, v50
.LBB471_86:
	s_or_b32 exec_lo, exec_lo, s46
	s_delay_alu instid0(VALU_DEP_1) | instskip(SKIP_2) | instid1(VALU_DEP_3)
	v_bfe_u32 v45, v50, 16, 1
	v_cmp_o_f32_e64 s44, v50, v50
	v_and_b32_e32 v42, 0xffff0000, v42
	v_add3_u32 v45, v50, v45, 0x7fff
	s_delay_alu instid0(VALU_DEP_1) | instskip(NEXT) | instid1(VALU_DEP_1)
	v_and_b32_e32 v45, 0xffff0000, v45
	v_cndmask_b32_e64 v51, 0x7fc00000, v45, s44
	s_delay_alu instid0(VALU_DEP_1) | instskip(SKIP_1) | instid1(VALU_DEP_2)
	v_dual_max_f32 v45, v42, v42 :: v_dual_max_f32 v50, v51, v51
	v_cmp_u_f32_e64 s44, v51, v51
	v_min_f32_e32 v52, v50, v45
	v_max_f32_e32 v50, v50, v45
	s_delay_alu instid0(VALU_DEP_2) | instskip(NEXT) | instid1(VALU_DEP_2)
	v_cndmask_b32_e64 v52, v52, v51, s44
	v_cndmask_b32_e64 v50, v50, v51, s44
	v_cmp_u_f32_e64 s44, v42, v42
	s_delay_alu instid0(VALU_DEP_1) | instskip(NEXT) | instid1(VALU_DEP_3)
	v_cndmask_b32_e64 v52, v52, v42, s44
	v_cndmask_b32_e64 v50, v50, v42, s44
	s_delay_alu instid0(VALU_DEP_2) | instskip(NEXT) | instid1(VALU_DEP_2)
	v_cmp_class_f32_e64 s47, v52, 0x1f8
	v_cmp_neq_f32_e64 s46, v52, v50
	s_delay_alu instid0(VALU_DEP_1) | instskip(NEXT) | instid1(SALU_CYCLE_1)
	s_or_b32 s46, s46, s47
	s_and_saveexec_b32 s47, s46
	s_cbranch_execz .LBB471_88
; %bb.87:
	v_sub_f32_e32 v51, v52, v50
	s_delay_alu instid0(VALU_DEP_1) | instskip(SKIP_1) | instid1(VALU_DEP_2)
	v_mul_f32_e32 v52, 0x3fb8aa3b, v51
	v_cmp_ngt_f32_e64 s46, 0xc2ce8ed0, v51
	v_fma_f32 v53, 0x3fb8aa3b, v51, -v52
	v_rndne_f32_e32 v54, v52
	s_delay_alu instid0(VALU_DEP_1) | instskip(NEXT) | instid1(VALU_DEP_1)
	v_dual_fmamk_f32 v53, v51, 0x32a5705f, v53 :: v_dual_sub_f32 v52, v52, v54
	v_add_f32_e32 v52, v52, v53
	v_cvt_i32_f32_e32 v53, v54
	s_delay_alu instid0(VALU_DEP_2) | instskip(SKIP_2) | instid1(VALU_DEP_1)
	v_exp_f32_e32 v52, v52
	s_waitcnt_depctr 0xfff
	v_ldexp_f32 v52, v52, v53
	v_cndmask_b32_e64 v52, 0, v52, s46
	v_cmp_nlt_f32_e64 s46, 0x42b17218, v51
	s_delay_alu instid0(VALU_DEP_1) | instskip(NEXT) | instid1(VALU_DEP_1)
	v_cndmask_b32_e64 v53, 0x7f800000, v52, s46
	v_add_f32_e32 v54, 1.0, v53
	v_cmp_gt_f32_e64 s48, 0x33800000, |v53|
	s_delay_alu instid0(VALU_DEP_2) | instskip(NEXT) | instid1(VALU_DEP_1)
	v_cvt_f64_f32_e32 v[51:52], v54
	v_frexp_exp_i32_f64_e32 v51, v[51:52]
	v_frexp_mant_f32_e32 v52, v54
	s_delay_alu instid0(VALU_DEP_1) | instskip(SKIP_1) | instid1(VALU_DEP_1)
	v_cmp_gt_f32_e64 s46, 0x3f2aaaab, v52
	v_add_f32_e32 v52, -1.0, v54
	v_sub_f32_e32 v56, v52, v54
	v_sub_f32_e32 v52, v53, v52
	s_delay_alu instid0(VALU_DEP_4) | instskip(SKIP_1) | instid1(VALU_DEP_1)
	v_subrev_co_ci_u32_e64 v51, s46, 0, v51, s46
	s_mov_b32 s46, 0x3e9b6dac
	v_sub_nc_u32_e32 v55, 0, v51
	v_cvt_f32_i32_e32 v51, v51
	s_delay_alu instid0(VALU_DEP_2) | instskip(NEXT) | instid1(VALU_DEP_1)
	v_ldexp_f32 v54, v54, v55
	v_dual_add_f32 v57, 1.0, v54 :: v_dual_add_f32 v56, 1.0, v56
	s_delay_alu instid0(VALU_DEP_1) | instskip(NEXT) | instid1(VALU_DEP_2)
	v_add_f32_e32 v52, v52, v56
	v_add_f32_e32 v56, -1.0, v57
	s_delay_alu instid0(VALU_DEP_2) | instskip(NEXT) | instid1(VALU_DEP_2)
	v_ldexp_f32 v52, v52, v55
	v_dual_add_f32 v55, -1.0, v54 :: v_dual_sub_f32 v56, v54, v56
	s_delay_alu instid0(VALU_DEP_1) | instskip(NEXT) | instid1(VALU_DEP_2)
	v_add_f32_e32 v58, 1.0, v55
	v_add_f32_e32 v56, v52, v56
	s_delay_alu instid0(VALU_DEP_2) | instskip(NEXT) | instid1(VALU_DEP_2)
	v_sub_f32_e32 v54, v54, v58
	v_add_f32_e32 v58, v57, v56
	s_delay_alu instid0(VALU_DEP_2) | instskip(NEXT) | instid1(VALU_DEP_2)
	v_add_f32_e32 v52, v52, v54
	v_rcp_f32_e32 v54, v58
	v_sub_f32_e32 v57, v57, v58
	s_delay_alu instid0(VALU_DEP_1) | instskip(NEXT) | instid1(VALU_DEP_1)
	v_dual_add_f32 v59, v55, v52 :: v_dual_add_f32 v56, v56, v57
	v_sub_f32_e32 v55, v55, v59
	s_waitcnt_depctr 0xfff
	v_mul_f32_e32 v60, v59, v54
	s_delay_alu instid0(VALU_DEP_1) | instskip(NEXT) | instid1(VALU_DEP_1)
	v_dual_add_f32 v52, v52, v55 :: v_dual_mul_f32 v61, v58, v60
	v_fma_f32 v57, v60, v58, -v61
	s_delay_alu instid0(VALU_DEP_1) | instskip(NEXT) | instid1(VALU_DEP_1)
	v_fmac_f32_e32 v57, v60, v56
	v_add_f32_e32 v62, v61, v57
	s_delay_alu instid0(VALU_DEP_1) | instskip(SKIP_1) | instid1(VALU_DEP_2)
	v_sub_f32_e32 v63, v59, v62
	v_sub_f32_e32 v55, v62, v61
	;; [unrolled: 1-line block ×3, first 2 shown]
	s_delay_alu instid0(VALU_DEP_2) | instskip(NEXT) | instid1(VALU_DEP_2)
	v_sub_f32_e32 v55, v55, v57
	v_sub_f32_e32 v59, v59, v62
	s_delay_alu instid0(VALU_DEP_1) | instskip(NEXT) | instid1(VALU_DEP_1)
	v_add_f32_e32 v52, v52, v59
	v_add_f32_e32 v52, v55, v52
	s_delay_alu instid0(VALU_DEP_1) | instskip(NEXT) | instid1(VALU_DEP_1)
	v_add_f32_e32 v55, v63, v52
	v_mul_f32_e32 v57, v54, v55
	s_delay_alu instid0(VALU_DEP_1) | instskip(NEXT) | instid1(VALU_DEP_1)
	v_dual_sub_f32 v62, v63, v55 :: v_dual_mul_f32 v59, v58, v57
	v_add_f32_e32 v52, v52, v62
	s_delay_alu instid0(VALU_DEP_2) | instskip(NEXT) | instid1(VALU_DEP_1)
	v_fma_f32 v58, v57, v58, -v59
	v_fmac_f32_e32 v58, v57, v56
	s_delay_alu instid0(VALU_DEP_1) | instskip(NEXT) | instid1(VALU_DEP_1)
	v_add_f32_e32 v56, v59, v58
	v_sub_f32_e32 v61, v55, v56
	v_sub_f32_e32 v59, v56, v59
	s_delay_alu instid0(VALU_DEP_2) | instskip(NEXT) | instid1(VALU_DEP_1)
	v_sub_f32_e32 v55, v55, v61
	v_sub_f32_e32 v55, v55, v56
	s_delay_alu instid0(VALU_DEP_3) | instskip(NEXT) | instid1(VALU_DEP_2)
	v_sub_f32_e32 v56, v59, v58
	v_add_f32_e32 v52, v52, v55
	v_add_f32_e32 v55, v60, v57
	s_delay_alu instid0(VALU_DEP_2) | instskip(NEXT) | instid1(VALU_DEP_2)
	v_add_f32_e32 v52, v56, v52
	v_sub_f32_e32 v56, v55, v60
	s_delay_alu instid0(VALU_DEP_2) | instskip(NEXT) | instid1(VALU_DEP_2)
	v_add_f32_e32 v52, v61, v52
	v_sub_f32_e32 v56, v57, v56
	s_delay_alu instid0(VALU_DEP_2) | instskip(NEXT) | instid1(VALU_DEP_1)
	v_mul_f32_e32 v52, v54, v52
	v_add_f32_e32 v52, v56, v52
	s_delay_alu instid0(VALU_DEP_1) | instskip(NEXT) | instid1(VALU_DEP_1)
	v_add_f32_e32 v54, v55, v52
	v_mul_f32_e32 v56, v54, v54
	s_delay_alu instid0(VALU_DEP_1) | instskip(SKIP_2) | instid1(VALU_DEP_3)
	v_fmaak_f32 v57, s46, v56, 0x3ecc95a3
	v_mul_f32_e32 v58, v54, v56
	v_cmp_eq_f32_e64 s46, 0x7f800000, v53
	v_fmaak_f32 v56, v56, v57, 0x3f2aaada
	v_ldexp_f32 v57, v54, 1
	v_sub_f32_e32 v54, v54, v55
	s_delay_alu instid0(VALU_DEP_4) | instskip(NEXT) | instid1(VALU_DEP_3)
	s_or_b32 s46, s46, s48
	v_mul_f32_e32 v56, v58, v56
	v_mul_f32_e32 v58, 0x3f317218, v51
	s_delay_alu instid0(VALU_DEP_2) | instskip(NEXT) | instid1(VALU_DEP_1)
	v_dual_sub_f32 v52, v52, v54 :: v_dual_add_f32 v55, v57, v56
	v_ldexp_f32 v52, v52, 1
	s_delay_alu instid0(VALU_DEP_2) | instskip(NEXT) | instid1(VALU_DEP_4)
	v_sub_f32_e32 v54, v55, v57
	v_fma_f32 v57, 0x3f317218, v51, -v58
	s_delay_alu instid0(VALU_DEP_1) | instskip(NEXT) | instid1(VALU_DEP_1)
	v_dual_sub_f32 v54, v56, v54 :: v_dual_fmamk_f32 v51, v51, 0xb102e308, v57
	v_add_f32_e32 v52, v52, v54
	s_delay_alu instid0(VALU_DEP_2) | instskip(NEXT) | instid1(VALU_DEP_2)
	v_add_f32_e32 v54, v58, v51
	v_add_f32_e32 v56, v55, v52
	s_delay_alu instid0(VALU_DEP_2) | instskip(NEXT) | instid1(VALU_DEP_2)
	v_sub_f32_e32 v58, v54, v58
	v_add_f32_e32 v57, v54, v56
	v_sub_f32_e32 v55, v56, v55
	s_delay_alu instid0(VALU_DEP_3) | instskip(NEXT) | instid1(VALU_DEP_2)
	v_sub_f32_e32 v51, v51, v58
	v_dual_sub_f32 v59, v57, v54 :: v_dual_sub_f32 v52, v52, v55
	s_delay_alu instid0(VALU_DEP_1) | instskip(NEXT) | instid1(VALU_DEP_2)
	v_sub_f32_e32 v60, v57, v59
	v_dual_sub_f32 v55, v56, v59 :: v_dual_add_f32 v56, v51, v52
	s_delay_alu instid0(VALU_DEP_2) | instskip(NEXT) | instid1(VALU_DEP_1)
	v_sub_f32_e32 v54, v54, v60
	v_dual_add_f32 v54, v55, v54 :: v_dual_sub_f32 v55, v56, v51
	s_delay_alu instid0(VALU_DEP_1) | instskip(NEXT) | instid1(VALU_DEP_2)
	v_add_f32_e32 v54, v56, v54
	v_sub_f32_e32 v56, v56, v55
	v_sub_f32_e32 v52, v52, v55
	s_delay_alu instid0(VALU_DEP_2) | instskip(NEXT) | instid1(VALU_DEP_1)
	v_dual_add_f32 v58, v57, v54 :: v_dual_sub_f32 v51, v51, v56
	v_sub_f32_e32 v55, v58, v57
	s_delay_alu instid0(VALU_DEP_2) | instskip(NEXT) | instid1(VALU_DEP_2)
	v_add_f32_e32 v51, v52, v51
	v_sub_f32_e32 v52, v54, v55
	s_delay_alu instid0(VALU_DEP_1) | instskip(NEXT) | instid1(VALU_DEP_1)
	v_add_f32_e32 v51, v51, v52
	v_add_f32_e32 v51, v58, v51
	s_delay_alu instid0(VALU_DEP_1) | instskip(NEXT) | instid1(VALU_DEP_1)
	v_cndmask_b32_e64 v51, v51, v53, s46
	v_add_f32_e32 v51, v50, v51
.LBB471_88:
	s_or_b32 exec_lo, exec_lo, s47
	s_delay_alu instid0(VALU_DEP_1)
	v_bfe_u32 v50, v51, 16, 1
	s_load_b64 s[46:47], s[0:1], 0x18
	v_lshrrev_b32_e32 v52, 4, v0
	v_cmp_o_f32_e64 s0, v51, v51
	s_mov_b32 s48, exec_lo
	v_add3_u32 v50, v51, v50, 0x7fff
	s_delay_alu instid0(VALU_DEP_3) | instskip(NEXT) | instid1(VALU_DEP_2)
	v_and_b32_e32 v52, 2, v52
	v_lshrrev_b32_e32 v50, 16, v50
	s_delay_alu instid0(VALU_DEP_2) | instskip(NEXT) | instid1(VALU_DEP_2)
	v_add_nc_u32_e32 v52, v12, v52
	v_cndmask_b32_e64 v51, 0x7fc0, v50, s0
	ds_store_b16 v52, v51
	s_waitcnt lgkmcnt(0)
	s_barrier
	buffer_gl0_inv
	v_cmpx_gt_u32_e32 32, v0
	s_cbranch_execz .LBB471_116
; %bb.89:
	v_lshrrev_b32_e32 v50, 3, v0
	s_delay_alu instid0(VALU_DEP_1) | instskip(NEXT) | instid1(VALU_DEP_1)
	v_and_b32_e32 v50, 6, v50
	v_lshl_or_b32 v50, v0, 2, v50
	ds_load_u16 v52, v50 offset:2
	ds_load_u16 v53, v50
	s_waitcnt lgkmcnt(1)
	v_lshlrev_b32_e32 v54, 16, v52
	s_waitcnt lgkmcnt(0)
	s_delay_alu instid0(VALU_DEP_1) | instskip(NEXT) | instid1(VALU_DEP_1)
	v_dual_max_f32 v55, v54, v54 :: v_dual_lshlrev_b32 v52, 16, v53
	v_max_f32_e32 v53, v52, v52
	v_cmp_u_f32_e64 s0, v52, v52
	s_delay_alu instid0(VALU_DEP_2) | instskip(SKIP_2) | instid1(VALU_DEP_3)
	v_min_f32_e32 v56, v53, v55
	v_max_f32_e32 v55, v53, v55
	v_cmp_u_f32_e64 s1, v54, v54
	v_cndmask_b32_e64 v56, v56, v52, s0
	s_delay_alu instid0(VALU_DEP_3) | instskip(NEXT) | instid1(VALU_DEP_2)
	v_cndmask_b32_e64 v55, v55, v52, s0
	v_cndmask_b32_e64 v56, v56, v54, s1
	s_delay_alu instid0(VALU_DEP_2) | instskip(SKIP_1) | instid1(VALU_DEP_3)
	v_cndmask_b32_e64 v54, v55, v54, s1
	v_mov_b32_e32 v55, v52
	v_cmp_class_f32_e64 s49, v56, 0x1f8
	s_delay_alu instid0(VALU_DEP_3) | instskip(NEXT) | instid1(VALU_DEP_1)
	v_cmp_neq_f32_e64 s1, v56, v54
	s_or_b32 s1, s1, s49
	s_delay_alu instid0(SALU_CYCLE_1)
	s_and_saveexec_b32 s49, s1
	s_cbranch_execz .LBB471_91
; %bb.90:
	v_sub_f32_e32 v55, v56, v54
	s_delay_alu instid0(VALU_DEP_1) | instskip(SKIP_1) | instid1(VALU_DEP_2)
	v_mul_f32_e32 v56, 0x3fb8aa3b, v55
	v_cmp_ngt_f32_e64 s1, 0xc2ce8ed0, v55
	v_fma_f32 v57, 0x3fb8aa3b, v55, -v56
	v_rndne_f32_e32 v58, v56
	s_delay_alu instid0(VALU_DEP_1) | instskip(NEXT) | instid1(VALU_DEP_1)
	v_dual_fmamk_f32 v57, v55, 0x32a5705f, v57 :: v_dual_sub_f32 v56, v56, v58
	v_add_f32_e32 v56, v56, v57
	v_cvt_i32_f32_e32 v57, v58
	s_delay_alu instid0(VALU_DEP_2) | instskip(SKIP_2) | instid1(VALU_DEP_1)
	v_exp_f32_e32 v56, v56
	s_waitcnt_depctr 0xfff
	v_ldexp_f32 v56, v56, v57
	v_cndmask_b32_e64 v56, 0, v56, s1
	v_cmp_nlt_f32_e64 s1, 0x42b17218, v55
	s_delay_alu instid0(VALU_DEP_1) | instskip(NEXT) | instid1(VALU_DEP_1)
	v_cndmask_b32_e64 v57, 0x7f800000, v56, s1
	v_add_f32_e32 v58, 1.0, v57
	v_cmp_gt_f32_e64 s50, 0x33800000, |v57|
	s_delay_alu instid0(VALU_DEP_2) | instskip(NEXT) | instid1(VALU_DEP_1)
	v_cvt_f64_f32_e32 v[55:56], v58
	v_frexp_exp_i32_f64_e32 v55, v[55:56]
	v_frexp_mant_f32_e32 v56, v58
	s_delay_alu instid0(VALU_DEP_1) | instskip(SKIP_1) | instid1(VALU_DEP_1)
	v_cmp_gt_f32_e64 s1, 0x3f2aaaab, v56
	v_add_f32_e32 v56, -1.0, v58
	v_sub_f32_e32 v60, v56, v58
	v_sub_f32_e32 v56, v57, v56
	s_delay_alu instid0(VALU_DEP_4) | instskip(SKIP_1) | instid1(VALU_DEP_1)
	v_subrev_co_ci_u32_e64 v55, s1, 0, v55, s1
	s_mov_b32 s1, 0x3e9b6dac
	v_sub_nc_u32_e32 v59, 0, v55
	v_cvt_f32_i32_e32 v55, v55
	s_delay_alu instid0(VALU_DEP_2) | instskip(NEXT) | instid1(VALU_DEP_1)
	v_ldexp_f32 v58, v58, v59
	v_dual_add_f32 v61, 1.0, v58 :: v_dual_add_f32 v60, 1.0, v60
	s_delay_alu instid0(VALU_DEP_1) | instskip(NEXT) | instid1(VALU_DEP_2)
	v_add_f32_e32 v56, v56, v60
	v_add_f32_e32 v60, -1.0, v61
	s_delay_alu instid0(VALU_DEP_2) | instskip(NEXT) | instid1(VALU_DEP_2)
	v_ldexp_f32 v56, v56, v59
	v_dual_add_f32 v59, -1.0, v58 :: v_dual_sub_f32 v60, v58, v60
	s_delay_alu instid0(VALU_DEP_1) | instskip(NEXT) | instid1(VALU_DEP_2)
	v_add_f32_e32 v62, 1.0, v59
	v_add_f32_e32 v60, v56, v60
	s_delay_alu instid0(VALU_DEP_2) | instskip(NEXT) | instid1(VALU_DEP_2)
	v_sub_f32_e32 v58, v58, v62
	v_add_f32_e32 v62, v61, v60
	s_delay_alu instid0(VALU_DEP_2) | instskip(NEXT) | instid1(VALU_DEP_2)
	v_add_f32_e32 v56, v56, v58
	v_rcp_f32_e32 v58, v62
	v_sub_f32_e32 v61, v61, v62
	s_delay_alu instid0(VALU_DEP_1) | instskip(NEXT) | instid1(VALU_DEP_1)
	v_dual_add_f32 v63, v59, v56 :: v_dual_add_f32 v60, v60, v61
	v_sub_f32_e32 v59, v59, v63
	s_waitcnt_depctr 0xfff
	v_mul_f32_e32 v64, v63, v58
	s_delay_alu instid0(VALU_DEP_1) | instskip(NEXT) | instid1(VALU_DEP_1)
	v_dual_add_f32 v56, v56, v59 :: v_dual_mul_f32 v65, v62, v64
	v_fma_f32 v61, v64, v62, -v65
	s_delay_alu instid0(VALU_DEP_1) | instskip(NEXT) | instid1(VALU_DEP_1)
	v_fmac_f32_e32 v61, v64, v60
	v_add_f32_e32 v66, v65, v61
	s_delay_alu instid0(VALU_DEP_1) | instskip(SKIP_1) | instid1(VALU_DEP_2)
	v_sub_f32_e32 v67, v63, v66
	v_sub_f32_e32 v59, v66, v65
	;; [unrolled: 1-line block ×3, first 2 shown]
	s_delay_alu instid0(VALU_DEP_2) | instskip(NEXT) | instid1(VALU_DEP_2)
	v_sub_f32_e32 v59, v59, v61
	v_sub_f32_e32 v63, v63, v66
	s_delay_alu instid0(VALU_DEP_1) | instskip(NEXT) | instid1(VALU_DEP_1)
	v_add_f32_e32 v56, v56, v63
	v_add_f32_e32 v56, v59, v56
	s_delay_alu instid0(VALU_DEP_1) | instskip(NEXT) | instid1(VALU_DEP_1)
	v_add_f32_e32 v59, v67, v56
	v_mul_f32_e32 v61, v58, v59
	s_delay_alu instid0(VALU_DEP_1) | instskip(NEXT) | instid1(VALU_DEP_1)
	v_dual_sub_f32 v66, v67, v59 :: v_dual_mul_f32 v63, v62, v61
	v_add_f32_e32 v56, v56, v66
	s_delay_alu instid0(VALU_DEP_2) | instskip(NEXT) | instid1(VALU_DEP_1)
	v_fma_f32 v62, v61, v62, -v63
	v_fmac_f32_e32 v62, v61, v60
	s_delay_alu instid0(VALU_DEP_1) | instskip(NEXT) | instid1(VALU_DEP_1)
	v_add_f32_e32 v60, v63, v62
	v_sub_f32_e32 v65, v59, v60
	v_sub_f32_e32 v63, v60, v63
	s_delay_alu instid0(VALU_DEP_2) | instskip(NEXT) | instid1(VALU_DEP_1)
	v_sub_f32_e32 v59, v59, v65
	v_sub_f32_e32 v59, v59, v60
	s_delay_alu instid0(VALU_DEP_3) | instskip(NEXT) | instid1(VALU_DEP_2)
	v_sub_f32_e32 v60, v63, v62
	v_add_f32_e32 v56, v56, v59
	v_add_f32_e32 v59, v64, v61
	s_delay_alu instid0(VALU_DEP_2) | instskip(NEXT) | instid1(VALU_DEP_2)
	v_add_f32_e32 v56, v60, v56
	v_sub_f32_e32 v60, v59, v64
	s_delay_alu instid0(VALU_DEP_2) | instskip(NEXT) | instid1(VALU_DEP_2)
	v_add_f32_e32 v56, v65, v56
	v_sub_f32_e32 v60, v61, v60
	s_delay_alu instid0(VALU_DEP_2) | instskip(NEXT) | instid1(VALU_DEP_1)
	v_mul_f32_e32 v56, v58, v56
	v_add_f32_e32 v56, v60, v56
	s_delay_alu instid0(VALU_DEP_1) | instskip(NEXT) | instid1(VALU_DEP_1)
	v_add_f32_e32 v58, v59, v56
	v_mul_f32_e32 v60, v58, v58
	s_delay_alu instid0(VALU_DEP_1) | instskip(SKIP_2) | instid1(VALU_DEP_3)
	v_fmaak_f32 v61, s1, v60, 0x3ecc95a3
	v_mul_f32_e32 v62, v58, v60
	v_cmp_eq_f32_e64 s1, 0x7f800000, v57
	v_fmaak_f32 v60, v60, v61, 0x3f2aaada
	v_ldexp_f32 v61, v58, 1
	v_sub_f32_e32 v58, v58, v59
	s_delay_alu instid0(VALU_DEP_4) | instskip(NEXT) | instid1(VALU_DEP_3)
	s_or_b32 s1, s1, s50
	v_mul_f32_e32 v60, v62, v60
	v_mul_f32_e32 v62, 0x3f317218, v55
	s_delay_alu instid0(VALU_DEP_2) | instskip(NEXT) | instid1(VALU_DEP_1)
	v_dual_sub_f32 v56, v56, v58 :: v_dual_add_f32 v59, v61, v60
	v_ldexp_f32 v56, v56, 1
	s_delay_alu instid0(VALU_DEP_2) | instskip(NEXT) | instid1(VALU_DEP_4)
	v_sub_f32_e32 v58, v59, v61
	v_fma_f32 v61, 0x3f317218, v55, -v62
	s_delay_alu instid0(VALU_DEP_1) | instskip(NEXT) | instid1(VALU_DEP_1)
	v_dual_sub_f32 v58, v60, v58 :: v_dual_fmamk_f32 v55, v55, 0xb102e308, v61
	v_add_f32_e32 v56, v56, v58
	s_delay_alu instid0(VALU_DEP_2) | instskip(NEXT) | instid1(VALU_DEP_2)
	v_add_f32_e32 v58, v62, v55
	v_add_f32_e32 v60, v59, v56
	s_delay_alu instid0(VALU_DEP_2) | instskip(NEXT) | instid1(VALU_DEP_2)
	v_sub_f32_e32 v62, v58, v62
	v_add_f32_e32 v61, v58, v60
	v_sub_f32_e32 v59, v60, v59
	s_delay_alu instid0(VALU_DEP_3) | instskip(NEXT) | instid1(VALU_DEP_2)
	v_sub_f32_e32 v55, v55, v62
	v_dual_sub_f32 v63, v61, v58 :: v_dual_sub_f32 v56, v56, v59
	s_delay_alu instid0(VALU_DEP_1) | instskip(NEXT) | instid1(VALU_DEP_2)
	v_sub_f32_e32 v64, v61, v63
	v_dual_sub_f32 v59, v60, v63 :: v_dual_add_f32 v60, v55, v56
	s_delay_alu instid0(VALU_DEP_2) | instskip(NEXT) | instid1(VALU_DEP_1)
	v_sub_f32_e32 v58, v58, v64
	v_dual_add_f32 v58, v59, v58 :: v_dual_sub_f32 v59, v60, v55
	s_delay_alu instid0(VALU_DEP_1) | instskip(NEXT) | instid1(VALU_DEP_2)
	v_add_f32_e32 v58, v60, v58
	v_sub_f32_e32 v60, v60, v59
	v_sub_f32_e32 v56, v56, v59
	s_delay_alu instid0(VALU_DEP_2) | instskip(NEXT) | instid1(VALU_DEP_1)
	v_dual_add_f32 v62, v61, v58 :: v_dual_sub_f32 v55, v55, v60
	v_sub_f32_e32 v59, v62, v61
	s_delay_alu instid0(VALU_DEP_2) | instskip(NEXT) | instid1(VALU_DEP_2)
	v_add_f32_e32 v55, v56, v55
	v_sub_f32_e32 v56, v58, v59
	s_delay_alu instid0(VALU_DEP_1) | instskip(NEXT) | instid1(VALU_DEP_1)
	v_add_f32_e32 v55, v55, v56
	v_add_f32_e32 v55, v62, v55
	s_delay_alu instid0(VALU_DEP_1) | instskip(NEXT) | instid1(VALU_DEP_1)
	v_cndmask_b32_e64 v55, v55, v57, s1
	v_add_f32_e32 v55, v54, v55
.LBB471_91:
	s_or_b32 exec_lo, exec_lo, s49
	s_delay_alu instid0(VALU_DEP_1) | instskip(SKIP_2) | instid1(VALU_DEP_2)
	v_bfe_u32 v54, v55, 16, 1
	v_cmp_o_f32_e64 s1, v55, v55
	s_mov_b32 s49, exec_lo
	v_add3_u32 v54, v55, v54, 0x7fff
	s_delay_alu instid0(VALU_DEP_1) | instskip(NEXT) | instid1(VALU_DEP_1)
	v_lshrrev_b32_e32 v54, 16, v54
	v_cndmask_b32_e64 v56, 0x7fc0, v54, s1
	v_mbcnt_lo_u32_b32 v54, -1, 0
	s_delay_alu instid0(VALU_DEP_2) | instskip(NEXT) | instid1(VALU_DEP_2)
	v_and_b32_e32 v57, 0xffff, v56
	v_and_b32_e32 v55, 15, v54
	s_delay_alu instid0(VALU_DEP_2) | instskip(NEXT) | instid1(VALU_DEP_2)
	v_mov_b32_dpp v58, v57 row_shr:1 row_mask:0xf bank_mask:0xf
	v_cmpx_ne_u32_e32 0, v55
	s_cbranch_execz .LBB471_95
; %bb.92:
	v_lshlrev_b32_e32 v56, 16, v57
	s_delay_alu instid0(VALU_DEP_1) | instskip(NEXT) | instid1(VALU_DEP_1)
	v_dual_max_f32 v58, v56, v56 :: v_dual_lshlrev_b32 v57, 16, v58
	v_max_f32_e32 v59, v57, v57
	v_cmp_u_f32_e64 s1, v57, v57
	s_delay_alu instid0(VALU_DEP_2) | instskip(SKIP_1) | instid1(VALU_DEP_2)
	v_min_f32_e32 v60, v59, v58
	v_max_f32_e32 v58, v59, v58
	v_cndmask_b32_e64 v59, v60, v57, s1
	s_delay_alu instid0(VALU_DEP_2) | instskip(SKIP_1) | instid1(VALU_DEP_1)
	v_cndmask_b32_e64 v60, v58, v57, s1
	v_cmp_u_f32_e64 s1, v56, v56
	v_cndmask_b32_e64 v58, v59, v56, s1
	s_delay_alu instid0(VALU_DEP_3) | instskip(NEXT) | instid1(VALU_DEP_2)
	v_cndmask_b32_e64 v56, v60, v56, s1
	v_cmp_class_f32_e64 s50, v58, 0x1f8
	s_delay_alu instid0(VALU_DEP_2) | instskip(NEXT) | instid1(VALU_DEP_1)
	v_cmp_neq_f32_e64 s1, v58, v56
	s_or_b32 s1, s1, s50
	s_delay_alu instid0(SALU_CYCLE_1)
	s_and_saveexec_b32 s50, s1
	s_cbranch_execz .LBB471_94
; %bb.93:
	v_sub_f32_e32 v57, v58, v56
	s_delay_alu instid0(VALU_DEP_1) | instskip(SKIP_1) | instid1(VALU_DEP_2)
	v_mul_f32_e32 v58, 0x3fb8aa3b, v57
	v_cmp_ngt_f32_e64 s1, 0xc2ce8ed0, v57
	v_fma_f32 v59, 0x3fb8aa3b, v57, -v58
	v_rndne_f32_e32 v60, v58
	s_delay_alu instid0(VALU_DEP_1) | instskip(NEXT) | instid1(VALU_DEP_1)
	v_dual_fmamk_f32 v59, v57, 0x32a5705f, v59 :: v_dual_sub_f32 v58, v58, v60
	v_add_f32_e32 v58, v58, v59
	v_cvt_i32_f32_e32 v59, v60
	s_delay_alu instid0(VALU_DEP_2) | instskip(SKIP_2) | instid1(VALU_DEP_1)
	v_exp_f32_e32 v58, v58
	s_waitcnt_depctr 0xfff
	v_ldexp_f32 v58, v58, v59
	v_cndmask_b32_e64 v58, 0, v58, s1
	v_cmp_nlt_f32_e64 s1, 0x42b17218, v57
	s_delay_alu instid0(VALU_DEP_1) | instskip(NEXT) | instid1(VALU_DEP_1)
	v_cndmask_b32_e64 v59, 0x7f800000, v58, s1
	v_add_f32_e32 v60, 1.0, v59
	v_cmp_gt_f32_e64 s51, 0x33800000, |v59|
	s_delay_alu instid0(VALU_DEP_2) | instskip(NEXT) | instid1(VALU_DEP_1)
	v_cvt_f64_f32_e32 v[57:58], v60
	v_frexp_exp_i32_f64_e32 v57, v[57:58]
	v_frexp_mant_f32_e32 v58, v60
	s_delay_alu instid0(VALU_DEP_1) | instskip(SKIP_1) | instid1(VALU_DEP_1)
	v_cmp_gt_f32_e64 s1, 0x3f2aaaab, v58
	v_add_f32_e32 v58, -1.0, v60
	v_sub_f32_e32 v62, v58, v60
	v_sub_f32_e32 v58, v59, v58
	s_delay_alu instid0(VALU_DEP_4) | instskip(SKIP_1) | instid1(VALU_DEP_1)
	v_subrev_co_ci_u32_e64 v57, s1, 0, v57, s1
	s_mov_b32 s1, 0x3e9b6dac
	v_sub_nc_u32_e32 v61, 0, v57
	v_cvt_f32_i32_e32 v57, v57
	s_delay_alu instid0(VALU_DEP_2) | instskip(NEXT) | instid1(VALU_DEP_1)
	v_ldexp_f32 v60, v60, v61
	v_dual_add_f32 v63, 1.0, v60 :: v_dual_add_f32 v62, 1.0, v62
	s_delay_alu instid0(VALU_DEP_1) | instskip(NEXT) | instid1(VALU_DEP_2)
	v_add_f32_e32 v58, v58, v62
	v_add_f32_e32 v62, -1.0, v63
	s_delay_alu instid0(VALU_DEP_2) | instskip(NEXT) | instid1(VALU_DEP_2)
	v_ldexp_f32 v58, v58, v61
	v_dual_add_f32 v61, -1.0, v60 :: v_dual_sub_f32 v62, v60, v62
	s_delay_alu instid0(VALU_DEP_1) | instskip(NEXT) | instid1(VALU_DEP_2)
	v_add_f32_e32 v64, 1.0, v61
	v_add_f32_e32 v62, v58, v62
	s_delay_alu instid0(VALU_DEP_2) | instskip(NEXT) | instid1(VALU_DEP_2)
	v_sub_f32_e32 v60, v60, v64
	v_add_f32_e32 v64, v63, v62
	s_delay_alu instid0(VALU_DEP_2) | instskip(NEXT) | instid1(VALU_DEP_2)
	v_add_f32_e32 v58, v58, v60
	v_rcp_f32_e32 v60, v64
	v_sub_f32_e32 v63, v63, v64
	s_delay_alu instid0(VALU_DEP_1) | instskip(NEXT) | instid1(VALU_DEP_1)
	v_dual_add_f32 v65, v61, v58 :: v_dual_add_f32 v62, v62, v63
	v_sub_f32_e32 v61, v61, v65
	s_waitcnt_depctr 0xfff
	v_mul_f32_e32 v66, v65, v60
	s_delay_alu instid0(VALU_DEP_1) | instskip(NEXT) | instid1(VALU_DEP_1)
	v_dual_add_f32 v58, v58, v61 :: v_dual_mul_f32 v67, v64, v66
	v_fma_f32 v63, v66, v64, -v67
	s_delay_alu instid0(VALU_DEP_1) | instskip(NEXT) | instid1(VALU_DEP_1)
	v_fmac_f32_e32 v63, v66, v62
	v_add_f32_e32 v68, v67, v63
	s_delay_alu instid0(VALU_DEP_1) | instskip(SKIP_1) | instid1(VALU_DEP_2)
	v_sub_f32_e32 v69, v65, v68
	v_sub_f32_e32 v61, v68, v67
	;; [unrolled: 1-line block ×3, first 2 shown]
	s_delay_alu instid0(VALU_DEP_2) | instskip(NEXT) | instid1(VALU_DEP_2)
	v_sub_f32_e32 v61, v61, v63
	v_sub_f32_e32 v65, v65, v68
	s_delay_alu instid0(VALU_DEP_1) | instskip(NEXT) | instid1(VALU_DEP_1)
	v_add_f32_e32 v58, v58, v65
	v_add_f32_e32 v58, v61, v58
	s_delay_alu instid0(VALU_DEP_1) | instskip(NEXT) | instid1(VALU_DEP_1)
	v_add_f32_e32 v61, v69, v58
	v_mul_f32_e32 v63, v60, v61
	s_delay_alu instid0(VALU_DEP_1) | instskip(NEXT) | instid1(VALU_DEP_1)
	v_dual_sub_f32 v68, v69, v61 :: v_dual_mul_f32 v65, v64, v63
	v_add_f32_e32 v58, v58, v68
	s_delay_alu instid0(VALU_DEP_2) | instskip(NEXT) | instid1(VALU_DEP_1)
	v_fma_f32 v64, v63, v64, -v65
	v_fmac_f32_e32 v64, v63, v62
	s_delay_alu instid0(VALU_DEP_1) | instskip(NEXT) | instid1(VALU_DEP_1)
	v_add_f32_e32 v62, v65, v64
	v_sub_f32_e32 v67, v61, v62
	v_sub_f32_e32 v65, v62, v65
	s_delay_alu instid0(VALU_DEP_2) | instskip(NEXT) | instid1(VALU_DEP_1)
	v_sub_f32_e32 v61, v61, v67
	v_sub_f32_e32 v61, v61, v62
	s_delay_alu instid0(VALU_DEP_3) | instskip(NEXT) | instid1(VALU_DEP_2)
	v_sub_f32_e32 v62, v65, v64
	v_add_f32_e32 v58, v58, v61
	v_add_f32_e32 v61, v66, v63
	s_delay_alu instid0(VALU_DEP_2) | instskip(NEXT) | instid1(VALU_DEP_2)
	v_add_f32_e32 v58, v62, v58
	v_sub_f32_e32 v62, v61, v66
	s_delay_alu instid0(VALU_DEP_2) | instskip(NEXT) | instid1(VALU_DEP_2)
	v_add_f32_e32 v58, v67, v58
	v_sub_f32_e32 v62, v63, v62
	s_delay_alu instid0(VALU_DEP_2) | instskip(NEXT) | instid1(VALU_DEP_1)
	v_mul_f32_e32 v58, v60, v58
	v_add_f32_e32 v58, v62, v58
	s_delay_alu instid0(VALU_DEP_1) | instskip(NEXT) | instid1(VALU_DEP_1)
	v_add_f32_e32 v60, v61, v58
	v_mul_f32_e32 v62, v60, v60
	s_delay_alu instid0(VALU_DEP_1) | instskip(SKIP_2) | instid1(VALU_DEP_3)
	v_fmaak_f32 v63, s1, v62, 0x3ecc95a3
	v_mul_f32_e32 v64, v60, v62
	v_cmp_eq_f32_e64 s1, 0x7f800000, v59
	v_fmaak_f32 v62, v62, v63, 0x3f2aaada
	v_ldexp_f32 v63, v60, 1
	v_sub_f32_e32 v60, v60, v61
	s_delay_alu instid0(VALU_DEP_4) | instskip(NEXT) | instid1(VALU_DEP_3)
	s_or_b32 s1, s1, s51
	v_mul_f32_e32 v62, v64, v62
	v_mul_f32_e32 v64, 0x3f317218, v57
	s_delay_alu instid0(VALU_DEP_2) | instskip(NEXT) | instid1(VALU_DEP_1)
	v_dual_sub_f32 v58, v58, v60 :: v_dual_add_f32 v61, v63, v62
	v_ldexp_f32 v58, v58, 1
	s_delay_alu instid0(VALU_DEP_2) | instskip(NEXT) | instid1(VALU_DEP_4)
	v_sub_f32_e32 v60, v61, v63
	v_fma_f32 v63, 0x3f317218, v57, -v64
	s_delay_alu instid0(VALU_DEP_1) | instskip(NEXT) | instid1(VALU_DEP_1)
	v_dual_sub_f32 v60, v62, v60 :: v_dual_fmamk_f32 v57, v57, 0xb102e308, v63
	v_add_f32_e32 v58, v58, v60
	s_delay_alu instid0(VALU_DEP_2) | instskip(NEXT) | instid1(VALU_DEP_2)
	v_add_f32_e32 v60, v64, v57
	v_add_f32_e32 v62, v61, v58
	s_delay_alu instid0(VALU_DEP_2) | instskip(NEXT) | instid1(VALU_DEP_2)
	v_sub_f32_e32 v64, v60, v64
	v_add_f32_e32 v63, v60, v62
	v_sub_f32_e32 v61, v62, v61
	s_delay_alu instid0(VALU_DEP_3) | instskip(NEXT) | instid1(VALU_DEP_2)
	v_sub_f32_e32 v57, v57, v64
	v_dual_sub_f32 v65, v63, v60 :: v_dual_sub_f32 v58, v58, v61
	s_delay_alu instid0(VALU_DEP_1) | instskip(NEXT) | instid1(VALU_DEP_2)
	v_sub_f32_e32 v66, v63, v65
	v_dual_sub_f32 v61, v62, v65 :: v_dual_add_f32 v62, v57, v58
	s_delay_alu instid0(VALU_DEP_2) | instskip(NEXT) | instid1(VALU_DEP_1)
	v_sub_f32_e32 v60, v60, v66
	v_dual_add_f32 v60, v61, v60 :: v_dual_sub_f32 v61, v62, v57
	s_delay_alu instid0(VALU_DEP_1) | instskip(NEXT) | instid1(VALU_DEP_2)
	v_add_f32_e32 v60, v62, v60
	v_sub_f32_e32 v62, v62, v61
	v_sub_f32_e32 v58, v58, v61
	s_delay_alu instid0(VALU_DEP_2) | instskip(NEXT) | instid1(VALU_DEP_1)
	v_dual_add_f32 v64, v63, v60 :: v_dual_sub_f32 v57, v57, v62
	v_sub_f32_e32 v61, v64, v63
	s_delay_alu instid0(VALU_DEP_2) | instskip(NEXT) | instid1(VALU_DEP_2)
	v_add_f32_e32 v57, v58, v57
	v_sub_f32_e32 v58, v60, v61
	s_delay_alu instid0(VALU_DEP_1) | instskip(NEXT) | instid1(VALU_DEP_1)
	v_add_f32_e32 v57, v57, v58
	v_add_f32_e32 v57, v64, v57
	s_delay_alu instid0(VALU_DEP_1) | instskip(NEXT) | instid1(VALU_DEP_1)
	v_cndmask_b32_e64 v57, v57, v59, s1
	v_add_f32_e32 v57, v56, v57
.LBB471_94:
	s_or_b32 exec_lo, exec_lo, s50
	s_delay_alu instid0(VALU_DEP_1) | instskip(SKIP_1) | instid1(VALU_DEP_2)
	v_bfe_u32 v56, v57, 16, 1
	v_cmp_o_f32_e64 s1, v57, v57
	v_add3_u32 v56, v57, v56, 0x7fff
	s_delay_alu instid0(VALU_DEP_1) | instskip(NEXT) | instid1(VALU_DEP_1)
	v_lshrrev_b32_e32 v56, 16, v56
	v_cndmask_b32_e64 v56, 0x7fc0, v56, s1
	s_delay_alu instid0(VALU_DEP_1)
	v_and_b32_e32 v57, 0xffff, v56
.LBB471_95:
	s_or_b32 exec_lo, exec_lo, s49
	s_delay_alu instid0(VALU_DEP_1)
	v_mov_b32_dpp v58, v57 row_shr:2 row_mask:0xf bank_mask:0xf
	s_mov_b32 s49, exec_lo
	v_cmpx_lt_u32_e32 1, v55
	s_cbranch_execz .LBB471_99
; %bb.96:
	v_lshlrev_b32_e32 v56, 16, v57
	s_delay_alu instid0(VALU_DEP_1) | instskip(NEXT) | instid1(VALU_DEP_1)
	v_dual_max_f32 v58, v56, v56 :: v_dual_lshlrev_b32 v57, 16, v58
	v_max_f32_e32 v59, v57, v57
	v_cmp_u_f32_e64 s1, v57, v57
	s_delay_alu instid0(VALU_DEP_2) | instskip(SKIP_1) | instid1(VALU_DEP_2)
	v_min_f32_e32 v60, v59, v58
	v_max_f32_e32 v58, v59, v58
	v_cndmask_b32_e64 v59, v60, v57, s1
	s_delay_alu instid0(VALU_DEP_2) | instskip(SKIP_1) | instid1(VALU_DEP_1)
	v_cndmask_b32_e64 v60, v58, v57, s1
	v_cmp_u_f32_e64 s1, v56, v56
	v_cndmask_b32_e64 v58, v59, v56, s1
	s_delay_alu instid0(VALU_DEP_3) | instskip(NEXT) | instid1(VALU_DEP_2)
	v_cndmask_b32_e64 v56, v60, v56, s1
	v_cmp_class_f32_e64 s50, v58, 0x1f8
	s_delay_alu instid0(VALU_DEP_2) | instskip(NEXT) | instid1(VALU_DEP_1)
	v_cmp_neq_f32_e64 s1, v58, v56
	s_or_b32 s1, s1, s50
	s_delay_alu instid0(SALU_CYCLE_1)
	s_and_saveexec_b32 s50, s1
	s_cbranch_execz .LBB471_98
; %bb.97:
	v_sub_f32_e32 v57, v58, v56
	s_delay_alu instid0(VALU_DEP_1) | instskip(SKIP_1) | instid1(VALU_DEP_2)
	v_mul_f32_e32 v58, 0x3fb8aa3b, v57
	v_cmp_ngt_f32_e64 s1, 0xc2ce8ed0, v57
	v_fma_f32 v59, 0x3fb8aa3b, v57, -v58
	v_rndne_f32_e32 v60, v58
	s_delay_alu instid0(VALU_DEP_1) | instskip(NEXT) | instid1(VALU_DEP_1)
	v_dual_fmamk_f32 v59, v57, 0x32a5705f, v59 :: v_dual_sub_f32 v58, v58, v60
	v_add_f32_e32 v58, v58, v59
	v_cvt_i32_f32_e32 v59, v60
	s_delay_alu instid0(VALU_DEP_2) | instskip(SKIP_2) | instid1(VALU_DEP_1)
	v_exp_f32_e32 v58, v58
	s_waitcnt_depctr 0xfff
	v_ldexp_f32 v58, v58, v59
	v_cndmask_b32_e64 v58, 0, v58, s1
	v_cmp_nlt_f32_e64 s1, 0x42b17218, v57
	s_delay_alu instid0(VALU_DEP_1) | instskip(NEXT) | instid1(VALU_DEP_1)
	v_cndmask_b32_e64 v59, 0x7f800000, v58, s1
	v_add_f32_e32 v60, 1.0, v59
	v_cmp_gt_f32_e64 s51, 0x33800000, |v59|
	s_delay_alu instid0(VALU_DEP_2) | instskip(NEXT) | instid1(VALU_DEP_1)
	v_cvt_f64_f32_e32 v[57:58], v60
	v_frexp_exp_i32_f64_e32 v57, v[57:58]
	v_frexp_mant_f32_e32 v58, v60
	s_delay_alu instid0(VALU_DEP_1) | instskip(SKIP_1) | instid1(VALU_DEP_1)
	v_cmp_gt_f32_e64 s1, 0x3f2aaaab, v58
	v_add_f32_e32 v58, -1.0, v60
	v_sub_f32_e32 v62, v58, v60
	v_sub_f32_e32 v58, v59, v58
	s_delay_alu instid0(VALU_DEP_4) | instskip(SKIP_1) | instid1(VALU_DEP_1)
	v_subrev_co_ci_u32_e64 v57, s1, 0, v57, s1
	s_mov_b32 s1, 0x3e9b6dac
	v_sub_nc_u32_e32 v61, 0, v57
	v_cvt_f32_i32_e32 v57, v57
	s_delay_alu instid0(VALU_DEP_2) | instskip(NEXT) | instid1(VALU_DEP_1)
	v_ldexp_f32 v60, v60, v61
	v_dual_add_f32 v63, 1.0, v60 :: v_dual_add_f32 v62, 1.0, v62
	s_delay_alu instid0(VALU_DEP_1) | instskip(NEXT) | instid1(VALU_DEP_2)
	v_add_f32_e32 v58, v58, v62
	v_add_f32_e32 v62, -1.0, v63
	s_delay_alu instid0(VALU_DEP_2) | instskip(NEXT) | instid1(VALU_DEP_2)
	v_ldexp_f32 v58, v58, v61
	v_dual_add_f32 v61, -1.0, v60 :: v_dual_sub_f32 v62, v60, v62
	s_delay_alu instid0(VALU_DEP_1) | instskip(NEXT) | instid1(VALU_DEP_2)
	v_add_f32_e32 v64, 1.0, v61
	v_add_f32_e32 v62, v58, v62
	s_delay_alu instid0(VALU_DEP_2) | instskip(NEXT) | instid1(VALU_DEP_2)
	v_sub_f32_e32 v60, v60, v64
	v_add_f32_e32 v64, v63, v62
	s_delay_alu instid0(VALU_DEP_2) | instskip(NEXT) | instid1(VALU_DEP_2)
	v_add_f32_e32 v58, v58, v60
	v_rcp_f32_e32 v60, v64
	v_sub_f32_e32 v63, v63, v64
	s_delay_alu instid0(VALU_DEP_1) | instskip(NEXT) | instid1(VALU_DEP_1)
	v_dual_add_f32 v65, v61, v58 :: v_dual_add_f32 v62, v62, v63
	v_sub_f32_e32 v61, v61, v65
	s_waitcnt_depctr 0xfff
	v_mul_f32_e32 v66, v65, v60
	s_delay_alu instid0(VALU_DEP_1) | instskip(NEXT) | instid1(VALU_DEP_1)
	v_dual_add_f32 v58, v58, v61 :: v_dual_mul_f32 v67, v64, v66
	v_fma_f32 v63, v66, v64, -v67
	s_delay_alu instid0(VALU_DEP_1) | instskip(NEXT) | instid1(VALU_DEP_1)
	v_fmac_f32_e32 v63, v66, v62
	v_add_f32_e32 v68, v67, v63
	s_delay_alu instid0(VALU_DEP_1) | instskip(SKIP_1) | instid1(VALU_DEP_2)
	v_sub_f32_e32 v69, v65, v68
	v_sub_f32_e32 v61, v68, v67
	;; [unrolled: 1-line block ×3, first 2 shown]
	s_delay_alu instid0(VALU_DEP_2) | instskip(NEXT) | instid1(VALU_DEP_2)
	v_sub_f32_e32 v61, v61, v63
	v_sub_f32_e32 v65, v65, v68
	s_delay_alu instid0(VALU_DEP_1) | instskip(NEXT) | instid1(VALU_DEP_1)
	v_add_f32_e32 v58, v58, v65
	v_add_f32_e32 v58, v61, v58
	s_delay_alu instid0(VALU_DEP_1) | instskip(NEXT) | instid1(VALU_DEP_1)
	v_add_f32_e32 v61, v69, v58
	v_mul_f32_e32 v63, v60, v61
	s_delay_alu instid0(VALU_DEP_1) | instskip(NEXT) | instid1(VALU_DEP_1)
	v_dual_sub_f32 v68, v69, v61 :: v_dual_mul_f32 v65, v64, v63
	v_add_f32_e32 v58, v58, v68
	s_delay_alu instid0(VALU_DEP_2) | instskip(NEXT) | instid1(VALU_DEP_1)
	v_fma_f32 v64, v63, v64, -v65
	v_fmac_f32_e32 v64, v63, v62
	s_delay_alu instid0(VALU_DEP_1) | instskip(NEXT) | instid1(VALU_DEP_1)
	v_add_f32_e32 v62, v65, v64
	v_sub_f32_e32 v67, v61, v62
	v_sub_f32_e32 v65, v62, v65
	s_delay_alu instid0(VALU_DEP_2) | instskip(NEXT) | instid1(VALU_DEP_1)
	v_sub_f32_e32 v61, v61, v67
	v_sub_f32_e32 v61, v61, v62
	s_delay_alu instid0(VALU_DEP_3) | instskip(NEXT) | instid1(VALU_DEP_2)
	v_sub_f32_e32 v62, v65, v64
	v_add_f32_e32 v58, v58, v61
	v_add_f32_e32 v61, v66, v63
	s_delay_alu instid0(VALU_DEP_2) | instskip(NEXT) | instid1(VALU_DEP_2)
	v_add_f32_e32 v58, v62, v58
	v_sub_f32_e32 v62, v61, v66
	s_delay_alu instid0(VALU_DEP_2) | instskip(NEXT) | instid1(VALU_DEP_2)
	v_add_f32_e32 v58, v67, v58
	v_sub_f32_e32 v62, v63, v62
	s_delay_alu instid0(VALU_DEP_2) | instskip(NEXT) | instid1(VALU_DEP_1)
	v_mul_f32_e32 v58, v60, v58
	v_add_f32_e32 v58, v62, v58
	s_delay_alu instid0(VALU_DEP_1) | instskip(NEXT) | instid1(VALU_DEP_1)
	v_add_f32_e32 v60, v61, v58
	v_mul_f32_e32 v62, v60, v60
	s_delay_alu instid0(VALU_DEP_1) | instskip(SKIP_2) | instid1(VALU_DEP_3)
	v_fmaak_f32 v63, s1, v62, 0x3ecc95a3
	v_mul_f32_e32 v64, v60, v62
	v_cmp_eq_f32_e64 s1, 0x7f800000, v59
	v_fmaak_f32 v62, v62, v63, 0x3f2aaada
	v_ldexp_f32 v63, v60, 1
	v_sub_f32_e32 v60, v60, v61
	s_delay_alu instid0(VALU_DEP_4) | instskip(NEXT) | instid1(VALU_DEP_3)
	s_or_b32 s1, s1, s51
	v_mul_f32_e32 v62, v64, v62
	v_mul_f32_e32 v64, 0x3f317218, v57
	s_delay_alu instid0(VALU_DEP_2) | instskip(NEXT) | instid1(VALU_DEP_1)
	v_dual_sub_f32 v58, v58, v60 :: v_dual_add_f32 v61, v63, v62
	v_ldexp_f32 v58, v58, 1
	s_delay_alu instid0(VALU_DEP_2) | instskip(NEXT) | instid1(VALU_DEP_4)
	v_sub_f32_e32 v60, v61, v63
	v_fma_f32 v63, 0x3f317218, v57, -v64
	s_delay_alu instid0(VALU_DEP_1) | instskip(NEXT) | instid1(VALU_DEP_1)
	v_dual_sub_f32 v60, v62, v60 :: v_dual_fmamk_f32 v57, v57, 0xb102e308, v63
	v_add_f32_e32 v58, v58, v60
	s_delay_alu instid0(VALU_DEP_2) | instskip(NEXT) | instid1(VALU_DEP_2)
	v_add_f32_e32 v60, v64, v57
	v_add_f32_e32 v62, v61, v58
	s_delay_alu instid0(VALU_DEP_2) | instskip(NEXT) | instid1(VALU_DEP_2)
	v_sub_f32_e32 v64, v60, v64
	v_add_f32_e32 v63, v60, v62
	v_sub_f32_e32 v61, v62, v61
	s_delay_alu instid0(VALU_DEP_3) | instskip(NEXT) | instid1(VALU_DEP_2)
	v_sub_f32_e32 v57, v57, v64
	v_dual_sub_f32 v65, v63, v60 :: v_dual_sub_f32 v58, v58, v61
	s_delay_alu instid0(VALU_DEP_1) | instskip(NEXT) | instid1(VALU_DEP_2)
	v_sub_f32_e32 v66, v63, v65
	v_dual_sub_f32 v61, v62, v65 :: v_dual_add_f32 v62, v57, v58
	s_delay_alu instid0(VALU_DEP_2) | instskip(NEXT) | instid1(VALU_DEP_1)
	v_sub_f32_e32 v60, v60, v66
	v_dual_add_f32 v60, v61, v60 :: v_dual_sub_f32 v61, v62, v57
	s_delay_alu instid0(VALU_DEP_1) | instskip(NEXT) | instid1(VALU_DEP_2)
	v_add_f32_e32 v60, v62, v60
	v_sub_f32_e32 v62, v62, v61
	v_sub_f32_e32 v58, v58, v61
	s_delay_alu instid0(VALU_DEP_2) | instskip(NEXT) | instid1(VALU_DEP_1)
	v_dual_add_f32 v64, v63, v60 :: v_dual_sub_f32 v57, v57, v62
	v_sub_f32_e32 v61, v64, v63
	s_delay_alu instid0(VALU_DEP_2) | instskip(NEXT) | instid1(VALU_DEP_2)
	v_add_f32_e32 v57, v58, v57
	v_sub_f32_e32 v58, v60, v61
	s_delay_alu instid0(VALU_DEP_1) | instskip(NEXT) | instid1(VALU_DEP_1)
	v_add_f32_e32 v57, v57, v58
	v_add_f32_e32 v57, v64, v57
	s_delay_alu instid0(VALU_DEP_1) | instskip(NEXT) | instid1(VALU_DEP_1)
	v_cndmask_b32_e64 v57, v57, v59, s1
	v_add_f32_e32 v57, v56, v57
.LBB471_98:
	s_or_b32 exec_lo, exec_lo, s50
	s_delay_alu instid0(VALU_DEP_1) | instskip(SKIP_1) | instid1(VALU_DEP_2)
	v_bfe_u32 v56, v57, 16, 1
	v_cmp_o_f32_e64 s1, v57, v57
	v_add3_u32 v56, v57, v56, 0x7fff
	s_delay_alu instid0(VALU_DEP_1) | instskip(NEXT) | instid1(VALU_DEP_1)
	v_lshrrev_b32_e32 v56, 16, v56
	v_cndmask_b32_e64 v56, 0x7fc0, v56, s1
	s_delay_alu instid0(VALU_DEP_1)
	v_and_b32_e32 v57, 0xffff, v56
.LBB471_99:
	s_or_b32 exec_lo, exec_lo, s49
	s_delay_alu instid0(VALU_DEP_1)
	v_mov_b32_dpp v58, v57 row_shr:4 row_mask:0xf bank_mask:0xf
	s_mov_b32 s49, exec_lo
	v_cmpx_lt_u32_e32 3, v55
	s_cbranch_execz .LBB471_103
; %bb.100:
	v_lshlrev_b32_e32 v56, 16, v57
	s_delay_alu instid0(VALU_DEP_1) | instskip(NEXT) | instid1(VALU_DEP_1)
	v_dual_max_f32 v58, v56, v56 :: v_dual_lshlrev_b32 v57, 16, v58
	v_max_f32_e32 v59, v57, v57
	v_cmp_u_f32_e64 s1, v57, v57
	s_delay_alu instid0(VALU_DEP_2) | instskip(SKIP_1) | instid1(VALU_DEP_2)
	v_min_f32_e32 v60, v59, v58
	v_max_f32_e32 v58, v59, v58
	v_cndmask_b32_e64 v59, v60, v57, s1
	s_delay_alu instid0(VALU_DEP_2) | instskip(SKIP_1) | instid1(VALU_DEP_1)
	v_cndmask_b32_e64 v60, v58, v57, s1
	v_cmp_u_f32_e64 s1, v56, v56
	v_cndmask_b32_e64 v58, v59, v56, s1
	s_delay_alu instid0(VALU_DEP_3) | instskip(NEXT) | instid1(VALU_DEP_2)
	v_cndmask_b32_e64 v56, v60, v56, s1
	v_cmp_class_f32_e64 s50, v58, 0x1f8
	s_delay_alu instid0(VALU_DEP_2) | instskip(NEXT) | instid1(VALU_DEP_1)
	v_cmp_neq_f32_e64 s1, v58, v56
	s_or_b32 s1, s1, s50
	s_delay_alu instid0(SALU_CYCLE_1)
	s_and_saveexec_b32 s50, s1
	s_cbranch_execz .LBB471_102
; %bb.101:
	v_sub_f32_e32 v57, v58, v56
	s_delay_alu instid0(VALU_DEP_1) | instskip(SKIP_1) | instid1(VALU_DEP_2)
	v_mul_f32_e32 v58, 0x3fb8aa3b, v57
	v_cmp_ngt_f32_e64 s1, 0xc2ce8ed0, v57
	v_fma_f32 v59, 0x3fb8aa3b, v57, -v58
	v_rndne_f32_e32 v60, v58
	s_delay_alu instid0(VALU_DEP_1) | instskip(NEXT) | instid1(VALU_DEP_1)
	v_dual_fmamk_f32 v59, v57, 0x32a5705f, v59 :: v_dual_sub_f32 v58, v58, v60
	v_add_f32_e32 v58, v58, v59
	v_cvt_i32_f32_e32 v59, v60
	s_delay_alu instid0(VALU_DEP_2) | instskip(SKIP_2) | instid1(VALU_DEP_1)
	v_exp_f32_e32 v58, v58
	s_waitcnt_depctr 0xfff
	v_ldexp_f32 v58, v58, v59
	v_cndmask_b32_e64 v58, 0, v58, s1
	v_cmp_nlt_f32_e64 s1, 0x42b17218, v57
	s_delay_alu instid0(VALU_DEP_1) | instskip(NEXT) | instid1(VALU_DEP_1)
	v_cndmask_b32_e64 v59, 0x7f800000, v58, s1
	v_add_f32_e32 v60, 1.0, v59
	v_cmp_gt_f32_e64 s51, 0x33800000, |v59|
	s_delay_alu instid0(VALU_DEP_2) | instskip(NEXT) | instid1(VALU_DEP_1)
	v_cvt_f64_f32_e32 v[57:58], v60
	v_frexp_exp_i32_f64_e32 v57, v[57:58]
	v_frexp_mant_f32_e32 v58, v60
	s_delay_alu instid0(VALU_DEP_1) | instskip(SKIP_1) | instid1(VALU_DEP_1)
	v_cmp_gt_f32_e64 s1, 0x3f2aaaab, v58
	v_add_f32_e32 v58, -1.0, v60
	v_sub_f32_e32 v62, v58, v60
	v_sub_f32_e32 v58, v59, v58
	s_delay_alu instid0(VALU_DEP_4) | instskip(SKIP_1) | instid1(VALU_DEP_1)
	v_subrev_co_ci_u32_e64 v57, s1, 0, v57, s1
	s_mov_b32 s1, 0x3e9b6dac
	v_sub_nc_u32_e32 v61, 0, v57
	v_cvt_f32_i32_e32 v57, v57
	s_delay_alu instid0(VALU_DEP_2) | instskip(NEXT) | instid1(VALU_DEP_1)
	v_ldexp_f32 v60, v60, v61
	v_dual_add_f32 v63, 1.0, v60 :: v_dual_add_f32 v62, 1.0, v62
	s_delay_alu instid0(VALU_DEP_1) | instskip(NEXT) | instid1(VALU_DEP_2)
	v_add_f32_e32 v58, v58, v62
	v_add_f32_e32 v62, -1.0, v63
	s_delay_alu instid0(VALU_DEP_2) | instskip(NEXT) | instid1(VALU_DEP_2)
	v_ldexp_f32 v58, v58, v61
	v_dual_add_f32 v61, -1.0, v60 :: v_dual_sub_f32 v62, v60, v62
	s_delay_alu instid0(VALU_DEP_1) | instskip(NEXT) | instid1(VALU_DEP_2)
	v_add_f32_e32 v64, 1.0, v61
	v_add_f32_e32 v62, v58, v62
	s_delay_alu instid0(VALU_DEP_2) | instskip(NEXT) | instid1(VALU_DEP_2)
	v_sub_f32_e32 v60, v60, v64
	v_add_f32_e32 v64, v63, v62
	s_delay_alu instid0(VALU_DEP_2) | instskip(NEXT) | instid1(VALU_DEP_2)
	v_add_f32_e32 v58, v58, v60
	v_rcp_f32_e32 v60, v64
	v_sub_f32_e32 v63, v63, v64
	s_delay_alu instid0(VALU_DEP_1) | instskip(NEXT) | instid1(VALU_DEP_1)
	v_dual_add_f32 v65, v61, v58 :: v_dual_add_f32 v62, v62, v63
	v_sub_f32_e32 v61, v61, v65
	s_waitcnt_depctr 0xfff
	v_mul_f32_e32 v66, v65, v60
	s_delay_alu instid0(VALU_DEP_1) | instskip(NEXT) | instid1(VALU_DEP_1)
	v_dual_add_f32 v58, v58, v61 :: v_dual_mul_f32 v67, v64, v66
	v_fma_f32 v63, v66, v64, -v67
	s_delay_alu instid0(VALU_DEP_1) | instskip(NEXT) | instid1(VALU_DEP_1)
	v_fmac_f32_e32 v63, v66, v62
	v_add_f32_e32 v68, v67, v63
	s_delay_alu instid0(VALU_DEP_1) | instskip(SKIP_1) | instid1(VALU_DEP_2)
	v_sub_f32_e32 v69, v65, v68
	v_sub_f32_e32 v61, v68, v67
	v_sub_f32_e32 v65, v65, v69
	s_delay_alu instid0(VALU_DEP_2) | instskip(NEXT) | instid1(VALU_DEP_2)
	v_sub_f32_e32 v61, v61, v63
	v_sub_f32_e32 v65, v65, v68
	s_delay_alu instid0(VALU_DEP_1) | instskip(NEXT) | instid1(VALU_DEP_1)
	v_add_f32_e32 v58, v58, v65
	v_add_f32_e32 v58, v61, v58
	s_delay_alu instid0(VALU_DEP_1) | instskip(NEXT) | instid1(VALU_DEP_1)
	v_add_f32_e32 v61, v69, v58
	v_mul_f32_e32 v63, v60, v61
	s_delay_alu instid0(VALU_DEP_1) | instskip(NEXT) | instid1(VALU_DEP_1)
	v_dual_sub_f32 v68, v69, v61 :: v_dual_mul_f32 v65, v64, v63
	v_add_f32_e32 v58, v58, v68
	s_delay_alu instid0(VALU_DEP_2) | instskip(NEXT) | instid1(VALU_DEP_1)
	v_fma_f32 v64, v63, v64, -v65
	v_fmac_f32_e32 v64, v63, v62
	s_delay_alu instid0(VALU_DEP_1) | instskip(NEXT) | instid1(VALU_DEP_1)
	v_add_f32_e32 v62, v65, v64
	v_sub_f32_e32 v67, v61, v62
	v_sub_f32_e32 v65, v62, v65
	s_delay_alu instid0(VALU_DEP_2) | instskip(NEXT) | instid1(VALU_DEP_1)
	v_sub_f32_e32 v61, v61, v67
	v_sub_f32_e32 v61, v61, v62
	s_delay_alu instid0(VALU_DEP_3) | instskip(NEXT) | instid1(VALU_DEP_2)
	v_sub_f32_e32 v62, v65, v64
	v_add_f32_e32 v58, v58, v61
	v_add_f32_e32 v61, v66, v63
	s_delay_alu instid0(VALU_DEP_2) | instskip(NEXT) | instid1(VALU_DEP_2)
	v_add_f32_e32 v58, v62, v58
	v_sub_f32_e32 v62, v61, v66
	s_delay_alu instid0(VALU_DEP_2) | instskip(NEXT) | instid1(VALU_DEP_2)
	v_add_f32_e32 v58, v67, v58
	v_sub_f32_e32 v62, v63, v62
	s_delay_alu instid0(VALU_DEP_2) | instskip(NEXT) | instid1(VALU_DEP_1)
	v_mul_f32_e32 v58, v60, v58
	v_add_f32_e32 v58, v62, v58
	s_delay_alu instid0(VALU_DEP_1) | instskip(NEXT) | instid1(VALU_DEP_1)
	v_add_f32_e32 v60, v61, v58
	v_mul_f32_e32 v62, v60, v60
	s_delay_alu instid0(VALU_DEP_1) | instskip(SKIP_2) | instid1(VALU_DEP_3)
	v_fmaak_f32 v63, s1, v62, 0x3ecc95a3
	v_mul_f32_e32 v64, v60, v62
	v_cmp_eq_f32_e64 s1, 0x7f800000, v59
	v_fmaak_f32 v62, v62, v63, 0x3f2aaada
	v_ldexp_f32 v63, v60, 1
	v_sub_f32_e32 v60, v60, v61
	s_delay_alu instid0(VALU_DEP_4) | instskip(NEXT) | instid1(VALU_DEP_3)
	s_or_b32 s1, s1, s51
	v_mul_f32_e32 v62, v64, v62
	v_mul_f32_e32 v64, 0x3f317218, v57
	s_delay_alu instid0(VALU_DEP_2) | instskip(NEXT) | instid1(VALU_DEP_1)
	v_dual_sub_f32 v58, v58, v60 :: v_dual_add_f32 v61, v63, v62
	v_ldexp_f32 v58, v58, 1
	s_delay_alu instid0(VALU_DEP_2) | instskip(NEXT) | instid1(VALU_DEP_4)
	v_sub_f32_e32 v60, v61, v63
	v_fma_f32 v63, 0x3f317218, v57, -v64
	s_delay_alu instid0(VALU_DEP_1) | instskip(NEXT) | instid1(VALU_DEP_1)
	v_dual_sub_f32 v60, v62, v60 :: v_dual_fmamk_f32 v57, v57, 0xb102e308, v63
	v_add_f32_e32 v58, v58, v60
	s_delay_alu instid0(VALU_DEP_2) | instskip(NEXT) | instid1(VALU_DEP_2)
	v_add_f32_e32 v60, v64, v57
	v_add_f32_e32 v62, v61, v58
	s_delay_alu instid0(VALU_DEP_2) | instskip(NEXT) | instid1(VALU_DEP_2)
	v_sub_f32_e32 v64, v60, v64
	v_add_f32_e32 v63, v60, v62
	v_sub_f32_e32 v61, v62, v61
	s_delay_alu instid0(VALU_DEP_3) | instskip(NEXT) | instid1(VALU_DEP_2)
	v_sub_f32_e32 v57, v57, v64
	v_dual_sub_f32 v65, v63, v60 :: v_dual_sub_f32 v58, v58, v61
	s_delay_alu instid0(VALU_DEP_1) | instskip(NEXT) | instid1(VALU_DEP_2)
	v_sub_f32_e32 v66, v63, v65
	v_dual_sub_f32 v61, v62, v65 :: v_dual_add_f32 v62, v57, v58
	s_delay_alu instid0(VALU_DEP_2) | instskip(NEXT) | instid1(VALU_DEP_1)
	v_sub_f32_e32 v60, v60, v66
	v_dual_add_f32 v60, v61, v60 :: v_dual_sub_f32 v61, v62, v57
	s_delay_alu instid0(VALU_DEP_1) | instskip(NEXT) | instid1(VALU_DEP_2)
	v_add_f32_e32 v60, v62, v60
	v_sub_f32_e32 v62, v62, v61
	v_sub_f32_e32 v58, v58, v61
	s_delay_alu instid0(VALU_DEP_2) | instskip(NEXT) | instid1(VALU_DEP_1)
	v_dual_add_f32 v64, v63, v60 :: v_dual_sub_f32 v57, v57, v62
	v_sub_f32_e32 v61, v64, v63
	s_delay_alu instid0(VALU_DEP_2) | instskip(NEXT) | instid1(VALU_DEP_2)
	v_add_f32_e32 v57, v58, v57
	v_sub_f32_e32 v58, v60, v61
	s_delay_alu instid0(VALU_DEP_1) | instskip(NEXT) | instid1(VALU_DEP_1)
	v_add_f32_e32 v57, v57, v58
	v_add_f32_e32 v57, v64, v57
	s_delay_alu instid0(VALU_DEP_1) | instskip(NEXT) | instid1(VALU_DEP_1)
	v_cndmask_b32_e64 v57, v57, v59, s1
	v_add_f32_e32 v57, v56, v57
.LBB471_102:
	s_or_b32 exec_lo, exec_lo, s50
	s_delay_alu instid0(VALU_DEP_1) | instskip(SKIP_1) | instid1(VALU_DEP_2)
	v_bfe_u32 v56, v57, 16, 1
	v_cmp_o_f32_e64 s1, v57, v57
	v_add3_u32 v56, v57, v56, 0x7fff
	s_delay_alu instid0(VALU_DEP_1) | instskip(NEXT) | instid1(VALU_DEP_1)
	v_lshrrev_b32_e32 v56, 16, v56
	v_cndmask_b32_e64 v56, 0x7fc0, v56, s1
	s_delay_alu instid0(VALU_DEP_1)
	v_and_b32_e32 v57, 0xffff, v56
.LBB471_103:
	s_or_b32 exec_lo, exec_lo, s49
	s_delay_alu instid0(VALU_DEP_1)
	v_mov_b32_dpp v58, v57 row_shr:8 row_mask:0xf bank_mask:0xf
	s_mov_b32 s49, exec_lo
	v_cmpx_lt_u32_e32 7, v55
	s_cbranch_execz .LBB471_107
; %bb.104:
	s_delay_alu instid0(VALU_DEP_2) | instskip(NEXT) | instid1(VALU_DEP_1)
	v_lshlrev_b32_e32 v56, 16, v58
	v_dual_max_f32 v58, v56, v56 :: v_dual_lshlrev_b32 v55, 16, v57
	s_delay_alu instid0(VALU_DEP_1) | instskip(SKIP_1) | instid1(VALU_DEP_2)
	v_max_f32_e32 v57, v55, v55
	v_cmp_u_f32_e64 s1, v56, v56
	v_min_f32_e32 v59, v58, v57
	v_max_f32_e32 v57, v58, v57
	s_delay_alu instid0(VALU_DEP_2) | instskip(NEXT) | instid1(VALU_DEP_2)
	v_cndmask_b32_e64 v58, v59, v56, s1
	v_cndmask_b32_e64 v59, v57, v56, s1
	v_cmp_u_f32_e64 s1, v55, v55
	s_delay_alu instid0(VALU_DEP_1) | instskip(NEXT) | instid1(VALU_DEP_3)
	v_cndmask_b32_e64 v57, v58, v55, s1
	v_cndmask_b32_e64 v55, v59, v55, s1
	s_delay_alu instid0(VALU_DEP_2) | instskip(NEXT) | instid1(VALU_DEP_2)
	v_cmp_class_f32_e64 s50, v57, 0x1f8
	v_cmp_neq_f32_e64 s1, v57, v55
	s_delay_alu instid0(VALU_DEP_1) | instskip(NEXT) | instid1(SALU_CYCLE_1)
	s_or_b32 s1, s1, s50
	s_and_saveexec_b32 s50, s1
	s_cbranch_execz .LBB471_106
; %bb.105:
	v_sub_f32_e32 v56, v57, v55
	s_delay_alu instid0(VALU_DEP_1) | instskip(SKIP_1) | instid1(VALU_DEP_2)
	v_mul_f32_e32 v57, 0x3fb8aa3b, v56
	v_cmp_ngt_f32_e64 s1, 0xc2ce8ed0, v56
	v_fma_f32 v58, 0x3fb8aa3b, v56, -v57
	v_rndne_f32_e32 v59, v57
	s_delay_alu instid0(VALU_DEP_1) | instskip(NEXT) | instid1(VALU_DEP_1)
	v_dual_fmamk_f32 v58, v56, 0x32a5705f, v58 :: v_dual_sub_f32 v57, v57, v59
	v_add_f32_e32 v57, v57, v58
	v_cvt_i32_f32_e32 v58, v59
	s_delay_alu instid0(VALU_DEP_2) | instskip(SKIP_2) | instid1(VALU_DEP_1)
	v_exp_f32_e32 v57, v57
	s_waitcnt_depctr 0xfff
	v_ldexp_f32 v57, v57, v58
	v_cndmask_b32_e64 v57, 0, v57, s1
	v_cmp_nlt_f32_e64 s1, 0x42b17218, v56
	s_delay_alu instid0(VALU_DEP_1) | instskip(NEXT) | instid1(VALU_DEP_1)
	v_cndmask_b32_e64 v58, 0x7f800000, v57, s1
	v_add_f32_e32 v59, 1.0, v58
	v_cmp_gt_f32_e64 s51, 0x33800000, |v58|
	s_delay_alu instid0(VALU_DEP_2) | instskip(NEXT) | instid1(VALU_DEP_1)
	v_cvt_f64_f32_e32 v[56:57], v59
	v_frexp_exp_i32_f64_e32 v56, v[56:57]
	v_frexp_mant_f32_e32 v57, v59
	s_delay_alu instid0(VALU_DEP_1) | instskip(SKIP_1) | instid1(VALU_DEP_1)
	v_cmp_gt_f32_e64 s1, 0x3f2aaaab, v57
	v_add_f32_e32 v57, -1.0, v59
	v_sub_f32_e32 v61, v57, v59
	v_sub_f32_e32 v57, v58, v57
	s_delay_alu instid0(VALU_DEP_4) | instskip(SKIP_1) | instid1(VALU_DEP_1)
	v_subrev_co_ci_u32_e64 v56, s1, 0, v56, s1
	s_mov_b32 s1, 0x3e9b6dac
	v_sub_nc_u32_e32 v60, 0, v56
	v_cvt_f32_i32_e32 v56, v56
	s_delay_alu instid0(VALU_DEP_2) | instskip(NEXT) | instid1(VALU_DEP_1)
	v_ldexp_f32 v59, v59, v60
	v_dual_add_f32 v62, 1.0, v59 :: v_dual_add_f32 v61, 1.0, v61
	s_delay_alu instid0(VALU_DEP_1) | instskip(NEXT) | instid1(VALU_DEP_2)
	v_add_f32_e32 v57, v57, v61
	v_add_f32_e32 v61, -1.0, v62
	s_delay_alu instid0(VALU_DEP_2) | instskip(NEXT) | instid1(VALU_DEP_2)
	v_ldexp_f32 v57, v57, v60
	v_dual_add_f32 v60, -1.0, v59 :: v_dual_sub_f32 v61, v59, v61
	s_delay_alu instid0(VALU_DEP_1) | instskip(NEXT) | instid1(VALU_DEP_2)
	v_add_f32_e32 v63, 1.0, v60
	v_add_f32_e32 v61, v57, v61
	s_delay_alu instid0(VALU_DEP_2) | instskip(NEXT) | instid1(VALU_DEP_2)
	v_sub_f32_e32 v59, v59, v63
	v_add_f32_e32 v63, v62, v61
	s_delay_alu instid0(VALU_DEP_2) | instskip(NEXT) | instid1(VALU_DEP_2)
	v_add_f32_e32 v57, v57, v59
	v_rcp_f32_e32 v59, v63
	v_sub_f32_e32 v62, v62, v63
	s_delay_alu instid0(VALU_DEP_1) | instskip(NEXT) | instid1(VALU_DEP_1)
	v_dual_add_f32 v64, v60, v57 :: v_dual_add_f32 v61, v61, v62
	v_sub_f32_e32 v60, v60, v64
	s_waitcnt_depctr 0xfff
	v_mul_f32_e32 v65, v64, v59
	s_delay_alu instid0(VALU_DEP_1) | instskip(NEXT) | instid1(VALU_DEP_1)
	v_dual_add_f32 v57, v57, v60 :: v_dual_mul_f32 v66, v63, v65
	v_fma_f32 v62, v65, v63, -v66
	s_delay_alu instid0(VALU_DEP_1) | instskip(NEXT) | instid1(VALU_DEP_1)
	v_fmac_f32_e32 v62, v65, v61
	v_add_f32_e32 v67, v66, v62
	s_delay_alu instid0(VALU_DEP_1) | instskip(SKIP_1) | instid1(VALU_DEP_2)
	v_sub_f32_e32 v68, v64, v67
	v_sub_f32_e32 v60, v67, v66
	;; [unrolled: 1-line block ×3, first 2 shown]
	s_delay_alu instid0(VALU_DEP_2) | instskip(NEXT) | instid1(VALU_DEP_2)
	v_sub_f32_e32 v60, v60, v62
	v_sub_f32_e32 v64, v64, v67
	s_delay_alu instid0(VALU_DEP_1) | instskip(NEXT) | instid1(VALU_DEP_1)
	v_add_f32_e32 v57, v57, v64
	v_add_f32_e32 v57, v60, v57
	s_delay_alu instid0(VALU_DEP_1) | instskip(NEXT) | instid1(VALU_DEP_1)
	v_add_f32_e32 v60, v68, v57
	v_mul_f32_e32 v62, v59, v60
	s_delay_alu instid0(VALU_DEP_1) | instskip(NEXT) | instid1(VALU_DEP_1)
	v_dual_sub_f32 v67, v68, v60 :: v_dual_mul_f32 v64, v63, v62
	v_add_f32_e32 v57, v57, v67
	s_delay_alu instid0(VALU_DEP_2) | instskip(NEXT) | instid1(VALU_DEP_1)
	v_fma_f32 v63, v62, v63, -v64
	v_fmac_f32_e32 v63, v62, v61
	s_delay_alu instid0(VALU_DEP_1) | instskip(NEXT) | instid1(VALU_DEP_1)
	v_add_f32_e32 v61, v64, v63
	v_sub_f32_e32 v66, v60, v61
	v_sub_f32_e32 v64, v61, v64
	s_delay_alu instid0(VALU_DEP_2) | instskip(NEXT) | instid1(VALU_DEP_1)
	v_sub_f32_e32 v60, v60, v66
	v_sub_f32_e32 v60, v60, v61
	s_delay_alu instid0(VALU_DEP_3) | instskip(NEXT) | instid1(VALU_DEP_2)
	v_sub_f32_e32 v61, v64, v63
	v_add_f32_e32 v57, v57, v60
	v_add_f32_e32 v60, v65, v62
	s_delay_alu instid0(VALU_DEP_2) | instskip(NEXT) | instid1(VALU_DEP_2)
	v_add_f32_e32 v57, v61, v57
	v_sub_f32_e32 v61, v60, v65
	s_delay_alu instid0(VALU_DEP_2) | instskip(NEXT) | instid1(VALU_DEP_2)
	v_add_f32_e32 v57, v66, v57
	v_sub_f32_e32 v61, v62, v61
	s_delay_alu instid0(VALU_DEP_2) | instskip(NEXT) | instid1(VALU_DEP_1)
	v_mul_f32_e32 v57, v59, v57
	v_add_f32_e32 v57, v61, v57
	s_delay_alu instid0(VALU_DEP_1) | instskip(NEXT) | instid1(VALU_DEP_1)
	v_add_f32_e32 v59, v60, v57
	v_mul_f32_e32 v61, v59, v59
	s_delay_alu instid0(VALU_DEP_1) | instskip(SKIP_2) | instid1(VALU_DEP_3)
	v_fmaak_f32 v62, s1, v61, 0x3ecc95a3
	v_mul_f32_e32 v63, v59, v61
	v_cmp_eq_f32_e64 s1, 0x7f800000, v58
	v_fmaak_f32 v61, v61, v62, 0x3f2aaada
	v_ldexp_f32 v62, v59, 1
	v_sub_f32_e32 v59, v59, v60
	s_delay_alu instid0(VALU_DEP_4) | instskip(NEXT) | instid1(VALU_DEP_3)
	s_or_b32 s1, s1, s51
	v_mul_f32_e32 v61, v63, v61
	v_mul_f32_e32 v63, 0x3f317218, v56
	s_delay_alu instid0(VALU_DEP_2) | instskip(NEXT) | instid1(VALU_DEP_1)
	v_dual_sub_f32 v57, v57, v59 :: v_dual_add_f32 v60, v62, v61
	v_ldexp_f32 v57, v57, 1
	s_delay_alu instid0(VALU_DEP_2) | instskip(NEXT) | instid1(VALU_DEP_4)
	v_sub_f32_e32 v59, v60, v62
	v_fma_f32 v62, 0x3f317218, v56, -v63
	s_delay_alu instid0(VALU_DEP_1) | instskip(NEXT) | instid1(VALU_DEP_1)
	v_dual_sub_f32 v59, v61, v59 :: v_dual_fmamk_f32 v56, v56, 0xb102e308, v62
	v_add_f32_e32 v57, v57, v59
	s_delay_alu instid0(VALU_DEP_2) | instskip(NEXT) | instid1(VALU_DEP_2)
	v_add_f32_e32 v59, v63, v56
	v_add_f32_e32 v61, v60, v57
	s_delay_alu instid0(VALU_DEP_2) | instskip(NEXT) | instid1(VALU_DEP_2)
	v_sub_f32_e32 v63, v59, v63
	v_add_f32_e32 v62, v59, v61
	v_sub_f32_e32 v60, v61, v60
	s_delay_alu instid0(VALU_DEP_3) | instskip(NEXT) | instid1(VALU_DEP_2)
	v_sub_f32_e32 v56, v56, v63
	v_dual_sub_f32 v64, v62, v59 :: v_dual_sub_f32 v57, v57, v60
	s_delay_alu instid0(VALU_DEP_1) | instskip(NEXT) | instid1(VALU_DEP_2)
	v_sub_f32_e32 v65, v62, v64
	v_dual_sub_f32 v60, v61, v64 :: v_dual_add_f32 v61, v56, v57
	s_delay_alu instid0(VALU_DEP_2) | instskip(NEXT) | instid1(VALU_DEP_1)
	v_sub_f32_e32 v59, v59, v65
	v_dual_add_f32 v59, v60, v59 :: v_dual_sub_f32 v60, v61, v56
	s_delay_alu instid0(VALU_DEP_1) | instskip(NEXT) | instid1(VALU_DEP_2)
	v_add_f32_e32 v59, v61, v59
	v_sub_f32_e32 v61, v61, v60
	v_sub_f32_e32 v57, v57, v60
	s_delay_alu instid0(VALU_DEP_2) | instskip(NEXT) | instid1(VALU_DEP_1)
	v_dual_add_f32 v63, v62, v59 :: v_dual_sub_f32 v56, v56, v61
	v_sub_f32_e32 v60, v63, v62
	s_delay_alu instid0(VALU_DEP_2) | instskip(NEXT) | instid1(VALU_DEP_2)
	v_add_f32_e32 v56, v57, v56
	v_sub_f32_e32 v57, v59, v60
	s_delay_alu instid0(VALU_DEP_1) | instskip(NEXT) | instid1(VALU_DEP_1)
	v_add_f32_e32 v56, v56, v57
	v_add_f32_e32 v56, v63, v56
	s_delay_alu instid0(VALU_DEP_1) | instskip(NEXT) | instid1(VALU_DEP_1)
	v_cndmask_b32_e64 v56, v56, v58, s1
	v_add_f32_e32 v56, v55, v56
.LBB471_106:
	s_or_b32 exec_lo, exec_lo, s50
	s_delay_alu instid0(VALU_DEP_1) | instskip(SKIP_1) | instid1(VALU_DEP_2)
	v_bfe_u32 v55, v56, 16, 1
	v_cmp_o_f32_e64 s1, v56, v56
	v_add3_u32 v55, v56, v55, 0x7fff
	s_delay_alu instid0(VALU_DEP_1) | instskip(NEXT) | instid1(VALU_DEP_1)
	v_lshrrev_b32_e32 v55, 16, v55
	v_cndmask_b32_e64 v56, 0x7fc0, v55, s1
	s_delay_alu instid0(VALU_DEP_1)
	v_and_b32_e32 v57, 0xffff, v56
.LBB471_107:
	s_or_b32 exec_lo, exec_lo, s49
	ds_swizzle_b32 v55, v57 offset:swizzle(BROADCAST,32,15)
	v_and_b32_e32 v58, 16, v54
	s_mov_b32 s49, exec_lo
	s_delay_alu instid0(VALU_DEP_1)
	v_cmpx_ne_u32_e32 0, v58
	s_cbranch_execz .LBB471_111
; %bb.108:
	s_waitcnt lgkmcnt(0)
	v_lshlrev_b32_e32 v56, 16, v55
	s_delay_alu instid0(VALU_DEP_1) | instskip(NEXT) | instid1(VALU_DEP_1)
	v_dual_max_f32 v57, v56, v56 :: v_dual_lshlrev_b32 v58, 16, v57
	v_max_f32_e32 v55, v58, v58
	v_cmp_u_f32_e64 s1, v56, v56
	s_delay_alu instid0(VALU_DEP_2) | instskip(SKIP_1) | instid1(VALU_DEP_2)
	v_min_f32_e32 v59, v57, v55
	v_max_f32_e32 v55, v57, v55
	v_cndmask_b32_e64 v57, v59, v56, s1
	s_delay_alu instid0(VALU_DEP_2) | instskip(SKIP_1) | instid1(VALU_DEP_1)
	v_cndmask_b32_e64 v55, v55, v56, s1
	v_cmp_u_f32_e64 s1, v58, v58
	v_cndmask_b32_e64 v57, v57, v58, s1
	s_delay_alu instid0(VALU_DEP_3) | instskip(NEXT) | instid1(VALU_DEP_2)
	v_cndmask_b32_e64 v55, v55, v58, s1
	v_cmp_class_f32_e64 s50, v57, 0x1f8
	s_delay_alu instid0(VALU_DEP_2) | instskip(NEXT) | instid1(VALU_DEP_1)
	v_cmp_neq_f32_e64 s1, v57, v55
	s_or_b32 s1, s1, s50
	s_delay_alu instid0(SALU_CYCLE_1)
	s_and_saveexec_b32 s50, s1
	s_cbranch_execz .LBB471_110
; %bb.109:
	v_sub_f32_e32 v56, v57, v55
	s_delay_alu instid0(VALU_DEP_1) | instskip(SKIP_1) | instid1(VALU_DEP_2)
	v_mul_f32_e32 v57, 0x3fb8aa3b, v56
	v_cmp_ngt_f32_e64 s1, 0xc2ce8ed0, v56
	v_fma_f32 v58, 0x3fb8aa3b, v56, -v57
	v_rndne_f32_e32 v59, v57
	s_delay_alu instid0(VALU_DEP_1) | instskip(NEXT) | instid1(VALU_DEP_1)
	v_dual_fmamk_f32 v58, v56, 0x32a5705f, v58 :: v_dual_sub_f32 v57, v57, v59
	v_add_f32_e32 v57, v57, v58
	v_cvt_i32_f32_e32 v58, v59
	s_delay_alu instid0(VALU_DEP_2) | instskip(SKIP_2) | instid1(VALU_DEP_1)
	v_exp_f32_e32 v57, v57
	s_waitcnt_depctr 0xfff
	v_ldexp_f32 v57, v57, v58
	v_cndmask_b32_e64 v57, 0, v57, s1
	v_cmp_nlt_f32_e64 s1, 0x42b17218, v56
	s_delay_alu instid0(VALU_DEP_1) | instskip(NEXT) | instid1(VALU_DEP_1)
	v_cndmask_b32_e64 v58, 0x7f800000, v57, s1
	v_add_f32_e32 v59, 1.0, v58
	v_cmp_gt_f32_e64 s51, 0x33800000, |v58|
	s_delay_alu instid0(VALU_DEP_2) | instskip(NEXT) | instid1(VALU_DEP_1)
	v_cvt_f64_f32_e32 v[56:57], v59
	v_frexp_exp_i32_f64_e32 v56, v[56:57]
	v_frexp_mant_f32_e32 v57, v59
	s_delay_alu instid0(VALU_DEP_1) | instskip(SKIP_1) | instid1(VALU_DEP_1)
	v_cmp_gt_f32_e64 s1, 0x3f2aaaab, v57
	v_add_f32_e32 v57, -1.0, v59
	v_sub_f32_e32 v61, v57, v59
	v_sub_f32_e32 v57, v58, v57
	s_delay_alu instid0(VALU_DEP_4) | instskip(SKIP_1) | instid1(VALU_DEP_1)
	v_subrev_co_ci_u32_e64 v56, s1, 0, v56, s1
	s_mov_b32 s1, 0x3e9b6dac
	v_sub_nc_u32_e32 v60, 0, v56
	v_cvt_f32_i32_e32 v56, v56
	s_delay_alu instid0(VALU_DEP_2) | instskip(NEXT) | instid1(VALU_DEP_1)
	v_ldexp_f32 v59, v59, v60
	v_dual_add_f32 v62, 1.0, v59 :: v_dual_add_f32 v61, 1.0, v61
	s_delay_alu instid0(VALU_DEP_1) | instskip(NEXT) | instid1(VALU_DEP_2)
	v_add_f32_e32 v57, v57, v61
	v_add_f32_e32 v61, -1.0, v62
	s_delay_alu instid0(VALU_DEP_2) | instskip(NEXT) | instid1(VALU_DEP_2)
	v_ldexp_f32 v57, v57, v60
	v_dual_add_f32 v60, -1.0, v59 :: v_dual_sub_f32 v61, v59, v61
	s_delay_alu instid0(VALU_DEP_1) | instskip(NEXT) | instid1(VALU_DEP_2)
	v_add_f32_e32 v63, 1.0, v60
	v_add_f32_e32 v61, v57, v61
	s_delay_alu instid0(VALU_DEP_2) | instskip(NEXT) | instid1(VALU_DEP_2)
	v_sub_f32_e32 v59, v59, v63
	v_add_f32_e32 v63, v62, v61
	s_delay_alu instid0(VALU_DEP_2) | instskip(NEXT) | instid1(VALU_DEP_2)
	v_add_f32_e32 v57, v57, v59
	v_rcp_f32_e32 v59, v63
	v_sub_f32_e32 v62, v62, v63
	s_delay_alu instid0(VALU_DEP_1) | instskip(NEXT) | instid1(VALU_DEP_1)
	v_dual_add_f32 v64, v60, v57 :: v_dual_add_f32 v61, v61, v62
	v_sub_f32_e32 v60, v60, v64
	s_waitcnt_depctr 0xfff
	v_mul_f32_e32 v65, v64, v59
	s_delay_alu instid0(VALU_DEP_1) | instskip(NEXT) | instid1(VALU_DEP_1)
	v_dual_add_f32 v57, v57, v60 :: v_dual_mul_f32 v66, v63, v65
	v_fma_f32 v62, v65, v63, -v66
	s_delay_alu instid0(VALU_DEP_1) | instskip(NEXT) | instid1(VALU_DEP_1)
	v_fmac_f32_e32 v62, v65, v61
	v_add_f32_e32 v67, v66, v62
	s_delay_alu instid0(VALU_DEP_1) | instskip(SKIP_1) | instid1(VALU_DEP_2)
	v_sub_f32_e32 v68, v64, v67
	v_sub_f32_e32 v60, v67, v66
	;; [unrolled: 1-line block ×3, first 2 shown]
	s_delay_alu instid0(VALU_DEP_2) | instskip(NEXT) | instid1(VALU_DEP_2)
	v_sub_f32_e32 v60, v60, v62
	v_sub_f32_e32 v64, v64, v67
	s_delay_alu instid0(VALU_DEP_1) | instskip(NEXT) | instid1(VALU_DEP_1)
	v_add_f32_e32 v57, v57, v64
	v_add_f32_e32 v57, v60, v57
	s_delay_alu instid0(VALU_DEP_1) | instskip(NEXT) | instid1(VALU_DEP_1)
	v_add_f32_e32 v60, v68, v57
	v_mul_f32_e32 v62, v59, v60
	s_delay_alu instid0(VALU_DEP_1) | instskip(NEXT) | instid1(VALU_DEP_1)
	v_dual_sub_f32 v67, v68, v60 :: v_dual_mul_f32 v64, v63, v62
	v_add_f32_e32 v57, v57, v67
	s_delay_alu instid0(VALU_DEP_2) | instskip(NEXT) | instid1(VALU_DEP_1)
	v_fma_f32 v63, v62, v63, -v64
	v_fmac_f32_e32 v63, v62, v61
	s_delay_alu instid0(VALU_DEP_1) | instskip(NEXT) | instid1(VALU_DEP_1)
	v_add_f32_e32 v61, v64, v63
	v_sub_f32_e32 v66, v60, v61
	v_sub_f32_e32 v64, v61, v64
	s_delay_alu instid0(VALU_DEP_2) | instskip(NEXT) | instid1(VALU_DEP_1)
	v_sub_f32_e32 v60, v60, v66
	v_sub_f32_e32 v60, v60, v61
	s_delay_alu instid0(VALU_DEP_3) | instskip(NEXT) | instid1(VALU_DEP_2)
	v_sub_f32_e32 v61, v64, v63
	v_add_f32_e32 v57, v57, v60
	v_add_f32_e32 v60, v65, v62
	s_delay_alu instid0(VALU_DEP_2) | instskip(NEXT) | instid1(VALU_DEP_2)
	v_add_f32_e32 v57, v61, v57
	v_sub_f32_e32 v61, v60, v65
	s_delay_alu instid0(VALU_DEP_2) | instskip(NEXT) | instid1(VALU_DEP_2)
	v_add_f32_e32 v57, v66, v57
	v_sub_f32_e32 v61, v62, v61
	s_delay_alu instid0(VALU_DEP_2) | instskip(NEXT) | instid1(VALU_DEP_1)
	v_mul_f32_e32 v57, v59, v57
	v_add_f32_e32 v57, v61, v57
	s_delay_alu instid0(VALU_DEP_1) | instskip(NEXT) | instid1(VALU_DEP_1)
	v_add_f32_e32 v59, v60, v57
	v_mul_f32_e32 v61, v59, v59
	s_delay_alu instid0(VALU_DEP_1) | instskip(SKIP_2) | instid1(VALU_DEP_3)
	v_fmaak_f32 v62, s1, v61, 0x3ecc95a3
	v_mul_f32_e32 v63, v59, v61
	v_cmp_eq_f32_e64 s1, 0x7f800000, v58
	v_fmaak_f32 v61, v61, v62, 0x3f2aaada
	v_ldexp_f32 v62, v59, 1
	v_sub_f32_e32 v59, v59, v60
	s_delay_alu instid0(VALU_DEP_4) | instskip(NEXT) | instid1(VALU_DEP_3)
	s_or_b32 s1, s1, s51
	v_mul_f32_e32 v61, v63, v61
	v_mul_f32_e32 v63, 0x3f317218, v56
	s_delay_alu instid0(VALU_DEP_2) | instskip(NEXT) | instid1(VALU_DEP_1)
	v_dual_sub_f32 v57, v57, v59 :: v_dual_add_f32 v60, v62, v61
	v_ldexp_f32 v57, v57, 1
	s_delay_alu instid0(VALU_DEP_2) | instskip(NEXT) | instid1(VALU_DEP_4)
	v_sub_f32_e32 v59, v60, v62
	v_fma_f32 v62, 0x3f317218, v56, -v63
	s_delay_alu instid0(VALU_DEP_1) | instskip(NEXT) | instid1(VALU_DEP_1)
	v_dual_sub_f32 v59, v61, v59 :: v_dual_fmamk_f32 v56, v56, 0xb102e308, v62
	v_add_f32_e32 v57, v57, v59
	s_delay_alu instid0(VALU_DEP_2) | instskip(NEXT) | instid1(VALU_DEP_2)
	v_add_f32_e32 v59, v63, v56
	v_add_f32_e32 v61, v60, v57
	s_delay_alu instid0(VALU_DEP_2) | instskip(NEXT) | instid1(VALU_DEP_2)
	v_sub_f32_e32 v63, v59, v63
	v_add_f32_e32 v62, v59, v61
	v_sub_f32_e32 v60, v61, v60
	s_delay_alu instid0(VALU_DEP_3) | instskip(NEXT) | instid1(VALU_DEP_2)
	v_sub_f32_e32 v56, v56, v63
	v_dual_sub_f32 v64, v62, v59 :: v_dual_sub_f32 v57, v57, v60
	s_delay_alu instid0(VALU_DEP_1) | instskip(NEXT) | instid1(VALU_DEP_2)
	v_sub_f32_e32 v65, v62, v64
	v_dual_sub_f32 v60, v61, v64 :: v_dual_add_f32 v61, v56, v57
	s_delay_alu instid0(VALU_DEP_2) | instskip(NEXT) | instid1(VALU_DEP_1)
	v_sub_f32_e32 v59, v59, v65
	v_dual_add_f32 v59, v60, v59 :: v_dual_sub_f32 v60, v61, v56
	s_delay_alu instid0(VALU_DEP_1) | instskip(NEXT) | instid1(VALU_DEP_2)
	v_add_f32_e32 v59, v61, v59
	v_sub_f32_e32 v61, v61, v60
	v_sub_f32_e32 v57, v57, v60
	s_delay_alu instid0(VALU_DEP_2) | instskip(NEXT) | instid1(VALU_DEP_1)
	v_dual_add_f32 v63, v62, v59 :: v_dual_sub_f32 v56, v56, v61
	v_sub_f32_e32 v60, v63, v62
	s_delay_alu instid0(VALU_DEP_2) | instskip(NEXT) | instid1(VALU_DEP_2)
	v_add_f32_e32 v56, v57, v56
	v_sub_f32_e32 v57, v59, v60
	s_delay_alu instid0(VALU_DEP_1) | instskip(NEXT) | instid1(VALU_DEP_1)
	v_add_f32_e32 v56, v56, v57
	v_add_f32_e32 v56, v63, v56
	s_delay_alu instid0(VALU_DEP_1) | instskip(NEXT) | instid1(VALU_DEP_1)
	v_cndmask_b32_e64 v56, v56, v58, s1
	v_add_f32_e32 v56, v55, v56
.LBB471_110:
	s_or_b32 exec_lo, exec_lo, s50
	s_delay_alu instid0(VALU_DEP_1) | instskip(SKIP_1) | instid1(VALU_DEP_2)
	v_bfe_u32 v55, v56, 16, 1
	v_cmp_o_f32_e64 s1, v56, v56
	v_add3_u32 v55, v56, v55, 0x7fff
	s_delay_alu instid0(VALU_DEP_1) | instskip(NEXT) | instid1(VALU_DEP_1)
	v_lshrrev_b32_e32 v55, 16, v55
	v_cndmask_b32_e64 v56, 0x7fc0, v55, s1
.LBB471_111:
	s_or_b32 exec_lo, exec_lo, s49
	s_waitcnt lgkmcnt(0)
	v_add_nc_u32_e32 v55, -1, v54
	s_delay_alu instid0(VALU_DEP_1) | instskip(NEXT) | instid1(VALU_DEP_1)
	v_cmp_gt_i32_e64 s1, 0, v55
	v_cndmask_b32_e64 v54, v55, v54, s1
	v_and_b32_e32 v55, 0xffff, v56
	s_delay_alu instid0(VALU_DEP_2) | instskip(SKIP_3) | instid1(VALU_DEP_1)
	v_lshlrev_b32_e32 v54, 2, v54
	ds_bpermute_b32 v54, v54, v55
	s_waitcnt lgkmcnt(0)
	v_lshlrev_b32_e32 v54, 16, v54
	v_max_f32_e32 v55, v54, v54
	v_cmp_u_f32_e64 s1, v54, v54
	s_delay_alu instid0(VALU_DEP_2) | instskip(SKIP_1) | instid1(VALU_DEP_2)
	v_min_f32_e32 v56, v55, v53
	v_max_f32_e32 v53, v55, v53
	v_cndmask_b32_e64 v55, v56, v54, s1
	s_delay_alu instid0(VALU_DEP_2) | instskip(NEXT) | instid1(VALU_DEP_2)
	v_cndmask_b32_e64 v56, v53, v54, s1
	v_cndmask_b32_e64 v53, v55, v52, s0
	s_delay_alu instid0(VALU_DEP_2) | instskip(NEXT) | instid1(VALU_DEP_2)
	v_cndmask_b32_e64 v52, v56, v52, s0
	v_cmp_class_f32_e64 s1, v53, 0x1f8
	s_delay_alu instid0(VALU_DEP_2) | instskip(NEXT) | instid1(VALU_DEP_1)
	v_cmp_neq_f32_e64 s0, v53, v52
	s_or_b32 s0, s0, s1
	s_delay_alu instid0(SALU_CYCLE_1)
	s_and_saveexec_b32 s1, s0
	s_cbranch_execz .LBB471_113
; %bb.112:
	v_sub_f32_e32 v53, v53, v52
	s_delay_alu instid0(VALU_DEP_1) | instskip(NEXT) | instid1(VALU_DEP_1)
	v_mul_f32_e32 v54, 0x3fb8aa3b, v53
	v_fma_f32 v55, 0x3fb8aa3b, v53, -v54
	v_rndne_f32_e32 v56, v54
	s_delay_alu instid0(VALU_DEP_1) | instskip(NEXT) | instid1(VALU_DEP_1)
	v_dual_fmamk_f32 v55, v53, 0x32a5705f, v55 :: v_dual_sub_f32 v54, v54, v56
	v_add_f32_e32 v54, v54, v55
	v_cvt_i32_f32_e32 v55, v56
	v_cmp_ngt_f32_e64 s0, 0xc2ce8ed0, v53
	s_delay_alu instid0(VALU_DEP_3) | instskip(SKIP_2) | instid1(VALU_DEP_1)
	v_exp_f32_e32 v54, v54
	s_waitcnt_depctr 0xfff
	v_ldexp_f32 v54, v54, v55
	v_cndmask_b32_e64 v54, 0, v54, s0
	v_cmp_nlt_f32_e64 s0, 0x42b17218, v53
	s_delay_alu instid0(VALU_DEP_1) | instskip(NEXT) | instid1(VALU_DEP_1)
	v_cndmask_b32_e64 v55, 0x7f800000, v54, s0
	v_add_f32_e32 v56, 1.0, v55
	v_cmp_gt_f32_e64 s49, 0x33800000, |v55|
	s_delay_alu instid0(VALU_DEP_2) | instskip(NEXT) | instid1(VALU_DEP_1)
	v_cvt_f64_f32_e32 v[53:54], v56
	v_frexp_exp_i32_f64_e32 v53, v[53:54]
	v_frexp_mant_f32_e32 v54, v56
	s_delay_alu instid0(VALU_DEP_1) | instskip(SKIP_1) | instid1(VALU_DEP_1)
	v_cmp_gt_f32_e64 s0, 0x3f2aaaab, v54
	v_add_f32_e32 v54, -1.0, v56
	v_sub_f32_e32 v58, v54, v56
	s_delay_alu instid0(VALU_DEP_3) | instskip(SKIP_1) | instid1(VALU_DEP_1)
	v_subrev_co_ci_u32_e64 v53, s0, 0, v53, s0
	s_mov_b32 s0, 0x3e9b6dac
	v_sub_nc_u32_e32 v57, 0, v53
	v_cvt_f32_i32_e32 v53, v53
	s_delay_alu instid0(VALU_DEP_2) | instskip(NEXT) | instid1(VALU_DEP_1)
	v_ldexp_f32 v56, v56, v57
	v_dual_sub_f32 v54, v55, v54 :: v_dual_add_f32 v59, 1.0, v56
	v_add_f32_e32 v58, 1.0, v58
	s_delay_alu instid0(VALU_DEP_1) | instskip(NEXT) | instid1(VALU_DEP_3)
	v_add_f32_e32 v54, v54, v58
	v_add_f32_e32 v58, -1.0, v59
	s_delay_alu instid0(VALU_DEP_2) | instskip(NEXT) | instid1(VALU_DEP_2)
	v_ldexp_f32 v54, v54, v57
	v_dual_add_f32 v57, -1.0, v56 :: v_dual_sub_f32 v58, v56, v58
	s_delay_alu instid0(VALU_DEP_1) | instskip(NEXT) | instid1(VALU_DEP_2)
	v_add_f32_e32 v60, 1.0, v57
	v_add_f32_e32 v58, v54, v58
	s_delay_alu instid0(VALU_DEP_2) | instskip(NEXT) | instid1(VALU_DEP_2)
	v_sub_f32_e32 v56, v56, v60
	v_add_f32_e32 v60, v59, v58
	s_delay_alu instid0(VALU_DEP_2) | instskip(NEXT) | instid1(VALU_DEP_2)
	v_add_f32_e32 v54, v54, v56
	v_rcp_f32_e32 v56, v60
	v_sub_f32_e32 v59, v59, v60
	s_delay_alu instid0(VALU_DEP_1) | instskip(NEXT) | instid1(VALU_DEP_1)
	v_dual_add_f32 v61, v57, v54 :: v_dual_add_f32 v58, v58, v59
	v_sub_f32_e32 v57, v57, v61
	s_waitcnt_depctr 0xfff
	v_mul_f32_e32 v62, v61, v56
	s_delay_alu instid0(VALU_DEP_1) | instskip(NEXT) | instid1(VALU_DEP_1)
	v_dual_add_f32 v54, v54, v57 :: v_dual_mul_f32 v63, v60, v62
	v_fma_f32 v59, v62, v60, -v63
	s_delay_alu instid0(VALU_DEP_1) | instskip(NEXT) | instid1(VALU_DEP_1)
	v_fmac_f32_e32 v59, v62, v58
	v_add_f32_e32 v64, v63, v59
	s_delay_alu instid0(VALU_DEP_1) | instskip(SKIP_1) | instid1(VALU_DEP_2)
	v_sub_f32_e32 v65, v61, v64
	v_sub_f32_e32 v57, v64, v63
	;; [unrolled: 1-line block ×3, first 2 shown]
	s_delay_alu instid0(VALU_DEP_2) | instskip(NEXT) | instid1(VALU_DEP_2)
	v_sub_f32_e32 v57, v57, v59
	v_sub_f32_e32 v61, v61, v64
	s_delay_alu instid0(VALU_DEP_1) | instskip(NEXT) | instid1(VALU_DEP_1)
	v_add_f32_e32 v54, v54, v61
	v_add_f32_e32 v54, v57, v54
	s_delay_alu instid0(VALU_DEP_1) | instskip(NEXT) | instid1(VALU_DEP_1)
	v_add_f32_e32 v57, v65, v54
	v_mul_f32_e32 v59, v56, v57
	s_delay_alu instid0(VALU_DEP_1) | instskip(NEXT) | instid1(VALU_DEP_1)
	v_dual_sub_f32 v64, v65, v57 :: v_dual_mul_f32 v61, v60, v59
	v_add_f32_e32 v54, v54, v64
	s_delay_alu instid0(VALU_DEP_2) | instskip(NEXT) | instid1(VALU_DEP_1)
	v_fma_f32 v60, v59, v60, -v61
	v_fmac_f32_e32 v60, v59, v58
	s_delay_alu instid0(VALU_DEP_1) | instskip(NEXT) | instid1(VALU_DEP_1)
	v_add_f32_e32 v58, v61, v60
	v_sub_f32_e32 v63, v57, v58
	v_sub_f32_e32 v61, v58, v61
	s_delay_alu instid0(VALU_DEP_2) | instskip(NEXT) | instid1(VALU_DEP_1)
	v_sub_f32_e32 v57, v57, v63
	v_sub_f32_e32 v57, v57, v58
	s_delay_alu instid0(VALU_DEP_3) | instskip(NEXT) | instid1(VALU_DEP_2)
	v_sub_f32_e32 v58, v61, v60
	v_add_f32_e32 v54, v54, v57
	v_add_f32_e32 v57, v62, v59
	s_delay_alu instid0(VALU_DEP_2) | instskip(NEXT) | instid1(VALU_DEP_2)
	v_add_f32_e32 v54, v58, v54
	v_sub_f32_e32 v58, v57, v62
	s_delay_alu instid0(VALU_DEP_2) | instskip(NEXT) | instid1(VALU_DEP_2)
	v_add_f32_e32 v54, v63, v54
	v_sub_f32_e32 v58, v59, v58
	s_delay_alu instid0(VALU_DEP_2) | instskip(NEXT) | instid1(VALU_DEP_1)
	v_mul_f32_e32 v54, v56, v54
	v_add_f32_e32 v54, v58, v54
	s_delay_alu instid0(VALU_DEP_1) | instskip(NEXT) | instid1(VALU_DEP_1)
	v_add_f32_e32 v56, v57, v54
	v_mul_f32_e32 v58, v56, v56
	s_delay_alu instid0(VALU_DEP_1) | instskip(SKIP_2) | instid1(VALU_DEP_3)
	v_fmaak_f32 v59, s0, v58, 0x3ecc95a3
	v_mul_f32_e32 v60, v56, v58
	v_cmp_eq_f32_e64 s0, 0x7f800000, v55
	v_fmaak_f32 v58, v58, v59, 0x3f2aaada
	v_ldexp_f32 v59, v56, 1
	v_sub_f32_e32 v56, v56, v57
	s_delay_alu instid0(VALU_DEP_4) | instskip(NEXT) | instid1(VALU_DEP_3)
	s_or_b32 s0, s0, s49
	v_mul_f32_e32 v58, v60, v58
	v_mul_f32_e32 v60, 0x3f317218, v53
	s_delay_alu instid0(VALU_DEP_2) | instskip(NEXT) | instid1(VALU_DEP_1)
	v_dual_sub_f32 v54, v54, v56 :: v_dual_add_f32 v57, v59, v58
	v_ldexp_f32 v54, v54, 1
	s_delay_alu instid0(VALU_DEP_2) | instskip(NEXT) | instid1(VALU_DEP_4)
	v_sub_f32_e32 v56, v57, v59
	v_fma_f32 v59, 0x3f317218, v53, -v60
	s_delay_alu instid0(VALU_DEP_1) | instskip(NEXT) | instid1(VALU_DEP_1)
	v_dual_sub_f32 v56, v58, v56 :: v_dual_fmamk_f32 v53, v53, 0xb102e308, v59
	v_add_f32_e32 v54, v54, v56
	s_delay_alu instid0(VALU_DEP_2) | instskip(NEXT) | instid1(VALU_DEP_2)
	v_add_f32_e32 v56, v60, v53
	v_add_f32_e32 v58, v57, v54
	s_delay_alu instid0(VALU_DEP_2) | instskip(NEXT) | instid1(VALU_DEP_2)
	v_sub_f32_e32 v60, v56, v60
	v_add_f32_e32 v59, v56, v58
	v_sub_f32_e32 v57, v58, v57
	s_delay_alu instid0(VALU_DEP_3) | instskip(NEXT) | instid1(VALU_DEP_2)
	v_sub_f32_e32 v53, v53, v60
	v_dual_sub_f32 v61, v59, v56 :: v_dual_sub_f32 v54, v54, v57
	s_delay_alu instid0(VALU_DEP_1) | instskip(NEXT) | instid1(VALU_DEP_2)
	v_sub_f32_e32 v62, v59, v61
	v_dual_sub_f32 v57, v58, v61 :: v_dual_add_f32 v58, v53, v54
	s_delay_alu instid0(VALU_DEP_2) | instskip(NEXT) | instid1(VALU_DEP_1)
	v_sub_f32_e32 v56, v56, v62
	v_dual_add_f32 v56, v57, v56 :: v_dual_sub_f32 v57, v58, v53
	s_delay_alu instid0(VALU_DEP_1) | instskip(NEXT) | instid1(VALU_DEP_2)
	v_add_f32_e32 v56, v58, v56
	v_sub_f32_e32 v58, v58, v57
	v_sub_f32_e32 v54, v54, v57
	s_delay_alu instid0(VALU_DEP_2) | instskip(NEXT) | instid1(VALU_DEP_1)
	v_dual_add_f32 v60, v59, v56 :: v_dual_sub_f32 v53, v53, v58
	v_sub_f32_e32 v57, v60, v59
	s_delay_alu instid0(VALU_DEP_2) | instskip(NEXT) | instid1(VALU_DEP_2)
	v_add_f32_e32 v53, v54, v53
	v_sub_f32_e32 v54, v56, v57
	s_delay_alu instid0(VALU_DEP_1) | instskip(NEXT) | instid1(VALU_DEP_1)
	v_add_f32_e32 v53, v53, v54
	v_add_f32_e32 v53, v60, v53
	s_delay_alu instid0(VALU_DEP_1) | instskip(NEXT) | instid1(VALU_DEP_1)
	v_cndmask_b32_e64 v53, v53, v55, s0
	v_add_f32_e32 v54, v52, v53
.LBB471_113:
	s_or_b32 exec_lo, exec_lo, s1
	s_delay_alu instid0(VALU_DEP_1) | instskip(SKIP_1) | instid1(VALU_DEP_2)
	v_bfe_u32 v52, v54, 16, 1
	v_cmp_o_f32_e64 s0, v54, v54
	; wave barrier
	v_add3_u32 v52, v54, v52, 0x7fff
	s_delay_alu instid0(VALU_DEP_1) | instskip(NEXT) | instid1(VALU_DEP_1)
	v_lshrrev_b32_e32 v52, 16, v52
	v_cndmask_b32_e64 v52, 0x7fc0, v52, s0
	v_cmp_eq_u32_e64 s0, 0, v0
	s_delay_alu instid0(VALU_DEP_1)
	v_cndmask_b32_e64 v52, v52, v51, s0
	ds_store_b16 v50, v52
	; wave barrier
	ds_load_u16 v54, v50 offset:2
	v_lshlrev_b32_e32 v53, 16, v52
	s_waitcnt lgkmcnt(0)
	v_lshlrev_b32_e32 v52, 16, v54
	s_delay_alu instid0(VALU_DEP_1) | instskip(NEXT) | instid1(VALU_DEP_1)
	v_dual_max_f32 v54, v53, v53 :: v_dual_max_f32 v55, v52, v52
	v_min_f32_e32 v56, v54, v55
	v_max_f32_e32 v54, v54, v55
	v_cmp_u_f32_e64 s0, v53, v53
	s_delay_alu instid0(VALU_DEP_1) | instskip(NEXT) | instid1(VALU_DEP_3)
	v_cndmask_b32_e64 v55, v56, v53, s0
	v_cndmask_b32_e64 v56, v54, v53, s0
	v_cmp_u_f32_e64 s0, v52, v52
	s_delay_alu instid0(VALU_DEP_1) | instskip(NEXT) | instid1(VALU_DEP_3)
	v_cndmask_b32_e64 v54, v55, v52, s0
	v_cndmask_b32_e64 v52, v56, v52, s0
	s_delay_alu instid0(VALU_DEP_2) | instskip(NEXT) | instid1(VALU_DEP_2)
	v_cmp_class_f32_e64 s1, v54, 0x1f8
	v_cmp_neq_f32_e64 s0, v54, v52
	s_delay_alu instid0(VALU_DEP_1) | instskip(NEXT) | instid1(SALU_CYCLE_1)
	s_or_b32 s0, s0, s1
	s_and_saveexec_b32 s1, s0
	s_cbranch_execz .LBB471_115
; %bb.114:
	v_sub_f32_e32 v53, v54, v52
	s_delay_alu instid0(VALU_DEP_1) | instskip(SKIP_1) | instid1(VALU_DEP_2)
	v_mul_f32_e32 v54, 0x3fb8aa3b, v53
	v_cmp_ngt_f32_e64 s0, 0xc2ce8ed0, v53
	v_fma_f32 v55, 0x3fb8aa3b, v53, -v54
	v_rndne_f32_e32 v56, v54
	s_delay_alu instid0(VALU_DEP_1) | instskip(NEXT) | instid1(VALU_DEP_1)
	v_dual_fmamk_f32 v55, v53, 0x32a5705f, v55 :: v_dual_sub_f32 v54, v54, v56
	v_add_f32_e32 v54, v54, v55
	v_cvt_i32_f32_e32 v55, v56
	s_delay_alu instid0(VALU_DEP_2) | instskip(SKIP_2) | instid1(VALU_DEP_1)
	v_exp_f32_e32 v54, v54
	s_waitcnt_depctr 0xfff
	v_ldexp_f32 v54, v54, v55
	v_cndmask_b32_e64 v54, 0, v54, s0
	v_cmp_nlt_f32_e64 s0, 0x42b17218, v53
	s_delay_alu instid0(VALU_DEP_1) | instskip(NEXT) | instid1(VALU_DEP_1)
	v_cndmask_b32_e64 v55, 0x7f800000, v54, s0
	v_add_f32_e32 v56, 1.0, v55
	v_cmp_gt_f32_e64 s49, 0x33800000, |v55|
	s_delay_alu instid0(VALU_DEP_2) | instskip(NEXT) | instid1(VALU_DEP_1)
	v_cvt_f64_f32_e32 v[53:54], v56
	v_frexp_exp_i32_f64_e32 v53, v[53:54]
	v_frexp_mant_f32_e32 v54, v56
	s_delay_alu instid0(VALU_DEP_1) | instskip(SKIP_1) | instid1(VALU_DEP_1)
	v_cmp_gt_f32_e64 s0, 0x3f2aaaab, v54
	v_add_f32_e32 v54, -1.0, v56
	v_sub_f32_e32 v58, v54, v56
	v_sub_f32_e32 v54, v55, v54
	s_delay_alu instid0(VALU_DEP_4) | instskip(SKIP_1) | instid1(VALU_DEP_1)
	v_subrev_co_ci_u32_e64 v53, s0, 0, v53, s0
	s_mov_b32 s0, 0x3e9b6dac
	v_sub_nc_u32_e32 v57, 0, v53
	v_cvt_f32_i32_e32 v53, v53
	s_delay_alu instid0(VALU_DEP_2) | instskip(NEXT) | instid1(VALU_DEP_1)
	v_ldexp_f32 v56, v56, v57
	v_dual_add_f32 v59, 1.0, v56 :: v_dual_add_f32 v58, 1.0, v58
	s_delay_alu instid0(VALU_DEP_1) | instskip(NEXT) | instid1(VALU_DEP_2)
	v_add_f32_e32 v54, v54, v58
	v_add_f32_e32 v58, -1.0, v59
	s_delay_alu instid0(VALU_DEP_2) | instskip(NEXT) | instid1(VALU_DEP_2)
	v_ldexp_f32 v54, v54, v57
	v_dual_add_f32 v57, -1.0, v56 :: v_dual_sub_f32 v58, v56, v58
	s_delay_alu instid0(VALU_DEP_1) | instskip(NEXT) | instid1(VALU_DEP_2)
	v_add_f32_e32 v60, 1.0, v57
	v_add_f32_e32 v58, v54, v58
	s_delay_alu instid0(VALU_DEP_2) | instskip(NEXT) | instid1(VALU_DEP_2)
	v_sub_f32_e32 v56, v56, v60
	v_add_f32_e32 v60, v59, v58
	s_delay_alu instid0(VALU_DEP_2) | instskip(NEXT) | instid1(VALU_DEP_2)
	v_add_f32_e32 v54, v54, v56
	v_rcp_f32_e32 v56, v60
	v_sub_f32_e32 v59, v59, v60
	s_delay_alu instid0(VALU_DEP_1) | instskip(NEXT) | instid1(VALU_DEP_1)
	v_dual_add_f32 v61, v57, v54 :: v_dual_add_f32 v58, v58, v59
	v_sub_f32_e32 v57, v57, v61
	s_waitcnt_depctr 0xfff
	v_mul_f32_e32 v62, v61, v56
	s_delay_alu instid0(VALU_DEP_1) | instskip(NEXT) | instid1(VALU_DEP_1)
	v_dual_add_f32 v54, v54, v57 :: v_dual_mul_f32 v63, v60, v62
	v_fma_f32 v59, v62, v60, -v63
	s_delay_alu instid0(VALU_DEP_1) | instskip(NEXT) | instid1(VALU_DEP_1)
	v_fmac_f32_e32 v59, v62, v58
	v_add_f32_e32 v64, v63, v59
	s_delay_alu instid0(VALU_DEP_1) | instskip(SKIP_1) | instid1(VALU_DEP_2)
	v_sub_f32_e32 v65, v61, v64
	v_sub_f32_e32 v57, v64, v63
	;; [unrolled: 1-line block ×3, first 2 shown]
	s_delay_alu instid0(VALU_DEP_2) | instskip(NEXT) | instid1(VALU_DEP_2)
	v_sub_f32_e32 v57, v57, v59
	v_sub_f32_e32 v61, v61, v64
	s_delay_alu instid0(VALU_DEP_1) | instskip(NEXT) | instid1(VALU_DEP_1)
	v_add_f32_e32 v54, v54, v61
	v_add_f32_e32 v54, v57, v54
	s_delay_alu instid0(VALU_DEP_1) | instskip(NEXT) | instid1(VALU_DEP_1)
	v_add_f32_e32 v57, v65, v54
	v_mul_f32_e32 v59, v56, v57
	s_delay_alu instid0(VALU_DEP_1) | instskip(NEXT) | instid1(VALU_DEP_1)
	v_dual_sub_f32 v64, v65, v57 :: v_dual_mul_f32 v61, v60, v59
	v_add_f32_e32 v54, v54, v64
	s_delay_alu instid0(VALU_DEP_2) | instskip(NEXT) | instid1(VALU_DEP_1)
	v_fma_f32 v60, v59, v60, -v61
	v_fmac_f32_e32 v60, v59, v58
	s_delay_alu instid0(VALU_DEP_1) | instskip(NEXT) | instid1(VALU_DEP_1)
	v_add_f32_e32 v58, v61, v60
	v_sub_f32_e32 v63, v57, v58
	v_sub_f32_e32 v61, v58, v61
	s_delay_alu instid0(VALU_DEP_2) | instskip(NEXT) | instid1(VALU_DEP_1)
	v_sub_f32_e32 v57, v57, v63
	v_sub_f32_e32 v57, v57, v58
	s_delay_alu instid0(VALU_DEP_3) | instskip(NEXT) | instid1(VALU_DEP_2)
	v_sub_f32_e32 v58, v61, v60
	v_add_f32_e32 v54, v54, v57
	v_add_f32_e32 v57, v62, v59
	s_delay_alu instid0(VALU_DEP_2) | instskip(NEXT) | instid1(VALU_DEP_2)
	v_add_f32_e32 v54, v58, v54
	v_sub_f32_e32 v58, v57, v62
	s_delay_alu instid0(VALU_DEP_2) | instskip(NEXT) | instid1(VALU_DEP_2)
	v_add_f32_e32 v54, v63, v54
	v_sub_f32_e32 v58, v59, v58
	s_delay_alu instid0(VALU_DEP_2) | instskip(NEXT) | instid1(VALU_DEP_1)
	v_mul_f32_e32 v54, v56, v54
	v_add_f32_e32 v54, v58, v54
	s_delay_alu instid0(VALU_DEP_1) | instskip(NEXT) | instid1(VALU_DEP_1)
	v_add_f32_e32 v56, v57, v54
	v_mul_f32_e32 v58, v56, v56
	s_delay_alu instid0(VALU_DEP_1) | instskip(SKIP_2) | instid1(VALU_DEP_3)
	v_fmaak_f32 v59, s0, v58, 0x3ecc95a3
	v_mul_f32_e32 v60, v56, v58
	v_cmp_eq_f32_e64 s0, 0x7f800000, v55
	v_fmaak_f32 v58, v58, v59, 0x3f2aaada
	v_ldexp_f32 v59, v56, 1
	v_sub_f32_e32 v56, v56, v57
	s_delay_alu instid0(VALU_DEP_4) | instskip(NEXT) | instid1(VALU_DEP_3)
	s_or_b32 s0, s0, s49
	v_mul_f32_e32 v58, v60, v58
	v_mul_f32_e32 v60, 0x3f317218, v53
	s_delay_alu instid0(VALU_DEP_2) | instskip(NEXT) | instid1(VALU_DEP_1)
	v_dual_sub_f32 v54, v54, v56 :: v_dual_add_f32 v57, v59, v58
	v_ldexp_f32 v54, v54, 1
	s_delay_alu instid0(VALU_DEP_2) | instskip(NEXT) | instid1(VALU_DEP_4)
	v_sub_f32_e32 v56, v57, v59
	v_fma_f32 v59, 0x3f317218, v53, -v60
	s_delay_alu instid0(VALU_DEP_1) | instskip(NEXT) | instid1(VALU_DEP_1)
	v_dual_sub_f32 v56, v58, v56 :: v_dual_fmamk_f32 v53, v53, 0xb102e308, v59
	v_add_f32_e32 v54, v54, v56
	s_delay_alu instid0(VALU_DEP_2) | instskip(NEXT) | instid1(VALU_DEP_2)
	v_add_f32_e32 v56, v60, v53
	v_add_f32_e32 v58, v57, v54
	s_delay_alu instid0(VALU_DEP_2) | instskip(NEXT) | instid1(VALU_DEP_2)
	v_sub_f32_e32 v60, v56, v60
	v_add_f32_e32 v59, v56, v58
	v_sub_f32_e32 v57, v58, v57
	s_delay_alu instid0(VALU_DEP_3) | instskip(NEXT) | instid1(VALU_DEP_2)
	v_sub_f32_e32 v53, v53, v60
	v_dual_sub_f32 v61, v59, v56 :: v_dual_sub_f32 v54, v54, v57
	s_delay_alu instid0(VALU_DEP_1) | instskip(NEXT) | instid1(VALU_DEP_2)
	v_sub_f32_e32 v62, v59, v61
	v_dual_sub_f32 v57, v58, v61 :: v_dual_add_f32 v58, v53, v54
	s_delay_alu instid0(VALU_DEP_2) | instskip(NEXT) | instid1(VALU_DEP_1)
	v_sub_f32_e32 v56, v56, v62
	v_dual_add_f32 v56, v57, v56 :: v_dual_sub_f32 v57, v58, v53
	s_delay_alu instid0(VALU_DEP_1) | instskip(NEXT) | instid1(VALU_DEP_2)
	v_add_f32_e32 v56, v58, v56
	v_sub_f32_e32 v58, v58, v57
	v_sub_f32_e32 v54, v54, v57
	s_delay_alu instid0(VALU_DEP_2) | instskip(NEXT) | instid1(VALU_DEP_1)
	v_dual_add_f32 v60, v59, v56 :: v_dual_sub_f32 v53, v53, v58
	v_sub_f32_e32 v57, v60, v59
	s_delay_alu instid0(VALU_DEP_2) | instskip(NEXT) | instid1(VALU_DEP_2)
	v_add_f32_e32 v53, v54, v53
	v_sub_f32_e32 v54, v56, v57
	s_delay_alu instid0(VALU_DEP_1) | instskip(NEXT) | instid1(VALU_DEP_1)
	v_add_f32_e32 v53, v53, v54
	v_add_f32_e32 v53, v60, v53
	s_delay_alu instid0(VALU_DEP_1) | instskip(NEXT) | instid1(VALU_DEP_1)
	v_cndmask_b32_e64 v53, v53, v55, s0
	v_add_f32_e32 v53, v52, v53
.LBB471_115:
	s_or_b32 exec_lo, exec_lo, s1
	s_delay_alu instid0(VALU_DEP_1) | instskip(SKIP_1) | instid1(VALU_DEP_2)
	v_bfe_u32 v52, v53, 16, 1
	v_cmp_o_f32_e64 s0, v53, v53
	v_add3_u32 v52, v53, v52, 0x7fff
	s_delay_alu instid0(VALU_DEP_1) | instskip(NEXT) | instid1(VALU_DEP_1)
	v_lshrrev_b32_e32 v52, 16, v52
	v_cndmask_b32_e64 v52, 0x7fc0, v52, s0
	ds_store_b16 v50, v52 offset:2
.LBB471_116:
	s_or_b32 exec_lo, exec_lo, s48
	v_mul_u32_u24_e32 v50, 42, v0
	v_cmp_ne_u32_e64 s0, 0, v0
	s_waitcnt lgkmcnt(0)
	s_barrier
	buffer_gl0_inv
	s_and_saveexec_b32 s1, s0
	s_cbranch_execz .LBB471_118
; %bb.117:
	v_add_nc_u32_e32 v51, -1, v0
	s_delay_alu instid0(VALU_DEP_1) | instskip(NEXT) | instid1(VALU_DEP_1)
	v_lshrrev_b32_e32 v52, 5, v51
	v_add_lshl_u32 v51, v52, v51, 1
	ds_load_u16 v51, v51
.LBB471_118:
	s_or_b32 exec_lo, exec_lo, s1
	s_and_saveexec_b32 s1, s0
	s_cbranch_execz .LBB471_122
; %bb.119:
	s_waitcnt lgkmcnt(0)
	v_lshlrev_b32_e32 v47, 16, v51
	s_delay_alu instid0(VALU_DEP_1) | instskip(NEXT) | instid1(VALU_DEP_1)
	v_max_f32_e32 v2, v47, v47
	v_min_f32_e32 v48, v2, v49
	v_max_f32_e32 v2, v2, v49
	v_cmp_u_f32_e64 s0, v47, v47
	s_delay_alu instid0(VALU_DEP_1) | instskip(NEXT) | instid1(VALU_DEP_3)
	v_cndmask_b32_e64 v48, v48, v47, s0
	v_cndmask_b32_e64 v2, v2, v47, s0
	s_delay_alu instid0(VALU_DEP_2) | instskip(NEXT) | instid1(VALU_DEP_2)
	v_cndmask_b32_e64 v48, v48, v46, s45
	v_cndmask_b32_e64 v2, v2, v46, s45
	s_delay_alu instid0(VALU_DEP_2) | instskip(NEXT) | instid1(VALU_DEP_2)
	v_cmp_class_f32_e64 s45, v48, 0x1f8
	v_cmp_neq_f32_e64 s0, v48, v2
	s_delay_alu instid0(VALU_DEP_1) | instskip(NEXT) | instid1(SALU_CYCLE_1)
	s_or_b32 s0, s0, s45
	s_and_saveexec_b32 s45, s0
	s_cbranch_execz .LBB471_121
; %bb.120:
	v_sub_f32_e32 v46, v48, v2
	s_delay_alu instid0(VALU_DEP_1) | instskip(NEXT) | instid1(VALU_DEP_1)
	v_mul_f32_e32 v47, 0x3fb8aa3b, v46
	v_fma_f32 v48, 0x3fb8aa3b, v46, -v47
	v_rndne_f32_e32 v49, v47
	s_delay_alu instid0(VALU_DEP_1) | instskip(SKIP_1) | instid1(VALU_DEP_2)
	v_dual_sub_f32 v47, v47, v49 :: v_dual_fmamk_f32 v48, v46, 0x32a5705f, v48
	v_cmp_ngt_f32_e64 s0, 0xc2ce8ed0, v46
	v_add_f32_e32 v47, v47, v48
	v_cvt_i32_f32_e32 v48, v49
	s_delay_alu instid0(VALU_DEP_2) | instskip(SKIP_2) | instid1(VALU_DEP_1)
	v_exp_f32_e32 v47, v47
	s_waitcnt_depctr 0xfff
	v_ldexp_f32 v47, v47, v48
	v_cndmask_b32_e64 v47, 0, v47, s0
	v_cmp_nlt_f32_e64 s0, 0x42b17218, v46
	s_delay_alu instid0(VALU_DEP_1) | instskip(NEXT) | instid1(VALU_DEP_1)
	v_cndmask_b32_e64 v48, 0x7f800000, v47, s0
	v_add_f32_e32 v49, 1.0, v48
	v_cmp_gt_f32_e64 s48, 0x33800000, |v48|
	s_delay_alu instid0(VALU_DEP_2) | instskip(NEXT) | instid1(VALU_DEP_1)
	v_cvt_f64_f32_e32 v[46:47], v49
	v_frexp_exp_i32_f64_e32 v46, v[46:47]
	v_frexp_mant_f32_e32 v47, v49
	s_delay_alu instid0(VALU_DEP_1) | instskip(SKIP_1) | instid1(VALU_DEP_1)
	v_cmp_gt_f32_e64 s0, 0x3f2aaaab, v47
	v_add_f32_e32 v47, -1.0, v49
	v_dual_sub_f32 v52, v47, v49 :: v_dual_sub_f32 v47, v48, v47
	s_delay_alu instid0(VALU_DEP_1) | instskip(NEXT) | instid1(VALU_DEP_1)
	v_add_f32_e32 v52, 1.0, v52
	v_add_f32_e32 v47, v47, v52
	v_subrev_co_ci_u32_e64 v46, s0, 0, v46, s0
	s_mov_b32 s0, 0x3e9b6dac
	s_delay_alu instid0(VALU_DEP_1) | instskip(SKIP_1) | instid1(VALU_DEP_2)
	v_sub_nc_u32_e32 v51, 0, v46
	v_cvt_f32_i32_e32 v46, v46
	v_ldexp_f32 v49, v49, v51
	v_ldexp_f32 v47, v47, v51
	s_delay_alu instid0(VALU_DEP_2) | instskip(NEXT) | instid1(VALU_DEP_1)
	v_add_f32_e32 v53, 1.0, v49
	v_add_f32_e32 v52, -1.0, v53
	s_delay_alu instid0(VALU_DEP_1) | instskip(NEXT) | instid1(VALU_DEP_1)
	v_dual_sub_f32 v52, v49, v52 :: v_dual_add_f32 v51, -1.0, v49
	v_add_f32_e32 v52, v47, v52
	s_delay_alu instid0(VALU_DEP_2) | instskip(NEXT) | instid1(VALU_DEP_1)
	v_add_f32_e32 v54, 1.0, v51
	v_sub_f32_e32 v49, v49, v54
	s_delay_alu instid0(VALU_DEP_1) | instskip(NEXT) | instid1(VALU_DEP_1)
	v_dual_add_f32 v54, v53, v52 :: v_dual_add_f32 v47, v47, v49
	v_rcp_f32_e32 v49, v54
	v_sub_f32_e32 v53, v53, v54
	s_delay_alu instid0(VALU_DEP_1) | instskip(SKIP_2) | instid1(VALU_DEP_1)
	v_dual_add_f32 v55, v51, v47 :: v_dual_add_f32 v52, v52, v53
	s_waitcnt_depctr 0xfff
	v_mul_f32_e32 v56, v55, v49
	v_mul_f32_e32 v57, v54, v56
	s_delay_alu instid0(VALU_DEP_1) | instskip(NEXT) | instid1(VALU_DEP_1)
	v_fma_f32 v53, v56, v54, -v57
	v_fmac_f32_e32 v53, v56, v52
	s_delay_alu instid0(VALU_DEP_1) | instskip(NEXT) | instid1(VALU_DEP_1)
	v_dual_add_f32 v58, v57, v53 :: v_dual_sub_f32 v51, v51, v55
	v_sub_f32_e32 v59, v55, v58
	s_delay_alu instid0(VALU_DEP_2) | instskip(SKIP_1) | instid1(VALU_DEP_3)
	v_add_f32_e32 v47, v47, v51
	v_sub_f32_e32 v51, v58, v57
	v_sub_f32_e32 v55, v55, v59
	s_delay_alu instid0(VALU_DEP_2) | instskip(NEXT) | instid1(VALU_DEP_2)
	v_sub_f32_e32 v51, v51, v53
	v_sub_f32_e32 v55, v55, v58
	s_delay_alu instid0(VALU_DEP_1) | instskip(NEXT) | instid1(VALU_DEP_1)
	v_add_f32_e32 v47, v47, v55
	v_add_f32_e32 v47, v51, v47
	s_delay_alu instid0(VALU_DEP_1) | instskip(NEXT) | instid1(VALU_DEP_1)
	v_add_f32_e32 v51, v59, v47
	v_mul_f32_e32 v53, v49, v51
	s_delay_alu instid0(VALU_DEP_1) | instskip(NEXT) | instid1(VALU_DEP_1)
	v_mul_f32_e32 v55, v54, v53
	v_fma_f32 v54, v53, v54, -v55
	s_delay_alu instid0(VALU_DEP_1) | instskip(SKIP_1) | instid1(VALU_DEP_2)
	v_fmac_f32_e32 v54, v53, v52
	v_sub_f32_e32 v58, v59, v51
	v_add_f32_e32 v52, v55, v54
	s_delay_alu instid0(VALU_DEP_2) | instskip(NEXT) | instid1(VALU_DEP_2)
	v_add_f32_e32 v47, v47, v58
	v_sub_f32_e32 v57, v51, v52
	v_sub_f32_e32 v55, v52, v55
	s_delay_alu instid0(VALU_DEP_2) | instskip(NEXT) | instid1(VALU_DEP_1)
	v_sub_f32_e32 v51, v51, v57
	v_sub_f32_e32 v51, v51, v52
	s_delay_alu instid0(VALU_DEP_3) | instskip(NEXT) | instid1(VALU_DEP_2)
	v_sub_f32_e32 v52, v55, v54
	v_add_f32_e32 v47, v47, v51
	v_add_f32_e32 v51, v56, v53
	s_delay_alu instid0(VALU_DEP_1) | instskip(NEXT) | instid1(VALU_DEP_1)
	v_dual_add_f32 v47, v52, v47 :: v_dual_sub_f32 v52, v51, v56
	v_add_f32_e32 v47, v57, v47
	s_delay_alu instid0(VALU_DEP_2) | instskip(NEXT) | instid1(VALU_DEP_2)
	v_sub_f32_e32 v52, v53, v52
	v_mul_f32_e32 v47, v49, v47
	s_delay_alu instid0(VALU_DEP_1) | instskip(NEXT) | instid1(VALU_DEP_1)
	v_add_f32_e32 v47, v52, v47
	v_add_f32_e32 v49, v51, v47
	s_delay_alu instid0(VALU_DEP_1) | instskip(NEXT) | instid1(VALU_DEP_1)
	v_mul_f32_e32 v52, v49, v49
	v_fmaak_f32 v53, s0, v52, 0x3ecc95a3
	v_mul_f32_e32 v54, v49, v52
	v_cmp_eq_f32_e64 s0, 0x7f800000, v48
	s_delay_alu instid0(VALU_DEP_3) | instskip(SKIP_2) | instid1(VALU_DEP_4)
	v_fmaak_f32 v52, v52, v53, 0x3f2aaada
	v_ldexp_f32 v53, v49, 1
	v_sub_f32_e32 v49, v49, v51
	s_or_b32 s0, s0, s48
	s_delay_alu instid0(VALU_DEP_3) | instskip(NEXT) | instid1(VALU_DEP_2)
	v_mul_f32_e32 v52, v54, v52
	v_dual_mul_f32 v54, 0x3f317218, v46 :: v_dual_sub_f32 v47, v47, v49
	s_delay_alu instid0(VALU_DEP_2) | instskip(NEXT) | instid1(VALU_DEP_2)
	v_add_f32_e32 v51, v53, v52
	v_ldexp_f32 v47, v47, 1
	s_delay_alu instid0(VALU_DEP_2) | instskip(NEXT) | instid1(VALU_DEP_4)
	v_sub_f32_e32 v49, v51, v53
	v_fma_f32 v53, 0x3f317218, v46, -v54
	s_delay_alu instid0(VALU_DEP_1) | instskip(NEXT) | instid1(VALU_DEP_1)
	v_dual_sub_f32 v49, v52, v49 :: v_dual_fmamk_f32 v46, v46, 0xb102e308, v53
	v_add_f32_e32 v47, v47, v49
	s_delay_alu instid0(VALU_DEP_1) | instskip(NEXT) | instid1(VALU_DEP_1)
	v_dual_add_f32 v49, v54, v46 :: v_dual_add_f32 v52, v51, v47
	v_sub_f32_e32 v54, v49, v54
	s_delay_alu instid0(VALU_DEP_2) | instskip(NEXT) | instid1(VALU_DEP_2)
	v_add_f32_e32 v53, v49, v52
	v_dual_sub_f32 v51, v52, v51 :: v_dual_sub_f32 v46, v46, v54
	s_delay_alu instid0(VALU_DEP_2) | instskip(NEXT) | instid1(VALU_DEP_2)
	v_sub_f32_e32 v55, v53, v49
	v_sub_f32_e32 v47, v47, v51
	s_delay_alu instid0(VALU_DEP_2) | instskip(SKIP_1) | instid1(VALU_DEP_2)
	v_sub_f32_e32 v56, v53, v55
	v_sub_f32_e32 v51, v52, v55
	v_dual_add_f32 v52, v46, v47 :: v_dual_sub_f32 v49, v49, v56
	s_delay_alu instid0(VALU_DEP_1) | instskip(NEXT) | instid1(VALU_DEP_2)
	v_add_f32_e32 v49, v51, v49
	v_sub_f32_e32 v51, v52, v46
	s_delay_alu instid0(VALU_DEP_2) | instskip(NEXT) | instid1(VALU_DEP_2)
	v_add_f32_e32 v49, v52, v49
	v_sub_f32_e32 v52, v52, v51
	s_delay_alu instid0(VALU_DEP_2) | instskip(NEXT) | instid1(VALU_DEP_2)
	v_dual_sub_f32 v47, v47, v51 :: v_dual_add_f32 v54, v53, v49
	v_sub_f32_e32 v46, v46, v52
	s_delay_alu instid0(VALU_DEP_1) | instskip(NEXT) | instid1(VALU_DEP_1)
	v_dual_sub_f32 v51, v54, v53 :: v_dual_add_f32 v46, v47, v46
	v_sub_f32_e32 v47, v49, v51
	s_delay_alu instid0(VALU_DEP_1) | instskip(NEXT) | instid1(VALU_DEP_1)
	v_add_f32_e32 v46, v46, v47
	v_add_f32_e32 v46, v54, v46
	s_delay_alu instid0(VALU_DEP_1) | instskip(NEXT) | instid1(VALU_DEP_1)
	v_cndmask_b32_e64 v46, v46, v48, s0
	v_add_f32_e32 v47, v2, v46
.LBB471_121:
	s_or_b32 exec_lo, exec_lo, s45
	s_delay_alu instid0(VALU_DEP_1) | instskip(SKIP_2) | instid1(VALU_DEP_2)
	v_bfe_u32 v2, v47, 16, 1
	v_cmp_o_f32_e64 s0, v47, v47
	;;#ASMSTART
	;;#ASMEND
	v_add3_u32 v2, v47, v2, 0x7fff
	s_delay_alu instid0(VALU_DEP_1) | instskip(NEXT) | instid1(VALU_DEP_1)
	v_lshrrev_b32_e32 v2, 16, v2
	v_cndmask_b32_e64 v2, 0x7fc0, v2, s0
	s_delay_alu instid0(VALU_DEP_1) | instskip(NEXT) | instid1(VALU_DEP_1)
	v_lshlrev_b32_e32 v46, 16, v2
	v_max_f32_e32 v48, v46, v46
	s_delay_alu instid0(VALU_DEP_1)
	v_min_f32_e32 v47, v48, v17
	v_max_f32_e32 v48, v48, v17
.LBB471_122:
	s_or_b32 exec_lo, exec_lo, s1
	v_cmp_u_f32_e64 s0, v46, v46
	s_delay_alu instid0(VALU_DEP_1) | instskip(NEXT) | instid1(VALU_DEP_3)
	v_cndmask_b32_e64 v17, v47, v46, s0
	v_cndmask_b32_e64 v47, v48, v46, s0
	s_delay_alu instid0(VALU_DEP_2) | instskip(NEXT) | instid1(VALU_DEP_2)
	v_cndmask_b32_e64 v17, v17, v13, s23
	v_cndmask_b32_e64 v13, v47, v13, s23
	s_delay_alu instid0(VALU_DEP_2) | instskip(NEXT) | instid1(VALU_DEP_2)
	v_cmp_class_f32_e64 s1, v17, 0x1f8
	v_cmp_neq_f32_e64 s0, v17, v13
	s_delay_alu instid0(VALU_DEP_1) | instskip(NEXT) | instid1(SALU_CYCLE_1)
	s_or_b32 s0, s0, s1
	s_and_saveexec_b32 s1, s0
	s_cbranch_execz .LBB471_124
; %bb.123:
	v_sub_f32_e32 v17, v17, v13
	s_delay_alu instid0(VALU_DEP_1) | instskip(NEXT) | instid1(VALU_DEP_1)
	v_mul_f32_e32 v46, 0x3fb8aa3b, v17
	v_fma_f32 v47, 0x3fb8aa3b, v17, -v46
	v_rndne_f32_e32 v48, v46
	s_delay_alu instid0(VALU_DEP_1) | instskip(SKIP_1) | instid1(VALU_DEP_2)
	v_dual_sub_f32 v46, v46, v48 :: v_dual_fmamk_f32 v47, v17, 0x32a5705f, v47
	v_cmp_ngt_f32_e64 s0, 0xc2ce8ed0, v17
	v_add_f32_e32 v46, v46, v47
	v_cvt_i32_f32_e32 v47, v48
	s_delay_alu instid0(VALU_DEP_2) | instskip(SKIP_2) | instid1(VALU_DEP_1)
	v_exp_f32_e32 v46, v46
	s_waitcnt_depctr 0xfff
	v_ldexp_f32 v46, v46, v47
	v_cndmask_b32_e64 v46, 0, v46, s0
	v_cmp_nlt_f32_e64 s0, 0x42b17218, v17
	s_delay_alu instid0(VALU_DEP_1) | instskip(NEXT) | instid1(VALU_DEP_1)
	v_cndmask_b32_e64 v17, 0x7f800000, v46, s0
	v_add_f32_e32 v48, 1.0, v17
	v_cmp_gt_f32_e64 s23, 0x33800000, |v17|
	s_delay_alu instid0(VALU_DEP_2) | instskip(NEXT) | instid1(VALU_DEP_1)
	v_cvt_f64_f32_e32 v[46:47], v48
	v_frexp_exp_i32_f64_e32 v46, v[46:47]
	v_frexp_mant_f32_e32 v47, v48
	s_delay_alu instid0(VALU_DEP_1) | instskip(SKIP_2) | instid1(VALU_DEP_1)
	v_cmp_gt_f32_e64 s0, 0x3f2aaaab, v47
	v_add_f32_e32 v47, -1.0, v48
	s_waitcnt lgkmcnt(0)
	v_sub_f32_e32 v51, v47, v48
	s_delay_alu instid0(VALU_DEP_3) | instskip(SKIP_1) | instid1(VALU_DEP_1)
	v_subrev_co_ci_u32_e64 v46, s0, 0, v46, s0
	s_mov_b32 s0, 0x3e9b6dac
	v_sub_nc_u32_e32 v49, 0, v46
	v_cvt_f32_i32_e32 v46, v46
	s_delay_alu instid0(VALU_DEP_2) | instskip(SKIP_1) | instid1(VALU_DEP_2)
	v_ldexp_f32 v48, v48, v49
	v_sub_f32_e32 v47, v17, v47
	v_dual_add_f32 v51, 1.0, v51 :: v_dual_add_f32 v52, 1.0, v48
	s_delay_alu instid0(VALU_DEP_1) | instskip(NEXT) | instid1(VALU_DEP_1)
	v_add_f32_e32 v47, v47, v51
	v_ldexp_f32 v47, v47, v49
	v_add_f32_e32 v49, -1.0, v48
	s_delay_alu instid0(VALU_DEP_4) | instskip(NEXT) | instid1(VALU_DEP_2)
	v_add_f32_e32 v51, -1.0, v52
	v_add_f32_e32 v53, 1.0, v49
	s_delay_alu instid0(VALU_DEP_2) | instskip(NEXT) | instid1(VALU_DEP_1)
	v_sub_f32_e32 v51, v48, v51
	v_dual_sub_f32 v48, v48, v53 :: v_dual_add_f32 v51, v47, v51
	s_delay_alu instid0(VALU_DEP_1) | instskip(NEXT) | instid1(VALU_DEP_2)
	v_add_f32_e32 v47, v47, v48
	v_add_f32_e32 v53, v52, v51
	s_delay_alu instid0(VALU_DEP_2) | instskip(NEXT) | instid1(VALU_DEP_2)
	v_add_f32_e32 v54, v49, v47
	v_rcp_f32_e32 v48, v53
	v_sub_f32_e32 v52, v52, v53
	s_delay_alu instid0(VALU_DEP_1) | instskip(SKIP_2) | instid1(VALU_DEP_1)
	v_add_f32_e32 v51, v51, v52
	s_waitcnt_depctr 0xfff
	v_mul_f32_e32 v55, v54, v48
	v_mul_f32_e32 v56, v53, v55
	v_sub_f32_e32 v49, v49, v54
	s_delay_alu instid0(VALU_DEP_2) | instskip(NEXT) | instid1(VALU_DEP_2)
	v_fma_f32 v52, v55, v53, -v56
	v_add_f32_e32 v47, v47, v49
	s_delay_alu instid0(VALU_DEP_2) | instskip(NEXT) | instid1(VALU_DEP_1)
	v_fmac_f32_e32 v52, v55, v51
	v_add_f32_e32 v57, v56, v52
	s_delay_alu instid0(VALU_DEP_1) | instskip(NEXT) | instid1(VALU_DEP_1)
	v_dual_sub_f32 v58, v54, v57 :: v_dual_sub_f32 v49, v57, v56
	v_dual_sub_f32 v54, v54, v58 :: v_dual_sub_f32 v49, v49, v52
	s_delay_alu instid0(VALU_DEP_1) | instskip(NEXT) | instid1(VALU_DEP_1)
	v_sub_f32_e32 v54, v54, v57
	v_add_f32_e32 v47, v47, v54
	s_delay_alu instid0(VALU_DEP_1) | instskip(NEXT) | instid1(VALU_DEP_1)
	v_add_f32_e32 v47, v49, v47
	v_add_f32_e32 v49, v58, v47
	s_delay_alu instid0(VALU_DEP_1) | instskip(NEXT) | instid1(VALU_DEP_1)
	v_mul_f32_e32 v52, v48, v49
	v_dual_sub_f32 v57, v58, v49 :: v_dual_mul_f32 v54, v53, v52
	s_delay_alu instid0(VALU_DEP_1) | instskip(NEXT) | instid1(VALU_DEP_2)
	v_add_f32_e32 v47, v47, v57
	v_fma_f32 v53, v52, v53, -v54
	s_delay_alu instid0(VALU_DEP_1) | instskip(NEXT) | instid1(VALU_DEP_1)
	v_fmac_f32_e32 v53, v52, v51
	v_add_f32_e32 v51, v54, v53
	s_delay_alu instid0(VALU_DEP_1) | instskip(NEXT) | instid1(VALU_DEP_1)
	v_sub_f32_e32 v56, v49, v51
	v_dual_sub_f32 v54, v51, v54 :: v_dual_sub_f32 v49, v49, v56
	s_delay_alu instid0(VALU_DEP_1) | instskip(NEXT) | instid1(VALU_DEP_2)
	v_sub_f32_e32 v49, v49, v51
	v_sub_f32_e32 v51, v54, v53
	s_delay_alu instid0(VALU_DEP_2) | instskip(SKIP_1) | instid1(VALU_DEP_2)
	v_add_f32_e32 v47, v47, v49
	v_add_f32_e32 v49, v55, v52
	;; [unrolled: 1-line block ×3, first 2 shown]
	s_delay_alu instid0(VALU_DEP_2) | instskip(NEXT) | instid1(VALU_DEP_2)
	v_sub_f32_e32 v51, v49, v55
	v_add_f32_e32 v47, v56, v47
	s_delay_alu instid0(VALU_DEP_2) | instskip(NEXT) | instid1(VALU_DEP_2)
	v_sub_f32_e32 v51, v52, v51
	v_mul_f32_e32 v47, v48, v47
	s_delay_alu instid0(VALU_DEP_1) | instskip(NEXT) | instid1(VALU_DEP_1)
	v_add_f32_e32 v47, v51, v47
	v_add_f32_e32 v48, v49, v47
	s_delay_alu instid0(VALU_DEP_1) | instskip(NEXT) | instid1(VALU_DEP_1)
	v_mul_f32_e32 v51, v48, v48
	v_fmaak_f32 v52, s0, v51, 0x3ecc95a3
	v_mul_f32_e32 v53, v48, v51
	v_cmp_eq_f32_e64 s0, 0x7f800000, v17
	s_delay_alu instid0(VALU_DEP_3) | instskip(SKIP_2) | instid1(VALU_DEP_4)
	v_fmaak_f32 v51, v51, v52, 0x3f2aaada
	v_ldexp_f32 v52, v48, 1
	v_sub_f32_e32 v48, v48, v49
	s_or_b32 s0, s0, s23
	s_delay_alu instid0(VALU_DEP_3) | instskip(SKIP_1) | instid1(VALU_DEP_3)
	v_mul_f32_e32 v51, v53, v51
	v_mul_f32_e32 v53, 0x3f317218, v46
	v_sub_f32_e32 v47, v47, v48
	s_delay_alu instid0(VALU_DEP_3) | instskip(NEXT) | instid1(VALU_DEP_2)
	v_add_f32_e32 v49, v52, v51
	v_ldexp_f32 v47, v47, 1
	s_delay_alu instid0(VALU_DEP_2) | instskip(SKIP_1) | instid1(VALU_DEP_2)
	v_sub_f32_e32 v48, v49, v52
	v_fma_f32 v52, 0x3f317218, v46, -v53
	v_sub_f32_e32 v48, v51, v48
	s_delay_alu instid0(VALU_DEP_1) | instskip(NEXT) | instid1(VALU_DEP_1)
	v_dual_fmamk_f32 v46, v46, 0xb102e308, v52 :: v_dual_add_f32 v47, v47, v48
	v_add_f32_e32 v48, v53, v46
	s_delay_alu instid0(VALU_DEP_2) | instskip(NEXT) | instid1(VALU_DEP_2)
	v_add_f32_e32 v51, v49, v47
	v_sub_f32_e32 v53, v48, v53
	s_delay_alu instid0(VALU_DEP_2) | instskip(NEXT) | instid1(VALU_DEP_2)
	v_dual_add_f32 v52, v48, v51 :: v_dual_sub_f32 v49, v51, v49
	v_sub_f32_e32 v46, v46, v53
	s_delay_alu instid0(VALU_DEP_2) | instskip(NEXT) | instid1(VALU_DEP_1)
	v_dual_sub_f32 v54, v52, v48 :: v_dual_sub_f32 v47, v47, v49
	v_sub_f32_e32 v55, v52, v54
	v_sub_f32_e32 v49, v51, v54
	s_delay_alu instid0(VALU_DEP_3) | instskip(NEXT) | instid1(VALU_DEP_3)
	v_add_f32_e32 v51, v46, v47
	v_sub_f32_e32 v48, v48, v55
	s_delay_alu instid0(VALU_DEP_1) | instskip(NEXT) | instid1(VALU_DEP_1)
	v_dual_add_f32 v48, v49, v48 :: v_dual_sub_f32 v49, v51, v46
	v_add_f32_e32 v48, v51, v48
	s_delay_alu instid0(VALU_DEP_2) | instskip(SKIP_1) | instid1(VALU_DEP_2)
	v_sub_f32_e32 v51, v51, v49
	v_sub_f32_e32 v47, v47, v49
	v_dual_add_f32 v53, v52, v48 :: v_dual_sub_f32 v46, v46, v51
	s_delay_alu instid0(VALU_DEP_1) | instskip(NEXT) | instid1(VALU_DEP_1)
	v_dual_sub_f32 v49, v53, v52 :: v_dual_add_f32 v46, v47, v46
	v_sub_f32_e32 v47, v48, v49
	s_delay_alu instid0(VALU_DEP_1) | instskip(NEXT) | instid1(VALU_DEP_1)
	v_add_f32_e32 v46, v46, v47
	v_add_f32_e32 v46, v53, v46
	s_delay_alu instid0(VALU_DEP_1) | instskip(NEXT) | instid1(VALU_DEP_1)
	v_cndmask_b32_e64 v17, v46, v17, s0
	v_add_f32_e32 v46, v13, v17
.LBB471_124:
	s_or_b32 exec_lo, exec_lo, s1
	s_delay_alu instid0(VALU_DEP_1) | instskip(SKIP_1) | instid1(VALU_DEP_2)
	v_bfe_u32 v13, v46, 16, 1
	v_cmp_o_f32_e64 s0, v46, v46
	v_add3_u32 v13, v46, v13, 0x7fff
	s_delay_alu instid0(VALU_DEP_1) | instskip(NEXT) | instid1(VALU_DEP_1)
	v_lshrrev_b32_e32 v13, 16, v13
	v_cndmask_b32_e64 v13, 0x7fc0, v13, s0
	s_delay_alu instid0(VALU_DEP_1) | instskip(NEXT) | instid1(VALU_DEP_1)
	v_lshlrev_b32_e32 v17, 16, v13
	v_max_f32_e32 v46, v17, v17
	s_delay_alu instid0(VALU_DEP_1) | instskip(SKIP_2) | instid1(VALU_DEP_1)
	v_min_f32_e32 v47, v46, v16
	v_max_f32_e32 v16, v46, v16
	v_cmp_u_f32_e64 s0, v17, v17
	v_cndmask_b32_e64 v46, v47, v17, s0
	s_delay_alu instid0(VALU_DEP_3) | instskip(NEXT) | instid1(VALU_DEP_2)
	v_cndmask_b32_e64 v47, v16, v17, s0
	v_cndmask_b32_e64 v16, v46, v14, s24
	s_delay_alu instid0(VALU_DEP_2) | instskip(NEXT) | instid1(VALU_DEP_2)
	v_cndmask_b32_e64 v14, v47, v14, s24
	v_cmp_class_f32_e64 s1, v16, 0x1f8
	s_delay_alu instid0(VALU_DEP_2) | instskip(NEXT) | instid1(VALU_DEP_1)
	v_cmp_neq_f32_e64 s0, v16, v14
	s_or_b32 s0, s0, s1
	s_delay_alu instid0(SALU_CYCLE_1)
	s_and_saveexec_b32 s1, s0
	s_cbranch_execz .LBB471_126
; %bb.125:
	v_sub_f32_e32 v16, v16, v14
	s_delay_alu instid0(VALU_DEP_1) | instskip(NEXT) | instid1(VALU_DEP_1)
	v_mul_f32_e32 v17, 0x3fb8aa3b, v16
	v_fma_f32 v46, 0x3fb8aa3b, v16, -v17
	v_rndne_f32_e32 v47, v17
	s_delay_alu instid0(VALU_DEP_1) | instskip(SKIP_1) | instid1(VALU_DEP_2)
	v_dual_sub_f32 v17, v17, v47 :: v_dual_fmamk_f32 v46, v16, 0x32a5705f, v46
	v_cmp_ngt_f32_e64 s0, 0xc2ce8ed0, v16
	v_add_f32_e32 v17, v17, v46
	v_cvt_i32_f32_e32 v46, v47
	s_delay_alu instid0(VALU_DEP_2) | instskip(SKIP_2) | instid1(VALU_DEP_1)
	v_exp_f32_e32 v17, v17
	s_waitcnt_depctr 0xfff
	v_ldexp_f32 v17, v17, v46
	v_cndmask_b32_e64 v17, 0, v17, s0
	v_cmp_nlt_f32_e64 s0, 0x42b17218, v16
	s_delay_alu instid0(VALU_DEP_1) | instskip(NEXT) | instid1(VALU_DEP_1)
	v_cndmask_b32_e64 v46, 0x7f800000, v17, s0
	v_add_f32_e32 v47, 1.0, v46
	v_cmp_gt_f32_e64 s23, 0x33800000, |v46|
	s_delay_alu instid0(VALU_DEP_2) | instskip(NEXT) | instid1(VALU_DEP_1)
	v_cvt_f64_f32_e32 v[16:17], v47
	v_frexp_exp_i32_f64_e32 v16, v[16:17]
	v_frexp_mant_f32_e32 v17, v47
	s_delay_alu instid0(VALU_DEP_1) | instskip(SKIP_1) | instid1(VALU_DEP_1)
	v_cmp_gt_f32_e64 s0, 0x3f2aaaab, v17
	v_add_f32_e32 v17, -1.0, v47
	v_sub_f32_e32 v49, v17, v47
	v_sub_f32_e32 v17, v46, v17
	s_delay_alu instid0(VALU_DEP_2) | instskip(NEXT) | instid1(VALU_DEP_1)
	v_add_f32_e32 v49, 1.0, v49
	v_add_f32_e32 v17, v17, v49
	v_subrev_co_ci_u32_e64 v16, s0, 0, v16, s0
	s_mov_b32 s0, 0x3e9b6dac
	s_delay_alu instid0(VALU_DEP_1) | instskip(SKIP_1) | instid1(VALU_DEP_2)
	v_sub_nc_u32_e32 v48, 0, v16
	v_cvt_f32_i32_e32 v16, v16
	v_ldexp_f32 v47, v47, v48
	v_ldexp_f32 v17, v17, v48
	s_waitcnt lgkmcnt(0)
	s_delay_alu instid0(VALU_DEP_2) | instskip(SKIP_1) | instid1(VALU_DEP_1)
	v_add_f32_e32 v51, 1.0, v47
	v_add_f32_e32 v48, -1.0, v47
	v_dual_add_f32 v49, -1.0, v51 :: v_dual_add_f32 v52, 1.0, v48
	s_delay_alu instid0(VALU_DEP_1) | instskip(NEXT) | instid1(VALU_DEP_2)
	v_sub_f32_e32 v49, v47, v49
	v_sub_f32_e32 v47, v47, v52
	s_delay_alu instid0(VALU_DEP_2) | instskip(NEXT) | instid1(VALU_DEP_1)
	v_add_f32_e32 v49, v17, v49
	v_add_f32_e32 v52, v51, v49
	s_delay_alu instid0(VALU_DEP_1) | instskip(NEXT) | instid1(VALU_DEP_1)
	v_sub_f32_e32 v51, v51, v52
	v_add_f32_e32 v49, v49, v51
	v_add_f32_e32 v17, v17, v47
	v_rcp_f32_e32 v47, v52
	s_delay_alu instid0(VALU_DEP_1) | instskip(NEXT) | instid1(VALU_DEP_1)
	v_add_f32_e32 v53, v48, v17
	v_sub_f32_e32 v48, v48, v53
	s_waitcnt_depctr 0xfff
	v_mul_f32_e32 v54, v53, v47
	v_add_f32_e32 v17, v17, v48
	s_delay_alu instid0(VALU_DEP_2) | instskip(NEXT) | instid1(VALU_DEP_1)
	v_mul_f32_e32 v55, v52, v54
	v_fma_f32 v51, v54, v52, -v55
	s_delay_alu instid0(VALU_DEP_1) | instskip(NEXT) | instid1(VALU_DEP_1)
	v_fmac_f32_e32 v51, v54, v49
	v_add_f32_e32 v56, v55, v51
	s_delay_alu instid0(VALU_DEP_1) | instskip(NEXT) | instid1(VALU_DEP_1)
	v_dual_sub_f32 v57, v53, v56 :: v_dual_sub_f32 v48, v56, v55
	v_dual_sub_f32 v53, v53, v57 :: v_dual_sub_f32 v48, v48, v51
	s_delay_alu instid0(VALU_DEP_1) | instskip(NEXT) | instid1(VALU_DEP_1)
	v_sub_f32_e32 v53, v53, v56
	v_add_f32_e32 v17, v17, v53
	s_delay_alu instid0(VALU_DEP_1) | instskip(NEXT) | instid1(VALU_DEP_1)
	v_add_f32_e32 v17, v48, v17
	v_add_f32_e32 v48, v57, v17
	s_delay_alu instid0(VALU_DEP_1) | instskip(NEXT) | instid1(VALU_DEP_1)
	v_mul_f32_e32 v51, v47, v48
	v_dual_sub_f32 v56, v57, v48 :: v_dual_mul_f32 v53, v52, v51
	s_delay_alu instid0(VALU_DEP_1) | instskip(NEXT) | instid1(VALU_DEP_2)
	v_add_f32_e32 v17, v17, v56
	v_fma_f32 v52, v51, v52, -v53
	s_delay_alu instid0(VALU_DEP_1) | instskip(NEXT) | instid1(VALU_DEP_1)
	v_fmac_f32_e32 v52, v51, v49
	v_add_f32_e32 v49, v53, v52
	s_delay_alu instid0(VALU_DEP_1) | instskip(NEXT) | instid1(VALU_DEP_1)
	v_sub_f32_e32 v55, v48, v49
	v_dual_sub_f32 v53, v49, v53 :: v_dual_sub_f32 v48, v48, v55
	s_delay_alu instid0(VALU_DEP_1) | instskip(NEXT) | instid1(VALU_DEP_1)
	v_dual_sub_f32 v48, v48, v49 :: v_dual_sub_f32 v49, v53, v52
	v_dual_add_f32 v17, v17, v48 :: v_dual_add_f32 v48, v54, v51
	s_delay_alu instid0(VALU_DEP_1) | instskip(NEXT) | instid1(VALU_DEP_2)
	v_add_f32_e32 v17, v49, v17
	v_sub_f32_e32 v49, v48, v54
	s_delay_alu instid0(VALU_DEP_2) | instskip(NEXT) | instid1(VALU_DEP_2)
	v_add_f32_e32 v17, v55, v17
	v_sub_f32_e32 v49, v51, v49
	s_delay_alu instid0(VALU_DEP_2) | instskip(NEXT) | instid1(VALU_DEP_1)
	v_mul_f32_e32 v17, v47, v17
	v_add_f32_e32 v17, v49, v17
	s_delay_alu instid0(VALU_DEP_1) | instskip(NEXT) | instid1(VALU_DEP_1)
	v_add_f32_e32 v47, v48, v17
	v_mul_f32_e32 v49, v47, v47
	s_delay_alu instid0(VALU_DEP_1) | instskip(SKIP_2) | instid1(VALU_DEP_3)
	v_fmaak_f32 v51, s0, v49, 0x3ecc95a3
	v_mul_f32_e32 v52, v47, v49
	v_cmp_eq_f32_e64 s0, 0x7f800000, v46
	v_fmaak_f32 v49, v49, v51, 0x3f2aaada
	v_ldexp_f32 v51, v47, 1
	v_sub_f32_e32 v47, v47, v48
	s_delay_alu instid0(VALU_DEP_4) | instskip(NEXT) | instid1(VALU_DEP_3)
	s_or_b32 s0, s0, s23
	v_dual_mul_f32 v49, v52, v49 :: v_dual_mul_f32 v52, 0x3f317218, v16
	s_delay_alu instid0(VALU_DEP_1) | instskip(NEXT) | instid1(VALU_DEP_1)
	v_dual_sub_f32 v17, v17, v47 :: v_dual_add_f32 v48, v51, v49
	v_ldexp_f32 v17, v17, 1
	s_delay_alu instid0(VALU_DEP_2) | instskip(NEXT) | instid1(VALU_DEP_4)
	v_sub_f32_e32 v47, v48, v51
	v_fma_f32 v51, 0x3f317218, v16, -v52
	s_delay_alu instid0(VALU_DEP_1) | instskip(NEXT) | instid1(VALU_DEP_1)
	v_dual_sub_f32 v47, v49, v47 :: v_dual_fmamk_f32 v16, v16, 0xb102e308, v51
	v_add_f32_e32 v17, v17, v47
	s_delay_alu instid0(VALU_DEP_2) | instskip(NEXT) | instid1(VALU_DEP_1)
	v_add_f32_e32 v47, v52, v16
	v_dual_add_f32 v49, v48, v17 :: v_dual_sub_f32 v52, v47, v52
	s_delay_alu instid0(VALU_DEP_1) | instskip(NEXT) | instid1(VALU_DEP_1)
	v_dual_add_f32 v51, v47, v49 :: v_dual_sub_f32 v48, v49, v48
	v_dual_sub_f32 v16, v16, v52 :: v_dual_sub_f32 v53, v51, v47
	s_delay_alu instid0(VALU_DEP_1) | instskip(SKIP_1) | instid1(VALU_DEP_2)
	v_dual_sub_f32 v17, v17, v48 :: v_dual_sub_f32 v54, v51, v53
	v_sub_f32_e32 v48, v49, v53
	v_add_f32_e32 v49, v16, v17
	s_delay_alu instid0(VALU_DEP_3) | instskip(NEXT) | instid1(VALU_DEP_1)
	v_sub_f32_e32 v47, v47, v54
	v_dual_add_f32 v47, v48, v47 :: v_dual_sub_f32 v48, v49, v16
	s_delay_alu instid0(VALU_DEP_1) | instskip(NEXT) | instid1(VALU_DEP_2)
	v_add_f32_e32 v47, v49, v47
	v_sub_f32_e32 v49, v49, v48
	s_delay_alu instid0(VALU_DEP_2) | instskip(NEXT) | instid1(VALU_DEP_2)
	v_dual_sub_f32 v17, v17, v48 :: v_dual_add_f32 v52, v51, v47
	v_sub_f32_e32 v16, v16, v49
	s_delay_alu instid0(VALU_DEP_2) | instskip(NEXT) | instid1(VALU_DEP_2)
	v_sub_f32_e32 v48, v52, v51
	v_add_f32_e32 v16, v17, v16
	s_delay_alu instid0(VALU_DEP_2) | instskip(NEXT) | instid1(VALU_DEP_1)
	v_sub_f32_e32 v17, v47, v48
	v_add_f32_e32 v16, v16, v17
	s_delay_alu instid0(VALU_DEP_1) | instskip(NEXT) | instid1(VALU_DEP_1)
	v_add_f32_e32 v16, v52, v16
	v_cndmask_b32_e64 v16, v16, v46, s0
	s_delay_alu instid0(VALU_DEP_1)
	v_add_f32_e32 v17, v14, v16
.LBB471_126:
	s_or_b32 exec_lo, exec_lo, s1
	s_delay_alu instid0(VALU_DEP_1) | instskip(SKIP_1) | instid1(VALU_DEP_2)
	v_bfe_u32 v14, v17, 16, 1
	v_cmp_o_f32_e64 s0, v17, v17
	v_add3_u32 v14, v17, v14, 0x7fff
	s_delay_alu instid0(VALU_DEP_1) | instskip(NEXT) | instid1(VALU_DEP_1)
	v_lshrrev_b32_e32 v14, 16, v14
	v_cndmask_b32_e64 v14, 0x7fc0, v14, s0
	s_delay_alu instid0(VALU_DEP_1) | instskip(NEXT) | instid1(VALU_DEP_1)
	v_lshlrev_b32_e32 v16, 16, v14
	v_max_f32_e32 v17, v16, v16
	v_cmp_u_f32_e64 s0, v16, v16
	s_delay_alu instid0(VALU_DEP_2) | instskip(SKIP_1) | instid1(VALU_DEP_2)
	v_min_f32_e32 v46, v17, v18
	v_max_f32_e32 v17, v17, v18
	v_cndmask_b32_e64 v18, v46, v16, s0
	s_delay_alu instid0(VALU_DEP_2) | instskip(NEXT) | instid1(VALU_DEP_2)
	v_cndmask_b32_e64 v46, v17, v16, s0
	v_cndmask_b32_e64 v17, v18, v3, s25
	s_delay_alu instid0(VALU_DEP_2) | instskip(NEXT) | instid1(VALU_DEP_2)
	v_cndmask_b32_e64 v3, v46, v3, s25
	v_cmp_class_f32_e64 s1, v17, 0x1f8
	s_delay_alu instid0(VALU_DEP_2) | instskip(NEXT) | instid1(VALU_DEP_1)
	v_cmp_neq_f32_e64 s0, v17, v3
	s_or_b32 s0, s0, s1
	s_delay_alu instid0(SALU_CYCLE_1)
	s_and_saveexec_b32 s1, s0
	s_cbranch_execz .LBB471_128
; %bb.127:
	v_sub_f32_e32 v16, v17, v3
	s_delay_alu instid0(VALU_DEP_1) | instskip(SKIP_1) | instid1(VALU_DEP_2)
	v_mul_f32_e32 v17, 0x3fb8aa3b, v16
	v_cmp_ngt_f32_e64 s0, 0xc2ce8ed0, v16
	v_fma_f32 v18, 0x3fb8aa3b, v16, -v17
	v_rndne_f32_e32 v46, v17
	s_delay_alu instid0(VALU_DEP_1) | instskip(NEXT) | instid1(VALU_DEP_1)
	v_dual_fmamk_f32 v18, v16, 0x32a5705f, v18 :: v_dual_sub_f32 v17, v17, v46
	v_add_f32_e32 v17, v17, v18
	v_cvt_i32_f32_e32 v18, v46
	s_delay_alu instid0(VALU_DEP_2) | instskip(SKIP_2) | instid1(VALU_DEP_1)
	v_exp_f32_e32 v17, v17
	s_waitcnt_depctr 0xfff
	v_ldexp_f32 v17, v17, v18
	v_cndmask_b32_e64 v17, 0, v17, s0
	v_cmp_nlt_f32_e64 s0, 0x42b17218, v16
	s_delay_alu instid0(VALU_DEP_1) | instskip(NEXT) | instid1(VALU_DEP_1)
	v_cndmask_b32_e64 v18, 0x7f800000, v17, s0
	v_add_f32_e32 v46, 1.0, v18
	v_cmp_gt_f32_e64 s23, 0x33800000, |v18|
	s_delay_alu instid0(VALU_DEP_2) | instskip(NEXT) | instid1(VALU_DEP_1)
	v_cvt_f64_f32_e32 v[16:17], v46
	v_frexp_exp_i32_f64_e32 v16, v[16:17]
	v_frexp_mant_f32_e32 v17, v46
	s_delay_alu instid0(VALU_DEP_1) | instskip(SKIP_1) | instid1(VALU_DEP_1)
	v_cmp_gt_f32_e64 s0, 0x3f2aaaab, v17
	v_add_f32_e32 v17, -1.0, v46
	v_dual_sub_f32 v48, v17, v46 :: v_dual_sub_f32 v17, v18, v17
	s_delay_alu instid0(VALU_DEP_1) | instskip(NEXT) | instid1(VALU_DEP_4)
	v_add_f32_e32 v48, 1.0, v48
	v_subrev_co_ci_u32_e64 v16, s0, 0, v16, s0
	s_mov_b32 s0, 0x3e9b6dac
	s_delay_alu instid0(VALU_DEP_1) | instskip(SKIP_1) | instid1(VALU_DEP_2)
	v_sub_nc_u32_e32 v47, 0, v16
	v_cvt_f32_i32_e32 v16, v16
	v_ldexp_f32 v46, v46, v47
	s_delay_alu instid0(VALU_DEP_1) | instskip(NEXT) | instid1(VALU_DEP_1)
	v_add_f32_e32 v49, 1.0, v46
	v_dual_add_f32 v17, v17, v48 :: v_dual_add_f32 v48, -1.0, v49
	s_delay_alu instid0(VALU_DEP_1) | instskip(NEXT) | instid1(VALU_DEP_2)
	v_ldexp_f32 v17, v17, v47
	v_dual_sub_f32 v48, v46, v48 :: v_dual_add_f32 v47, -1.0, v46
	s_waitcnt lgkmcnt(0)
	s_delay_alu instid0(VALU_DEP_1) | instskip(NEXT) | instid1(VALU_DEP_1)
	v_dual_add_f32 v48, v17, v48 :: v_dual_add_f32 v51, 1.0, v47
	v_dual_sub_f32 v46, v46, v51 :: v_dual_add_f32 v51, v49, v48
	s_delay_alu instid0(VALU_DEP_1) | instskip(NEXT) | instid1(VALU_DEP_2)
	v_add_f32_e32 v17, v17, v46
	v_rcp_f32_e32 v46, v51
	s_delay_alu instid0(VALU_DEP_1) | instskip(NEXT) | instid1(VALU_DEP_1)
	v_dual_add_f32 v52, v47, v17 :: v_dual_sub_f32 v49, v49, v51
	v_sub_f32_e32 v47, v47, v52
	s_waitcnt_depctr 0xfff
	v_mul_f32_e32 v53, v52, v46
	v_add_f32_e32 v48, v48, v49
	s_delay_alu instid0(VALU_DEP_2) | instskip(NEXT) | instid1(VALU_DEP_1)
	v_dual_mul_f32 v54, v51, v53 :: v_dual_add_f32 v17, v17, v47
	v_fma_f32 v49, v53, v51, -v54
	s_delay_alu instid0(VALU_DEP_1) | instskip(NEXT) | instid1(VALU_DEP_1)
	v_fmac_f32_e32 v49, v53, v48
	v_add_f32_e32 v55, v54, v49
	s_delay_alu instid0(VALU_DEP_1) | instskip(NEXT) | instid1(VALU_DEP_1)
	v_sub_f32_e32 v56, v52, v55
	v_dual_sub_f32 v52, v52, v56 :: v_dual_sub_f32 v47, v55, v54
	s_delay_alu instid0(VALU_DEP_1) | instskip(NEXT) | instid1(VALU_DEP_1)
	v_dual_sub_f32 v52, v52, v55 :: v_dual_sub_f32 v47, v47, v49
	v_add_f32_e32 v17, v17, v52
	s_delay_alu instid0(VALU_DEP_1) | instskip(NEXT) | instid1(VALU_DEP_1)
	v_add_f32_e32 v17, v47, v17
	v_add_f32_e32 v47, v56, v17
	s_delay_alu instid0(VALU_DEP_1) | instskip(NEXT) | instid1(VALU_DEP_1)
	v_mul_f32_e32 v49, v46, v47
	v_dual_sub_f32 v55, v56, v47 :: v_dual_mul_f32 v52, v51, v49
	s_delay_alu instid0(VALU_DEP_1) | instskip(NEXT) | instid1(VALU_DEP_2)
	v_add_f32_e32 v17, v17, v55
	v_fma_f32 v51, v49, v51, -v52
	s_delay_alu instid0(VALU_DEP_1) | instskip(NEXT) | instid1(VALU_DEP_1)
	v_fmac_f32_e32 v51, v49, v48
	v_add_f32_e32 v48, v52, v51
	s_delay_alu instid0(VALU_DEP_1) | instskip(NEXT) | instid1(VALU_DEP_1)
	v_sub_f32_e32 v54, v47, v48
	v_dual_sub_f32 v52, v48, v52 :: v_dual_sub_f32 v47, v47, v54
	s_delay_alu instid0(VALU_DEP_1) | instskip(NEXT) | instid1(VALU_DEP_1)
	v_dual_sub_f32 v47, v47, v48 :: v_dual_sub_f32 v48, v52, v51
	v_add_f32_e32 v17, v17, v47
	v_add_f32_e32 v47, v53, v49
	s_delay_alu instid0(VALU_DEP_2) | instskip(NEXT) | instid1(VALU_DEP_2)
	v_add_f32_e32 v17, v48, v17
	v_sub_f32_e32 v48, v47, v53
	s_delay_alu instid0(VALU_DEP_1) | instskip(NEXT) | instid1(VALU_DEP_1)
	v_dual_add_f32 v17, v54, v17 :: v_dual_sub_f32 v48, v49, v48
	v_mul_f32_e32 v17, v46, v17
	s_delay_alu instid0(VALU_DEP_1) | instskip(NEXT) | instid1(VALU_DEP_1)
	v_add_f32_e32 v17, v48, v17
	v_add_f32_e32 v46, v47, v17
	s_delay_alu instid0(VALU_DEP_1) | instskip(NEXT) | instid1(VALU_DEP_1)
	v_mul_f32_e32 v48, v46, v46
	v_fmaak_f32 v49, s0, v48, 0x3ecc95a3
	v_mul_f32_e32 v51, v46, v48
	v_cmp_eq_f32_e64 s0, 0x7f800000, v18
	s_delay_alu instid0(VALU_DEP_3) | instskip(SKIP_2) | instid1(VALU_DEP_4)
	v_fmaak_f32 v48, v48, v49, 0x3f2aaada
	v_ldexp_f32 v49, v46, 1
	v_sub_f32_e32 v46, v46, v47
	s_or_b32 s0, s0, s23
	s_delay_alu instid0(VALU_DEP_3) | instskip(SKIP_1) | instid1(VALU_DEP_3)
	v_mul_f32_e32 v48, v51, v48
	v_mul_f32_e32 v51, 0x3f317218, v16
	v_sub_f32_e32 v17, v17, v46
	s_delay_alu instid0(VALU_DEP_3) | instskip(NEXT) | instid1(VALU_DEP_2)
	v_add_f32_e32 v47, v49, v48
	v_ldexp_f32 v17, v17, 1
	s_delay_alu instid0(VALU_DEP_2) | instskip(SKIP_1) | instid1(VALU_DEP_2)
	v_sub_f32_e32 v46, v47, v49
	v_fma_f32 v49, 0x3f317218, v16, -v51
	v_sub_f32_e32 v46, v48, v46
	s_delay_alu instid0(VALU_DEP_1) | instskip(NEXT) | instid1(VALU_DEP_1)
	v_dual_fmamk_f32 v16, v16, 0xb102e308, v49 :: v_dual_add_f32 v17, v17, v46
	v_add_f32_e32 v46, v51, v16
	s_delay_alu instid0(VALU_DEP_1) | instskip(NEXT) | instid1(VALU_DEP_1)
	v_dual_add_f32 v48, v47, v17 :: v_dual_sub_f32 v51, v46, v51
	v_dual_add_f32 v49, v46, v48 :: v_dual_sub_f32 v16, v16, v51
	s_delay_alu instid0(VALU_DEP_1) | instskip(NEXT) | instid1(VALU_DEP_1)
	v_sub_f32_e32 v52, v49, v46
	v_sub_f32_e32 v53, v49, v52
	s_delay_alu instid0(VALU_DEP_1) | instskip(NEXT) | instid1(VALU_DEP_1)
	v_dual_sub_f32 v46, v46, v53 :: v_dual_sub_f32 v47, v48, v47
	v_sub_f32_e32 v17, v17, v47
	v_sub_f32_e32 v47, v48, v52
	s_delay_alu instid0(VALU_DEP_2) | instskip(NEXT) | instid1(VALU_DEP_1)
	v_add_f32_e32 v48, v16, v17
	v_dual_add_f32 v46, v47, v46 :: v_dual_sub_f32 v47, v48, v16
	s_delay_alu instid0(VALU_DEP_1) | instskip(NEXT) | instid1(VALU_DEP_1)
	v_add_f32_e32 v46, v48, v46
	v_dual_sub_f32 v48, v48, v47 :: v_dual_add_f32 v51, v49, v46
	s_delay_alu instid0(VALU_DEP_1) | instskip(NEXT) | instid1(VALU_DEP_1)
	v_dual_sub_f32 v17, v17, v47 :: v_dual_sub_f32 v16, v16, v48
	v_dual_sub_f32 v47, v51, v49 :: v_dual_add_f32 v16, v17, v16
	s_delay_alu instid0(VALU_DEP_1) | instskip(NEXT) | instid1(VALU_DEP_1)
	v_sub_f32_e32 v17, v46, v47
	v_add_f32_e32 v16, v16, v17
	s_delay_alu instid0(VALU_DEP_1) | instskip(NEXT) | instid1(VALU_DEP_1)
	v_add_f32_e32 v16, v51, v16
	v_cndmask_b32_e64 v16, v16, v18, s0
	s_delay_alu instid0(VALU_DEP_1)
	v_add_f32_e32 v16, v3, v16
.LBB471_128:
	s_or_b32 exec_lo, exec_lo, s1
	s_delay_alu instid0(VALU_DEP_1) | instskip(SKIP_1) | instid1(VALU_DEP_2)
	v_bfe_u32 v3, v16, 16, 1
	v_cmp_o_f32_e64 s0, v16, v16
	v_add3_u32 v3, v16, v3, 0x7fff
	s_delay_alu instid0(VALU_DEP_1) | instskip(NEXT) | instid1(VALU_DEP_1)
	v_lshrrev_b32_e32 v3, 16, v3
	v_cndmask_b32_e64 v3, 0x7fc0, v3, s0
	s_delay_alu instid0(VALU_DEP_1) | instskip(NEXT) | instid1(VALU_DEP_1)
	v_lshlrev_b32_e32 v16, 16, v3
	v_max_f32_e32 v17, v16, v16
	s_delay_alu instid0(VALU_DEP_1) | instskip(SKIP_2) | instid1(VALU_DEP_1)
	v_min_f32_e32 v18, v17, v20
	v_max_f32_e32 v17, v17, v20
	v_cmp_u_f32_e64 s0, v16, v16
	v_cndmask_b32_e64 v18, v18, v16, s0
	s_delay_alu instid0(VALU_DEP_3) | instskip(NEXT) | instid1(VALU_DEP_2)
	v_cndmask_b32_e64 v20, v17, v16, s0
	v_cndmask_b32_e64 v17, v18, v15, s26
	s_delay_alu instid0(VALU_DEP_2) | instskip(NEXT) | instid1(VALU_DEP_2)
	v_cndmask_b32_e64 v15, v20, v15, s26
	v_cmp_class_f32_e64 s1, v17, 0x1f8
	s_delay_alu instid0(VALU_DEP_2) | instskip(NEXT) | instid1(VALU_DEP_1)
	v_cmp_neq_f32_e64 s0, v17, v15
	s_or_b32 s0, s0, s1
	s_delay_alu instid0(SALU_CYCLE_1)
	s_and_saveexec_b32 s1, s0
	s_cbranch_execz .LBB471_130
; %bb.129:
	v_sub_f32_e32 v16, v17, v15
	s_delay_alu instid0(VALU_DEP_1) | instskip(SKIP_1) | instid1(VALU_DEP_2)
	v_mul_f32_e32 v17, 0x3fb8aa3b, v16
	v_cmp_ngt_f32_e64 s0, 0xc2ce8ed0, v16
	v_fma_f32 v18, 0x3fb8aa3b, v16, -v17
	v_rndne_f32_e32 v20, v17
	s_delay_alu instid0(VALU_DEP_1) | instskip(NEXT) | instid1(VALU_DEP_1)
	v_dual_fmamk_f32 v18, v16, 0x32a5705f, v18 :: v_dual_sub_f32 v17, v17, v20
	v_add_f32_e32 v17, v17, v18
	v_cvt_i32_f32_e32 v18, v20
	s_delay_alu instid0(VALU_DEP_2) | instskip(SKIP_2) | instid1(VALU_DEP_1)
	v_exp_f32_e32 v17, v17
	s_waitcnt_depctr 0xfff
	v_ldexp_f32 v17, v17, v18
	v_cndmask_b32_e64 v17, 0, v17, s0
	v_cmp_nlt_f32_e64 s0, 0x42b17218, v16
	s_delay_alu instid0(VALU_DEP_1) | instskip(NEXT) | instid1(VALU_DEP_1)
	v_cndmask_b32_e64 v18, 0x7f800000, v17, s0
	v_add_f32_e32 v20, 1.0, v18
	v_cmp_gt_f32_e64 s23, 0x33800000, |v18|
	s_delay_alu instid0(VALU_DEP_2) | instskip(NEXT) | instid1(VALU_DEP_1)
	v_cvt_f64_f32_e32 v[16:17], v20
	v_frexp_exp_i32_f64_e32 v16, v[16:17]
	v_frexp_mant_f32_e32 v17, v20
	s_delay_alu instid0(VALU_DEP_1) | instskip(SKIP_1) | instid1(VALU_DEP_1)
	v_cmp_gt_f32_e64 s0, 0x3f2aaaab, v17
	v_add_f32_e32 v17, -1.0, v20
	v_sub_f32_e32 v47, v17, v20
	s_delay_alu instid0(VALU_DEP_1) | instskip(NEXT) | instid1(VALU_DEP_4)
	v_add_f32_e32 v47, 1.0, v47
	v_subrev_co_ci_u32_e64 v16, s0, 0, v16, s0
	s_mov_b32 s0, 0x3e9b6dac
	s_delay_alu instid0(VALU_DEP_1) | instskip(SKIP_1) | instid1(VALU_DEP_2)
	v_sub_nc_u32_e32 v46, 0, v16
	v_cvt_f32_i32_e32 v16, v16
	v_ldexp_f32 v20, v20, v46
	s_delay_alu instid0(VALU_DEP_1) | instskip(NEXT) | instid1(VALU_DEP_1)
	v_dual_sub_f32 v17, v18, v17 :: v_dual_add_f32 v48, 1.0, v20
	v_add_f32_e32 v17, v17, v47
	s_delay_alu instid0(VALU_DEP_1) | instskip(SKIP_1) | instid1(VALU_DEP_4)
	v_ldexp_f32 v17, v17, v46
	v_add_f32_e32 v46, -1.0, v20
	v_add_f32_e32 v47, -1.0, v48
	s_delay_alu instid0(VALU_DEP_2) | instskip(NEXT) | instid1(VALU_DEP_2)
	v_add_f32_e32 v49, 1.0, v46
	v_sub_f32_e32 v47, v20, v47
	s_delay_alu instid0(VALU_DEP_1) | instskip(NEXT) | instid1(VALU_DEP_1)
	v_dual_sub_f32 v20, v20, v49 :: v_dual_add_f32 v47, v17, v47
	v_add_f32_e32 v17, v17, v20
	s_delay_alu instid0(VALU_DEP_2) | instskip(SKIP_1) | instid1(VALU_DEP_2)
	v_add_f32_e32 v49, v48, v47
	s_waitcnt lgkmcnt(0)
	v_add_f32_e32 v51, v46, v17
	s_delay_alu instid0(VALU_DEP_2) | instskip(SKIP_1) | instid1(VALU_DEP_1)
	v_rcp_f32_e32 v20, v49
	v_sub_f32_e32 v48, v48, v49
	v_dual_sub_f32 v46, v46, v51 :: v_dual_add_f32 v47, v47, v48
	s_waitcnt_depctr 0xfff
	v_dual_add_f32 v17, v17, v46 :: v_dual_mul_f32 v52, v51, v20
	s_delay_alu instid0(VALU_DEP_1) | instskip(NEXT) | instid1(VALU_DEP_1)
	v_mul_f32_e32 v53, v49, v52
	v_fma_f32 v48, v52, v49, -v53
	s_delay_alu instid0(VALU_DEP_1) | instskip(NEXT) | instid1(VALU_DEP_1)
	v_fmac_f32_e32 v48, v52, v47
	v_add_f32_e32 v54, v53, v48
	s_delay_alu instid0(VALU_DEP_1) | instskip(NEXT) | instid1(VALU_DEP_1)
	v_dual_sub_f32 v55, v51, v54 :: v_dual_sub_f32 v46, v54, v53
	v_dual_sub_f32 v51, v51, v55 :: v_dual_sub_f32 v46, v46, v48
	s_delay_alu instid0(VALU_DEP_1) | instskip(NEXT) | instid1(VALU_DEP_1)
	v_sub_f32_e32 v51, v51, v54
	v_add_f32_e32 v17, v17, v51
	s_delay_alu instid0(VALU_DEP_1) | instskip(NEXT) | instid1(VALU_DEP_1)
	v_add_f32_e32 v17, v46, v17
	v_add_f32_e32 v46, v55, v17
	s_delay_alu instid0(VALU_DEP_1) | instskip(NEXT) | instid1(VALU_DEP_1)
	v_mul_f32_e32 v48, v20, v46
	v_dual_sub_f32 v54, v55, v46 :: v_dual_mul_f32 v51, v49, v48
	s_delay_alu instid0(VALU_DEP_1) | instskip(NEXT) | instid1(VALU_DEP_2)
	v_add_f32_e32 v17, v17, v54
	v_fma_f32 v49, v48, v49, -v51
	s_delay_alu instid0(VALU_DEP_1) | instskip(NEXT) | instid1(VALU_DEP_1)
	v_fmac_f32_e32 v49, v48, v47
	v_add_f32_e32 v47, v51, v49
	s_delay_alu instid0(VALU_DEP_1) | instskip(NEXT) | instid1(VALU_DEP_1)
	v_sub_f32_e32 v53, v46, v47
	v_dual_sub_f32 v51, v47, v51 :: v_dual_sub_f32 v46, v46, v53
	s_delay_alu instid0(VALU_DEP_1) | instskip(NEXT) | instid1(VALU_DEP_1)
	v_dual_sub_f32 v46, v46, v47 :: v_dual_sub_f32 v47, v51, v49
	v_dual_add_f32 v17, v17, v46 :: v_dual_add_f32 v46, v52, v48
	s_delay_alu instid0(VALU_DEP_1) | instskip(NEXT) | instid1(VALU_DEP_2)
	v_add_f32_e32 v17, v47, v17
	v_sub_f32_e32 v47, v46, v52
	s_delay_alu instid0(VALU_DEP_2) | instskip(NEXT) | instid1(VALU_DEP_2)
	v_add_f32_e32 v17, v53, v17
	v_sub_f32_e32 v47, v48, v47
	s_delay_alu instid0(VALU_DEP_2) | instskip(NEXT) | instid1(VALU_DEP_1)
	v_mul_f32_e32 v17, v20, v17
	v_add_f32_e32 v17, v47, v17
	s_delay_alu instid0(VALU_DEP_1) | instskip(NEXT) | instid1(VALU_DEP_1)
	v_add_f32_e32 v20, v46, v17
	v_mul_f32_e32 v47, v20, v20
	s_delay_alu instid0(VALU_DEP_1) | instskip(SKIP_2) | instid1(VALU_DEP_3)
	v_fmaak_f32 v48, s0, v47, 0x3ecc95a3
	v_mul_f32_e32 v49, v20, v47
	v_cmp_eq_f32_e64 s0, 0x7f800000, v18
	v_fmaak_f32 v47, v47, v48, 0x3f2aaada
	v_ldexp_f32 v48, v20, 1
	v_sub_f32_e32 v20, v20, v46
	s_delay_alu instid0(VALU_DEP_4) | instskip(NEXT) | instid1(VALU_DEP_3)
	s_or_b32 s0, s0, s23
	v_mul_f32_e32 v47, v49, v47
	v_mul_f32_e32 v49, 0x3f317218, v16
	s_delay_alu instid0(VALU_DEP_2) | instskip(NEXT) | instid1(VALU_DEP_1)
	v_dual_sub_f32 v17, v17, v20 :: v_dual_add_f32 v46, v48, v47
	v_ldexp_f32 v17, v17, 1
	s_delay_alu instid0(VALU_DEP_2) | instskip(NEXT) | instid1(VALU_DEP_4)
	v_sub_f32_e32 v20, v46, v48
	v_fma_f32 v48, 0x3f317218, v16, -v49
	s_delay_alu instid0(VALU_DEP_2) | instskip(NEXT) | instid1(VALU_DEP_1)
	v_sub_f32_e32 v20, v47, v20
	v_dual_fmamk_f32 v16, v16, 0xb102e308, v48 :: v_dual_add_f32 v17, v17, v20
	s_delay_alu instid0(VALU_DEP_1) | instskip(NEXT) | instid1(VALU_DEP_1)
	v_dual_add_f32 v20, v49, v16 :: v_dual_add_f32 v47, v46, v17
	v_sub_f32_e32 v49, v20, v49
	s_delay_alu instid0(VALU_DEP_2) | instskip(SKIP_1) | instid1(VALU_DEP_3)
	v_add_f32_e32 v48, v20, v47
	v_sub_f32_e32 v46, v47, v46
	v_sub_f32_e32 v16, v16, v49
	s_delay_alu instid0(VALU_DEP_3) | instskip(NEXT) | instid1(VALU_DEP_1)
	v_sub_f32_e32 v51, v48, v20
	v_dual_sub_f32 v17, v17, v46 :: v_dual_sub_f32 v52, v48, v51
	s_delay_alu instid0(VALU_DEP_1) | instskip(NEXT) | instid1(VALU_DEP_2)
	v_dual_sub_f32 v46, v47, v51 :: v_dual_add_f32 v47, v16, v17
	v_sub_f32_e32 v20, v20, v52
	s_delay_alu instid0(VALU_DEP_1) | instskip(NEXT) | instid1(VALU_DEP_3)
	v_add_f32_e32 v20, v46, v20
	v_sub_f32_e32 v46, v47, v16
	s_delay_alu instid0(VALU_DEP_2) | instskip(NEXT) | instid1(VALU_DEP_2)
	v_add_f32_e32 v20, v47, v20
	v_sub_f32_e32 v47, v47, v46
	v_sub_f32_e32 v17, v17, v46
	s_delay_alu instid0(VALU_DEP_3) | instskip(NEXT) | instid1(VALU_DEP_3)
	v_add_f32_e32 v49, v48, v20
	v_sub_f32_e32 v16, v16, v47
	s_delay_alu instid0(VALU_DEP_2) | instskip(NEXT) | instid1(VALU_DEP_1)
	v_sub_f32_e32 v46, v49, v48
	v_dual_add_f32 v16, v17, v16 :: v_dual_sub_f32 v17, v20, v46
	s_delay_alu instid0(VALU_DEP_1) | instskip(NEXT) | instid1(VALU_DEP_1)
	v_add_f32_e32 v16, v16, v17
	v_add_f32_e32 v16, v49, v16
	s_delay_alu instid0(VALU_DEP_1) | instskip(NEXT) | instid1(VALU_DEP_1)
	v_cndmask_b32_e64 v16, v16, v18, s0
	v_add_f32_e32 v16, v15, v16
.LBB471_130:
	s_or_b32 exec_lo, exec_lo, s1
	s_delay_alu instid0(VALU_DEP_1) | instskip(SKIP_1) | instid1(VALU_DEP_2)
	v_bfe_u32 v15, v16, 16, 1
	v_cmp_o_f32_e64 s0, v16, v16
	v_add3_u32 v15, v16, v15, 0x7fff
	s_delay_alu instid0(VALU_DEP_1) | instskip(NEXT) | instid1(VALU_DEP_1)
	v_lshrrev_b32_e32 v15, 16, v15
	v_cndmask_b32_e64 v15, 0x7fc0, v15, s0
	s_delay_alu instid0(VALU_DEP_1) | instskip(NEXT) | instid1(VALU_DEP_1)
	v_lshlrev_b32_e32 v16, 16, v15
	v_max_f32_e32 v17, v16, v16
	s_delay_alu instid0(VALU_DEP_1) | instskip(SKIP_2) | instid1(VALU_DEP_1)
	v_min_f32_e32 v18, v17, v21
	v_max_f32_e32 v17, v17, v21
	v_cmp_u_f32_e64 s0, v16, v16
	v_cndmask_b32_e64 v18, v18, v16, s0
	s_delay_alu instid0(VALU_DEP_3) | instskip(NEXT) | instid1(VALU_DEP_2)
	v_cndmask_b32_e64 v20, v17, v16, s0
	v_cndmask_b32_e64 v17, v18, v10, s27
	s_delay_alu instid0(VALU_DEP_2) | instskip(NEXT) | instid1(VALU_DEP_2)
	v_cndmask_b32_e64 v10, v20, v10, s27
	v_cmp_class_f32_e64 s1, v17, 0x1f8
	s_delay_alu instid0(VALU_DEP_2) | instskip(NEXT) | instid1(VALU_DEP_1)
	v_cmp_neq_f32_e64 s0, v17, v10
	s_or_b32 s0, s0, s1
	s_delay_alu instid0(SALU_CYCLE_1)
	s_and_saveexec_b32 s1, s0
	s_cbranch_execz .LBB471_132
; %bb.131:
	v_sub_f32_e32 v16, v17, v10
	s_delay_alu instid0(VALU_DEP_1) | instskip(SKIP_1) | instid1(VALU_DEP_2)
	v_mul_f32_e32 v17, 0x3fb8aa3b, v16
	v_cmp_ngt_f32_e64 s0, 0xc2ce8ed0, v16
	v_fma_f32 v18, 0x3fb8aa3b, v16, -v17
	v_rndne_f32_e32 v20, v17
	s_delay_alu instid0(VALU_DEP_1) | instskip(NEXT) | instid1(VALU_DEP_1)
	v_dual_fmamk_f32 v18, v16, 0x32a5705f, v18 :: v_dual_sub_f32 v17, v17, v20
	v_add_f32_e32 v17, v17, v18
	v_cvt_i32_f32_e32 v18, v20
	s_delay_alu instid0(VALU_DEP_2) | instskip(SKIP_2) | instid1(VALU_DEP_1)
	v_exp_f32_e32 v17, v17
	s_waitcnt_depctr 0xfff
	v_ldexp_f32 v17, v17, v18
	v_cndmask_b32_e64 v17, 0, v17, s0
	v_cmp_nlt_f32_e64 s0, 0x42b17218, v16
	s_delay_alu instid0(VALU_DEP_1) | instskip(NEXT) | instid1(VALU_DEP_1)
	v_cndmask_b32_e64 v18, 0x7f800000, v17, s0
	v_add_f32_e32 v20, 1.0, v18
	v_cmp_gt_f32_e64 s23, 0x33800000, |v18|
	s_delay_alu instid0(VALU_DEP_2) | instskip(NEXT) | instid1(VALU_DEP_1)
	v_cvt_f64_f32_e32 v[16:17], v20
	v_frexp_exp_i32_f64_e32 v16, v[16:17]
	v_frexp_mant_f32_e32 v17, v20
	s_delay_alu instid0(VALU_DEP_1) | instskip(SKIP_1) | instid1(VALU_DEP_1)
	v_cmp_gt_f32_e64 s0, 0x3f2aaaab, v17
	v_add_f32_e32 v17, -1.0, v20
	v_dual_sub_f32 v46, v17, v20 :: v_dual_sub_f32 v17, v18, v17
	s_delay_alu instid0(VALU_DEP_3) | instskip(SKIP_1) | instid1(VALU_DEP_1)
	v_subrev_co_ci_u32_e64 v16, s0, 0, v16, s0
	s_mov_b32 s0, 0x3e9b6dac
	v_sub_nc_u32_e32 v21, 0, v16
	v_cvt_f32_i32_e32 v16, v16
	s_delay_alu instid0(VALU_DEP_2) | instskip(NEXT) | instid1(VALU_DEP_1)
	v_ldexp_f32 v20, v20, v21
	v_dual_add_f32 v46, 1.0, v46 :: v_dual_add_f32 v47, 1.0, v20
	s_delay_alu instid0(VALU_DEP_1) | instskip(NEXT) | instid1(VALU_DEP_1)
	v_dual_add_f32 v17, v17, v46 :: v_dual_add_f32 v46, -1.0, v47
	v_ldexp_f32 v17, v17, v21
	s_delay_alu instid0(VALU_DEP_2) | instskip(NEXT) | instid1(VALU_DEP_1)
	v_dual_add_f32 v21, -1.0, v20 :: v_dual_sub_f32 v46, v20, v46
	v_add_f32_e32 v48, 1.0, v21
	s_delay_alu instid0(VALU_DEP_2) | instskip(NEXT) | instid1(VALU_DEP_2)
	v_add_f32_e32 v46, v17, v46
	v_sub_f32_e32 v20, v20, v48
	s_delay_alu instid0(VALU_DEP_1) | instskip(NEXT) | instid1(VALU_DEP_1)
	v_dual_add_f32 v48, v47, v46 :: v_dual_add_f32 v17, v17, v20
	v_rcp_f32_e32 v20, v48
	v_sub_f32_e32 v47, v47, v48
	s_delay_alu instid0(VALU_DEP_1) | instskip(NEXT) | instid1(VALU_DEP_1)
	v_dual_add_f32 v49, v21, v17 :: v_dual_add_f32 v46, v46, v47
	v_sub_f32_e32 v21, v21, v49
	s_waitcnt lgkmcnt(0)
	s_waitcnt_depctr 0xfff
	v_mul_f32_e32 v51, v49, v20
	s_delay_alu instid0(VALU_DEP_1) | instskip(NEXT) | instid1(VALU_DEP_1)
	v_dual_add_f32 v17, v17, v21 :: v_dual_mul_f32 v52, v48, v51
	v_fma_f32 v47, v51, v48, -v52
	s_delay_alu instid0(VALU_DEP_1) | instskip(NEXT) | instid1(VALU_DEP_1)
	v_fmac_f32_e32 v47, v51, v46
	v_add_f32_e32 v53, v52, v47
	s_delay_alu instid0(VALU_DEP_1) | instskip(SKIP_1) | instid1(VALU_DEP_2)
	v_sub_f32_e32 v54, v49, v53
	v_sub_f32_e32 v21, v53, v52
	;; [unrolled: 1-line block ×3, first 2 shown]
	s_delay_alu instid0(VALU_DEP_2) | instskip(NEXT) | instid1(VALU_DEP_2)
	v_sub_f32_e32 v21, v21, v47
	v_sub_f32_e32 v49, v49, v53
	s_delay_alu instid0(VALU_DEP_1) | instskip(NEXT) | instid1(VALU_DEP_1)
	v_add_f32_e32 v17, v17, v49
	v_add_f32_e32 v17, v21, v17
	s_delay_alu instid0(VALU_DEP_1) | instskip(NEXT) | instid1(VALU_DEP_1)
	v_add_f32_e32 v21, v54, v17
	v_mul_f32_e32 v47, v20, v21
	s_delay_alu instid0(VALU_DEP_1) | instskip(NEXT) | instid1(VALU_DEP_1)
	v_mul_f32_e32 v49, v48, v47
	v_fma_f32 v48, v47, v48, -v49
	s_delay_alu instid0(VALU_DEP_1) | instskip(NEXT) | instid1(VALU_DEP_1)
	v_fmac_f32_e32 v48, v47, v46
	v_add_f32_e32 v46, v49, v48
	s_delay_alu instid0(VALU_DEP_1) | instskip(SKIP_1) | instid1(VALU_DEP_2)
	v_dual_sub_f32 v52, v21, v46 :: v_dual_sub_f32 v49, v46, v49
	v_sub_f32_e32 v53, v54, v21
	v_sub_f32_e32 v21, v21, v52
	s_delay_alu instid0(VALU_DEP_1) | instskip(NEXT) | instid1(VALU_DEP_4)
	v_sub_f32_e32 v21, v21, v46
	v_sub_f32_e32 v46, v49, v48
	s_delay_alu instid0(VALU_DEP_4) | instskip(NEXT) | instid1(VALU_DEP_1)
	v_add_f32_e32 v17, v17, v53
	v_add_f32_e32 v17, v17, v21
	;; [unrolled: 1-line block ×3, first 2 shown]
	s_delay_alu instid0(VALU_DEP_1) | instskip(NEXT) | instid1(VALU_DEP_1)
	v_dual_add_f32 v17, v46, v17 :: v_dual_sub_f32 v46, v21, v51
	v_dual_add_f32 v17, v52, v17 :: v_dual_sub_f32 v46, v47, v46
	s_delay_alu instid0(VALU_DEP_1) | instskip(NEXT) | instid1(VALU_DEP_1)
	v_mul_f32_e32 v17, v20, v17
	v_add_f32_e32 v17, v46, v17
	s_delay_alu instid0(VALU_DEP_1) | instskip(NEXT) | instid1(VALU_DEP_1)
	v_add_f32_e32 v20, v21, v17
	v_mul_f32_e32 v46, v20, v20
	s_delay_alu instid0(VALU_DEP_1) | instskip(SKIP_2) | instid1(VALU_DEP_3)
	v_fmaak_f32 v47, s0, v46, 0x3ecc95a3
	v_mul_f32_e32 v48, v20, v46
	v_cmp_eq_f32_e64 s0, 0x7f800000, v18
	v_fmaak_f32 v46, v46, v47, 0x3f2aaada
	v_ldexp_f32 v47, v20, 1
	s_delay_alu instid0(VALU_DEP_3) | instskip(NEXT) | instid1(VALU_DEP_2)
	s_or_b32 s0, s0, s23
	v_mul_f32_e32 v46, v48, v46
	v_sub_f32_e32 v20, v20, v21
	s_delay_alu instid0(VALU_DEP_2) | instskip(NEXT) | instid1(VALU_DEP_2)
	v_dual_mul_f32 v48, 0x3f317218, v16 :: v_dual_add_f32 v21, v47, v46
	v_sub_f32_e32 v17, v17, v20
	s_delay_alu instid0(VALU_DEP_2) | instskip(NEXT) | instid1(VALU_DEP_3)
	v_sub_f32_e32 v20, v21, v47
	v_fma_f32 v47, 0x3f317218, v16, -v48
	s_delay_alu instid0(VALU_DEP_3) | instskip(NEXT) | instid1(VALU_DEP_3)
	v_ldexp_f32 v17, v17, 1
	v_sub_f32_e32 v20, v46, v20
	s_delay_alu instid0(VALU_DEP_1) | instskip(NEXT) | instid1(VALU_DEP_1)
	v_dual_fmamk_f32 v16, v16, 0xb102e308, v47 :: v_dual_add_f32 v17, v17, v20
	v_add_f32_e32 v20, v48, v16
	s_delay_alu instid0(VALU_DEP_2) | instskip(NEXT) | instid1(VALU_DEP_2)
	v_add_f32_e32 v46, v21, v17
	v_sub_f32_e32 v48, v20, v48
	s_delay_alu instid0(VALU_DEP_2) | instskip(NEXT) | instid1(VALU_DEP_2)
	v_add_f32_e32 v47, v20, v46
	v_sub_f32_e32 v16, v16, v48
	s_delay_alu instid0(VALU_DEP_2) | instskip(SKIP_1) | instid1(VALU_DEP_2)
	v_sub_f32_e32 v49, v47, v20
	v_sub_f32_e32 v21, v46, v21
	;; [unrolled: 1-line block ×3, first 2 shown]
	s_delay_alu instid0(VALU_DEP_2) | instskip(NEXT) | instid1(VALU_DEP_2)
	v_sub_f32_e32 v17, v17, v21
	v_dual_sub_f32 v21, v46, v49 :: v_dual_sub_f32 v20, v20, v51
	s_delay_alu instid0(VALU_DEP_2) | instskip(NEXT) | instid1(VALU_DEP_2)
	v_add_f32_e32 v46, v16, v17
	v_add_f32_e32 v20, v21, v20
	s_delay_alu instid0(VALU_DEP_2) | instskip(NEXT) | instid1(VALU_DEP_2)
	v_sub_f32_e32 v21, v46, v16
	v_add_f32_e32 v20, v46, v20
	s_delay_alu instid0(VALU_DEP_2) | instskip(NEXT) | instid1(VALU_DEP_1)
	v_sub_f32_e32 v46, v46, v21
	v_dual_sub_f32 v17, v17, v21 :: v_dual_sub_f32 v16, v16, v46
	s_delay_alu instid0(VALU_DEP_1) | instskip(NEXT) | instid1(VALU_DEP_4)
	v_add_f32_e32 v16, v17, v16
	v_add_f32_e32 v48, v47, v20
	s_delay_alu instid0(VALU_DEP_1) | instskip(NEXT) | instid1(VALU_DEP_1)
	v_sub_f32_e32 v21, v48, v47
	v_sub_f32_e32 v17, v20, v21
	s_delay_alu instid0(VALU_DEP_1) | instskip(NEXT) | instid1(VALU_DEP_1)
	v_add_f32_e32 v16, v16, v17
	v_add_f32_e32 v16, v48, v16
	s_delay_alu instid0(VALU_DEP_1) | instskip(NEXT) | instid1(VALU_DEP_1)
	v_cndmask_b32_e64 v16, v16, v18, s0
	v_add_f32_e32 v16, v10, v16
.LBB471_132:
	s_or_b32 exec_lo, exec_lo, s1
	s_delay_alu instid0(VALU_DEP_1) | instskip(SKIP_1) | instid1(VALU_DEP_2)
	v_bfe_u32 v10, v16, 16, 1
	v_cmp_o_f32_e64 s0, v16, v16
	v_add3_u32 v10, v16, v10, 0x7fff
	s_delay_alu instid0(VALU_DEP_1) | instskip(NEXT) | instid1(VALU_DEP_1)
	v_lshrrev_b32_e32 v10, 16, v10
	v_cndmask_b32_e64 v10, 0x7fc0, v10, s0
	s_delay_alu instid0(VALU_DEP_1) | instskip(NEXT) | instid1(VALU_DEP_1)
	v_lshlrev_b32_e32 v17, 16, v10
	v_max_f32_e32 v16, v17, v17
	s_delay_alu instid0(VALU_DEP_1) | instskip(SKIP_2) | instid1(VALU_DEP_1)
	v_min_f32_e32 v18, v16, v23
	v_max_f32_e32 v16, v16, v23
	v_cmp_u_f32_e64 s0, v17, v17
	v_cndmask_b32_e64 v18, v18, v17, s0
	s_delay_alu instid0(VALU_DEP_3) | instskip(NEXT) | instid1(VALU_DEP_2)
	v_cndmask_b32_e64 v16, v16, v17, s0
	v_cndmask_b32_e64 v18, v18, v19, s28
	s_delay_alu instid0(VALU_DEP_2) | instskip(NEXT) | instid1(VALU_DEP_2)
	v_cndmask_b32_e64 v16, v16, v19, s28
	v_cmp_class_f32_e64 s1, v18, 0x1f8
	s_delay_alu instid0(VALU_DEP_2) | instskip(NEXT) | instid1(VALU_DEP_1)
	v_cmp_neq_f32_e64 s0, v18, v16
	s_or_b32 s0, s0, s1
	s_delay_alu instid0(SALU_CYCLE_1)
	s_and_saveexec_b32 s1, s0
	s_cbranch_execz .LBB471_134
; %bb.133:
	v_sub_f32_e32 v17, v18, v16
	s_delay_alu instid0(VALU_DEP_1) | instskip(SKIP_1) | instid1(VALU_DEP_2)
	v_mul_f32_e32 v18, 0x3fb8aa3b, v17
	v_cmp_ngt_f32_e64 s0, 0xc2ce8ed0, v17
	v_fma_f32 v19, 0x3fb8aa3b, v17, -v18
	v_rndne_f32_e32 v20, v18
	s_delay_alu instid0(VALU_DEP_1) | instskip(NEXT) | instid1(VALU_DEP_1)
	v_dual_fmamk_f32 v19, v17, 0x32a5705f, v19 :: v_dual_sub_f32 v18, v18, v20
	v_add_f32_e32 v18, v18, v19
	v_cvt_i32_f32_e32 v19, v20
	s_delay_alu instid0(VALU_DEP_2) | instskip(SKIP_2) | instid1(VALU_DEP_1)
	v_exp_f32_e32 v18, v18
	s_waitcnt_depctr 0xfff
	v_ldexp_f32 v18, v18, v19
	v_cndmask_b32_e64 v18, 0, v18, s0
	v_cmp_nlt_f32_e64 s0, 0x42b17218, v17
	s_delay_alu instid0(VALU_DEP_1) | instskip(NEXT) | instid1(VALU_DEP_1)
	v_cndmask_b32_e64 v19, 0x7f800000, v18, s0
	v_add_f32_e32 v20, 1.0, v19
	v_cmp_gt_f32_e64 s23, 0x33800000, |v19|
	s_delay_alu instid0(VALU_DEP_2) | instskip(NEXT) | instid1(VALU_DEP_1)
	v_cvt_f64_f32_e32 v[17:18], v20
	v_frexp_exp_i32_f64_e32 v17, v[17:18]
	v_frexp_mant_f32_e32 v18, v20
	s_delay_alu instid0(VALU_DEP_1) | instskip(SKIP_1) | instid1(VALU_DEP_1)
	v_cmp_gt_f32_e64 s0, 0x3f2aaaab, v18
	v_add_f32_e32 v18, -1.0, v20
	v_dual_sub_f32 v23, v18, v20 :: v_dual_sub_f32 v18, v19, v18
	s_delay_alu instid0(VALU_DEP_1) | instskip(NEXT) | instid1(VALU_DEP_4)
	v_add_f32_e32 v23, 1.0, v23
	v_subrev_co_ci_u32_e64 v17, s0, 0, v17, s0
	s_mov_b32 s0, 0x3e9b6dac
	s_delay_alu instid0(VALU_DEP_1) | instskip(SKIP_1) | instid1(VALU_DEP_2)
	v_sub_nc_u32_e32 v21, 0, v17
	v_cvt_f32_i32_e32 v17, v17
	v_ldexp_f32 v20, v20, v21
	v_add_f32_e32 v18, v18, v23
	s_delay_alu instid0(VALU_DEP_1) | instskip(NEXT) | instid1(VALU_DEP_3)
	v_ldexp_f32 v18, v18, v21
	v_add_f32_e32 v21, -1.0, v20
	s_delay_alu instid0(VALU_DEP_1) | instskip(NEXT) | instid1(VALU_DEP_1)
	v_dual_add_f32 v46, 1.0, v20 :: v_dual_add_f32 v47, 1.0, v21
	v_add_f32_e32 v23, -1.0, v46
	s_delay_alu instid0(VALU_DEP_1) | instskip(NEXT) | instid1(VALU_DEP_3)
	v_sub_f32_e32 v23, v20, v23
	v_sub_f32_e32 v20, v20, v47
	s_delay_alu instid0(VALU_DEP_2) | instskip(NEXT) | instid1(VALU_DEP_2)
	v_add_f32_e32 v23, v18, v23
	v_add_f32_e32 v18, v18, v20
	s_delay_alu instid0(VALU_DEP_1) | instskip(NEXT) | instid1(VALU_DEP_1)
	v_dual_add_f32 v48, v21, v18 :: v_dual_add_f32 v47, v46, v23
	v_rcp_f32_e32 v20, v47
	v_sub_f32_e32 v46, v46, v47
	s_delay_alu instid0(VALU_DEP_1) | instskip(SKIP_3) | instid1(VALU_DEP_1)
	v_add_f32_e32 v23, v23, v46
	s_waitcnt_depctr 0xfff
	v_mul_f32_e32 v49, v48, v20
	s_waitcnt lgkmcnt(0)
	v_mul_f32_e32 v51, v47, v49
	s_delay_alu instid0(VALU_DEP_1) | instskip(NEXT) | instid1(VALU_DEP_1)
	v_fma_f32 v46, v49, v47, -v51
	v_fmac_f32_e32 v46, v49, v23
	s_delay_alu instid0(VALU_DEP_1) | instskip(NEXT) | instid1(VALU_DEP_1)
	v_add_f32_e32 v52, v51, v46
	v_sub_f32_e32 v53, v48, v52
	s_delay_alu instid0(VALU_DEP_1) | instskip(NEXT) | instid1(VALU_DEP_1)
	v_dual_sub_f32 v21, v21, v48 :: v_dual_sub_f32 v48, v48, v53
	v_dual_add_f32 v18, v18, v21 :: v_dual_sub_f32 v21, v52, v51
	s_delay_alu instid0(VALU_DEP_1) | instskip(NEXT) | instid1(VALU_DEP_1)
	v_dual_sub_f32 v48, v48, v52 :: v_dual_sub_f32 v21, v21, v46
	v_add_f32_e32 v18, v18, v48
	s_delay_alu instid0(VALU_DEP_1) | instskip(NEXT) | instid1(VALU_DEP_1)
	v_add_f32_e32 v18, v21, v18
	v_add_f32_e32 v21, v53, v18
	s_delay_alu instid0(VALU_DEP_1) | instskip(NEXT) | instid1(VALU_DEP_1)
	v_mul_f32_e32 v46, v20, v21
	v_mul_f32_e32 v48, v47, v46
	s_delay_alu instid0(VALU_DEP_1) | instskip(NEXT) | instid1(VALU_DEP_1)
	v_fma_f32 v47, v46, v47, -v48
	v_dual_fmac_f32 v47, v46, v23 :: v_dual_sub_f32 v52, v53, v21
	s_delay_alu instid0(VALU_DEP_1) | instskip(NEXT) | instid1(VALU_DEP_1)
	v_dual_add_f32 v23, v48, v47 :: v_dual_add_f32 v18, v18, v52
	v_sub_f32_e32 v51, v21, v23
	s_delay_alu instid0(VALU_DEP_1) | instskip(NEXT) | instid1(VALU_DEP_1)
	v_dual_sub_f32 v21, v21, v51 :: v_dual_sub_f32 v48, v23, v48
	v_sub_f32_e32 v21, v21, v23
	s_delay_alu instid0(VALU_DEP_1) | instskip(SKIP_1) | instid1(VALU_DEP_1)
	v_dual_sub_f32 v23, v48, v47 :: v_dual_add_f32 v18, v18, v21
	v_add_f32_e32 v21, v49, v46
	v_dual_add_f32 v18, v23, v18 :: v_dual_sub_f32 v23, v21, v49
	s_delay_alu instid0(VALU_DEP_1) | instskip(NEXT) | instid1(VALU_DEP_1)
	v_dual_add_f32 v18, v51, v18 :: v_dual_sub_f32 v23, v46, v23
	v_mul_f32_e32 v18, v20, v18
	s_delay_alu instid0(VALU_DEP_1) | instskip(NEXT) | instid1(VALU_DEP_1)
	v_add_f32_e32 v18, v23, v18
	v_add_f32_e32 v20, v21, v18
	s_delay_alu instid0(VALU_DEP_1) | instskip(NEXT) | instid1(VALU_DEP_1)
	v_mul_f32_e32 v23, v20, v20
	v_fmaak_f32 v46, s0, v23, 0x3ecc95a3
	v_mul_f32_e32 v47, v20, v23
	v_cmp_eq_f32_e64 s0, 0x7f800000, v19
	s_delay_alu instid0(VALU_DEP_3) | instskip(SKIP_2) | instid1(VALU_DEP_4)
	v_fmaak_f32 v23, v23, v46, 0x3f2aaada
	v_ldexp_f32 v46, v20, 1
	v_sub_f32_e32 v20, v20, v21
	s_or_b32 s0, s0, s23
	s_delay_alu instid0(VALU_DEP_1) | instskip(NEXT) | instid1(VALU_DEP_1)
	v_dual_sub_f32 v18, v18, v20 :: v_dual_mul_f32 v23, v47, v23
	v_ldexp_f32 v18, v18, 1
	s_delay_alu instid0(VALU_DEP_2) | instskip(NEXT) | instid1(VALU_DEP_1)
	v_add_f32_e32 v21, v46, v23
	v_dual_mul_f32 v47, 0x3f317218, v17 :: v_dual_sub_f32 v20, v21, v46
	s_delay_alu instid0(VALU_DEP_1) | instskip(NEXT) | instid1(VALU_DEP_1)
	v_fma_f32 v46, 0x3f317218, v17, -v47
	v_dual_sub_f32 v20, v23, v20 :: v_dual_fmamk_f32 v17, v17, 0xb102e308, v46
	s_delay_alu instid0(VALU_DEP_1) | instskip(NEXT) | instid1(VALU_DEP_2)
	v_add_f32_e32 v18, v18, v20
	v_add_f32_e32 v20, v47, v17
	s_delay_alu instid0(VALU_DEP_1) | instskip(NEXT) | instid1(VALU_DEP_3)
	v_sub_f32_e32 v47, v20, v47
	v_add_f32_e32 v23, v21, v18
	s_delay_alu instid0(VALU_DEP_2) | instskip(NEXT) | instid1(VALU_DEP_2)
	v_sub_f32_e32 v17, v17, v47
	v_dual_add_f32 v46, v20, v23 :: v_dual_sub_f32 v21, v23, v21
	s_delay_alu instid0(VALU_DEP_1) | instskip(NEXT) | instid1(VALU_DEP_1)
	v_sub_f32_e32 v48, v46, v20
	v_dual_sub_f32 v18, v18, v21 :: v_dual_sub_f32 v21, v23, v48
	v_sub_f32_e32 v49, v46, v48
	s_delay_alu instid0(VALU_DEP_1) | instskip(NEXT) | instid1(VALU_DEP_1)
	v_dual_add_f32 v23, v17, v18 :: v_dual_sub_f32 v20, v20, v49
	v_dual_add_f32 v20, v21, v20 :: v_dual_sub_f32 v21, v23, v17
	s_delay_alu instid0(VALU_DEP_1) | instskip(NEXT) | instid1(VALU_DEP_2)
	v_add_f32_e32 v20, v23, v20
	v_sub_f32_e32 v23, v23, v21
	s_delay_alu instid0(VALU_DEP_1) | instskip(NEXT) | instid1(VALU_DEP_3)
	v_sub_f32_e32 v17, v17, v23
	v_add_f32_e32 v47, v46, v20
	s_delay_alu instid0(VALU_DEP_1) | instskip(NEXT) | instid1(VALU_DEP_1)
	v_dual_sub_f32 v18, v18, v21 :: v_dual_sub_f32 v21, v47, v46
	v_add_f32_e32 v17, v18, v17
	s_delay_alu instid0(VALU_DEP_2) | instskip(NEXT) | instid1(VALU_DEP_1)
	v_sub_f32_e32 v18, v20, v21
	v_add_f32_e32 v17, v17, v18
	s_delay_alu instid0(VALU_DEP_1) | instskip(NEXT) | instid1(VALU_DEP_1)
	v_add_f32_e32 v17, v47, v17
	v_cndmask_b32_e64 v17, v17, v19, s0
	s_delay_alu instid0(VALU_DEP_1)
	v_add_f32_e32 v17, v16, v17
.LBB471_134:
	s_or_b32 exec_lo, exec_lo, s1
	s_delay_alu instid0(VALU_DEP_1) | instskip(SKIP_1) | instid1(VALU_DEP_2)
	v_bfe_u32 v16, v17, 16, 1
	v_cmp_o_f32_e64 s0, v17, v17
	v_add3_u32 v16, v17, v16, 0x7fff
	s_delay_alu instid0(VALU_DEP_1) | instskip(NEXT) | instid1(VALU_DEP_1)
	v_lshrrev_b32_e32 v16, 16, v16
	v_cndmask_b32_e64 v16, 0x7fc0, v16, s0
	s_delay_alu instid0(VALU_DEP_1) | instskip(NEXT) | instid1(VALU_DEP_1)
	v_lshlrev_b32_e32 v17, 16, v16
	v_max_f32_e32 v18, v17, v17
	v_cmp_u_f32_e64 s0, v17, v17
	s_delay_alu instid0(VALU_DEP_2) | instskip(SKIP_1) | instid1(VALU_DEP_2)
	v_min_f32_e32 v19, v18, v24
	v_max_f32_e32 v18, v18, v24
	v_cndmask_b32_e64 v19, v19, v17, s0
	s_delay_alu instid0(VALU_DEP_2) | instskip(NEXT) | instid1(VALU_DEP_2)
	v_cndmask_b32_e64 v20, v18, v17, s0
	v_cndmask_b32_e64 v18, v19, v11, s29
	s_delay_alu instid0(VALU_DEP_2) | instskip(NEXT) | instid1(VALU_DEP_2)
	v_cndmask_b32_e64 v11, v20, v11, s29
	v_cmp_class_f32_e64 s1, v18, 0x1f8
	s_delay_alu instid0(VALU_DEP_2) | instskip(NEXT) | instid1(VALU_DEP_1)
	v_cmp_neq_f32_e64 s0, v18, v11
	s_or_b32 s0, s0, s1
	s_delay_alu instid0(SALU_CYCLE_1)
	s_and_saveexec_b32 s1, s0
	s_cbranch_execz .LBB471_136
; %bb.135:
	v_sub_f32_e32 v17, v18, v11
	s_delay_alu instid0(VALU_DEP_1) | instskip(SKIP_1) | instid1(VALU_DEP_2)
	v_mul_f32_e32 v18, 0x3fb8aa3b, v17
	v_cmp_ngt_f32_e64 s0, 0xc2ce8ed0, v17
	v_fma_f32 v19, 0x3fb8aa3b, v17, -v18
	v_rndne_f32_e32 v20, v18
	s_delay_alu instid0(VALU_DEP_1) | instskip(NEXT) | instid1(VALU_DEP_1)
	v_dual_fmamk_f32 v19, v17, 0x32a5705f, v19 :: v_dual_sub_f32 v18, v18, v20
	v_add_f32_e32 v18, v18, v19
	v_cvt_i32_f32_e32 v19, v20
	s_delay_alu instid0(VALU_DEP_2) | instskip(SKIP_2) | instid1(VALU_DEP_1)
	v_exp_f32_e32 v18, v18
	s_waitcnt_depctr 0xfff
	v_ldexp_f32 v18, v18, v19
	v_cndmask_b32_e64 v18, 0, v18, s0
	v_cmp_nlt_f32_e64 s0, 0x42b17218, v17
	s_delay_alu instid0(VALU_DEP_1) | instskip(NEXT) | instid1(VALU_DEP_1)
	v_cndmask_b32_e64 v19, 0x7f800000, v18, s0
	v_add_f32_e32 v20, 1.0, v19
	v_cmp_gt_f32_e64 s23, 0x33800000, |v19|
	s_delay_alu instid0(VALU_DEP_2) | instskip(NEXT) | instid1(VALU_DEP_1)
	v_cvt_f64_f32_e32 v[17:18], v20
	v_frexp_exp_i32_f64_e32 v17, v[17:18]
	v_frexp_mant_f32_e32 v18, v20
	s_delay_alu instid0(VALU_DEP_1) | instskip(SKIP_1) | instid1(VALU_DEP_1)
	v_cmp_gt_f32_e64 s0, 0x3f2aaaab, v18
	v_add_f32_e32 v18, -1.0, v20
	v_dual_sub_f32 v23, v18, v20 :: v_dual_sub_f32 v18, v19, v18
	s_delay_alu instid0(VALU_DEP_1) | instskip(NEXT) | instid1(VALU_DEP_4)
	v_add_f32_e32 v23, 1.0, v23
	v_subrev_co_ci_u32_e64 v17, s0, 0, v17, s0
	s_mov_b32 s0, 0x3e9b6dac
	s_delay_alu instid0(VALU_DEP_1) | instskip(SKIP_1) | instid1(VALU_DEP_2)
	v_sub_nc_u32_e32 v21, 0, v17
	v_cvt_f32_i32_e32 v17, v17
	v_ldexp_f32 v20, v20, v21
	v_add_f32_e32 v18, v18, v23
	s_delay_alu instid0(VALU_DEP_2) | instskip(NEXT) | instid1(VALU_DEP_2)
	v_add_f32_e32 v24, 1.0, v20
	v_ldexp_f32 v18, v18, v21
	v_add_f32_e32 v21, -1.0, v20
	s_delay_alu instid0(VALU_DEP_3) | instskip(NEXT) | instid1(VALU_DEP_1)
	v_add_f32_e32 v23, -1.0, v24
	v_dual_sub_f32 v23, v20, v23 :: v_dual_add_f32 v46, 1.0, v21
	s_delay_alu instid0(VALU_DEP_1) | instskip(NEXT) | instid1(VALU_DEP_1)
	v_dual_add_f32 v23, v18, v23 :: v_dual_sub_f32 v20, v20, v46
	v_add_f32_e32 v46, v24, v23
	s_delay_alu instid0(VALU_DEP_2) | instskip(NEXT) | instid1(VALU_DEP_1)
	v_add_f32_e32 v18, v18, v20
	v_add_f32_e32 v47, v21, v18
	s_delay_alu instid0(VALU_DEP_1) | instskip(NEXT) | instid1(VALU_DEP_1)
	v_dual_sub_f32 v24, v24, v46 :: v_dual_sub_f32 v21, v21, v47
	v_add_f32_e32 v23, v23, v24
	v_rcp_f32_e32 v20, v46
	s_delay_alu instid0(VALU_DEP_2) | instskip(SKIP_2) | instid1(VALU_DEP_1)
	v_add_f32_e32 v18, v18, v21
	s_waitcnt_depctr 0xfff
	v_mul_f32_e32 v48, v47, v20
	v_mul_f32_e32 v49, v46, v48
	s_delay_alu instid0(VALU_DEP_1) | instskip(NEXT) | instid1(VALU_DEP_1)
	v_fma_f32 v24, v48, v46, -v49
	v_fmac_f32_e32 v24, v48, v23
	s_waitcnt lgkmcnt(0)
	s_delay_alu instid0(VALU_DEP_1) | instskip(NEXT) | instid1(VALU_DEP_1)
	v_add_f32_e32 v51, v49, v24
	v_sub_f32_e32 v21, v51, v49
	s_delay_alu instid0(VALU_DEP_1) | instskip(NEXT) | instid1(VALU_DEP_1)
	v_dual_sub_f32 v52, v47, v51 :: v_dual_sub_f32 v21, v21, v24
	v_sub_f32_e32 v47, v47, v52
	s_delay_alu instid0(VALU_DEP_1) | instskip(NEXT) | instid1(VALU_DEP_1)
	v_sub_f32_e32 v47, v47, v51
	v_add_f32_e32 v18, v18, v47
	s_delay_alu instid0(VALU_DEP_1) | instskip(NEXT) | instid1(VALU_DEP_1)
	v_add_f32_e32 v18, v21, v18
	v_add_f32_e32 v21, v52, v18
	s_delay_alu instid0(VALU_DEP_1) | instskip(SKIP_1) | instid1(VALU_DEP_2)
	v_mul_f32_e32 v24, v20, v21
	v_sub_f32_e32 v51, v52, v21
	v_mul_f32_e32 v47, v46, v24
	s_delay_alu instid0(VALU_DEP_2) | instskip(NEXT) | instid1(VALU_DEP_2)
	v_add_f32_e32 v18, v18, v51
	v_fma_f32 v46, v24, v46, -v47
	s_delay_alu instid0(VALU_DEP_1) | instskip(NEXT) | instid1(VALU_DEP_1)
	v_fmac_f32_e32 v46, v24, v23
	v_add_f32_e32 v23, v47, v46
	s_delay_alu instid0(VALU_DEP_1) | instskip(NEXT) | instid1(VALU_DEP_1)
	v_sub_f32_e32 v49, v21, v23
	v_sub_f32_e32 v21, v21, v49
	s_delay_alu instid0(VALU_DEP_1) | instskip(NEXT) | instid1(VALU_DEP_1)
	v_sub_f32_e32 v21, v21, v23
	v_dual_sub_f32 v47, v23, v47 :: v_dual_add_f32 v18, v18, v21
	v_add_f32_e32 v21, v48, v24
	s_delay_alu instid0(VALU_DEP_2) | instskip(NEXT) | instid1(VALU_DEP_1)
	v_sub_f32_e32 v23, v47, v46
	v_add_f32_e32 v18, v23, v18
	s_delay_alu instid0(VALU_DEP_1) | instskip(NEXT) | instid1(VALU_DEP_1)
	v_add_f32_e32 v18, v49, v18
	v_dual_sub_f32 v23, v21, v48 :: v_dual_mul_f32 v18, v20, v18
	s_delay_alu instid0(VALU_DEP_1) | instskip(NEXT) | instid1(VALU_DEP_1)
	v_sub_f32_e32 v23, v24, v23
	v_add_f32_e32 v18, v23, v18
	s_delay_alu instid0(VALU_DEP_1) | instskip(NEXT) | instid1(VALU_DEP_1)
	v_add_f32_e32 v20, v21, v18
	v_mul_f32_e32 v23, v20, v20
	s_delay_alu instid0(VALU_DEP_1) | instskip(SKIP_2) | instid1(VALU_DEP_3)
	v_fmaak_f32 v24, s0, v23, 0x3ecc95a3
	v_mul_f32_e32 v46, v20, v23
	v_cmp_eq_f32_e64 s0, 0x7f800000, v19
	v_fmaak_f32 v23, v23, v24, 0x3f2aaada
	v_ldexp_f32 v24, v20, 1
	v_sub_f32_e32 v20, v20, v21
	s_delay_alu instid0(VALU_DEP_4) | instskip(NEXT) | instid1(VALU_DEP_3)
	s_or_b32 s0, s0, s23
	v_dual_mul_f32 v23, v46, v23 :: v_dual_mul_f32 v46, 0x3f317218, v17
	s_delay_alu instid0(VALU_DEP_1) | instskip(NEXT) | instid1(VALU_DEP_1)
	v_dual_sub_f32 v18, v18, v20 :: v_dual_add_f32 v21, v24, v23
	v_ldexp_f32 v18, v18, 1
	s_delay_alu instid0(VALU_DEP_2) | instskip(NEXT) | instid1(VALU_DEP_4)
	v_sub_f32_e32 v20, v21, v24
	v_fma_f32 v24, 0x3f317218, v17, -v46
	s_delay_alu instid0(VALU_DEP_1) | instskip(NEXT) | instid1(VALU_DEP_1)
	v_dual_sub_f32 v20, v23, v20 :: v_dual_fmamk_f32 v17, v17, 0xb102e308, v24
	v_add_f32_e32 v18, v18, v20
	s_delay_alu instid0(VALU_DEP_1) | instskip(NEXT) | instid1(VALU_DEP_1)
	v_dual_add_f32 v20, v46, v17 :: v_dual_add_f32 v23, v21, v18
	v_dual_sub_f32 v46, v20, v46 :: v_dual_sub_f32 v21, v23, v21
	s_delay_alu instid0(VALU_DEP_1) | instskip(SKIP_1) | instid1(VALU_DEP_1)
	v_dual_sub_f32 v17, v17, v46 :: v_dual_sub_f32 v18, v18, v21
	v_add_f32_e32 v24, v20, v23
	v_sub_f32_e32 v47, v24, v20
	s_delay_alu instid0(VALU_DEP_1) | instskip(NEXT) | instid1(VALU_DEP_4)
	v_sub_f32_e32 v21, v23, v47
	v_dual_add_f32 v23, v17, v18 :: v_dual_sub_f32 v48, v24, v47
	s_delay_alu instid0(VALU_DEP_1) | instskip(NEXT) | instid1(VALU_DEP_1)
	v_sub_f32_e32 v20, v20, v48
	v_dual_add_f32 v20, v21, v20 :: v_dual_sub_f32 v21, v23, v17
	s_delay_alu instid0(VALU_DEP_1) | instskip(NEXT) | instid1(VALU_DEP_1)
	v_add_f32_e32 v20, v23, v20
	v_dual_sub_f32 v23, v23, v21 :: v_dual_add_f32 v46, v24, v20
	s_delay_alu instid0(VALU_DEP_1) | instskip(NEXT) | instid1(VALU_DEP_2)
	v_dual_sub_f32 v17, v17, v23 :: v_dual_sub_f32 v18, v18, v21
	v_sub_f32_e32 v21, v46, v24
	s_delay_alu instid0(VALU_DEP_2) | instskip(NEXT) | instid1(VALU_DEP_2)
	v_add_f32_e32 v17, v18, v17
	v_sub_f32_e32 v18, v20, v21
	s_delay_alu instid0(VALU_DEP_1) | instskip(NEXT) | instid1(VALU_DEP_1)
	v_add_f32_e32 v17, v17, v18
	v_add_f32_e32 v17, v46, v17
	s_delay_alu instid0(VALU_DEP_1) | instskip(NEXT) | instid1(VALU_DEP_1)
	v_cndmask_b32_e64 v17, v17, v19, s0
	v_add_f32_e32 v17, v11, v17
.LBB471_136:
	s_or_b32 exec_lo, exec_lo, s1
	s_delay_alu instid0(VALU_DEP_1) | instskip(SKIP_1) | instid1(VALU_DEP_2)
	v_bfe_u32 v11, v17, 16, 1
	v_cmp_o_f32_e64 s0, v17, v17
	v_add3_u32 v11, v17, v11, 0x7fff
	s_delay_alu instid0(VALU_DEP_1) | instskip(NEXT) | instid1(VALU_DEP_1)
	v_lshrrev_b32_e32 v11, 16, v11
	v_cndmask_b32_e64 v11, 0x7fc0, v11, s0
	s_delay_alu instid0(VALU_DEP_1) | instskip(NEXT) | instid1(VALU_DEP_1)
	v_lshlrev_b32_e32 v18, 16, v11
	v_max_f32_e32 v17, v18, v18
	s_delay_alu instid0(VALU_DEP_1) | instskip(SKIP_2) | instid1(VALU_DEP_1)
	v_min_f32_e32 v19, v17, v26
	v_max_f32_e32 v17, v17, v26
	v_cmp_u_f32_e64 s0, v18, v18
	v_cndmask_b32_e64 v19, v19, v18, s0
	s_delay_alu instid0(VALU_DEP_3) | instskip(NEXT) | instid1(VALU_DEP_2)
	v_cndmask_b32_e64 v17, v17, v18, s0
	v_cndmask_b32_e64 v19, v19, v22, s30
	s_delay_alu instid0(VALU_DEP_2) | instskip(NEXT) | instid1(VALU_DEP_2)
	v_cndmask_b32_e64 v17, v17, v22, s30
	v_cmp_class_f32_e64 s1, v19, 0x1f8
	s_delay_alu instid0(VALU_DEP_2) | instskip(NEXT) | instid1(VALU_DEP_1)
	v_cmp_neq_f32_e64 s0, v19, v17
	s_or_b32 s0, s0, s1
	s_delay_alu instid0(SALU_CYCLE_1)
	s_and_saveexec_b32 s1, s0
	s_cbranch_execz .LBB471_138
; %bb.137:
	v_sub_f32_e32 v18, v19, v17
	s_delay_alu instid0(VALU_DEP_1) | instskip(SKIP_1) | instid1(VALU_DEP_2)
	v_mul_f32_e32 v19, 0x3fb8aa3b, v18
	v_cmp_ngt_f32_e64 s0, 0xc2ce8ed0, v18
	v_fma_f32 v20, 0x3fb8aa3b, v18, -v19
	v_rndne_f32_e32 v21, v19
	s_delay_alu instid0(VALU_DEP_1) | instskip(NEXT) | instid1(VALU_DEP_1)
	v_dual_fmamk_f32 v20, v18, 0x32a5705f, v20 :: v_dual_sub_f32 v19, v19, v21
	v_add_f32_e32 v19, v19, v20
	v_cvt_i32_f32_e32 v20, v21
	s_delay_alu instid0(VALU_DEP_2) | instskip(SKIP_2) | instid1(VALU_DEP_1)
	v_exp_f32_e32 v19, v19
	s_waitcnt_depctr 0xfff
	v_ldexp_f32 v19, v19, v20
	v_cndmask_b32_e64 v19, 0, v19, s0
	v_cmp_nlt_f32_e64 s0, 0x42b17218, v18
	s_delay_alu instid0(VALU_DEP_1) | instskip(NEXT) | instid1(VALU_DEP_1)
	v_cndmask_b32_e64 v20, 0x7f800000, v19, s0
	v_add_f32_e32 v21, 1.0, v20
	v_cmp_gt_f32_e64 s23, 0x33800000, |v20|
	s_delay_alu instid0(VALU_DEP_2) | instskip(NEXT) | instid1(VALU_DEP_1)
	v_cvt_f64_f32_e32 v[18:19], v21
	v_frexp_exp_i32_f64_e32 v18, v[18:19]
	v_frexp_mant_f32_e32 v19, v21
	s_delay_alu instid0(VALU_DEP_1) | instskip(SKIP_1) | instid1(VALU_DEP_1)
	v_cmp_gt_f32_e64 s0, 0x3f2aaaab, v19
	v_add_f32_e32 v19, -1.0, v21
	v_sub_f32_e32 v23, v19, v21
	v_sub_f32_e32 v19, v20, v19
	s_delay_alu instid0(VALU_DEP_4) | instskip(SKIP_1) | instid1(VALU_DEP_1)
	v_subrev_co_ci_u32_e64 v18, s0, 0, v18, s0
	s_mov_b32 s0, 0x3e9b6dac
	v_sub_nc_u32_e32 v22, 0, v18
	v_cvt_f32_i32_e32 v18, v18
	s_delay_alu instid0(VALU_DEP_2) | instskip(NEXT) | instid1(VALU_DEP_1)
	v_ldexp_f32 v21, v21, v22
	v_dual_add_f32 v24, 1.0, v21 :: v_dual_add_f32 v23, 1.0, v23
	s_delay_alu instid0(VALU_DEP_1) | instskip(NEXT) | instid1(VALU_DEP_2)
	v_add_f32_e32 v19, v19, v23
	v_add_f32_e32 v23, -1.0, v24
	s_delay_alu instid0(VALU_DEP_2) | instskip(NEXT) | instid1(VALU_DEP_2)
	v_ldexp_f32 v19, v19, v22
	v_dual_add_f32 v22, -1.0, v21 :: v_dual_sub_f32 v23, v21, v23
	s_delay_alu instid0(VALU_DEP_1) | instskip(NEXT) | instid1(VALU_DEP_1)
	v_dual_add_f32 v26, 1.0, v22 :: v_dual_add_f32 v23, v19, v23
	v_dual_sub_f32 v21, v21, v26 :: v_dual_add_f32 v26, v24, v23
	s_delay_alu instid0(VALU_DEP_1) | instskip(NEXT) | instid1(VALU_DEP_2)
	v_add_f32_e32 v19, v19, v21
	v_rcp_f32_e32 v21, v26
	v_sub_f32_e32 v24, v24, v26
	s_delay_alu instid0(VALU_DEP_1) | instskip(NEXT) | instid1(VALU_DEP_1)
	v_dual_add_f32 v46, v22, v19 :: v_dual_add_f32 v23, v23, v24
	v_sub_f32_e32 v22, v22, v46
	s_waitcnt_depctr 0xfff
	v_mul_f32_e32 v47, v46, v21
	s_delay_alu instid0(VALU_DEP_1) | instskip(NEXT) | instid1(VALU_DEP_1)
	v_mul_f32_e32 v48, v26, v47
	v_fma_f32 v24, v47, v26, -v48
	s_delay_alu instid0(VALU_DEP_1) | instskip(NEXT) | instid1(VALU_DEP_1)
	v_fmac_f32_e32 v24, v47, v23
	v_add_f32_e32 v49, v48, v24
	s_waitcnt lgkmcnt(0)
	s_delay_alu instid0(VALU_DEP_1) | instskip(NEXT) | instid1(VALU_DEP_1)
	v_sub_f32_e32 v51, v46, v49
	v_dual_sub_f32 v46, v46, v51 :: v_dual_add_f32 v19, v19, v22
	v_sub_f32_e32 v22, v49, v48
	s_delay_alu instid0(VALU_DEP_2) | instskip(NEXT) | instid1(VALU_DEP_1)
	v_sub_f32_e32 v46, v46, v49
	v_dual_sub_f32 v22, v22, v24 :: v_dual_add_f32 v19, v19, v46
	s_delay_alu instid0(VALU_DEP_1) | instskip(NEXT) | instid1(VALU_DEP_1)
	v_add_f32_e32 v19, v22, v19
	v_add_f32_e32 v22, v51, v19
	s_delay_alu instid0(VALU_DEP_1) | instskip(NEXT) | instid1(VALU_DEP_1)
	v_mul_f32_e32 v24, v21, v22
	v_mul_f32_e32 v46, v26, v24
	s_delay_alu instid0(VALU_DEP_1) | instskip(NEXT) | instid1(VALU_DEP_1)
	v_fma_f32 v26, v24, v26, -v46
	v_fmac_f32_e32 v26, v24, v23
	s_delay_alu instid0(VALU_DEP_1) | instskip(NEXT) | instid1(VALU_DEP_1)
	v_add_f32_e32 v23, v46, v26
	v_dual_sub_f32 v48, v22, v23 :: v_dual_sub_f32 v49, v51, v22
	v_sub_f32_e32 v46, v23, v46
	s_delay_alu instid0(VALU_DEP_2) | instskip(NEXT) | instid1(VALU_DEP_1)
	v_dual_sub_f32 v22, v22, v48 :: v_dual_add_f32 v19, v19, v49
	v_sub_f32_e32 v22, v22, v23
	s_delay_alu instid0(VALU_DEP_3) | instskip(NEXT) | instid1(VALU_DEP_2)
	v_sub_f32_e32 v23, v46, v26
	v_add_f32_e32 v19, v19, v22
	v_add_f32_e32 v22, v47, v24
	s_delay_alu instid0(VALU_DEP_2) | instskip(NEXT) | instid1(VALU_DEP_2)
	v_add_f32_e32 v19, v23, v19
	v_sub_f32_e32 v23, v22, v47
	s_delay_alu instid0(VALU_DEP_2) | instskip(NEXT) | instid1(VALU_DEP_2)
	v_add_f32_e32 v19, v48, v19
	v_sub_f32_e32 v23, v24, v23
	s_delay_alu instid0(VALU_DEP_2) | instskip(NEXT) | instid1(VALU_DEP_1)
	v_mul_f32_e32 v19, v21, v19
	v_add_f32_e32 v19, v23, v19
	s_delay_alu instid0(VALU_DEP_1) | instskip(NEXT) | instid1(VALU_DEP_1)
	v_add_f32_e32 v21, v22, v19
	v_mul_f32_e32 v23, v21, v21
	s_delay_alu instid0(VALU_DEP_1) | instskip(SKIP_2) | instid1(VALU_DEP_3)
	v_fmaak_f32 v24, s0, v23, 0x3ecc95a3
	v_mul_f32_e32 v26, v21, v23
	v_cmp_eq_f32_e64 s0, 0x7f800000, v20
	v_fmaak_f32 v23, v23, v24, 0x3f2aaada
	v_ldexp_f32 v24, v21, 1
	s_delay_alu instid0(VALU_DEP_3) | instskip(NEXT) | instid1(VALU_DEP_2)
	s_or_b32 s0, s0, s23
	v_mul_f32_e32 v23, v26, v23
	v_sub_f32_e32 v21, v21, v22
	v_mul_f32_e32 v26, 0x3f317218, v18
	s_delay_alu instid0(VALU_DEP_2) | instskip(NEXT) | instid1(VALU_DEP_1)
	v_dual_add_f32 v22, v24, v23 :: v_dual_sub_f32 v19, v19, v21
	v_sub_f32_e32 v21, v22, v24
	s_delay_alu instid0(VALU_DEP_3) | instskip(NEXT) | instid1(VALU_DEP_3)
	v_fma_f32 v24, 0x3f317218, v18, -v26
	v_ldexp_f32 v19, v19, 1
	s_delay_alu instid0(VALU_DEP_2) | instskip(NEXT) | instid1(VALU_DEP_1)
	v_dual_sub_f32 v21, v23, v21 :: v_dual_fmamk_f32 v18, v18, 0xb102e308, v24
	v_add_f32_e32 v19, v19, v21
	s_delay_alu instid0(VALU_DEP_2) | instskip(NEXT) | instid1(VALU_DEP_1)
	v_add_f32_e32 v21, v26, v18
	v_dual_add_f32 v23, v22, v19 :: v_dual_sub_f32 v26, v21, v26
	s_delay_alu instid0(VALU_DEP_1) | instskip(SKIP_1) | instid1(VALU_DEP_3)
	v_add_f32_e32 v24, v21, v23
	v_sub_f32_e32 v22, v23, v22
	v_sub_f32_e32 v18, v18, v26
	s_delay_alu instid0(VALU_DEP_2) | instskip(NEXT) | instid1(VALU_DEP_1)
	v_dual_sub_f32 v46, v24, v21 :: v_dual_sub_f32 v19, v19, v22
	v_sub_f32_e32 v47, v24, v46
	s_delay_alu instid0(VALU_DEP_2) | instskip(NEXT) | instid1(VALU_DEP_2)
	v_dual_sub_f32 v22, v23, v46 :: v_dual_add_f32 v23, v18, v19
	v_sub_f32_e32 v21, v21, v47
	s_delay_alu instid0(VALU_DEP_1) | instskip(NEXT) | instid1(VALU_DEP_1)
	v_dual_add_f32 v21, v22, v21 :: v_dual_sub_f32 v22, v23, v18
	v_add_f32_e32 v21, v23, v21
	s_delay_alu instid0(VALU_DEP_2) | instskip(NEXT) | instid1(VALU_DEP_2)
	v_sub_f32_e32 v23, v23, v22
	v_dual_sub_f32 v19, v19, v22 :: v_dual_add_f32 v26, v24, v21
	s_delay_alu instid0(VALU_DEP_2) | instskip(NEXT) | instid1(VALU_DEP_2)
	v_sub_f32_e32 v18, v18, v23
	v_sub_f32_e32 v22, v26, v24
	s_delay_alu instid0(VALU_DEP_2) | instskip(NEXT) | instid1(VALU_DEP_2)
	v_add_f32_e32 v18, v19, v18
	v_sub_f32_e32 v19, v21, v22
	s_delay_alu instid0(VALU_DEP_1) | instskip(NEXT) | instid1(VALU_DEP_1)
	v_add_f32_e32 v18, v18, v19
	v_add_f32_e32 v18, v26, v18
	s_delay_alu instid0(VALU_DEP_1) | instskip(NEXT) | instid1(VALU_DEP_1)
	v_cndmask_b32_e64 v18, v18, v20, s0
	v_add_f32_e32 v18, v17, v18
.LBB471_138:
	s_or_b32 exec_lo, exec_lo, s1
	s_delay_alu instid0(VALU_DEP_1) | instskip(SKIP_1) | instid1(VALU_DEP_2)
	v_bfe_u32 v17, v18, 16, 1
	v_cmp_o_f32_e64 s0, v18, v18
	v_add3_u32 v17, v18, v17, 0x7fff
	s_delay_alu instid0(VALU_DEP_1) | instskip(NEXT) | instid1(VALU_DEP_1)
	v_lshrrev_b32_e32 v17, 16, v17
	v_cndmask_b32_e64 v17, 0x7fc0, v17, s0
	s_delay_alu instid0(VALU_DEP_1) | instskip(NEXT) | instid1(VALU_DEP_1)
	v_lshlrev_b32_e32 v18, 16, v17
	v_max_f32_e32 v19, v18, v18
	s_delay_alu instid0(VALU_DEP_1) | instskip(SKIP_2) | instid1(VALU_DEP_1)
	v_min_f32_e32 v20, v19, v27
	v_max_f32_e32 v19, v19, v27
	v_cmp_u_f32_e64 s0, v18, v18
	v_cndmask_b32_e64 v20, v20, v18, s0
	s_delay_alu instid0(VALU_DEP_3) | instskip(NEXT) | instid1(VALU_DEP_2)
	v_cndmask_b32_e64 v21, v19, v18, s0
	v_cndmask_b32_e64 v19, v20, v8, s31
	s_delay_alu instid0(VALU_DEP_2) | instskip(NEXT) | instid1(VALU_DEP_2)
	v_cndmask_b32_e64 v8, v21, v8, s31
	v_cmp_class_f32_e64 s1, v19, 0x1f8
	s_delay_alu instid0(VALU_DEP_2) | instskip(NEXT) | instid1(VALU_DEP_1)
	v_cmp_neq_f32_e64 s0, v19, v8
	s_or_b32 s0, s0, s1
	s_delay_alu instid0(SALU_CYCLE_1)
	s_and_saveexec_b32 s1, s0
	s_cbranch_execz .LBB471_140
; %bb.139:
	v_sub_f32_e32 v18, v19, v8
	s_delay_alu instid0(VALU_DEP_1) | instskip(SKIP_1) | instid1(VALU_DEP_2)
	v_mul_f32_e32 v19, 0x3fb8aa3b, v18
	v_cmp_ngt_f32_e64 s0, 0xc2ce8ed0, v18
	v_fma_f32 v20, 0x3fb8aa3b, v18, -v19
	v_rndne_f32_e32 v21, v19
	s_delay_alu instid0(VALU_DEP_1) | instskip(NEXT) | instid1(VALU_DEP_1)
	v_dual_fmamk_f32 v20, v18, 0x32a5705f, v20 :: v_dual_sub_f32 v19, v19, v21
	v_add_f32_e32 v19, v19, v20
	v_cvt_i32_f32_e32 v20, v21
	s_delay_alu instid0(VALU_DEP_2) | instskip(SKIP_2) | instid1(VALU_DEP_1)
	v_exp_f32_e32 v19, v19
	s_waitcnt_depctr 0xfff
	v_ldexp_f32 v19, v19, v20
	v_cndmask_b32_e64 v19, 0, v19, s0
	v_cmp_nlt_f32_e64 s0, 0x42b17218, v18
	s_delay_alu instid0(VALU_DEP_1) | instskip(NEXT) | instid1(VALU_DEP_1)
	v_cndmask_b32_e64 v20, 0x7f800000, v19, s0
	v_add_f32_e32 v21, 1.0, v20
	v_cmp_gt_f32_e64 s23, 0x33800000, |v20|
	s_delay_alu instid0(VALU_DEP_2) | instskip(NEXT) | instid1(VALU_DEP_1)
	v_cvt_f64_f32_e32 v[18:19], v21
	v_frexp_exp_i32_f64_e32 v18, v[18:19]
	v_frexp_mant_f32_e32 v19, v21
	s_delay_alu instid0(VALU_DEP_1) | instskip(SKIP_1) | instid1(VALU_DEP_1)
	v_cmp_gt_f32_e64 s0, 0x3f2aaaab, v19
	v_add_f32_e32 v19, -1.0, v21
	v_sub_f32_e32 v23, v19, v21
	v_sub_f32_e32 v19, v20, v19
	s_delay_alu instid0(VALU_DEP_2) | instskip(NEXT) | instid1(VALU_DEP_1)
	v_add_f32_e32 v23, 1.0, v23
	v_add_f32_e32 v19, v19, v23
	v_subrev_co_ci_u32_e64 v18, s0, 0, v18, s0
	s_mov_b32 s0, 0x3e9b6dac
	s_delay_alu instid0(VALU_DEP_1) | instskip(SKIP_1) | instid1(VALU_DEP_2)
	v_sub_nc_u32_e32 v22, 0, v18
	v_cvt_f32_i32_e32 v18, v18
	v_ldexp_f32 v21, v21, v22
	v_ldexp_f32 v19, v19, v22
	s_delay_alu instid0(VALU_DEP_2) | instskip(NEXT) | instid1(VALU_DEP_1)
	v_add_f32_e32 v24, 1.0, v21
	v_dual_add_f32 v22, -1.0, v21 :: v_dual_add_f32 v23, -1.0, v24
	s_delay_alu instid0(VALU_DEP_1) | instskip(NEXT) | instid1(VALU_DEP_1)
	v_dual_add_f32 v26, 1.0, v22 :: v_dual_sub_f32 v23, v21, v23
	v_add_f32_e32 v23, v19, v23
	s_delay_alu instid0(VALU_DEP_1) | instskip(NEXT) | instid1(VALU_DEP_1)
	v_dual_sub_f32 v21, v21, v26 :: v_dual_add_f32 v26, v24, v23
	v_sub_f32_e32 v24, v24, v26
	s_delay_alu instid0(VALU_DEP_1) | instskip(NEXT) | instid1(VALU_DEP_3)
	v_add_f32_e32 v23, v23, v24
	v_add_f32_e32 v19, v19, v21
	v_rcp_f32_e32 v21, v26
	s_delay_alu instid0(VALU_DEP_1) | instskip(NEXT) | instid1(VALU_DEP_1)
	v_add_f32_e32 v27, v22, v19
	v_sub_f32_e32 v22, v22, v27
	s_waitcnt_depctr 0xfff
	v_mul_f32_e32 v46, v27, v21
	s_delay_alu instid0(VALU_DEP_1) | instskip(NEXT) | instid1(VALU_DEP_1)
	v_mul_f32_e32 v47, v26, v46
	v_fma_f32 v24, v46, v26, -v47
	s_delay_alu instid0(VALU_DEP_1) | instskip(NEXT) | instid1(VALU_DEP_1)
	v_dual_fmac_f32 v24, v46, v23 :: v_dual_add_f32 v19, v19, v22
	v_add_f32_e32 v48, v47, v24
	s_delay_alu instid0(VALU_DEP_1) | instskip(NEXT) | instid1(VALU_DEP_1)
	v_dual_sub_f32 v22, v48, v47 :: v_dual_sub_f32 v49, v27, v48
	v_dual_sub_f32 v22, v22, v24 :: v_dual_sub_f32 v27, v27, v49
	s_delay_alu instid0(VALU_DEP_1) | instskip(NEXT) | instid1(VALU_DEP_1)
	v_sub_f32_e32 v27, v27, v48
	v_add_f32_e32 v19, v19, v27
	s_delay_alu instid0(VALU_DEP_1) | instskip(NEXT) | instid1(VALU_DEP_1)
	v_add_f32_e32 v19, v22, v19
	v_add_f32_e32 v22, v49, v19
	s_delay_alu instid0(VALU_DEP_1) | instskip(NEXT) | instid1(VALU_DEP_1)
	v_mul_f32_e32 v24, v21, v22
	v_mul_f32_e32 v27, v26, v24
	s_delay_alu instid0(VALU_DEP_1) | instskip(NEXT) | instid1(VALU_DEP_1)
	v_fma_f32 v26, v24, v26, -v27
	v_fmac_f32_e32 v26, v24, v23
	v_sub_f32_e32 v48, v49, v22
	s_delay_alu instid0(VALU_DEP_2) | instskip(NEXT) | instid1(VALU_DEP_2)
	v_add_f32_e32 v23, v27, v26
	v_add_f32_e32 v19, v19, v48
	s_delay_alu instid0(VALU_DEP_2) | instskip(SKIP_1) | instid1(VALU_DEP_2)
	v_sub_f32_e32 v47, v22, v23
	v_sub_f32_e32 v27, v23, v27
	;; [unrolled: 1-line block ×3, first 2 shown]
	s_delay_alu instid0(VALU_DEP_1) | instskip(NEXT) | instid1(VALU_DEP_1)
	v_dual_sub_f32 v22, v22, v23 :: v_dual_sub_f32 v23, v27, v26
	v_dual_add_f32 v19, v19, v22 :: v_dual_add_f32 v22, v46, v24
	s_delay_alu instid0(VALU_DEP_1) | instskip(NEXT) | instid1(VALU_DEP_2)
	v_add_f32_e32 v19, v23, v19
	v_sub_f32_e32 v23, v22, v46
	s_delay_alu instid0(VALU_DEP_2) | instskip(NEXT) | instid1(VALU_DEP_2)
	v_add_f32_e32 v19, v47, v19
	v_sub_f32_e32 v23, v24, v23
	s_delay_alu instid0(VALU_DEP_2) | instskip(NEXT) | instid1(VALU_DEP_1)
	v_mul_f32_e32 v19, v21, v19
	v_add_f32_e32 v19, v23, v19
	s_delay_alu instid0(VALU_DEP_1) | instskip(NEXT) | instid1(VALU_DEP_1)
	v_add_f32_e32 v21, v22, v19
	v_mul_f32_e32 v23, v21, v21
	s_delay_alu instid0(VALU_DEP_1) | instskip(SKIP_2) | instid1(VALU_DEP_3)
	v_fmaak_f32 v24, s0, v23, 0x3ecc95a3
	v_mul_f32_e32 v26, v21, v23
	v_cmp_eq_f32_e64 s0, 0x7f800000, v20
	v_fmaak_f32 v23, v23, v24, 0x3f2aaada
	v_ldexp_f32 v24, v21, 1
	v_sub_f32_e32 v21, v21, v22
	s_delay_alu instid0(VALU_DEP_4) | instskip(NEXT) | instid1(VALU_DEP_3)
	s_or_b32 s0, s0, s23
	v_dual_mul_f32 v23, v26, v23 :: v_dual_mul_f32 v26, 0x3f317218, v18
	s_delay_alu instid0(VALU_DEP_1) | instskip(NEXT) | instid1(VALU_DEP_1)
	v_dual_sub_f32 v19, v19, v21 :: v_dual_add_f32 v22, v24, v23
	v_ldexp_f32 v19, v19, 1
	s_delay_alu instid0(VALU_DEP_2) | instskip(NEXT) | instid1(VALU_DEP_4)
	v_sub_f32_e32 v21, v22, v24
	v_fma_f32 v24, 0x3f317218, v18, -v26
	s_delay_alu instid0(VALU_DEP_1) | instskip(NEXT) | instid1(VALU_DEP_1)
	v_dual_sub_f32 v21, v23, v21 :: v_dual_fmamk_f32 v18, v18, 0xb102e308, v24
	v_add_f32_e32 v19, v19, v21
	s_delay_alu instid0(VALU_DEP_2) | instskip(NEXT) | instid1(VALU_DEP_1)
	v_add_f32_e32 v21, v26, v18
	v_dual_add_f32 v23, v22, v19 :: v_dual_sub_f32 v26, v21, v26
	s_delay_alu instid0(VALU_DEP_1) | instskip(SKIP_1) | instid1(VALU_DEP_2)
	v_add_f32_e32 v24, v21, v23
	v_sub_f32_e32 v22, v23, v22
	v_dual_sub_f32 v18, v18, v26 :: v_dual_sub_f32 v27, v24, v21
	s_delay_alu instid0(VALU_DEP_1) | instskip(SKIP_1) | instid1(VALU_DEP_2)
	v_dual_sub_f32 v19, v19, v22 :: v_dual_sub_f32 v46, v24, v27
	v_sub_f32_e32 v22, v23, v27
	v_add_f32_e32 v23, v18, v19
	s_delay_alu instid0(VALU_DEP_3) | instskip(NEXT) | instid1(VALU_DEP_1)
	v_sub_f32_e32 v21, v21, v46
	v_dual_add_f32 v21, v22, v21 :: v_dual_sub_f32 v22, v23, v18
	s_delay_alu instid0(VALU_DEP_1) | instskip(NEXT) | instid1(VALU_DEP_2)
	v_add_f32_e32 v21, v23, v21
	v_sub_f32_e32 v23, v23, v22
	s_delay_alu instid0(VALU_DEP_2) | instskip(NEXT) | instid1(VALU_DEP_2)
	v_dual_sub_f32 v19, v19, v22 :: v_dual_add_f32 v26, v24, v21
	v_sub_f32_e32 v18, v18, v23
	s_delay_alu instid0(VALU_DEP_2) | instskip(NEXT) | instid1(VALU_DEP_2)
	v_sub_f32_e32 v22, v26, v24
	v_add_f32_e32 v18, v19, v18
	s_delay_alu instid0(VALU_DEP_2) | instskip(NEXT) | instid1(VALU_DEP_1)
	v_sub_f32_e32 v19, v21, v22
	v_add_f32_e32 v18, v18, v19
	s_delay_alu instid0(VALU_DEP_1) | instskip(NEXT) | instid1(VALU_DEP_1)
	v_add_f32_e32 v18, v26, v18
	v_cndmask_b32_e64 v18, v18, v20, s0
	s_delay_alu instid0(VALU_DEP_1)
	v_add_f32_e32 v18, v8, v18
.LBB471_140:
	s_or_b32 exec_lo, exec_lo, s1
	s_delay_alu instid0(VALU_DEP_1) | instskip(SKIP_1) | instid1(VALU_DEP_2)
	v_bfe_u32 v8, v18, 16, 1
	v_cmp_o_f32_e64 s0, v18, v18
	v_add3_u32 v8, v18, v8, 0x7fff
	s_delay_alu instid0(VALU_DEP_1) | instskip(NEXT) | instid1(VALU_DEP_1)
	v_lshrrev_b32_e32 v8, 16, v8
	v_cndmask_b32_e64 v8, 0x7fc0, v8, s0
	s_delay_alu instid0(VALU_DEP_1) | instskip(NEXT) | instid1(VALU_DEP_1)
	v_lshlrev_b32_e32 v19, 16, v8
	v_max_f32_e32 v18, v19, v19
	s_delay_alu instid0(VALU_DEP_1) | instskip(SKIP_2) | instid1(VALU_DEP_1)
	v_min_f32_e32 v20, v18, v29
	v_max_f32_e32 v18, v18, v29
	v_cmp_u_f32_e64 s0, v19, v19
	v_cndmask_b32_e64 v20, v20, v19, s0
	s_delay_alu instid0(VALU_DEP_3) | instskip(NEXT) | instid1(VALU_DEP_2)
	v_cndmask_b32_e64 v18, v18, v19, s0
	v_cndmask_b32_e64 v20, v20, v25, s33
	s_delay_alu instid0(VALU_DEP_2) | instskip(NEXT) | instid1(VALU_DEP_2)
	v_cndmask_b32_e64 v18, v18, v25, s33
	v_cmp_class_f32_e64 s1, v20, 0x1f8
	s_delay_alu instid0(VALU_DEP_2) | instskip(NEXT) | instid1(VALU_DEP_1)
	v_cmp_neq_f32_e64 s0, v20, v18
	s_or_b32 s0, s0, s1
	s_delay_alu instid0(SALU_CYCLE_1)
	s_and_saveexec_b32 s1, s0
	s_cbranch_execz .LBB471_142
; %bb.141:
	v_sub_f32_e32 v19, v20, v18
	s_delay_alu instid0(VALU_DEP_1) | instskip(SKIP_1) | instid1(VALU_DEP_2)
	v_mul_f32_e32 v20, 0x3fb8aa3b, v19
	v_cmp_ngt_f32_e64 s0, 0xc2ce8ed0, v19
	v_fma_f32 v21, 0x3fb8aa3b, v19, -v20
	v_rndne_f32_e32 v22, v20
	s_delay_alu instid0(VALU_DEP_1) | instskip(NEXT) | instid1(VALU_DEP_1)
	v_dual_fmamk_f32 v21, v19, 0x32a5705f, v21 :: v_dual_sub_f32 v20, v20, v22
	v_add_f32_e32 v20, v20, v21
	v_cvt_i32_f32_e32 v21, v22
	s_delay_alu instid0(VALU_DEP_2) | instskip(SKIP_2) | instid1(VALU_DEP_1)
	v_exp_f32_e32 v20, v20
	s_waitcnt_depctr 0xfff
	v_ldexp_f32 v20, v20, v21
	v_cndmask_b32_e64 v20, 0, v20, s0
	v_cmp_nlt_f32_e64 s0, 0x42b17218, v19
	s_delay_alu instid0(VALU_DEP_1) | instskip(NEXT) | instid1(VALU_DEP_1)
	v_cndmask_b32_e64 v21, 0x7f800000, v20, s0
	v_add_f32_e32 v22, 1.0, v21
	v_cmp_gt_f32_e64 s23, 0x33800000, |v21|
	s_delay_alu instid0(VALU_DEP_2) | instskip(NEXT) | instid1(VALU_DEP_1)
	v_cvt_f64_f32_e32 v[19:20], v22
	v_frexp_exp_i32_f64_e32 v19, v[19:20]
	v_frexp_mant_f32_e32 v20, v22
	s_delay_alu instid0(VALU_DEP_1) | instskip(SKIP_1) | instid1(VALU_DEP_1)
	v_cmp_gt_f32_e64 s0, 0x3f2aaaab, v20
	v_add_f32_e32 v20, -1.0, v22
	v_sub_f32_e32 v24, v20, v22
	v_sub_f32_e32 v20, v21, v20
	s_delay_alu instid0(VALU_DEP_4) | instskip(SKIP_1) | instid1(VALU_DEP_1)
	v_subrev_co_ci_u32_e64 v19, s0, 0, v19, s0
	s_mov_b32 s0, 0x3e9b6dac
	v_sub_nc_u32_e32 v23, 0, v19
	v_cvt_f32_i32_e32 v19, v19
	s_delay_alu instid0(VALU_DEP_2) | instskip(NEXT) | instid1(VALU_DEP_1)
	v_ldexp_f32 v22, v22, v23
	v_dual_add_f32 v25, 1.0, v22 :: v_dual_add_f32 v24, 1.0, v24
	s_delay_alu instid0(VALU_DEP_1) | instskip(NEXT) | instid1(VALU_DEP_1)
	v_add_f32_e32 v20, v20, v24
	v_ldexp_f32 v20, v20, v23
	s_delay_alu instid0(VALU_DEP_3) | instskip(NEXT) | instid1(VALU_DEP_1)
	v_dual_add_f32 v23, -1.0, v22 :: v_dual_add_f32 v24, -1.0, v25
	v_add_f32_e32 v26, 1.0, v23
	s_delay_alu instid0(VALU_DEP_2) | instskip(NEXT) | instid1(VALU_DEP_2)
	v_sub_f32_e32 v24, v22, v24
	v_sub_f32_e32 v22, v22, v26
	s_delay_alu instid0(VALU_DEP_2) | instskip(NEXT) | instid1(VALU_DEP_1)
	v_add_f32_e32 v24, v20, v24
	v_add_f32_e32 v26, v25, v24
	s_delay_alu instid0(VALU_DEP_3) | instskip(NEXT) | instid1(VALU_DEP_2)
	v_add_f32_e32 v20, v20, v22
	v_rcp_f32_e32 v22, v26
	s_delay_alu instid0(VALU_DEP_1) | instskip(SKIP_1) | instid1(VALU_DEP_1)
	v_add_f32_e32 v27, v23, v20
	v_sub_f32_e32 v25, v25, v26
	v_dual_sub_f32 v23, v23, v27 :: v_dual_add_f32 v24, v24, v25
	s_waitcnt_depctr 0xfff
	v_dual_mul_f32 v29, v27, v22 :: v_dual_add_f32 v20, v20, v23
	s_delay_alu instid0(VALU_DEP_1) | instskip(NEXT) | instid1(VALU_DEP_1)
	v_mul_f32_e32 v46, v26, v29
	v_fma_f32 v25, v29, v26, -v46
	s_delay_alu instid0(VALU_DEP_1) | instskip(NEXT) | instid1(VALU_DEP_1)
	v_fmac_f32_e32 v25, v29, v24
	v_add_f32_e32 v47, v46, v25
	s_delay_alu instid0(VALU_DEP_1) | instskip(SKIP_1) | instid1(VALU_DEP_2)
	v_sub_f32_e32 v48, v27, v47
	v_sub_f32_e32 v23, v47, v46
	;; [unrolled: 1-line block ×3, first 2 shown]
	s_delay_alu instid0(VALU_DEP_2) | instskip(NEXT) | instid1(VALU_DEP_2)
	v_sub_f32_e32 v23, v23, v25
	v_sub_f32_e32 v27, v27, v47
	s_delay_alu instid0(VALU_DEP_1) | instskip(NEXT) | instid1(VALU_DEP_1)
	v_add_f32_e32 v20, v20, v27
	v_add_f32_e32 v20, v23, v20
	s_delay_alu instid0(VALU_DEP_1) | instskip(NEXT) | instid1(VALU_DEP_1)
	v_add_f32_e32 v23, v48, v20
	v_sub_f32_e32 v47, v48, v23
	v_mul_f32_e32 v25, v22, v23
	s_delay_alu instid0(VALU_DEP_1) | instskip(NEXT) | instid1(VALU_DEP_1)
	v_dual_add_f32 v20, v20, v47 :: v_dual_mul_f32 v27, v26, v25
	v_fma_f32 v26, v25, v26, -v27
	s_delay_alu instid0(VALU_DEP_1) | instskip(NEXT) | instid1(VALU_DEP_1)
	v_fmac_f32_e32 v26, v25, v24
	v_add_f32_e32 v24, v27, v26
	s_delay_alu instid0(VALU_DEP_1) | instskip(NEXT) | instid1(VALU_DEP_1)
	v_dual_sub_f32 v46, v23, v24 :: v_dual_sub_f32 v27, v24, v27
	v_sub_f32_e32 v23, v23, v46
	s_delay_alu instid0(VALU_DEP_1) | instskip(NEXT) | instid1(VALU_DEP_3)
	v_sub_f32_e32 v23, v23, v24
	v_sub_f32_e32 v24, v27, v26
	s_delay_alu instid0(VALU_DEP_2) | instskip(NEXT) | instid1(VALU_DEP_1)
	v_dual_add_f32 v20, v20, v23 :: v_dual_add_f32 v23, v29, v25
	v_add_f32_e32 v20, v24, v20
	s_delay_alu instid0(VALU_DEP_2) | instskip(NEXT) | instid1(VALU_DEP_2)
	v_sub_f32_e32 v24, v23, v29
	v_add_f32_e32 v20, v46, v20
	s_delay_alu instid0(VALU_DEP_2) | instskip(NEXT) | instid1(VALU_DEP_2)
	v_sub_f32_e32 v24, v25, v24
	v_mul_f32_e32 v20, v22, v20
	s_delay_alu instid0(VALU_DEP_1) | instskip(NEXT) | instid1(VALU_DEP_1)
	v_add_f32_e32 v20, v24, v20
	v_add_f32_e32 v22, v23, v20
	s_delay_alu instid0(VALU_DEP_1) | instskip(NEXT) | instid1(VALU_DEP_1)
	v_mul_f32_e32 v24, v22, v22
	v_fmaak_f32 v25, s0, v24, 0x3ecc95a3
	v_mul_f32_e32 v26, v22, v24
	v_cmp_eq_f32_e64 s0, 0x7f800000, v21
	s_delay_alu instid0(VALU_DEP_3) | instskip(SKIP_2) | instid1(VALU_DEP_4)
	v_fmaak_f32 v24, v24, v25, 0x3f2aaada
	v_ldexp_f32 v25, v22, 1
	v_sub_f32_e32 v22, v22, v23
	s_or_b32 s0, s0, s23
	s_delay_alu instid0(VALU_DEP_3) | instskip(NEXT) | instid1(VALU_DEP_1)
	v_mul_f32_e32 v24, v26, v24
	v_dual_sub_f32 v20, v20, v22 :: v_dual_add_f32 v23, v25, v24
	s_delay_alu instid0(VALU_DEP_1) | instskip(NEXT) | instid1(VALU_DEP_2)
	v_ldexp_f32 v20, v20, 1
	v_sub_f32_e32 v22, v23, v25
	s_delay_alu instid0(VALU_DEP_1) | instskip(NEXT) | instid1(VALU_DEP_1)
	v_sub_f32_e32 v22, v24, v22
	v_add_f32_e32 v20, v20, v22
	s_delay_alu instid0(VALU_DEP_1) | instskip(SKIP_1) | instid1(VALU_DEP_2)
	v_add_f32_e32 v24, v23, v20
	v_mul_f32_e32 v26, 0x3f317218, v19
	v_sub_f32_e32 v23, v24, v23
	s_delay_alu instid0(VALU_DEP_2) | instskip(NEXT) | instid1(VALU_DEP_1)
	v_fma_f32 v25, 0x3f317218, v19, -v26
	v_dual_sub_f32 v20, v20, v23 :: v_dual_fmamk_f32 v19, v19, 0xb102e308, v25
	s_delay_alu instid0(VALU_DEP_1) | instskip(NEXT) | instid1(VALU_DEP_1)
	v_add_f32_e32 v22, v26, v19
	v_add_f32_e32 v25, v22, v24
	v_sub_f32_e32 v26, v22, v26
	s_delay_alu instid0(VALU_DEP_2) | instskip(NEXT) | instid1(VALU_DEP_2)
	v_sub_f32_e32 v27, v25, v22
	v_sub_f32_e32 v19, v19, v26
	s_delay_alu instid0(VALU_DEP_2) | instskip(NEXT) | instid1(VALU_DEP_2)
	v_sub_f32_e32 v29, v25, v27
	v_dual_sub_f32 v23, v24, v27 :: v_dual_add_f32 v24, v19, v20
	s_delay_alu instid0(VALU_DEP_2) | instskip(NEXT) | instid1(VALU_DEP_1)
	v_sub_f32_e32 v22, v22, v29
	v_dual_add_f32 v22, v23, v22 :: v_dual_sub_f32 v23, v24, v19
	s_delay_alu instid0(VALU_DEP_1) | instskip(NEXT) | instid1(VALU_DEP_2)
	v_add_f32_e32 v22, v24, v22
	v_sub_f32_e32 v24, v24, v23
	v_sub_f32_e32 v20, v20, v23
	s_delay_alu instid0(VALU_DEP_2) | instskip(NEXT) | instid1(VALU_DEP_1)
	v_dual_add_f32 v26, v25, v22 :: v_dual_sub_f32 v19, v19, v24
	v_sub_f32_e32 v23, v26, v25
	s_delay_alu instid0(VALU_DEP_2) | instskip(NEXT) | instid1(VALU_DEP_2)
	v_add_f32_e32 v19, v20, v19
	v_sub_f32_e32 v20, v22, v23
	s_delay_alu instid0(VALU_DEP_1) | instskip(NEXT) | instid1(VALU_DEP_1)
	v_add_f32_e32 v19, v19, v20
	v_add_f32_e32 v19, v26, v19
	s_delay_alu instid0(VALU_DEP_1) | instskip(NEXT) | instid1(VALU_DEP_1)
	v_cndmask_b32_e64 v19, v19, v21, s0
	v_add_f32_e32 v19, v18, v19
.LBB471_142:
	s_or_b32 exec_lo, exec_lo, s1
	s_delay_alu instid0(VALU_DEP_1) | instskip(SKIP_1) | instid1(VALU_DEP_2)
	v_bfe_u32 v18, v19, 16, 1
	v_cmp_o_f32_e64 s0, v19, v19
	v_add3_u32 v18, v19, v18, 0x7fff
	s_delay_alu instid0(VALU_DEP_1) | instskip(NEXT) | instid1(VALU_DEP_1)
	v_lshrrev_b32_e32 v18, 16, v18
	v_cndmask_b32_e64 v18, 0x7fc0, v18, s0
	s_delay_alu instid0(VALU_DEP_1) | instskip(NEXT) | instid1(VALU_DEP_1)
	v_lshlrev_b32_e32 v19, 16, v18
	v_max_f32_e32 v20, v19, v19
	v_cmp_u_f32_e64 s0, v19, v19
	s_delay_alu instid0(VALU_DEP_2) | instskip(SKIP_1) | instid1(VALU_DEP_2)
	v_min_f32_e32 v21, v20, v30
	v_max_f32_e32 v20, v20, v30
	v_cndmask_b32_e64 v21, v21, v19, s0
	s_delay_alu instid0(VALU_DEP_2) | instskip(NEXT) | instid1(VALU_DEP_2)
	v_cndmask_b32_e64 v22, v20, v19, s0
	v_cndmask_b32_e64 v20, v21, v9, s34
	s_delay_alu instid0(VALU_DEP_2) | instskip(NEXT) | instid1(VALU_DEP_2)
	v_cndmask_b32_e64 v9, v22, v9, s34
	v_cmp_class_f32_e64 s1, v20, 0x1f8
	s_delay_alu instid0(VALU_DEP_2) | instskip(NEXT) | instid1(VALU_DEP_1)
	v_cmp_neq_f32_e64 s0, v20, v9
	s_or_b32 s0, s0, s1
	s_delay_alu instid0(SALU_CYCLE_1)
	s_and_saveexec_b32 s1, s0
	s_cbranch_execz .LBB471_144
; %bb.143:
	v_sub_f32_e32 v19, v20, v9
	s_delay_alu instid0(VALU_DEP_1) | instskip(SKIP_1) | instid1(VALU_DEP_2)
	v_mul_f32_e32 v20, 0x3fb8aa3b, v19
	v_cmp_ngt_f32_e64 s0, 0xc2ce8ed0, v19
	v_fma_f32 v21, 0x3fb8aa3b, v19, -v20
	v_rndne_f32_e32 v22, v20
	s_delay_alu instid0(VALU_DEP_1) | instskip(NEXT) | instid1(VALU_DEP_1)
	v_dual_fmamk_f32 v21, v19, 0x32a5705f, v21 :: v_dual_sub_f32 v20, v20, v22
	v_add_f32_e32 v20, v20, v21
	v_cvt_i32_f32_e32 v21, v22
	s_delay_alu instid0(VALU_DEP_2) | instskip(SKIP_2) | instid1(VALU_DEP_1)
	v_exp_f32_e32 v20, v20
	s_waitcnt_depctr 0xfff
	v_ldexp_f32 v20, v20, v21
	v_cndmask_b32_e64 v20, 0, v20, s0
	v_cmp_nlt_f32_e64 s0, 0x42b17218, v19
	s_delay_alu instid0(VALU_DEP_1) | instskip(NEXT) | instid1(VALU_DEP_1)
	v_cndmask_b32_e64 v21, 0x7f800000, v20, s0
	v_add_f32_e32 v22, 1.0, v21
	v_cmp_gt_f32_e64 s23, 0x33800000, |v21|
	s_delay_alu instid0(VALU_DEP_2) | instskip(NEXT) | instid1(VALU_DEP_1)
	v_cvt_f64_f32_e32 v[19:20], v22
	v_frexp_exp_i32_f64_e32 v19, v[19:20]
	v_frexp_mant_f32_e32 v20, v22
	s_delay_alu instid0(VALU_DEP_1) | instskip(SKIP_1) | instid1(VALU_DEP_1)
	v_cmp_gt_f32_e64 s0, 0x3f2aaaab, v20
	v_add_f32_e32 v20, -1.0, v22
	v_sub_f32_e32 v24, v20, v22
	v_sub_f32_e32 v20, v21, v20
	s_delay_alu instid0(VALU_DEP_4) | instskip(SKIP_1) | instid1(VALU_DEP_1)
	v_subrev_co_ci_u32_e64 v19, s0, 0, v19, s0
	s_mov_b32 s0, 0x3e9b6dac
	v_sub_nc_u32_e32 v23, 0, v19
	v_cvt_f32_i32_e32 v19, v19
	s_delay_alu instid0(VALU_DEP_2) | instskip(NEXT) | instid1(VALU_DEP_1)
	v_ldexp_f32 v22, v22, v23
	v_dual_add_f32 v25, 1.0, v22 :: v_dual_add_f32 v24, 1.0, v24
	s_delay_alu instid0(VALU_DEP_1) | instskip(NEXT) | instid1(VALU_DEP_2)
	v_add_f32_e32 v20, v20, v24
	v_add_f32_e32 v24, -1.0, v25
	s_delay_alu instid0(VALU_DEP_2) | instskip(NEXT) | instid1(VALU_DEP_2)
	v_ldexp_f32 v20, v20, v23
	v_dual_add_f32 v23, -1.0, v22 :: v_dual_sub_f32 v24, v22, v24
	s_delay_alu instid0(VALU_DEP_1) | instskip(NEXT) | instid1(VALU_DEP_2)
	v_add_f32_e32 v26, 1.0, v23
	v_add_f32_e32 v24, v20, v24
	s_delay_alu instid0(VALU_DEP_2) | instskip(NEXT) | instid1(VALU_DEP_2)
	v_sub_f32_e32 v22, v22, v26
	v_add_f32_e32 v26, v25, v24
	s_delay_alu instid0(VALU_DEP_2) | instskip(NEXT) | instid1(VALU_DEP_2)
	v_add_f32_e32 v20, v20, v22
	v_rcp_f32_e32 v22, v26
	v_sub_f32_e32 v25, v25, v26
	s_delay_alu instid0(VALU_DEP_1) | instskip(NEXT) | instid1(VALU_DEP_1)
	v_dual_add_f32 v27, v23, v20 :: v_dual_add_f32 v24, v24, v25
	v_sub_f32_e32 v23, v23, v27
	s_waitcnt_depctr 0xfff
	v_dual_mul_f32 v29, v27, v22 :: v_dual_add_f32 v20, v20, v23
	s_delay_alu instid0(VALU_DEP_1) | instskip(NEXT) | instid1(VALU_DEP_1)
	v_mul_f32_e32 v30, v26, v29
	v_fma_f32 v25, v29, v26, -v30
	s_delay_alu instid0(VALU_DEP_1) | instskip(NEXT) | instid1(VALU_DEP_1)
	v_fmac_f32_e32 v25, v29, v24
	v_add_f32_e32 v46, v30, v25
	s_delay_alu instid0(VALU_DEP_1) | instskip(SKIP_1) | instid1(VALU_DEP_2)
	v_sub_f32_e32 v47, v27, v46
	v_sub_f32_e32 v23, v46, v30
	;; [unrolled: 1-line block ×3, first 2 shown]
	s_delay_alu instid0(VALU_DEP_2) | instskip(NEXT) | instid1(VALU_DEP_2)
	v_sub_f32_e32 v23, v23, v25
	v_sub_f32_e32 v27, v27, v46
	s_delay_alu instid0(VALU_DEP_1) | instskip(NEXT) | instid1(VALU_DEP_1)
	v_add_f32_e32 v20, v20, v27
	v_add_f32_e32 v20, v23, v20
	s_delay_alu instid0(VALU_DEP_1) | instskip(NEXT) | instid1(VALU_DEP_1)
	v_add_f32_e32 v23, v47, v20
	v_mul_f32_e32 v25, v22, v23
	s_delay_alu instid0(VALU_DEP_1) | instskip(NEXT) | instid1(VALU_DEP_1)
	v_dual_sub_f32 v46, v47, v23 :: v_dual_mul_f32 v27, v26, v25
	v_add_f32_e32 v20, v20, v46
	s_delay_alu instid0(VALU_DEP_2) | instskip(NEXT) | instid1(VALU_DEP_1)
	v_fma_f32 v26, v25, v26, -v27
	v_fmac_f32_e32 v26, v25, v24
	s_delay_alu instid0(VALU_DEP_1) | instskip(NEXT) | instid1(VALU_DEP_1)
	v_add_f32_e32 v24, v27, v26
	v_dual_sub_f32 v30, v23, v24 :: v_dual_sub_f32 v27, v24, v27
	s_delay_alu instid0(VALU_DEP_1) | instskip(NEXT) | instid1(VALU_DEP_1)
	v_sub_f32_e32 v23, v23, v30
	v_sub_f32_e32 v23, v23, v24
	s_delay_alu instid0(VALU_DEP_3) | instskip(NEXT) | instid1(VALU_DEP_2)
	v_sub_f32_e32 v24, v27, v26
	v_dual_add_f32 v20, v20, v23 :: v_dual_add_f32 v23, v29, v25
	s_delay_alu instid0(VALU_DEP_1) | instskip(NEXT) | instid1(VALU_DEP_2)
	v_add_f32_e32 v20, v24, v20
	v_sub_f32_e32 v24, v23, v29
	s_delay_alu instid0(VALU_DEP_2) | instskip(NEXT) | instid1(VALU_DEP_2)
	v_add_f32_e32 v20, v30, v20
	v_sub_f32_e32 v24, v25, v24
	s_delay_alu instid0(VALU_DEP_2) | instskip(NEXT) | instid1(VALU_DEP_1)
	v_mul_f32_e32 v20, v22, v20
	v_add_f32_e32 v20, v24, v20
	s_delay_alu instid0(VALU_DEP_1) | instskip(NEXT) | instid1(VALU_DEP_1)
	v_add_f32_e32 v22, v23, v20
	v_mul_f32_e32 v24, v22, v22
	s_delay_alu instid0(VALU_DEP_1) | instskip(SKIP_2) | instid1(VALU_DEP_3)
	v_fmaak_f32 v25, s0, v24, 0x3ecc95a3
	v_mul_f32_e32 v26, v22, v24
	v_cmp_eq_f32_e64 s0, 0x7f800000, v21
	v_fmaak_f32 v24, v24, v25, 0x3f2aaada
	v_ldexp_f32 v25, v22, 1
	v_sub_f32_e32 v22, v22, v23
	s_delay_alu instid0(VALU_DEP_4) | instskip(NEXT) | instid1(VALU_DEP_3)
	s_or_b32 s0, s0, s23
	v_mul_f32_e32 v24, v26, v24
	v_mul_f32_e32 v26, 0x3f317218, v19
	s_delay_alu instid0(VALU_DEP_2) | instskip(NEXT) | instid1(VALU_DEP_1)
	v_dual_sub_f32 v20, v20, v22 :: v_dual_add_f32 v23, v25, v24
	v_ldexp_f32 v20, v20, 1
	s_delay_alu instid0(VALU_DEP_2) | instskip(NEXT) | instid1(VALU_DEP_4)
	v_sub_f32_e32 v22, v23, v25
	v_fma_f32 v25, 0x3f317218, v19, -v26
	s_delay_alu instid0(VALU_DEP_1) | instskip(NEXT) | instid1(VALU_DEP_1)
	v_dual_sub_f32 v22, v24, v22 :: v_dual_fmamk_f32 v19, v19, 0xb102e308, v25
	v_add_f32_e32 v20, v20, v22
	s_delay_alu instid0(VALU_DEP_2) | instskip(NEXT) | instid1(VALU_DEP_2)
	v_add_f32_e32 v22, v26, v19
	v_add_f32_e32 v24, v23, v20
	s_delay_alu instid0(VALU_DEP_2) | instskip(NEXT) | instid1(VALU_DEP_2)
	v_sub_f32_e32 v26, v22, v26
	v_add_f32_e32 v25, v22, v24
	v_sub_f32_e32 v23, v24, v23
	s_delay_alu instid0(VALU_DEP_3) | instskip(NEXT) | instid1(VALU_DEP_2)
	v_sub_f32_e32 v19, v19, v26
	v_dual_sub_f32 v27, v25, v22 :: v_dual_sub_f32 v20, v20, v23
	s_delay_alu instid0(VALU_DEP_1) | instskip(NEXT) | instid1(VALU_DEP_2)
	v_sub_f32_e32 v29, v25, v27
	v_dual_sub_f32 v23, v24, v27 :: v_dual_add_f32 v24, v19, v20
	s_delay_alu instid0(VALU_DEP_2) | instskip(NEXT) | instid1(VALU_DEP_1)
	v_sub_f32_e32 v22, v22, v29
	v_dual_add_f32 v22, v23, v22 :: v_dual_sub_f32 v23, v24, v19
	s_delay_alu instid0(VALU_DEP_1) | instskip(NEXT) | instid1(VALU_DEP_2)
	v_add_f32_e32 v22, v24, v22
	v_sub_f32_e32 v24, v24, v23
	v_sub_f32_e32 v20, v20, v23
	s_delay_alu instid0(VALU_DEP_2) | instskip(NEXT) | instid1(VALU_DEP_1)
	v_dual_add_f32 v26, v25, v22 :: v_dual_sub_f32 v19, v19, v24
	v_sub_f32_e32 v23, v26, v25
	s_delay_alu instid0(VALU_DEP_2) | instskip(NEXT) | instid1(VALU_DEP_2)
	v_add_f32_e32 v19, v20, v19
	v_sub_f32_e32 v20, v22, v23
	s_delay_alu instid0(VALU_DEP_1) | instskip(NEXT) | instid1(VALU_DEP_1)
	v_add_f32_e32 v19, v19, v20
	v_add_f32_e32 v19, v26, v19
	s_delay_alu instid0(VALU_DEP_1) | instskip(NEXT) | instid1(VALU_DEP_1)
	v_cndmask_b32_e64 v19, v19, v21, s0
	v_add_f32_e32 v19, v9, v19
.LBB471_144:
	s_or_b32 exec_lo, exec_lo, s1
	s_delay_alu instid0(VALU_DEP_1) | instskip(SKIP_1) | instid1(VALU_DEP_2)
	v_bfe_u32 v9, v19, 16, 1
	v_cmp_o_f32_e64 s0, v19, v19
	v_add3_u32 v9, v19, v9, 0x7fff
	s_delay_alu instid0(VALU_DEP_1) | instskip(NEXT) | instid1(VALU_DEP_1)
	v_lshrrev_b32_e32 v9, 16, v9
	v_cndmask_b32_e64 v9, 0x7fc0, v9, s0
	s_delay_alu instid0(VALU_DEP_1) | instskip(NEXT) | instid1(VALU_DEP_1)
	v_lshlrev_b32_e32 v20, 16, v9
	v_max_f32_e32 v19, v20, v20
	s_delay_alu instid0(VALU_DEP_1) | instskip(SKIP_2) | instid1(VALU_DEP_1)
	v_min_f32_e32 v21, v19, v32
	v_max_f32_e32 v19, v19, v32
	v_cmp_u_f32_e64 s0, v20, v20
	v_cndmask_b32_e64 v21, v21, v20, s0
	s_delay_alu instid0(VALU_DEP_3) | instskip(NEXT) | instid1(VALU_DEP_2)
	v_cndmask_b32_e64 v19, v19, v20, s0
	v_cndmask_b32_e64 v21, v21, v28, s35
	s_delay_alu instid0(VALU_DEP_2) | instskip(NEXT) | instid1(VALU_DEP_2)
	v_cndmask_b32_e64 v19, v19, v28, s35
	v_cmp_class_f32_e64 s1, v21, 0x1f8
	s_delay_alu instid0(VALU_DEP_2) | instskip(NEXT) | instid1(VALU_DEP_1)
	v_cmp_neq_f32_e64 s0, v21, v19
	s_or_b32 s0, s0, s1
	s_delay_alu instid0(SALU_CYCLE_1)
	s_and_saveexec_b32 s1, s0
	s_cbranch_execz .LBB471_146
; %bb.145:
	v_sub_f32_e32 v20, v21, v19
	s_delay_alu instid0(VALU_DEP_1) | instskip(SKIP_1) | instid1(VALU_DEP_2)
	v_mul_f32_e32 v21, 0x3fb8aa3b, v20
	v_cmp_ngt_f32_e64 s0, 0xc2ce8ed0, v20
	v_fma_f32 v22, 0x3fb8aa3b, v20, -v21
	v_rndne_f32_e32 v23, v21
	s_delay_alu instid0(VALU_DEP_1) | instskip(NEXT) | instid1(VALU_DEP_1)
	v_dual_fmamk_f32 v22, v20, 0x32a5705f, v22 :: v_dual_sub_f32 v21, v21, v23
	v_add_f32_e32 v21, v21, v22
	v_cvt_i32_f32_e32 v22, v23
	s_delay_alu instid0(VALU_DEP_2) | instskip(SKIP_2) | instid1(VALU_DEP_1)
	v_exp_f32_e32 v21, v21
	s_waitcnt_depctr 0xfff
	v_ldexp_f32 v21, v21, v22
	v_cndmask_b32_e64 v21, 0, v21, s0
	v_cmp_nlt_f32_e64 s0, 0x42b17218, v20
	s_delay_alu instid0(VALU_DEP_1) | instskip(NEXT) | instid1(VALU_DEP_1)
	v_cndmask_b32_e64 v22, 0x7f800000, v21, s0
	v_add_f32_e32 v23, 1.0, v22
	v_cmp_gt_f32_e64 s23, 0x33800000, |v22|
	s_delay_alu instid0(VALU_DEP_2) | instskip(NEXT) | instid1(VALU_DEP_1)
	v_cvt_f64_f32_e32 v[20:21], v23
	v_frexp_exp_i32_f64_e32 v20, v[20:21]
	v_frexp_mant_f32_e32 v21, v23
	s_delay_alu instid0(VALU_DEP_1) | instskip(SKIP_1) | instid1(VALU_DEP_1)
	v_cmp_gt_f32_e64 s0, 0x3f2aaaab, v21
	v_add_f32_e32 v21, -1.0, v23
	v_sub_f32_e32 v25, v21, v23
	v_sub_f32_e32 v21, v22, v21
	s_delay_alu instid0(VALU_DEP_4) | instskip(SKIP_1) | instid1(VALU_DEP_1)
	v_subrev_co_ci_u32_e64 v20, s0, 0, v20, s0
	s_mov_b32 s0, 0x3e9b6dac
	v_sub_nc_u32_e32 v24, 0, v20
	v_cvt_f32_i32_e32 v20, v20
	s_delay_alu instid0(VALU_DEP_2) | instskip(NEXT) | instid1(VALU_DEP_1)
	v_ldexp_f32 v23, v23, v24
	v_dual_add_f32 v26, 1.0, v23 :: v_dual_add_f32 v25, 1.0, v25
	s_delay_alu instid0(VALU_DEP_1) | instskip(NEXT) | instid1(VALU_DEP_1)
	v_add_f32_e32 v21, v21, v25
	v_ldexp_f32 v21, v21, v24
	s_delay_alu instid0(VALU_DEP_3) | instskip(NEXT) | instid1(VALU_DEP_1)
	v_dual_add_f32 v24, -1.0, v23 :: v_dual_add_f32 v25, -1.0, v26
	v_add_f32_e32 v27, 1.0, v24
	s_delay_alu instid0(VALU_DEP_2) | instskip(NEXT) | instid1(VALU_DEP_2)
	v_sub_f32_e32 v25, v23, v25
	v_sub_f32_e32 v23, v23, v27
	s_delay_alu instid0(VALU_DEP_2) | instskip(NEXT) | instid1(VALU_DEP_2)
	v_add_f32_e32 v25, v21, v25
	v_add_f32_e32 v21, v21, v23
	s_delay_alu instid0(VALU_DEP_2) | instskip(NEXT) | instid1(VALU_DEP_2)
	v_add_f32_e32 v27, v26, v25
	v_add_f32_e32 v28, v24, v21
	s_delay_alu instid0(VALU_DEP_2) | instskip(SKIP_1) | instid1(VALU_DEP_1)
	v_rcp_f32_e32 v23, v27
	v_sub_f32_e32 v26, v26, v27
	v_dual_sub_f32 v24, v24, v28 :: v_dual_add_f32 v25, v25, v26
	s_delay_alu instid0(VALU_DEP_1) | instskip(SKIP_2) | instid1(VALU_DEP_1)
	v_add_f32_e32 v21, v21, v24
	s_waitcnt_depctr 0xfff
	v_mul_f32_e32 v29, v28, v23
	v_mul_f32_e32 v30, v27, v29
	s_delay_alu instid0(VALU_DEP_1) | instskip(NEXT) | instid1(VALU_DEP_1)
	v_fma_f32 v26, v29, v27, -v30
	v_fmac_f32_e32 v26, v29, v25
	s_delay_alu instid0(VALU_DEP_1) | instskip(NEXT) | instid1(VALU_DEP_1)
	v_add_f32_e32 v32, v30, v26
	v_sub_f32_e32 v46, v28, v32
	v_sub_f32_e32 v24, v32, v30
	s_delay_alu instid0(VALU_DEP_2) | instskip(NEXT) | instid1(VALU_DEP_2)
	v_sub_f32_e32 v28, v28, v46
	v_sub_f32_e32 v24, v24, v26
	s_delay_alu instid0(VALU_DEP_2) | instskip(NEXT) | instid1(VALU_DEP_1)
	v_sub_f32_e32 v28, v28, v32
	v_add_f32_e32 v21, v21, v28
	s_delay_alu instid0(VALU_DEP_1) | instskip(NEXT) | instid1(VALU_DEP_1)
	v_add_f32_e32 v21, v24, v21
	v_add_f32_e32 v24, v46, v21
	s_delay_alu instid0(VALU_DEP_1) | instskip(SKIP_1) | instid1(VALU_DEP_2)
	v_mul_f32_e32 v26, v23, v24
	v_sub_f32_e32 v32, v46, v24
	v_mul_f32_e32 v28, v27, v26
	s_delay_alu instid0(VALU_DEP_1) | instskip(NEXT) | instid1(VALU_DEP_1)
	v_fma_f32 v27, v26, v27, -v28
	v_fmac_f32_e32 v27, v26, v25
	s_delay_alu instid0(VALU_DEP_1) | instskip(NEXT) | instid1(VALU_DEP_1)
	v_add_f32_e32 v25, v28, v27
	v_sub_f32_e32 v30, v24, v25
	v_sub_f32_e32 v28, v25, v28
	s_delay_alu instid0(VALU_DEP_2) | instskip(NEXT) | instid1(VALU_DEP_1)
	v_dual_sub_f32 v24, v24, v30 :: v_dual_add_f32 v21, v21, v32
	v_sub_f32_e32 v24, v24, v25
	s_delay_alu instid0(VALU_DEP_3) | instskip(NEXT) | instid1(VALU_DEP_2)
	v_sub_f32_e32 v25, v28, v27
	v_add_f32_e32 v21, v21, v24
	v_add_f32_e32 v24, v29, v26
	s_delay_alu instid0(VALU_DEP_2) | instskip(NEXT) | instid1(VALU_DEP_2)
	v_add_f32_e32 v21, v25, v21
	v_sub_f32_e32 v25, v24, v29
	s_delay_alu instid0(VALU_DEP_2) | instskip(NEXT) | instid1(VALU_DEP_2)
	v_add_f32_e32 v21, v30, v21
	v_sub_f32_e32 v25, v26, v25
	s_delay_alu instid0(VALU_DEP_2) | instskip(NEXT) | instid1(VALU_DEP_1)
	v_mul_f32_e32 v21, v23, v21
	v_add_f32_e32 v21, v25, v21
	s_delay_alu instid0(VALU_DEP_1) | instskip(NEXT) | instid1(VALU_DEP_1)
	v_add_f32_e32 v23, v24, v21
	v_mul_f32_e32 v25, v23, v23
	s_delay_alu instid0(VALU_DEP_1) | instskip(SKIP_2) | instid1(VALU_DEP_3)
	v_fmaak_f32 v26, s0, v25, 0x3ecc95a3
	v_mul_f32_e32 v27, v23, v25
	v_cmp_eq_f32_e64 s0, 0x7f800000, v22
	v_fmaak_f32 v25, v25, v26, 0x3f2aaada
	v_ldexp_f32 v26, v23, 1
	s_delay_alu instid0(VALU_DEP_3) | instskip(NEXT) | instid1(VALU_DEP_2)
	s_or_b32 s0, s0, s23
	v_mul_f32_e32 v25, v27, v25
	s_delay_alu instid0(VALU_DEP_1) | instskip(NEXT) | instid1(VALU_DEP_1)
	v_dual_sub_f32 v23, v23, v24 :: v_dual_add_f32 v24, v26, v25
	v_sub_f32_e32 v21, v21, v23
	s_delay_alu instid0(VALU_DEP_2) | instskip(NEXT) | instid1(VALU_DEP_2)
	v_sub_f32_e32 v23, v24, v26
	v_ldexp_f32 v21, v21, 1
	s_delay_alu instid0(VALU_DEP_2) | instskip(NEXT) | instid1(VALU_DEP_1)
	v_sub_f32_e32 v23, v25, v23
	v_add_f32_e32 v21, v21, v23
	s_delay_alu instid0(VALU_DEP_1) | instskip(SKIP_1) | instid1(VALU_DEP_2)
	v_add_f32_e32 v25, v24, v21
	v_mul_f32_e32 v27, 0x3f317218, v20
	v_sub_f32_e32 v24, v25, v24
	s_delay_alu instid0(VALU_DEP_2) | instskip(NEXT) | instid1(VALU_DEP_1)
	v_fma_f32 v26, 0x3f317218, v20, -v27
	v_dual_sub_f32 v21, v21, v24 :: v_dual_fmamk_f32 v20, v20, 0xb102e308, v26
	s_delay_alu instid0(VALU_DEP_1) | instskip(NEXT) | instid1(VALU_DEP_1)
	v_add_f32_e32 v23, v27, v20
	v_add_f32_e32 v26, v23, v25
	v_sub_f32_e32 v27, v23, v27
	s_delay_alu instid0(VALU_DEP_2) | instskip(NEXT) | instid1(VALU_DEP_1)
	v_sub_f32_e32 v28, v26, v23
	v_dual_sub_f32 v20, v20, v27 :: v_dual_sub_f32 v29, v26, v28
	s_delay_alu instid0(VALU_DEP_1) | instskip(NEXT) | instid1(VALU_DEP_2)
	v_dual_sub_f32 v24, v25, v28 :: v_dual_add_f32 v25, v20, v21
	v_sub_f32_e32 v23, v23, v29
	s_delay_alu instid0(VALU_DEP_1) | instskip(NEXT) | instid1(VALU_DEP_1)
	v_dual_add_f32 v23, v24, v23 :: v_dual_sub_f32 v24, v25, v20
	v_add_f32_e32 v23, v25, v23
	s_delay_alu instid0(VALU_DEP_2) | instskip(SKIP_1) | instid1(VALU_DEP_2)
	v_sub_f32_e32 v25, v25, v24
	v_sub_f32_e32 v21, v21, v24
	v_dual_add_f32 v27, v26, v23 :: v_dual_sub_f32 v20, v20, v25
	s_delay_alu instid0(VALU_DEP_1) | instskip(NEXT) | instid1(VALU_DEP_2)
	v_sub_f32_e32 v24, v27, v26
	v_add_f32_e32 v20, v21, v20
	s_delay_alu instid0(VALU_DEP_2) | instskip(NEXT) | instid1(VALU_DEP_1)
	v_sub_f32_e32 v21, v23, v24
	v_add_f32_e32 v20, v20, v21
	s_delay_alu instid0(VALU_DEP_1) | instskip(NEXT) | instid1(VALU_DEP_1)
	v_add_f32_e32 v20, v27, v20
	v_cndmask_b32_e64 v20, v20, v22, s0
	s_delay_alu instid0(VALU_DEP_1)
	v_add_f32_e32 v20, v19, v20
.LBB471_146:
	s_or_b32 exec_lo, exec_lo, s1
	s_delay_alu instid0(VALU_DEP_1) | instskip(SKIP_1) | instid1(VALU_DEP_2)
	v_bfe_u32 v19, v20, 16, 1
	v_cmp_o_f32_e64 s0, v20, v20
	v_add3_u32 v19, v20, v19, 0x7fff
	s_delay_alu instid0(VALU_DEP_1) | instskip(NEXT) | instid1(VALU_DEP_1)
	v_lshrrev_b32_e32 v19, 16, v19
	v_cndmask_b32_e64 v19, 0x7fc0, v19, s0
	s_delay_alu instid0(VALU_DEP_1) | instskip(NEXT) | instid1(VALU_DEP_1)
	v_lshlrev_b32_e32 v20, 16, v19
	v_max_f32_e32 v21, v20, v20
	s_delay_alu instid0(VALU_DEP_1) | instskip(SKIP_2) | instid1(VALU_DEP_1)
	v_min_f32_e32 v22, v21, v33
	v_max_f32_e32 v21, v21, v33
	v_cmp_u_f32_e64 s0, v20, v20
	v_cndmask_b32_e64 v22, v22, v20, s0
	s_delay_alu instid0(VALU_DEP_3) | instskip(NEXT) | instid1(VALU_DEP_2)
	v_cndmask_b32_e64 v23, v21, v20, s0
	v_cndmask_b32_e64 v21, v22, v6, s36
	s_delay_alu instid0(VALU_DEP_2) | instskip(NEXT) | instid1(VALU_DEP_2)
	v_cndmask_b32_e64 v6, v23, v6, s36
	v_cmp_class_f32_e64 s1, v21, 0x1f8
	s_delay_alu instid0(VALU_DEP_2) | instskip(NEXT) | instid1(VALU_DEP_1)
	v_cmp_neq_f32_e64 s0, v21, v6
	s_or_b32 s0, s0, s1
	s_delay_alu instid0(SALU_CYCLE_1)
	s_and_saveexec_b32 s1, s0
	s_cbranch_execz .LBB471_148
; %bb.147:
	v_sub_f32_e32 v20, v21, v6
	s_delay_alu instid0(VALU_DEP_1) | instskip(SKIP_1) | instid1(VALU_DEP_2)
	v_mul_f32_e32 v21, 0x3fb8aa3b, v20
	v_cmp_ngt_f32_e64 s0, 0xc2ce8ed0, v20
	v_fma_f32 v22, 0x3fb8aa3b, v20, -v21
	v_rndne_f32_e32 v23, v21
	s_delay_alu instid0(VALU_DEP_1) | instskip(NEXT) | instid1(VALU_DEP_1)
	v_dual_fmamk_f32 v22, v20, 0x32a5705f, v22 :: v_dual_sub_f32 v21, v21, v23
	v_add_f32_e32 v21, v21, v22
	v_cvt_i32_f32_e32 v22, v23
	s_delay_alu instid0(VALU_DEP_2) | instskip(SKIP_2) | instid1(VALU_DEP_1)
	v_exp_f32_e32 v21, v21
	s_waitcnt_depctr 0xfff
	v_ldexp_f32 v21, v21, v22
	v_cndmask_b32_e64 v21, 0, v21, s0
	v_cmp_nlt_f32_e64 s0, 0x42b17218, v20
	s_delay_alu instid0(VALU_DEP_1) | instskip(NEXT) | instid1(VALU_DEP_1)
	v_cndmask_b32_e64 v22, 0x7f800000, v21, s0
	v_add_f32_e32 v23, 1.0, v22
	v_cmp_gt_f32_e64 s23, 0x33800000, |v22|
	s_delay_alu instid0(VALU_DEP_2) | instskip(NEXT) | instid1(VALU_DEP_1)
	v_cvt_f64_f32_e32 v[20:21], v23
	v_frexp_exp_i32_f64_e32 v20, v[20:21]
	v_frexp_mant_f32_e32 v21, v23
	s_delay_alu instid0(VALU_DEP_1) | instskip(SKIP_1) | instid1(VALU_DEP_1)
	v_cmp_gt_f32_e64 s0, 0x3f2aaaab, v21
	v_add_f32_e32 v21, -1.0, v23
	v_sub_f32_e32 v25, v21, v23
	v_sub_f32_e32 v21, v22, v21
	s_delay_alu instid0(VALU_DEP_4) | instskip(SKIP_1) | instid1(VALU_DEP_1)
	v_subrev_co_ci_u32_e64 v20, s0, 0, v20, s0
	s_mov_b32 s0, 0x3e9b6dac
	v_sub_nc_u32_e32 v24, 0, v20
	v_cvt_f32_i32_e32 v20, v20
	s_delay_alu instid0(VALU_DEP_2) | instskip(NEXT) | instid1(VALU_DEP_1)
	v_ldexp_f32 v23, v23, v24
	v_dual_add_f32 v26, 1.0, v23 :: v_dual_add_f32 v25, 1.0, v25
	s_delay_alu instid0(VALU_DEP_1) | instskip(NEXT) | instid1(VALU_DEP_2)
	v_add_f32_e32 v21, v21, v25
	v_add_f32_e32 v25, -1.0, v26
	s_delay_alu instid0(VALU_DEP_2) | instskip(NEXT) | instid1(VALU_DEP_2)
	v_ldexp_f32 v21, v21, v24
	v_dual_add_f32 v24, -1.0, v23 :: v_dual_sub_f32 v25, v23, v25
	s_delay_alu instid0(VALU_DEP_1) | instskip(NEXT) | instid1(VALU_DEP_2)
	v_add_f32_e32 v27, 1.0, v24
	v_add_f32_e32 v25, v21, v25
	s_delay_alu instid0(VALU_DEP_2) | instskip(NEXT) | instid1(VALU_DEP_2)
	v_sub_f32_e32 v23, v23, v27
	v_add_f32_e32 v27, v26, v25
	s_delay_alu instid0(VALU_DEP_2) | instskip(NEXT) | instid1(VALU_DEP_2)
	v_add_f32_e32 v21, v21, v23
	v_rcp_f32_e32 v23, v27
	v_sub_f32_e32 v26, v26, v27
	s_delay_alu instid0(VALU_DEP_1) | instskip(NEXT) | instid1(VALU_DEP_1)
	v_dual_add_f32 v28, v24, v21 :: v_dual_add_f32 v25, v25, v26
	v_sub_f32_e32 v24, v24, v28
	s_waitcnt_depctr 0xfff
	v_mul_f32_e32 v29, v28, v23
	s_delay_alu instid0(VALU_DEP_1) | instskip(NEXT) | instid1(VALU_DEP_1)
	v_dual_add_f32 v21, v21, v24 :: v_dual_mul_f32 v30, v27, v29
	v_fma_f32 v26, v29, v27, -v30
	s_delay_alu instid0(VALU_DEP_1) | instskip(NEXT) | instid1(VALU_DEP_1)
	v_fmac_f32_e32 v26, v29, v25
	v_add_f32_e32 v32, v30, v26
	s_delay_alu instid0(VALU_DEP_1) | instskip(SKIP_1) | instid1(VALU_DEP_2)
	v_sub_f32_e32 v33, v28, v32
	v_sub_f32_e32 v24, v32, v30
	;; [unrolled: 1-line block ×3, first 2 shown]
	s_delay_alu instid0(VALU_DEP_2) | instskip(NEXT) | instid1(VALU_DEP_2)
	v_sub_f32_e32 v24, v24, v26
	v_sub_f32_e32 v28, v28, v32
	s_delay_alu instid0(VALU_DEP_1) | instskip(NEXT) | instid1(VALU_DEP_1)
	v_add_f32_e32 v21, v21, v28
	v_add_f32_e32 v21, v24, v21
	s_delay_alu instid0(VALU_DEP_1) | instskip(NEXT) | instid1(VALU_DEP_1)
	v_add_f32_e32 v24, v33, v21
	v_sub_f32_e32 v32, v33, v24
	v_mul_f32_e32 v26, v23, v24
	s_delay_alu instid0(VALU_DEP_1) | instskip(NEXT) | instid1(VALU_DEP_1)
	v_mul_f32_e32 v28, v27, v26
	v_fma_f32 v27, v26, v27, -v28
	s_delay_alu instid0(VALU_DEP_1) | instskip(NEXT) | instid1(VALU_DEP_1)
	v_fmac_f32_e32 v27, v26, v25
	v_add_f32_e32 v25, v28, v27
	s_delay_alu instid0(VALU_DEP_1) | instskip(SKIP_1) | instid1(VALU_DEP_2)
	v_sub_f32_e32 v30, v24, v25
	v_sub_f32_e32 v28, v25, v28
	v_dual_sub_f32 v24, v24, v30 :: v_dual_add_f32 v21, v21, v32
	s_delay_alu instid0(VALU_DEP_1) | instskip(NEXT) | instid1(VALU_DEP_3)
	v_sub_f32_e32 v24, v24, v25
	v_sub_f32_e32 v25, v28, v27
	s_delay_alu instid0(VALU_DEP_2) | instskip(SKIP_1) | instid1(VALU_DEP_2)
	v_add_f32_e32 v21, v21, v24
	v_add_f32_e32 v24, v29, v26
	;; [unrolled: 1-line block ×3, first 2 shown]
	s_delay_alu instid0(VALU_DEP_2) | instskip(NEXT) | instid1(VALU_DEP_2)
	v_sub_f32_e32 v25, v24, v29
	v_add_f32_e32 v21, v30, v21
	s_delay_alu instid0(VALU_DEP_2) | instskip(NEXT) | instid1(VALU_DEP_2)
	v_sub_f32_e32 v25, v26, v25
	v_mul_f32_e32 v21, v23, v21
	s_delay_alu instid0(VALU_DEP_1) | instskip(NEXT) | instid1(VALU_DEP_1)
	v_add_f32_e32 v21, v25, v21
	v_add_f32_e32 v23, v24, v21
	s_delay_alu instid0(VALU_DEP_1) | instskip(NEXT) | instid1(VALU_DEP_1)
	v_mul_f32_e32 v25, v23, v23
	v_fmaak_f32 v26, s0, v25, 0x3ecc95a3
	v_mul_f32_e32 v27, v23, v25
	v_cmp_eq_f32_e64 s0, 0x7f800000, v22
	s_delay_alu instid0(VALU_DEP_3) | instskip(SKIP_1) | instid1(VALU_DEP_3)
	v_fmaak_f32 v25, v25, v26, 0x3f2aaada
	v_ldexp_f32 v26, v23, 1
	s_or_b32 s0, s0, s23
	s_delay_alu instid0(VALU_DEP_2) | instskip(NEXT) | instid1(VALU_DEP_1)
	v_mul_f32_e32 v25, v27, v25
	v_dual_sub_f32 v23, v23, v24 :: v_dual_add_f32 v24, v26, v25
	s_delay_alu instid0(VALU_DEP_1) | instskip(NEXT) | instid1(VALU_DEP_2)
	v_sub_f32_e32 v21, v21, v23
	v_sub_f32_e32 v23, v24, v26
	s_delay_alu instid0(VALU_DEP_2) | instskip(NEXT) | instid1(VALU_DEP_2)
	v_ldexp_f32 v21, v21, 1
	v_sub_f32_e32 v23, v25, v23
	s_delay_alu instid0(VALU_DEP_1) | instskip(NEXT) | instid1(VALU_DEP_1)
	v_add_f32_e32 v21, v21, v23
	v_add_f32_e32 v25, v24, v21
	v_mul_f32_e32 v27, 0x3f317218, v20
	s_delay_alu instid0(VALU_DEP_2) | instskip(NEXT) | instid1(VALU_DEP_2)
	v_sub_f32_e32 v24, v25, v24
	v_fma_f32 v26, 0x3f317218, v20, -v27
	s_delay_alu instid0(VALU_DEP_1) | instskip(NEXT) | instid1(VALU_DEP_1)
	v_dual_sub_f32 v21, v21, v24 :: v_dual_fmamk_f32 v20, v20, 0xb102e308, v26
	v_add_f32_e32 v23, v27, v20
	s_delay_alu instid0(VALU_DEP_1) | instskip(SKIP_1) | instid1(VALU_DEP_2)
	v_add_f32_e32 v26, v23, v25
	v_sub_f32_e32 v27, v23, v27
	v_sub_f32_e32 v28, v26, v23
	s_delay_alu instid0(VALU_DEP_1) | instskip(NEXT) | instid1(VALU_DEP_1)
	v_dual_sub_f32 v20, v20, v27 :: v_dual_sub_f32 v29, v26, v28
	v_dual_sub_f32 v24, v25, v28 :: v_dual_add_f32 v25, v20, v21
	s_delay_alu instid0(VALU_DEP_2) | instskip(NEXT) | instid1(VALU_DEP_1)
	v_sub_f32_e32 v23, v23, v29
	v_dual_add_f32 v23, v24, v23 :: v_dual_sub_f32 v24, v25, v20
	s_delay_alu instid0(VALU_DEP_1) | instskip(NEXT) | instid1(VALU_DEP_2)
	v_add_f32_e32 v23, v25, v23
	v_sub_f32_e32 v25, v25, v24
	v_sub_f32_e32 v21, v21, v24
	s_delay_alu instid0(VALU_DEP_2) | instskip(NEXT) | instid1(VALU_DEP_1)
	v_dual_add_f32 v27, v26, v23 :: v_dual_sub_f32 v20, v20, v25
	v_sub_f32_e32 v24, v27, v26
	s_delay_alu instid0(VALU_DEP_2) | instskip(NEXT) | instid1(VALU_DEP_2)
	v_add_f32_e32 v20, v21, v20
	v_sub_f32_e32 v21, v23, v24
	s_delay_alu instid0(VALU_DEP_1) | instskip(NEXT) | instid1(VALU_DEP_1)
	v_add_f32_e32 v20, v20, v21
	v_add_f32_e32 v20, v27, v20
	s_delay_alu instid0(VALU_DEP_1) | instskip(NEXT) | instid1(VALU_DEP_1)
	v_cndmask_b32_e64 v20, v20, v22, s0
	v_add_f32_e32 v20, v6, v20
.LBB471_148:
	s_or_b32 exec_lo, exec_lo, s1
	s_delay_alu instid0(VALU_DEP_1) | instskip(SKIP_1) | instid1(VALU_DEP_2)
	v_bfe_u32 v6, v20, 16, 1
	v_cmp_o_f32_e64 s0, v20, v20
	v_add3_u32 v6, v20, v6, 0x7fff
	s_delay_alu instid0(VALU_DEP_1) | instskip(NEXT) | instid1(VALU_DEP_1)
	v_lshrrev_b32_e32 v6, 16, v6
	v_cndmask_b32_e64 v6, 0x7fc0, v6, s0
	s_delay_alu instid0(VALU_DEP_1) | instskip(NEXT) | instid1(VALU_DEP_1)
	v_lshlrev_b32_e32 v21, 16, v6
	v_max_f32_e32 v20, v21, v21
	s_delay_alu instid0(VALU_DEP_1) | instskip(SKIP_2) | instid1(VALU_DEP_1)
	v_min_f32_e32 v22, v20, v35
	v_max_f32_e32 v20, v20, v35
	v_cmp_u_f32_e64 s0, v21, v21
	v_cndmask_b32_e64 v22, v22, v21, s0
	s_delay_alu instid0(VALU_DEP_3) | instskip(NEXT) | instid1(VALU_DEP_2)
	v_cndmask_b32_e64 v20, v20, v21, s0
	v_cndmask_b32_e64 v22, v22, v31, s37
	s_delay_alu instid0(VALU_DEP_2) | instskip(NEXT) | instid1(VALU_DEP_2)
	v_cndmask_b32_e64 v20, v20, v31, s37
	v_cmp_class_f32_e64 s1, v22, 0x1f8
	s_delay_alu instid0(VALU_DEP_2) | instskip(NEXT) | instid1(VALU_DEP_1)
	v_cmp_neq_f32_e64 s0, v22, v20
	s_or_b32 s0, s0, s1
	s_delay_alu instid0(SALU_CYCLE_1)
	s_and_saveexec_b32 s1, s0
	s_cbranch_execz .LBB471_150
; %bb.149:
	v_sub_f32_e32 v21, v22, v20
	s_delay_alu instid0(VALU_DEP_1) | instskip(SKIP_1) | instid1(VALU_DEP_2)
	v_mul_f32_e32 v22, 0x3fb8aa3b, v21
	v_cmp_ngt_f32_e64 s0, 0xc2ce8ed0, v21
	v_fma_f32 v23, 0x3fb8aa3b, v21, -v22
	v_rndne_f32_e32 v24, v22
	s_delay_alu instid0(VALU_DEP_1) | instskip(NEXT) | instid1(VALU_DEP_1)
	v_dual_fmamk_f32 v23, v21, 0x32a5705f, v23 :: v_dual_sub_f32 v22, v22, v24
	v_add_f32_e32 v22, v22, v23
	v_cvt_i32_f32_e32 v23, v24
	s_delay_alu instid0(VALU_DEP_2) | instskip(SKIP_2) | instid1(VALU_DEP_1)
	v_exp_f32_e32 v22, v22
	s_waitcnt_depctr 0xfff
	v_ldexp_f32 v22, v22, v23
	v_cndmask_b32_e64 v22, 0, v22, s0
	v_cmp_nlt_f32_e64 s0, 0x42b17218, v21
	s_delay_alu instid0(VALU_DEP_1) | instskip(NEXT) | instid1(VALU_DEP_1)
	v_cndmask_b32_e64 v23, 0x7f800000, v22, s0
	v_add_f32_e32 v24, 1.0, v23
	v_cmp_gt_f32_e64 s23, 0x33800000, |v23|
	s_delay_alu instid0(VALU_DEP_2) | instskip(NEXT) | instid1(VALU_DEP_1)
	v_cvt_f64_f32_e32 v[21:22], v24
	v_frexp_exp_i32_f64_e32 v21, v[21:22]
	v_frexp_mant_f32_e32 v22, v24
	s_delay_alu instid0(VALU_DEP_1) | instskip(SKIP_1) | instid1(VALU_DEP_1)
	v_cmp_gt_f32_e64 s0, 0x3f2aaaab, v22
	v_add_f32_e32 v22, -1.0, v24
	v_sub_f32_e32 v26, v22, v24
	v_sub_f32_e32 v22, v23, v22
	s_delay_alu instid0(VALU_DEP_4) | instskip(SKIP_1) | instid1(VALU_DEP_1)
	v_subrev_co_ci_u32_e64 v21, s0, 0, v21, s0
	s_mov_b32 s0, 0x3e9b6dac
	v_sub_nc_u32_e32 v25, 0, v21
	v_cvt_f32_i32_e32 v21, v21
	s_delay_alu instid0(VALU_DEP_2) | instskip(NEXT) | instid1(VALU_DEP_1)
	v_ldexp_f32 v24, v24, v25
	v_dual_add_f32 v27, 1.0, v24 :: v_dual_add_f32 v26, 1.0, v26
	s_delay_alu instid0(VALU_DEP_1) | instskip(NEXT) | instid1(VALU_DEP_2)
	v_add_f32_e32 v22, v22, v26
	v_add_f32_e32 v26, -1.0, v27
	s_delay_alu instid0(VALU_DEP_2) | instskip(NEXT) | instid1(VALU_DEP_2)
	v_ldexp_f32 v22, v22, v25
	v_dual_add_f32 v25, -1.0, v24 :: v_dual_sub_f32 v26, v24, v26
	s_delay_alu instid0(VALU_DEP_1) | instskip(NEXT) | instid1(VALU_DEP_2)
	v_add_f32_e32 v28, 1.0, v25
	v_add_f32_e32 v26, v22, v26
	s_delay_alu instid0(VALU_DEP_2) | instskip(NEXT) | instid1(VALU_DEP_2)
	v_sub_f32_e32 v24, v24, v28
	v_add_f32_e32 v28, v27, v26
	s_delay_alu instid0(VALU_DEP_2) | instskip(NEXT) | instid1(VALU_DEP_2)
	v_add_f32_e32 v22, v22, v24
	v_rcp_f32_e32 v24, v28
	v_sub_f32_e32 v27, v27, v28
	s_delay_alu instid0(VALU_DEP_1) | instskip(NEXT) | instid1(VALU_DEP_1)
	v_dual_add_f32 v29, v25, v22 :: v_dual_add_f32 v26, v26, v27
	v_sub_f32_e32 v25, v25, v29
	s_waitcnt_depctr 0xfff
	v_mul_f32_e32 v30, v29, v24
	s_delay_alu instid0(VALU_DEP_1) | instskip(NEXT) | instid1(VALU_DEP_1)
	v_dual_add_f32 v22, v22, v25 :: v_dual_mul_f32 v31, v28, v30
	v_fma_f32 v27, v30, v28, -v31
	s_delay_alu instid0(VALU_DEP_1) | instskip(NEXT) | instid1(VALU_DEP_1)
	v_fmac_f32_e32 v27, v30, v26
	v_add_f32_e32 v32, v31, v27
	s_delay_alu instid0(VALU_DEP_1) | instskip(SKIP_1) | instid1(VALU_DEP_2)
	v_sub_f32_e32 v33, v29, v32
	v_sub_f32_e32 v25, v32, v31
	;; [unrolled: 1-line block ×3, first 2 shown]
	s_delay_alu instid0(VALU_DEP_2) | instskip(NEXT) | instid1(VALU_DEP_2)
	v_sub_f32_e32 v25, v25, v27
	v_sub_f32_e32 v29, v29, v32
	s_delay_alu instid0(VALU_DEP_1) | instskip(NEXT) | instid1(VALU_DEP_1)
	v_add_f32_e32 v22, v22, v29
	v_add_f32_e32 v22, v25, v22
	s_delay_alu instid0(VALU_DEP_1) | instskip(NEXT) | instid1(VALU_DEP_1)
	v_add_f32_e32 v25, v33, v22
	v_mul_f32_e32 v27, v24, v25
	s_delay_alu instid0(VALU_DEP_1) | instskip(NEXT) | instid1(VALU_DEP_1)
	v_dual_sub_f32 v32, v33, v25 :: v_dual_mul_f32 v29, v28, v27
	v_add_f32_e32 v22, v22, v32
	s_delay_alu instid0(VALU_DEP_2) | instskip(NEXT) | instid1(VALU_DEP_1)
	v_fma_f32 v28, v27, v28, -v29
	v_fmac_f32_e32 v28, v27, v26
	s_delay_alu instid0(VALU_DEP_1) | instskip(NEXT) | instid1(VALU_DEP_1)
	v_add_f32_e32 v26, v29, v28
	v_sub_f32_e32 v31, v25, v26
	v_sub_f32_e32 v29, v26, v29
	s_delay_alu instid0(VALU_DEP_2) | instskip(NEXT) | instid1(VALU_DEP_1)
	v_sub_f32_e32 v25, v25, v31
	v_sub_f32_e32 v25, v25, v26
	s_delay_alu instid0(VALU_DEP_3) | instskip(NEXT) | instid1(VALU_DEP_2)
	v_sub_f32_e32 v26, v29, v28
	v_add_f32_e32 v22, v22, v25
	v_add_f32_e32 v25, v30, v27
	s_delay_alu instid0(VALU_DEP_2) | instskip(NEXT) | instid1(VALU_DEP_2)
	v_add_f32_e32 v22, v26, v22
	v_sub_f32_e32 v26, v25, v30
	s_delay_alu instid0(VALU_DEP_2) | instskip(NEXT) | instid1(VALU_DEP_2)
	v_add_f32_e32 v22, v31, v22
	v_sub_f32_e32 v26, v27, v26
	s_delay_alu instid0(VALU_DEP_2) | instskip(NEXT) | instid1(VALU_DEP_1)
	v_mul_f32_e32 v22, v24, v22
	v_add_f32_e32 v22, v26, v22
	s_delay_alu instid0(VALU_DEP_1) | instskip(NEXT) | instid1(VALU_DEP_1)
	v_add_f32_e32 v24, v25, v22
	v_mul_f32_e32 v26, v24, v24
	s_delay_alu instid0(VALU_DEP_1) | instskip(SKIP_2) | instid1(VALU_DEP_3)
	v_fmaak_f32 v27, s0, v26, 0x3ecc95a3
	v_mul_f32_e32 v28, v24, v26
	v_cmp_eq_f32_e64 s0, 0x7f800000, v23
	v_fmaak_f32 v26, v26, v27, 0x3f2aaada
	v_ldexp_f32 v27, v24, 1
	v_sub_f32_e32 v24, v24, v25
	s_delay_alu instid0(VALU_DEP_4) | instskip(NEXT) | instid1(VALU_DEP_3)
	s_or_b32 s0, s0, s23
	v_mul_f32_e32 v26, v28, v26
	v_mul_f32_e32 v28, 0x3f317218, v21
	s_delay_alu instid0(VALU_DEP_2) | instskip(NEXT) | instid1(VALU_DEP_1)
	v_dual_sub_f32 v22, v22, v24 :: v_dual_add_f32 v25, v27, v26
	v_ldexp_f32 v22, v22, 1
	s_delay_alu instid0(VALU_DEP_2) | instskip(NEXT) | instid1(VALU_DEP_4)
	v_sub_f32_e32 v24, v25, v27
	v_fma_f32 v27, 0x3f317218, v21, -v28
	s_delay_alu instid0(VALU_DEP_1) | instskip(NEXT) | instid1(VALU_DEP_1)
	v_dual_sub_f32 v24, v26, v24 :: v_dual_fmamk_f32 v21, v21, 0xb102e308, v27
	v_add_f32_e32 v22, v22, v24
	s_delay_alu instid0(VALU_DEP_2) | instskip(NEXT) | instid1(VALU_DEP_2)
	v_add_f32_e32 v24, v28, v21
	v_add_f32_e32 v26, v25, v22
	s_delay_alu instid0(VALU_DEP_2) | instskip(NEXT) | instid1(VALU_DEP_2)
	v_sub_f32_e32 v28, v24, v28
	v_add_f32_e32 v27, v24, v26
	v_sub_f32_e32 v25, v26, v25
	s_delay_alu instid0(VALU_DEP_3) | instskip(NEXT) | instid1(VALU_DEP_2)
	v_sub_f32_e32 v21, v21, v28
	v_dual_sub_f32 v29, v27, v24 :: v_dual_sub_f32 v22, v22, v25
	s_delay_alu instid0(VALU_DEP_1) | instskip(NEXT) | instid1(VALU_DEP_2)
	v_sub_f32_e32 v30, v27, v29
	v_dual_sub_f32 v25, v26, v29 :: v_dual_add_f32 v26, v21, v22
	s_delay_alu instid0(VALU_DEP_2) | instskip(NEXT) | instid1(VALU_DEP_1)
	v_sub_f32_e32 v24, v24, v30
	v_dual_add_f32 v24, v25, v24 :: v_dual_sub_f32 v25, v26, v21
	s_delay_alu instid0(VALU_DEP_1) | instskip(NEXT) | instid1(VALU_DEP_2)
	v_add_f32_e32 v24, v26, v24
	v_sub_f32_e32 v26, v26, v25
	v_sub_f32_e32 v22, v22, v25
	s_delay_alu instid0(VALU_DEP_2) | instskip(NEXT) | instid1(VALU_DEP_1)
	v_dual_add_f32 v28, v27, v24 :: v_dual_sub_f32 v21, v21, v26
	v_sub_f32_e32 v25, v28, v27
	s_delay_alu instid0(VALU_DEP_2) | instskip(NEXT) | instid1(VALU_DEP_2)
	v_add_f32_e32 v21, v22, v21
	v_sub_f32_e32 v22, v24, v25
	s_delay_alu instid0(VALU_DEP_1) | instskip(NEXT) | instid1(VALU_DEP_1)
	v_add_f32_e32 v21, v21, v22
	v_add_f32_e32 v21, v28, v21
	s_delay_alu instid0(VALU_DEP_1) | instskip(NEXT) | instid1(VALU_DEP_1)
	v_cndmask_b32_e64 v21, v21, v23, s0
	v_add_f32_e32 v21, v20, v21
.LBB471_150:
	s_or_b32 exec_lo, exec_lo, s1
	s_delay_alu instid0(VALU_DEP_1) | instskip(SKIP_1) | instid1(VALU_DEP_2)
	v_bfe_u32 v20, v21, 16, 1
	v_cmp_o_f32_e64 s0, v21, v21
	v_add3_u32 v20, v21, v20, 0x7fff
	s_delay_alu instid0(VALU_DEP_1) | instskip(NEXT) | instid1(VALU_DEP_1)
	v_lshrrev_b32_e32 v20, 16, v20
	v_cndmask_b32_e64 v20, 0x7fc0, v20, s0
	s_delay_alu instid0(VALU_DEP_1) | instskip(NEXT) | instid1(VALU_DEP_1)
	v_lshlrev_b32_e32 v21, 16, v20
	v_max_f32_e32 v22, v21, v21
	v_cmp_u_f32_e64 s0, v21, v21
	s_delay_alu instid0(VALU_DEP_2) | instskip(SKIP_1) | instid1(VALU_DEP_2)
	v_min_f32_e32 v23, v22, v36
	v_max_f32_e32 v22, v22, v36
	v_cndmask_b32_e64 v23, v23, v21, s0
	s_delay_alu instid0(VALU_DEP_2) | instskip(NEXT) | instid1(VALU_DEP_2)
	v_cndmask_b32_e64 v24, v22, v21, s0
	v_cndmask_b32_e64 v22, v23, v7, s38
	s_delay_alu instid0(VALU_DEP_2) | instskip(NEXT) | instid1(VALU_DEP_2)
	v_cndmask_b32_e64 v7, v24, v7, s38
	v_cmp_class_f32_e64 s1, v22, 0x1f8
	s_delay_alu instid0(VALU_DEP_2) | instskip(NEXT) | instid1(VALU_DEP_1)
	v_cmp_neq_f32_e64 s0, v22, v7
	s_or_b32 s0, s0, s1
	s_delay_alu instid0(SALU_CYCLE_1)
	s_and_saveexec_b32 s1, s0
	s_cbranch_execz .LBB471_152
; %bb.151:
	v_sub_f32_e32 v21, v22, v7
	s_delay_alu instid0(VALU_DEP_1) | instskip(SKIP_1) | instid1(VALU_DEP_2)
	v_mul_f32_e32 v22, 0x3fb8aa3b, v21
	v_cmp_ngt_f32_e64 s0, 0xc2ce8ed0, v21
	v_fma_f32 v23, 0x3fb8aa3b, v21, -v22
	v_rndne_f32_e32 v24, v22
	s_delay_alu instid0(VALU_DEP_1) | instskip(NEXT) | instid1(VALU_DEP_1)
	v_dual_fmamk_f32 v23, v21, 0x32a5705f, v23 :: v_dual_sub_f32 v22, v22, v24
	v_add_f32_e32 v22, v22, v23
	v_cvt_i32_f32_e32 v23, v24
	s_delay_alu instid0(VALU_DEP_2) | instskip(SKIP_2) | instid1(VALU_DEP_1)
	v_exp_f32_e32 v22, v22
	s_waitcnt_depctr 0xfff
	v_ldexp_f32 v22, v22, v23
	v_cndmask_b32_e64 v22, 0, v22, s0
	v_cmp_nlt_f32_e64 s0, 0x42b17218, v21
	s_delay_alu instid0(VALU_DEP_1) | instskip(NEXT) | instid1(VALU_DEP_1)
	v_cndmask_b32_e64 v23, 0x7f800000, v22, s0
	v_add_f32_e32 v24, 1.0, v23
	v_cmp_gt_f32_e64 s23, 0x33800000, |v23|
	s_delay_alu instid0(VALU_DEP_2) | instskip(NEXT) | instid1(VALU_DEP_1)
	v_cvt_f64_f32_e32 v[21:22], v24
	v_frexp_exp_i32_f64_e32 v21, v[21:22]
	v_frexp_mant_f32_e32 v22, v24
	s_delay_alu instid0(VALU_DEP_1) | instskip(SKIP_1) | instid1(VALU_DEP_1)
	v_cmp_gt_f32_e64 s0, 0x3f2aaaab, v22
	v_add_f32_e32 v22, -1.0, v24
	v_sub_f32_e32 v26, v22, v24
	v_sub_f32_e32 v22, v23, v22
	s_delay_alu instid0(VALU_DEP_4) | instskip(SKIP_1) | instid1(VALU_DEP_1)
	v_subrev_co_ci_u32_e64 v21, s0, 0, v21, s0
	s_mov_b32 s0, 0x3e9b6dac
	v_sub_nc_u32_e32 v25, 0, v21
	v_cvt_f32_i32_e32 v21, v21
	s_delay_alu instid0(VALU_DEP_2) | instskip(NEXT) | instid1(VALU_DEP_1)
	v_ldexp_f32 v24, v24, v25
	v_dual_add_f32 v27, 1.0, v24 :: v_dual_add_f32 v26, 1.0, v26
	s_delay_alu instid0(VALU_DEP_1) | instskip(NEXT) | instid1(VALU_DEP_2)
	v_add_f32_e32 v22, v22, v26
	v_add_f32_e32 v26, -1.0, v27
	s_delay_alu instid0(VALU_DEP_2) | instskip(NEXT) | instid1(VALU_DEP_2)
	v_ldexp_f32 v22, v22, v25
	v_dual_add_f32 v25, -1.0, v24 :: v_dual_sub_f32 v26, v24, v26
	s_delay_alu instid0(VALU_DEP_1) | instskip(NEXT) | instid1(VALU_DEP_2)
	v_add_f32_e32 v28, 1.0, v25
	v_add_f32_e32 v26, v22, v26
	s_delay_alu instid0(VALU_DEP_2) | instskip(NEXT) | instid1(VALU_DEP_2)
	v_sub_f32_e32 v24, v24, v28
	v_add_f32_e32 v28, v27, v26
	s_delay_alu instid0(VALU_DEP_2) | instskip(NEXT) | instid1(VALU_DEP_2)
	v_add_f32_e32 v22, v22, v24
	v_rcp_f32_e32 v24, v28
	v_sub_f32_e32 v27, v27, v28
	s_delay_alu instid0(VALU_DEP_1) | instskip(NEXT) | instid1(VALU_DEP_1)
	v_dual_add_f32 v29, v25, v22 :: v_dual_add_f32 v26, v26, v27
	v_sub_f32_e32 v25, v25, v29
	s_waitcnt_depctr 0xfff
	v_mul_f32_e32 v30, v29, v24
	s_delay_alu instid0(VALU_DEP_1) | instskip(NEXT) | instid1(VALU_DEP_1)
	v_dual_add_f32 v22, v22, v25 :: v_dual_mul_f32 v31, v28, v30
	v_fma_f32 v27, v30, v28, -v31
	s_delay_alu instid0(VALU_DEP_1) | instskip(NEXT) | instid1(VALU_DEP_1)
	v_fmac_f32_e32 v27, v30, v26
	v_add_f32_e32 v32, v31, v27
	s_delay_alu instid0(VALU_DEP_1) | instskip(SKIP_1) | instid1(VALU_DEP_2)
	v_sub_f32_e32 v33, v29, v32
	v_sub_f32_e32 v25, v32, v31
	;; [unrolled: 1-line block ×3, first 2 shown]
	s_delay_alu instid0(VALU_DEP_2) | instskip(NEXT) | instid1(VALU_DEP_2)
	v_sub_f32_e32 v25, v25, v27
	v_sub_f32_e32 v29, v29, v32
	s_delay_alu instid0(VALU_DEP_1) | instskip(NEXT) | instid1(VALU_DEP_1)
	v_add_f32_e32 v22, v22, v29
	v_add_f32_e32 v22, v25, v22
	s_delay_alu instid0(VALU_DEP_1) | instskip(NEXT) | instid1(VALU_DEP_1)
	v_add_f32_e32 v25, v33, v22
	v_mul_f32_e32 v27, v24, v25
	s_delay_alu instid0(VALU_DEP_1) | instskip(NEXT) | instid1(VALU_DEP_1)
	v_dual_sub_f32 v32, v33, v25 :: v_dual_mul_f32 v29, v28, v27
	v_add_f32_e32 v22, v22, v32
	s_delay_alu instid0(VALU_DEP_2) | instskip(NEXT) | instid1(VALU_DEP_1)
	v_fma_f32 v28, v27, v28, -v29
	v_fmac_f32_e32 v28, v27, v26
	s_delay_alu instid0(VALU_DEP_1) | instskip(NEXT) | instid1(VALU_DEP_1)
	v_add_f32_e32 v26, v29, v28
	v_sub_f32_e32 v31, v25, v26
	v_sub_f32_e32 v29, v26, v29
	s_delay_alu instid0(VALU_DEP_2) | instskip(NEXT) | instid1(VALU_DEP_1)
	v_sub_f32_e32 v25, v25, v31
	v_sub_f32_e32 v25, v25, v26
	s_delay_alu instid0(VALU_DEP_3) | instskip(NEXT) | instid1(VALU_DEP_2)
	v_sub_f32_e32 v26, v29, v28
	v_add_f32_e32 v22, v22, v25
	v_add_f32_e32 v25, v30, v27
	s_delay_alu instid0(VALU_DEP_2) | instskip(NEXT) | instid1(VALU_DEP_2)
	v_add_f32_e32 v22, v26, v22
	v_sub_f32_e32 v26, v25, v30
	s_delay_alu instid0(VALU_DEP_2) | instskip(NEXT) | instid1(VALU_DEP_2)
	v_add_f32_e32 v22, v31, v22
	v_sub_f32_e32 v26, v27, v26
	s_delay_alu instid0(VALU_DEP_2) | instskip(NEXT) | instid1(VALU_DEP_1)
	v_mul_f32_e32 v22, v24, v22
	v_add_f32_e32 v22, v26, v22
	s_delay_alu instid0(VALU_DEP_1) | instskip(NEXT) | instid1(VALU_DEP_1)
	v_add_f32_e32 v24, v25, v22
	v_mul_f32_e32 v26, v24, v24
	s_delay_alu instid0(VALU_DEP_1) | instskip(SKIP_2) | instid1(VALU_DEP_3)
	v_fmaak_f32 v27, s0, v26, 0x3ecc95a3
	v_mul_f32_e32 v28, v24, v26
	v_cmp_eq_f32_e64 s0, 0x7f800000, v23
	v_fmaak_f32 v26, v26, v27, 0x3f2aaada
	v_ldexp_f32 v27, v24, 1
	v_sub_f32_e32 v24, v24, v25
	s_delay_alu instid0(VALU_DEP_4) | instskip(NEXT) | instid1(VALU_DEP_3)
	s_or_b32 s0, s0, s23
	v_mul_f32_e32 v26, v28, v26
	v_mul_f32_e32 v28, 0x3f317218, v21
	s_delay_alu instid0(VALU_DEP_2) | instskip(NEXT) | instid1(VALU_DEP_1)
	v_dual_sub_f32 v22, v22, v24 :: v_dual_add_f32 v25, v27, v26
	v_ldexp_f32 v22, v22, 1
	s_delay_alu instid0(VALU_DEP_2) | instskip(NEXT) | instid1(VALU_DEP_4)
	v_sub_f32_e32 v24, v25, v27
	v_fma_f32 v27, 0x3f317218, v21, -v28
	s_delay_alu instid0(VALU_DEP_1) | instskip(NEXT) | instid1(VALU_DEP_1)
	v_dual_sub_f32 v24, v26, v24 :: v_dual_fmamk_f32 v21, v21, 0xb102e308, v27
	v_add_f32_e32 v22, v22, v24
	s_delay_alu instid0(VALU_DEP_2) | instskip(NEXT) | instid1(VALU_DEP_2)
	v_add_f32_e32 v24, v28, v21
	v_add_f32_e32 v26, v25, v22
	s_delay_alu instid0(VALU_DEP_2) | instskip(NEXT) | instid1(VALU_DEP_2)
	v_sub_f32_e32 v28, v24, v28
	v_add_f32_e32 v27, v24, v26
	v_sub_f32_e32 v25, v26, v25
	s_delay_alu instid0(VALU_DEP_3) | instskip(NEXT) | instid1(VALU_DEP_2)
	v_sub_f32_e32 v21, v21, v28
	v_dual_sub_f32 v29, v27, v24 :: v_dual_sub_f32 v22, v22, v25
	s_delay_alu instid0(VALU_DEP_1) | instskip(NEXT) | instid1(VALU_DEP_2)
	v_sub_f32_e32 v30, v27, v29
	v_dual_sub_f32 v25, v26, v29 :: v_dual_add_f32 v26, v21, v22
	s_delay_alu instid0(VALU_DEP_2) | instskip(NEXT) | instid1(VALU_DEP_1)
	v_sub_f32_e32 v24, v24, v30
	v_dual_add_f32 v24, v25, v24 :: v_dual_sub_f32 v25, v26, v21
	s_delay_alu instid0(VALU_DEP_1) | instskip(NEXT) | instid1(VALU_DEP_2)
	v_add_f32_e32 v24, v26, v24
	v_sub_f32_e32 v26, v26, v25
	v_sub_f32_e32 v22, v22, v25
	s_delay_alu instid0(VALU_DEP_2) | instskip(NEXT) | instid1(VALU_DEP_1)
	v_dual_add_f32 v28, v27, v24 :: v_dual_sub_f32 v21, v21, v26
	v_sub_f32_e32 v25, v28, v27
	s_delay_alu instid0(VALU_DEP_2) | instskip(NEXT) | instid1(VALU_DEP_2)
	v_add_f32_e32 v21, v22, v21
	v_sub_f32_e32 v22, v24, v25
	s_delay_alu instid0(VALU_DEP_1) | instskip(NEXT) | instid1(VALU_DEP_1)
	v_add_f32_e32 v21, v21, v22
	v_add_f32_e32 v21, v28, v21
	s_delay_alu instid0(VALU_DEP_1) | instskip(NEXT) | instid1(VALU_DEP_1)
	v_cndmask_b32_e64 v21, v21, v23, s0
	v_add_f32_e32 v21, v7, v21
.LBB471_152:
	s_or_b32 exec_lo, exec_lo, s1
	s_delay_alu instid0(VALU_DEP_1) | instskip(SKIP_1) | instid1(VALU_DEP_2)
	v_bfe_u32 v7, v21, 16, 1
	v_cmp_o_f32_e64 s0, v21, v21
	v_add3_u32 v7, v21, v7, 0x7fff
	s_delay_alu instid0(VALU_DEP_1) | instskip(NEXT) | instid1(VALU_DEP_1)
	v_lshrrev_b32_e32 v7, 16, v7
	v_cndmask_b32_e64 v7, 0x7fc0, v7, s0
	s_delay_alu instid0(VALU_DEP_1) | instskip(NEXT) | instid1(VALU_DEP_1)
	v_lshlrev_b32_e32 v22, 16, v7
	v_max_f32_e32 v21, v22, v22
	s_delay_alu instid0(VALU_DEP_1) | instskip(SKIP_2) | instid1(VALU_DEP_1)
	v_min_f32_e32 v23, v21, v38
	v_max_f32_e32 v21, v21, v38
	v_cmp_u_f32_e64 s0, v22, v22
	v_cndmask_b32_e64 v23, v23, v22, s0
	s_delay_alu instid0(VALU_DEP_3) | instskip(NEXT) | instid1(VALU_DEP_2)
	v_cndmask_b32_e64 v21, v21, v22, s0
	v_cndmask_b32_e64 v23, v23, v34, s39
	s_delay_alu instid0(VALU_DEP_2) | instskip(NEXT) | instid1(VALU_DEP_2)
	v_cndmask_b32_e64 v21, v21, v34, s39
	v_cmp_class_f32_e64 s1, v23, 0x1f8
	s_delay_alu instid0(VALU_DEP_2) | instskip(NEXT) | instid1(VALU_DEP_1)
	v_cmp_neq_f32_e64 s0, v23, v21
	s_or_b32 s0, s0, s1
	s_delay_alu instid0(SALU_CYCLE_1)
	s_and_saveexec_b32 s1, s0
	s_cbranch_execz .LBB471_154
; %bb.153:
	v_sub_f32_e32 v22, v23, v21
	s_delay_alu instid0(VALU_DEP_1) | instskip(SKIP_1) | instid1(VALU_DEP_2)
	v_mul_f32_e32 v23, 0x3fb8aa3b, v22
	v_cmp_ngt_f32_e64 s0, 0xc2ce8ed0, v22
	v_fma_f32 v24, 0x3fb8aa3b, v22, -v23
	v_rndne_f32_e32 v25, v23
	s_delay_alu instid0(VALU_DEP_1) | instskip(NEXT) | instid1(VALU_DEP_1)
	v_dual_fmamk_f32 v24, v22, 0x32a5705f, v24 :: v_dual_sub_f32 v23, v23, v25
	v_add_f32_e32 v23, v23, v24
	v_cvt_i32_f32_e32 v24, v25
	s_delay_alu instid0(VALU_DEP_2) | instskip(SKIP_2) | instid1(VALU_DEP_1)
	v_exp_f32_e32 v23, v23
	s_waitcnt_depctr 0xfff
	v_ldexp_f32 v23, v23, v24
	v_cndmask_b32_e64 v23, 0, v23, s0
	v_cmp_nlt_f32_e64 s0, 0x42b17218, v22
	s_delay_alu instid0(VALU_DEP_1) | instskip(NEXT) | instid1(VALU_DEP_1)
	v_cndmask_b32_e64 v24, 0x7f800000, v23, s0
	v_add_f32_e32 v25, 1.0, v24
	v_cmp_gt_f32_e64 s23, 0x33800000, |v24|
	s_delay_alu instid0(VALU_DEP_2) | instskip(NEXT) | instid1(VALU_DEP_1)
	v_cvt_f64_f32_e32 v[22:23], v25
	v_frexp_exp_i32_f64_e32 v22, v[22:23]
	v_frexp_mant_f32_e32 v23, v25
	s_delay_alu instid0(VALU_DEP_1) | instskip(SKIP_1) | instid1(VALU_DEP_1)
	v_cmp_gt_f32_e64 s0, 0x3f2aaaab, v23
	v_add_f32_e32 v23, -1.0, v25
	v_sub_f32_e32 v27, v23, v25
	v_sub_f32_e32 v23, v24, v23
	s_delay_alu instid0(VALU_DEP_4) | instskip(SKIP_1) | instid1(VALU_DEP_1)
	v_subrev_co_ci_u32_e64 v22, s0, 0, v22, s0
	s_mov_b32 s0, 0x3e9b6dac
	v_sub_nc_u32_e32 v26, 0, v22
	v_cvt_f32_i32_e32 v22, v22
	s_delay_alu instid0(VALU_DEP_2) | instskip(NEXT) | instid1(VALU_DEP_1)
	v_ldexp_f32 v25, v25, v26
	v_dual_add_f32 v28, 1.0, v25 :: v_dual_add_f32 v27, 1.0, v27
	s_delay_alu instid0(VALU_DEP_1) | instskip(NEXT) | instid1(VALU_DEP_2)
	v_add_f32_e32 v23, v23, v27
	v_add_f32_e32 v27, -1.0, v28
	s_delay_alu instid0(VALU_DEP_2) | instskip(NEXT) | instid1(VALU_DEP_2)
	v_ldexp_f32 v23, v23, v26
	v_dual_add_f32 v26, -1.0, v25 :: v_dual_sub_f32 v27, v25, v27
	s_delay_alu instid0(VALU_DEP_1) | instskip(NEXT) | instid1(VALU_DEP_2)
	v_add_f32_e32 v29, 1.0, v26
	v_add_f32_e32 v27, v23, v27
	s_delay_alu instid0(VALU_DEP_2) | instskip(NEXT) | instid1(VALU_DEP_2)
	v_sub_f32_e32 v25, v25, v29
	v_add_f32_e32 v29, v28, v27
	s_delay_alu instid0(VALU_DEP_2) | instskip(NEXT) | instid1(VALU_DEP_2)
	v_add_f32_e32 v23, v23, v25
	v_rcp_f32_e32 v25, v29
	v_sub_f32_e32 v28, v28, v29
	s_delay_alu instid0(VALU_DEP_1) | instskip(NEXT) | instid1(VALU_DEP_1)
	v_dual_add_f32 v30, v26, v23 :: v_dual_add_f32 v27, v27, v28
	v_sub_f32_e32 v26, v26, v30
	s_waitcnt_depctr 0xfff
	v_mul_f32_e32 v31, v30, v25
	s_delay_alu instid0(VALU_DEP_1) | instskip(NEXT) | instid1(VALU_DEP_1)
	v_dual_add_f32 v23, v23, v26 :: v_dual_mul_f32 v32, v29, v31
	v_fma_f32 v28, v31, v29, -v32
	s_delay_alu instid0(VALU_DEP_1) | instskip(NEXT) | instid1(VALU_DEP_1)
	v_fmac_f32_e32 v28, v31, v27
	v_add_f32_e32 v33, v32, v28
	s_delay_alu instid0(VALU_DEP_1) | instskip(SKIP_1) | instid1(VALU_DEP_2)
	v_sub_f32_e32 v34, v30, v33
	v_sub_f32_e32 v26, v33, v32
	;; [unrolled: 1-line block ×3, first 2 shown]
	s_delay_alu instid0(VALU_DEP_2) | instskip(NEXT) | instid1(VALU_DEP_2)
	v_sub_f32_e32 v26, v26, v28
	v_sub_f32_e32 v30, v30, v33
	s_delay_alu instid0(VALU_DEP_1) | instskip(NEXT) | instid1(VALU_DEP_1)
	v_add_f32_e32 v23, v23, v30
	v_add_f32_e32 v23, v26, v23
	s_delay_alu instid0(VALU_DEP_1) | instskip(NEXT) | instid1(VALU_DEP_1)
	v_add_f32_e32 v26, v34, v23
	v_mul_f32_e32 v28, v25, v26
	s_delay_alu instid0(VALU_DEP_1) | instskip(NEXT) | instid1(VALU_DEP_1)
	v_dual_sub_f32 v33, v34, v26 :: v_dual_mul_f32 v30, v29, v28
	v_add_f32_e32 v23, v23, v33
	s_delay_alu instid0(VALU_DEP_2) | instskip(NEXT) | instid1(VALU_DEP_1)
	v_fma_f32 v29, v28, v29, -v30
	v_fmac_f32_e32 v29, v28, v27
	s_delay_alu instid0(VALU_DEP_1) | instskip(NEXT) | instid1(VALU_DEP_1)
	v_add_f32_e32 v27, v30, v29
	v_sub_f32_e32 v32, v26, v27
	v_sub_f32_e32 v30, v27, v30
	s_delay_alu instid0(VALU_DEP_2) | instskip(NEXT) | instid1(VALU_DEP_1)
	v_sub_f32_e32 v26, v26, v32
	v_sub_f32_e32 v26, v26, v27
	s_delay_alu instid0(VALU_DEP_3) | instskip(NEXT) | instid1(VALU_DEP_2)
	v_sub_f32_e32 v27, v30, v29
	v_add_f32_e32 v23, v23, v26
	v_add_f32_e32 v26, v31, v28
	s_delay_alu instid0(VALU_DEP_2) | instskip(NEXT) | instid1(VALU_DEP_2)
	v_add_f32_e32 v23, v27, v23
	v_sub_f32_e32 v27, v26, v31
	s_delay_alu instid0(VALU_DEP_2) | instskip(NEXT) | instid1(VALU_DEP_2)
	v_add_f32_e32 v23, v32, v23
	v_sub_f32_e32 v27, v28, v27
	s_delay_alu instid0(VALU_DEP_2) | instskip(NEXT) | instid1(VALU_DEP_1)
	v_mul_f32_e32 v23, v25, v23
	v_add_f32_e32 v23, v27, v23
	s_delay_alu instid0(VALU_DEP_1) | instskip(NEXT) | instid1(VALU_DEP_1)
	v_add_f32_e32 v25, v26, v23
	v_mul_f32_e32 v27, v25, v25
	s_delay_alu instid0(VALU_DEP_1) | instskip(SKIP_2) | instid1(VALU_DEP_3)
	v_fmaak_f32 v28, s0, v27, 0x3ecc95a3
	v_mul_f32_e32 v29, v25, v27
	v_cmp_eq_f32_e64 s0, 0x7f800000, v24
	v_fmaak_f32 v27, v27, v28, 0x3f2aaada
	v_ldexp_f32 v28, v25, 1
	v_sub_f32_e32 v25, v25, v26
	s_delay_alu instid0(VALU_DEP_4) | instskip(NEXT) | instid1(VALU_DEP_3)
	s_or_b32 s0, s0, s23
	v_mul_f32_e32 v27, v29, v27
	v_mul_f32_e32 v29, 0x3f317218, v22
	s_delay_alu instid0(VALU_DEP_2) | instskip(NEXT) | instid1(VALU_DEP_1)
	v_dual_sub_f32 v23, v23, v25 :: v_dual_add_f32 v26, v28, v27
	v_ldexp_f32 v23, v23, 1
	s_delay_alu instid0(VALU_DEP_2) | instskip(NEXT) | instid1(VALU_DEP_4)
	v_sub_f32_e32 v25, v26, v28
	v_fma_f32 v28, 0x3f317218, v22, -v29
	s_delay_alu instid0(VALU_DEP_1) | instskip(NEXT) | instid1(VALU_DEP_1)
	v_dual_sub_f32 v25, v27, v25 :: v_dual_fmamk_f32 v22, v22, 0xb102e308, v28
	v_add_f32_e32 v23, v23, v25
	s_delay_alu instid0(VALU_DEP_2) | instskip(NEXT) | instid1(VALU_DEP_2)
	v_add_f32_e32 v25, v29, v22
	v_add_f32_e32 v27, v26, v23
	s_delay_alu instid0(VALU_DEP_2) | instskip(NEXT) | instid1(VALU_DEP_2)
	v_sub_f32_e32 v29, v25, v29
	v_add_f32_e32 v28, v25, v27
	v_sub_f32_e32 v26, v27, v26
	s_delay_alu instid0(VALU_DEP_3) | instskip(NEXT) | instid1(VALU_DEP_2)
	v_sub_f32_e32 v22, v22, v29
	v_dual_sub_f32 v30, v28, v25 :: v_dual_sub_f32 v23, v23, v26
	s_delay_alu instid0(VALU_DEP_1) | instskip(NEXT) | instid1(VALU_DEP_2)
	v_sub_f32_e32 v31, v28, v30
	v_dual_sub_f32 v26, v27, v30 :: v_dual_add_f32 v27, v22, v23
	s_delay_alu instid0(VALU_DEP_2) | instskip(NEXT) | instid1(VALU_DEP_1)
	v_sub_f32_e32 v25, v25, v31
	v_dual_add_f32 v25, v26, v25 :: v_dual_sub_f32 v26, v27, v22
	s_delay_alu instid0(VALU_DEP_1) | instskip(NEXT) | instid1(VALU_DEP_2)
	v_add_f32_e32 v25, v27, v25
	v_sub_f32_e32 v27, v27, v26
	v_sub_f32_e32 v23, v23, v26
	s_delay_alu instid0(VALU_DEP_2) | instskip(NEXT) | instid1(VALU_DEP_1)
	v_dual_add_f32 v29, v28, v25 :: v_dual_sub_f32 v22, v22, v27
	v_sub_f32_e32 v26, v29, v28
	s_delay_alu instid0(VALU_DEP_2) | instskip(NEXT) | instid1(VALU_DEP_2)
	v_add_f32_e32 v22, v23, v22
	v_sub_f32_e32 v23, v25, v26
	s_delay_alu instid0(VALU_DEP_1) | instskip(NEXT) | instid1(VALU_DEP_1)
	v_add_f32_e32 v22, v22, v23
	v_add_f32_e32 v22, v29, v22
	s_delay_alu instid0(VALU_DEP_1) | instskip(NEXT) | instid1(VALU_DEP_1)
	v_cndmask_b32_e64 v22, v22, v24, s0
	v_add_f32_e32 v22, v21, v22
.LBB471_154:
	s_or_b32 exec_lo, exec_lo, s1
	s_delay_alu instid0(VALU_DEP_1) | instskip(SKIP_1) | instid1(VALU_DEP_2)
	v_bfe_u32 v21, v22, 16, 1
	v_cmp_o_f32_e64 s0, v22, v22
	v_add3_u32 v21, v22, v21, 0x7fff
	s_delay_alu instid0(VALU_DEP_1) | instskip(NEXT) | instid1(VALU_DEP_1)
	v_lshrrev_b32_e32 v21, 16, v21
	v_cndmask_b32_e64 v21, 0x7fc0, v21, s0
	s_delay_alu instid0(VALU_DEP_1) | instskip(NEXT) | instid1(VALU_DEP_1)
	v_lshlrev_b32_e32 v22, 16, v21
	v_max_f32_e32 v23, v22, v22
	s_delay_alu instid0(VALU_DEP_1) | instskip(SKIP_2) | instid1(VALU_DEP_1)
	v_min_f32_e32 v24, v23, v39
	v_max_f32_e32 v23, v23, v39
	v_cmp_u_f32_e64 s0, v22, v22
	v_cndmask_b32_e64 v24, v24, v22, s0
	s_delay_alu instid0(VALU_DEP_3) | instskip(NEXT) | instid1(VALU_DEP_2)
	v_cndmask_b32_e64 v25, v23, v22, s0
	v_cndmask_b32_e64 v23, v24, v4, s40
	s_delay_alu instid0(VALU_DEP_2) | instskip(NEXT) | instid1(VALU_DEP_2)
	v_cndmask_b32_e64 v4, v25, v4, s40
	v_cmp_class_f32_e64 s1, v23, 0x1f8
	s_delay_alu instid0(VALU_DEP_2) | instskip(NEXT) | instid1(VALU_DEP_1)
	v_cmp_neq_f32_e64 s0, v23, v4
	s_or_b32 s0, s0, s1
	s_delay_alu instid0(SALU_CYCLE_1)
	s_and_saveexec_b32 s1, s0
	s_cbranch_execz .LBB471_156
; %bb.155:
	v_sub_f32_e32 v22, v23, v4
	s_delay_alu instid0(VALU_DEP_1) | instskip(SKIP_1) | instid1(VALU_DEP_2)
	v_mul_f32_e32 v23, 0x3fb8aa3b, v22
	v_cmp_ngt_f32_e64 s0, 0xc2ce8ed0, v22
	v_fma_f32 v24, 0x3fb8aa3b, v22, -v23
	v_rndne_f32_e32 v25, v23
	s_delay_alu instid0(VALU_DEP_1) | instskip(NEXT) | instid1(VALU_DEP_1)
	v_dual_fmamk_f32 v24, v22, 0x32a5705f, v24 :: v_dual_sub_f32 v23, v23, v25
	v_add_f32_e32 v23, v23, v24
	v_cvt_i32_f32_e32 v24, v25
	s_delay_alu instid0(VALU_DEP_2) | instskip(SKIP_2) | instid1(VALU_DEP_1)
	v_exp_f32_e32 v23, v23
	s_waitcnt_depctr 0xfff
	v_ldexp_f32 v23, v23, v24
	v_cndmask_b32_e64 v23, 0, v23, s0
	v_cmp_nlt_f32_e64 s0, 0x42b17218, v22
	s_delay_alu instid0(VALU_DEP_1) | instskip(NEXT) | instid1(VALU_DEP_1)
	v_cndmask_b32_e64 v24, 0x7f800000, v23, s0
	v_add_f32_e32 v25, 1.0, v24
	v_cmp_gt_f32_e64 s23, 0x33800000, |v24|
	s_delay_alu instid0(VALU_DEP_2) | instskip(NEXT) | instid1(VALU_DEP_1)
	v_cvt_f64_f32_e32 v[22:23], v25
	v_frexp_exp_i32_f64_e32 v22, v[22:23]
	v_frexp_mant_f32_e32 v23, v25
	s_delay_alu instid0(VALU_DEP_1) | instskip(SKIP_1) | instid1(VALU_DEP_1)
	v_cmp_gt_f32_e64 s0, 0x3f2aaaab, v23
	v_add_f32_e32 v23, -1.0, v25
	v_sub_f32_e32 v27, v23, v25
	v_sub_f32_e32 v23, v24, v23
	s_delay_alu instid0(VALU_DEP_4) | instskip(SKIP_1) | instid1(VALU_DEP_1)
	v_subrev_co_ci_u32_e64 v22, s0, 0, v22, s0
	s_mov_b32 s0, 0x3e9b6dac
	v_sub_nc_u32_e32 v26, 0, v22
	v_cvt_f32_i32_e32 v22, v22
	s_delay_alu instid0(VALU_DEP_2) | instskip(NEXT) | instid1(VALU_DEP_1)
	v_ldexp_f32 v25, v25, v26
	v_dual_add_f32 v28, 1.0, v25 :: v_dual_add_f32 v27, 1.0, v27
	s_delay_alu instid0(VALU_DEP_1) | instskip(NEXT) | instid1(VALU_DEP_2)
	v_add_f32_e32 v23, v23, v27
	v_add_f32_e32 v27, -1.0, v28
	s_delay_alu instid0(VALU_DEP_2) | instskip(NEXT) | instid1(VALU_DEP_2)
	v_ldexp_f32 v23, v23, v26
	v_dual_add_f32 v26, -1.0, v25 :: v_dual_sub_f32 v27, v25, v27
	s_delay_alu instid0(VALU_DEP_1) | instskip(NEXT) | instid1(VALU_DEP_2)
	v_add_f32_e32 v29, 1.0, v26
	v_add_f32_e32 v27, v23, v27
	s_delay_alu instid0(VALU_DEP_2) | instskip(NEXT) | instid1(VALU_DEP_2)
	v_sub_f32_e32 v25, v25, v29
	v_add_f32_e32 v29, v28, v27
	s_delay_alu instid0(VALU_DEP_2) | instskip(NEXT) | instid1(VALU_DEP_2)
	v_add_f32_e32 v23, v23, v25
	v_rcp_f32_e32 v25, v29
	v_sub_f32_e32 v28, v28, v29
	s_delay_alu instid0(VALU_DEP_1) | instskip(NEXT) | instid1(VALU_DEP_1)
	v_dual_add_f32 v30, v26, v23 :: v_dual_add_f32 v27, v27, v28
	v_sub_f32_e32 v26, v26, v30
	s_waitcnt_depctr 0xfff
	v_mul_f32_e32 v31, v30, v25
	s_delay_alu instid0(VALU_DEP_1) | instskip(NEXT) | instid1(VALU_DEP_1)
	v_dual_add_f32 v23, v23, v26 :: v_dual_mul_f32 v32, v29, v31
	v_fma_f32 v28, v31, v29, -v32
	s_delay_alu instid0(VALU_DEP_1) | instskip(NEXT) | instid1(VALU_DEP_1)
	v_fmac_f32_e32 v28, v31, v27
	v_add_f32_e32 v33, v32, v28
	s_delay_alu instid0(VALU_DEP_1) | instskip(SKIP_1) | instid1(VALU_DEP_2)
	v_sub_f32_e32 v34, v30, v33
	v_sub_f32_e32 v26, v33, v32
	v_sub_f32_e32 v30, v30, v34
	s_delay_alu instid0(VALU_DEP_2) | instskip(NEXT) | instid1(VALU_DEP_2)
	v_sub_f32_e32 v26, v26, v28
	v_sub_f32_e32 v30, v30, v33
	s_delay_alu instid0(VALU_DEP_1) | instskip(NEXT) | instid1(VALU_DEP_1)
	v_add_f32_e32 v23, v23, v30
	v_add_f32_e32 v23, v26, v23
	s_delay_alu instid0(VALU_DEP_1) | instskip(NEXT) | instid1(VALU_DEP_1)
	v_add_f32_e32 v26, v34, v23
	v_mul_f32_e32 v28, v25, v26
	s_delay_alu instid0(VALU_DEP_1) | instskip(NEXT) | instid1(VALU_DEP_1)
	v_dual_sub_f32 v33, v34, v26 :: v_dual_mul_f32 v30, v29, v28
	v_add_f32_e32 v23, v23, v33
	s_delay_alu instid0(VALU_DEP_2) | instskip(NEXT) | instid1(VALU_DEP_1)
	v_fma_f32 v29, v28, v29, -v30
	v_fmac_f32_e32 v29, v28, v27
	s_delay_alu instid0(VALU_DEP_1) | instskip(NEXT) | instid1(VALU_DEP_1)
	v_add_f32_e32 v27, v30, v29
	v_sub_f32_e32 v32, v26, v27
	v_sub_f32_e32 v30, v27, v30
	s_delay_alu instid0(VALU_DEP_2) | instskip(NEXT) | instid1(VALU_DEP_1)
	v_sub_f32_e32 v26, v26, v32
	v_sub_f32_e32 v26, v26, v27
	s_delay_alu instid0(VALU_DEP_3) | instskip(NEXT) | instid1(VALU_DEP_2)
	v_sub_f32_e32 v27, v30, v29
	v_add_f32_e32 v23, v23, v26
	v_add_f32_e32 v26, v31, v28
	s_delay_alu instid0(VALU_DEP_2) | instskip(NEXT) | instid1(VALU_DEP_2)
	v_add_f32_e32 v23, v27, v23
	v_sub_f32_e32 v27, v26, v31
	s_delay_alu instid0(VALU_DEP_2) | instskip(NEXT) | instid1(VALU_DEP_2)
	v_add_f32_e32 v23, v32, v23
	v_sub_f32_e32 v27, v28, v27
	s_delay_alu instid0(VALU_DEP_2) | instskip(NEXT) | instid1(VALU_DEP_1)
	v_mul_f32_e32 v23, v25, v23
	v_add_f32_e32 v23, v27, v23
	s_delay_alu instid0(VALU_DEP_1) | instskip(NEXT) | instid1(VALU_DEP_1)
	v_add_f32_e32 v25, v26, v23
	v_mul_f32_e32 v27, v25, v25
	s_delay_alu instid0(VALU_DEP_1) | instskip(SKIP_2) | instid1(VALU_DEP_3)
	v_fmaak_f32 v28, s0, v27, 0x3ecc95a3
	v_mul_f32_e32 v29, v25, v27
	v_cmp_eq_f32_e64 s0, 0x7f800000, v24
	v_fmaak_f32 v27, v27, v28, 0x3f2aaada
	v_ldexp_f32 v28, v25, 1
	v_sub_f32_e32 v25, v25, v26
	s_delay_alu instid0(VALU_DEP_4) | instskip(NEXT) | instid1(VALU_DEP_3)
	s_or_b32 s0, s0, s23
	v_mul_f32_e32 v27, v29, v27
	v_mul_f32_e32 v29, 0x3f317218, v22
	s_delay_alu instid0(VALU_DEP_2) | instskip(NEXT) | instid1(VALU_DEP_1)
	v_dual_sub_f32 v23, v23, v25 :: v_dual_add_f32 v26, v28, v27
	v_ldexp_f32 v23, v23, 1
	s_delay_alu instid0(VALU_DEP_2) | instskip(NEXT) | instid1(VALU_DEP_4)
	v_sub_f32_e32 v25, v26, v28
	v_fma_f32 v28, 0x3f317218, v22, -v29
	s_delay_alu instid0(VALU_DEP_1) | instskip(NEXT) | instid1(VALU_DEP_1)
	v_dual_sub_f32 v25, v27, v25 :: v_dual_fmamk_f32 v22, v22, 0xb102e308, v28
	v_add_f32_e32 v23, v23, v25
	s_delay_alu instid0(VALU_DEP_2) | instskip(NEXT) | instid1(VALU_DEP_2)
	v_add_f32_e32 v25, v29, v22
	v_add_f32_e32 v27, v26, v23
	s_delay_alu instid0(VALU_DEP_2) | instskip(NEXT) | instid1(VALU_DEP_2)
	v_sub_f32_e32 v29, v25, v29
	v_add_f32_e32 v28, v25, v27
	v_sub_f32_e32 v26, v27, v26
	s_delay_alu instid0(VALU_DEP_3) | instskip(NEXT) | instid1(VALU_DEP_2)
	v_sub_f32_e32 v22, v22, v29
	v_dual_sub_f32 v30, v28, v25 :: v_dual_sub_f32 v23, v23, v26
	s_delay_alu instid0(VALU_DEP_1) | instskip(NEXT) | instid1(VALU_DEP_2)
	v_sub_f32_e32 v31, v28, v30
	v_dual_sub_f32 v26, v27, v30 :: v_dual_add_f32 v27, v22, v23
	s_delay_alu instid0(VALU_DEP_2) | instskip(NEXT) | instid1(VALU_DEP_1)
	v_sub_f32_e32 v25, v25, v31
	v_dual_add_f32 v25, v26, v25 :: v_dual_sub_f32 v26, v27, v22
	s_delay_alu instid0(VALU_DEP_1) | instskip(NEXT) | instid1(VALU_DEP_2)
	v_add_f32_e32 v25, v27, v25
	v_sub_f32_e32 v27, v27, v26
	v_sub_f32_e32 v23, v23, v26
	s_delay_alu instid0(VALU_DEP_2) | instskip(NEXT) | instid1(VALU_DEP_1)
	v_dual_add_f32 v29, v28, v25 :: v_dual_sub_f32 v22, v22, v27
	v_sub_f32_e32 v26, v29, v28
	s_delay_alu instid0(VALU_DEP_2) | instskip(NEXT) | instid1(VALU_DEP_2)
	v_add_f32_e32 v22, v23, v22
	v_sub_f32_e32 v23, v25, v26
	s_delay_alu instid0(VALU_DEP_1) | instskip(NEXT) | instid1(VALU_DEP_1)
	v_add_f32_e32 v22, v22, v23
	v_add_f32_e32 v22, v29, v22
	s_delay_alu instid0(VALU_DEP_1) | instskip(NEXT) | instid1(VALU_DEP_1)
	v_cndmask_b32_e64 v22, v22, v24, s0
	v_add_f32_e32 v22, v4, v22
.LBB471_156:
	s_or_b32 exec_lo, exec_lo, s1
	s_delay_alu instid0(VALU_DEP_1) | instskip(SKIP_1) | instid1(VALU_DEP_2)
	v_bfe_u32 v4, v22, 16, 1
	v_cmp_o_f32_e64 s0, v22, v22
	v_add3_u32 v4, v22, v4, 0x7fff
	s_delay_alu instid0(VALU_DEP_1) | instskip(NEXT) | instid1(VALU_DEP_1)
	v_lshrrev_b32_e32 v4, 16, v4
	v_cndmask_b32_e64 v4, 0x7fc0, v4, s0
	s_delay_alu instid0(VALU_DEP_1) | instskip(NEXT) | instid1(VALU_DEP_1)
	v_lshlrev_b32_e32 v23, 16, v4
	v_max_f32_e32 v22, v23, v23
	s_delay_alu instid0(VALU_DEP_1) | instskip(SKIP_2) | instid1(VALU_DEP_1)
	v_min_f32_e32 v24, v22, v41
	v_max_f32_e32 v22, v22, v41
	v_cmp_u_f32_e64 s0, v23, v23
	v_cndmask_b32_e64 v24, v24, v23, s0
	s_delay_alu instid0(VALU_DEP_3) | instskip(NEXT) | instid1(VALU_DEP_2)
	v_cndmask_b32_e64 v22, v22, v23, s0
	v_cndmask_b32_e64 v24, v24, v37, s41
	s_delay_alu instid0(VALU_DEP_2) | instskip(NEXT) | instid1(VALU_DEP_2)
	v_cndmask_b32_e64 v22, v22, v37, s41
	v_cmp_class_f32_e64 s1, v24, 0x1f8
	s_delay_alu instid0(VALU_DEP_2) | instskip(NEXT) | instid1(VALU_DEP_1)
	v_cmp_neq_f32_e64 s0, v24, v22
	s_or_b32 s0, s0, s1
	s_delay_alu instid0(SALU_CYCLE_1)
	s_and_saveexec_b32 s1, s0
	s_cbranch_execz .LBB471_158
; %bb.157:
	v_sub_f32_e32 v23, v24, v22
	s_delay_alu instid0(VALU_DEP_1) | instskip(SKIP_1) | instid1(VALU_DEP_2)
	v_mul_f32_e32 v24, 0x3fb8aa3b, v23
	v_cmp_ngt_f32_e64 s0, 0xc2ce8ed0, v23
	v_fma_f32 v25, 0x3fb8aa3b, v23, -v24
	v_rndne_f32_e32 v26, v24
	s_delay_alu instid0(VALU_DEP_1) | instskip(NEXT) | instid1(VALU_DEP_1)
	v_dual_fmamk_f32 v25, v23, 0x32a5705f, v25 :: v_dual_sub_f32 v24, v24, v26
	v_add_f32_e32 v24, v24, v25
	v_cvt_i32_f32_e32 v25, v26
	s_delay_alu instid0(VALU_DEP_2) | instskip(SKIP_2) | instid1(VALU_DEP_1)
	v_exp_f32_e32 v24, v24
	s_waitcnt_depctr 0xfff
	v_ldexp_f32 v24, v24, v25
	v_cndmask_b32_e64 v24, 0, v24, s0
	v_cmp_nlt_f32_e64 s0, 0x42b17218, v23
	s_delay_alu instid0(VALU_DEP_1) | instskip(NEXT) | instid1(VALU_DEP_1)
	v_cndmask_b32_e64 v25, 0x7f800000, v24, s0
	v_add_f32_e32 v26, 1.0, v25
	v_cmp_gt_f32_e64 s23, 0x33800000, |v25|
	s_delay_alu instid0(VALU_DEP_2) | instskip(NEXT) | instid1(VALU_DEP_1)
	v_cvt_f64_f32_e32 v[23:24], v26
	v_frexp_exp_i32_f64_e32 v23, v[23:24]
	v_frexp_mant_f32_e32 v24, v26
	s_delay_alu instid0(VALU_DEP_1) | instskip(SKIP_1) | instid1(VALU_DEP_1)
	v_cmp_gt_f32_e64 s0, 0x3f2aaaab, v24
	v_add_f32_e32 v24, -1.0, v26
	v_sub_f32_e32 v28, v24, v26
	v_sub_f32_e32 v24, v25, v24
	s_delay_alu instid0(VALU_DEP_4) | instskip(SKIP_1) | instid1(VALU_DEP_1)
	v_subrev_co_ci_u32_e64 v23, s0, 0, v23, s0
	s_mov_b32 s0, 0x3e9b6dac
	v_sub_nc_u32_e32 v27, 0, v23
	v_cvt_f32_i32_e32 v23, v23
	s_delay_alu instid0(VALU_DEP_2) | instskip(NEXT) | instid1(VALU_DEP_1)
	v_ldexp_f32 v26, v26, v27
	v_dual_add_f32 v29, 1.0, v26 :: v_dual_add_f32 v28, 1.0, v28
	s_delay_alu instid0(VALU_DEP_1) | instskip(NEXT) | instid1(VALU_DEP_2)
	v_add_f32_e32 v24, v24, v28
	v_add_f32_e32 v28, -1.0, v29
	s_delay_alu instid0(VALU_DEP_2) | instskip(NEXT) | instid1(VALU_DEP_2)
	v_ldexp_f32 v24, v24, v27
	v_dual_add_f32 v27, -1.0, v26 :: v_dual_sub_f32 v28, v26, v28
	s_delay_alu instid0(VALU_DEP_1) | instskip(NEXT) | instid1(VALU_DEP_2)
	v_add_f32_e32 v30, 1.0, v27
	v_add_f32_e32 v28, v24, v28
	s_delay_alu instid0(VALU_DEP_2) | instskip(NEXT) | instid1(VALU_DEP_2)
	v_sub_f32_e32 v26, v26, v30
	v_add_f32_e32 v30, v29, v28
	s_delay_alu instid0(VALU_DEP_2) | instskip(NEXT) | instid1(VALU_DEP_2)
	v_add_f32_e32 v24, v24, v26
	v_rcp_f32_e32 v26, v30
	v_sub_f32_e32 v29, v29, v30
	s_delay_alu instid0(VALU_DEP_1) | instskip(NEXT) | instid1(VALU_DEP_1)
	v_dual_add_f32 v31, v27, v24 :: v_dual_add_f32 v28, v28, v29
	v_sub_f32_e32 v27, v27, v31
	s_waitcnt_depctr 0xfff
	v_mul_f32_e32 v32, v31, v26
	s_delay_alu instid0(VALU_DEP_1) | instskip(NEXT) | instid1(VALU_DEP_1)
	v_dual_add_f32 v24, v24, v27 :: v_dual_mul_f32 v33, v30, v32
	v_fma_f32 v29, v32, v30, -v33
	s_delay_alu instid0(VALU_DEP_1) | instskip(NEXT) | instid1(VALU_DEP_1)
	v_fmac_f32_e32 v29, v32, v28
	v_add_f32_e32 v34, v33, v29
	s_delay_alu instid0(VALU_DEP_1) | instskip(SKIP_1) | instid1(VALU_DEP_2)
	v_sub_f32_e32 v35, v31, v34
	v_sub_f32_e32 v27, v34, v33
	;; [unrolled: 1-line block ×3, first 2 shown]
	s_delay_alu instid0(VALU_DEP_2) | instskip(NEXT) | instid1(VALU_DEP_2)
	v_sub_f32_e32 v27, v27, v29
	v_sub_f32_e32 v31, v31, v34
	s_delay_alu instid0(VALU_DEP_1) | instskip(NEXT) | instid1(VALU_DEP_1)
	v_add_f32_e32 v24, v24, v31
	v_add_f32_e32 v24, v27, v24
	s_delay_alu instid0(VALU_DEP_1) | instskip(NEXT) | instid1(VALU_DEP_1)
	v_add_f32_e32 v27, v35, v24
	v_mul_f32_e32 v29, v26, v27
	s_delay_alu instid0(VALU_DEP_1) | instskip(NEXT) | instid1(VALU_DEP_1)
	v_dual_sub_f32 v34, v35, v27 :: v_dual_mul_f32 v31, v30, v29
	v_add_f32_e32 v24, v24, v34
	s_delay_alu instid0(VALU_DEP_2) | instskip(NEXT) | instid1(VALU_DEP_1)
	v_fma_f32 v30, v29, v30, -v31
	v_fmac_f32_e32 v30, v29, v28
	s_delay_alu instid0(VALU_DEP_1) | instskip(NEXT) | instid1(VALU_DEP_1)
	v_add_f32_e32 v28, v31, v30
	v_sub_f32_e32 v33, v27, v28
	v_sub_f32_e32 v31, v28, v31
	s_delay_alu instid0(VALU_DEP_2) | instskip(NEXT) | instid1(VALU_DEP_1)
	v_sub_f32_e32 v27, v27, v33
	v_sub_f32_e32 v27, v27, v28
	s_delay_alu instid0(VALU_DEP_3) | instskip(NEXT) | instid1(VALU_DEP_2)
	v_sub_f32_e32 v28, v31, v30
	v_add_f32_e32 v24, v24, v27
	v_add_f32_e32 v27, v32, v29
	s_delay_alu instid0(VALU_DEP_2) | instskip(NEXT) | instid1(VALU_DEP_2)
	v_add_f32_e32 v24, v28, v24
	v_sub_f32_e32 v28, v27, v32
	s_delay_alu instid0(VALU_DEP_2) | instskip(NEXT) | instid1(VALU_DEP_2)
	v_add_f32_e32 v24, v33, v24
	v_sub_f32_e32 v28, v29, v28
	s_delay_alu instid0(VALU_DEP_2) | instskip(NEXT) | instid1(VALU_DEP_1)
	v_mul_f32_e32 v24, v26, v24
	v_add_f32_e32 v24, v28, v24
	s_delay_alu instid0(VALU_DEP_1) | instskip(NEXT) | instid1(VALU_DEP_1)
	v_add_f32_e32 v26, v27, v24
	v_mul_f32_e32 v28, v26, v26
	s_delay_alu instid0(VALU_DEP_1) | instskip(SKIP_2) | instid1(VALU_DEP_3)
	v_fmaak_f32 v29, s0, v28, 0x3ecc95a3
	v_mul_f32_e32 v30, v26, v28
	v_cmp_eq_f32_e64 s0, 0x7f800000, v25
	v_fmaak_f32 v28, v28, v29, 0x3f2aaada
	v_ldexp_f32 v29, v26, 1
	v_sub_f32_e32 v26, v26, v27
	s_delay_alu instid0(VALU_DEP_4) | instskip(NEXT) | instid1(VALU_DEP_3)
	s_or_b32 s0, s0, s23
	v_mul_f32_e32 v28, v30, v28
	v_mul_f32_e32 v30, 0x3f317218, v23
	s_delay_alu instid0(VALU_DEP_2) | instskip(NEXT) | instid1(VALU_DEP_1)
	v_dual_sub_f32 v24, v24, v26 :: v_dual_add_f32 v27, v29, v28
	v_ldexp_f32 v24, v24, 1
	s_delay_alu instid0(VALU_DEP_2) | instskip(NEXT) | instid1(VALU_DEP_4)
	v_sub_f32_e32 v26, v27, v29
	v_fma_f32 v29, 0x3f317218, v23, -v30
	s_delay_alu instid0(VALU_DEP_1) | instskip(NEXT) | instid1(VALU_DEP_1)
	v_dual_sub_f32 v26, v28, v26 :: v_dual_fmamk_f32 v23, v23, 0xb102e308, v29
	v_add_f32_e32 v24, v24, v26
	s_delay_alu instid0(VALU_DEP_2) | instskip(NEXT) | instid1(VALU_DEP_2)
	v_add_f32_e32 v26, v30, v23
	v_add_f32_e32 v28, v27, v24
	s_delay_alu instid0(VALU_DEP_2) | instskip(NEXT) | instid1(VALU_DEP_2)
	v_sub_f32_e32 v30, v26, v30
	v_add_f32_e32 v29, v26, v28
	v_sub_f32_e32 v27, v28, v27
	s_delay_alu instid0(VALU_DEP_3) | instskip(NEXT) | instid1(VALU_DEP_2)
	v_sub_f32_e32 v23, v23, v30
	v_dual_sub_f32 v31, v29, v26 :: v_dual_sub_f32 v24, v24, v27
	s_delay_alu instid0(VALU_DEP_1) | instskip(NEXT) | instid1(VALU_DEP_2)
	v_sub_f32_e32 v32, v29, v31
	v_dual_sub_f32 v27, v28, v31 :: v_dual_add_f32 v28, v23, v24
	s_delay_alu instid0(VALU_DEP_2) | instskip(NEXT) | instid1(VALU_DEP_1)
	v_sub_f32_e32 v26, v26, v32
	v_dual_add_f32 v26, v27, v26 :: v_dual_sub_f32 v27, v28, v23
	s_delay_alu instid0(VALU_DEP_1) | instskip(NEXT) | instid1(VALU_DEP_2)
	v_add_f32_e32 v26, v28, v26
	v_sub_f32_e32 v28, v28, v27
	v_sub_f32_e32 v24, v24, v27
	s_delay_alu instid0(VALU_DEP_2) | instskip(NEXT) | instid1(VALU_DEP_1)
	v_dual_add_f32 v30, v29, v26 :: v_dual_sub_f32 v23, v23, v28
	v_sub_f32_e32 v27, v30, v29
	s_delay_alu instid0(VALU_DEP_2) | instskip(NEXT) | instid1(VALU_DEP_2)
	v_add_f32_e32 v23, v24, v23
	v_sub_f32_e32 v24, v26, v27
	s_delay_alu instid0(VALU_DEP_1) | instskip(NEXT) | instid1(VALU_DEP_1)
	v_add_f32_e32 v23, v23, v24
	v_add_f32_e32 v23, v30, v23
	s_delay_alu instid0(VALU_DEP_1) | instskip(NEXT) | instid1(VALU_DEP_1)
	v_cndmask_b32_e64 v23, v23, v25, s0
	v_add_f32_e32 v23, v22, v23
.LBB471_158:
	s_or_b32 exec_lo, exec_lo, s1
	s_delay_alu instid0(VALU_DEP_1) | instskip(SKIP_1) | instid1(VALU_DEP_2)
	v_bfe_u32 v22, v23, 16, 1
	v_cmp_o_f32_e64 s0, v23, v23
	v_add3_u32 v22, v23, v22, 0x7fff
	s_delay_alu instid0(VALU_DEP_1) | instskip(NEXT) | instid1(VALU_DEP_1)
	v_lshrrev_b32_e32 v22, 16, v22
	v_cndmask_b32_e64 v22, 0x7fc0, v22, s0
	s_delay_alu instid0(VALU_DEP_1) | instskip(NEXT) | instid1(VALU_DEP_1)
	v_lshlrev_b32_e32 v23, 16, v22
	v_max_f32_e32 v24, v23, v23
	s_delay_alu instid0(VALU_DEP_1) | instskip(SKIP_2) | instid1(VALU_DEP_1)
	v_min_f32_e32 v25, v24, v43
	v_max_f32_e32 v24, v24, v43
	v_cmp_u_f32_e64 s0, v23, v23
	v_cndmask_b32_e64 v25, v25, v23, s0
	s_delay_alu instid0(VALU_DEP_3) | instskip(NEXT) | instid1(VALU_DEP_2)
	v_cndmask_b32_e64 v26, v24, v23, s0
	v_cndmask_b32_e64 v24, v25, v5, s42
	s_delay_alu instid0(VALU_DEP_2) | instskip(NEXT) | instid1(VALU_DEP_2)
	v_cndmask_b32_e64 v5, v26, v5, s42
	v_cmp_class_f32_e64 s1, v24, 0x1f8
	s_delay_alu instid0(VALU_DEP_2) | instskip(NEXT) | instid1(VALU_DEP_1)
	v_cmp_neq_f32_e64 s0, v24, v5
	s_or_b32 s0, s0, s1
	s_delay_alu instid0(SALU_CYCLE_1)
	s_and_saveexec_b32 s1, s0
	s_cbranch_execz .LBB471_160
; %bb.159:
	v_sub_f32_e32 v23, v24, v5
	s_delay_alu instid0(VALU_DEP_1) | instskip(SKIP_1) | instid1(VALU_DEP_2)
	v_mul_f32_e32 v24, 0x3fb8aa3b, v23
	v_cmp_ngt_f32_e64 s0, 0xc2ce8ed0, v23
	v_fma_f32 v25, 0x3fb8aa3b, v23, -v24
	v_rndne_f32_e32 v26, v24
	s_delay_alu instid0(VALU_DEP_1) | instskip(NEXT) | instid1(VALU_DEP_1)
	v_dual_fmamk_f32 v25, v23, 0x32a5705f, v25 :: v_dual_sub_f32 v24, v24, v26
	v_add_f32_e32 v24, v24, v25
	v_cvt_i32_f32_e32 v25, v26
	s_delay_alu instid0(VALU_DEP_2) | instskip(SKIP_2) | instid1(VALU_DEP_1)
	v_exp_f32_e32 v24, v24
	s_waitcnt_depctr 0xfff
	v_ldexp_f32 v24, v24, v25
	v_cndmask_b32_e64 v24, 0, v24, s0
	v_cmp_nlt_f32_e64 s0, 0x42b17218, v23
	s_delay_alu instid0(VALU_DEP_1) | instskip(NEXT) | instid1(VALU_DEP_1)
	v_cndmask_b32_e64 v25, 0x7f800000, v24, s0
	v_add_f32_e32 v26, 1.0, v25
	v_cmp_gt_f32_e64 s23, 0x33800000, |v25|
	s_delay_alu instid0(VALU_DEP_2) | instskip(NEXT) | instid1(VALU_DEP_1)
	v_cvt_f64_f32_e32 v[23:24], v26
	v_frexp_exp_i32_f64_e32 v23, v[23:24]
	v_frexp_mant_f32_e32 v24, v26
	s_delay_alu instid0(VALU_DEP_1) | instskip(SKIP_1) | instid1(VALU_DEP_1)
	v_cmp_gt_f32_e64 s0, 0x3f2aaaab, v24
	v_add_f32_e32 v24, -1.0, v26
	v_sub_f32_e32 v28, v24, v26
	v_sub_f32_e32 v24, v25, v24
	s_delay_alu instid0(VALU_DEP_4) | instskip(SKIP_1) | instid1(VALU_DEP_1)
	v_subrev_co_ci_u32_e64 v23, s0, 0, v23, s0
	s_mov_b32 s0, 0x3e9b6dac
	v_sub_nc_u32_e32 v27, 0, v23
	v_cvt_f32_i32_e32 v23, v23
	s_delay_alu instid0(VALU_DEP_2) | instskip(NEXT) | instid1(VALU_DEP_1)
	v_ldexp_f32 v26, v26, v27
	v_dual_add_f32 v29, 1.0, v26 :: v_dual_add_f32 v28, 1.0, v28
	s_delay_alu instid0(VALU_DEP_1) | instskip(NEXT) | instid1(VALU_DEP_2)
	v_add_f32_e32 v24, v24, v28
	v_add_f32_e32 v28, -1.0, v29
	s_delay_alu instid0(VALU_DEP_2) | instskip(NEXT) | instid1(VALU_DEP_2)
	v_ldexp_f32 v24, v24, v27
	v_dual_add_f32 v27, -1.0, v26 :: v_dual_sub_f32 v28, v26, v28
	s_delay_alu instid0(VALU_DEP_1) | instskip(NEXT) | instid1(VALU_DEP_2)
	v_add_f32_e32 v30, 1.0, v27
	v_add_f32_e32 v28, v24, v28
	s_delay_alu instid0(VALU_DEP_2) | instskip(NEXT) | instid1(VALU_DEP_2)
	v_sub_f32_e32 v26, v26, v30
	v_add_f32_e32 v30, v29, v28
	s_delay_alu instid0(VALU_DEP_2) | instskip(NEXT) | instid1(VALU_DEP_2)
	v_add_f32_e32 v24, v24, v26
	v_rcp_f32_e32 v26, v30
	v_sub_f32_e32 v29, v29, v30
	s_delay_alu instid0(VALU_DEP_1) | instskip(NEXT) | instid1(VALU_DEP_1)
	v_dual_add_f32 v31, v27, v24 :: v_dual_add_f32 v28, v28, v29
	v_sub_f32_e32 v27, v27, v31
	s_waitcnt_depctr 0xfff
	v_mul_f32_e32 v32, v31, v26
	s_delay_alu instid0(VALU_DEP_1) | instskip(NEXT) | instid1(VALU_DEP_1)
	v_dual_add_f32 v24, v24, v27 :: v_dual_mul_f32 v33, v30, v32
	v_fma_f32 v29, v32, v30, -v33
	s_delay_alu instid0(VALU_DEP_1) | instskip(NEXT) | instid1(VALU_DEP_1)
	v_fmac_f32_e32 v29, v32, v28
	v_add_f32_e32 v34, v33, v29
	s_delay_alu instid0(VALU_DEP_1) | instskip(SKIP_1) | instid1(VALU_DEP_2)
	v_sub_f32_e32 v35, v31, v34
	v_sub_f32_e32 v27, v34, v33
	;; [unrolled: 1-line block ×3, first 2 shown]
	s_delay_alu instid0(VALU_DEP_2) | instskip(NEXT) | instid1(VALU_DEP_2)
	v_sub_f32_e32 v27, v27, v29
	v_sub_f32_e32 v31, v31, v34
	s_delay_alu instid0(VALU_DEP_1) | instskip(NEXT) | instid1(VALU_DEP_1)
	v_add_f32_e32 v24, v24, v31
	v_add_f32_e32 v24, v27, v24
	s_delay_alu instid0(VALU_DEP_1) | instskip(NEXT) | instid1(VALU_DEP_1)
	v_add_f32_e32 v27, v35, v24
	v_mul_f32_e32 v29, v26, v27
	s_delay_alu instid0(VALU_DEP_1) | instskip(NEXT) | instid1(VALU_DEP_1)
	v_dual_sub_f32 v34, v35, v27 :: v_dual_mul_f32 v31, v30, v29
	v_add_f32_e32 v24, v24, v34
	s_delay_alu instid0(VALU_DEP_2) | instskip(NEXT) | instid1(VALU_DEP_1)
	v_fma_f32 v30, v29, v30, -v31
	v_fmac_f32_e32 v30, v29, v28
	s_delay_alu instid0(VALU_DEP_1) | instskip(NEXT) | instid1(VALU_DEP_1)
	v_add_f32_e32 v28, v31, v30
	v_sub_f32_e32 v33, v27, v28
	v_sub_f32_e32 v31, v28, v31
	s_delay_alu instid0(VALU_DEP_2) | instskip(NEXT) | instid1(VALU_DEP_1)
	v_sub_f32_e32 v27, v27, v33
	v_sub_f32_e32 v27, v27, v28
	s_delay_alu instid0(VALU_DEP_3) | instskip(NEXT) | instid1(VALU_DEP_2)
	v_sub_f32_e32 v28, v31, v30
	v_add_f32_e32 v24, v24, v27
	v_add_f32_e32 v27, v32, v29
	s_delay_alu instid0(VALU_DEP_2) | instskip(NEXT) | instid1(VALU_DEP_2)
	v_add_f32_e32 v24, v28, v24
	v_sub_f32_e32 v28, v27, v32
	s_delay_alu instid0(VALU_DEP_2) | instskip(NEXT) | instid1(VALU_DEP_2)
	v_add_f32_e32 v24, v33, v24
	v_sub_f32_e32 v28, v29, v28
	s_delay_alu instid0(VALU_DEP_2) | instskip(NEXT) | instid1(VALU_DEP_1)
	v_mul_f32_e32 v24, v26, v24
	v_add_f32_e32 v24, v28, v24
	s_delay_alu instid0(VALU_DEP_1) | instskip(NEXT) | instid1(VALU_DEP_1)
	v_add_f32_e32 v26, v27, v24
	v_mul_f32_e32 v28, v26, v26
	s_delay_alu instid0(VALU_DEP_1) | instskip(SKIP_2) | instid1(VALU_DEP_3)
	v_fmaak_f32 v29, s0, v28, 0x3ecc95a3
	v_mul_f32_e32 v30, v26, v28
	v_cmp_eq_f32_e64 s0, 0x7f800000, v25
	v_fmaak_f32 v28, v28, v29, 0x3f2aaada
	v_ldexp_f32 v29, v26, 1
	v_sub_f32_e32 v26, v26, v27
	s_delay_alu instid0(VALU_DEP_4) | instskip(NEXT) | instid1(VALU_DEP_3)
	s_or_b32 s0, s0, s23
	v_mul_f32_e32 v28, v30, v28
	v_mul_f32_e32 v30, 0x3f317218, v23
	s_delay_alu instid0(VALU_DEP_2) | instskip(NEXT) | instid1(VALU_DEP_1)
	v_dual_sub_f32 v24, v24, v26 :: v_dual_add_f32 v27, v29, v28
	v_ldexp_f32 v24, v24, 1
	s_delay_alu instid0(VALU_DEP_2) | instskip(NEXT) | instid1(VALU_DEP_4)
	v_sub_f32_e32 v26, v27, v29
	v_fma_f32 v29, 0x3f317218, v23, -v30
	s_delay_alu instid0(VALU_DEP_1) | instskip(NEXT) | instid1(VALU_DEP_1)
	v_dual_sub_f32 v26, v28, v26 :: v_dual_fmamk_f32 v23, v23, 0xb102e308, v29
	v_add_f32_e32 v24, v24, v26
	s_delay_alu instid0(VALU_DEP_2) | instskip(NEXT) | instid1(VALU_DEP_2)
	v_add_f32_e32 v26, v30, v23
	v_add_f32_e32 v28, v27, v24
	s_delay_alu instid0(VALU_DEP_2) | instskip(NEXT) | instid1(VALU_DEP_2)
	v_sub_f32_e32 v30, v26, v30
	v_add_f32_e32 v29, v26, v28
	v_sub_f32_e32 v27, v28, v27
	s_delay_alu instid0(VALU_DEP_3) | instskip(NEXT) | instid1(VALU_DEP_2)
	v_sub_f32_e32 v23, v23, v30
	v_dual_sub_f32 v31, v29, v26 :: v_dual_sub_f32 v24, v24, v27
	s_delay_alu instid0(VALU_DEP_1) | instskip(NEXT) | instid1(VALU_DEP_2)
	v_sub_f32_e32 v32, v29, v31
	v_dual_sub_f32 v27, v28, v31 :: v_dual_add_f32 v28, v23, v24
	s_delay_alu instid0(VALU_DEP_2) | instskip(NEXT) | instid1(VALU_DEP_1)
	v_sub_f32_e32 v26, v26, v32
	v_dual_add_f32 v26, v27, v26 :: v_dual_sub_f32 v27, v28, v23
	s_delay_alu instid0(VALU_DEP_1) | instskip(NEXT) | instid1(VALU_DEP_2)
	v_add_f32_e32 v26, v28, v26
	v_sub_f32_e32 v28, v28, v27
	v_sub_f32_e32 v24, v24, v27
	s_delay_alu instid0(VALU_DEP_2) | instskip(NEXT) | instid1(VALU_DEP_1)
	v_dual_add_f32 v30, v29, v26 :: v_dual_sub_f32 v23, v23, v28
	v_sub_f32_e32 v27, v30, v29
	s_delay_alu instid0(VALU_DEP_2) | instskip(NEXT) | instid1(VALU_DEP_2)
	v_add_f32_e32 v23, v24, v23
	v_sub_f32_e32 v24, v26, v27
	s_delay_alu instid0(VALU_DEP_1) | instskip(NEXT) | instid1(VALU_DEP_1)
	v_add_f32_e32 v23, v23, v24
	v_add_f32_e32 v23, v30, v23
	s_delay_alu instid0(VALU_DEP_1) | instskip(NEXT) | instid1(VALU_DEP_1)
	v_cndmask_b32_e64 v23, v23, v25, s0
	v_add_f32_e32 v23, v5, v23
.LBB471_160:
	s_or_b32 exec_lo, exec_lo, s1
	s_delay_alu instid0(VALU_DEP_1) | instskip(SKIP_1) | instid1(VALU_DEP_2)
	v_bfe_u32 v5, v23, 16, 1
	v_cmp_o_f32_e64 s0, v23, v23
	v_add3_u32 v5, v23, v5, 0x7fff
	s_delay_alu instid0(VALU_DEP_1) | instskip(NEXT) | instid1(VALU_DEP_1)
	v_lshrrev_b32_e32 v5, 16, v5
	v_cndmask_b32_e64 v5, 0x7fc0, v5, s0
	s_delay_alu instid0(VALU_DEP_1) | instskip(NEXT) | instid1(VALU_DEP_1)
	v_lshlrev_b32_e32 v24, 16, v5
	v_max_f32_e32 v23, v24, v24
	s_delay_alu instid0(VALU_DEP_1) | instskip(SKIP_2) | instid1(VALU_DEP_1)
	v_min_f32_e32 v25, v23, v44
	v_max_f32_e32 v23, v23, v44
	v_cmp_u_f32_e64 s0, v24, v24
	v_cndmask_b32_e64 v25, v25, v24, s0
	s_delay_alu instid0(VALU_DEP_3) | instskip(NEXT) | instid1(VALU_DEP_2)
	v_cndmask_b32_e64 v23, v23, v24, s0
	v_cndmask_b32_e64 v25, v25, v40, s43
	s_delay_alu instid0(VALU_DEP_2) | instskip(NEXT) | instid1(VALU_DEP_2)
	v_cndmask_b32_e64 v23, v23, v40, s43
	v_cmp_class_f32_e64 s1, v25, 0x1f8
	s_delay_alu instid0(VALU_DEP_2) | instskip(NEXT) | instid1(VALU_DEP_1)
	v_cmp_neq_f32_e64 s0, v25, v23
	s_or_b32 s0, s0, s1
	s_delay_alu instid0(SALU_CYCLE_1)
	s_and_saveexec_b32 s1, s0
	s_cbranch_execz .LBB471_162
; %bb.161:
	v_sub_f32_e32 v24, v25, v23
	s_delay_alu instid0(VALU_DEP_1) | instskip(SKIP_1) | instid1(VALU_DEP_2)
	v_mul_f32_e32 v25, 0x3fb8aa3b, v24
	v_cmp_ngt_f32_e64 s0, 0xc2ce8ed0, v24
	v_fma_f32 v26, 0x3fb8aa3b, v24, -v25
	v_rndne_f32_e32 v27, v25
	s_delay_alu instid0(VALU_DEP_1) | instskip(NEXT) | instid1(VALU_DEP_1)
	v_dual_fmamk_f32 v26, v24, 0x32a5705f, v26 :: v_dual_sub_f32 v25, v25, v27
	v_add_f32_e32 v25, v25, v26
	v_cvt_i32_f32_e32 v26, v27
	s_delay_alu instid0(VALU_DEP_2) | instskip(SKIP_2) | instid1(VALU_DEP_1)
	v_exp_f32_e32 v25, v25
	s_waitcnt_depctr 0xfff
	v_ldexp_f32 v25, v25, v26
	v_cndmask_b32_e64 v25, 0, v25, s0
	v_cmp_nlt_f32_e64 s0, 0x42b17218, v24
	s_delay_alu instid0(VALU_DEP_1) | instskip(NEXT) | instid1(VALU_DEP_1)
	v_cndmask_b32_e64 v26, 0x7f800000, v25, s0
	v_add_f32_e32 v27, 1.0, v26
	v_cmp_gt_f32_e64 s23, 0x33800000, |v26|
	s_delay_alu instid0(VALU_DEP_2) | instskip(NEXT) | instid1(VALU_DEP_1)
	v_cvt_f64_f32_e32 v[24:25], v27
	v_frexp_exp_i32_f64_e32 v24, v[24:25]
	v_frexp_mant_f32_e32 v25, v27
	s_delay_alu instid0(VALU_DEP_1) | instskip(SKIP_1) | instid1(VALU_DEP_1)
	v_cmp_gt_f32_e64 s0, 0x3f2aaaab, v25
	v_add_f32_e32 v25, -1.0, v27
	v_sub_f32_e32 v29, v25, v27
	v_sub_f32_e32 v25, v26, v25
	s_delay_alu instid0(VALU_DEP_4) | instskip(SKIP_1) | instid1(VALU_DEP_1)
	v_subrev_co_ci_u32_e64 v24, s0, 0, v24, s0
	s_mov_b32 s0, 0x3e9b6dac
	v_sub_nc_u32_e32 v28, 0, v24
	v_cvt_f32_i32_e32 v24, v24
	s_delay_alu instid0(VALU_DEP_2) | instskip(NEXT) | instid1(VALU_DEP_1)
	v_ldexp_f32 v27, v27, v28
	v_dual_add_f32 v30, 1.0, v27 :: v_dual_add_f32 v29, 1.0, v29
	s_delay_alu instid0(VALU_DEP_1) | instskip(NEXT) | instid1(VALU_DEP_2)
	v_add_f32_e32 v25, v25, v29
	v_add_f32_e32 v29, -1.0, v30
	s_delay_alu instid0(VALU_DEP_2) | instskip(NEXT) | instid1(VALU_DEP_2)
	v_ldexp_f32 v25, v25, v28
	v_dual_add_f32 v28, -1.0, v27 :: v_dual_sub_f32 v29, v27, v29
	s_delay_alu instid0(VALU_DEP_1) | instskip(NEXT) | instid1(VALU_DEP_2)
	v_add_f32_e32 v31, 1.0, v28
	v_add_f32_e32 v29, v25, v29
	s_delay_alu instid0(VALU_DEP_2) | instskip(NEXT) | instid1(VALU_DEP_2)
	v_sub_f32_e32 v27, v27, v31
	v_add_f32_e32 v31, v30, v29
	s_delay_alu instid0(VALU_DEP_2) | instskip(NEXT) | instid1(VALU_DEP_2)
	v_add_f32_e32 v25, v25, v27
	v_rcp_f32_e32 v27, v31
	v_sub_f32_e32 v30, v30, v31
	s_delay_alu instid0(VALU_DEP_1) | instskip(NEXT) | instid1(VALU_DEP_1)
	v_dual_add_f32 v32, v28, v25 :: v_dual_add_f32 v29, v29, v30
	v_sub_f32_e32 v28, v28, v32
	s_waitcnt_depctr 0xfff
	v_mul_f32_e32 v33, v32, v27
	s_delay_alu instid0(VALU_DEP_1) | instskip(NEXT) | instid1(VALU_DEP_1)
	v_dual_add_f32 v25, v25, v28 :: v_dual_mul_f32 v34, v31, v33
	v_fma_f32 v30, v33, v31, -v34
	s_delay_alu instid0(VALU_DEP_1) | instskip(NEXT) | instid1(VALU_DEP_1)
	v_fmac_f32_e32 v30, v33, v29
	v_add_f32_e32 v35, v34, v30
	s_delay_alu instid0(VALU_DEP_1) | instskip(SKIP_1) | instid1(VALU_DEP_2)
	v_sub_f32_e32 v36, v32, v35
	v_sub_f32_e32 v28, v35, v34
	;; [unrolled: 1-line block ×3, first 2 shown]
	s_delay_alu instid0(VALU_DEP_2) | instskip(NEXT) | instid1(VALU_DEP_2)
	v_sub_f32_e32 v28, v28, v30
	v_sub_f32_e32 v32, v32, v35
	s_delay_alu instid0(VALU_DEP_1) | instskip(NEXT) | instid1(VALU_DEP_1)
	v_add_f32_e32 v25, v25, v32
	v_add_f32_e32 v25, v28, v25
	s_delay_alu instid0(VALU_DEP_1) | instskip(NEXT) | instid1(VALU_DEP_1)
	v_add_f32_e32 v28, v36, v25
	v_mul_f32_e32 v30, v27, v28
	s_delay_alu instid0(VALU_DEP_1) | instskip(NEXT) | instid1(VALU_DEP_1)
	v_dual_sub_f32 v35, v36, v28 :: v_dual_mul_f32 v32, v31, v30
	v_add_f32_e32 v25, v25, v35
	s_delay_alu instid0(VALU_DEP_2) | instskip(NEXT) | instid1(VALU_DEP_1)
	v_fma_f32 v31, v30, v31, -v32
	v_fmac_f32_e32 v31, v30, v29
	s_delay_alu instid0(VALU_DEP_1) | instskip(NEXT) | instid1(VALU_DEP_1)
	v_add_f32_e32 v29, v32, v31
	v_sub_f32_e32 v34, v28, v29
	v_sub_f32_e32 v32, v29, v32
	s_delay_alu instid0(VALU_DEP_2) | instskip(NEXT) | instid1(VALU_DEP_1)
	v_sub_f32_e32 v28, v28, v34
	v_sub_f32_e32 v28, v28, v29
	s_delay_alu instid0(VALU_DEP_3) | instskip(NEXT) | instid1(VALU_DEP_2)
	v_sub_f32_e32 v29, v32, v31
	v_add_f32_e32 v25, v25, v28
	v_add_f32_e32 v28, v33, v30
	s_delay_alu instid0(VALU_DEP_2) | instskip(NEXT) | instid1(VALU_DEP_2)
	v_add_f32_e32 v25, v29, v25
	v_sub_f32_e32 v29, v28, v33
	s_delay_alu instid0(VALU_DEP_2) | instskip(NEXT) | instid1(VALU_DEP_2)
	v_add_f32_e32 v25, v34, v25
	v_sub_f32_e32 v29, v30, v29
	s_delay_alu instid0(VALU_DEP_2) | instskip(NEXT) | instid1(VALU_DEP_1)
	v_mul_f32_e32 v25, v27, v25
	v_add_f32_e32 v25, v29, v25
	s_delay_alu instid0(VALU_DEP_1) | instskip(NEXT) | instid1(VALU_DEP_1)
	v_add_f32_e32 v27, v28, v25
	v_mul_f32_e32 v29, v27, v27
	s_delay_alu instid0(VALU_DEP_1) | instskip(SKIP_2) | instid1(VALU_DEP_3)
	v_fmaak_f32 v30, s0, v29, 0x3ecc95a3
	v_mul_f32_e32 v31, v27, v29
	v_cmp_eq_f32_e64 s0, 0x7f800000, v26
	v_fmaak_f32 v29, v29, v30, 0x3f2aaada
	v_ldexp_f32 v30, v27, 1
	v_sub_f32_e32 v27, v27, v28
	s_delay_alu instid0(VALU_DEP_4) | instskip(NEXT) | instid1(VALU_DEP_3)
	s_or_b32 s0, s0, s23
	v_mul_f32_e32 v29, v31, v29
	v_mul_f32_e32 v31, 0x3f317218, v24
	s_delay_alu instid0(VALU_DEP_2) | instskip(NEXT) | instid1(VALU_DEP_1)
	v_dual_sub_f32 v25, v25, v27 :: v_dual_add_f32 v28, v30, v29
	v_ldexp_f32 v25, v25, 1
	s_delay_alu instid0(VALU_DEP_2) | instskip(NEXT) | instid1(VALU_DEP_4)
	v_sub_f32_e32 v27, v28, v30
	v_fma_f32 v30, 0x3f317218, v24, -v31
	s_delay_alu instid0(VALU_DEP_1) | instskip(NEXT) | instid1(VALU_DEP_1)
	v_dual_sub_f32 v27, v29, v27 :: v_dual_fmamk_f32 v24, v24, 0xb102e308, v30
	v_add_f32_e32 v25, v25, v27
	s_delay_alu instid0(VALU_DEP_2) | instskip(NEXT) | instid1(VALU_DEP_2)
	v_add_f32_e32 v27, v31, v24
	v_add_f32_e32 v29, v28, v25
	s_delay_alu instid0(VALU_DEP_2) | instskip(NEXT) | instid1(VALU_DEP_2)
	v_sub_f32_e32 v31, v27, v31
	v_add_f32_e32 v30, v27, v29
	v_sub_f32_e32 v28, v29, v28
	s_delay_alu instid0(VALU_DEP_3) | instskip(NEXT) | instid1(VALU_DEP_2)
	v_sub_f32_e32 v24, v24, v31
	v_dual_sub_f32 v32, v30, v27 :: v_dual_sub_f32 v25, v25, v28
	s_delay_alu instid0(VALU_DEP_1) | instskip(NEXT) | instid1(VALU_DEP_2)
	v_sub_f32_e32 v33, v30, v32
	v_dual_sub_f32 v28, v29, v32 :: v_dual_add_f32 v29, v24, v25
	s_delay_alu instid0(VALU_DEP_2) | instskip(NEXT) | instid1(VALU_DEP_1)
	v_sub_f32_e32 v27, v27, v33
	v_dual_add_f32 v27, v28, v27 :: v_dual_sub_f32 v28, v29, v24
	s_delay_alu instid0(VALU_DEP_1) | instskip(NEXT) | instid1(VALU_DEP_2)
	v_add_f32_e32 v27, v29, v27
	v_sub_f32_e32 v29, v29, v28
	v_sub_f32_e32 v25, v25, v28
	s_delay_alu instid0(VALU_DEP_2) | instskip(NEXT) | instid1(VALU_DEP_1)
	v_dual_add_f32 v31, v30, v27 :: v_dual_sub_f32 v24, v24, v29
	v_sub_f32_e32 v28, v31, v30
	s_delay_alu instid0(VALU_DEP_2) | instskip(NEXT) | instid1(VALU_DEP_2)
	v_add_f32_e32 v24, v25, v24
	v_sub_f32_e32 v25, v27, v28
	s_delay_alu instid0(VALU_DEP_1) | instskip(NEXT) | instid1(VALU_DEP_1)
	v_add_f32_e32 v24, v24, v25
	v_add_f32_e32 v24, v31, v24
	s_delay_alu instid0(VALU_DEP_1) | instskip(NEXT) | instid1(VALU_DEP_1)
	v_cndmask_b32_e64 v24, v24, v26, s0
	v_add_f32_e32 v24, v23, v24
.LBB471_162:
	s_or_b32 exec_lo, exec_lo, s1
	s_delay_alu instid0(VALU_DEP_1) | instskip(SKIP_1) | instid1(VALU_DEP_2)
	v_bfe_u32 v23, v24, 16, 1
	v_cmp_o_f32_e64 s0, v24, v24
	v_add3_u32 v23, v24, v23, 0x7fff
	s_delay_alu instid0(VALU_DEP_1) | instskip(NEXT) | instid1(VALU_DEP_1)
	v_lshrrev_b32_e32 v23, 16, v23
	v_cndmask_b32_e64 v23, 0x7fc0, v23, s0
	s_delay_alu instid0(VALU_DEP_1) | instskip(NEXT) | instid1(VALU_DEP_1)
	v_lshlrev_b32_e32 v25, 16, v23
	v_max_f32_e32 v24, v25, v25
	s_delay_alu instid0(VALU_DEP_1) | instskip(SKIP_2) | instid1(VALU_DEP_1)
	v_min_f32_e32 v26, v24, v45
	v_max_f32_e32 v24, v24, v45
	v_cmp_u_f32_e64 s0, v25, v25
	v_cndmask_b32_e64 v26, v26, v25, s0
	s_delay_alu instid0(VALU_DEP_3) | instskip(NEXT) | instid1(VALU_DEP_2)
	v_cndmask_b32_e64 v24, v24, v25, s0
	v_cndmask_b32_e64 v26, v26, v42, s44
	s_delay_alu instid0(VALU_DEP_2) | instskip(NEXT) | instid1(VALU_DEP_2)
	v_cndmask_b32_e64 v24, v24, v42, s44
	v_cmp_class_f32_e64 s1, v26, 0x1f8
	s_delay_alu instid0(VALU_DEP_2) | instskip(NEXT) | instid1(VALU_DEP_1)
	v_cmp_neq_f32_e64 s0, v26, v24
	s_or_b32 s0, s0, s1
	s_delay_alu instid0(SALU_CYCLE_1)
	s_and_saveexec_b32 s1, s0
	s_cbranch_execz .LBB471_164
; %bb.163:
	v_sub_f32_e32 v25, v26, v24
	s_delay_alu instid0(VALU_DEP_1) | instskip(SKIP_1) | instid1(VALU_DEP_2)
	v_mul_f32_e32 v26, 0x3fb8aa3b, v25
	v_cmp_ngt_f32_e64 s0, 0xc2ce8ed0, v25
	v_fma_f32 v27, 0x3fb8aa3b, v25, -v26
	v_rndne_f32_e32 v28, v26
	s_delay_alu instid0(VALU_DEP_1) | instskip(NEXT) | instid1(VALU_DEP_1)
	v_dual_fmamk_f32 v27, v25, 0x32a5705f, v27 :: v_dual_sub_f32 v26, v26, v28
	v_add_f32_e32 v26, v26, v27
	v_cvt_i32_f32_e32 v27, v28
	s_delay_alu instid0(VALU_DEP_2) | instskip(SKIP_2) | instid1(VALU_DEP_1)
	v_exp_f32_e32 v26, v26
	s_waitcnt_depctr 0xfff
	v_ldexp_f32 v26, v26, v27
	v_cndmask_b32_e64 v26, 0, v26, s0
	v_cmp_nlt_f32_e64 s0, 0x42b17218, v25
	s_delay_alu instid0(VALU_DEP_1) | instskip(NEXT) | instid1(VALU_DEP_1)
	v_cndmask_b32_e64 v27, 0x7f800000, v26, s0
	v_add_f32_e32 v28, 1.0, v27
	v_cmp_gt_f32_e64 s23, 0x33800000, |v27|
	s_delay_alu instid0(VALU_DEP_2) | instskip(NEXT) | instid1(VALU_DEP_1)
	v_cvt_f64_f32_e32 v[25:26], v28
	v_frexp_exp_i32_f64_e32 v25, v[25:26]
	v_frexp_mant_f32_e32 v26, v28
	s_delay_alu instid0(VALU_DEP_1) | instskip(SKIP_1) | instid1(VALU_DEP_1)
	v_cmp_gt_f32_e64 s0, 0x3f2aaaab, v26
	v_add_f32_e32 v26, -1.0, v28
	v_sub_f32_e32 v30, v26, v28
	v_sub_f32_e32 v26, v27, v26
	s_delay_alu instid0(VALU_DEP_4) | instskip(SKIP_1) | instid1(VALU_DEP_1)
	v_subrev_co_ci_u32_e64 v25, s0, 0, v25, s0
	s_mov_b32 s0, 0x3e9b6dac
	v_sub_nc_u32_e32 v29, 0, v25
	v_cvt_f32_i32_e32 v25, v25
	s_delay_alu instid0(VALU_DEP_2) | instskip(NEXT) | instid1(VALU_DEP_1)
	v_ldexp_f32 v28, v28, v29
	v_dual_add_f32 v31, 1.0, v28 :: v_dual_add_f32 v30, 1.0, v30
	s_delay_alu instid0(VALU_DEP_1) | instskip(NEXT) | instid1(VALU_DEP_2)
	v_add_f32_e32 v26, v26, v30
	v_add_f32_e32 v30, -1.0, v31
	s_delay_alu instid0(VALU_DEP_2) | instskip(NEXT) | instid1(VALU_DEP_2)
	v_ldexp_f32 v26, v26, v29
	v_dual_add_f32 v29, -1.0, v28 :: v_dual_sub_f32 v30, v28, v30
	s_delay_alu instid0(VALU_DEP_1) | instskip(NEXT) | instid1(VALU_DEP_2)
	v_add_f32_e32 v32, 1.0, v29
	v_add_f32_e32 v30, v26, v30
	s_delay_alu instid0(VALU_DEP_2) | instskip(NEXT) | instid1(VALU_DEP_2)
	v_sub_f32_e32 v28, v28, v32
	v_add_f32_e32 v32, v31, v30
	s_delay_alu instid0(VALU_DEP_2) | instskip(NEXT) | instid1(VALU_DEP_2)
	v_add_f32_e32 v26, v26, v28
	v_rcp_f32_e32 v28, v32
	v_sub_f32_e32 v31, v31, v32
	s_delay_alu instid0(VALU_DEP_1) | instskip(NEXT) | instid1(VALU_DEP_1)
	v_dual_add_f32 v33, v29, v26 :: v_dual_add_f32 v30, v30, v31
	v_sub_f32_e32 v29, v29, v33
	s_waitcnt_depctr 0xfff
	v_mul_f32_e32 v34, v33, v28
	s_delay_alu instid0(VALU_DEP_1) | instskip(NEXT) | instid1(VALU_DEP_1)
	v_dual_add_f32 v26, v26, v29 :: v_dual_mul_f32 v35, v32, v34
	v_fma_f32 v31, v34, v32, -v35
	s_delay_alu instid0(VALU_DEP_1) | instskip(NEXT) | instid1(VALU_DEP_1)
	v_fmac_f32_e32 v31, v34, v30
	v_add_f32_e32 v36, v35, v31
	s_delay_alu instid0(VALU_DEP_1) | instskip(SKIP_1) | instid1(VALU_DEP_2)
	v_sub_f32_e32 v37, v33, v36
	v_sub_f32_e32 v29, v36, v35
	;; [unrolled: 1-line block ×3, first 2 shown]
	s_delay_alu instid0(VALU_DEP_2) | instskip(NEXT) | instid1(VALU_DEP_2)
	v_sub_f32_e32 v29, v29, v31
	v_sub_f32_e32 v33, v33, v36
	s_delay_alu instid0(VALU_DEP_1) | instskip(NEXT) | instid1(VALU_DEP_1)
	v_add_f32_e32 v26, v26, v33
	v_add_f32_e32 v26, v29, v26
	s_delay_alu instid0(VALU_DEP_1) | instskip(NEXT) | instid1(VALU_DEP_1)
	v_add_f32_e32 v29, v37, v26
	v_mul_f32_e32 v31, v28, v29
	s_delay_alu instid0(VALU_DEP_1) | instskip(NEXT) | instid1(VALU_DEP_1)
	v_dual_sub_f32 v36, v37, v29 :: v_dual_mul_f32 v33, v32, v31
	v_add_f32_e32 v26, v26, v36
	s_delay_alu instid0(VALU_DEP_2) | instskip(NEXT) | instid1(VALU_DEP_1)
	v_fma_f32 v32, v31, v32, -v33
	v_fmac_f32_e32 v32, v31, v30
	s_delay_alu instid0(VALU_DEP_1) | instskip(NEXT) | instid1(VALU_DEP_1)
	v_add_f32_e32 v30, v33, v32
	v_sub_f32_e32 v35, v29, v30
	v_sub_f32_e32 v33, v30, v33
	s_delay_alu instid0(VALU_DEP_2) | instskip(NEXT) | instid1(VALU_DEP_1)
	v_sub_f32_e32 v29, v29, v35
	v_sub_f32_e32 v29, v29, v30
	s_delay_alu instid0(VALU_DEP_3) | instskip(NEXT) | instid1(VALU_DEP_2)
	v_sub_f32_e32 v30, v33, v32
	v_add_f32_e32 v26, v26, v29
	v_add_f32_e32 v29, v34, v31
	s_delay_alu instid0(VALU_DEP_2) | instskip(NEXT) | instid1(VALU_DEP_2)
	v_add_f32_e32 v26, v30, v26
	v_sub_f32_e32 v30, v29, v34
	s_delay_alu instid0(VALU_DEP_2) | instskip(NEXT) | instid1(VALU_DEP_2)
	v_add_f32_e32 v26, v35, v26
	v_sub_f32_e32 v30, v31, v30
	s_delay_alu instid0(VALU_DEP_2) | instskip(NEXT) | instid1(VALU_DEP_1)
	v_mul_f32_e32 v26, v28, v26
	v_add_f32_e32 v26, v30, v26
	s_delay_alu instid0(VALU_DEP_1) | instskip(NEXT) | instid1(VALU_DEP_1)
	v_add_f32_e32 v28, v29, v26
	v_mul_f32_e32 v30, v28, v28
	s_delay_alu instid0(VALU_DEP_1) | instskip(SKIP_2) | instid1(VALU_DEP_3)
	v_fmaak_f32 v31, s0, v30, 0x3ecc95a3
	v_mul_f32_e32 v32, v28, v30
	v_cmp_eq_f32_e64 s0, 0x7f800000, v27
	v_fmaak_f32 v30, v30, v31, 0x3f2aaada
	v_ldexp_f32 v31, v28, 1
	v_sub_f32_e32 v28, v28, v29
	s_delay_alu instid0(VALU_DEP_4) | instskip(NEXT) | instid1(VALU_DEP_3)
	s_or_b32 s0, s0, s23
	v_mul_f32_e32 v30, v32, v30
	v_mul_f32_e32 v32, 0x3f317218, v25
	s_delay_alu instid0(VALU_DEP_2) | instskip(NEXT) | instid1(VALU_DEP_1)
	v_dual_sub_f32 v26, v26, v28 :: v_dual_add_f32 v29, v31, v30
	v_ldexp_f32 v26, v26, 1
	s_delay_alu instid0(VALU_DEP_2) | instskip(NEXT) | instid1(VALU_DEP_4)
	v_sub_f32_e32 v28, v29, v31
	v_fma_f32 v31, 0x3f317218, v25, -v32
	s_delay_alu instid0(VALU_DEP_1) | instskip(NEXT) | instid1(VALU_DEP_1)
	v_dual_sub_f32 v28, v30, v28 :: v_dual_fmamk_f32 v25, v25, 0xb102e308, v31
	v_add_f32_e32 v26, v26, v28
	s_delay_alu instid0(VALU_DEP_2) | instskip(NEXT) | instid1(VALU_DEP_2)
	v_add_f32_e32 v28, v32, v25
	v_add_f32_e32 v30, v29, v26
	s_delay_alu instid0(VALU_DEP_2) | instskip(NEXT) | instid1(VALU_DEP_2)
	v_sub_f32_e32 v32, v28, v32
	v_add_f32_e32 v31, v28, v30
	v_sub_f32_e32 v29, v30, v29
	s_delay_alu instid0(VALU_DEP_3) | instskip(NEXT) | instid1(VALU_DEP_2)
	v_sub_f32_e32 v25, v25, v32
	v_dual_sub_f32 v33, v31, v28 :: v_dual_sub_f32 v26, v26, v29
	s_delay_alu instid0(VALU_DEP_1) | instskip(NEXT) | instid1(VALU_DEP_2)
	v_sub_f32_e32 v34, v31, v33
	v_dual_sub_f32 v29, v30, v33 :: v_dual_add_f32 v30, v25, v26
	s_delay_alu instid0(VALU_DEP_2) | instskip(NEXT) | instid1(VALU_DEP_1)
	v_sub_f32_e32 v28, v28, v34
	v_dual_add_f32 v28, v29, v28 :: v_dual_sub_f32 v29, v30, v25
	s_delay_alu instid0(VALU_DEP_1) | instskip(NEXT) | instid1(VALU_DEP_2)
	v_add_f32_e32 v28, v30, v28
	v_sub_f32_e32 v30, v30, v29
	v_sub_f32_e32 v26, v26, v29
	s_delay_alu instid0(VALU_DEP_2) | instskip(NEXT) | instid1(VALU_DEP_1)
	v_dual_add_f32 v32, v31, v28 :: v_dual_sub_f32 v25, v25, v30
	v_sub_f32_e32 v29, v32, v31
	s_delay_alu instid0(VALU_DEP_2) | instskip(NEXT) | instid1(VALU_DEP_2)
	v_add_f32_e32 v25, v26, v25
	v_sub_f32_e32 v26, v28, v29
	s_delay_alu instid0(VALU_DEP_1) | instskip(NEXT) | instid1(VALU_DEP_1)
	v_add_f32_e32 v25, v25, v26
	v_add_f32_e32 v25, v32, v25
	s_delay_alu instid0(VALU_DEP_1) | instskip(NEXT) | instid1(VALU_DEP_1)
	v_cndmask_b32_e64 v25, v25, v27, s0
	v_add_f32_e32 v25, v24, v25
.LBB471_164:
	s_or_b32 exec_lo, exec_lo, s1
	s_delay_alu instid0(VALU_DEP_1)
	v_bfe_u32 v24, v25, 16, 1
	v_perm_b32 v2, v13, v2, 0x5040100
	v_cmp_o_f32_e64 s0, v25, v25
	v_add_nc_u32_e32 v26, v12, v50
	v_perm_b32 v3, v3, v14, 0x5040100
	v_add3_u32 v24, v25, v24, 0x7fff
	v_perm_b32 v11, v11, v16, 0x5040100
	v_perm_b32 v10, v10, v15, 0x5040100
	;; [unrolled: 1-line block ×4, first 2 shown]
	v_lshrrev_b32_e32 v13, 16, v24
	v_perm_b32 v7, v7, v20, 0x5040100
	v_perm_b32 v6, v6, v19, 0x5040100
	;; [unrolled: 1-line block ×4, first 2 shown]
	v_cndmask_b32_e64 v13, 0x7fc0, v13, s0
	s_waitcnt lgkmcnt(0)
	s_barrier
	buffer_gl0_inv
	v_lshlrev_b64 v[0:1], 1, v[0:1]
	v_perm_b32 v13, v13, v23, 0x5040100
	ds_store_2addr_b32 v26, v2, v3 offset1:1
	ds_store_2addr_b32 v26, v10, v11 offset0:2 offset1:3
	ds_store_2addr_b32 v26, v8, v9 offset0:4 offset1:5
	;; [unrolled: 1-line block ×4, first 2 shown]
	ds_store_b32 v26, v13 offset:40
	s_waitcnt lgkmcnt(0)
	s_barrier
	buffer_gl0_inv
	ds_load_u16 v23, v12 offset:128
	ds_load_u16 v22, v12 offset:256
	ds_load_u16 v21, v12 offset:384
	ds_load_u16 v20, v12 offset:512
	ds_load_u16 v19, v12 offset:640
	ds_load_u16 v18, v12 offset:768
	ds_load_u16 v17, v12 offset:896
	ds_load_u16 v16, v12 offset:1024
	ds_load_u16 v15, v12 offset:1152
	ds_load_u16 v14, v12 offset:1280
	ds_load_u16 v13, v12 offset:1408
	ds_load_u16 v11, v12 offset:1536
	ds_load_u16 v10, v12 offset:1664
	ds_load_u16 v9, v12 offset:1792
	ds_load_u16 v8, v12 offset:1920
	ds_load_u16 v7, v12 offset:2048
	ds_load_u16 v6, v12 offset:2176
	ds_load_u16 v5, v12 offset:2304
	ds_load_u16 v4, v12 offset:2432
	ds_load_u16 v3, v12 offset:2560
	ds_load_u16 v2, v12 offset:2688
	v_add_co_u32 v0, s0, s46, v0
	s_delay_alu instid0(VALU_DEP_1)
	v_add_co_ci_u32_e64 v1, s0, s47, v1, s0
	s_and_saveexec_b32 s0, vcc_lo
	s_cbranch_execnz .LBB471_187
; %bb.165:
	s_or_b32 exec_lo, exec_lo, s0
	s_and_saveexec_b32 s0, s2
	s_cbranch_execnz .LBB471_188
.LBB471_166:
	s_or_b32 exec_lo, exec_lo, s0
	s_and_saveexec_b32 s0, s3
	s_cbranch_execnz .LBB471_189
.LBB471_167:
	s_or_b32 exec_lo, exec_lo, s0
	s_and_saveexec_b32 s0, s4
	s_cbranch_execnz .LBB471_190
.LBB471_168:
	s_or_b32 exec_lo, exec_lo, s0
	s_and_saveexec_b32 s0, s5
	s_cbranch_execnz .LBB471_191
.LBB471_169:
	s_or_b32 exec_lo, exec_lo, s0
	s_and_saveexec_b32 s0, s6
	s_cbranch_execnz .LBB471_192
.LBB471_170:
	s_or_b32 exec_lo, exec_lo, s0
	s_and_saveexec_b32 s0, s7
	s_cbranch_execnz .LBB471_193
.LBB471_171:
	s_or_b32 exec_lo, exec_lo, s0
	s_and_saveexec_b32 s0, s8
	s_cbranch_execnz .LBB471_194
.LBB471_172:
	s_or_b32 exec_lo, exec_lo, s0
	s_and_saveexec_b32 s0, s9
	s_cbranch_execnz .LBB471_195
.LBB471_173:
	s_or_b32 exec_lo, exec_lo, s0
	s_and_saveexec_b32 s0, s10
	s_cbranch_execnz .LBB471_196
.LBB471_174:
	s_or_b32 exec_lo, exec_lo, s0
	s_and_saveexec_b32 s0, s11
	s_cbranch_execnz .LBB471_197
.LBB471_175:
	s_or_b32 exec_lo, exec_lo, s0
	s_and_saveexec_b32 s0, s12
	s_cbranch_execnz .LBB471_198
.LBB471_176:
	s_or_b32 exec_lo, exec_lo, s0
	s_and_saveexec_b32 s0, s13
	s_cbranch_execnz .LBB471_199
.LBB471_177:
	s_or_b32 exec_lo, exec_lo, s0
	s_and_saveexec_b32 s0, s14
	s_cbranch_execnz .LBB471_200
.LBB471_178:
	s_or_b32 exec_lo, exec_lo, s0
	s_and_saveexec_b32 s0, s15
	s_cbranch_execnz .LBB471_201
.LBB471_179:
	s_or_b32 exec_lo, exec_lo, s0
	s_and_saveexec_b32 s0, s16
	s_cbranch_execnz .LBB471_202
.LBB471_180:
	s_or_b32 exec_lo, exec_lo, s0
	s_and_saveexec_b32 s0, s17
	s_cbranch_execnz .LBB471_203
.LBB471_181:
	s_or_b32 exec_lo, exec_lo, s0
	s_and_saveexec_b32 s0, s18
	s_cbranch_execnz .LBB471_204
.LBB471_182:
	s_or_b32 exec_lo, exec_lo, s0
	s_and_saveexec_b32 s0, s19
	s_cbranch_execnz .LBB471_205
.LBB471_183:
	s_or_b32 exec_lo, exec_lo, s0
	s_and_saveexec_b32 s0, s20
	s_cbranch_execnz .LBB471_206
.LBB471_184:
	s_or_b32 exec_lo, exec_lo, s0
	s_and_saveexec_b32 s0, s21
	s_cbranch_execnz .LBB471_207
.LBB471_185:
	s_or_b32 exec_lo, exec_lo, s0
	s_and_saveexec_b32 s0, s22
	s_cbranch_execnz .LBB471_208
.LBB471_186:
	s_nop 0
	s_sendmsg sendmsg(MSG_DEALLOC_VGPRS)
	s_endpgm
.LBB471_187:
	ds_load_u16 v12, v12
	s_waitcnt lgkmcnt(0)
	global_store_b16 v[0:1], v12, off
	s_or_b32 exec_lo, exec_lo, s0
	s_and_saveexec_b32 s0, s2
	s_cbranch_execz .LBB471_166
.LBB471_188:
	s_waitcnt lgkmcnt(20)
	global_store_b16 v[0:1], v23, off offset:128
	s_or_b32 exec_lo, exec_lo, s0
	s_and_saveexec_b32 s0, s3
	s_cbranch_execz .LBB471_167
.LBB471_189:
	s_waitcnt lgkmcnt(19)
	global_store_b16 v[0:1], v22, off offset:256
	s_or_b32 exec_lo, exec_lo, s0
	s_and_saveexec_b32 s0, s4
	s_cbranch_execz .LBB471_168
.LBB471_190:
	s_waitcnt lgkmcnt(18)
	global_store_b16 v[0:1], v21, off offset:384
	s_or_b32 exec_lo, exec_lo, s0
	s_and_saveexec_b32 s0, s5
	s_cbranch_execz .LBB471_169
.LBB471_191:
	s_waitcnt lgkmcnt(17)
	global_store_b16 v[0:1], v20, off offset:512
	s_or_b32 exec_lo, exec_lo, s0
	s_and_saveexec_b32 s0, s6
	s_cbranch_execz .LBB471_170
.LBB471_192:
	s_waitcnt lgkmcnt(16)
	global_store_b16 v[0:1], v19, off offset:640
	s_or_b32 exec_lo, exec_lo, s0
	s_and_saveexec_b32 s0, s7
	s_cbranch_execz .LBB471_171
.LBB471_193:
	s_waitcnt lgkmcnt(15)
	global_store_b16 v[0:1], v18, off offset:768
	s_or_b32 exec_lo, exec_lo, s0
	s_and_saveexec_b32 s0, s8
	s_cbranch_execz .LBB471_172
.LBB471_194:
	s_waitcnt lgkmcnt(14)
	global_store_b16 v[0:1], v17, off offset:896
	s_or_b32 exec_lo, exec_lo, s0
	s_and_saveexec_b32 s0, s9
	s_cbranch_execz .LBB471_173
.LBB471_195:
	s_waitcnt lgkmcnt(13)
	global_store_b16 v[0:1], v16, off offset:1024
	s_or_b32 exec_lo, exec_lo, s0
	s_and_saveexec_b32 s0, s10
	s_cbranch_execz .LBB471_174
.LBB471_196:
	s_waitcnt lgkmcnt(12)
	global_store_b16 v[0:1], v15, off offset:1152
	s_or_b32 exec_lo, exec_lo, s0
	s_and_saveexec_b32 s0, s11
	s_cbranch_execz .LBB471_175
.LBB471_197:
	s_waitcnt lgkmcnt(11)
	global_store_b16 v[0:1], v14, off offset:1280
	s_or_b32 exec_lo, exec_lo, s0
	s_and_saveexec_b32 s0, s12
	s_cbranch_execz .LBB471_176
.LBB471_198:
	s_waitcnt lgkmcnt(10)
	global_store_b16 v[0:1], v13, off offset:1408
	s_or_b32 exec_lo, exec_lo, s0
	s_and_saveexec_b32 s0, s13
	s_cbranch_execz .LBB471_177
.LBB471_199:
	s_waitcnt lgkmcnt(9)
	global_store_b16 v[0:1], v11, off offset:1536
	s_or_b32 exec_lo, exec_lo, s0
	s_and_saveexec_b32 s0, s14
	s_cbranch_execz .LBB471_178
.LBB471_200:
	s_waitcnt lgkmcnt(8)
	global_store_b16 v[0:1], v10, off offset:1664
	s_or_b32 exec_lo, exec_lo, s0
	s_and_saveexec_b32 s0, s15
	s_cbranch_execz .LBB471_179
.LBB471_201:
	s_waitcnt lgkmcnt(7)
	global_store_b16 v[0:1], v9, off offset:1792
	s_or_b32 exec_lo, exec_lo, s0
	s_and_saveexec_b32 s0, s16
	s_cbranch_execz .LBB471_180
.LBB471_202:
	s_waitcnt lgkmcnt(6)
	global_store_b16 v[0:1], v8, off offset:1920
	s_or_b32 exec_lo, exec_lo, s0
	s_and_saveexec_b32 s0, s17
	s_cbranch_execz .LBB471_181
.LBB471_203:
	s_waitcnt lgkmcnt(5)
	global_store_b16 v[0:1], v7, off offset:2048
	s_or_b32 exec_lo, exec_lo, s0
	s_and_saveexec_b32 s0, s18
	s_cbranch_execz .LBB471_182
.LBB471_204:
	s_waitcnt lgkmcnt(4)
	global_store_b16 v[0:1], v6, off offset:2176
	s_or_b32 exec_lo, exec_lo, s0
	s_and_saveexec_b32 s0, s19
	s_cbranch_execz .LBB471_183
.LBB471_205:
	s_waitcnt lgkmcnt(3)
	global_store_b16 v[0:1], v5, off offset:2304
	s_or_b32 exec_lo, exec_lo, s0
	s_and_saveexec_b32 s0, s20
	s_cbranch_execz .LBB471_184
.LBB471_206:
	s_waitcnt lgkmcnt(2)
	global_store_b16 v[0:1], v4, off offset:2432
	s_or_b32 exec_lo, exec_lo, s0
	s_and_saveexec_b32 s0, s21
	s_cbranch_execz .LBB471_185
.LBB471_207:
	s_waitcnt lgkmcnt(1)
	global_store_b16 v[0:1], v3, off offset:2560
	s_or_b32 exec_lo, exec_lo, s0
	s_and_saveexec_b32 s0, s22
	s_cbranch_execz .LBB471_186
.LBB471_208:
	s_waitcnt lgkmcnt(0)
	global_store_b16 v[0:1], v2, off offset:2688
	s_nop 0
	s_sendmsg sendmsg(MSG_DEALLOC_VGPRS)
	s_endpgm
	.section	.rodata,"a",@progbits
	.p2align	6, 0x0
	.amdhsa_kernel _ZN7rocprim17ROCPRIM_400000_NS6detail17trampoline_kernelINS0_14default_configENS1_20scan_config_selectorIN3c108BFloat16EEEZZNS1_9scan_implILNS1_25lookback_scan_determinismE0ELb0ELb0ES3_PKS6_PS6_S6_ZZZN2at6native31launch_logcumsumexp_cuda_kernelERKNSD_10TensorBaseESH_lENKUlvE_clEvENKUlvE4_clEvEUlS6_S6_E_S6_EEDaPvRmT3_T4_T5_mT6_P12ihipStream_tbENKUlT_T0_E_clISt17integral_constantIbLb0EESY_EEDaST_SU_EUlST_E0_NS1_11comp_targetILNS1_3genE9ELNS1_11target_archE1100ELNS1_3gpuE3ELNS1_3repE0EEENS1_30default_config_static_selectorELNS0_4arch9wavefront6targetE0EEEvT1_
		.amdhsa_group_segment_fixed_size 2816
		.amdhsa_private_segment_fixed_size 0
		.amdhsa_kernarg_size 32
		.amdhsa_user_sgpr_count 15
		.amdhsa_user_sgpr_dispatch_ptr 0
		.amdhsa_user_sgpr_queue_ptr 0
		.amdhsa_user_sgpr_kernarg_segment_ptr 1
		.amdhsa_user_sgpr_dispatch_id 0
		.amdhsa_user_sgpr_private_segment_size 0
		.amdhsa_wavefront_size32 1
		.amdhsa_uses_dynamic_stack 0
		.amdhsa_enable_private_segment 0
		.amdhsa_system_sgpr_workgroup_id_x 1
		.amdhsa_system_sgpr_workgroup_id_y 0
		.amdhsa_system_sgpr_workgroup_id_z 0
		.amdhsa_system_sgpr_workgroup_info 0
		.amdhsa_system_vgpr_workitem_id 0
		.amdhsa_next_free_vgpr 70
		.amdhsa_next_free_sgpr 52
		.amdhsa_reserve_vcc 1
		.amdhsa_float_round_mode_32 0
		.amdhsa_float_round_mode_16_64 0
		.amdhsa_float_denorm_mode_32 3
		.amdhsa_float_denorm_mode_16_64 3
		.amdhsa_dx10_clamp 1
		.amdhsa_ieee_mode 1
		.amdhsa_fp16_overflow 0
		.amdhsa_workgroup_processor_mode 1
		.amdhsa_memory_ordered 1
		.amdhsa_forward_progress 0
		.amdhsa_shared_vgpr_count 0
		.amdhsa_exception_fp_ieee_invalid_op 0
		.amdhsa_exception_fp_denorm_src 0
		.amdhsa_exception_fp_ieee_div_zero 0
		.amdhsa_exception_fp_ieee_overflow 0
		.amdhsa_exception_fp_ieee_underflow 0
		.amdhsa_exception_fp_ieee_inexact 0
		.amdhsa_exception_int_div_zero 0
	.end_amdhsa_kernel
	.section	.text._ZN7rocprim17ROCPRIM_400000_NS6detail17trampoline_kernelINS0_14default_configENS1_20scan_config_selectorIN3c108BFloat16EEEZZNS1_9scan_implILNS1_25lookback_scan_determinismE0ELb0ELb0ES3_PKS6_PS6_S6_ZZZN2at6native31launch_logcumsumexp_cuda_kernelERKNSD_10TensorBaseESH_lENKUlvE_clEvENKUlvE4_clEvEUlS6_S6_E_S6_EEDaPvRmT3_T4_T5_mT6_P12ihipStream_tbENKUlT_T0_E_clISt17integral_constantIbLb0EESY_EEDaST_SU_EUlST_E0_NS1_11comp_targetILNS1_3genE9ELNS1_11target_archE1100ELNS1_3gpuE3ELNS1_3repE0EEENS1_30default_config_static_selectorELNS0_4arch9wavefront6targetE0EEEvT1_,"axG",@progbits,_ZN7rocprim17ROCPRIM_400000_NS6detail17trampoline_kernelINS0_14default_configENS1_20scan_config_selectorIN3c108BFloat16EEEZZNS1_9scan_implILNS1_25lookback_scan_determinismE0ELb0ELb0ES3_PKS6_PS6_S6_ZZZN2at6native31launch_logcumsumexp_cuda_kernelERKNSD_10TensorBaseESH_lENKUlvE_clEvENKUlvE4_clEvEUlS6_S6_E_S6_EEDaPvRmT3_T4_T5_mT6_P12ihipStream_tbENKUlT_T0_E_clISt17integral_constantIbLb0EESY_EEDaST_SU_EUlST_E0_NS1_11comp_targetILNS1_3genE9ELNS1_11target_archE1100ELNS1_3gpuE3ELNS1_3repE0EEENS1_30default_config_static_selectorELNS0_4arch9wavefront6targetE0EEEvT1_,comdat
.Lfunc_end471:
	.size	_ZN7rocprim17ROCPRIM_400000_NS6detail17trampoline_kernelINS0_14default_configENS1_20scan_config_selectorIN3c108BFloat16EEEZZNS1_9scan_implILNS1_25lookback_scan_determinismE0ELb0ELb0ES3_PKS6_PS6_S6_ZZZN2at6native31launch_logcumsumexp_cuda_kernelERKNSD_10TensorBaseESH_lENKUlvE_clEvENKUlvE4_clEvEUlS6_S6_E_S6_EEDaPvRmT3_T4_T5_mT6_P12ihipStream_tbENKUlT_T0_E_clISt17integral_constantIbLb0EESY_EEDaST_SU_EUlST_E0_NS1_11comp_targetILNS1_3genE9ELNS1_11target_archE1100ELNS1_3gpuE3ELNS1_3repE0EEENS1_30default_config_static_selectorELNS0_4arch9wavefront6targetE0EEEvT1_, .Lfunc_end471-_ZN7rocprim17ROCPRIM_400000_NS6detail17trampoline_kernelINS0_14default_configENS1_20scan_config_selectorIN3c108BFloat16EEEZZNS1_9scan_implILNS1_25lookback_scan_determinismE0ELb0ELb0ES3_PKS6_PS6_S6_ZZZN2at6native31launch_logcumsumexp_cuda_kernelERKNSD_10TensorBaseESH_lENKUlvE_clEvENKUlvE4_clEvEUlS6_S6_E_S6_EEDaPvRmT3_T4_T5_mT6_P12ihipStream_tbENKUlT_T0_E_clISt17integral_constantIbLb0EESY_EEDaST_SU_EUlST_E0_NS1_11comp_targetILNS1_3genE9ELNS1_11target_archE1100ELNS1_3gpuE3ELNS1_3repE0EEENS1_30default_config_static_selectorELNS0_4arch9wavefront6targetE0EEEvT1_
                                        ; -- End function
	.section	.AMDGPU.csdata,"",@progbits
; Kernel info:
; codeLenInByte = 53412
; NumSgprs: 54
; NumVgprs: 70
; ScratchSize: 0
; MemoryBound: 0
; FloatMode: 240
; IeeeMode: 1
; LDSByteSize: 2816 bytes/workgroup (compile time only)
; SGPRBlocks: 6
; VGPRBlocks: 8
; NumSGPRsForWavesPerEU: 54
; NumVGPRsForWavesPerEU: 70
; Occupancy: 16
; WaveLimiterHint : 0
; COMPUTE_PGM_RSRC2:SCRATCH_EN: 0
; COMPUTE_PGM_RSRC2:USER_SGPR: 15
; COMPUTE_PGM_RSRC2:TRAP_HANDLER: 0
; COMPUTE_PGM_RSRC2:TGID_X_EN: 1
; COMPUTE_PGM_RSRC2:TGID_Y_EN: 0
; COMPUTE_PGM_RSRC2:TGID_Z_EN: 0
; COMPUTE_PGM_RSRC2:TIDIG_COMP_CNT: 0
	.section	.text._ZN7rocprim17ROCPRIM_400000_NS6detail17trampoline_kernelINS0_14default_configENS1_20scan_config_selectorIN3c108BFloat16EEEZZNS1_9scan_implILNS1_25lookback_scan_determinismE0ELb0ELb0ES3_PKS6_PS6_S6_ZZZN2at6native31launch_logcumsumexp_cuda_kernelERKNSD_10TensorBaseESH_lENKUlvE_clEvENKUlvE4_clEvEUlS6_S6_E_S6_EEDaPvRmT3_T4_T5_mT6_P12ihipStream_tbENKUlT_T0_E_clISt17integral_constantIbLb0EESY_EEDaST_SU_EUlST_E0_NS1_11comp_targetILNS1_3genE8ELNS1_11target_archE1030ELNS1_3gpuE2ELNS1_3repE0EEENS1_30default_config_static_selectorELNS0_4arch9wavefront6targetE0EEEvT1_,"axG",@progbits,_ZN7rocprim17ROCPRIM_400000_NS6detail17trampoline_kernelINS0_14default_configENS1_20scan_config_selectorIN3c108BFloat16EEEZZNS1_9scan_implILNS1_25lookback_scan_determinismE0ELb0ELb0ES3_PKS6_PS6_S6_ZZZN2at6native31launch_logcumsumexp_cuda_kernelERKNSD_10TensorBaseESH_lENKUlvE_clEvENKUlvE4_clEvEUlS6_S6_E_S6_EEDaPvRmT3_T4_T5_mT6_P12ihipStream_tbENKUlT_T0_E_clISt17integral_constantIbLb0EESY_EEDaST_SU_EUlST_E0_NS1_11comp_targetILNS1_3genE8ELNS1_11target_archE1030ELNS1_3gpuE2ELNS1_3repE0EEENS1_30default_config_static_selectorELNS0_4arch9wavefront6targetE0EEEvT1_,comdat
	.globl	_ZN7rocprim17ROCPRIM_400000_NS6detail17trampoline_kernelINS0_14default_configENS1_20scan_config_selectorIN3c108BFloat16EEEZZNS1_9scan_implILNS1_25lookback_scan_determinismE0ELb0ELb0ES3_PKS6_PS6_S6_ZZZN2at6native31launch_logcumsumexp_cuda_kernelERKNSD_10TensorBaseESH_lENKUlvE_clEvENKUlvE4_clEvEUlS6_S6_E_S6_EEDaPvRmT3_T4_T5_mT6_P12ihipStream_tbENKUlT_T0_E_clISt17integral_constantIbLb0EESY_EEDaST_SU_EUlST_E0_NS1_11comp_targetILNS1_3genE8ELNS1_11target_archE1030ELNS1_3gpuE2ELNS1_3repE0EEENS1_30default_config_static_selectorELNS0_4arch9wavefront6targetE0EEEvT1_ ; -- Begin function _ZN7rocprim17ROCPRIM_400000_NS6detail17trampoline_kernelINS0_14default_configENS1_20scan_config_selectorIN3c108BFloat16EEEZZNS1_9scan_implILNS1_25lookback_scan_determinismE0ELb0ELb0ES3_PKS6_PS6_S6_ZZZN2at6native31launch_logcumsumexp_cuda_kernelERKNSD_10TensorBaseESH_lENKUlvE_clEvENKUlvE4_clEvEUlS6_S6_E_S6_EEDaPvRmT3_T4_T5_mT6_P12ihipStream_tbENKUlT_T0_E_clISt17integral_constantIbLb0EESY_EEDaST_SU_EUlST_E0_NS1_11comp_targetILNS1_3genE8ELNS1_11target_archE1030ELNS1_3gpuE2ELNS1_3repE0EEENS1_30default_config_static_selectorELNS0_4arch9wavefront6targetE0EEEvT1_
	.p2align	8
	.type	_ZN7rocprim17ROCPRIM_400000_NS6detail17trampoline_kernelINS0_14default_configENS1_20scan_config_selectorIN3c108BFloat16EEEZZNS1_9scan_implILNS1_25lookback_scan_determinismE0ELb0ELb0ES3_PKS6_PS6_S6_ZZZN2at6native31launch_logcumsumexp_cuda_kernelERKNSD_10TensorBaseESH_lENKUlvE_clEvENKUlvE4_clEvEUlS6_S6_E_S6_EEDaPvRmT3_T4_T5_mT6_P12ihipStream_tbENKUlT_T0_E_clISt17integral_constantIbLb0EESY_EEDaST_SU_EUlST_E0_NS1_11comp_targetILNS1_3genE8ELNS1_11target_archE1030ELNS1_3gpuE2ELNS1_3repE0EEENS1_30default_config_static_selectorELNS0_4arch9wavefront6targetE0EEEvT1_,@function
_ZN7rocprim17ROCPRIM_400000_NS6detail17trampoline_kernelINS0_14default_configENS1_20scan_config_selectorIN3c108BFloat16EEEZZNS1_9scan_implILNS1_25lookback_scan_determinismE0ELb0ELb0ES3_PKS6_PS6_S6_ZZZN2at6native31launch_logcumsumexp_cuda_kernelERKNSD_10TensorBaseESH_lENKUlvE_clEvENKUlvE4_clEvEUlS6_S6_E_S6_EEDaPvRmT3_T4_T5_mT6_P12ihipStream_tbENKUlT_T0_E_clISt17integral_constantIbLb0EESY_EEDaST_SU_EUlST_E0_NS1_11comp_targetILNS1_3genE8ELNS1_11target_archE1030ELNS1_3gpuE2ELNS1_3repE0EEENS1_30default_config_static_selectorELNS0_4arch9wavefront6targetE0EEEvT1_: ; @_ZN7rocprim17ROCPRIM_400000_NS6detail17trampoline_kernelINS0_14default_configENS1_20scan_config_selectorIN3c108BFloat16EEEZZNS1_9scan_implILNS1_25lookback_scan_determinismE0ELb0ELb0ES3_PKS6_PS6_S6_ZZZN2at6native31launch_logcumsumexp_cuda_kernelERKNSD_10TensorBaseESH_lENKUlvE_clEvENKUlvE4_clEvEUlS6_S6_E_S6_EEDaPvRmT3_T4_T5_mT6_P12ihipStream_tbENKUlT_T0_E_clISt17integral_constantIbLb0EESY_EEDaST_SU_EUlST_E0_NS1_11comp_targetILNS1_3genE8ELNS1_11target_archE1030ELNS1_3gpuE2ELNS1_3repE0EEENS1_30default_config_static_selectorELNS0_4arch9wavefront6targetE0EEEvT1_
; %bb.0:
	.section	.rodata,"a",@progbits
	.p2align	6, 0x0
	.amdhsa_kernel _ZN7rocprim17ROCPRIM_400000_NS6detail17trampoline_kernelINS0_14default_configENS1_20scan_config_selectorIN3c108BFloat16EEEZZNS1_9scan_implILNS1_25lookback_scan_determinismE0ELb0ELb0ES3_PKS6_PS6_S6_ZZZN2at6native31launch_logcumsumexp_cuda_kernelERKNSD_10TensorBaseESH_lENKUlvE_clEvENKUlvE4_clEvEUlS6_S6_E_S6_EEDaPvRmT3_T4_T5_mT6_P12ihipStream_tbENKUlT_T0_E_clISt17integral_constantIbLb0EESY_EEDaST_SU_EUlST_E0_NS1_11comp_targetILNS1_3genE8ELNS1_11target_archE1030ELNS1_3gpuE2ELNS1_3repE0EEENS1_30default_config_static_selectorELNS0_4arch9wavefront6targetE0EEEvT1_
		.amdhsa_group_segment_fixed_size 0
		.amdhsa_private_segment_fixed_size 0
		.amdhsa_kernarg_size 32
		.amdhsa_user_sgpr_count 15
		.amdhsa_user_sgpr_dispatch_ptr 0
		.amdhsa_user_sgpr_queue_ptr 0
		.amdhsa_user_sgpr_kernarg_segment_ptr 1
		.amdhsa_user_sgpr_dispatch_id 0
		.amdhsa_user_sgpr_private_segment_size 0
		.amdhsa_wavefront_size32 1
		.amdhsa_uses_dynamic_stack 0
		.amdhsa_enable_private_segment 0
		.amdhsa_system_sgpr_workgroup_id_x 1
		.amdhsa_system_sgpr_workgroup_id_y 0
		.amdhsa_system_sgpr_workgroup_id_z 0
		.amdhsa_system_sgpr_workgroup_info 0
		.amdhsa_system_vgpr_workitem_id 0
		.amdhsa_next_free_vgpr 1
		.amdhsa_next_free_sgpr 1
		.amdhsa_reserve_vcc 0
		.amdhsa_float_round_mode_32 0
		.amdhsa_float_round_mode_16_64 0
		.amdhsa_float_denorm_mode_32 3
		.amdhsa_float_denorm_mode_16_64 3
		.amdhsa_dx10_clamp 1
		.amdhsa_ieee_mode 1
		.amdhsa_fp16_overflow 0
		.amdhsa_workgroup_processor_mode 1
		.amdhsa_memory_ordered 1
		.amdhsa_forward_progress 0
		.amdhsa_shared_vgpr_count 0
		.amdhsa_exception_fp_ieee_invalid_op 0
		.amdhsa_exception_fp_denorm_src 0
		.amdhsa_exception_fp_ieee_div_zero 0
		.amdhsa_exception_fp_ieee_overflow 0
		.amdhsa_exception_fp_ieee_underflow 0
		.amdhsa_exception_fp_ieee_inexact 0
		.amdhsa_exception_int_div_zero 0
	.end_amdhsa_kernel
	.section	.text._ZN7rocprim17ROCPRIM_400000_NS6detail17trampoline_kernelINS0_14default_configENS1_20scan_config_selectorIN3c108BFloat16EEEZZNS1_9scan_implILNS1_25lookback_scan_determinismE0ELb0ELb0ES3_PKS6_PS6_S6_ZZZN2at6native31launch_logcumsumexp_cuda_kernelERKNSD_10TensorBaseESH_lENKUlvE_clEvENKUlvE4_clEvEUlS6_S6_E_S6_EEDaPvRmT3_T4_T5_mT6_P12ihipStream_tbENKUlT_T0_E_clISt17integral_constantIbLb0EESY_EEDaST_SU_EUlST_E0_NS1_11comp_targetILNS1_3genE8ELNS1_11target_archE1030ELNS1_3gpuE2ELNS1_3repE0EEENS1_30default_config_static_selectorELNS0_4arch9wavefront6targetE0EEEvT1_,"axG",@progbits,_ZN7rocprim17ROCPRIM_400000_NS6detail17trampoline_kernelINS0_14default_configENS1_20scan_config_selectorIN3c108BFloat16EEEZZNS1_9scan_implILNS1_25lookback_scan_determinismE0ELb0ELb0ES3_PKS6_PS6_S6_ZZZN2at6native31launch_logcumsumexp_cuda_kernelERKNSD_10TensorBaseESH_lENKUlvE_clEvENKUlvE4_clEvEUlS6_S6_E_S6_EEDaPvRmT3_T4_T5_mT6_P12ihipStream_tbENKUlT_T0_E_clISt17integral_constantIbLb0EESY_EEDaST_SU_EUlST_E0_NS1_11comp_targetILNS1_3genE8ELNS1_11target_archE1030ELNS1_3gpuE2ELNS1_3repE0EEENS1_30default_config_static_selectorELNS0_4arch9wavefront6targetE0EEEvT1_,comdat
.Lfunc_end472:
	.size	_ZN7rocprim17ROCPRIM_400000_NS6detail17trampoline_kernelINS0_14default_configENS1_20scan_config_selectorIN3c108BFloat16EEEZZNS1_9scan_implILNS1_25lookback_scan_determinismE0ELb0ELb0ES3_PKS6_PS6_S6_ZZZN2at6native31launch_logcumsumexp_cuda_kernelERKNSD_10TensorBaseESH_lENKUlvE_clEvENKUlvE4_clEvEUlS6_S6_E_S6_EEDaPvRmT3_T4_T5_mT6_P12ihipStream_tbENKUlT_T0_E_clISt17integral_constantIbLb0EESY_EEDaST_SU_EUlST_E0_NS1_11comp_targetILNS1_3genE8ELNS1_11target_archE1030ELNS1_3gpuE2ELNS1_3repE0EEENS1_30default_config_static_selectorELNS0_4arch9wavefront6targetE0EEEvT1_, .Lfunc_end472-_ZN7rocprim17ROCPRIM_400000_NS6detail17trampoline_kernelINS0_14default_configENS1_20scan_config_selectorIN3c108BFloat16EEEZZNS1_9scan_implILNS1_25lookback_scan_determinismE0ELb0ELb0ES3_PKS6_PS6_S6_ZZZN2at6native31launch_logcumsumexp_cuda_kernelERKNSD_10TensorBaseESH_lENKUlvE_clEvENKUlvE4_clEvEUlS6_S6_E_S6_EEDaPvRmT3_T4_T5_mT6_P12ihipStream_tbENKUlT_T0_E_clISt17integral_constantIbLb0EESY_EEDaST_SU_EUlST_E0_NS1_11comp_targetILNS1_3genE8ELNS1_11target_archE1030ELNS1_3gpuE2ELNS1_3repE0EEENS1_30default_config_static_selectorELNS0_4arch9wavefront6targetE0EEEvT1_
                                        ; -- End function
	.section	.AMDGPU.csdata,"",@progbits
; Kernel info:
; codeLenInByte = 0
; NumSgprs: 0
; NumVgprs: 0
; ScratchSize: 0
; MemoryBound: 0
; FloatMode: 240
; IeeeMode: 1
; LDSByteSize: 0 bytes/workgroup (compile time only)
; SGPRBlocks: 0
; VGPRBlocks: 0
; NumSGPRsForWavesPerEU: 1
; NumVGPRsForWavesPerEU: 1
; Occupancy: 16
; WaveLimiterHint : 0
; COMPUTE_PGM_RSRC2:SCRATCH_EN: 0
; COMPUTE_PGM_RSRC2:USER_SGPR: 15
; COMPUTE_PGM_RSRC2:TRAP_HANDLER: 0
; COMPUTE_PGM_RSRC2:TGID_X_EN: 1
; COMPUTE_PGM_RSRC2:TGID_Y_EN: 0
; COMPUTE_PGM_RSRC2:TGID_Z_EN: 0
; COMPUTE_PGM_RSRC2:TIDIG_COMP_CNT: 0
	.section	.text._ZN7rocprim17ROCPRIM_400000_NS6detail31init_lookback_scan_state_kernelINS1_19lookback_scan_stateIN3c108BFloat16ELb1ELb1EEENS1_16block_id_wrapperIjLb1EEEEEvT_jT0_jPNS9_10value_typeE,"axG",@progbits,_ZN7rocprim17ROCPRIM_400000_NS6detail31init_lookback_scan_state_kernelINS1_19lookback_scan_stateIN3c108BFloat16ELb1ELb1EEENS1_16block_id_wrapperIjLb1EEEEEvT_jT0_jPNS9_10value_typeE,comdat
	.protected	_ZN7rocprim17ROCPRIM_400000_NS6detail31init_lookback_scan_state_kernelINS1_19lookback_scan_stateIN3c108BFloat16ELb1ELb1EEENS1_16block_id_wrapperIjLb1EEEEEvT_jT0_jPNS9_10value_typeE ; -- Begin function _ZN7rocprim17ROCPRIM_400000_NS6detail31init_lookback_scan_state_kernelINS1_19lookback_scan_stateIN3c108BFloat16ELb1ELb1EEENS1_16block_id_wrapperIjLb1EEEEEvT_jT0_jPNS9_10value_typeE
	.globl	_ZN7rocprim17ROCPRIM_400000_NS6detail31init_lookback_scan_state_kernelINS1_19lookback_scan_stateIN3c108BFloat16ELb1ELb1EEENS1_16block_id_wrapperIjLb1EEEEEvT_jT0_jPNS9_10value_typeE
	.p2align	8
	.type	_ZN7rocprim17ROCPRIM_400000_NS6detail31init_lookback_scan_state_kernelINS1_19lookback_scan_stateIN3c108BFloat16ELb1ELb1EEENS1_16block_id_wrapperIjLb1EEEEEvT_jT0_jPNS9_10value_typeE,@function
_ZN7rocprim17ROCPRIM_400000_NS6detail31init_lookback_scan_state_kernelINS1_19lookback_scan_stateIN3c108BFloat16ELb1ELb1EEENS1_16block_id_wrapperIjLb1EEEEEvT_jT0_jPNS9_10value_typeE: ; @_ZN7rocprim17ROCPRIM_400000_NS6detail31init_lookback_scan_state_kernelINS1_19lookback_scan_stateIN3c108BFloat16ELb1ELb1EEENS1_16block_id_wrapperIjLb1EEEEEvT_jT0_jPNS9_10value_typeE
; %bb.0:
	s_clause 0x3
	s_load_b32 s6, s[0:1], 0x34
	s_load_b64 s[4:5], s[0:1], 0x20
	s_load_b64 s[2:3], s[0:1], 0x0
	s_load_b32 s8, s[0:1], 0x8
	s_waitcnt lgkmcnt(0)
	s_and_b32 s6, s6, 0xffff
	s_cmp_eq_u64 s[4:5], 0
	v_mad_u64_u32 v[1:2], null, s15, s6, v[0:1]
	s_cbranch_scc1 .LBB473_9
; %bb.1:
	s_load_b32 s6, s[0:1], 0x18
	s_waitcnt lgkmcnt(0)
	s_cmp_lt_u32 s6, s8
	s_cselect_b32 s7, s6, 0
	s_delay_alu instid0(VALU_DEP_1) | instid1(SALU_CYCLE_1)
	v_cmp_eq_u32_e32 vcc_lo, s7, v1
	s_mov_b32 s7, 0
	s_and_saveexec_b32 s9, vcc_lo
	s_cbranch_execz .LBB473_8
; %bb.2:
	s_add_i32 s6, s6, 32
	v_mov_b32_e32 v0, 0
	s_lshl_b64 s[6:7], s[6:7], 2
	s_delay_alu instid0(SALU_CYCLE_1) | instskip(SKIP_4) | instid1(VALU_DEP_1)
	s_add_u32 s6, s2, s6
	s_addc_u32 s7, s3, s7
	global_load_b32 v2, v0, s[6:7] glc
	s_waitcnt vmcnt(0)
	v_and_b32_e32 v3, 0xff0000, v2
	v_cmp_ne_u32_e32 vcc_lo, 0, v3
	s_cbranch_vccnz .LBB473_7
; %bb.3:
	s_mov_b32 s10, 1
.LBB473_4:                              ; =>This Loop Header: Depth=1
                                        ;     Child Loop BB473_5 Depth 2
	s_delay_alu instid0(SALU_CYCLE_1)
	s_max_u32 s11, s10, 1
.LBB473_5:                              ;   Parent Loop BB473_4 Depth=1
                                        ; =>  This Inner Loop Header: Depth=2
	s_delay_alu instid0(SALU_CYCLE_1)
	s_add_i32 s11, s11, -1
	s_sleep 1
	s_cmp_eq_u32 s11, 0
	s_cbranch_scc0 .LBB473_5
; %bb.6:                                ;   in Loop: Header=BB473_4 Depth=1
	global_load_b32 v2, v0, s[6:7] glc
	s_cmp_lt_u32 s10, 32
	s_cselect_b32 s11, -1, 0
	s_delay_alu instid0(SALU_CYCLE_1) | instskip(SKIP_3) | instid1(VALU_DEP_1)
	s_cmp_lg_u32 s11, 0
	s_addc_u32 s10, s10, 0
	s_waitcnt vmcnt(0)
	v_and_b32_e32 v3, 0xff0000, v2
	v_cmp_ne_u32_e32 vcc_lo, 0, v3
	s_cbranch_vccz .LBB473_4
.LBB473_7:
	v_mov_b32_e32 v0, 0
	global_store_b16 v0, v2, s[4:5]
.LBB473_8:
	s_or_b32 exec_lo, exec_lo, s9
.LBB473_9:
	s_delay_alu instid0(SALU_CYCLE_1) | instskip(NEXT) | instid1(VALU_DEP_1)
	s_mov_b32 s4, exec_lo
	v_cmpx_eq_u32_e32 0, v1
	s_cbranch_execz .LBB473_11
; %bb.10:
	s_load_b64 s[0:1], s[0:1], 0x10
	v_mov_b32_e32 v0, 0
	s_waitcnt lgkmcnt(0)
	global_store_b32 v0, v0, s[0:1]
.LBB473_11:
	s_or_b32 exec_lo, exec_lo, s4
	s_delay_alu instid0(SALU_CYCLE_1)
	s_mov_b32 s0, exec_lo
	v_cmpx_gt_u32_e64 s8, v1
	s_cbranch_execz .LBB473_13
; %bb.12:
	v_dual_mov_b32 v3, 0 :: v_dual_add_nc_u32 v2, 32, v1
	s_delay_alu instid0(VALU_DEP_1) | instskip(NEXT) | instid1(VALU_DEP_1)
	v_lshlrev_b64 v[4:5], 2, v[2:3]
	v_add_co_u32 v4, vcc_lo, s2, v4
	s_delay_alu instid0(VALU_DEP_2)
	v_add_co_ci_u32_e32 v5, vcc_lo, s3, v5, vcc_lo
	global_store_b32 v[4:5], v3, off
.LBB473_13:
	s_or_b32 exec_lo, exec_lo, s0
	s_delay_alu instid0(SALU_CYCLE_1)
	s_mov_b32 s0, exec_lo
	v_cmpx_gt_u32_e32 32, v1
	s_cbranch_execz .LBB473_15
; %bb.14:
	v_mov_b32_e32 v2, 0
	s_delay_alu instid0(VALU_DEP_1) | instskip(SKIP_1) | instid1(VALU_DEP_2)
	v_lshlrev_b64 v[0:1], 2, v[1:2]
	v_mov_b32_e32 v2, 0xff0000
	v_add_co_u32 v0, vcc_lo, s2, v0
	s_delay_alu instid0(VALU_DEP_3)
	v_add_co_ci_u32_e32 v1, vcc_lo, s3, v1, vcc_lo
	global_store_b32 v[0:1], v2, off
.LBB473_15:
	s_nop 0
	s_sendmsg sendmsg(MSG_DEALLOC_VGPRS)
	s_endpgm
	.section	.rodata,"a",@progbits
	.p2align	6, 0x0
	.amdhsa_kernel _ZN7rocprim17ROCPRIM_400000_NS6detail31init_lookback_scan_state_kernelINS1_19lookback_scan_stateIN3c108BFloat16ELb1ELb1EEENS1_16block_id_wrapperIjLb1EEEEEvT_jT0_jPNS9_10value_typeE
		.amdhsa_group_segment_fixed_size 0
		.amdhsa_private_segment_fixed_size 0
		.amdhsa_kernarg_size 296
		.amdhsa_user_sgpr_count 15
		.amdhsa_user_sgpr_dispatch_ptr 0
		.amdhsa_user_sgpr_queue_ptr 0
		.amdhsa_user_sgpr_kernarg_segment_ptr 1
		.amdhsa_user_sgpr_dispatch_id 0
		.amdhsa_user_sgpr_private_segment_size 0
		.amdhsa_wavefront_size32 1
		.amdhsa_uses_dynamic_stack 0
		.amdhsa_enable_private_segment 0
		.amdhsa_system_sgpr_workgroup_id_x 1
		.amdhsa_system_sgpr_workgroup_id_y 0
		.amdhsa_system_sgpr_workgroup_id_z 0
		.amdhsa_system_sgpr_workgroup_info 0
		.amdhsa_system_vgpr_workitem_id 0
		.amdhsa_next_free_vgpr 6
		.amdhsa_next_free_sgpr 16
		.amdhsa_reserve_vcc 1
		.amdhsa_float_round_mode_32 0
		.amdhsa_float_round_mode_16_64 0
		.amdhsa_float_denorm_mode_32 3
		.amdhsa_float_denorm_mode_16_64 3
		.amdhsa_dx10_clamp 1
		.amdhsa_ieee_mode 1
		.amdhsa_fp16_overflow 0
		.amdhsa_workgroup_processor_mode 1
		.amdhsa_memory_ordered 1
		.amdhsa_forward_progress 0
		.amdhsa_shared_vgpr_count 0
		.amdhsa_exception_fp_ieee_invalid_op 0
		.amdhsa_exception_fp_denorm_src 0
		.amdhsa_exception_fp_ieee_div_zero 0
		.amdhsa_exception_fp_ieee_overflow 0
		.amdhsa_exception_fp_ieee_underflow 0
		.amdhsa_exception_fp_ieee_inexact 0
		.amdhsa_exception_int_div_zero 0
	.end_amdhsa_kernel
	.section	.text._ZN7rocprim17ROCPRIM_400000_NS6detail31init_lookback_scan_state_kernelINS1_19lookback_scan_stateIN3c108BFloat16ELb1ELb1EEENS1_16block_id_wrapperIjLb1EEEEEvT_jT0_jPNS9_10value_typeE,"axG",@progbits,_ZN7rocprim17ROCPRIM_400000_NS6detail31init_lookback_scan_state_kernelINS1_19lookback_scan_stateIN3c108BFloat16ELb1ELb1EEENS1_16block_id_wrapperIjLb1EEEEEvT_jT0_jPNS9_10value_typeE,comdat
.Lfunc_end473:
	.size	_ZN7rocprim17ROCPRIM_400000_NS6detail31init_lookback_scan_state_kernelINS1_19lookback_scan_stateIN3c108BFloat16ELb1ELb1EEENS1_16block_id_wrapperIjLb1EEEEEvT_jT0_jPNS9_10value_typeE, .Lfunc_end473-_ZN7rocprim17ROCPRIM_400000_NS6detail31init_lookback_scan_state_kernelINS1_19lookback_scan_stateIN3c108BFloat16ELb1ELb1EEENS1_16block_id_wrapperIjLb1EEEEEvT_jT0_jPNS9_10value_typeE
                                        ; -- End function
	.section	.AMDGPU.csdata,"",@progbits
; Kernel info:
; codeLenInByte = 440
; NumSgprs: 18
; NumVgprs: 6
; ScratchSize: 0
; MemoryBound: 0
; FloatMode: 240
; IeeeMode: 1
; LDSByteSize: 0 bytes/workgroup (compile time only)
; SGPRBlocks: 2
; VGPRBlocks: 0
; NumSGPRsForWavesPerEU: 18
; NumVGPRsForWavesPerEU: 6
; Occupancy: 16
; WaveLimiterHint : 0
; COMPUTE_PGM_RSRC2:SCRATCH_EN: 0
; COMPUTE_PGM_RSRC2:USER_SGPR: 15
; COMPUTE_PGM_RSRC2:TRAP_HANDLER: 0
; COMPUTE_PGM_RSRC2:TGID_X_EN: 1
; COMPUTE_PGM_RSRC2:TGID_Y_EN: 0
; COMPUTE_PGM_RSRC2:TGID_Z_EN: 0
; COMPUTE_PGM_RSRC2:TIDIG_COMP_CNT: 0
	.section	.text._ZN7rocprim17ROCPRIM_400000_NS6detail17trampoline_kernelINS0_14default_configENS1_20scan_config_selectorIN3c108BFloat16EEEZZNS1_9scan_implILNS1_25lookback_scan_determinismE0ELb0ELb0ES3_PKS6_PS6_S6_ZZZN2at6native31launch_logcumsumexp_cuda_kernelERKNSD_10TensorBaseESH_lENKUlvE_clEvENKUlvE4_clEvEUlS6_S6_E_S6_EEDaPvRmT3_T4_T5_mT6_P12ihipStream_tbENKUlT_T0_E_clISt17integral_constantIbLb1EESY_EEDaST_SU_EUlST_E_NS1_11comp_targetILNS1_3genE0ELNS1_11target_archE4294967295ELNS1_3gpuE0ELNS1_3repE0EEENS1_30default_config_static_selectorELNS0_4arch9wavefront6targetE0EEEvT1_,"axG",@progbits,_ZN7rocprim17ROCPRIM_400000_NS6detail17trampoline_kernelINS0_14default_configENS1_20scan_config_selectorIN3c108BFloat16EEEZZNS1_9scan_implILNS1_25lookback_scan_determinismE0ELb0ELb0ES3_PKS6_PS6_S6_ZZZN2at6native31launch_logcumsumexp_cuda_kernelERKNSD_10TensorBaseESH_lENKUlvE_clEvENKUlvE4_clEvEUlS6_S6_E_S6_EEDaPvRmT3_T4_T5_mT6_P12ihipStream_tbENKUlT_T0_E_clISt17integral_constantIbLb1EESY_EEDaST_SU_EUlST_E_NS1_11comp_targetILNS1_3genE0ELNS1_11target_archE4294967295ELNS1_3gpuE0ELNS1_3repE0EEENS1_30default_config_static_selectorELNS0_4arch9wavefront6targetE0EEEvT1_,comdat
	.globl	_ZN7rocprim17ROCPRIM_400000_NS6detail17trampoline_kernelINS0_14default_configENS1_20scan_config_selectorIN3c108BFloat16EEEZZNS1_9scan_implILNS1_25lookback_scan_determinismE0ELb0ELb0ES3_PKS6_PS6_S6_ZZZN2at6native31launch_logcumsumexp_cuda_kernelERKNSD_10TensorBaseESH_lENKUlvE_clEvENKUlvE4_clEvEUlS6_S6_E_S6_EEDaPvRmT3_T4_T5_mT6_P12ihipStream_tbENKUlT_T0_E_clISt17integral_constantIbLb1EESY_EEDaST_SU_EUlST_E_NS1_11comp_targetILNS1_3genE0ELNS1_11target_archE4294967295ELNS1_3gpuE0ELNS1_3repE0EEENS1_30default_config_static_selectorELNS0_4arch9wavefront6targetE0EEEvT1_ ; -- Begin function _ZN7rocprim17ROCPRIM_400000_NS6detail17trampoline_kernelINS0_14default_configENS1_20scan_config_selectorIN3c108BFloat16EEEZZNS1_9scan_implILNS1_25lookback_scan_determinismE0ELb0ELb0ES3_PKS6_PS6_S6_ZZZN2at6native31launch_logcumsumexp_cuda_kernelERKNSD_10TensorBaseESH_lENKUlvE_clEvENKUlvE4_clEvEUlS6_S6_E_S6_EEDaPvRmT3_T4_T5_mT6_P12ihipStream_tbENKUlT_T0_E_clISt17integral_constantIbLb1EESY_EEDaST_SU_EUlST_E_NS1_11comp_targetILNS1_3genE0ELNS1_11target_archE4294967295ELNS1_3gpuE0ELNS1_3repE0EEENS1_30default_config_static_selectorELNS0_4arch9wavefront6targetE0EEEvT1_
	.p2align	8
	.type	_ZN7rocprim17ROCPRIM_400000_NS6detail17trampoline_kernelINS0_14default_configENS1_20scan_config_selectorIN3c108BFloat16EEEZZNS1_9scan_implILNS1_25lookback_scan_determinismE0ELb0ELb0ES3_PKS6_PS6_S6_ZZZN2at6native31launch_logcumsumexp_cuda_kernelERKNSD_10TensorBaseESH_lENKUlvE_clEvENKUlvE4_clEvEUlS6_S6_E_S6_EEDaPvRmT3_T4_T5_mT6_P12ihipStream_tbENKUlT_T0_E_clISt17integral_constantIbLb1EESY_EEDaST_SU_EUlST_E_NS1_11comp_targetILNS1_3genE0ELNS1_11target_archE4294967295ELNS1_3gpuE0ELNS1_3repE0EEENS1_30default_config_static_selectorELNS0_4arch9wavefront6targetE0EEEvT1_,@function
_ZN7rocprim17ROCPRIM_400000_NS6detail17trampoline_kernelINS0_14default_configENS1_20scan_config_selectorIN3c108BFloat16EEEZZNS1_9scan_implILNS1_25lookback_scan_determinismE0ELb0ELb0ES3_PKS6_PS6_S6_ZZZN2at6native31launch_logcumsumexp_cuda_kernelERKNSD_10TensorBaseESH_lENKUlvE_clEvENKUlvE4_clEvEUlS6_S6_E_S6_EEDaPvRmT3_T4_T5_mT6_P12ihipStream_tbENKUlT_T0_E_clISt17integral_constantIbLb1EESY_EEDaST_SU_EUlST_E_NS1_11comp_targetILNS1_3genE0ELNS1_11target_archE4294967295ELNS1_3gpuE0ELNS1_3repE0EEENS1_30default_config_static_selectorELNS0_4arch9wavefront6targetE0EEEvT1_: ; @_ZN7rocprim17ROCPRIM_400000_NS6detail17trampoline_kernelINS0_14default_configENS1_20scan_config_selectorIN3c108BFloat16EEEZZNS1_9scan_implILNS1_25lookback_scan_determinismE0ELb0ELb0ES3_PKS6_PS6_S6_ZZZN2at6native31launch_logcumsumexp_cuda_kernelERKNSD_10TensorBaseESH_lENKUlvE_clEvENKUlvE4_clEvEUlS6_S6_E_S6_EEDaPvRmT3_T4_T5_mT6_P12ihipStream_tbENKUlT_T0_E_clISt17integral_constantIbLb1EESY_EEDaST_SU_EUlST_E_NS1_11comp_targetILNS1_3genE0ELNS1_11target_archE4294967295ELNS1_3gpuE0ELNS1_3repE0EEENS1_30default_config_static_selectorELNS0_4arch9wavefront6targetE0EEEvT1_
; %bb.0:
	.section	.rodata,"a",@progbits
	.p2align	6, 0x0
	.amdhsa_kernel _ZN7rocprim17ROCPRIM_400000_NS6detail17trampoline_kernelINS0_14default_configENS1_20scan_config_selectorIN3c108BFloat16EEEZZNS1_9scan_implILNS1_25lookback_scan_determinismE0ELb0ELb0ES3_PKS6_PS6_S6_ZZZN2at6native31launch_logcumsumexp_cuda_kernelERKNSD_10TensorBaseESH_lENKUlvE_clEvENKUlvE4_clEvEUlS6_S6_E_S6_EEDaPvRmT3_T4_T5_mT6_P12ihipStream_tbENKUlT_T0_E_clISt17integral_constantIbLb1EESY_EEDaST_SU_EUlST_E_NS1_11comp_targetILNS1_3genE0ELNS1_11target_archE4294967295ELNS1_3gpuE0ELNS1_3repE0EEENS1_30default_config_static_selectorELNS0_4arch9wavefront6targetE0EEEvT1_
		.amdhsa_group_segment_fixed_size 0
		.amdhsa_private_segment_fixed_size 0
		.amdhsa_kernarg_size 96
		.amdhsa_user_sgpr_count 15
		.amdhsa_user_sgpr_dispatch_ptr 0
		.amdhsa_user_sgpr_queue_ptr 0
		.amdhsa_user_sgpr_kernarg_segment_ptr 1
		.amdhsa_user_sgpr_dispatch_id 0
		.amdhsa_user_sgpr_private_segment_size 0
		.amdhsa_wavefront_size32 1
		.amdhsa_uses_dynamic_stack 0
		.amdhsa_enable_private_segment 0
		.amdhsa_system_sgpr_workgroup_id_x 1
		.amdhsa_system_sgpr_workgroup_id_y 0
		.amdhsa_system_sgpr_workgroup_id_z 0
		.amdhsa_system_sgpr_workgroup_info 0
		.amdhsa_system_vgpr_workitem_id 0
		.amdhsa_next_free_vgpr 1
		.amdhsa_next_free_sgpr 1
		.amdhsa_reserve_vcc 0
		.amdhsa_float_round_mode_32 0
		.amdhsa_float_round_mode_16_64 0
		.amdhsa_float_denorm_mode_32 3
		.amdhsa_float_denorm_mode_16_64 3
		.amdhsa_dx10_clamp 1
		.amdhsa_ieee_mode 1
		.amdhsa_fp16_overflow 0
		.amdhsa_workgroup_processor_mode 1
		.amdhsa_memory_ordered 1
		.amdhsa_forward_progress 0
		.amdhsa_shared_vgpr_count 0
		.amdhsa_exception_fp_ieee_invalid_op 0
		.amdhsa_exception_fp_denorm_src 0
		.amdhsa_exception_fp_ieee_div_zero 0
		.amdhsa_exception_fp_ieee_overflow 0
		.amdhsa_exception_fp_ieee_underflow 0
		.amdhsa_exception_fp_ieee_inexact 0
		.amdhsa_exception_int_div_zero 0
	.end_amdhsa_kernel
	.section	.text._ZN7rocprim17ROCPRIM_400000_NS6detail17trampoline_kernelINS0_14default_configENS1_20scan_config_selectorIN3c108BFloat16EEEZZNS1_9scan_implILNS1_25lookback_scan_determinismE0ELb0ELb0ES3_PKS6_PS6_S6_ZZZN2at6native31launch_logcumsumexp_cuda_kernelERKNSD_10TensorBaseESH_lENKUlvE_clEvENKUlvE4_clEvEUlS6_S6_E_S6_EEDaPvRmT3_T4_T5_mT6_P12ihipStream_tbENKUlT_T0_E_clISt17integral_constantIbLb1EESY_EEDaST_SU_EUlST_E_NS1_11comp_targetILNS1_3genE0ELNS1_11target_archE4294967295ELNS1_3gpuE0ELNS1_3repE0EEENS1_30default_config_static_selectorELNS0_4arch9wavefront6targetE0EEEvT1_,"axG",@progbits,_ZN7rocprim17ROCPRIM_400000_NS6detail17trampoline_kernelINS0_14default_configENS1_20scan_config_selectorIN3c108BFloat16EEEZZNS1_9scan_implILNS1_25lookback_scan_determinismE0ELb0ELb0ES3_PKS6_PS6_S6_ZZZN2at6native31launch_logcumsumexp_cuda_kernelERKNSD_10TensorBaseESH_lENKUlvE_clEvENKUlvE4_clEvEUlS6_S6_E_S6_EEDaPvRmT3_T4_T5_mT6_P12ihipStream_tbENKUlT_T0_E_clISt17integral_constantIbLb1EESY_EEDaST_SU_EUlST_E_NS1_11comp_targetILNS1_3genE0ELNS1_11target_archE4294967295ELNS1_3gpuE0ELNS1_3repE0EEENS1_30default_config_static_selectorELNS0_4arch9wavefront6targetE0EEEvT1_,comdat
.Lfunc_end474:
	.size	_ZN7rocprim17ROCPRIM_400000_NS6detail17trampoline_kernelINS0_14default_configENS1_20scan_config_selectorIN3c108BFloat16EEEZZNS1_9scan_implILNS1_25lookback_scan_determinismE0ELb0ELb0ES3_PKS6_PS6_S6_ZZZN2at6native31launch_logcumsumexp_cuda_kernelERKNSD_10TensorBaseESH_lENKUlvE_clEvENKUlvE4_clEvEUlS6_S6_E_S6_EEDaPvRmT3_T4_T5_mT6_P12ihipStream_tbENKUlT_T0_E_clISt17integral_constantIbLb1EESY_EEDaST_SU_EUlST_E_NS1_11comp_targetILNS1_3genE0ELNS1_11target_archE4294967295ELNS1_3gpuE0ELNS1_3repE0EEENS1_30default_config_static_selectorELNS0_4arch9wavefront6targetE0EEEvT1_, .Lfunc_end474-_ZN7rocprim17ROCPRIM_400000_NS6detail17trampoline_kernelINS0_14default_configENS1_20scan_config_selectorIN3c108BFloat16EEEZZNS1_9scan_implILNS1_25lookback_scan_determinismE0ELb0ELb0ES3_PKS6_PS6_S6_ZZZN2at6native31launch_logcumsumexp_cuda_kernelERKNSD_10TensorBaseESH_lENKUlvE_clEvENKUlvE4_clEvEUlS6_S6_E_S6_EEDaPvRmT3_T4_T5_mT6_P12ihipStream_tbENKUlT_T0_E_clISt17integral_constantIbLb1EESY_EEDaST_SU_EUlST_E_NS1_11comp_targetILNS1_3genE0ELNS1_11target_archE4294967295ELNS1_3gpuE0ELNS1_3repE0EEENS1_30default_config_static_selectorELNS0_4arch9wavefront6targetE0EEEvT1_
                                        ; -- End function
	.section	.AMDGPU.csdata,"",@progbits
; Kernel info:
; codeLenInByte = 0
; NumSgprs: 0
; NumVgprs: 0
; ScratchSize: 0
; MemoryBound: 0
; FloatMode: 240
; IeeeMode: 1
; LDSByteSize: 0 bytes/workgroup (compile time only)
; SGPRBlocks: 0
; VGPRBlocks: 0
; NumSGPRsForWavesPerEU: 1
; NumVGPRsForWavesPerEU: 1
; Occupancy: 16
; WaveLimiterHint : 0
; COMPUTE_PGM_RSRC2:SCRATCH_EN: 0
; COMPUTE_PGM_RSRC2:USER_SGPR: 15
; COMPUTE_PGM_RSRC2:TRAP_HANDLER: 0
; COMPUTE_PGM_RSRC2:TGID_X_EN: 1
; COMPUTE_PGM_RSRC2:TGID_Y_EN: 0
; COMPUTE_PGM_RSRC2:TGID_Z_EN: 0
; COMPUTE_PGM_RSRC2:TIDIG_COMP_CNT: 0
	.section	.text._ZN7rocprim17ROCPRIM_400000_NS6detail17trampoline_kernelINS0_14default_configENS1_20scan_config_selectorIN3c108BFloat16EEEZZNS1_9scan_implILNS1_25lookback_scan_determinismE0ELb0ELb0ES3_PKS6_PS6_S6_ZZZN2at6native31launch_logcumsumexp_cuda_kernelERKNSD_10TensorBaseESH_lENKUlvE_clEvENKUlvE4_clEvEUlS6_S6_E_S6_EEDaPvRmT3_T4_T5_mT6_P12ihipStream_tbENKUlT_T0_E_clISt17integral_constantIbLb1EESY_EEDaST_SU_EUlST_E_NS1_11comp_targetILNS1_3genE5ELNS1_11target_archE942ELNS1_3gpuE9ELNS1_3repE0EEENS1_30default_config_static_selectorELNS0_4arch9wavefront6targetE0EEEvT1_,"axG",@progbits,_ZN7rocprim17ROCPRIM_400000_NS6detail17trampoline_kernelINS0_14default_configENS1_20scan_config_selectorIN3c108BFloat16EEEZZNS1_9scan_implILNS1_25lookback_scan_determinismE0ELb0ELb0ES3_PKS6_PS6_S6_ZZZN2at6native31launch_logcumsumexp_cuda_kernelERKNSD_10TensorBaseESH_lENKUlvE_clEvENKUlvE4_clEvEUlS6_S6_E_S6_EEDaPvRmT3_T4_T5_mT6_P12ihipStream_tbENKUlT_T0_E_clISt17integral_constantIbLb1EESY_EEDaST_SU_EUlST_E_NS1_11comp_targetILNS1_3genE5ELNS1_11target_archE942ELNS1_3gpuE9ELNS1_3repE0EEENS1_30default_config_static_selectorELNS0_4arch9wavefront6targetE0EEEvT1_,comdat
	.globl	_ZN7rocprim17ROCPRIM_400000_NS6detail17trampoline_kernelINS0_14default_configENS1_20scan_config_selectorIN3c108BFloat16EEEZZNS1_9scan_implILNS1_25lookback_scan_determinismE0ELb0ELb0ES3_PKS6_PS6_S6_ZZZN2at6native31launch_logcumsumexp_cuda_kernelERKNSD_10TensorBaseESH_lENKUlvE_clEvENKUlvE4_clEvEUlS6_S6_E_S6_EEDaPvRmT3_T4_T5_mT6_P12ihipStream_tbENKUlT_T0_E_clISt17integral_constantIbLb1EESY_EEDaST_SU_EUlST_E_NS1_11comp_targetILNS1_3genE5ELNS1_11target_archE942ELNS1_3gpuE9ELNS1_3repE0EEENS1_30default_config_static_selectorELNS0_4arch9wavefront6targetE0EEEvT1_ ; -- Begin function _ZN7rocprim17ROCPRIM_400000_NS6detail17trampoline_kernelINS0_14default_configENS1_20scan_config_selectorIN3c108BFloat16EEEZZNS1_9scan_implILNS1_25lookback_scan_determinismE0ELb0ELb0ES3_PKS6_PS6_S6_ZZZN2at6native31launch_logcumsumexp_cuda_kernelERKNSD_10TensorBaseESH_lENKUlvE_clEvENKUlvE4_clEvEUlS6_S6_E_S6_EEDaPvRmT3_T4_T5_mT6_P12ihipStream_tbENKUlT_T0_E_clISt17integral_constantIbLb1EESY_EEDaST_SU_EUlST_E_NS1_11comp_targetILNS1_3genE5ELNS1_11target_archE942ELNS1_3gpuE9ELNS1_3repE0EEENS1_30default_config_static_selectorELNS0_4arch9wavefront6targetE0EEEvT1_
	.p2align	8
	.type	_ZN7rocprim17ROCPRIM_400000_NS6detail17trampoline_kernelINS0_14default_configENS1_20scan_config_selectorIN3c108BFloat16EEEZZNS1_9scan_implILNS1_25lookback_scan_determinismE0ELb0ELb0ES3_PKS6_PS6_S6_ZZZN2at6native31launch_logcumsumexp_cuda_kernelERKNSD_10TensorBaseESH_lENKUlvE_clEvENKUlvE4_clEvEUlS6_S6_E_S6_EEDaPvRmT3_T4_T5_mT6_P12ihipStream_tbENKUlT_T0_E_clISt17integral_constantIbLb1EESY_EEDaST_SU_EUlST_E_NS1_11comp_targetILNS1_3genE5ELNS1_11target_archE942ELNS1_3gpuE9ELNS1_3repE0EEENS1_30default_config_static_selectorELNS0_4arch9wavefront6targetE0EEEvT1_,@function
_ZN7rocprim17ROCPRIM_400000_NS6detail17trampoline_kernelINS0_14default_configENS1_20scan_config_selectorIN3c108BFloat16EEEZZNS1_9scan_implILNS1_25lookback_scan_determinismE0ELb0ELb0ES3_PKS6_PS6_S6_ZZZN2at6native31launch_logcumsumexp_cuda_kernelERKNSD_10TensorBaseESH_lENKUlvE_clEvENKUlvE4_clEvEUlS6_S6_E_S6_EEDaPvRmT3_T4_T5_mT6_P12ihipStream_tbENKUlT_T0_E_clISt17integral_constantIbLb1EESY_EEDaST_SU_EUlST_E_NS1_11comp_targetILNS1_3genE5ELNS1_11target_archE942ELNS1_3gpuE9ELNS1_3repE0EEENS1_30default_config_static_selectorELNS0_4arch9wavefront6targetE0EEEvT1_: ; @_ZN7rocprim17ROCPRIM_400000_NS6detail17trampoline_kernelINS0_14default_configENS1_20scan_config_selectorIN3c108BFloat16EEEZZNS1_9scan_implILNS1_25lookback_scan_determinismE0ELb0ELb0ES3_PKS6_PS6_S6_ZZZN2at6native31launch_logcumsumexp_cuda_kernelERKNSD_10TensorBaseESH_lENKUlvE_clEvENKUlvE4_clEvEUlS6_S6_E_S6_EEDaPvRmT3_T4_T5_mT6_P12ihipStream_tbENKUlT_T0_E_clISt17integral_constantIbLb1EESY_EEDaST_SU_EUlST_E_NS1_11comp_targetILNS1_3genE5ELNS1_11target_archE942ELNS1_3gpuE9ELNS1_3repE0EEENS1_30default_config_static_selectorELNS0_4arch9wavefront6targetE0EEEvT1_
; %bb.0:
	.section	.rodata,"a",@progbits
	.p2align	6, 0x0
	.amdhsa_kernel _ZN7rocprim17ROCPRIM_400000_NS6detail17trampoline_kernelINS0_14default_configENS1_20scan_config_selectorIN3c108BFloat16EEEZZNS1_9scan_implILNS1_25lookback_scan_determinismE0ELb0ELb0ES3_PKS6_PS6_S6_ZZZN2at6native31launch_logcumsumexp_cuda_kernelERKNSD_10TensorBaseESH_lENKUlvE_clEvENKUlvE4_clEvEUlS6_S6_E_S6_EEDaPvRmT3_T4_T5_mT6_P12ihipStream_tbENKUlT_T0_E_clISt17integral_constantIbLb1EESY_EEDaST_SU_EUlST_E_NS1_11comp_targetILNS1_3genE5ELNS1_11target_archE942ELNS1_3gpuE9ELNS1_3repE0EEENS1_30default_config_static_selectorELNS0_4arch9wavefront6targetE0EEEvT1_
		.amdhsa_group_segment_fixed_size 0
		.amdhsa_private_segment_fixed_size 0
		.amdhsa_kernarg_size 96
		.amdhsa_user_sgpr_count 15
		.amdhsa_user_sgpr_dispatch_ptr 0
		.amdhsa_user_sgpr_queue_ptr 0
		.amdhsa_user_sgpr_kernarg_segment_ptr 1
		.amdhsa_user_sgpr_dispatch_id 0
		.amdhsa_user_sgpr_private_segment_size 0
		.amdhsa_wavefront_size32 1
		.amdhsa_uses_dynamic_stack 0
		.amdhsa_enable_private_segment 0
		.amdhsa_system_sgpr_workgroup_id_x 1
		.amdhsa_system_sgpr_workgroup_id_y 0
		.amdhsa_system_sgpr_workgroup_id_z 0
		.amdhsa_system_sgpr_workgroup_info 0
		.amdhsa_system_vgpr_workitem_id 0
		.amdhsa_next_free_vgpr 1
		.amdhsa_next_free_sgpr 1
		.amdhsa_reserve_vcc 0
		.amdhsa_float_round_mode_32 0
		.amdhsa_float_round_mode_16_64 0
		.amdhsa_float_denorm_mode_32 3
		.amdhsa_float_denorm_mode_16_64 3
		.amdhsa_dx10_clamp 1
		.amdhsa_ieee_mode 1
		.amdhsa_fp16_overflow 0
		.amdhsa_workgroup_processor_mode 1
		.amdhsa_memory_ordered 1
		.amdhsa_forward_progress 0
		.amdhsa_shared_vgpr_count 0
		.amdhsa_exception_fp_ieee_invalid_op 0
		.amdhsa_exception_fp_denorm_src 0
		.amdhsa_exception_fp_ieee_div_zero 0
		.amdhsa_exception_fp_ieee_overflow 0
		.amdhsa_exception_fp_ieee_underflow 0
		.amdhsa_exception_fp_ieee_inexact 0
		.amdhsa_exception_int_div_zero 0
	.end_amdhsa_kernel
	.section	.text._ZN7rocprim17ROCPRIM_400000_NS6detail17trampoline_kernelINS0_14default_configENS1_20scan_config_selectorIN3c108BFloat16EEEZZNS1_9scan_implILNS1_25lookback_scan_determinismE0ELb0ELb0ES3_PKS6_PS6_S6_ZZZN2at6native31launch_logcumsumexp_cuda_kernelERKNSD_10TensorBaseESH_lENKUlvE_clEvENKUlvE4_clEvEUlS6_S6_E_S6_EEDaPvRmT3_T4_T5_mT6_P12ihipStream_tbENKUlT_T0_E_clISt17integral_constantIbLb1EESY_EEDaST_SU_EUlST_E_NS1_11comp_targetILNS1_3genE5ELNS1_11target_archE942ELNS1_3gpuE9ELNS1_3repE0EEENS1_30default_config_static_selectorELNS0_4arch9wavefront6targetE0EEEvT1_,"axG",@progbits,_ZN7rocprim17ROCPRIM_400000_NS6detail17trampoline_kernelINS0_14default_configENS1_20scan_config_selectorIN3c108BFloat16EEEZZNS1_9scan_implILNS1_25lookback_scan_determinismE0ELb0ELb0ES3_PKS6_PS6_S6_ZZZN2at6native31launch_logcumsumexp_cuda_kernelERKNSD_10TensorBaseESH_lENKUlvE_clEvENKUlvE4_clEvEUlS6_S6_E_S6_EEDaPvRmT3_T4_T5_mT6_P12ihipStream_tbENKUlT_T0_E_clISt17integral_constantIbLb1EESY_EEDaST_SU_EUlST_E_NS1_11comp_targetILNS1_3genE5ELNS1_11target_archE942ELNS1_3gpuE9ELNS1_3repE0EEENS1_30default_config_static_selectorELNS0_4arch9wavefront6targetE0EEEvT1_,comdat
.Lfunc_end475:
	.size	_ZN7rocprim17ROCPRIM_400000_NS6detail17trampoline_kernelINS0_14default_configENS1_20scan_config_selectorIN3c108BFloat16EEEZZNS1_9scan_implILNS1_25lookback_scan_determinismE0ELb0ELb0ES3_PKS6_PS6_S6_ZZZN2at6native31launch_logcumsumexp_cuda_kernelERKNSD_10TensorBaseESH_lENKUlvE_clEvENKUlvE4_clEvEUlS6_S6_E_S6_EEDaPvRmT3_T4_T5_mT6_P12ihipStream_tbENKUlT_T0_E_clISt17integral_constantIbLb1EESY_EEDaST_SU_EUlST_E_NS1_11comp_targetILNS1_3genE5ELNS1_11target_archE942ELNS1_3gpuE9ELNS1_3repE0EEENS1_30default_config_static_selectorELNS0_4arch9wavefront6targetE0EEEvT1_, .Lfunc_end475-_ZN7rocprim17ROCPRIM_400000_NS6detail17trampoline_kernelINS0_14default_configENS1_20scan_config_selectorIN3c108BFloat16EEEZZNS1_9scan_implILNS1_25lookback_scan_determinismE0ELb0ELb0ES3_PKS6_PS6_S6_ZZZN2at6native31launch_logcumsumexp_cuda_kernelERKNSD_10TensorBaseESH_lENKUlvE_clEvENKUlvE4_clEvEUlS6_S6_E_S6_EEDaPvRmT3_T4_T5_mT6_P12ihipStream_tbENKUlT_T0_E_clISt17integral_constantIbLb1EESY_EEDaST_SU_EUlST_E_NS1_11comp_targetILNS1_3genE5ELNS1_11target_archE942ELNS1_3gpuE9ELNS1_3repE0EEENS1_30default_config_static_selectorELNS0_4arch9wavefront6targetE0EEEvT1_
                                        ; -- End function
	.section	.AMDGPU.csdata,"",@progbits
; Kernel info:
; codeLenInByte = 0
; NumSgprs: 0
; NumVgprs: 0
; ScratchSize: 0
; MemoryBound: 0
; FloatMode: 240
; IeeeMode: 1
; LDSByteSize: 0 bytes/workgroup (compile time only)
; SGPRBlocks: 0
; VGPRBlocks: 0
; NumSGPRsForWavesPerEU: 1
; NumVGPRsForWavesPerEU: 1
; Occupancy: 16
; WaveLimiterHint : 0
; COMPUTE_PGM_RSRC2:SCRATCH_EN: 0
; COMPUTE_PGM_RSRC2:USER_SGPR: 15
; COMPUTE_PGM_RSRC2:TRAP_HANDLER: 0
; COMPUTE_PGM_RSRC2:TGID_X_EN: 1
; COMPUTE_PGM_RSRC2:TGID_Y_EN: 0
; COMPUTE_PGM_RSRC2:TGID_Z_EN: 0
; COMPUTE_PGM_RSRC2:TIDIG_COMP_CNT: 0
	.section	.text._ZN7rocprim17ROCPRIM_400000_NS6detail17trampoline_kernelINS0_14default_configENS1_20scan_config_selectorIN3c108BFloat16EEEZZNS1_9scan_implILNS1_25lookback_scan_determinismE0ELb0ELb0ES3_PKS6_PS6_S6_ZZZN2at6native31launch_logcumsumexp_cuda_kernelERKNSD_10TensorBaseESH_lENKUlvE_clEvENKUlvE4_clEvEUlS6_S6_E_S6_EEDaPvRmT3_T4_T5_mT6_P12ihipStream_tbENKUlT_T0_E_clISt17integral_constantIbLb1EESY_EEDaST_SU_EUlST_E_NS1_11comp_targetILNS1_3genE4ELNS1_11target_archE910ELNS1_3gpuE8ELNS1_3repE0EEENS1_30default_config_static_selectorELNS0_4arch9wavefront6targetE0EEEvT1_,"axG",@progbits,_ZN7rocprim17ROCPRIM_400000_NS6detail17trampoline_kernelINS0_14default_configENS1_20scan_config_selectorIN3c108BFloat16EEEZZNS1_9scan_implILNS1_25lookback_scan_determinismE0ELb0ELb0ES3_PKS6_PS6_S6_ZZZN2at6native31launch_logcumsumexp_cuda_kernelERKNSD_10TensorBaseESH_lENKUlvE_clEvENKUlvE4_clEvEUlS6_S6_E_S6_EEDaPvRmT3_T4_T5_mT6_P12ihipStream_tbENKUlT_T0_E_clISt17integral_constantIbLb1EESY_EEDaST_SU_EUlST_E_NS1_11comp_targetILNS1_3genE4ELNS1_11target_archE910ELNS1_3gpuE8ELNS1_3repE0EEENS1_30default_config_static_selectorELNS0_4arch9wavefront6targetE0EEEvT1_,comdat
	.globl	_ZN7rocprim17ROCPRIM_400000_NS6detail17trampoline_kernelINS0_14default_configENS1_20scan_config_selectorIN3c108BFloat16EEEZZNS1_9scan_implILNS1_25lookback_scan_determinismE0ELb0ELb0ES3_PKS6_PS6_S6_ZZZN2at6native31launch_logcumsumexp_cuda_kernelERKNSD_10TensorBaseESH_lENKUlvE_clEvENKUlvE4_clEvEUlS6_S6_E_S6_EEDaPvRmT3_T4_T5_mT6_P12ihipStream_tbENKUlT_T0_E_clISt17integral_constantIbLb1EESY_EEDaST_SU_EUlST_E_NS1_11comp_targetILNS1_3genE4ELNS1_11target_archE910ELNS1_3gpuE8ELNS1_3repE0EEENS1_30default_config_static_selectorELNS0_4arch9wavefront6targetE0EEEvT1_ ; -- Begin function _ZN7rocprim17ROCPRIM_400000_NS6detail17trampoline_kernelINS0_14default_configENS1_20scan_config_selectorIN3c108BFloat16EEEZZNS1_9scan_implILNS1_25lookback_scan_determinismE0ELb0ELb0ES3_PKS6_PS6_S6_ZZZN2at6native31launch_logcumsumexp_cuda_kernelERKNSD_10TensorBaseESH_lENKUlvE_clEvENKUlvE4_clEvEUlS6_S6_E_S6_EEDaPvRmT3_T4_T5_mT6_P12ihipStream_tbENKUlT_T0_E_clISt17integral_constantIbLb1EESY_EEDaST_SU_EUlST_E_NS1_11comp_targetILNS1_3genE4ELNS1_11target_archE910ELNS1_3gpuE8ELNS1_3repE0EEENS1_30default_config_static_selectorELNS0_4arch9wavefront6targetE0EEEvT1_
	.p2align	8
	.type	_ZN7rocprim17ROCPRIM_400000_NS6detail17trampoline_kernelINS0_14default_configENS1_20scan_config_selectorIN3c108BFloat16EEEZZNS1_9scan_implILNS1_25lookback_scan_determinismE0ELb0ELb0ES3_PKS6_PS6_S6_ZZZN2at6native31launch_logcumsumexp_cuda_kernelERKNSD_10TensorBaseESH_lENKUlvE_clEvENKUlvE4_clEvEUlS6_S6_E_S6_EEDaPvRmT3_T4_T5_mT6_P12ihipStream_tbENKUlT_T0_E_clISt17integral_constantIbLb1EESY_EEDaST_SU_EUlST_E_NS1_11comp_targetILNS1_3genE4ELNS1_11target_archE910ELNS1_3gpuE8ELNS1_3repE0EEENS1_30default_config_static_selectorELNS0_4arch9wavefront6targetE0EEEvT1_,@function
_ZN7rocprim17ROCPRIM_400000_NS6detail17trampoline_kernelINS0_14default_configENS1_20scan_config_selectorIN3c108BFloat16EEEZZNS1_9scan_implILNS1_25lookback_scan_determinismE0ELb0ELb0ES3_PKS6_PS6_S6_ZZZN2at6native31launch_logcumsumexp_cuda_kernelERKNSD_10TensorBaseESH_lENKUlvE_clEvENKUlvE4_clEvEUlS6_S6_E_S6_EEDaPvRmT3_T4_T5_mT6_P12ihipStream_tbENKUlT_T0_E_clISt17integral_constantIbLb1EESY_EEDaST_SU_EUlST_E_NS1_11comp_targetILNS1_3genE4ELNS1_11target_archE910ELNS1_3gpuE8ELNS1_3repE0EEENS1_30default_config_static_selectorELNS0_4arch9wavefront6targetE0EEEvT1_: ; @_ZN7rocprim17ROCPRIM_400000_NS6detail17trampoline_kernelINS0_14default_configENS1_20scan_config_selectorIN3c108BFloat16EEEZZNS1_9scan_implILNS1_25lookback_scan_determinismE0ELb0ELb0ES3_PKS6_PS6_S6_ZZZN2at6native31launch_logcumsumexp_cuda_kernelERKNSD_10TensorBaseESH_lENKUlvE_clEvENKUlvE4_clEvEUlS6_S6_E_S6_EEDaPvRmT3_T4_T5_mT6_P12ihipStream_tbENKUlT_T0_E_clISt17integral_constantIbLb1EESY_EEDaST_SU_EUlST_E_NS1_11comp_targetILNS1_3genE4ELNS1_11target_archE910ELNS1_3gpuE8ELNS1_3repE0EEENS1_30default_config_static_selectorELNS0_4arch9wavefront6targetE0EEEvT1_
; %bb.0:
	.section	.rodata,"a",@progbits
	.p2align	6, 0x0
	.amdhsa_kernel _ZN7rocprim17ROCPRIM_400000_NS6detail17trampoline_kernelINS0_14default_configENS1_20scan_config_selectorIN3c108BFloat16EEEZZNS1_9scan_implILNS1_25lookback_scan_determinismE0ELb0ELb0ES3_PKS6_PS6_S6_ZZZN2at6native31launch_logcumsumexp_cuda_kernelERKNSD_10TensorBaseESH_lENKUlvE_clEvENKUlvE4_clEvEUlS6_S6_E_S6_EEDaPvRmT3_T4_T5_mT6_P12ihipStream_tbENKUlT_T0_E_clISt17integral_constantIbLb1EESY_EEDaST_SU_EUlST_E_NS1_11comp_targetILNS1_3genE4ELNS1_11target_archE910ELNS1_3gpuE8ELNS1_3repE0EEENS1_30default_config_static_selectorELNS0_4arch9wavefront6targetE0EEEvT1_
		.amdhsa_group_segment_fixed_size 0
		.amdhsa_private_segment_fixed_size 0
		.amdhsa_kernarg_size 96
		.amdhsa_user_sgpr_count 15
		.amdhsa_user_sgpr_dispatch_ptr 0
		.amdhsa_user_sgpr_queue_ptr 0
		.amdhsa_user_sgpr_kernarg_segment_ptr 1
		.amdhsa_user_sgpr_dispatch_id 0
		.amdhsa_user_sgpr_private_segment_size 0
		.amdhsa_wavefront_size32 1
		.amdhsa_uses_dynamic_stack 0
		.amdhsa_enable_private_segment 0
		.amdhsa_system_sgpr_workgroup_id_x 1
		.amdhsa_system_sgpr_workgroup_id_y 0
		.amdhsa_system_sgpr_workgroup_id_z 0
		.amdhsa_system_sgpr_workgroup_info 0
		.amdhsa_system_vgpr_workitem_id 0
		.amdhsa_next_free_vgpr 1
		.amdhsa_next_free_sgpr 1
		.amdhsa_reserve_vcc 0
		.amdhsa_float_round_mode_32 0
		.amdhsa_float_round_mode_16_64 0
		.amdhsa_float_denorm_mode_32 3
		.amdhsa_float_denorm_mode_16_64 3
		.amdhsa_dx10_clamp 1
		.amdhsa_ieee_mode 1
		.amdhsa_fp16_overflow 0
		.amdhsa_workgroup_processor_mode 1
		.amdhsa_memory_ordered 1
		.amdhsa_forward_progress 0
		.amdhsa_shared_vgpr_count 0
		.amdhsa_exception_fp_ieee_invalid_op 0
		.amdhsa_exception_fp_denorm_src 0
		.amdhsa_exception_fp_ieee_div_zero 0
		.amdhsa_exception_fp_ieee_overflow 0
		.amdhsa_exception_fp_ieee_underflow 0
		.amdhsa_exception_fp_ieee_inexact 0
		.amdhsa_exception_int_div_zero 0
	.end_amdhsa_kernel
	.section	.text._ZN7rocprim17ROCPRIM_400000_NS6detail17trampoline_kernelINS0_14default_configENS1_20scan_config_selectorIN3c108BFloat16EEEZZNS1_9scan_implILNS1_25lookback_scan_determinismE0ELb0ELb0ES3_PKS6_PS6_S6_ZZZN2at6native31launch_logcumsumexp_cuda_kernelERKNSD_10TensorBaseESH_lENKUlvE_clEvENKUlvE4_clEvEUlS6_S6_E_S6_EEDaPvRmT3_T4_T5_mT6_P12ihipStream_tbENKUlT_T0_E_clISt17integral_constantIbLb1EESY_EEDaST_SU_EUlST_E_NS1_11comp_targetILNS1_3genE4ELNS1_11target_archE910ELNS1_3gpuE8ELNS1_3repE0EEENS1_30default_config_static_selectorELNS0_4arch9wavefront6targetE0EEEvT1_,"axG",@progbits,_ZN7rocprim17ROCPRIM_400000_NS6detail17trampoline_kernelINS0_14default_configENS1_20scan_config_selectorIN3c108BFloat16EEEZZNS1_9scan_implILNS1_25lookback_scan_determinismE0ELb0ELb0ES3_PKS6_PS6_S6_ZZZN2at6native31launch_logcumsumexp_cuda_kernelERKNSD_10TensorBaseESH_lENKUlvE_clEvENKUlvE4_clEvEUlS6_S6_E_S6_EEDaPvRmT3_T4_T5_mT6_P12ihipStream_tbENKUlT_T0_E_clISt17integral_constantIbLb1EESY_EEDaST_SU_EUlST_E_NS1_11comp_targetILNS1_3genE4ELNS1_11target_archE910ELNS1_3gpuE8ELNS1_3repE0EEENS1_30default_config_static_selectorELNS0_4arch9wavefront6targetE0EEEvT1_,comdat
.Lfunc_end476:
	.size	_ZN7rocprim17ROCPRIM_400000_NS6detail17trampoline_kernelINS0_14default_configENS1_20scan_config_selectorIN3c108BFloat16EEEZZNS1_9scan_implILNS1_25lookback_scan_determinismE0ELb0ELb0ES3_PKS6_PS6_S6_ZZZN2at6native31launch_logcumsumexp_cuda_kernelERKNSD_10TensorBaseESH_lENKUlvE_clEvENKUlvE4_clEvEUlS6_S6_E_S6_EEDaPvRmT3_T4_T5_mT6_P12ihipStream_tbENKUlT_T0_E_clISt17integral_constantIbLb1EESY_EEDaST_SU_EUlST_E_NS1_11comp_targetILNS1_3genE4ELNS1_11target_archE910ELNS1_3gpuE8ELNS1_3repE0EEENS1_30default_config_static_selectorELNS0_4arch9wavefront6targetE0EEEvT1_, .Lfunc_end476-_ZN7rocprim17ROCPRIM_400000_NS6detail17trampoline_kernelINS0_14default_configENS1_20scan_config_selectorIN3c108BFloat16EEEZZNS1_9scan_implILNS1_25lookback_scan_determinismE0ELb0ELb0ES3_PKS6_PS6_S6_ZZZN2at6native31launch_logcumsumexp_cuda_kernelERKNSD_10TensorBaseESH_lENKUlvE_clEvENKUlvE4_clEvEUlS6_S6_E_S6_EEDaPvRmT3_T4_T5_mT6_P12ihipStream_tbENKUlT_T0_E_clISt17integral_constantIbLb1EESY_EEDaST_SU_EUlST_E_NS1_11comp_targetILNS1_3genE4ELNS1_11target_archE910ELNS1_3gpuE8ELNS1_3repE0EEENS1_30default_config_static_selectorELNS0_4arch9wavefront6targetE0EEEvT1_
                                        ; -- End function
	.section	.AMDGPU.csdata,"",@progbits
; Kernel info:
; codeLenInByte = 0
; NumSgprs: 0
; NumVgprs: 0
; ScratchSize: 0
; MemoryBound: 0
; FloatMode: 240
; IeeeMode: 1
; LDSByteSize: 0 bytes/workgroup (compile time only)
; SGPRBlocks: 0
; VGPRBlocks: 0
; NumSGPRsForWavesPerEU: 1
; NumVGPRsForWavesPerEU: 1
; Occupancy: 16
; WaveLimiterHint : 0
; COMPUTE_PGM_RSRC2:SCRATCH_EN: 0
; COMPUTE_PGM_RSRC2:USER_SGPR: 15
; COMPUTE_PGM_RSRC2:TRAP_HANDLER: 0
; COMPUTE_PGM_RSRC2:TGID_X_EN: 1
; COMPUTE_PGM_RSRC2:TGID_Y_EN: 0
; COMPUTE_PGM_RSRC2:TGID_Z_EN: 0
; COMPUTE_PGM_RSRC2:TIDIG_COMP_CNT: 0
	.section	.text._ZN7rocprim17ROCPRIM_400000_NS6detail17trampoline_kernelINS0_14default_configENS1_20scan_config_selectorIN3c108BFloat16EEEZZNS1_9scan_implILNS1_25lookback_scan_determinismE0ELb0ELb0ES3_PKS6_PS6_S6_ZZZN2at6native31launch_logcumsumexp_cuda_kernelERKNSD_10TensorBaseESH_lENKUlvE_clEvENKUlvE4_clEvEUlS6_S6_E_S6_EEDaPvRmT3_T4_T5_mT6_P12ihipStream_tbENKUlT_T0_E_clISt17integral_constantIbLb1EESY_EEDaST_SU_EUlST_E_NS1_11comp_targetILNS1_3genE3ELNS1_11target_archE908ELNS1_3gpuE7ELNS1_3repE0EEENS1_30default_config_static_selectorELNS0_4arch9wavefront6targetE0EEEvT1_,"axG",@progbits,_ZN7rocprim17ROCPRIM_400000_NS6detail17trampoline_kernelINS0_14default_configENS1_20scan_config_selectorIN3c108BFloat16EEEZZNS1_9scan_implILNS1_25lookback_scan_determinismE0ELb0ELb0ES3_PKS6_PS6_S6_ZZZN2at6native31launch_logcumsumexp_cuda_kernelERKNSD_10TensorBaseESH_lENKUlvE_clEvENKUlvE4_clEvEUlS6_S6_E_S6_EEDaPvRmT3_T4_T5_mT6_P12ihipStream_tbENKUlT_T0_E_clISt17integral_constantIbLb1EESY_EEDaST_SU_EUlST_E_NS1_11comp_targetILNS1_3genE3ELNS1_11target_archE908ELNS1_3gpuE7ELNS1_3repE0EEENS1_30default_config_static_selectorELNS0_4arch9wavefront6targetE0EEEvT1_,comdat
	.globl	_ZN7rocprim17ROCPRIM_400000_NS6detail17trampoline_kernelINS0_14default_configENS1_20scan_config_selectorIN3c108BFloat16EEEZZNS1_9scan_implILNS1_25lookback_scan_determinismE0ELb0ELb0ES3_PKS6_PS6_S6_ZZZN2at6native31launch_logcumsumexp_cuda_kernelERKNSD_10TensorBaseESH_lENKUlvE_clEvENKUlvE4_clEvEUlS6_S6_E_S6_EEDaPvRmT3_T4_T5_mT6_P12ihipStream_tbENKUlT_T0_E_clISt17integral_constantIbLb1EESY_EEDaST_SU_EUlST_E_NS1_11comp_targetILNS1_3genE3ELNS1_11target_archE908ELNS1_3gpuE7ELNS1_3repE0EEENS1_30default_config_static_selectorELNS0_4arch9wavefront6targetE0EEEvT1_ ; -- Begin function _ZN7rocprim17ROCPRIM_400000_NS6detail17trampoline_kernelINS0_14default_configENS1_20scan_config_selectorIN3c108BFloat16EEEZZNS1_9scan_implILNS1_25lookback_scan_determinismE0ELb0ELb0ES3_PKS6_PS6_S6_ZZZN2at6native31launch_logcumsumexp_cuda_kernelERKNSD_10TensorBaseESH_lENKUlvE_clEvENKUlvE4_clEvEUlS6_S6_E_S6_EEDaPvRmT3_T4_T5_mT6_P12ihipStream_tbENKUlT_T0_E_clISt17integral_constantIbLb1EESY_EEDaST_SU_EUlST_E_NS1_11comp_targetILNS1_3genE3ELNS1_11target_archE908ELNS1_3gpuE7ELNS1_3repE0EEENS1_30default_config_static_selectorELNS0_4arch9wavefront6targetE0EEEvT1_
	.p2align	8
	.type	_ZN7rocprim17ROCPRIM_400000_NS6detail17trampoline_kernelINS0_14default_configENS1_20scan_config_selectorIN3c108BFloat16EEEZZNS1_9scan_implILNS1_25lookback_scan_determinismE0ELb0ELb0ES3_PKS6_PS6_S6_ZZZN2at6native31launch_logcumsumexp_cuda_kernelERKNSD_10TensorBaseESH_lENKUlvE_clEvENKUlvE4_clEvEUlS6_S6_E_S6_EEDaPvRmT3_T4_T5_mT6_P12ihipStream_tbENKUlT_T0_E_clISt17integral_constantIbLb1EESY_EEDaST_SU_EUlST_E_NS1_11comp_targetILNS1_3genE3ELNS1_11target_archE908ELNS1_3gpuE7ELNS1_3repE0EEENS1_30default_config_static_selectorELNS0_4arch9wavefront6targetE0EEEvT1_,@function
_ZN7rocprim17ROCPRIM_400000_NS6detail17trampoline_kernelINS0_14default_configENS1_20scan_config_selectorIN3c108BFloat16EEEZZNS1_9scan_implILNS1_25lookback_scan_determinismE0ELb0ELb0ES3_PKS6_PS6_S6_ZZZN2at6native31launch_logcumsumexp_cuda_kernelERKNSD_10TensorBaseESH_lENKUlvE_clEvENKUlvE4_clEvEUlS6_S6_E_S6_EEDaPvRmT3_T4_T5_mT6_P12ihipStream_tbENKUlT_T0_E_clISt17integral_constantIbLb1EESY_EEDaST_SU_EUlST_E_NS1_11comp_targetILNS1_3genE3ELNS1_11target_archE908ELNS1_3gpuE7ELNS1_3repE0EEENS1_30default_config_static_selectorELNS0_4arch9wavefront6targetE0EEEvT1_: ; @_ZN7rocprim17ROCPRIM_400000_NS6detail17trampoline_kernelINS0_14default_configENS1_20scan_config_selectorIN3c108BFloat16EEEZZNS1_9scan_implILNS1_25lookback_scan_determinismE0ELb0ELb0ES3_PKS6_PS6_S6_ZZZN2at6native31launch_logcumsumexp_cuda_kernelERKNSD_10TensorBaseESH_lENKUlvE_clEvENKUlvE4_clEvEUlS6_S6_E_S6_EEDaPvRmT3_T4_T5_mT6_P12ihipStream_tbENKUlT_T0_E_clISt17integral_constantIbLb1EESY_EEDaST_SU_EUlST_E_NS1_11comp_targetILNS1_3genE3ELNS1_11target_archE908ELNS1_3gpuE7ELNS1_3repE0EEENS1_30default_config_static_selectorELNS0_4arch9wavefront6targetE0EEEvT1_
; %bb.0:
	.section	.rodata,"a",@progbits
	.p2align	6, 0x0
	.amdhsa_kernel _ZN7rocprim17ROCPRIM_400000_NS6detail17trampoline_kernelINS0_14default_configENS1_20scan_config_selectorIN3c108BFloat16EEEZZNS1_9scan_implILNS1_25lookback_scan_determinismE0ELb0ELb0ES3_PKS6_PS6_S6_ZZZN2at6native31launch_logcumsumexp_cuda_kernelERKNSD_10TensorBaseESH_lENKUlvE_clEvENKUlvE4_clEvEUlS6_S6_E_S6_EEDaPvRmT3_T4_T5_mT6_P12ihipStream_tbENKUlT_T0_E_clISt17integral_constantIbLb1EESY_EEDaST_SU_EUlST_E_NS1_11comp_targetILNS1_3genE3ELNS1_11target_archE908ELNS1_3gpuE7ELNS1_3repE0EEENS1_30default_config_static_selectorELNS0_4arch9wavefront6targetE0EEEvT1_
		.amdhsa_group_segment_fixed_size 0
		.amdhsa_private_segment_fixed_size 0
		.amdhsa_kernarg_size 96
		.amdhsa_user_sgpr_count 15
		.amdhsa_user_sgpr_dispatch_ptr 0
		.amdhsa_user_sgpr_queue_ptr 0
		.amdhsa_user_sgpr_kernarg_segment_ptr 1
		.amdhsa_user_sgpr_dispatch_id 0
		.amdhsa_user_sgpr_private_segment_size 0
		.amdhsa_wavefront_size32 1
		.amdhsa_uses_dynamic_stack 0
		.amdhsa_enable_private_segment 0
		.amdhsa_system_sgpr_workgroup_id_x 1
		.amdhsa_system_sgpr_workgroup_id_y 0
		.amdhsa_system_sgpr_workgroup_id_z 0
		.amdhsa_system_sgpr_workgroup_info 0
		.amdhsa_system_vgpr_workitem_id 0
		.amdhsa_next_free_vgpr 1
		.amdhsa_next_free_sgpr 1
		.amdhsa_reserve_vcc 0
		.amdhsa_float_round_mode_32 0
		.amdhsa_float_round_mode_16_64 0
		.amdhsa_float_denorm_mode_32 3
		.amdhsa_float_denorm_mode_16_64 3
		.amdhsa_dx10_clamp 1
		.amdhsa_ieee_mode 1
		.amdhsa_fp16_overflow 0
		.amdhsa_workgroup_processor_mode 1
		.amdhsa_memory_ordered 1
		.amdhsa_forward_progress 0
		.amdhsa_shared_vgpr_count 0
		.amdhsa_exception_fp_ieee_invalid_op 0
		.amdhsa_exception_fp_denorm_src 0
		.amdhsa_exception_fp_ieee_div_zero 0
		.amdhsa_exception_fp_ieee_overflow 0
		.amdhsa_exception_fp_ieee_underflow 0
		.amdhsa_exception_fp_ieee_inexact 0
		.amdhsa_exception_int_div_zero 0
	.end_amdhsa_kernel
	.section	.text._ZN7rocprim17ROCPRIM_400000_NS6detail17trampoline_kernelINS0_14default_configENS1_20scan_config_selectorIN3c108BFloat16EEEZZNS1_9scan_implILNS1_25lookback_scan_determinismE0ELb0ELb0ES3_PKS6_PS6_S6_ZZZN2at6native31launch_logcumsumexp_cuda_kernelERKNSD_10TensorBaseESH_lENKUlvE_clEvENKUlvE4_clEvEUlS6_S6_E_S6_EEDaPvRmT3_T4_T5_mT6_P12ihipStream_tbENKUlT_T0_E_clISt17integral_constantIbLb1EESY_EEDaST_SU_EUlST_E_NS1_11comp_targetILNS1_3genE3ELNS1_11target_archE908ELNS1_3gpuE7ELNS1_3repE0EEENS1_30default_config_static_selectorELNS0_4arch9wavefront6targetE0EEEvT1_,"axG",@progbits,_ZN7rocprim17ROCPRIM_400000_NS6detail17trampoline_kernelINS0_14default_configENS1_20scan_config_selectorIN3c108BFloat16EEEZZNS1_9scan_implILNS1_25lookback_scan_determinismE0ELb0ELb0ES3_PKS6_PS6_S6_ZZZN2at6native31launch_logcumsumexp_cuda_kernelERKNSD_10TensorBaseESH_lENKUlvE_clEvENKUlvE4_clEvEUlS6_S6_E_S6_EEDaPvRmT3_T4_T5_mT6_P12ihipStream_tbENKUlT_T0_E_clISt17integral_constantIbLb1EESY_EEDaST_SU_EUlST_E_NS1_11comp_targetILNS1_3genE3ELNS1_11target_archE908ELNS1_3gpuE7ELNS1_3repE0EEENS1_30default_config_static_selectorELNS0_4arch9wavefront6targetE0EEEvT1_,comdat
.Lfunc_end477:
	.size	_ZN7rocprim17ROCPRIM_400000_NS6detail17trampoline_kernelINS0_14default_configENS1_20scan_config_selectorIN3c108BFloat16EEEZZNS1_9scan_implILNS1_25lookback_scan_determinismE0ELb0ELb0ES3_PKS6_PS6_S6_ZZZN2at6native31launch_logcumsumexp_cuda_kernelERKNSD_10TensorBaseESH_lENKUlvE_clEvENKUlvE4_clEvEUlS6_S6_E_S6_EEDaPvRmT3_T4_T5_mT6_P12ihipStream_tbENKUlT_T0_E_clISt17integral_constantIbLb1EESY_EEDaST_SU_EUlST_E_NS1_11comp_targetILNS1_3genE3ELNS1_11target_archE908ELNS1_3gpuE7ELNS1_3repE0EEENS1_30default_config_static_selectorELNS0_4arch9wavefront6targetE0EEEvT1_, .Lfunc_end477-_ZN7rocprim17ROCPRIM_400000_NS6detail17trampoline_kernelINS0_14default_configENS1_20scan_config_selectorIN3c108BFloat16EEEZZNS1_9scan_implILNS1_25lookback_scan_determinismE0ELb0ELb0ES3_PKS6_PS6_S6_ZZZN2at6native31launch_logcumsumexp_cuda_kernelERKNSD_10TensorBaseESH_lENKUlvE_clEvENKUlvE4_clEvEUlS6_S6_E_S6_EEDaPvRmT3_T4_T5_mT6_P12ihipStream_tbENKUlT_T0_E_clISt17integral_constantIbLb1EESY_EEDaST_SU_EUlST_E_NS1_11comp_targetILNS1_3genE3ELNS1_11target_archE908ELNS1_3gpuE7ELNS1_3repE0EEENS1_30default_config_static_selectorELNS0_4arch9wavefront6targetE0EEEvT1_
                                        ; -- End function
	.section	.AMDGPU.csdata,"",@progbits
; Kernel info:
; codeLenInByte = 0
; NumSgprs: 0
; NumVgprs: 0
; ScratchSize: 0
; MemoryBound: 0
; FloatMode: 240
; IeeeMode: 1
; LDSByteSize: 0 bytes/workgroup (compile time only)
; SGPRBlocks: 0
; VGPRBlocks: 0
; NumSGPRsForWavesPerEU: 1
; NumVGPRsForWavesPerEU: 1
; Occupancy: 16
; WaveLimiterHint : 0
; COMPUTE_PGM_RSRC2:SCRATCH_EN: 0
; COMPUTE_PGM_RSRC2:USER_SGPR: 15
; COMPUTE_PGM_RSRC2:TRAP_HANDLER: 0
; COMPUTE_PGM_RSRC2:TGID_X_EN: 1
; COMPUTE_PGM_RSRC2:TGID_Y_EN: 0
; COMPUTE_PGM_RSRC2:TGID_Z_EN: 0
; COMPUTE_PGM_RSRC2:TIDIG_COMP_CNT: 0
	.section	.text._ZN7rocprim17ROCPRIM_400000_NS6detail17trampoline_kernelINS0_14default_configENS1_20scan_config_selectorIN3c108BFloat16EEEZZNS1_9scan_implILNS1_25lookback_scan_determinismE0ELb0ELb0ES3_PKS6_PS6_S6_ZZZN2at6native31launch_logcumsumexp_cuda_kernelERKNSD_10TensorBaseESH_lENKUlvE_clEvENKUlvE4_clEvEUlS6_S6_E_S6_EEDaPvRmT3_T4_T5_mT6_P12ihipStream_tbENKUlT_T0_E_clISt17integral_constantIbLb1EESY_EEDaST_SU_EUlST_E_NS1_11comp_targetILNS1_3genE2ELNS1_11target_archE906ELNS1_3gpuE6ELNS1_3repE0EEENS1_30default_config_static_selectorELNS0_4arch9wavefront6targetE0EEEvT1_,"axG",@progbits,_ZN7rocprim17ROCPRIM_400000_NS6detail17trampoline_kernelINS0_14default_configENS1_20scan_config_selectorIN3c108BFloat16EEEZZNS1_9scan_implILNS1_25lookback_scan_determinismE0ELb0ELb0ES3_PKS6_PS6_S6_ZZZN2at6native31launch_logcumsumexp_cuda_kernelERKNSD_10TensorBaseESH_lENKUlvE_clEvENKUlvE4_clEvEUlS6_S6_E_S6_EEDaPvRmT3_T4_T5_mT6_P12ihipStream_tbENKUlT_T0_E_clISt17integral_constantIbLb1EESY_EEDaST_SU_EUlST_E_NS1_11comp_targetILNS1_3genE2ELNS1_11target_archE906ELNS1_3gpuE6ELNS1_3repE0EEENS1_30default_config_static_selectorELNS0_4arch9wavefront6targetE0EEEvT1_,comdat
	.globl	_ZN7rocprim17ROCPRIM_400000_NS6detail17trampoline_kernelINS0_14default_configENS1_20scan_config_selectorIN3c108BFloat16EEEZZNS1_9scan_implILNS1_25lookback_scan_determinismE0ELb0ELb0ES3_PKS6_PS6_S6_ZZZN2at6native31launch_logcumsumexp_cuda_kernelERKNSD_10TensorBaseESH_lENKUlvE_clEvENKUlvE4_clEvEUlS6_S6_E_S6_EEDaPvRmT3_T4_T5_mT6_P12ihipStream_tbENKUlT_T0_E_clISt17integral_constantIbLb1EESY_EEDaST_SU_EUlST_E_NS1_11comp_targetILNS1_3genE2ELNS1_11target_archE906ELNS1_3gpuE6ELNS1_3repE0EEENS1_30default_config_static_selectorELNS0_4arch9wavefront6targetE0EEEvT1_ ; -- Begin function _ZN7rocprim17ROCPRIM_400000_NS6detail17trampoline_kernelINS0_14default_configENS1_20scan_config_selectorIN3c108BFloat16EEEZZNS1_9scan_implILNS1_25lookback_scan_determinismE0ELb0ELb0ES3_PKS6_PS6_S6_ZZZN2at6native31launch_logcumsumexp_cuda_kernelERKNSD_10TensorBaseESH_lENKUlvE_clEvENKUlvE4_clEvEUlS6_S6_E_S6_EEDaPvRmT3_T4_T5_mT6_P12ihipStream_tbENKUlT_T0_E_clISt17integral_constantIbLb1EESY_EEDaST_SU_EUlST_E_NS1_11comp_targetILNS1_3genE2ELNS1_11target_archE906ELNS1_3gpuE6ELNS1_3repE0EEENS1_30default_config_static_selectorELNS0_4arch9wavefront6targetE0EEEvT1_
	.p2align	8
	.type	_ZN7rocprim17ROCPRIM_400000_NS6detail17trampoline_kernelINS0_14default_configENS1_20scan_config_selectorIN3c108BFloat16EEEZZNS1_9scan_implILNS1_25lookback_scan_determinismE0ELb0ELb0ES3_PKS6_PS6_S6_ZZZN2at6native31launch_logcumsumexp_cuda_kernelERKNSD_10TensorBaseESH_lENKUlvE_clEvENKUlvE4_clEvEUlS6_S6_E_S6_EEDaPvRmT3_T4_T5_mT6_P12ihipStream_tbENKUlT_T0_E_clISt17integral_constantIbLb1EESY_EEDaST_SU_EUlST_E_NS1_11comp_targetILNS1_3genE2ELNS1_11target_archE906ELNS1_3gpuE6ELNS1_3repE0EEENS1_30default_config_static_selectorELNS0_4arch9wavefront6targetE0EEEvT1_,@function
_ZN7rocprim17ROCPRIM_400000_NS6detail17trampoline_kernelINS0_14default_configENS1_20scan_config_selectorIN3c108BFloat16EEEZZNS1_9scan_implILNS1_25lookback_scan_determinismE0ELb0ELb0ES3_PKS6_PS6_S6_ZZZN2at6native31launch_logcumsumexp_cuda_kernelERKNSD_10TensorBaseESH_lENKUlvE_clEvENKUlvE4_clEvEUlS6_S6_E_S6_EEDaPvRmT3_T4_T5_mT6_P12ihipStream_tbENKUlT_T0_E_clISt17integral_constantIbLb1EESY_EEDaST_SU_EUlST_E_NS1_11comp_targetILNS1_3genE2ELNS1_11target_archE906ELNS1_3gpuE6ELNS1_3repE0EEENS1_30default_config_static_selectorELNS0_4arch9wavefront6targetE0EEEvT1_: ; @_ZN7rocprim17ROCPRIM_400000_NS6detail17trampoline_kernelINS0_14default_configENS1_20scan_config_selectorIN3c108BFloat16EEEZZNS1_9scan_implILNS1_25lookback_scan_determinismE0ELb0ELb0ES3_PKS6_PS6_S6_ZZZN2at6native31launch_logcumsumexp_cuda_kernelERKNSD_10TensorBaseESH_lENKUlvE_clEvENKUlvE4_clEvEUlS6_S6_E_S6_EEDaPvRmT3_T4_T5_mT6_P12ihipStream_tbENKUlT_T0_E_clISt17integral_constantIbLb1EESY_EEDaST_SU_EUlST_E_NS1_11comp_targetILNS1_3genE2ELNS1_11target_archE906ELNS1_3gpuE6ELNS1_3repE0EEENS1_30default_config_static_selectorELNS0_4arch9wavefront6targetE0EEEvT1_
; %bb.0:
	.section	.rodata,"a",@progbits
	.p2align	6, 0x0
	.amdhsa_kernel _ZN7rocprim17ROCPRIM_400000_NS6detail17trampoline_kernelINS0_14default_configENS1_20scan_config_selectorIN3c108BFloat16EEEZZNS1_9scan_implILNS1_25lookback_scan_determinismE0ELb0ELb0ES3_PKS6_PS6_S6_ZZZN2at6native31launch_logcumsumexp_cuda_kernelERKNSD_10TensorBaseESH_lENKUlvE_clEvENKUlvE4_clEvEUlS6_S6_E_S6_EEDaPvRmT3_T4_T5_mT6_P12ihipStream_tbENKUlT_T0_E_clISt17integral_constantIbLb1EESY_EEDaST_SU_EUlST_E_NS1_11comp_targetILNS1_3genE2ELNS1_11target_archE906ELNS1_3gpuE6ELNS1_3repE0EEENS1_30default_config_static_selectorELNS0_4arch9wavefront6targetE0EEEvT1_
		.amdhsa_group_segment_fixed_size 0
		.amdhsa_private_segment_fixed_size 0
		.amdhsa_kernarg_size 96
		.amdhsa_user_sgpr_count 15
		.amdhsa_user_sgpr_dispatch_ptr 0
		.amdhsa_user_sgpr_queue_ptr 0
		.amdhsa_user_sgpr_kernarg_segment_ptr 1
		.amdhsa_user_sgpr_dispatch_id 0
		.amdhsa_user_sgpr_private_segment_size 0
		.amdhsa_wavefront_size32 1
		.amdhsa_uses_dynamic_stack 0
		.amdhsa_enable_private_segment 0
		.amdhsa_system_sgpr_workgroup_id_x 1
		.amdhsa_system_sgpr_workgroup_id_y 0
		.amdhsa_system_sgpr_workgroup_id_z 0
		.amdhsa_system_sgpr_workgroup_info 0
		.amdhsa_system_vgpr_workitem_id 0
		.amdhsa_next_free_vgpr 1
		.amdhsa_next_free_sgpr 1
		.amdhsa_reserve_vcc 0
		.amdhsa_float_round_mode_32 0
		.amdhsa_float_round_mode_16_64 0
		.amdhsa_float_denorm_mode_32 3
		.amdhsa_float_denorm_mode_16_64 3
		.amdhsa_dx10_clamp 1
		.amdhsa_ieee_mode 1
		.amdhsa_fp16_overflow 0
		.amdhsa_workgroup_processor_mode 1
		.amdhsa_memory_ordered 1
		.amdhsa_forward_progress 0
		.amdhsa_shared_vgpr_count 0
		.amdhsa_exception_fp_ieee_invalid_op 0
		.amdhsa_exception_fp_denorm_src 0
		.amdhsa_exception_fp_ieee_div_zero 0
		.amdhsa_exception_fp_ieee_overflow 0
		.amdhsa_exception_fp_ieee_underflow 0
		.amdhsa_exception_fp_ieee_inexact 0
		.amdhsa_exception_int_div_zero 0
	.end_amdhsa_kernel
	.section	.text._ZN7rocprim17ROCPRIM_400000_NS6detail17trampoline_kernelINS0_14default_configENS1_20scan_config_selectorIN3c108BFloat16EEEZZNS1_9scan_implILNS1_25lookback_scan_determinismE0ELb0ELb0ES3_PKS6_PS6_S6_ZZZN2at6native31launch_logcumsumexp_cuda_kernelERKNSD_10TensorBaseESH_lENKUlvE_clEvENKUlvE4_clEvEUlS6_S6_E_S6_EEDaPvRmT3_T4_T5_mT6_P12ihipStream_tbENKUlT_T0_E_clISt17integral_constantIbLb1EESY_EEDaST_SU_EUlST_E_NS1_11comp_targetILNS1_3genE2ELNS1_11target_archE906ELNS1_3gpuE6ELNS1_3repE0EEENS1_30default_config_static_selectorELNS0_4arch9wavefront6targetE0EEEvT1_,"axG",@progbits,_ZN7rocprim17ROCPRIM_400000_NS6detail17trampoline_kernelINS0_14default_configENS1_20scan_config_selectorIN3c108BFloat16EEEZZNS1_9scan_implILNS1_25lookback_scan_determinismE0ELb0ELb0ES3_PKS6_PS6_S6_ZZZN2at6native31launch_logcumsumexp_cuda_kernelERKNSD_10TensorBaseESH_lENKUlvE_clEvENKUlvE4_clEvEUlS6_S6_E_S6_EEDaPvRmT3_T4_T5_mT6_P12ihipStream_tbENKUlT_T0_E_clISt17integral_constantIbLb1EESY_EEDaST_SU_EUlST_E_NS1_11comp_targetILNS1_3genE2ELNS1_11target_archE906ELNS1_3gpuE6ELNS1_3repE0EEENS1_30default_config_static_selectorELNS0_4arch9wavefront6targetE0EEEvT1_,comdat
.Lfunc_end478:
	.size	_ZN7rocprim17ROCPRIM_400000_NS6detail17trampoline_kernelINS0_14default_configENS1_20scan_config_selectorIN3c108BFloat16EEEZZNS1_9scan_implILNS1_25lookback_scan_determinismE0ELb0ELb0ES3_PKS6_PS6_S6_ZZZN2at6native31launch_logcumsumexp_cuda_kernelERKNSD_10TensorBaseESH_lENKUlvE_clEvENKUlvE4_clEvEUlS6_S6_E_S6_EEDaPvRmT3_T4_T5_mT6_P12ihipStream_tbENKUlT_T0_E_clISt17integral_constantIbLb1EESY_EEDaST_SU_EUlST_E_NS1_11comp_targetILNS1_3genE2ELNS1_11target_archE906ELNS1_3gpuE6ELNS1_3repE0EEENS1_30default_config_static_selectorELNS0_4arch9wavefront6targetE0EEEvT1_, .Lfunc_end478-_ZN7rocprim17ROCPRIM_400000_NS6detail17trampoline_kernelINS0_14default_configENS1_20scan_config_selectorIN3c108BFloat16EEEZZNS1_9scan_implILNS1_25lookback_scan_determinismE0ELb0ELb0ES3_PKS6_PS6_S6_ZZZN2at6native31launch_logcumsumexp_cuda_kernelERKNSD_10TensorBaseESH_lENKUlvE_clEvENKUlvE4_clEvEUlS6_S6_E_S6_EEDaPvRmT3_T4_T5_mT6_P12ihipStream_tbENKUlT_T0_E_clISt17integral_constantIbLb1EESY_EEDaST_SU_EUlST_E_NS1_11comp_targetILNS1_3genE2ELNS1_11target_archE906ELNS1_3gpuE6ELNS1_3repE0EEENS1_30default_config_static_selectorELNS0_4arch9wavefront6targetE0EEEvT1_
                                        ; -- End function
	.section	.AMDGPU.csdata,"",@progbits
; Kernel info:
; codeLenInByte = 0
; NumSgprs: 0
; NumVgprs: 0
; ScratchSize: 0
; MemoryBound: 0
; FloatMode: 240
; IeeeMode: 1
; LDSByteSize: 0 bytes/workgroup (compile time only)
; SGPRBlocks: 0
; VGPRBlocks: 0
; NumSGPRsForWavesPerEU: 1
; NumVGPRsForWavesPerEU: 1
; Occupancy: 16
; WaveLimiterHint : 0
; COMPUTE_PGM_RSRC2:SCRATCH_EN: 0
; COMPUTE_PGM_RSRC2:USER_SGPR: 15
; COMPUTE_PGM_RSRC2:TRAP_HANDLER: 0
; COMPUTE_PGM_RSRC2:TGID_X_EN: 1
; COMPUTE_PGM_RSRC2:TGID_Y_EN: 0
; COMPUTE_PGM_RSRC2:TGID_Z_EN: 0
; COMPUTE_PGM_RSRC2:TIDIG_COMP_CNT: 0
	.section	.text._ZN7rocprim17ROCPRIM_400000_NS6detail17trampoline_kernelINS0_14default_configENS1_20scan_config_selectorIN3c108BFloat16EEEZZNS1_9scan_implILNS1_25lookback_scan_determinismE0ELb0ELb0ES3_PKS6_PS6_S6_ZZZN2at6native31launch_logcumsumexp_cuda_kernelERKNSD_10TensorBaseESH_lENKUlvE_clEvENKUlvE4_clEvEUlS6_S6_E_S6_EEDaPvRmT3_T4_T5_mT6_P12ihipStream_tbENKUlT_T0_E_clISt17integral_constantIbLb1EESY_EEDaST_SU_EUlST_E_NS1_11comp_targetILNS1_3genE10ELNS1_11target_archE1201ELNS1_3gpuE5ELNS1_3repE0EEENS1_30default_config_static_selectorELNS0_4arch9wavefront6targetE0EEEvT1_,"axG",@progbits,_ZN7rocprim17ROCPRIM_400000_NS6detail17trampoline_kernelINS0_14default_configENS1_20scan_config_selectorIN3c108BFloat16EEEZZNS1_9scan_implILNS1_25lookback_scan_determinismE0ELb0ELb0ES3_PKS6_PS6_S6_ZZZN2at6native31launch_logcumsumexp_cuda_kernelERKNSD_10TensorBaseESH_lENKUlvE_clEvENKUlvE4_clEvEUlS6_S6_E_S6_EEDaPvRmT3_T4_T5_mT6_P12ihipStream_tbENKUlT_T0_E_clISt17integral_constantIbLb1EESY_EEDaST_SU_EUlST_E_NS1_11comp_targetILNS1_3genE10ELNS1_11target_archE1201ELNS1_3gpuE5ELNS1_3repE0EEENS1_30default_config_static_selectorELNS0_4arch9wavefront6targetE0EEEvT1_,comdat
	.globl	_ZN7rocprim17ROCPRIM_400000_NS6detail17trampoline_kernelINS0_14default_configENS1_20scan_config_selectorIN3c108BFloat16EEEZZNS1_9scan_implILNS1_25lookback_scan_determinismE0ELb0ELb0ES3_PKS6_PS6_S6_ZZZN2at6native31launch_logcumsumexp_cuda_kernelERKNSD_10TensorBaseESH_lENKUlvE_clEvENKUlvE4_clEvEUlS6_S6_E_S6_EEDaPvRmT3_T4_T5_mT6_P12ihipStream_tbENKUlT_T0_E_clISt17integral_constantIbLb1EESY_EEDaST_SU_EUlST_E_NS1_11comp_targetILNS1_3genE10ELNS1_11target_archE1201ELNS1_3gpuE5ELNS1_3repE0EEENS1_30default_config_static_selectorELNS0_4arch9wavefront6targetE0EEEvT1_ ; -- Begin function _ZN7rocprim17ROCPRIM_400000_NS6detail17trampoline_kernelINS0_14default_configENS1_20scan_config_selectorIN3c108BFloat16EEEZZNS1_9scan_implILNS1_25lookback_scan_determinismE0ELb0ELb0ES3_PKS6_PS6_S6_ZZZN2at6native31launch_logcumsumexp_cuda_kernelERKNSD_10TensorBaseESH_lENKUlvE_clEvENKUlvE4_clEvEUlS6_S6_E_S6_EEDaPvRmT3_T4_T5_mT6_P12ihipStream_tbENKUlT_T0_E_clISt17integral_constantIbLb1EESY_EEDaST_SU_EUlST_E_NS1_11comp_targetILNS1_3genE10ELNS1_11target_archE1201ELNS1_3gpuE5ELNS1_3repE0EEENS1_30default_config_static_selectorELNS0_4arch9wavefront6targetE0EEEvT1_
	.p2align	8
	.type	_ZN7rocprim17ROCPRIM_400000_NS6detail17trampoline_kernelINS0_14default_configENS1_20scan_config_selectorIN3c108BFloat16EEEZZNS1_9scan_implILNS1_25lookback_scan_determinismE0ELb0ELb0ES3_PKS6_PS6_S6_ZZZN2at6native31launch_logcumsumexp_cuda_kernelERKNSD_10TensorBaseESH_lENKUlvE_clEvENKUlvE4_clEvEUlS6_S6_E_S6_EEDaPvRmT3_T4_T5_mT6_P12ihipStream_tbENKUlT_T0_E_clISt17integral_constantIbLb1EESY_EEDaST_SU_EUlST_E_NS1_11comp_targetILNS1_3genE10ELNS1_11target_archE1201ELNS1_3gpuE5ELNS1_3repE0EEENS1_30default_config_static_selectorELNS0_4arch9wavefront6targetE0EEEvT1_,@function
_ZN7rocprim17ROCPRIM_400000_NS6detail17trampoline_kernelINS0_14default_configENS1_20scan_config_selectorIN3c108BFloat16EEEZZNS1_9scan_implILNS1_25lookback_scan_determinismE0ELb0ELb0ES3_PKS6_PS6_S6_ZZZN2at6native31launch_logcumsumexp_cuda_kernelERKNSD_10TensorBaseESH_lENKUlvE_clEvENKUlvE4_clEvEUlS6_S6_E_S6_EEDaPvRmT3_T4_T5_mT6_P12ihipStream_tbENKUlT_T0_E_clISt17integral_constantIbLb1EESY_EEDaST_SU_EUlST_E_NS1_11comp_targetILNS1_3genE10ELNS1_11target_archE1201ELNS1_3gpuE5ELNS1_3repE0EEENS1_30default_config_static_selectorELNS0_4arch9wavefront6targetE0EEEvT1_: ; @_ZN7rocprim17ROCPRIM_400000_NS6detail17trampoline_kernelINS0_14default_configENS1_20scan_config_selectorIN3c108BFloat16EEEZZNS1_9scan_implILNS1_25lookback_scan_determinismE0ELb0ELb0ES3_PKS6_PS6_S6_ZZZN2at6native31launch_logcumsumexp_cuda_kernelERKNSD_10TensorBaseESH_lENKUlvE_clEvENKUlvE4_clEvEUlS6_S6_E_S6_EEDaPvRmT3_T4_T5_mT6_P12ihipStream_tbENKUlT_T0_E_clISt17integral_constantIbLb1EESY_EEDaST_SU_EUlST_E_NS1_11comp_targetILNS1_3genE10ELNS1_11target_archE1201ELNS1_3gpuE5ELNS1_3repE0EEENS1_30default_config_static_selectorELNS0_4arch9wavefront6targetE0EEEvT1_
; %bb.0:
	.section	.rodata,"a",@progbits
	.p2align	6, 0x0
	.amdhsa_kernel _ZN7rocprim17ROCPRIM_400000_NS6detail17trampoline_kernelINS0_14default_configENS1_20scan_config_selectorIN3c108BFloat16EEEZZNS1_9scan_implILNS1_25lookback_scan_determinismE0ELb0ELb0ES3_PKS6_PS6_S6_ZZZN2at6native31launch_logcumsumexp_cuda_kernelERKNSD_10TensorBaseESH_lENKUlvE_clEvENKUlvE4_clEvEUlS6_S6_E_S6_EEDaPvRmT3_T4_T5_mT6_P12ihipStream_tbENKUlT_T0_E_clISt17integral_constantIbLb1EESY_EEDaST_SU_EUlST_E_NS1_11comp_targetILNS1_3genE10ELNS1_11target_archE1201ELNS1_3gpuE5ELNS1_3repE0EEENS1_30default_config_static_selectorELNS0_4arch9wavefront6targetE0EEEvT1_
		.amdhsa_group_segment_fixed_size 0
		.amdhsa_private_segment_fixed_size 0
		.amdhsa_kernarg_size 96
		.amdhsa_user_sgpr_count 15
		.amdhsa_user_sgpr_dispatch_ptr 0
		.amdhsa_user_sgpr_queue_ptr 0
		.amdhsa_user_sgpr_kernarg_segment_ptr 1
		.amdhsa_user_sgpr_dispatch_id 0
		.amdhsa_user_sgpr_private_segment_size 0
		.amdhsa_wavefront_size32 1
		.amdhsa_uses_dynamic_stack 0
		.amdhsa_enable_private_segment 0
		.amdhsa_system_sgpr_workgroup_id_x 1
		.amdhsa_system_sgpr_workgroup_id_y 0
		.amdhsa_system_sgpr_workgroup_id_z 0
		.amdhsa_system_sgpr_workgroup_info 0
		.amdhsa_system_vgpr_workitem_id 0
		.amdhsa_next_free_vgpr 1
		.amdhsa_next_free_sgpr 1
		.amdhsa_reserve_vcc 0
		.amdhsa_float_round_mode_32 0
		.amdhsa_float_round_mode_16_64 0
		.amdhsa_float_denorm_mode_32 3
		.amdhsa_float_denorm_mode_16_64 3
		.amdhsa_dx10_clamp 1
		.amdhsa_ieee_mode 1
		.amdhsa_fp16_overflow 0
		.amdhsa_workgroup_processor_mode 1
		.amdhsa_memory_ordered 1
		.amdhsa_forward_progress 0
		.amdhsa_shared_vgpr_count 0
		.amdhsa_exception_fp_ieee_invalid_op 0
		.amdhsa_exception_fp_denorm_src 0
		.amdhsa_exception_fp_ieee_div_zero 0
		.amdhsa_exception_fp_ieee_overflow 0
		.amdhsa_exception_fp_ieee_underflow 0
		.amdhsa_exception_fp_ieee_inexact 0
		.amdhsa_exception_int_div_zero 0
	.end_amdhsa_kernel
	.section	.text._ZN7rocprim17ROCPRIM_400000_NS6detail17trampoline_kernelINS0_14default_configENS1_20scan_config_selectorIN3c108BFloat16EEEZZNS1_9scan_implILNS1_25lookback_scan_determinismE0ELb0ELb0ES3_PKS6_PS6_S6_ZZZN2at6native31launch_logcumsumexp_cuda_kernelERKNSD_10TensorBaseESH_lENKUlvE_clEvENKUlvE4_clEvEUlS6_S6_E_S6_EEDaPvRmT3_T4_T5_mT6_P12ihipStream_tbENKUlT_T0_E_clISt17integral_constantIbLb1EESY_EEDaST_SU_EUlST_E_NS1_11comp_targetILNS1_3genE10ELNS1_11target_archE1201ELNS1_3gpuE5ELNS1_3repE0EEENS1_30default_config_static_selectorELNS0_4arch9wavefront6targetE0EEEvT1_,"axG",@progbits,_ZN7rocprim17ROCPRIM_400000_NS6detail17trampoline_kernelINS0_14default_configENS1_20scan_config_selectorIN3c108BFloat16EEEZZNS1_9scan_implILNS1_25lookback_scan_determinismE0ELb0ELb0ES3_PKS6_PS6_S6_ZZZN2at6native31launch_logcumsumexp_cuda_kernelERKNSD_10TensorBaseESH_lENKUlvE_clEvENKUlvE4_clEvEUlS6_S6_E_S6_EEDaPvRmT3_T4_T5_mT6_P12ihipStream_tbENKUlT_T0_E_clISt17integral_constantIbLb1EESY_EEDaST_SU_EUlST_E_NS1_11comp_targetILNS1_3genE10ELNS1_11target_archE1201ELNS1_3gpuE5ELNS1_3repE0EEENS1_30default_config_static_selectorELNS0_4arch9wavefront6targetE0EEEvT1_,comdat
.Lfunc_end479:
	.size	_ZN7rocprim17ROCPRIM_400000_NS6detail17trampoline_kernelINS0_14default_configENS1_20scan_config_selectorIN3c108BFloat16EEEZZNS1_9scan_implILNS1_25lookback_scan_determinismE0ELb0ELb0ES3_PKS6_PS6_S6_ZZZN2at6native31launch_logcumsumexp_cuda_kernelERKNSD_10TensorBaseESH_lENKUlvE_clEvENKUlvE4_clEvEUlS6_S6_E_S6_EEDaPvRmT3_T4_T5_mT6_P12ihipStream_tbENKUlT_T0_E_clISt17integral_constantIbLb1EESY_EEDaST_SU_EUlST_E_NS1_11comp_targetILNS1_3genE10ELNS1_11target_archE1201ELNS1_3gpuE5ELNS1_3repE0EEENS1_30default_config_static_selectorELNS0_4arch9wavefront6targetE0EEEvT1_, .Lfunc_end479-_ZN7rocprim17ROCPRIM_400000_NS6detail17trampoline_kernelINS0_14default_configENS1_20scan_config_selectorIN3c108BFloat16EEEZZNS1_9scan_implILNS1_25lookback_scan_determinismE0ELb0ELb0ES3_PKS6_PS6_S6_ZZZN2at6native31launch_logcumsumexp_cuda_kernelERKNSD_10TensorBaseESH_lENKUlvE_clEvENKUlvE4_clEvEUlS6_S6_E_S6_EEDaPvRmT3_T4_T5_mT6_P12ihipStream_tbENKUlT_T0_E_clISt17integral_constantIbLb1EESY_EEDaST_SU_EUlST_E_NS1_11comp_targetILNS1_3genE10ELNS1_11target_archE1201ELNS1_3gpuE5ELNS1_3repE0EEENS1_30default_config_static_selectorELNS0_4arch9wavefront6targetE0EEEvT1_
                                        ; -- End function
	.section	.AMDGPU.csdata,"",@progbits
; Kernel info:
; codeLenInByte = 0
; NumSgprs: 0
; NumVgprs: 0
; ScratchSize: 0
; MemoryBound: 0
; FloatMode: 240
; IeeeMode: 1
; LDSByteSize: 0 bytes/workgroup (compile time only)
; SGPRBlocks: 0
; VGPRBlocks: 0
; NumSGPRsForWavesPerEU: 1
; NumVGPRsForWavesPerEU: 1
; Occupancy: 16
; WaveLimiterHint : 0
; COMPUTE_PGM_RSRC2:SCRATCH_EN: 0
; COMPUTE_PGM_RSRC2:USER_SGPR: 15
; COMPUTE_PGM_RSRC2:TRAP_HANDLER: 0
; COMPUTE_PGM_RSRC2:TGID_X_EN: 1
; COMPUTE_PGM_RSRC2:TGID_Y_EN: 0
; COMPUTE_PGM_RSRC2:TGID_Z_EN: 0
; COMPUTE_PGM_RSRC2:TIDIG_COMP_CNT: 0
	.section	.text._ZN7rocprim17ROCPRIM_400000_NS6detail17trampoline_kernelINS0_14default_configENS1_20scan_config_selectorIN3c108BFloat16EEEZZNS1_9scan_implILNS1_25lookback_scan_determinismE0ELb0ELb0ES3_PKS6_PS6_S6_ZZZN2at6native31launch_logcumsumexp_cuda_kernelERKNSD_10TensorBaseESH_lENKUlvE_clEvENKUlvE4_clEvEUlS6_S6_E_S6_EEDaPvRmT3_T4_T5_mT6_P12ihipStream_tbENKUlT_T0_E_clISt17integral_constantIbLb1EESY_EEDaST_SU_EUlST_E_NS1_11comp_targetILNS1_3genE10ELNS1_11target_archE1200ELNS1_3gpuE4ELNS1_3repE0EEENS1_30default_config_static_selectorELNS0_4arch9wavefront6targetE0EEEvT1_,"axG",@progbits,_ZN7rocprim17ROCPRIM_400000_NS6detail17trampoline_kernelINS0_14default_configENS1_20scan_config_selectorIN3c108BFloat16EEEZZNS1_9scan_implILNS1_25lookback_scan_determinismE0ELb0ELb0ES3_PKS6_PS6_S6_ZZZN2at6native31launch_logcumsumexp_cuda_kernelERKNSD_10TensorBaseESH_lENKUlvE_clEvENKUlvE4_clEvEUlS6_S6_E_S6_EEDaPvRmT3_T4_T5_mT6_P12ihipStream_tbENKUlT_T0_E_clISt17integral_constantIbLb1EESY_EEDaST_SU_EUlST_E_NS1_11comp_targetILNS1_3genE10ELNS1_11target_archE1200ELNS1_3gpuE4ELNS1_3repE0EEENS1_30default_config_static_selectorELNS0_4arch9wavefront6targetE0EEEvT1_,comdat
	.globl	_ZN7rocprim17ROCPRIM_400000_NS6detail17trampoline_kernelINS0_14default_configENS1_20scan_config_selectorIN3c108BFloat16EEEZZNS1_9scan_implILNS1_25lookback_scan_determinismE0ELb0ELb0ES3_PKS6_PS6_S6_ZZZN2at6native31launch_logcumsumexp_cuda_kernelERKNSD_10TensorBaseESH_lENKUlvE_clEvENKUlvE4_clEvEUlS6_S6_E_S6_EEDaPvRmT3_T4_T5_mT6_P12ihipStream_tbENKUlT_T0_E_clISt17integral_constantIbLb1EESY_EEDaST_SU_EUlST_E_NS1_11comp_targetILNS1_3genE10ELNS1_11target_archE1200ELNS1_3gpuE4ELNS1_3repE0EEENS1_30default_config_static_selectorELNS0_4arch9wavefront6targetE0EEEvT1_ ; -- Begin function _ZN7rocprim17ROCPRIM_400000_NS6detail17trampoline_kernelINS0_14default_configENS1_20scan_config_selectorIN3c108BFloat16EEEZZNS1_9scan_implILNS1_25lookback_scan_determinismE0ELb0ELb0ES3_PKS6_PS6_S6_ZZZN2at6native31launch_logcumsumexp_cuda_kernelERKNSD_10TensorBaseESH_lENKUlvE_clEvENKUlvE4_clEvEUlS6_S6_E_S6_EEDaPvRmT3_T4_T5_mT6_P12ihipStream_tbENKUlT_T0_E_clISt17integral_constantIbLb1EESY_EEDaST_SU_EUlST_E_NS1_11comp_targetILNS1_3genE10ELNS1_11target_archE1200ELNS1_3gpuE4ELNS1_3repE0EEENS1_30default_config_static_selectorELNS0_4arch9wavefront6targetE0EEEvT1_
	.p2align	8
	.type	_ZN7rocprim17ROCPRIM_400000_NS6detail17trampoline_kernelINS0_14default_configENS1_20scan_config_selectorIN3c108BFloat16EEEZZNS1_9scan_implILNS1_25lookback_scan_determinismE0ELb0ELb0ES3_PKS6_PS6_S6_ZZZN2at6native31launch_logcumsumexp_cuda_kernelERKNSD_10TensorBaseESH_lENKUlvE_clEvENKUlvE4_clEvEUlS6_S6_E_S6_EEDaPvRmT3_T4_T5_mT6_P12ihipStream_tbENKUlT_T0_E_clISt17integral_constantIbLb1EESY_EEDaST_SU_EUlST_E_NS1_11comp_targetILNS1_3genE10ELNS1_11target_archE1200ELNS1_3gpuE4ELNS1_3repE0EEENS1_30default_config_static_selectorELNS0_4arch9wavefront6targetE0EEEvT1_,@function
_ZN7rocprim17ROCPRIM_400000_NS6detail17trampoline_kernelINS0_14default_configENS1_20scan_config_selectorIN3c108BFloat16EEEZZNS1_9scan_implILNS1_25lookback_scan_determinismE0ELb0ELb0ES3_PKS6_PS6_S6_ZZZN2at6native31launch_logcumsumexp_cuda_kernelERKNSD_10TensorBaseESH_lENKUlvE_clEvENKUlvE4_clEvEUlS6_S6_E_S6_EEDaPvRmT3_T4_T5_mT6_P12ihipStream_tbENKUlT_T0_E_clISt17integral_constantIbLb1EESY_EEDaST_SU_EUlST_E_NS1_11comp_targetILNS1_3genE10ELNS1_11target_archE1200ELNS1_3gpuE4ELNS1_3repE0EEENS1_30default_config_static_selectorELNS0_4arch9wavefront6targetE0EEEvT1_: ; @_ZN7rocprim17ROCPRIM_400000_NS6detail17trampoline_kernelINS0_14default_configENS1_20scan_config_selectorIN3c108BFloat16EEEZZNS1_9scan_implILNS1_25lookback_scan_determinismE0ELb0ELb0ES3_PKS6_PS6_S6_ZZZN2at6native31launch_logcumsumexp_cuda_kernelERKNSD_10TensorBaseESH_lENKUlvE_clEvENKUlvE4_clEvEUlS6_S6_E_S6_EEDaPvRmT3_T4_T5_mT6_P12ihipStream_tbENKUlT_T0_E_clISt17integral_constantIbLb1EESY_EEDaST_SU_EUlST_E_NS1_11comp_targetILNS1_3genE10ELNS1_11target_archE1200ELNS1_3gpuE4ELNS1_3repE0EEENS1_30default_config_static_selectorELNS0_4arch9wavefront6targetE0EEEvT1_
; %bb.0:
	.section	.rodata,"a",@progbits
	.p2align	6, 0x0
	.amdhsa_kernel _ZN7rocprim17ROCPRIM_400000_NS6detail17trampoline_kernelINS0_14default_configENS1_20scan_config_selectorIN3c108BFloat16EEEZZNS1_9scan_implILNS1_25lookback_scan_determinismE0ELb0ELb0ES3_PKS6_PS6_S6_ZZZN2at6native31launch_logcumsumexp_cuda_kernelERKNSD_10TensorBaseESH_lENKUlvE_clEvENKUlvE4_clEvEUlS6_S6_E_S6_EEDaPvRmT3_T4_T5_mT6_P12ihipStream_tbENKUlT_T0_E_clISt17integral_constantIbLb1EESY_EEDaST_SU_EUlST_E_NS1_11comp_targetILNS1_3genE10ELNS1_11target_archE1200ELNS1_3gpuE4ELNS1_3repE0EEENS1_30default_config_static_selectorELNS0_4arch9wavefront6targetE0EEEvT1_
		.amdhsa_group_segment_fixed_size 0
		.amdhsa_private_segment_fixed_size 0
		.amdhsa_kernarg_size 96
		.amdhsa_user_sgpr_count 15
		.amdhsa_user_sgpr_dispatch_ptr 0
		.amdhsa_user_sgpr_queue_ptr 0
		.amdhsa_user_sgpr_kernarg_segment_ptr 1
		.amdhsa_user_sgpr_dispatch_id 0
		.amdhsa_user_sgpr_private_segment_size 0
		.amdhsa_wavefront_size32 1
		.amdhsa_uses_dynamic_stack 0
		.amdhsa_enable_private_segment 0
		.amdhsa_system_sgpr_workgroup_id_x 1
		.amdhsa_system_sgpr_workgroup_id_y 0
		.amdhsa_system_sgpr_workgroup_id_z 0
		.amdhsa_system_sgpr_workgroup_info 0
		.amdhsa_system_vgpr_workitem_id 0
		.amdhsa_next_free_vgpr 1
		.amdhsa_next_free_sgpr 1
		.amdhsa_reserve_vcc 0
		.amdhsa_float_round_mode_32 0
		.amdhsa_float_round_mode_16_64 0
		.amdhsa_float_denorm_mode_32 3
		.amdhsa_float_denorm_mode_16_64 3
		.amdhsa_dx10_clamp 1
		.amdhsa_ieee_mode 1
		.amdhsa_fp16_overflow 0
		.amdhsa_workgroup_processor_mode 1
		.amdhsa_memory_ordered 1
		.amdhsa_forward_progress 0
		.amdhsa_shared_vgpr_count 0
		.amdhsa_exception_fp_ieee_invalid_op 0
		.amdhsa_exception_fp_denorm_src 0
		.amdhsa_exception_fp_ieee_div_zero 0
		.amdhsa_exception_fp_ieee_overflow 0
		.amdhsa_exception_fp_ieee_underflow 0
		.amdhsa_exception_fp_ieee_inexact 0
		.amdhsa_exception_int_div_zero 0
	.end_amdhsa_kernel
	.section	.text._ZN7rocprim17ROCPRIM_400000_NS6detail17trampoline_kernelINS0_14default_configENS1_20scan_config_selectorIN3c108BFloat16EEEZZNS1_9scan_implILNS1_25lookback_scan_determinismE0ELb0ELb0ES3_PKS6_PS6_S6_ZZZN2at6native31launch_logcumsumexp_cuda_kernelERKNSD_10TensorBaseESH_lENKUlvE_clEvENKUlvE4_clEvEUlS6_S6_E_S6_EEDaPvRmT3_T4_T5_mT6_P12ihipStream_tbENKUlT_T0_E_clISt17integral_constantIbLb1EESY_EEDaST_SU_EUlST_E_NS1_11comp_targetILNS1_3genE10ELNS1_11target_archE1200ELNS1_3gpuE4ELNS1_3repE0EEENS1_30default_config_static_selectorELNS0_4arch9wavefront6targetE0EEEvT1_,"axG",@progbits,_ZN7rocprim17ROCPRIM_400000_NS6detail17trampoline_kernelINS0_14default_configENS1_20scan_config_selectorIN3c108BFloat16EEEZZNS1_9scan_implILNS1_25lookback_scan_determinismE0ELb0ELb0ES3_PKS6_PS6_S6_ZZZN2at6native31launch_logcumsumexp_cuda_kernelERKNSD_10TensorBaseESH_lENKUlvE_clEvENKUlvE4_clEvEUlS6_S6_E_S6_EEDaPvRmT3_T4_T5_mT6_P12ihipStream_tbENKUlT_T0_E_clISt17integral_constantIbLb1EESY_EEDaST_SU_EUlST_E_NS1_11comp_targetILNS1_3genE10ELNS1_11target_archE1200ELNS1_3gpuE4ELNS1_3repE0EEENS1_30default_config_static_selectorELNS0_4arch9wavefront6targetE0EEEvT1_,comdat
.Lfunc_end480:
	.size	_ZN7rocprim17ROCPRIM_400000_NS6detail17trampoline_kernelINS0_14default_configENS1_20scan_config_selectorIN3c108BFloat16EEEZZNS1_9scan_implILNS1_25lookback_scan_determinismE0ELb0ELb0ES3_PKS6_PS6_S6_ZZZN2at6native31launch_logcumsumexp_cuda_kernelERKNSD_10TensorBaseESH_lENKUlvE_clEvENKUlvE4_clEvEUlS6_S6_E_S6_EEDaPvRmT3_T4_T5_mT6_P12ihipStream_tbENKUlT_T0_E_clISt17integral_constantIbLb1EESY_EEDaST_SU_EUlST_E_NS1_11comp_targetILNS1_3genE10ELNS1_11target_archE1200ELNS1_3gpuE4ELNS1_3repE0EEENS1_30default_config_static_selectorELNS0_4arch9wavefront6targetE0EEEvT1_, .Lfunc_end480-_ZN7rocprim17ROCPRIM_400000_NS6detail17trampoline_kernelINS0_14default_configENS1_20scan_config_selectorIN3c108BFloat16EEEZZNS1_9scan_implILNS1_25lookback_scan_determinismE0ELb0ELb0ES3_PKS6_PS6_S6_ZZZN2at6native31launch_logcumsumexp_cuda_kernelERKNSD_10TensorBaseESH_lENKUlvE_clEvENKUlvE4_clEvEUlS6_S6_E_S6_EEDaPvRmT3_T4_T5_mT6_P12ihipStream_tbENKUlT_T0_E_clISt17integral_constantIbLb1EESY_EEDaST_SU_EUlST_E_NS1_11comp_targetILNS1_3genE10ELNS1_11target_archE1200ELNS1_3gpuE4ELNS1_3repE0EEENS1_30default_config_static_selectorELNS0_4arch9wavefront6targetE0EEEvT1_
                                        ; -- End function
	.section	.AMDGPU.csdata,"",@progbits
; Kernel info:
; codeLenInByte = 0
; NumSgprs: 0
; NumVgprs: 0
; ScratchSize: 0
; MemoryBound: 0
; FloatMode: 240
; IeeeMode: 1
; LDSByteSize: 0 bytes/workgroup (compile time only)
; SGPRBlocks: 0
; VGPRBlocks: 0
; NumSGPRsForWavesPerEU: 1
; NumVGPRsForWavesPerEU: 1
; Occupancy: 16
; WaveLimiterHint : 0
; COMPUTE_PGM_RSRC2:SCRATCH_EN: 0
; COMPUTE_PGM_RSRC2:USER_SGPR: 15
; COMPUTE_PGM_RSRC2:TRAP_HANDLER: 0
; COMPUTE_PGM_RSRC2:TGID_X_EN: 1
; COMPUTE_PGM_RSRC2:TGID_Y_EN: 0
; COMPUTE_PGM_RSRC2:TGID_Z_EN: 0
; COMPUTE_PGM_RSRC2:TIDIG_COMP_CNT: 0
	.text
	.p2align	2                               ; -- Begin function _ZZZN7rocprim17ROCPRIM_400000_NS6detail9scan_implILNS1_25lookback_scan_determinismE0ELb0ELb0ENS0_14default_configEPKN3c108BFloat16EPS6_S6_ZZZN2at6native31launch_logcumsumexp_cuda_kernelERKNSA_10TensorBaseESE_lENKUlvE_clEvENKUlvE4_clEvEUlS6_S6_E_S6_EEDaPvRmT3_T4_T5_mT6_P12ihipStream_tbENKUlT_T0_E_clISt17integral_constantIbLb1EESV_EEDaSQ_SR_ENKUlSQ_E_clINS1_13target_configIS4_NS1_20scan_config_selectorIS6_EENS1_11comp_targetILNS1_3genE9ELNS1_11target_archE1100ELNS1_3gpuE3ELNS1_3repE0EEELNS0_4arch9wavefront6targetE0EEEEEDaSQ_
	.type	_ZZZN7rocprim17ROCPRIM_400000_NS6detail9scan_implILNS1_25lookback_scan_determinismE0ELb0ELb0ENS0_14default_configEPKN3c108BFloat16EPS6_S6_ZZZN2at6native31launch_logcumsumexp_cuda_kernelERKNSA_10TensorBaseESE_lENKUlvE_clEvENKUlvE4_clEvEUlS6_S6_E_S6_EEDaPvRmT3_T4_T5_mT6_P12ihipStream_tbENKUlT_T0_E_clISt17integral_constantIbLb1EESV_EEDaSQ_SR_ENKUlSQ_E_clINS1_13target_configIS4_NS1_20scan_config_selectorIS6_EENS1_11comp_targetILNS1_3genE9ELNS1_11target_archE1100ELNS1_3gpuE3ELNS1_3repE0EEELNS0_4arch9wavefront6targetE0EEEEEDaSQ_,@function
_ZZZN7rocprim17ROCPRIM_400000_NS6detail9scan_implILNS1_25lookback_scan_determinismE0ELb0ELb0ENS0_14default_configEPKN3c108BFloat16EPS6_S6_ZZZN2at6native31launch_logcumsumexp_cuda_kernelERKNSA_10TensorBaseESE_lENKUlvE_clEvENKUlvE4_clEvEUlS6_S6_E_S6_EEDaPvRmT3_T4_T5_mT6_P12ihipStream_tbENKUlT_T0_E_clISt17integral_constantIbLb1EESV_EEDaSQ_SR_ENKUlSQ_E_clINS1_13target_configIS4_NS1_20scan_config_selectorIS6_EENS1_11comp_targetILNS1_3genE9ELNS1_11target_archE1100ELNS1_3gpuE3ELNS1_3repE0EEELNS0_4arch9wavefront6targetE0EEEEEDaSQ_: ; @_ZZZN7rocprim17ROCPRIM_400000_NS6detail9scan_implILNS1_25lookback_scan_determinismE0ELb0ELb0ENS0_14default_configEPKN3c108BFloat16EPS6_S6_ZZZN2at6native31launch_logcumsumexp_cuda_kernelERKNSA_10TensorBaseESE_lENKUlvE_clEvENKUlvE4_clEvEUlS6_S6_E_S6_EEDaPvRmT3_T4_T5_mT6_P12ihipStream_tbENKUlT_T0_E_clISt17integral_constantIbLb1EESV_EEDaSQ_SR_ENKUlSQ_E_clINS1_13target_configIS4_NS1_20scan_config_selectorIS6_EENS1_11comp_targetILNS1_3genE9ELNS1_11target_archE1100ELNS1_3gpuE3ELNS1_3repE0EEELNS0_4arch9wavefront6targetE0EEEEEDaSQ_
; %bb.0:
	s_waitcnt vmcnt(0) expcnt(0) lgkmcnt(0)
	s_or_saveexec_b32 s0, -1
	scratch_store_b32 off, v40, s32         ; 4-byte Folded Spill
	s_mov_b32 exec_lo, s0
	v_writelane_b32 v40, s30, 0
	v_writelane_b32 v40, s31, 1
	s_clause 0x4
	flat_load_b128 v[14:17], v[0:1]
	flat_load_b128 v[10:13], v[0:1] offset:16
	flat_load_b96 v[18:20], v[0:1] offset:40
	flat_load_b128 v[2:5], v[0:1] offset:56
	flat_load_b128 v[6:9], v[0:1] offset:72
	v_and_b32_e32 v21, 0x3ff, v31
	s_delay_alu instid0(VALU_DEP_1) | instskip(SKIP_1) | instid1(VALU_DEP_1)
	v_cmp_ne_u32_e64 s1, 0, v21
	v_cmp_eq_u32_e64 s2, 0, v21
	s_and_saveexec_b32 s0, s2
	s_cbranch_execz .LBB481_2
; %bb.1:
	flat_load_b64 v[0:1], v[0:1] offset:88
	v_mov_b32_e32 v22, 1
	s_waitcnt vmcnt(0) lgkmcnt(0)
	flat_atomic_add_u32 v0, v[0:1], v22 glc
	v_mov_b32_e32 v1, 0
	s_waitcnt vmcnt(0) lgkmcnt(0)
	ds_store_b32 v1, v0
.LBB481_2:
	s_or_b32 exec_lo, exec_lo, s0
	s_waitcnt vmcnt(2) lgkmcnt(2)
	v_dual_mov_b32 v23, 0 :: v_dual_add_nc_u32 v26, -1, v20
	s_waitcnt vmcnt(0) lgkmcnt(0)
	s_waitcnt_vscnt null, 0x0
	s_barrier
	buffer_gl0_inv
	ds_load_b32 v25, v23
	v_lshlrev_b64 v[0:1], 1, v[16:17]
	v_mul_lo_u32 v16, 0x580, v26
	s_waitcnt lgkmcnt(0)
	s_barrier
	buffer_gl0_inv
	v_add_co_u32 v17, vcc_lo, v14, v0
	v_add_co_ci_u32_e32 v27, vcc_lo, v15, v1, vcc_lo
	v_sub_co_u32 v20, vcc_lo, v12, v16
	v_subrev_co_ci_u32_e32 v24, vcc_lo, 0, v13, vcc_lo
	v_mul_lo_u32 v22, 0x580, v25
	v_readfirstlane_b32 s28, v25
	v_cmp_ne_u32_e64 s0, v25, v26
	v_lshlrev_b32_e32 v25, 1, v21
	s_delay_alu instid0(VALU_DEP_4) | instskip(NEXT) | instid1(VALU_DEP_1)
	v_lshlrev_b64 v[14:15], 1, v[22:23]
	v_add_co_u32 v12, vcc_lo, v17, v14
	s_delay_alu instid0(VALU_DEP_2) | instskip(SKIP_1) | instid1(SALU_CYCLE_1)
	v_add_co_ci_u32_e32 v13, vcc_lo, v27, v15, vcc_lo
	s_and_saveexec_b32 s3, s0
	s_xor_b32 s3, exec_lo, s3
	s_cbranch_execz .LBB481_4
; %bb.3:
	v_add_co_u32 v12, vcc_lo, v12, v25
	v_add_co_ci_u32_e32 v13, vcc_lo, 0, v13, vcc_lo
	s_clause 0x15
	flat_load_u16 v16, v[12:13]
	flat_load_u16 v17, v[12:13] offset:128
	flat_load_u16 v22, v[12:13] offset:256
	;; [unrolled: 1-line block ×21, first 2 shown]
	s_waitcnt vmcnt(21) lgkmcnt(21)
	ds_store_b16 v25, v16
	s_waitcnt vmcnt(20) lgkmcnt(21)
	ds_store_b16 v25, v17 offset:128
	s_waitcnt vmcnt(19) lgkmcnt(21)
	ds_store_b16 v25, v22 offset:256
	;; [unrolled: 2-line block ×21, first 2 shown]
	s_waitcnt lgkmcnt(0)
	s_barrier
                                        ; implicit-def: $vgpr12
.LBB481_4:
	s_and_not1_saveexec_b32 s3, s3
	s_cbranch_execz .LBB481_50
; %bb.5:
	flat_load_u16 v16, v[12:13]
	s_mov_b32 s4, exec_lo
	s_waitcnt vmcnt(0) lgkmcnt(0)
	v_mov_b32_e32 v17, v16
	v_cmpx_lt_u32_e64 v21, v20
	s_cbranch_execz .LBB481_7
; %bb.6:
	v_add_co_u32 v22, vcc_lo, v12, v25
	v_add_co_ci_u32_e32 v23, vcc_lo, 0, v13, vcc_lo
	flat_load_u16 v17, v[22:23]
.LBB481_7:
	s_or_b32 exec_lo, exec_lo, s4
	v_add_nc_u32_e32 v22, 64, v21
	s_delay_alu instid0(VALU_DEP_1)
	v_cmp_lt_u32_e32 vcc_lo, v22, v20
	v_mov_b32_e32 v22, v16
	s_and_saveexec_b32 s4, vcc_lo
	s_cbranch_execz .LBB481_9
; %bb.8:
	v_add_co_u32 v22, vcc_lo, v12, v25
	v_add_co_ci_u32_e32 v23, vcc_lo, 0, v13, vcc_lo
	flat_load_u16 v22, v[22:23] offset:128
.LBB481_9:
	s_or_b32 exec_lo, exec_lo, s4
	v_add_nc_u32_e32 v23, 0x80, v21
	s_delay_alu instid0(VALU_DEP_1)
	v_cmp_lt_u32_e32 vcc_lo, v23, v20
	v_mov_b32_e32 v23, v16
	s_and_saveexec_b32 s4, vcc_lo
	s_cbranch_execz .LBB481_11
; %bb.10:
	v_add_co_u32 v26, vcc_lo, v12, v25
	v_add_co_ci_u32_e32 v27, vcc_lo, 0, v13, vcc_lo
	flat_load_u16 v23, v[26:27] offset:256
.LBB481_11:
	;; [unrolled: 12-line block ×15, first 2 shown]
	s_or_b32 exec_lo, exec_lo, s4
	v_or_b32_e32 v39, 0x400, v21
	s_delay_alu instid0(VALU_DEP_1)
	v_cmp_lt_u32_e32 vcc_lo, v39, v20
	v_mov_b32_e32 v39, v16
	s_and_saveexec_b32 s4, vcc_lo
	s_cbranch_execz .LBB481_39
; %bb.38:
	v_add_co_u32 v48, vcc_lo, v12, v25
	v_add_co_ci_u32_e32 v49, vcc_lo, 0, v13, vcc_lo
	flat_load_u16 v39, v[48:49] offset:2048
.LBB481_39:
	s_or_b32 exec_lo, exec_lo, s4
	v_add_nc_u32_e32 v48, 0x440, v21
	s_delay_alu instid0(VALU_DEP_1)
	v_cmp_lt_u32_e32 vcc_lo, v48, v20
	v_mov_b32_e32 v48, v16
	s_and_saveexec_b32 s4, vcc_lo
	s_cbranch_execz .LBB481_41
; %bb.40:
	v_add_co_u32 v48, vcc_lo, v12, v25
	v_add_co_ci_u32_e32 v49, vcc_lo, 0, v13, vcc_lo
	flat_load_u16 v48, v[48:49] offset:2176
.LBB481_41:
	s_or_b32 exec_lo, exec_lo, s4
	v_add_nc_u32_e32 v49, 0x480, v21
	;; [unrolled: 12-line block ×5, first 2 shown]
	s_mov_b32 s4, exec_lo
	s_delay_alu instid0(VALU_DEP_1)
	v_cmpx_lt_u32_e64 v52, v20
	s_cbranch_execz .LBB481_49
; %bb.48:
	v_add_co_u32 v12, vcc_lo, v12, v25
	v_add_co_ci_u32_e32 v13, vcc_lo, 0, v13, vcc_lo
	flat_load_u16 v16, v[12:13] offset:2688
.LBB481_49:
	s_or_b32 exec_lo, exec_lo, s4
	s_waitcnt vmcnt(0) lgkmcnt(0)
	ds_store_b16 v25, v17
	ds_store_b16 v25, v22 offset:128
	ds_store_b16 v25, v23 offset:256
	;; [unrolled: 1-line block ×21, first 2 shown]
	s_waitcnt lgkmcnt(0)
	s_barrier
.LBB481_50:
	s_or_b32 exec_lo, exec_lo, s3
	v_mul_u32_u24_e32 v26, 22, v21
	buffer_gl0_inv
	s_cmp_lg_u32 s28, 0
	v_lshlrev_b32_e32 v27, 1, v26
	ds_load_2addr_b32 v[12:13], v27 offset1:1
	ds_load_2addr_b32 v[16:17], v27 offset0:2 offset1:3
	ds_load_2addr_b32 v[22:23], v27 offset0:4 offset1:5
	;; [unrolled: 1-line block ×4, first 2 shown]
	ds_load_b32 v66, v27 offset:40
	s_waitcnt lgkmcnt(0)
	s_barrier
	buffer_gl0_inv
	v_lshrrev_b32_e32 v67, 16, v12
	v_lshrrev_b32_e32 v54, 16, v13
	v_and_b32_e32 v55, 0xffff, v13
	v_lshrrev_b32_e32 v52, 16, v16
	v_lshrrev_b32_e32 v50, 16, v17
	v_and_b32_e32 v53, 0xffff, v16
	v_and_b32_e32 v51, 0xffff, v17
	v_lshrrev_b32_e32 v48, 16, v22
	v_lshrrev_b32_e32 v38, 16, v23
	v_and_b32_e32 v49, 0xffff, v22
	v_and_b32_e32 v39, 0xffff, v23
	v_lshrrev_b32_e32 v36, 16, v28
	v_lshrrev_b32_e32 v34, 16, v29
	v_and_b32_e32 v37, 0xffff, v28
	v_and_b32_e32 v35, 0xffff, v29
	v_lshrrev_b32_e32 v32, 16, v64
	v_lshrrev_b32_e32 v30, 16, v65
	v_and_b32_e32 v33, 0xffff, v64
	v_and_b32_e32 v31, 0xffff, v65
	v_lshrrev_b32_e32 v28, 16, v66
	v_and_b32_e32 v29, 0xffff, v66
	v_lshlrev_b32_e32 v13, 16, v67
	s_cbranch_scc0 .LBB481_239
; %bb.51:
	s_delay_alu instid0(VALU_DEP_1) | instskip(SKIP_2) | instid1(VALU_DEP_2)
	v_max_f32_e32 v65, v13, v13
	v_lshlrev_b32_e32 v145, 16, v12
	v_cmp_u_f32_e64 s3, v13, v13
	v_max_f32_e32 v146, v145, v145
	s_delay_alu instid0(VALU_DEP_1) | instskip(SKIP_2) | instid1(VALU_DEP_1)
	v_min_f32_e32 v16, v146, v65
	v_max_f32_e32 v17, v146, v65
	v_cmp_u_f32_e64 s24, v145, v145
	v_cndmask_b32_e64 v16, v16, v145, s24
	s_delay_alu instid0(VALU_DEP_3) | instskip(NEXT) | instid1(VALU_DEP_2)
	v_cndmask_b32_e64 v17, v17, v145, s24
	v_cndmask_b32_e64 v22, v16, v13, s3
	s_delay_alu instid0(VALU_DEP_2) | instskip(SKIP_1) | instid1(VALU_DEP_3)
	v_cndmask_b32_e64 v16, v17, v13, s3
	v_mov_b32_e32 v17, v145
	v_cmp_class_f32_e64 s4, v22, 0x1f8
	s_delay_alu instid0(VALU_DEP_3) | instskip(NEXT) | instid1(VALU_DEP_2)
	v_cmp_neq_f32_e32 vcc_lo, v22, v16
	s_or_b32 s5, vcc_lo, s4
	s_delay_alu instid0(SALU_CYCLE_1)
	s_and_saveexec_b32 s4, s5
	s_cbranch_execz .LBB481_53
; %bb.52:
	v_sub_f32_e32 v17, v22, v16
	s_mov_b32 s5, 0x3e9b6dac
	s_delay_alu instid0(VALU_DEP_1) | instskip(SKIP_1) | instid1(VALU_DEP_2)
	v_mul_f32_e32 v22, 0x3fb8aa3b, v17
	v_cmp_ngt_f32_e32 vcc_lo, 0xc2ce8ed0, v17
	v_fma_f32 v23, 0x3fb8aa3b, v17, -v22
	v_rndne_f32_e32 v64, v22
	s_delay_alu instid0(VALU_DEP_1) | instskip(NEXT) | instid1(VALU_DEP_1)
	v_dual_fmamk_f32 v23, v17, 0x32a5705f, v23 :: v_dual_sub_f32 v22, v22, v64
	v_add_f32_e32 v22, v22, v23
	v_cvt_i32_f32_e32 v23, v64
	s_delay_alu instid0(VALU_DEP_2) | instskip(SKIP_2) | instid1(VALU_DEP_1)
	v_exp_f32_e32 v22, v22
	s_waitcnt_depctr 0xfff
	v_ldexp_f32 v22, v22, v23
	v_cndmask_b32_e32 v22, 0, v22, vcc_lo
	v_cmp_nlt_f32_e32 vcc_lo, 0x42b17218, v17
	s_delay_alu instid0(VALU_DEP_2) | instskip(NEXT) | instid1(VALU_DEP_1)
	v_cndmask_b32_e32 v17, 0x7f800000, v22, vcc_lo
	v_add_f32_e32 v64, 1.0, v17
	s_delay_alu instid0(VALU_DEP_1) | instskip(NEXT) | instid1(VALU_DEP_1)
	v_cvt_f64_f32_e32 v[22:23], v64
	v_frexp_exp_i32_f64_e32 v22, v[22:23]
	v_frexp_mant_f32_e32 v23, v64
	s_delay_alu instid0(VALU_DEP_1) | instskip(SKIP_1) | instid1(VALU_DEP_1)
	v_cmp_gt_f32_e32 vcc_lo, 0x3f2aaaab, v23
	v_add_f32_e32 v23, -1.0, v64
	v_sub_f32_e32 v67, v23, v64
	v_subrev_co_ci_u32_e32 v22, vcc_lo, 0, v22, vcc_lo
	s_delay_alu instid0(VALU_DEP_1) | instskip(SKIP_1) | instid1(VALU_DEP_2)
	v_sub_nc_u32_e32 v66, 0, v22
	v_cvt_f32_i32_e32 v22, v22
	v_ldexp_f32 v64, v64, v66
	s_delay_alu instid0(VALU_DEP_1) | instskip(SKIP_2) | instid1(VALU_DEP_2)
	v_dual_add_f32 v67, 1.0, v67 :: v_dual_add_f32 v68, 1.0, v64
	v_sub_f32_e32 v23, v17, v23
	v_cmp_eq_f32_e32 vcc_lo, 0x7f800000, v17
	v_add_f32_e32 v23, v23, v67
	s_delay_alu instid0(VALU_DEP_1) | instskip(SKIP_2) | instid1(VALU_DEP_2)
	v_ldexp_f32 v23, v23, v66
	v_add_f32_e32 v66, -1.0, v64
	v_add_f32_e32 v67, -1.0, v68
	v_add_f32_e32 v69, 1.0, v66
	s_delay_alu instid0(VALU_DEP_2) | instskip(NEXT) | instid1(VALU_DEP_1)
	v_sub_f32_e32 v67, v64, v67
	v_dual_sub_f32 v64, v64, v69 :: v_dual_add_f32 v67, v23, v67
	s_delay_alu instid0(VALU_DEP_1) | instskip(NEXT) | instid1(VALU_DEP_1)
	v_add_f32_e32 v23, v23, v64
	v_add_f32_e32 v70, v66, v23
	s_delay_alu instid0(VALU_DEP_1) | instskip(NEXT) | instid1(VALU_DEP_1)
	v_dual_add_f32 v69, v68, v67 :: v_dual_sub_f32 v66, v66, v70
	v_rcp_f32_e32 v64, v69
	v_sub_f32_e32 v68, v68, v69
	s_delay_alu instid0(VALU_DEP_1) | instskip(SKIP_2) | instid1(VALU_DEP_1)
	v_add_f32_e32 v67, v67, v68
	s_waitcnt_depctr 0xfff
	v_mul_f32_e32 v71, v70, v64
	v_mul_f32_e32 v80, v69, v71
	s_delay_alu instid0(VALU_DEP_1) | instskip(NEXT) | instid1(VALU_DEP_1)
	v_fma_f32 v68, v71, v69, -v80
	v_fmac_f32_e32 v68, v71, v67
	s_delay_alu instid0(VALU_DEP_1) | instskip(NEXT) | instid1(VALU_DEP_1)
	v_add_f32_e32 v81, v80, v68
	v_dual_add_f32 v23, v23, v66 :: v_dual_sub_f32 v66, v81, v80
	v_sub_f32_e32 v82, v70, v81
	s_delay_alu instid0(VALU_DEP_1) | instskip(NEXT) | instid1(VALU_DEP_1)
	v_sub_f32_e32 v70, v70, v82
	v_sub_f32_e32 v70, v70, v81
	s_delay_alu instid0(VALU_DEP_1) | instskip(NEXT) | instid1(VALU_DEP_1)
	v_dual_sub_f32 v66, v66, v68 :: v_dual_add_f32 v23, v23, v70
	v_add_f32_e32 v23, v66, v23
	s_delay_alu instid0(VALU_DEP_1) | instskip(NEXT) | instid1(VALU_DEP_1)
	v_add_f32_e32 v66, v82, v23
	v_mul_f32_e32 v68, v64, v66
	s_delay_alu instid0(VALU_DEP_1) | instskip(NEXT) | instid1(VALU_DEP_1)
	v_dual_sub_f32 v81, v82, v66 :: v_dual_mul_f32 v70, v69, v68
	v_add_f32_e32 v23, v23, v81
	s_delay_alu instid0(VALU_DEP_2) | instskip(NEXT) | instid1(VALU_DEP_1)
	v_fma_f32 v69, v68, v69, -v70
	v_fmac_f32_e32 v69, v68, v67
	s_delay_alu instid0(VALU_DEP_1) | instskip(NEXT) | instid1(VALU_DEP_1)
	v_add_f32_e32 v67, v70, v69
	v_sub_f32_e32 v80, v66, v67
	s_delay_alu instid0(VALU_DEP_1) | instskip(NEXT) | instid1(VALU_DEP_1)
	v_sub_f32_e32 v66, v66, v80
	v_sub_f32_e32 v66, v66, v67
	s_delay_alu instid0(VALU_DEP_1) | instskip(SKIP_2) | instid1(VALU_DEP_1)
	v_add_f32_e32 v23, v23, v66
	v_add_f32_e32 v66, v71, v68
	v_sub_f32_e32 v70, v67, v70
	v_sub_f32_e32 v67, v70, v69
	s_delay_alu instid0(VALU_DEP_1) | instskip(NEXT) | instid1(VALU_DEP_4)
	v_add_f32_e32 v23, v67, v23
	v_sub_f32_e32 v67, v66, v71
	s_delay_alu instid0(VALU_DEP_2) | instskip(NEXT) | instid1(VALU_DEP_2)
	v_add_f32_e32 v23, v80, v23
	v_sub_f32_e32 v67, v68, v67
	s_delay_alu instid0(VALU_DEP_2) | instskip(NEXT) | instid1(VALU_DEP_1)
	v_mul_f32_e32 v23, v64, v23
	v_add_f32_e32 v23, v67, v23
	s_delay_alu instid0(VALU_DEP_1) | instskip(NEXT) | instid1(VALU_DEP_1)
	v_add_f32_e32 v64, v66, v23
	v_mul_f32_e32 v67, v64, v64
	s_delay_alu instid0(VALU_DEP_1) | instskip(SKIP_2) | instid1(VALU_DEP_3)
	v_fmaak_f32 v68, s5, v67, 0x3ecc95a3
	v_mul_f32_e32 v69, v64, v67
	v_cmp_gt_f32_e64 s5, 0x33800000, |v17|
	v_fmaak_f32 v67, v67, v68, 0x3f2aaada
	v_ldexp_f32 v68, v64, 1
	v_sub_f32_e32 v64, v64, v66
	s_delay_alu instid0(VALU_DEP_4) | instskip(NEXT) | instid1(VALU_DEP_3)
	s_or_b32 vcc_lo, vcc_lo, s5
	v_mul_f32_e32 v67, v69, v67
	s_delay_alu instid0(VALU_DEP_1) | instskip(NEXT) | instid1(VALU_DEP_1)
	v_dual_sub_f32 v23, v23, v64 :: v_dual_add_f32 v66, v68, v67
	v_ldexp_f32 v23, v23, 1
	s_delay_alu instid0(VALU_DEP_2) | instskip(NEXT) | instid1(VALU_DEP_1)
	v_sub_f32_e32 v64, v66, v68
	v_sub_f32_e32 v64, v67, v64
	s_delay_alu instid0(VALU_DEP_1) | instskip(NEXT) | instid1(VALU_DEP_1)
	v_add_f32_e32 v23, v23, v64
	v_add_f32_e32 v67, v66, v23
	v_mul_f32_e32 v69, 0x3f317218, v22
	s_delay_alu instid0(VALU_DEP_2) | instskip(NEXT) | instid1(VALU_DEP_2)
	v_sub_f32_e32 v66, v67, v66
	v_fma_f32 v68, 0x3f317218, v22, -v69
	s_delay_alu instid0(VALU_DEP_1) | instskip(NEXT) | instid1(VALU_DEP_1)
	v_fmamk_f32 v22, v22, 0xb102e308, v68
	v_add_f32_e32 v64, v69, v22
	s_delay_alu instid0(VALU_DEP_1) | instskip(NEXT) | instid1(VALU_DEP_1)
	v_add_f32_e32 v68, v64, v67
	v_sub_f32_e32 v70, v68, v64
	v_sub_f32_e32 v69, v64, v69
	s_delay_alu instid0(VALU_DEP_2) | instskip(NEXT) | instid1(VALU_DEP_1)
	v_sub_f32_e32 v71, v68, v70
	v_dual_sub_f32 v64, v64, v71 :: v_dual_sub_f32 v23, v23, v66
	v_sub_f32_e32 v66, v67, v70
	s_delay_alu instid0(VALU_DEP_4) | instskip(NEXT) | instid1(VALU_DEP_2)
	v_sub_f32_e32 v22, v22, v69
	v_add_f32_e32 v64, v66, v64
	s_delay_alu instid0(VALU_DEP_2) | instskip(NEXT) | instid1(VALU_DEP_1)
	v_add_f32_e32 v67, v22, v23
	v_add_f32_e32 v64, v67, v64
	s_delay_alu instid0(VALU_DEP_1) | instskip(NEXT) | instid1(VALU_DEP_1)
	v_dual_sub_f32 v66, v67, v22 :: v_dual_add_f32 v69, v68, v64
	v_sub_f32_e32 v67, v67, v66
	s_delay_alu instid0(VALU_DEP_1) | instskip(NEXT) | instid1(VALU_DEP_3)
	v_dual_sub_f32 v22, v22, v67 :: v_dual_sub_f32 v23, v23, v66
	v_sub_f32_e32 v66, v69, v68
	s_delay_alu instid0(VALU_DEP_2) | instskip(NEXT) | instid1(VALU_DEP_2)
	v_add_f32_e32 v22, v23, v22
	v_sub_f32_e32 v23, v64, v66
	s_delay_alu instid0(VALU_DEP_1) | instskip(NEXT) | instid1(VALU_DEP_1)
	v_add_f32_e32 v22, v22, v23
	v_add_f32_e32 v22, v69, v22
	s_delay_alu instid0(VALU_DEP_1) | instskip(NEXT) | instid1(VALU_DEP_1)
	v_cndmask_b32_e32 v17, v22, v17, vcc_lo
	v_add_f32_e32 v17, v16, v17
.LBB481_53:
	s_or_b32 exec_lo, exec_lo, s4
	s_delay_alu instid0(VALU_DEP_1) | instskip(SKIP_1) | instid1(VALU_DEP_2)
	v_bfe_u32 v16, v17, 16, 1
	v_cmp_o_f32_e32 vcc_lo, v17, v17
	v_add3_u32 v16, v17, v16, 0x7fff
	s_delay_alu instid0(VALU_DEP_1) | instskip(NEXT) | instid1(VALU_DEP_1)
	v_and_b32_e32 v16, 0xffff0000, v16
	v_dual_cndmask_b32 v17, 0x7fc00000, v16 :: v_dual_lshlrev_b32 v64, 16, v55
	s_delay_alu instid0(VALU_DEP_1) | instskip(SKIP_1) | instid1(VALU_DEP_3)
	v_max_f32_e32 v68, v64, v64
	v_cmp_u_f32_e64 s4, v64, v64
	v_max_f32_e32 v16, v17, v17
	v_cmp_u_f32_e32 vcc_lo, v17, v17
	s_delay_alu instid0(VALU_DEP_2) | instskip(SKIP_1) | instid1(VALU_DEP_2)
	v_min_f32_e32 v22, v16, v68
	v_max_f32_e32 v16, v16, v68
	v_cndmask_b32_e32 v22, v22, v17, vcc_lo
	s_delay_alu instid0(VALU_DEP_2) | instskip(NEXT) | instid1(VALU_DEP_2)
	v_cndmask_b32_e32 v16, v16, v17, vcc_lo
	v_cndmask_b32_e64 v22, v22, v64, s4
	s_delay_alu instid0(VALU_DEP_2) | instskip(NEXT) | instid1(VALU_DEP_2)
	v_cndmask_b32_e64 v16, v16, v64, s4
	v_cmp_class_f32_e64 s5, v22, 0x1f8
	s_delay_alu instid0(VALU_DEP_2) | instskip(NEXT) | instid1(VALU_DEP_2)
	v_cmp_neq_f32_e32 vcc_lo, v22, v16
	s_or_b32 s6, vcc_lo, s5
	s_delay_alu instid0(SALU_CYCLE_1)
	s_and_saveexec_b32 s5, s6
	s_cbranch_execz .LBB481_55
; %bb.54:
	v_sub_f32_e32 v17, v22, v16
	s_mov_b32 s6, 0x3e9b6dac
	s_delay_alu instid0(VALU_DEP_1) | instskip(SKIP_1) | instid1(VALU_DEP_2)
	v_mul_f32_e32 v22, 0x3fb8aa3b, v17
	v_cmp_ngt_f32_e32 vcc_lo, 0xc2ce8ed0, v17
	v_fma_f32 v23, 0x3fb8aa3b, v17, -v22
	v_rndne_f32_e32 v66, v22
	s_delay_alu instid0(VALU_DEP_1) | instskip(NEXT) | instid1(VALU_DEP_1)
	v_dual_fmamk_f32 v23, v17, 0x32a5705f, v23 :: v_dual_sub_f32 v22, v22, v66
	v_add_f32_e32 v22, v22, v23
	v_cvt_i32_f32_e32 v23, v66
	s_delay_alu instid0(VALU_DEP_2) | instskip(SKIP_2) | instid1(VALU_DEP_1)
	v_exp_f32_e32 v22, v22
	s_waitcnt_depctr 0xfff
	v_ldexp_f32 v22, v22, v23
	v_cndmask_b32_e32 v22, 0, v22, vcc_lo
	v_cmp_nlt_f32_e32 vcc_lo, 0x42b17218, v17
	s_delay_alu instid0(VALU_DEP_2) | instskip(NEXT) | instid1(VALU_DEP_1)
	v_cndmask_b32_e32 v17, 0x7f800000, v22, vcc_lo
	v_add_f32_e32 v66, 1.0, v17
	s_delay_alu instid0(VALU_DEP_1) | instskip(NEXT) | instid1(VALU_DEP_1)
	v_cvt_f64_f32_e32 v[22:23], v66
	v_frexp_exp_i32_f64_e32 v22, v[22:23]
	v_frexp_mant_f32_e32 v23, v66
	s_delay_alu instid0(VALU_DEP_1) | instskip(SKIP_1) | instid1(VALU_DEP_1)
	v_cmp_gt_f32_e32 vcc_lo, 0x3f2aaaab, v23
	v_add_f32_e32 v23, -1.0, v66
	v_sub_f32_e32 v69, v23, v66
	v_sub_f32_e32 v23, v17, v23
	v_subrev_co_ci_u32_e32 v22, vcc_lo, 0, v22, vcc_lo
	s_delay_alu instid0(VALU_DEP_1) | instskip(SKIP_1) | instid1(VALU_DEP_2)
	v_sub_nc_u32_e32 v67, 0, v22
	v_cvt_f32_i32_e32 v22, v22
	v_ldexp_f32 v66, v66, v67
	s_delay_alu instid0(VALU_DEP_1) | instskip(NEXT) | instid1(VALU_DEP_1)
	v_dual_add_f32 v69, 1.0, v69 :: v_dual_add_f32 v70, 1.0, v66
	v_add_f32_e32 v23, v23, v69
	s_delay_alu instid0(VALU_DEP_1) | instskip(SKIP_1) | instid1(VALU_DEP_4)
	v_ldexp_f32 v23, v23, v67
	v_add_f32_e32 v67, -1.0, v66
	v_add_f32_e32 v69, -1.0, v70
	s_delay_alu instid0(VALU_DEP_2) | instskip(NEXT) | instid1(VALU_DEP_2)
	v_add_f32_e32 v71, 1.0, v67
	v_sub_f32_e32 v69, v66, v69
	s_delay_alu instid0(VALU_DEP_1) | instskip(SKIP_1) | instid1(VALU_DEP_2)
	v_dual_sub_f32 v66, v66, v71 :: v_dual_add_f32 v69, v23, v69
	v_cmp_eq_f32_e32 vcc_lo, 0x7f800000, v17
	v_add_f32_e32 v23, v23, v66
	s_delay_alu instid0(VALU_DEP_1) | instskip(NEXT) | instid1(VALU_DEP_1)
	v_dual_add_f32 v71, v70, v69 :: v_dual_add_f32 v80, v67, v23
	v_rcp_f32_e32 v66, v71
	v_sub_f32_e32 v70, v70, v71
	s_delay_alu instid0(VALU_DEP_1) | instskip(SKIP_2) | instid1(VALU_DEP_1)
	v_add_f32_e32 v69, v69, v70
	s_waitcnt_depctr 0xfff
	v_mul_f32_e32 v81, v80, v66
	v_mul_f32_e32 v82, v71, v81
	v_sub_f32_e32 v67, v67, v80
	s_delay_alu instid0(VALU_DEP_2) | instskip(NEXT) | instid1(VALU_DEP_1)
	v_fma_f32 v70, v81, v71, -v82
	v_dual_add_f32 v23, v23, v67 :: v_dual_fmac_f32 v70, v81, v69
	s_delay_alu instid0(VALU_DEP_1) | instskip(NEXT) | instid1(VALU_DEP_1)
	v_add_f32_e32 v83, v82, v70
	v_dual_sub_f32 v84, v80, v83 :: v_dual_sub_f32 v67, v83, v82
	s_delay_alu instid0(VALU_DEP_1) | instskip(NEXT) | instid1(VALU_DEP_1)
	v_dual_sub_f32 v80, v80, v84 :: v_dual_sub_f32 v67, v67, v70
	v_sub_f32_e32 v80, v80, v83
	s_delay_alu instid0(VALU_DEP_1) | instskip(NEXT) | instid1(VALU_DEP_1)
	v_add_f32_e32 v23, v23, v80
	v_add_f32_e32 v23, v67, v23
	s_delay_alu instid0(VALU_DEP_1) | instskip(NEXT) | instid1(VALU_DEP_1)
	v_add_f32_e32 v67, v84, v23
	v_mul_f32_e32 v70, v66, v67
	s_delay_alu instid0(VALU_DEP_1) | instskip(NEXT) | instid1(VALU_DEP_1)
	v_dual_mul_f32 v80, v71, v70 :: v_dual_sub_f32 v83, v84, v67
	v_fma_f32 v71, v70, v71, -v80
	s_delay_alu instid0(VALU_DEP_2) | instskip(NEXT) | instid1(VALU_DEP_2)
	v_add_f32_e32 v23, v23, v83
	v_fmac_f32_e32 v71, v70, v69
	s_delay_alu instid0(VALU_DEP_1) | instskip(NEXT) | instid1(VALU_DEP_1)
	v_add_f32_e32 v69, v80, v71
	v_sub_f32_e32 v82, v67, v69
	s_delay_alu instid0(VALU_DEP_1) | instskip(NEXT) | instid1(VALU_DEP_1)
	v_dual_sub_f32 v80, v69, v80 :: v_dual_sub_f32 v67, v67, v82
	v_sub_f32_e32 v67, v67, v69
	s_delay_alu instid0(VALU_DEP_2) | instskip(NEXT) | instid1(VALU_DEP_2)
	v_sub_f32_e32 v69, v80, v71
	v_add_f32_e32 v23, v23, v67
	v_add_f32_e32 v67, v81, v70
	s_delay_alu instid0(VALU_DEP_2) | instskip(NEXT) | instid1(VALU_DEP_2)
	v_add_f32_e32 v23, v69, v23
	v_sub_f32_e32 v69, v67, v81
	s_delay_alu instid0(VALU_DEP_2) | instskip(NEXT) | instid1(VALU_DEP_2)
	v_add_f32_e32 v23, v82, v23
	v_sub_f32_e32 v69, v70, v69
	s_delay_alu instid0(VALU_DEP_2) | instskip(NEXT) | instid1(VALU_DEP_1)
	v_mul_f32_e32 v23, v66, v23
	v_add_f32_e32 v23, v69, v23
	s_delay_alu instid0(VALU_DEP_1) | instskip(NEXT) | instid1(VALU_DEP_1)
	v_add_f32_e32 v66, v67, v23
	v_mul_f32_e32 v69, v66, v66
	s_delay_alu instid0(VALU_DEP_1) | instskip(SKIP_2) | instid1(VALU_DEP_3)
	v_fmaak_f32 v70, s6, v69, 0x3ecc95a3
	v_mul_f32_e32 v71, v66, v69
	v_cmp_gt_f32_e64 s6, 0x33800000, |v17|
	v_fmaak_f32 v69, v69, v70, 0x3f2aaada
	v_ldexp_f32 v70, v66, 1
	v_sub_f32_e32 v66, v66, v67
	s_delay_alu instid0(VALU_DEP_4) | instskip(NEXT) | instid1(VALU_DEP_3)
	s_or_b32 vcc_lo, vcc_lo, s6
	v_mul_f32_e32 v69, v71, v69
	v_mul_f32_e32 v71, 0x3f317218, v22
	s_delay_alu instid0(VALU_DEP_3) | instskip(NEXT) | instid1(VALU_DEP_3)
	v_sub_f32_e32 v23, v23, v66
	v_add_f32_e32 v67, v70, v69
	s_delay_alu instid0(VALU_DEP_2) | instskip(NEXT) | instid1(VALU_DEP_2)
	v_ldexp_f32 v23, v23, 1
	v_sub_f32_e32 v66, v67, v70
	v_fma_f32 v70, 0x3f317218, v22, -v71
	s_delay_alu instid0(VALU_DEP_2) | instskip(NEXT) | instid1(VALU_DEP_1)
	v_sub_f32_e32 v66, v69, v66
	v_dual_fmamk_f32 v22, v22, 0xb102e308, v70 :: v_dual_add_f32 v23, v23, v66
	s_delay_alu instid0(VALU_DEP_1) | instskip(NEXT) | instid1(VALU_DEP_2)
	v_add_f32_e32 v66, v71, v22
	v_add_f32_e32 v69, v67, v23
	s_delay_alu instid0(VALU_DEP_2) | instskip(NEXT) | instid1(VALU_DEP_2)
	v_sub_f32_e32 v71, v66, v71
	v_dual_add_f32 v70, v66, v69 :: v_dual_sub_f32 v67, v69, v67
	s_delay_alu instid0(VALU_DEP_2) | instskip(NEXT) | instid1(VALU_DEP_2)
	v_sub_f32_e32 v22, v22, v71
	v_dual_sub_f32 v80, v70, v66 :: v_dual_sub_f32 v23, v23, v67
	s_delay_alu instid0(VALU_DEP_1) | instskip(SKIP_1) | instid1(VALU_DEP_3)
	v_sub_f32_e32 v81, v70, v80
	v_sub_f32_e32 v67, v69, v80
	v_add_f32_e32 v69, v22, v23
	s_delay_alu instid0(VALU_DEP_3) | instskip(NEXT) | instid1(VALU_DEP_1)
	v_sub_f32_e32 v66, v66, v81
	v_add_f32_e32 v66, v67, v66
	s_delay_alu instid0(VALU_DEP_3) | instskip(NEXT) | instid1(VALU_DEP_2)
	v_sub_f32_e32 v67, v69, v22
	v_add_f32_e32 v66, v69, v66
	s_delay_alu instid0(VALU_DEP_2) | instskip(SKIP_1) | instid1(VALU_DEP_3)
	v_sub_f32_e32 v69, v69, v67
	v_sub_f32_e32 v23, v23, v67
	v_add_f32_e32 v71, v70, v66
	s_delay_alu instid0(VALU_DEP_1) | instskip(NEXT) | instid1(VALU_DEP_1)
	v_dual_sub_f32 v22, v22, v69 :: v_dual_sub_f32 v67, v71, v70
	v_dual_add_f32 v22, v23, v22 :: v_dual_sub_f32 v23, v66, v67
	s_delay_alu instid0(VALU_DEP_1) | instskip(NEXT) | instid1(VALU_DEP_1)
	v_add_f32_e32 v22, v22, v23
	v_add_f32_e32 v22, v71, v22
	s_delay_alu instid0(VALU_DEP_1) | instskip(NEXT) | instid1(VALU_DEP_1)
	v_cndmask_b32_e32 v17, v22, v17, vcc_lo
	v_add_f32_e32 v17, v16, v17
.LBB481_55:
	s_or_b32 exec_lo, exec_lo, s5
	s_delay_alu instid0(VALU_DEP_1) | instskip(SKIP_1) | instid1(VALU_DEP_2)
	v_bfe_u32 v16, v17, 16, 1
	v_cmp_o_f32_e32 vcc_lo, v17, v17
	v_add3_u32 v16, v17, v16, 0x7fff
	s_delay_alu instid0(VALU_DEP_1) | instskip(NEXT) | instid1(VALU_DEP_1)
	v_and_b32_e32 v16, 0xffff0000, v16
	v_dual_cndmask_b32 v17, 0x7fc00000, v16 :: v_dual_lshlrev_b32 v66, 16, v54
	s_delay_alu instid0(VALU_DEP_1) | instskip(SKIP_1) | instid1(VALU_DEP_3)
	v_max_f32_e32 v70, v66, v66
	v_cmp_u_f32_e64 s5, v66, v66
	v_max_f32_e32 v16, v17, v17
	v_cmp_u_f32_e32 vcc_lo, v17, v17
	s_delay_alu instid0(VALU_DEP_2) | instskip(SKIP_1) | instid1(VALU_DEP_2)
	v_min_f32_e32 v22, v16, v70
	v_max_f32_e32 v16, v16, v70
	v_cndmask_b32_e32 v22, v22, v17, vcc_lo
	s_delay_alu instid0(VALU_DEP_2) | instskip(NEXT) | instid1(VALU_DEP_2)
	v_cndmask_b32_e32 v16, v16, v17, vcc_lo
	v_cndmask_b32_e64 v22, v22, v66, s5
	s_delay_alu instid0(VALU_DEP_2) | instskip(NEXT) | instid1(VALU_DEP_2)
	v_cndmask_b32_e64 v16, v16, v66, s5
	v_cmp_class_f32_e64 s6, v22, 0x1f8
	s_delay_alu instid0(VALU_DEP_2) | instskip(NEXT) | instid1(VALU_DEP_2)
	v_cmp_neq_f32_e32 vcc_lo, v22, v16
	s_or_b32 s7, vcc_lo, s6
	s_delay_alu instid0(SALU_CYCLE_1)
	s_and_saveexec_b32 s6, s7
	s_cbranch_execz .LBB481_57
; %bb.56:
	v_sub_f32_e32 v17, v22, v16
	s_mov_b32 s7, 0x3e9b6dac
	s_delay_alu instid0(VALU_DEP_1) | instskip(SKIP_1) | instid1(VALU_DEP_2)
	v_mul_f32_e32 v22, 0x3fb8aa3b, v17
	v_cmp_ngt_f32_e32 vcc_lo, 0xc2ce8ed0, v17
	v_fma_f32 v23, 0x3fb8aa3b, v17, -v22
	v_rndne_f32_e32 v67, v22
	s_delay_alu instid0(VALU_DEP_1) | instskip(NEXT) | instid1(VALU_DEP_1)
	v_dual_fmamk_f32 v23, v17, 0x32a5705f, v23 :: v_dual_sub_f32 v22, v22, v67
	v_add_f32_e32 v22, v22, v23
	v_cvt_i32_f32_e32 v23, v67
	s_delay_alu instid0(VALU_DEP_2) | instskip(SKIP_2) | instid1(VALU_DEP_1)
	v_exp_f32_e32 v22, v22
	s_waitcnt_depctr 0xfff
	v_ldexp_f32 v22, v22, v23
	v_cndmask_b32_e32 v22, 0, v22, vcc_lo
	v_cmp_nlt_f32_e32 vcc_lo, 0x42b17218, v17
	s_delay_alu instid0(VALU_DEP_2) | instskip(NEXT) | instid1(VALU_DEP_1)
	v_cndmask_b32_e32 v17, 0x7f800000, v22, vcc_lo
	v_add_f32_e32 v67, 1.0, v17
	s_delay_alu instid0(VALU_DEP_1) | instskip(NEXT) | instid1(VALU_DEP_1)
	v_cvt_f64_f32_e32 v[22:23], v67
	v_frexp_exp_i32_f64_e32 v22, v[22:23]
	v_frexp_mant_f32_e32 v23, v67
	s_delay_alu instid0(VALU_DEP_1) | instskip(SKIP_1) | instid1(VALU_DEP_1)
	v_cmp_gt_f32_e32 vcc_lo, 0x3f2aaaab, v23
	v_add_f32_e32 v23, -1.0, v67
	v_sub_f32_e32 v71, v23, v67
	s_delay_alu instid0(VALU_DEP_1) | instskip(SKIP_1) | instid1(VALU_DEP_1)
	v_add_f32_e32 v71, 1.0, v71
	v_subrev_co_ci_u32_e32 v22, vcc_lo, 0, v22, vcc_lo
	v_sub_nc_u32_e32 v69, 0, v22
	v_cvt_f32_i32_e32 v22, v22
	s_delay_alu instid0(VALU_DEP_2) | instskip(NEXT) | instid1(VALU_DEP_1)
	v_ldexp_f32 v67, v67, v69
	v_add_f32_e32 v80, 1.0, v67
	v_sub_f32_e32 v23, v17, v23
	v_cmp_eq_f32_e32 vcc_lo, 0x7f800000, v17
	s_delay_alu instid0(VALU_DEP_2) | instskip(NEXT) | instid1(VALU_DEP_1)
	v_add_f32_e32 v23, v23, v71
	v_ldexp_f32 v23, v23, v69
	v_add_f32_e32 v69, -1.0, v67
	v_add_f32_e32 v71, -1.0, v80
	s_delay_alu instid0(VALU_DEP_2) | instskip(NEXT) | instid1(VALU_DEP_2)
	v_add_f32_e32 v81, 1.0, v69
	v_sub_f32_e32 v71, v67, v71
	s_delay_alu instid0(VALU_DEP_2) | instskip(NEXT) | instid1(VALU_DEP_2)
	v_sub_f32_e32 v67, v67, v81
	v_add_f32_e32 v71, v23, v71
	s_delay_alu instid0(VALU_DEP_2) | instskip(NEXT) | instid1(VALU_DEP_2)
	v_add_f32_e32 v23, v23, v67
	v_add_f32_e32 v81, v80, v71
	s_delay_alu instid0(VALU_DEP_2) | instskip(NEXT) | instid1(VALU_DEP_2)
	v_add_f32_e32 v82, v69, v23
	v_rcp_f32_e32 v67, v81
	s_delay_alu instid0(VALU_DEP_1) | instskip(NEXT) | instid1(VALU_DEP_1)
	v_dual_sub_f32 v80, v80, v81 :: v_dual_sub_f32 v69, v69, v82
	v_add_f32_e32 v71, v71, v80
	s_delay_alu instid0(VALU_DEP_2) | instskip(SKIP_2) | instid1(VALU_DEP_1)
	v_add_f32_e32 v23, v23, v69
	s_waitcnt_depctr 0xfff
	v_mul_f32_e32 v83, v82, v67
	v_mul_f32_e32 v84, v81, v83
	s_delay_alu instid0(VALU_DEP_1) | instskip(NEXT) | instid1(VALU_DEP_1)
	v_fma_f32 v80, v83, v81, -v84
	v_fmac_f32_e32 v80, v83, v71
	s_delay_alu instid0(VALU_DEP_1) | instskip(NEXT) | instid1(VALU_DEP_1)
	v_add_f32_e32 v85, v84, v80
	v_dual_sub_f32 v86, v82, v85 :: v_dual_sub_f32 v69, v85, v84
	s_delay_alu instid0(VALU_DEP_1) | instskip(NEXT) | instid1(VALU_DEP_1)
	v_dual_sub_f32 v82, v82, v86 :: v_dual_sub_f32 v69, v69, v80
	v_sub_f32_e32 v82, v82, v85
	s_delay_alu instid0(VALU_DEP_1) | instskip(NEXT) | instid1(VALU_DEP_1)
	v_add_f32_e32 v23, v23, v82
	v_add_f32_e32 v23, v69, v23
	s_delay_alu instid0(VALU_DEP_1) | instskip(NEXT) | instid1(VALU_DEP_1)
	v_add_f32_e32 v69, v86, v23
	v_mul_f32_e32 v80, v67, v69
	s_delay_alu instid0(VALU_DEP_1) | instskip(NEXT) | instid1(VALU_DEP_1)
	v_dual_sub_f32 v85, v86, v69 :: v_dual_mul_f32 v82, v81, v80
	v_add_f32_e32 v23, v23, v85
	s_delay_alu instid0(VALU_DEP_2) | instskip(NEXT) | instid1(VALU_DEP_1)
	v_fma_f32 v81, v80, v81, -v82
	v_fmac_f32_e32 v81, v80, v71
	s_delay_alu instid0(VALU_DEP_1) | instskip(NEXT) | instid1(VALU_DEP_1)
	v_add_f32_e32 v71, v82, v81
	v_sub_f32_e32 v84, v69, v71
	s_delay_alu instid0(VALU_DEP_1) | instskip(NEXT) | instid1(VALU_DEP_1)
	v_dual_sub_f32 v82, v71, v82 :: v_dual_sub_f32 v69, v69, v84
	v_sub_f32_e32 v69, v69, v71
	s_delay_alu instid0(VALU_DEP_2) | instskip(NEXT) | instid1(VALU_DEP_2)
	v_sub_f32_e32 v71, v82, v81
	v_add_f32_e32 v23, v23, v69
	v_add_f32_e32 v69, v83, v80
	s_delay_alu instid0(VALU_DEP_2) | instskip(NEXT) | instid1(VALU_DEP_2)
	v_add_f32_e32 v23, v71, v23
	v_sub_f32_e32 v71, v69, v83
	s_delay_alu instid0(VALU_DEP_2) | instskip(NEXT) | instid1(VALU_DEP_2)
	v_add_f32_e32 v23, v84, v23
	v_sub_f32_e32 v71, v80, v71
	s_delay_alu instid0(VALU_DEP_2) | instskip(NEXT) | instid1(VALU_DEP_1)
	v_mul_f32_e32 v23, v67, v23
	v_add_f32_e32 v23, v71, v23
	s_delay_alu instid0(VALU_DEP_1) | instskip(NEXT) | instid1(VALU_DEP_1)
	v_add_f32_e32 v67, v69, v23
	v_mul_f32_e32 v71, v67, v67
	s_delay_alu instid0(VALU_DEP_1) | instskip(SKIP_2) | instid1(VALU_DEP_3)
	v_fmaak_f32 v80, s7, v71, 0x3ecc95a3
	v_mul_f32_e32 v81, v67, v71
	v_cmp_gt_f32_e64 s7, 0x33800000, |v17|
	v_fmaak_f32 v71, v71, v80, 0x3f2aaada
	v_ldexp_f32 v80, v67, 1
	v_sub_f32_e32 v67, v67, v69
	s_delay_alu instid0(VALU_DEP_4) | instskip(NEXT) | instid1(VALU_DEP_3)
	s_or_b32 vcc_lo, vcc_lo, s7
	v_mul_f32_e32 v71, v81, v71
	v_mul_f32_e32 v81, 0x3f317218, v22
	s_delay_alu instid0(VALU_DEP_3) | instskip(NEXT) | instid1(VALU_DEP_3)
	v_sub_f32_e32 v23, v23, v67
	v_add_f32_e32 v69, v80, v71
	s_delay_alu instid0(VALU_DEP_2) | instskip(NEXT) | instid1(VALU_DEP_2)
	v_ldexp_f32 v23, v23, 1
	v_sub_f32_e32 v67, v69, v80
	v_fma_f32 v80, 0x3f317218, v22, -v81
	s_delay_alu instid0(VALU_DEP_1) | instskip(NEXT) | instid1(VALU_DEP_1)
	v_dual_sub_f32 v67, v71, v67 :: v_dual_fmamk_f32 v22, v22, 0xb102e308, v80
	v_add_f32_e32 v23, v23, v67
	s_delay_alu instid0(VALU_DEP_2) | instskip(NEXT) | instid1(VALU_DEP_2)
	v_add_f32_e32 v67, v81, v22
	v_add_f32_e32 v71, v69, v23
	s_delay_alu instid0(VALU_DEP_2) | instskip(NEXT) | instid1(VALU_DEP_2)
	v_sub_f32_e32 v81, v67, v81
	v_add_f32_e32 v80, v67, v71
	v_sub_f32_e32 v69, v71, v69
	s_delay_alu instid0(VALU_DEP_3) | instskip(NEXT) | instid1(VALU_DEP_2)
	v_sub_f32_e32 v22, v22, v81
	v_dual_sub_f32 v82, v80, v67 :: v_dual_sub_f32 v23, v23, v69
	s_delay_alu instid0(VALU_DEP_1) | instskip(SKIP_1) | instid1(VALU_DEP_3)
	v_sub_f32_e32 v83, v80, v82
	v_sub_f32_e32 v69, v71, v82
	v_add_f32_e32 v71, v22, v23
	s_delay_alu instid0(VALU_DEP_3) | instskip(NEXT) | instid1(VALU_DEP_1)
	v_sub_f32_e32 v67, v67, v83
	v_add_f32_e32 v67, v69, v67
	s_delay_alu instid0(VALU_DEP_3) | instskip(NEXT) | instid1(VALU_DEP_2)
	v_sub_f32_e32 v69, v71, v22
	v_add_f32_e32 v67, v71, v67
	s_delay_alu instid0(VALU_DEP_2) | instskip(SKIP_1) | instid1(VALU_DEP_3)
	v_sub_f32_e32 v71, v71, v69
	v_sub_f32_e32 v23, v23, v69
	v_add_f32_e32 v81, v80, v67
	s_delay_alu instid0(VALU_DEP_1) | instskip(NEXT) | instid1(VALU_DEP_1)
	v_dual_sub_f32 v22, v22, v71 :: v_dual_sub_f32 v69, v81, v80
	v_add_f32_e32 v22, v23, v22
	s_delay_alu instid0(VALU_DEP_2) | instskip(NEXT) | instid1(VALU_DEP_1)
	v_sub_f32_e32 v23, v67, v69
	v_add_f32_e32 v22, v22, v23
	s_delay_alu instid0(VALU_DEP_1) | instskip(NEXT) | instid1(VALU_DEP_1)
	v_add_f32_e32 v22, v81, v22
	v_cndmask_b32_e32 v17, v22, v17, vcc_lo
	s_delay_alu instid0(VALU_DEP_1)
	v_add_f32_e32 v17, v16, v17
.LBB481_57:
	s_or_b32 exec_lo, exec_lo, s6
	s_delay_alu instid0(VALU_DEP_1) | instskip(SKIP_1) | instid1(VALU_DEP_2)
	v_bfe_u32 v16, v17, 16, 1
	v_cmp_o_f32_e32 vcc_lo, v17, v17
	v_add3_u32 v16, v17, v16, 0x7fff
	s_delay_alu instid0(VALU_DEP_1) | instskip(NEXT) | instid1(VALU_DEP_1)
	v_and_b32_e32 v16, 0xffff0000, v16
	v_cndmask_b32_e32 v17, 0x7fc00000, v16, vcc_lo
	s_delay_alu instid0(VALU_DEP_1) | instskip(SKIP_1) | instid1(VALU_DEP_1)
	v_max_f32_e32 v16, v17, v17
	v_lshlrev_b32_e32 v67, 16, v53
	v_max_f32_e32 v80, v67, v67
	v_cmp_u_f32_e32 vcc_lo, v17, v17
	s_delay_alu instid0(VALU_DEP_2) | instskip(SKIP_2) | instid1(VALU_DEP_3)
	v_min_f32_e32 v22, v16, v80
	v_max_f32_e32 v16, v16, v80
	v_cmp_u_f32_e64 s6, v67, v67
	v_cndmask_b32_e32 v22, v22, v17, vcc_lo
	s_delay_alu instid0(VALU_DEP_3) | instskip(NEXT) | instid1(VALU_DEP_2)
	v_cndmask_b32_e32 v16, v16, v17, vcc_lo
	v_cndmask_b32_e64 v22, v22, v67, s6
	s_delay_alu instid0(VALU_DEP_2) | instskip(NEXT) | instid1(VALU_DEP_2)
	v_cndmask_b32_e64 v16, v16, v67, s6
	v_cmp_class_f32_e64 s7, v22, 0x1f8
	s_delay_alu instid0(VALU_DEP_2) | instskip(NEXT) | instid1(VALU_DEP_2)
	v_cmp_neq_f32_e32 vcc_lo, v22, v16
	s_or_b32 s8, vcc_lo, s7
	s_delay_alu instid0(SALU_CYCLE_1)
	s_and_saveexec_b32 s7, s8
	s_cbranch_execz .LBB481_59
; %bb.58:
	v_sub_f32_e32 v17, v22, v16
	s_mov_b32 s8, 0x3e9b6dac
	s_delay_alu instid0(VALU_DEP_1) | instskip(SKIP_1) | instid1(VALU_DEP_2)
	v_mul_f32_e32 v22, 0x3fb8aa3b, v17
	v_cmp_ngt_f32_e32 vcc_lo, 0xc2ce8ed0, v17
	v_fma_f32 v23, 0x3fb8aa3b, v17, -v22
	v_rndne_f32_e32 v69, v22
	s_delay_alu instid0(VALU_DEP_1) | instskip(NEXT) | instid1(VALU_DEP_1)
	v_dual_fmamk_f32 v23, v17, 0x32a5705f, v23 :: v_dual_sub_f32 v22, v22, v69
	v_add_f32_e32 v22, v22, v23
	v_cvt_i32_f32_e32 v23, v69
	s_delay_alu instid0(VALU_DEP_2) | instskip(SKIP_2) | instid1(VALU_DEP_1)
	v_exp_f32_e32 v22, v22
	s_waitcnt_depctr 0xfff
	v_ldexp_f32 v22, v22, v23
	v_cndmask_b32_e32 v22, 0, v22, vcc_lo
	v_cmp_nlt_f32_e32 vcc_lo, 0x42b17218, v17
	s_delay_alu instid0(VALU_DEP_2) | instskip(NEXT) | instid1(VALU_DEP_1)
	v_cndmask_b32_e32 v17, 0x7f800000, v22, vcc_lo
	v_add_f32_e32 v69, 1.0, v17
	s_delay_alu instid0(VALU_DEP_1) | instskip(NEXT) | instid1(VALU_DEP_1)
	v_cvt_f64_f32_e32 v[22:23], v69
	v_frexp_exp_i32_f64_e32 v22, v[22:23]
	v_frexp_mant_f32_e32 v23, v69
	s_delay_alu instid0(VALU_DEP_1) | instskip(SKIP_1) | instid1(VALU_DEP_1)
	v_cmp_gt_f32_e32 vcc_lo, 0x3f2aaaab, v23
	v_add_f32_e32 v23, -1.0, v69
	v_sub_f32_e32 v81, v23, v69
	s_delay_alu instid0(VALU_DEP_1) | instskip(SKIP_1) | instid1(VALU_DEP_1)
	v_add_f32_e32 v81, 1.0, v81
	v_subrev_co_ci_u32_e32 v22, vcc_lo, 0, v22, vcc_lo
	v_sub_nc_u32_e32 v71, 0, v22
	v_cvt_f32_i32_e32 v22, v22
	s_delay_alu instid0(VALU_DEP_2) | instskip(NEXT) | instid1(VALU_DEP_1)
	v_ldexp_f32 v69, v69, v71
	v_dual_add_f32 v82, 1.0, v69 :: v_dual_sub_f32 v23, v17, v23
	v_cmp_eq_f32_e32 vcc_lo, 0x7f800000, v17
	s_delay_alu instid0(VALU_DEP_2) | instskip(NEXT) | instid1(VALU_DEP_3)
	v_add_f32_e32 v23, v23, v81
	v_add_f32_e32 v81, -1.0, v82
	s_delay_alu instid0(VALU_DEP_2) | instskip(SKIP_1) | instid1(VALU_DEP_3)
	v_ldexp_f32 v23, v23, v71
	v_add_f32_e32 v71, -1.0, v69
	v_sub_f32_e32 v81, v69, v81
	s_delay_alu instid0(VALU_DEP_2) | instskip(NEXT) | instid1(VALU_DEP_2)
	v_add_f32_e32 v83, 1.0, v71
	v_add_f32_e32 v81, v23, v81
	s_delay_alu instid0(VALU_DEP_2) | instskip(NEXT) | instid1(VALU_DEP_2)
	v_sub_f32_e32 v69, v69, v83
	v_add_f32_e32 v83, v82, v81
	s_delay_alu instid0(VALU_DEP_2) | instskip(NEXT) | instid1(VALU_DEP_2)
	v_add_f32_e32 v23, v23, v69
	v_rcp_f32_e32 v69, v83
	v_sub_f32_e32 v82, v82, v83
	s_delay_alu instid0(VALU_DEP_1) | instskip(NEXT) | instid1(VALU_DEP_1)
	v_dual_add_f32 v84, v71, v23 :: v_dual_add_f32 v81, v81, v82
	v_sub_f32_e32 v71, v71, v84
	s_waitcnt_depctr 0xfff
	v_mul_f32_e32 v85, v84, v69
	v_add_f32_e32 v23, v23, v71
	s_delay_alu instid0(VALU_DEP_2) | instskip(NEXT) | instid1(VALU_DEP_1)
	v_mul_f32_e32 v86, v83, v85
	v_fma_f32 v82, v85, v83, -v86
	s_delay_alu instid0(VALU_DEP_1) | instskip(NEXT) | instid1(VALU_DEP_1)
	v_fmac_f32_e32 v82, v85, v81
	v_add_f32_e32 v87, v86, v82
	s_delay_alu instid0(VALU_DEP_1) | instskip(NEXT) | instid1(VALU_DEP_1)
	v_dual_sub_f32 v96, v84, v87 :: v_dual_sub_f32 v71, v87, v86
	v_dual_sub_f32 v84, v84, v96 :: v_dual_sub_f32 v71, v71, v82
	s_delay_alu instid0(VALU_DEP_1) | instskip(NEXT) | instid1(VALU_DEP_1)
	v_sub_f32_e32 v84, v84, v87
	v_add_f32_e32 v23, v23, v84
	s_delay_alu instid0(VALU_DEP_1) | instskip(NEXT) | instid1(VALU_DEP_1)
	v_add_f32_e32 v23, v71, v23
	v_add_f32_e32 v71, v96, v23
	s_delay_alu instid0(VALU_DEP_1) | instskip(NEXT) | instid1(VALU_DEP_1)
	v_mul_f32_e32 v82, v69, v71
	v_dual_sub_f32 v87, v96, v71 :: v_dual_mul_f32 v84, v83, v82
	s_delay_alu instid0(VALU_DEP_1) | instskip(NEXT) | instid1(VALU_DEP_2)
	v_add_f32_e32 v23, v23, v87
	v_fma_f32 v83, v82, v83, -v84
	s_delay_alu instid0(VALU_DEP_1) | instskip(NEXT) | instid1(VALU_DEP_1)
	v_fmac_f32_e32 v83, v82, v81
	v_add_f32_e32 v81, v84, v83
	s_delay_alu instid0(VALU_DEP_1) | instskip(NEXT) | instid1(VALU_DEP_1)
	v_sub_f32_e32 v86, v71, v81
	v_dual_sub_f32 v84, v81, v84 :: v_dual_sub_f32 v71, v71, v86
	s_delay_alu instid0(VALU_DEP_1) | instskip(NEXT) | instid1(VALU_DEP_2)
	v_sub_f32_e32 v71, v71, v81
	v_sub_f32_e32 v81, v84, v83
	s_delay_alu instid0(VALU_DEP_2) | instskip(SKIP_1) | instid1(VALU_DEP_2)
	v_add_f32_e32 v23, v23, v71
	v_add_f32_e32 v71, v85, v82
	;; [unrolled: 1-line block ×3, first 2 shown]
	s_delay_alu instid0(VALU_DEP_2) | instskip(NEXT) | instid1(VALU_DEP_2)
	v_sub_f32_e32 v81, v71, v85
	v_add_f32_e32 v23, v86, v23
	s_delay_alu instid0(VALU_DEP_2) | instskip(NEXT) | instid1(VALU_DEP_2)
	v_sub_f32_e32 v81, v82, v81
	v_mul_f32_e32 v23, v69, v23
	s_delay_alu instid0(VALU_DEP_1) | instskip(NEXT) | instid1(VALU_DEP_1)
	v_add_f32_e32 v23, v81, v23
	v_add_f32_e32 v69, v71, v23
	s_delay_alu instid0(VALU_DEP_1) | instskip(NEXT) | instid1(VALU_DEP_1)
	v_mul_f32_e32 v81, v69, v69
	v_fmaak_f32 v82, s8, v81, 0x3ecc95a3
	v_mul_f32_e32 v83, v69, v81
	v_cmp_gt_f32_e64 s8, 0x33800000, |v17|
	s_delay_alu instid0(VALU_DEP_3) | instskip(SKIP_2) | instid1(VALU_DEP_4)
	v_fmaak_f32 v81, v81, v82, 0x3f2aaada
	v_ldexp_f32 v82, v69, 1
	v_sub_f32_e32 v69, v69, v71
	s_or_b32 vcc_lo, vcc_lo, s8
	s_delay_alu instid0(VALU_DEP_3) | instskip(SKIP_1) | instid1(VALU_DEP_3)
	v_mul_f32_e32 v81, v83, v81
	v_mul_f32_e32 v83, 0x3f317218, v22
	v_sub_f32_e32 v23, v23, v69
	s_delay_alu instid0(VALU_DEP_3) | instskip(NEXT) | instid1(VALU_DEP_2)
	v_add_f32_e32 v71, v82, v81
	v_ldexp_f32 v23, v23, 1
	s_delay_alu instid0(VALU_DEP_2) | instskip(SKIP_1) | instid1(VALU_DEP_1)
	v_sub_f32_e32 v69, v71, v82
	v_fma_f32 v82, 0x3f317218, v22, -v83
	v_dual_sub_f32 v69, v81, v69 :: v_dual_fmamk_f32 v22, v22, 0xb102e308, v82
	s_delay_alu instid0(VALU_DEP_1) | instskip(NEXT) | instid1(VALU_DEP_2)
	v_add_f32_e32 v23, v23, v69
	v_add_f32_e32 v69, v83, v22
	s_delay_alu instid0(VALU_DEP_2) | instskip(NEXT) | instid1(VALU_DEP_2)
	v_add_f32_e32 v81, v71, v23
	v_sub_f32_e32 v83, v69, v83
	s_delay_alu instid0(VALU_DEP_2) | instskip(SKIP_1) | instid1(VALU_DEP_3)
	v_add_f32_e32 v82, v69, v81
	v_sub_f32_e32 v71, v81, v71
	v_sub_f32_e32 v22, v22, v83
	s_delay_alu instid0(VALU_DEP_2) | instskip(NEXT) | instid1(VALU_DEP_1)
	v_dual_sub_f32 v84, v82, v69 :: v_dual_sub_f32 v23, v23, v71
	v_sub_f32_e32 v85, v82, v84
	v_sub_f32_e32 v71, v81, v84
	s_delay_alu instid0(VALU_DEP_3) | instskip(NEXT) | instid1(VALU_DEP_3)
	v_add_f32_e32 v81, v22, v23
	v_sub_f32_e32 v69, v69, v85
	s_delay_alu instid0(VALU_DEP_1) | instskip(NEXT) | instid1(VALU_DEP_3)
	v_add_f32_e32 v69, v71, v69
	v_sub_f32_e32 v71, v81, v22
	s_delay_alu instid0(VALU_DEP_2) | instskip(NEXT) | instid1(VALU_DEP_2)
	v_add_f32_e32 v69, v81, v69
	v_sub_f32_e32 v81, v81, v71
	v_sub_f32_e32 v23, v23, v71
	s_delay_alu instid0(VALU_DEP_3) | instskip(NEXT) | instid1(VALU_DEP_1)
	v_add_f32_e32 v83, v82, v69
	v_dual_sub_f32 v22, v22, v81 :: v_dual_sub_f32 v71, v83, v82
	s_delay_alu instid0(VALU_DEP_1) | instskip(NEXT) | instid1(VALU_DEP_1)
	v_dual_add_f32 v22, v23, v22 :: v_dual_sub_f32 v23, v69, v71
	v_add_f32_e32 v22, v22, v23
	s_delay_alu instid0(VALU_DEP_1) | instskip(NEXT) | instid1(VALU_DEP_1)
	v_add_f32_e32 v22, v83, v22
	v_cndmask_b32_e32 v17, v22, v17, vcc_lo
	s_delay_alu instid0(VALU_DEP_1)
	v_add_f32_e32 v17, v16, v17
.LBB481_59:
	s_or_b32 exec_lo, exec_lo, s7
	s_delay_alu instid0(VALU_DEP_1) | instskip(SKIP_1) | instid1(VALU_DEP_2)
	v_bfe_u32 v16, v17, 16, 1
	v_cmp_o_f32_e32 vcc_lo, v17, v17
	v_add3_u32 v16, v17, v16, 0x7fff
	s_delay_alu instid0(VALU_DEP_1) | instskip(NEXT) | instid1(VALU_DEP_1)
	v_and_b32_e32 v16, 0xffff0000, v16
	v_cndmask_b32_e32 v17, 0x7fc00000, v16, vcc_lo
	s_delay_alu instid0(VALU_DEP_1) | instskip(NEXT) | instid1(VALU_DEP_1)
	v_dual_max_f32 v16, v17, v17 :: v_dual_lshlrev_b32 v69, 16, v52
	v_max_f32_e32 v82, v69, v69
	v_cmp_u_f32_e32 vcc_lo, v17, v17
	v_cmp_u_f32_e64 s7, v69, v69
	s_delay_alu instid0(VALU_DEP_3) | instskip(SKIP_1) | instid1(VALU_DEP_2)
	v_min_f32_e32 v22, v16, v82
	v_max_f32_e32 v16, v16, v82
	v_cndmask_b32_e32 v22, v22, v17, vcc_lo
	s_delay_alu instid0(VALU_DEP_2) | instskip(NEXT) | instid1(VALU_DEP_2)
	v_cndmask_b32_e32 v16, v16, v17, vcc_lo
	v_cndmask_b32_e64 v22, v22, v69, s7
	s_delay_alu instid0(VALU_DEP_2) | instskip(NEXT) | instid1(VALU_DEP_2)
	v_cndmask_b32_e64 v16, v16, v69, s7
	v_cmp_class_f32_e64 s8, v22, 0x1f8
	s_delay_alu instid0(VALU_DEP_2) | instskip(NEXT) | instid1(VALU_DEP_2)
	v_cmp_neq_f32_e32 vcc_lo, v22, v16
	s_or_b32 s9, vcc_lo, s8
	s_delay_alu instid0(SALU_CYCLE_1)
	s_and_saveexec_b32 s8, s9
	s_cbranch_execz .LBB481_61
; %bb.60:
	v_sub_f32_e32 v17, v22, v16
	s_mov_b32 s9, 0x3e9b6dac
	s_delay_alu instid0(VALU_DEP_1) | instskip(SKIP_1) | instid1(VALU_DEP_2)
	v_mul_f32_e32 v22, 0x3fb8aa3b, v17
	v_cmp_ngt_f32_e32 vcc_lo, 0xc2ce8ed0, v17
	v_fma_f32 v23, 0x3fb8aa3b, v17, -v22
	v_rndne_f32_e32 v71, v22
	s_delay_alu instid0(VALU_DEP_1) | instskip(NEXT) | instid1(VALU_DEP_1)
	v_dual_fmamk_f32 v23, v17, 0x32a5705f, v23 :: v_dual_sub_f32 v22, v22, v71
	v_add_f32_e32 v22, v22, v23
	v_cvt_i32_f32_e32 v23, v71
	s_delay_alu instid0(VALU_DEP_2) | instskip(SKIP_2) | instid1(VALU_DEP_1)
	v_exp_f32_e32 v22, v22
	s_waitcnt_depctr 0xfff
	v_ldexp_f32 v22, v22, v23
	v_cndmask_b32_e32 v22, 0, v22, vcc_lo
	v_cmp_nlt_f32_e32 vcc_lo, 0x42b17218, v17
	s_delay_alu instid0(VALU_DEP_2) | instskip(NEXT) | instid1(VALU_DEP_1)
	v_cndmask_b32_e32 v17, 0x7f800000, v22, vcc_lo
	v_add_f32_e32 v71, 1.0, v17
	s_delay_alu instid0(VALU_DEP_1) | instskip(NEXT) | instid1(VALU_DEP_1)
	v_cvt_f64_f32_e32 v[22:23], v71
	v_frexp_exp_i32_f64_e32 v22, v[22:23]
	v_frexp_mant_f32_e32 v23, v71
	s_delay_alu instid0(VALU_DEP_1) | instskip(SKIP_1) | instid1(VALU_DEP_1)
	v_cmp_gt_f32_e32 vcc_lo, 0x3f2aaaab, v23
	v_add_f32_e32 v23, -1.0, v71
	v_sub_f32_e32 v83, v23, v71
	s_delay_alu instid0(VALU_DEP_1) | instskip(SKIP_1) | instid1(VALU_DEP_1)
	v_add_f32_e32 v83, 1.0, v83
	v_subrev_co_ci_u32_e32 v22, vcc_lo, 0, v22, vcc_lo
	v_sub_nc_u32_e32 v81, 0, v22
	v_cvt_f32_i32_e32 v22, v22
	s_delay_alu instid0(VALU_DEP_2) | instskip(NEXT) | instid1(VALU_DEP_1)
	v_ldexp_f32 v71, v71, v81
	v_add_f32_e32 v84, 1.0, v71
	v_sub_f32_e32 v23, v17, v23
	v_cmp_eq_f32_e32 vcc_lo, 0x7f800000, v17
	s_delay_alu instid0(VALU_DEP_2) | instskip(NEXT) | instid1(VALU_DEP_1)
	v_add_f32_e32 v23, v23, v83
	v_ldexp_f32 v23, v23, v81
	v_add_f32_e32 v81, -1.0, v71
	v_add_f32_e32 v83, -1.0, v84
	s_delay_alu instid0(VALU_DEP_2) | instskip(NEXT) | instid1(VALU_DEP_2)
	v_add_f32_e32 v85, 1.0, v81
	v_sub_f32_e32 v83, v71, v83
	s_delay_alu instid0(VALU_DEP_2) | instskip(NEXT) | instid1(VALU_DEP_2)
	v_sub_f32_e32 v71, v71, v85
	v_add_f32_e32 v83, v23, v83
	s_delay_alu instid0(VALU_DEP_2) | instskip(NEXT) | instid1(VALU_DEP_2)
	v_add_f32_e32 v23, v23, v71
	v_add_f32_e32 v85, v84, v83
	s_delay_alu instid0(VALU_DEP_2) | instskip(NEXT) | instid1(VALU_DEP_2)
	v_add_f32_e32 v86, v81, v23
	v_rcp_f32_e32 v71, v85
	s_delay_alu instid0(VALU_DEP_1) | instskip(NEXT) | instid1(VALU_DEP_1)
	v_dual_sub_f32 v84, v84, v85 :: v_dual_sub_f32 v81, v81, v86
	v_add_f32_e32 v83, v83, v84
	s_delay_alu instid0(VALU_DEP_2) | instskip(SKIP_2) | instid1(VALU_DEP_1)
	v_add_f32_e32 v23, v23, v81
	s_waitcnt_depctr 0xfff
	v_mul_f32_e32 v87, v86, v71
	v_mul_f32_e32 v96, v85, v87
	s_delay_alu instid0(VALU_DEP_1) | instskip(NEXT) | instid1(VALU_DEP_1)
	v_fma_f32 v84, v87, v85, -v96
	v_fmac_f32_e32 v84, v87, v83
	s_delay_alu instid0(VALU_DEP_1) | instskip(NEXT) | instid1(VALU_DEP_1)
	v_add_f32_e32 v97, v96, v84
	v_dual_sub_f32 v98, v86, v97 :: v_dual_sub_f32 v81, v97, v96
	s_delay_alu instid0(VALU_DEP_1) | instskip(NEXT) | instid1(VALU_DEP_1)
	v_dual_sub_f32 v86, v86, v98 :: v_dual_sub_f32 v81, v81, v84
	v_sub_f32_e32 v86, v86, v97
	s_delay_alu instid0(VALU_DEP_1) | instskip(NEXT) | instid1(VALU_DEP_1)
	v_add_f32_e32 v23, v23, v86
	v_add_f32_e32 v23, v81, v23
	s_delay_alu instid0(VALU_DEP_1) | instskip(NEXT) | instid1(VALU_DEP_1)
	v_add_f32_e32 v81, v98, v23
	v_mul_f32_e32 v84, v71, v81
	s_delay_alu instid0(VALU_DEP_1) | instskip(NEXT) | instid1(VALU_DEP_1)
	v_dual_sub_f32 v97, v98, v81 :: v_dual_mul_f32 v86, v85, v84
	v_add_f32_e32 v23, v23, v97
	s_delay_alu instid0(VALU_DEP_2) | instskip(NEXT) | instid1(VALU_DEP_1)
	v_fma_f32 v85, v84, v85, -v86
	v_fmac_f32_e32 v85, v84, v83
	s_delay_alu instid0(VALU_DEP_1) | instskip(NEXT) | instid1(VALU_DEP_1)
	v_add_f32_e32 v83, v86, v85
	v_sub_f32_e32 v96, v81, v83
	s_delay_alu instid0(VALU_DEP_1) | instskip(NEXT) | instid1(VALU_DEP_1)
	v_dual_sub_f32 v86, v83, v86 :: v_dual_sub_f32 v81, v81, v96
	v_sub_f32_e32 v81, v81, v83
	s_delay_alu instid0(VALU_DEP_2) | instskip(NEXT) | instid1(VALU_DEP_2)
	v_sub_f32_e32 v83, v86, v85
	v_add_f32_e32 v23, v23, v81
	v_add_f32_e32 v81, v87, v84
	s_delay_alu instid0(VALU_DEP_2) | instskip(NEXT) | instid1(VALU_DEP_2)
	v_add_f32_e32 v23, v83, v23
	v_sub_f32_e32 v83, v81, v87
	s_delay_alu instid0(VALU_DEP_2) | instskip(NEXT) | instid1(VALU_DEP_2)
	v_add_f32_e32 v23, v96, v23
	v_sub_f32_e32 v83, v84, v83
	s_delay_alu instid0(VALU_DEP_2) | instskip(NEXT) | instid1(VALU_DEP_1)
	v_mul_f32_e32 v23, v71, v23
	v_add_f32_e32 v23, v83, v23
	s_delay_alu instid0(VALU_DEP_1) | instskip(NEXT) | instid1(VALU_DEP_1)
	v_add_f32_e32 v71, v81, v23
	v_mul_f32_e32 v83, v71, v71
	s_delay_alu instid0(VALU_DEP_1) | instskip(SKIP_2) | instid1(VALU_DEP_3)
	v_fmaak_f32 v84, s9, v83, 0x3ecc95a3
	v_mul_f32_e32 v85, v71, v83
	v_cmp_gt_f32_e64 s9, 0x33800000, |v17|
	v_fmaak_f32 v83, v83, v84, 0x3f2aaada
	v_ldexp_f32 v84, v71, 1
	v_sub_f32_e32 v71, v71, v81
	s_delay_alu instid0(VALU_DEP_4) | instskip(NEXT) | instid1(VALU_DEP_3)
	s_or_b32 vcc_lo, vcc_lo, s9
	v_mul_f32_e32 v83, v85, v83
	v_mul_f32_e32 v85, 0x3f317218, v22
	s_delay_alu instid0(VALU_DEP_3) | instskip(NEXT) | instid1(VALU_DEP_3)
	v_sub_f32_e32 v23, v23, v71
	v_add_f32_e32 v81, v84, v83
	s_delay_alu instid0(VALU_DEP_2) | instskip(NEXT) | instid1(VALU_DEP_2)
	v_ldexp_f32 v23, v23, 1
	v_sub_f32_e32 v71, v81, v84
	v_fma_f32 v84, 0x3f317218, v22, -v85
	s_delay_alu instid0(VALU_DEP_1) | instskip(NEXT) | instid1(VALU_DEP_1)
	v_dual_sub_f32 v71, v83, v71 :: v_dual_fmamk_f32 v22, v22, 0xb102e308, v84
	v_add_f32_e32 v23, v23, v71
	s_delay_alu instid0(VALU_DEP_2) | instskip(NEXT) | instid1(VALU_DEP_2)
	v_add_f32_e32 v71, v85, v22
	v_add_f32_e32 v83, v81, v23
	s_delay_alu instid0(VALU_DEP_2) | instskip(NEXT) | instid1(VALU_DEP_2)
	v_sub_f32_e32 v85, v71, v85
	v_add_f32_e32 v84, v71, v83
	v_sub_f32_e32 v81, v83, v81
	s_delay_alu instid0(VALU_DEP_3) | instskip(NEXT) | instid1(VALU_DEP_2)
	v_sub_f32_e32 v22, v22, v85
	v_dual_sub_f32 v86, v84, v71 :: v_dual_sub_f32 v23, v23, v81
	s_delay_alu instid0(VALU_DEP_1) | instskip(SKIP_1) | instid1(VALU_DEP_3)
	v_sub_f32_e32 v87, v84, v86
	v_sub_f32_e32 v81, v83, v86
	v_add_f32_e32 v83, v22, v23
	s_delay_alu instid0(VALU_DEP_3) | instskip(NEXT) | instid1(VALU_DEP_1)
	v_sub_f32_e32 v71, v71, v87
	v_add_f32_e32 v71, v81, v71
	s_delay_alu instid0(VALU_DEP_3) | instskip(NEXT) | instid1(VALU_DEP_2)
	v_sub_f32_e32 v81, v83, v22
	v_add_f32_e32 v71, v83, v71
	s_delay_alu instid0(VALU_DEP_2) | instskip(SKIP_1) | instid1(VALU_DEP_3)
	v_sub_f32_e32 v83, v83, v81
	v_sub_f32_e32 v23, v23, v81
	v_add_f32_e32 v85, v84, v71
	s_delay_alu instid0(VALU_DEP_1) | instskip(NEXT) | instid1(VALU_DEP_1)
	v_dual_sub_f32 v22, v22, v83 :: v_dual_sub_f32 v81, v85, v84
	v_add_f32_e32 v22, v23, v22
	s_delay_alu instid0(VALU_DEP_2) | instskip(NEXT) | instid1(VALU_DEP_1)
	v_sub_f32_e32 v23, v71, v81
	v_add_f32_e32 v22, v22, v23
	s_delay_alu instid0(VALU_DEP_1) | instskip(NEXT) | instid1(VALU_DEP_1)
	v_add_f32_e32 v22, v85, v22
	v_cndmask_b32_e32 v17, v22, v17, vcc_lo
	s_delay_alu instid0(VALU_DEP_1)
	v_add_f32_e32 v17, v16, v17
.LBB481_61:
	s_or_b32 exec_lo, exec_lo, s8
	s_delay_alu instid0(VALU_DEP_1) | instskip(SKIP_1) | instid1(VALU_DEP_2)
	v_bfe_u32 v16, v17, 16, 1
	v_cmp_o_f32_e32 vcc_lo, v17, v17
	v_add3_u32 v16, v17, v16, 0x7fff
	s_delay_alu instid0(VALU_DEP_1) | instskip(NEXT) | instid1(VALU_DEP_1)
	v_and_b32_e32 v16, 0xffff0000, v16
	v_cndmask_b32_e32 v17, 0x7fc00000, v16, vcc_lo
	s_delay_alu instid0(VALU_DEP_1) | instskip(NEXT) | instid1(VALU_DEP_1)
	v_dual_max_f32 v16, v17, v17 :: v_dual_lshlrev_b32 v71, 16, v51
	v_max_f32_e32 v84, v71, v71
	v_cmp_u_f32_e32 vcc_lo, v17, v17
	v_cmp_u_f32_e64 s8, v71, v71
	s_delay_alu instid0(VALU_DEP_3) | instskip(SKIP_1) | instid1(VALU_DEP_2)
	v_min_f32_e32 v22, v16, v84
	v_max_f32_e32 v16, v16, v84
	v_cndmask_b32_e32 v22, v22, v17, vcc_lo
	s_delay_alu instid0(VALU_DEP_2) | instskip(NEXT) | instid1(VALU_DEP_2)
	v_cndmask_b32_e32 v16, v16, v17, vcc_lo
	v_cndmask_b32_e64 v22, v22, v71, s8
	s_delay_alu instid0(VALU_DEP_2) | instskip(NEXT) | instid1(VALU_DEP_2)
	v_cndmask_b32_e64 v16, v16, v71, s8
	v_cmp_class_f32_e64 s9, v22, 0x1f8
	s_delay_alu instid0(VALU_DEP_2) | instskip(NEXT) | instid1(VALU_DEP_2)
	v_cmp_neq_f32_e32 vcc_lo, v22, v16
	s_or_b32 s10, vcc_lo, s9
	s_delay_alu instid0(SALU_CYCLE_1)
	s_and_saveexec_b32 s9, s10
	s_cbranch_execz .LBB481_63
; %bb.62:
	v_sub_f32_e32 v17, v22, v16
	s_mov_b32 s10, 0x3e9b6dac
	s_delay_alu instid0(VALU_DEP_1) | instskip(SKIP_1) | instid1(VALU_DEP_2)
	v_mul_f32_e32 v22, 0x3fb8aa3b, v17
	v_cmp_ngt_f32_e32 vcc_lo, 0xc2ce8ed0, v17
	v_fma_f32 v23, 0x3fb8aa3b, v17, -v22
	v_rndne_f32_e32 v81, v22
	s_delay_alu instid0(VALU_DEP_1) | instskip(NEXT) | instid1(VALU_DEP_1)
	v_dual_fmamk_f32 v23, v17, 0x32a5705f, v23 :: v_dual_sub_f32 v22, v22, v81
	v_add_f32_e32 v22, v22, v23
	v_cvt_i32_f32_e32 v23, v81
	s_delay_alu instid0(VALU_DEP_2) | instskip(SKIP_2) | instid1(VALU_DEP_1)
	v_exp_f32_e32 v22, v22
	s_waitcnt_depctr 0xfff
	v_ldexp_f32 v22, v22, v23
	v_cndmask_b32_e32 v22, 0, v22, vcc_lo
	v_cmp_nlt_f32_e32 vcc_lo, 0x42b17218, v17
	s_delay_alu instid0(VALU_DEP_2) | instskip(NEXT) | instid1(VALU_DEP_1)
	v_cndmask_b32_e32 v17, 0x7f800000, v22, vcc_lo
	v_add_f32_e32 v81, 1.0, v17
	s_delay_alu instid0(VALU_DEP_1) | instskip(NEXT) | instid1(VALU_DEP_1)
	v_cvt_f64_f32_e32 v[22:23], v81
	v_frexp_exp_i32_f64_e32 v22, v[22:23]
	v_frexp_mant_f32_e32 v23, v81
	s_delay_alu instid0(VALU_DEP_1) | instskip(SKIP_1) | instid1(VALU_DEP_1)
	v_cmp_gt_f32_e32 vcc_lo, 0x3f2aaaab, v23
	v_add_f32_e32 v23, -1.0, v81
	v_sub_f32_e32 v85, v23, v81
	s_delay_alu instid0(VALU_DEP_1) | instskip(SKIP_1) | instid1(VALU_DEP_1)
	v_add_f32_e32 v85, 1.0, v85
	v_subrev_co_ci_u32_e32 v22, vcc_lo, 0, v22, vcc_lo
	v_sub_nc_u32_e32 v83, 0, v22
	v_cvt_f32_i32_e32 v22, v22
	s_delay_alu instid0(VALU_DEP_2) | instskip(NEXT) | instid1(VALU_DEP_1)
	v_ldexp_f32 v81, v81, v83
	v_dual_add_f32 v86, 1.0, v81 :: v_dual_sub_f32 v23, v17, v23
	v_cmp_eq_f32_e32 vcc_lo, 0x7f800000, v17
	s_delay_alu instid0(VALU_DEP_2) | instskip(NEXT) | instid1(VALU_DEP_3)
	v_add_f32_e32 v23, v23, v85
	v_add_f32_e32 v85, -1.0, v86
	s_delay_alu instid0(VALU_DEP_2) | instskip(SKIP_1) | instid1(VALU_DEP_3)
	v_ldexp_f32 v23, v23, v83
	v_add_f32_e32 v83, -1.0, v81
	v_sub_f32_e32 v85, v81, v85
	s_delay_alu instid0(VALU_DEP_2) | instskip(NEXT) | instid1(VALU_DEP_2)
	v_add_f32_e32 v87, 1.0, v83
	v_add_f32_e32 v85, v23, v85
	s_delay_alu instid0(VALU_DEP_2) | instskip(NEXT) | instid1(VALU_DEP_2)
	v_sub_f32_e32 v81, v81, v87
	v_add_f32_e32 v87, v86, v85
	s_delay_alu instid0(VALU_DEP_2) | instskip(NEXT) | instid1(VALU_DEP_2)
	v_add_f32_e32 v23, v23, v81
	v_rcp_f32_e32 v81, v87
	v_sub_f32_e32 v86, v86, v87
	s_delay_alu instid0(VALU_DEP_1) | instskip(NEXT) | instid1(VALU_DEP_1)
	v_dual_add_f32 v96, v83, v23 :: v_dual_add_f32 v85, v85, v86
	v_sub_f32_e32 v83, v83, v96
	s_waitcnt_depctr 0xfff
	v_mul_f32_e32 v97, v96, v81
	v_add_f32_e32 v23, v23, v83
	s_delay_alu instid0(VALU_DEP_2) | instskip(NEXT) | instid1(VALU_DEP_1)
	v_mul_f32_e32 v98, v87, v97
	v_fma_f32 v86, v97, v87, -v98
	s_delay_alu instid0(VALU_DEP_1) | instskip(NEXT) | instid1(VALU_DEP_1)
	v_fmac_f32_e32 v86, v97, v85
	v_add_f32_e32 v99, v98, v86
	s_delay_alu instid0(VALU_DEP_1) | instskip(NEXT) | instid1(VALU_DEP_1)
	v_dual_sub_f32 v100, v96, v99 :: v_dual_sub_f32 v83, v99, v98
	v_dual_sub_f32 v96, v96, v100 :: v_dual_sub_f32 v83, v83, v86
	s_delay_alu instid0(VALU_DEP_1) | instskip(NEXT) | instid1(VALU_DEP_1)
	v_sub_f32_e32 v96, v96, v99
	v_add_f32_e32 v23, v23, v96
	s_delay_alu instid0(VALU_DEP_1) | instskip(NEXT) | instid1(VALU_DEP_1)
	v_add_f32_e32 v23, v83, v23
	v_add_f32_e32 v83, v100, v23
	s_delay_alu instid0(VALU_DEP_1) | instskip(NEXT) | instid1(VALU_DEP_1)
	v_mul_f32_e32 v86, v81, v83
	v_dual_sub_f32 v99, v100, v83 :: v_dual_mul_f32 v96, v87, v86
	s_delay_alu instid0(VALU_DEP_1) | instskip(NEXT) | instid1(VALU_DEP_2)
	v_add_f32_e32 v23, v23, v99
	v_fma_f32 v87, v86, v87, -v96
	s_delay_alu instid0(VALU_DEP_1) | instskip(NEXT) | instid1(VALU_DEP_1)
	v_fmac_f32_e32 v87, v86, v85
	v_add_f32_e32 v85, v96, v87
	s_delay_alu instid0(VALU_DEP_1) | instskip(NEXT) | instid1(VALU_DEP_1)
	v_sub_f32_e32 v98, v83, v85
	v_dual_sub_f32 v96, v85, v96 :: v_dual_sub_f32 v83, v83, v98
	s_delay_alu instid0(VALU_DEP_1) | instskip(NEXT) | instid1(VALU_DEP_2)
	v_sub_f32_e32 v83, v83, v85
	v_sub_f32_e32 v85, v96, v87
	s_delay_alu instid0(VALU_DEP_2) | instskip(SKIP_1) | instid1(VALU_DEP_2)
	v_add_f32_e32 v23, v23, v83
	v_add_f32_e32 v83, v97, v86
	v_add_f32_e32 v23, v85, v23
	s_delay_alu instid0(VALU_DEP_2) | instskip(NEXT) | instid1(VALU_DEP_2)
	v_sub_f32_e32 v85, v83, v97
	v_add_f32_e32 v23, v98, v23
	s_delay_alu instid0(VALU_DEP_2) | instskip(NEXT) | instid1(VALU_DEP_2)
	v_sub_f32_e32 v85, v86, v85
	v_mul_f32_e32 v23, v81, v23
	s_delay_alu instid0(VALU_DEP_1) | instskip(NEXT) | instid1(VALU_DEP_1)
	v_add_f32_e32 v23, v85, v23
	v_add_f32_e32 v81, v83, v23
	s_delay_alu instid0(VALU_DEP_1) | instskip(NEXT) | instid1(VALU_DEP_1)
	v_mul_f32_e32 v85, v81, v81
	v_fmaak_f32 v86, s10, v85, 0x3ecc95a3
	v_mul_f32_e32 v87, v81, v85
	v_cmp_gt_f32_e64 s10, 0x33800000, |v17|
	s_delay_alu instid0(VALU_DEP_3) | instskip(SKIP_2) | instid1(VALU_DEP_4)
	v_fmaak_f32 v85, v85, v86, 0x3f2aaada
	v_ldexp_f32 v86, v81, 1
	v_sub_f32_e32 v81, v81, v83
	s_or_b32 vcc_lo, vcc_lo, s10
	s_delay_alu instid0(VALU_DEP_3) | instskip(SKIP_1) | instid1(VALU_DEP_3)
	v_mul_f32_e32 v85, v87, v85
	v_mul_f32_e32 v87, 0x3f317218, v22
	v_sub_f32_e32 v23, v23, v81
	s_delay_alu instid0(VALU_DEP_3) | instskip(NEXT) | instid1(VALU_DEP_2)
	v_add_f32_e32 v83, v86, v85
	v_ldexp_f32 v23, v23, 1
	s_delay_alu instid0(VALU_DEP_2) | instskip(SKIP_1) | instid1(VALU_DEP_1)
	v_sub_f32_e32 v81, v83, v86
	v_fma_f32 v86, 0x3f317218, v22, -v87
	v_dual_sub_f32 v81, v85, v81 :: v_dual_fmamk_f32 v22, v22, 0xb102e308, v86
	s_delay_alu instid0(VALU_DEP_1) | instskip(NEXT) | instid1(VALU_DEP_2)
	v_add_f32_e32 v23, v23, v81
	v_add_f32_e32 v81, v87, v22
	s_delay_alu instid0(VALU_DEP_2) | instskip(NEXT) | instid1(VALU_DEP_2)
	v_add_f32_e32 v85, v83, v23
	v_sub_f32_e32 v87, v81, v87
	s_delay_alu instid0(VALU_DEP_2) | instskip(SKIP_1) | instid1(VALU_DEP_3)
	v_add_f32_e32 v86, v81, v85
	v_sub_f32_e32 v83, v85, v83
	v_sub_f32_e32 v22, v22, v87
	s_delay_alu instid0(VALU_DEP_2) | instskip(NEXT) | instid1(VALU_DEP_1)
	v_dual_sub_f32 v96, v86, v81 :: v_dual_sub_f32 v23, v23, v83
	v_sub_f32_e32 v97, v86, v96
	v_sub_f32_e32 v83, v85, v96
	s_delay_alu instid0(VALU_DEP_3) | instskip(NEXT) | instid1(VALU_DEP_3)
	v_add_f32_e32 v85, v22, v23
	v_sub_f32_e32 v81, v81, v97
	s_delay_alu instid0(VALU_DEP_1) | instskip(NEXT) | instid1(VALU_DEP_3)
	v_add_f32_e32 v81, v83, v81
	v_sub_f32_e32 v83, v85, v22
	s_delay_alu instid0(VALU_DEP_2) | instskip(NEXT) | instid1(VALU_DEP_2)
	v_add_f32_e32 v81, v85, v81
	v_sub_f32_e32 v85, v85, v83
	v_sub_f32_e32 v23, v23, v83
	s_delay_alu instid0(VALU_DEP_3) | instskip(NEXT) | instid1(VALU_DEP_1)
	v_add_f32_e32 v87, v86, v81
	v_dual_sub_f32 v22, v22, v85 :: v_dual_sub_f32 v83, v87, v86
	s_delay_alu instid0(VALU_DEP_1) | instskip(NEXT) | instid1(VALU_DEP_1)
	v_dual_add_f32 v22, v23, v22 :: v_dual_sub_f32 v23, v81, v83
	v_add_f32_e32 v22, v22, v23
	s_delay_alu instid0(VALU_DEP_1) | instskip(NEXT) | instid1(VALU_DEP_1)
	v_add_f32_e32 v22, v87, v22
	v_cndmask_b32_e32 v17, v22, v17, vcc_lo
	s_delay_alu instid0(VALU_DEP_1)
	v_add_f32_e32 v17, v16, v17
.LBB481_63:
	s_or_b32 exec_lo, exec_lo, s9
	s_delay_alu instid0(VALU_DEP_1) | instskip(SKIP_1) | instid1(VALU_DEP_2)
	v_bfe_u32 v16, v17, 16, 1
	v_cmp_o_f32_e32 vcc_lo, v17, v17
	v_add3_u32 v16, v17, v16, 0x7fff
	s_delay_alu instid0(VALU_DEP_1) | instskip(NEXT) | instid1(VALU_DEP_1)
	v_and_b32_e32 v16, 0xffff0000, v16
	v_cndmask_b32_e32 v17, 0x7fc00000, v16, vcc_lo
	s_delay_alu instid0(VALU_DEP_1) | instskip(NEXT) | instid1(VALU_DEP_1)
	v_dual_max_f32 v16, v17, v17 :: v_dual_lshlrev_b32 v81, 16, v50
	v_max_f32_e32 v86, v81, v81
	v_cmp_u_f32_e32 vcc_lo, v17, v17
	v_cmp_u_f32_e64 s9, v81, v81
	s_delay_alu instid0(VALU_DEP_3) | instskip(SKIP_1) | instid1(VALU_DEP_2)
	v_min_f32_e32 v22, v16, v86
	v_max_f32_e32 v16, v16, v86
	v_cndmask_b32_e32 v22, v22, v17, vcc_lo
	s_delay_alu instid0(VALU_DEP_2) | instskip(NEXT) | instid1(VALU_DEP_2)
	v_cndmask_b32_e32 v16, v16, v17, vcc_lo
	v_cndmask_b32_e64 v22, v22, v81, s9
	s_delay_alu instid0(VALU_DEP_2) | instskip(NEXT) | instid1(VALU_DEP_2)
	v_cndmask_b32_e64 v16, v16, v81, s9
	v_cmp_class_f32_e64 s10, v22, 0x1f8
	s_delay_alu instid0(VALU_DEP_2) | instskip(NEXT) | instid1(VALU_DEP_2)
	v_cmp_neq_f32_e32 vcc_lo, v22, v16
	s_or_b32 s11, vcc_lo, s10
	s_delay_alu instid0(SALU_CYCLE_1)
	s_and_saveexec_b32 s10, s11
	s_cbranch_execz .LBB481_65
; %bb.64:
	v_sub_f32_e32 v17, v22, v16
	s_mov_b32 s11, 0x3e9b6dac
	s_delay_alu instid0(VALU_DEP_1) | instskip(SKIP_1) | instid1(VALU_DEP_2)
	v_mul_f32_e32 v22, 0x3fb8aa3b, v17
	v_cmp_ngt_f32_e32 vcc_lo, 0xc2ce8ed0, v17
	v_fma_f32 v23, 0x3fb8aa3b, v17, -v22
	v_rndne_f32_e32 v83, v22
	s_delay_alu instid0(VALU_DEP_1) | instskip(NEXT) | instid1(VALU_DEP_1)
	v_dual_fmamk_f32 v23, v17, 0x32a5705f, v23 :: v_dual_sub_f32 v22, v22, v83
	v_add_f32_e32 v22, v22, v23
	v_cvt_i32_f32_e32 v23, v83
	s_delay_alu instid0(VALU_DEP_2) | instskip(SKIP_2) | instid1(VALU_DEP_1)
	v_exp_f32_e32 v22, v22
	s_waitcnt_depctr 0xfff
	v_ldexp_f32 v22, v22, v23
	v_cndmask_b32_e32 v22, 0, v22, vcc_lo
	v_cmp_nlt_f32_e32 vcc_lo, 0x42b17218, v17
	s_delay_alu instid0(VALU_DEP_2) | instskip(NEXT) | instid1(VALU_DEP_1)
	v_cndmask_b32_e32 v17, 0x7f800000, v22, vcc_lo
	v_add_f32_e32 v83, 1.0, v17
	s_delay_alu instid0(VALU_DEP_1) | instskip(NEXT) | instid1(VALU_DEP_1)
	v_cvt_f64_f32_e32 v[22:23], v83
	v_frexp_exp_i32_f64_e32 v22, v[22:23]
	v_frexp_mant_f32_e32 v23, v83
	s_delay_alu instid0(VALU_DEP_1) | instskip(SKIP_1) | instid1(VALU_DEP_1)
	v_cmp_gt_f32_e32 vcc_lo, 0x3f2aaaab, v23
	v_add_f32_e32 v23, -1.0, v83
	v_sub_f32_e32 v87, v23, v83
	s_delay_alu instid0(VALU_DEP_1) | instskip(SKIP_1) | instid1(VALU_DEP_1)
	v_add_f32_e32 v87, 1.0, v87
	v_subrev_co_ci_u32_e32 v22, vcc_lo, 0, v22, vcc_lo
	v_sub_nc_u32_e32 v85, 0, v22
	v_cvt_f32_i32_e32 v22, v22
	s_delay_alu instid0(VALU_DEP_2) | instskip(NEXT) | instid1(VALU_DEP_1)
	v_ldexp_f32 v83, v83, v85
	v_add_f32_e32 v96, 1.0, v83
	v_sub_f32_e32 v23, v17, v23
	v_cmp_eq_f32_e32 vcc_lo, 0x7f800000, v17
	s_delay_alu instid0(VALU_DEP_2) | instskip(NEXT) | instid1(VALU_DEP_1)
	v_add_f32_e32 v23, v23, v87
	v_ldexp_f32 v23, v23, v85
	v_add_f32_e32 v85, -1.0, v83
	v_add_f32_e32 v87, -1.0, v96
	s_delay_alu instid0(VALU_DEP_2) | instskip(NEXT) | instid1(VALU_DEP_2)
	v_add_f32_e32 v97, 1.0, v85
	v_sub_f32_e32 v87, v83, v87
	s_delay_alu instid0(VALU_DEP_2) | instskip(NEXT) | instid1(VALU_DEP_2)
	v_sub_f32_e32 v83, v83, v97
	v_add_f32_e32 v87, v23, v87
	s_delay_alu instid0(VALU_DEP_2) | instskip(NEXT) | instid1(VALU_DEP_2)
	v_add_f32_e32 v23, v23, v83
	v_add_f32_e32 v97, v96, v87
	s_delay_alu instid0(VALU_DEP_2) | instskip(NEXT) | instid1(VALU_DEP_2)
	v_add_f32_e32 v98, v85, v23
	v_rcp_f32_e32 v83, v97
	s_delay_alu instid0(VALU_DEP_1) | instskip(NEXT) | instid1(VALU_DEP_1)
	v_dual_sub_f32 v96, v96, v97 :: v_dual_sub_f32 v85, v85, v98
	v_add_f32_e32 v87, v87, v96
	s_delay_alu instid0(VALU_DEP_2) | instskip(SKIP_2) | instid1(VALU_DEP_1)
	v_add_f32_e32 v23, v23, v85
	s_waitcnt_depctr 0xfff
	v_mul_f32_e32 v99, v98, v83
	v_mul_f32_e32 v100, v97, v99
	s_delay_alu instid0(VALU_DEP_1) | instskip(NEXT) | instid1(VALU_DEP_1)
	v_fma_f32 v96, v99, v97, -v100
	v_fmac_f32_e32 v96, v99, v87
	s_delay_alu instid0(VALU_DEP_1) | instskip(NEXT) | instid1(VALU_DEP_1)
	v_add_f32_e32 v101, v100, v96
	v_dual_sub_f32 v102, v98, v101 :: v_dual_sub_f32 v85, v101, v100
	s_delay_alu instid0(VALU_DEP_1) | instskip(NEXT) | instid1(VALU_DEP_1)
	v_dual_sub_f32 v98, v98, v102 :: v_dual_sub_f32 v85, v85, v96
	v_sub_f32_e32 v98, v98, v101
	s_delay_alu instid0(VALU_DEP_1) | instskip(NEXT) | instid1(VALU_DEP_1)
	v_add_f32_e32 v23, v23, v98
	v_add_f32_e32 v23, v85, v23
	s_delay_alu instid0(VALU_DEP_1) | instskip(NEXT) | instid1(VALU_DEP_1)
	v_add_f32_e32 v85, v102, v23
	v_mul_f32_e32 v96, v83, v85
	s_delay_alu instid0(VALU_DEP_1) | instskip(NEXT) | instid1(VALU_DEP_1)
	v_dual_sub_f32 v101, v102, v85 :: v_dual_mul_f32 v98, v97, v96
	v_add_f32_e32 v23, v23, v101
	s_delay_alu instid0(VALU_DEP_2) | instskip(NEXT) | instid1(VALU_DEP_1)
	v_fma_f32 v97, v96, v97, -v98
	v_fmac_f32_e32 v97, v96, v87
	s_delay_alu instid0(VALU_DEP_1) | instskip(NEXT) | instid1(VALU_DEP_1)
	v_add_f32_e32 v87, v98, v97
	v_sub_f32_e32 v100, v85, v87
	s_delay_alu instid0(VALU_DEP_1) | instskip(NEXT) | instid1(VALU_DEP_1)
	v_dual_sub_f32 v98, v87, v98 :: v_dual_sub_f32 v85, v85, v100
	v_sub_f32_e32 v85, v85, v87
	s_delay_alu instid0(VALU_DEP_2) | instskip(NEXT) | instid1(VALU_DEP_2)
	v_sub_f32_e32 v87, v98, v97
	v_add_f32_e32 v23, v23, v85
	v_add_f32_e32 v85, v99, v96
	s_delay_alu instid0(VALU_DEP_2) | instskip(NEXT) | instid1(VALU_DEP_2)
	v_add_f32_e32 v23, v87, v23
	v_sub_f32_e32 v87, v85, v99
	s_delay_alu instid0(VALU_DEP_2) | instskip(NEXT) | instid1(VALU_DEP_2)
	v_add_f32_e32 v23, v100, v23
	v_sub_f32_e32 v87, v96, v87
	s_delay_alu instid0(VALU_DEP_2) | instskip(NEXT) | instid1(VALU_DEP_1)
	v_mul_f32_e32 v23, v83, v23
	v_add_f32_e32 v23, v87, v23
	s_delay_alu instid0(VALU_DEP_1) | instskip(NEXT) | instid1(VALU_DEP_1)
	v_add_f32_e32 v83, v85, v23
	v_mul_f32_e32 v87, v83, v83
	s_delay_alu instid0(VALU_DEP_1) | instskip(SKIP_2) | instid1(VALU_DEP_3)
	v_fmaak_f32 v96, s11, v87, 0x3ecc95a3
	v_mul_f32_e32 v97, v83, v87
	v_cmp_gt_f32_e64 s11, 0x33800000, |v17|
	v_fmaak_f32 v87, v87, v96, 0x3f2aaada
	v_ldexp_f32 v96, v83, 1
	v_sub_f32_e32 v83, v83, v85
	s_delay_alu instid0(VALU_DEP_4) | instskip(NEXT) | instid1(VALU_DEP_3)
	s_or_b32 vcc_lo, vcc_lo, s11
	v_mul_f32_e32 v87, v97, v87
	v_mul_f32_e32 v97, 0x3f317218, v22
	s_delay_alu instid0(VALU_DEP_3) | instskip(NEXT) | instid1(VALU_DEP_3)
	v_sub_f32_e32 v23, v23, v83
	v_add_f32_e32 v85, v96, v87
	s_delay_alu instid0(VALU_DEP_2) | instskip(NEXT) | instid1(VALU_DEP_2)
	v_ldexp_f32 v23, v23, 1
	v_sub_f32_e32 v83, v85, v96
	v_fma_f32 v96, 0x3f317218, v22, -v97
	s_delay_alu instid0(VALU_DEP_1) | instskip(NEXT) | instid1(VALU_DEP_1)
	v_dual_sub_f32 v83, v87, v83 :: v_dual_fmamk_f32 v22, v22, 0xb102e308, v96
	v_add_f32_e32 v23, v23, v83
	s_delay_alu instid0(VALU_DEP_2) | instskip(NEXT) | instid1(VALU_DEP_2)
	v_add_f32_e32 v83, v97, v22
	v_add_f32_e32 v87, v85, v23
	s_delay_alu instid0(VALU_DEP_2) | instskip(NEXT) | instid1(VALU_DEP_2)
	v_sub_f32_e32 v97, v83, v97
	v_add_f32_e32 v96, v83, v87
	v_sub_f32_e32 v85, v87, v85
	s_delay_alu instid0(VALU_DEP_3) | instskip(NEXT) | instid1(VALU_DEP_2)
	v_sub_f32_e32 v22, v22, v97
	v_dual_sub_f32 v98, v96, v83 :: v_dual_sub_f32 v23, v23, v85
	s_delay_alu instid0(VALU_DEP_1) | instskip(SKIP_1) | instid1(VALU_DEP_3)
	v_sub_f32_e32 v99, v96, v98
	v_sub_f32_e32 v85, v87, v98
	v_add_f32_e32 v87, v22, v23
	s_delay_alu instid0(VALU_DEP_3) | instskip(NEXT) | instid1(VALU_DEP_1)
	v_sub_f32_e32 v83, v83, v99
	v_add_f32_e32 v83, v85, v83
	s_delay_alu instid0(VALU_DEP_3) | instskip(NEXT) | instid1(VALU_DEP_2)
	v_sub_f32_e32 v85, v87, v22
	v_add_f32_e32 v83, v87, v83
	s_delay_alu instid0(VALU_DEP_2) | instskip(SKIP_1) | instid1(VALU_DEP_3)
	v_sub_f32_e32 v87, v87, v85
	v_sub_f32_e32 v23, v23, v85
	v_add_f32_e32 v97, v96, v83
	s_delay_alu instid0(VALU_DEP_1) | instskip(NEXT) | instid1(VALU_DEP_1)
	v_dual_sub_f32 v22, v22, v87 :: v_dual_sub_f32 v85, v97, v96
	v_add_f32_e32 v22, v23, v22
	s_delay_alu instid0(VALU_DEP_2) | instskip(NEXT) | instid1(VALU_DEP_1)
	v_sub_f32_e32 v23, v83, v85
	v_add_f32_e32 v22, v22, v23
	s_delay_alu instid0(VALU_DEP_1) | instskip(NEXT) | instid1(VALU_DEP_1)
	v_add_f32_e32 v22, v97, v22
	v_cndmask_b32_e32 v17, v22, v17, vcc_lo
	s_delay_alu instid0(VALU_DEP_1)
	v_add_f32_e32 v17, v16, v17
.LBB481_65:
	s_or_b32 exec_lo, exec_lo, s10
	s_delay_alu instid0(VALU_DEP_1) | instskip(SKIP_1) | instid1(VALU_DEP_2)
	v_bfe_u32 v16, v17, 16, 1
	v_cmp_o_f32_e32 vcc_lo, v17, v17
	v_add3_u32 v16, v17, v16, 0x7fff
	s_delay_alu instid0(VALU_DEP_1) | instskip(NEXT) | instid1(VALU_DEP_1)
	v_and_b32_e32 v16, 0xffff0000, v16
	v_cndmask_b32_e32 v17, 0x7fc00000, v16, vcc_lo
	s_delay_alu instid0(VALU_DEP_1) | instskip(SKIP_1) | instid1(VALU_DEP_1)
	v_max_f32_e32 v16, v17, v17
	v_lshlrev_b32_e32 v83, 16, v49
	v_max_f32_e32 v96, v83, v83
	v_cmp_u_f32_e32 vcc_lo, v17, v17
	s_delay_alu instid0(VALU_DEP_2) | instskip(SKIP_2) | instid1(VALU_DEP_3)
	v_min_f32_e32 v22, v16, v96
	v_max_f32_e32 v16, v16, v96
	v_cmp_u_f32_e64 s10, v83, v83
	v_cndmask_b32_e32 v22, v22, v17, vcc_lo
	s_delay_alu instid0(VALU_DEP_3) | instskip(NEXT) | instid1(VALU_DEP_2)
	v_cndmask_b32_e32 v16, v16, v17, vcc_lo
	v_cndmask_b32_e64 v22, v22, v83, s10
	s_delay_alu instid0(VALU_DEP_2) | instskip(NEXT) | instid1(VALU_DEP_2)
	v_cndmask_b32_e64 v16, v16, v83, s10
	v_cmp_class_f32_e64 s11, v22, 0x1f8
	s_delay_alu instid0(VALU_DEP_2) | instskip(NEXT) | instid1(VALU_DEP_2)
	v_cmp_neq_f32_e32 vcc_lo, v22, v16
	s_or_b32 s12, vcc_lo, s11
	s_delay_alu instid0(SALU_CYCLE_1)
	s_and_saveexec_b32 s11, s12
	s_cbranch_execz .LBB481_67
; %bb.66:
	v_sub_f32_e32 v17, v22, v16
	s_mov_b32 s12, 0x3e9b6dac
	s_delay_alu instid0(VALU_DEP_1) | instskip(SKIP_1) | instid1(VALU_DEP_2)
	v_mul_f32_e32 v22, 0x3fb8aa3b, v17
	v_cmp_ngt_f32_e32 vcc_lo, 0xc2ce8ed0, v17
	v_fma_f32 v23, 0x3fb8aa3b, v17, -v22
	v_rndne_f32_e32 v85, v22
	s_delay_alu instid0(VALU_DEP_1) | instskip(NEXT) | instid1(VALU_DEP_1)
	v_dual_fmamk_f32 v23, v17, 0x32a5705f, v23 :: v_dual_sub_f32 v22, v22, v85
	v_add_f32_e32 v22, v22, v23
	v_cvt_i32_f32_e32 v23, v85
	s_delay_alu instid0(VALU_DEP_2) | instskip(SKIP_2) | instid1(VALU_DEP_1)
	v_exp_f32_e32 v22, v22
	s_waitcnt_depctr 0xfff
	v_ldexp_f32 v22, v22, v23
	v_cndmask_b32_e32 v22, 0, v22, vcc_lo
	v_cmp_nlt_f32_e32 vcc_lo, 0x42b17218, v17
	s_delay_alu instid0(VALU_DEP_2) | instskip(NEXT) | instid1(VALU_DEP_1)
	v_cndmask_b32_e32 v17, 0x7f800000, v22, vcc_lo
	v_add_f32_e32 v85, 1.0, v17
	s_delay_alu instid0(VALU_DEP_1) | instskip(NEXT) | instid1(VALU_DEP_1)
	v_cvt_f64_f32_e32 v[22:23], v85
	v_frexp_exp_i32_f64_e32 v22, v[22:23]
	v_frexp_mant_f32_e32 v23, v85
	s_delay_alu instid0(VALU_DEP_1) | instskip(SKIP_1) | instid1(VALU_DEP_1)
	v_cmp_gt_f32_e32 vcc_lo, 0x3f2aaaab, v23
	v_add_f32_e32 v23, -1.0, v85
	v_sub_f32_e32 v97, v23, v85
	s_delay_alu instid0(VALU_DEP_1) | instskip(SKIP_1) | instid1(VALU_DEP_1)
	v_add_f32_e32 v97, 1.0, v97
	v_subrev_co_ci_u32_e32 v22, vcc_lo, 0, v22, vcc_lo
	v_sub_nc_u32_e32 v87, 0, v22
	v_cvt_f32_i32_e32 v22, v22
	s_delay_alu instid0(VALU_DEP_2) | instskip(NEXT) | instid1(VALU_DEP_1)
	v_ldexp_f32 v85, v85, v87
	v_dual_add_f32 v98, 1.0, v85 :: v_dual_sub_f32 v23, v17, v23
	v_cmp_eq_f32_e32 vcc_lo, 0x7f800000, v17
	s_delay_alu instid0(VALU_DEP_2) | instskip(NEXT) | instid1(VALU_DEP_3)
	v_add_f32_e32 v23, v23, v97
	v_add_f32_e32 v97, -1.0, v98
	s_delay_alu instid0(VALU_DEP_2) | instskip(SKIP_1) | instid1(VALU_DEP_3)
	v_ldexp_f32 v23, v23, v87
	v_add_f32_e32 v87, -1.0, v85
	v_sub_f32_e32 v97, v85, v97
	s_delay_alu instid0(VALU_DEP_2) | instskip(NEXT) | instid1(VALU_DEP_2)
	v_add_f32_e32 v99, 1.0, v87
	v_add_f32_e32 v97, v23, v97
	s_delay_alu instid0(VALU_DEP_2) | instskip(NEXT) | instid1(VALU_DEP_2)
	v_sub_f32_e32 v85, v85, v99
	v_add_f32_e32 v99, v98, v97
	s_delay_alu instid0(VALU_DEP_2) | instskip(NEXT) | instid1(VALU_DEP_2)
	v_add_f32_e32 v23, v23, v85
	v_rcp_f32_e32 v85, v99
	v_sub_f32_e32 v98, v98, v99
	s_delay_alu instid0(VALU_DEP_1) | instskip(NEXT) | instid1(VALU_DEP_1)
	v_dual_add_f32 v100, v87, v23 :: v_dual_add_f32 v97, v97, v98
	v_sub_f32_e32 v87, v87, v100
	s_waitcnt_depctr 0xfff
	v_mul_f32_e32 v101, v100, v85
	v_add_f32_e32 v23, v23, v87
	s_delay_alu instid0(VALU_DEP_2) | instskip(NEXT) | instid1(VALU_DEP_1)
	v_mul_f32_e32 v102, v99, v101
	v_fma_f32 v98, v101, v99, -v102
	s_delay_alu instid0(VALU_DEP_1) | instskip(NEXT) | instid1(VALU_DEP_1)
	v_fmac_f32_e32 v98, v101, v97
	v_add_f32_e32 v103, v102, v98
	s_delay_alu instid0(VALU_DEP_1) | instskip(NEXT) | instid1(VALU_DEP_1)
	v_dual_sub_f32 v112, v100, v103 :: v_dual_sub_f32 v87, v103, v102
	v_dual_sub_f32 v100, v100, v112 :: v_dual_sub_f32 v87, v87, v98
	s_delay_alu instid0(VALU_DEP_1) | instskip(NEXT) | instid1(VALU_DEP_1)
	v_sub_f32_e32 v100, v100, v103
	v_add_f32_e32 v23, v23, v100
	s_delay_alu instid0(VALU_DEP_1) | instskip(NEXT) | instid1(VALU_DEP_1)
	v_add_f32_e32 v23, v87, v23
	v_add_f32_e32 v87, v112, v23
	s_delay_alu instid0(VALU_DEP_1) | instskip(NEXT) | instid1(VALU_DEP_1)
	v_mul_f32_e32 v98, v85, v87
	v_dual_sub_f32 v103, v112, v87 :: v_dual_mul_f32 v100, v99, v98
	s_delay_alu instid0(VALU_DEP_1) | instskip(NEXT) | instid1(VALU_DEP_2)
	v_add_f32_e32 v23, v23, v103
	v_fma_f32 v99, v98, v99, -v100
	s_delay_alu instid0(VALU_DEP_1) | instskip(NEXT) | instid1(VALU_DEP_1)
	v_fmac_f32_e32 v99, v98, v97
	v_add_f32_e32 v97, v100, v99
	s_delay_alu instid0(VALU_DEP_1) | instskip(NEXT) | instid1(VALU_DEP_1)
	v_sub_f32_e32 v102, v87, v97
	v_dual_sub_f32 v100, v97, v100 :: v_dual_sub_f32 v87, v87, v102
	s_delay_alu instid0(VALU_DEP_1) | instskip(NEXT) | instid1(VALU_DEP_2)
	v_sub_f32_e32 v87, v87, v97
	v_sub_f32_e32 v97, v100, v99
	s_delay_alu instid0(VALU_DEP_2) | instskip(SKIP_1) | instid1(VALU_DEP_2)
	v_add_f32_e32 v23, v23, v87
	v_add_f32_e32 v87, v101, v98
	;; [unrolled: 1-line block ×3, first 2 shown]
	s_delay_alu instid0(VALU_DEP_2) | instskip(NEXT) | instid1(VALU_DEP_2)
	v_sub_f32_e32 v97, v87, v101
	v_add_f32_e32 v23, v102, v23
	s_delay_alu instid0(VALU_DEP_2) | instskip(NEXT) | instid1(VALU_DEP_2)
	v_sub_f32_e32 v97, v98, v97
	v_mul_f32_e32 v23, v85, v23
	s_delay_alu instid0(VALU_DEP_1) | instskip(NEXT) | instid1(VALU_DEP_1)
	v_add_f32_e32 v23, v97, v23
	v_add_f32_e32 v85, v87, v23
	s_delay_alu instid0(VALU_DEP_1) | instskip(NEXT) | instid1(VALU_DEP_1)
	v_mul_f32_e32 v97, v85, v85
	v_fmaak_f32 v98, s12, v97, 0x3ecc95a3
	v_mul_f32_e32 v99, v85, v97
	v_cmp_gt_f32_e64 s12, 0x33800000, |v17|
	s_delay_alu instid0(VALU_DEP_3) | instskip(SKIP_2) | instid1(VALU_DEP_4)
	v_fmaak_f32 v97, v97, v98, 0x3f2aaada
	v_ldexp_f32 v98, v85, 1
	v_sub_f32_e32 v85, v85, v87
	s_or_b32 vcc_lo, vcc_lo, s12
	s_delay_alu instid0(VALU_DEP_3) | instskip(SKIP_1) | instid1(VALU_DEP_3)
	v_mul_f32_e32 v97, v99, v97
	v_mul_f32_e32 v99, 0x3f317218, v22
	v_sub_f32_e32 v23, v23, v85
	s_delay_alu instid0(VALU_DEP_3) | instskip(NEXT) | instid1(VALU_DEP_2)
	v_add_f32_e32 v87, v98, v97
	v_ldexp_f32 v23, v23, 1
	s_delay_alu instid0(VALU_DEP_2) | instskip(SKIP_1) | instid1(VALU_DEP_1)
	v_sub_f32_e32 v85, v87, v98
	v_fma_f32 v98, 0x3f317218, v22, -v99
	v_dual_sub_f32 v85, v97, v85 :: v_dual_fmamk_f32 v22, v22, 0xb102e308, v98
	s_delay_alu instid0(VALU_DEP_1) | instskip(NEXT) | instid1(VALU_DEP_2)
	v_add_f32_e32 v23, v23, v85
	v_add_f32_e32 v85, v99, v22
	s_delay_alu instid0(VALU_DEP_2) | instskip(NEXT) | instid1(VALU_DEP_2)
	v_add_f32_e32 v97, v87, v23
	v_sub_f32_e32 v99, v85, v99
	s_delay_alu instid0(VALU_DEP_2) | instskip(SKIP_1) | instid1(VALU_DEP_3)
	v_add_f32_e32 v98, v85, v97
	v_sub_f32_e32 v87, v97, v87
	v_sub_f32_e32 v22, v22, v99
	s_delay_alu instid0(VALU_DEP_2) | instskip(NEXT) | instid1(VALU_DEP_1)
	v_dual_sub_f32 v100, v98, v85 :: v_dual_sub_f32 v23, v23, v87
	v_sub_f32_e32 v101, v98, v100
	v_sub_f32_e32 v87, v97, v100
	s_delay_alu instid0(VALU_DEP_3) | instskip(NEXT) | instid1(VALU_DEP_3)
	v_add_f32_e32 v97, v22, v23
	v_sub_f32_e32 v85, v85, v101
	s_delay_alu instid0(VALU_DEP_1) | instskip(NEXT) | instid1(VALU_DEP_3)
	v_add_f32_e32 v85, v87, v85
	v_sub_f32_e32 v87, v97, v22
	s_delay_alu instid0(VALU_DEP_2) | instskip(NEXT) | instid1(VALU_DEP_2)
	v_add_f32_e32 v85, v97, v85
	v_sub_f32_e32 v97, v97, v87
	v_sub_f32_e32 v23, v23, v87
	s_delay_alu instid0(VALU_DEP_3) | instskip(NEXT) | instid1(VALU_DEP_1)
	v_add_f32_e32 v99, v98, v85
	v_dual_sub_f32 v22, v22, v97 :: v_dual_sub_f32 v87, v99, v98
	s_delay_alu instid0(VALU_DEP_1) | instskip(NEXT) | instid1(VALU_DEP_1)
	v_dual_add_f32 v22, v23, v22 :: v_dual_sub_f32 v23, v85, v87
	v_add_f32_e32 v22, v22, v23
	s_delay_alu instid0(VALU_DEP_1) | instskip(NEXT) | instid1(VALU_DEP_1)
	v_add_f32_e32 v22, v99, v22
	v_cndmask_b32_e32 v17, v22, v17, vcc_lo
	s_delay_alu instid0(VALU_DEP_1)
	v_add_f32_e32 v17, v16, v17
.LBB481_67:
	s_or_b32 exec_lo, exec_lo, s11
	s_delay_alu instid0(VALU_DEP_1) | instskip(SKIP_1) | instid1(VALU_DEP_2)
	v_bfe_u32 v16, v17, 16, 1
	v_cmp_o_f32_e32 vcc_lo, v17, v17
	v_add3_u32 v16, v17, v16, 0x7fff
	s_delay_alu instid0(VALU_DEP_1) | instskip(NEXT) | instid1(VALU_DEP_1)
	v_and_b32_e32 v16, 0xffff0000, v16
	v_cndmask_b32_e32 v17, 0x7fc00000, v16, vcc_lo
	s_delay_alu instid0(VALU_DEP_1) | instskip(NEXT) | instid1(VALU_DEP_1)
	v_dual_max_f32 v16, v17, v17 :: v_dual_lshlrev_b32 v85, 16, v48
	v_max_f32_e32 v98, v85, v85
	v_cmp_u_f32_e32 vcc_lo, v17, v17
	v_cmp_u_f32_e64 s11, v85, v85
	s_delay_alu instid0(VALU_DEP_3) | instskip(SKIP_1) | instid1(VALU_DEP_2)
	v_min_f32_e32 v22, v16, v98
	v_max_f32_e32 v16, v16, v98
	v_cndmask_b32_e32 v22, v22, v17, vcc_lo
	s_delay_alu instid0(VALU_DEP_2) | instskip(NEXT) | instid1(VALU_DEP_2)
	v_cndmask_b32_e32 v16, v16, v17, vcc_lo
	v_cndmask_b32_e64 v22, v22, v85, s11
	s_delay_alu instid0(VALU_DEP_2) | instskip(NEXT) | instid1(VALU_DEP_2)
	v_cndmask_b32_e64 v16, v16, v85, s11
	v_cmp_class_f32_e64 s12, v22, 0x1f8
	s_delay_alu instid0(VALU_DEP_2) | instskip(NEXT) | instid1(VALU_DEP_2)
	v_cmp_neq_f32_e32 vcc_lo, v22, v16
	s_or_b32 s13, vcc_lo, s12
	s_delay_alu instid0(SALU_CYCLE_1)
	s_and_saveexec_b32 s12, s13
	s_cbranch_execz .LBB481_69
; %bb.68:
	v_sub_f32_e32 v17, v22, v16
	s_mov_b32 s13, 0x3e9b6dac
	s_delay_alu instid0(VALU_DEP_1) | instskip(SKIP_1) | instid1(VALU_DEP_2)
	v_mul_f32_e32 v22, 0x3fb8aa3b, v17
	v_cmp_ngt_f32_e32 vcc_lo, 0xc2ce8ed0, v17
	v_fma_f32 v23, 0x3fb8aa3b, v17, -v22
	v_rndne_f32_e32 v87, v22
	s_delay_alu instid0(VALU_DEP_1) | instskip(NEXT) | instid1(VALU_DEP_1)
	v_dual_fmamk_f32 v23, v17, 0x32a5705f, v23 :: v_dual_sub_f32 v22, v22, v87
	v_add_f32_e32 v22, v22, v23
	v_cvt_i32_f32_e32 v23, v87
	s_delay_alu instid0(VALU_DEP_2) | instskip(SKIP_2) | instid1(VALU_DEP_1)
	v_exp_f32_e32 v22, v22
	s_waitcnt_depctr 0xfff
	v_ldexp_f32 v22, v22, v23
	v_cndmask_b32_e32 v22, 0, v22, vcc_lo
	v_cmp_nlt_f32_e32 vcc_lo, 0x42b17218, v17
	s_delay_alu instid0(VALU_DEP_2) | instskip(NEXT) | instid1(VALU_DEP_1)
	v_cndmask_b32_e32 v17, 0x7f800000, v22, vcc_lo
	v_add_f32_e32 v87, 1.0, v17
	s_delay_alu instid0(VALU_DEP_1) | instskip(NEXT) | instid1(VALU_DEP_1)
	v_cvt_f64_f32_e32 v[22:23], v87
	v_frexp_exp_i32_f64_e32 v22, v[22:23]
	v_frexp_mant_f32_e32 v23, v87
	s_delay_alu instid0(VALU_DEP_1) | instskip(SKIP_1) | instid1(VALU_DEP_1)
	v_cmp_gt_f32_e32 vcc_lo, 0x3f2aaaab, v23
	v_add_f32_e32 v23, -1.0, v87
	v_sub_f32_e32 v99, v23, v87
	s_delay_alu instid0(VALU_DEP_1) | instskip(SKIP_1) | instid1(VALU_DEP_1)
	v_add_f32_e32 v99, 1.0, v99
	v_subrev_co_ci_u32_e32 v22, vcc_lo, 0, v22, vcc_lo
	v_sub_nc_u32_e32 v97, 0, v22
	v_cvt_f32_i32_e32 v22, v22
	s_delay_alu instid0(VALU_DEP_2) | instskip(NEXT) | instid1(VALU_DEP_1)
	v_ldexp_f32 v87, v87, v97
	v_add_f32_e32 v100, 1.0, v87
	v_sub_f32_e32 v23, v17, v23
	v_cmp_eq_f32_e32 vcc_lo, 0x7f800000, v17
	s_delay_alu instid0(VALU_DEP_2) | instskip(NEXT) | instid1(VALU_DEP_1)
	v_add_f32_e32 v23, v23, v99
	v_ldexp_f32 v23, v23, v97
	v_add_f32_e32 v97, -1.0, v87
	v_add_f32_e32 v99, -1.0, v100
	s_delay_alu instid0(VALU_DEP_2) | instskip(NEXT) | instid1(VALU_DEP_2)
	v_add_f32_e32 v101, 1.0, v97
	v_sub_f32_e32 v99, v87, v99
	s_delay_alu instid0(VALU_DEP_2) | instskip(NEXT) | instid1(VALU_DEP_2)
	v_sub_f32_e32 v87, v87, v101
	v_add_f32_e32 v99, v23, v99
	s_delay_alu instid0(VALU_DEP_2) | instskip(NEXT) | instid1(VALU_DEP_2)
	v_add_f32_e32 v23, v23, v87
	v_add_f32_e32 v101, v100, v99
	s_delay_alu instid0(VALU_DEP_2) | instskip(NEXT) | instid1(VALU_DEP_2)
	v_add_f32_e32 v102, v97, v23
	v_rcp_f32_e32 v87, v101
	s_delay_alu instid0(VALU_DEP_1) | instskip(NEXT) | instid1(VALU_DEP_1)
	v_dual_sub_f32 v100, v100, v101 :: v_dual_sub_f32 v97, v97, v102
	v_add_f32_e32 v99, v99, v100
	s_delay_alu instid0(VALU_DEP_2) | instskip(SKIP_2) | instid1(VALU_DEP_1)
	v_add_f32_e32 v23, v23, v97
	s_waitcnt_depctr 0xfff
	v_mul_f32_e32 v103, v102, v87
	v_mul_f32_e32 v112, v101, v103
	s_delay_alu instid0(VALU_DEP_1) | instskip(NEXT) | instid1(VALU_DEP_1)
	v_fma_f32 v100, v103, v101, -v112
	v_fmac_f32_e32 v100, v103, v99
	s_delay_alu instid0(VALU_DEP_1) | instskip(NEXT) | instid1(VALU_DEP_1)
	v_add_f32_e32 v113, v112, v100
	v_dual_sub_f32 v114, v102, v113 :: v_dual_sub_f32 v97, v113, v112
	s_delay_alu instid0(VALU_DEP_1) | instskip(NEXT) | instid1(VALU_DEP_1)
	v_dual_sub_f32 v102, v102, v114 :: v_dual_sub_f32 v97, v97, v100
	v_sub_f32_e32 v102, v102, v113
	s_delay_alu instid0(VALU_DEP_1) | instskip(NEXT) | instid1(VALU_DEP_1)
	v_add_f32_e32 v23, v23, v102
	v_add_f32_e32 v23, v97, v23
	s_delay_alu instid0(VALU_DEP_1) | instskip(NEXT) | instid1(VALU_DEP_1)
	v_add_f32_e32 v97, v114, v23
	v_mul_f32_e32 v100, v87, v97
	s_delay_alu instid0(VALU_DEP_1) | instskip(NEXT) | instid1(VALU_DEP_1)
	v_dual_sub_f32 v113, v114, v97 :: v_dual_mul_f32 v102, v101, v100
	v_add_f32_e32 v23, v23, v113
	s_delay_alu instid0(VALU_DEP_2) | instskip(NEXT) | instid1(VALU_DEP_1)
	v_fma_f32 v101, v100, v101, -v102
	v_fmac_f32_e32 v101, v100, v99
	s_delay_alu instid0(VALU_DEP_1) | instskip(NEXT) | instid1(VALU_DEP_1)
	v_add_f32_e32 v99, v102, v101
	v_sub_f32_e32 v112, v97, v99
	s_delay_alu instid0(VALU_DEP_1) | instskip(NEXT) | instid1(VALU_DEP_1)
	v_dual_sub_f32 v102, v99, v102 :: v_dual_sub_f32 v97, v97, v112
	v_sub_f32_e32 v97, v97, v99
	s_delay_alu instid0(VALU_DEP_2) | instskip(NEXT) | instid1(VALU_DEP_2)
	v_sub_f32_e32 v99, v102, v101
	v_add_f32_e32 v23, v23, v97
	v_add_f32_e32 v97, v103, v100
	s_delay_alu instid0(VALU_DEP_2) | instskip(NEXT) | instid1(VALU_DEP_2)
	v_add_f32_e32 v23, v99, v23
	v_sub_f32_e32 v99, v97, v103
	s_delay_alu instid0(VALU_DEP_2) | instskip(NEXT) | instid1(VALU_DEP_2)
	v_add_f32_e32 v23, v112, v23
	v_sub_f32_e32 v99, v100, v99
	s_delay_alu instid0(VALU_DEP_2) | instskip(NEXT) | instid1(VALU_DEP_1)
	v_mul_f32_e32 v23, v87, v23
	v_add_f32_e32 v23, v99, v23
	s_delay_alu instid0(VALU_DEP_1) | instskip(NEXT) | instid1(VALU_DEP_1)
	v_add_f32_e32 v87, v97, v23
	v_mul_f32_e32 v99, v87, v87
	s_delay_alu instid0(VALU_DEP_1) | instskip(SKIP_2) | instid1(VALU_DEP_3)
	v_fmaak_f32 v100, s13, v99, 0x3ecc95a3
	v_mul_f32_e32 v101, v87, v99
	v_cmp_gt_f32_e64 s13, 0x33800000, |v17|
	v_fmaak_f32 v99, v99, v100, 0x3f2aaada
	v_ldexp_f32 v100, v87, 1
	v_sub_f32_e32 v87, v87, v97
	s_delay_alu instid0(VALU_DEP_4) | instskip(NEXT) | instid1(VALU_DEP_3)
	s_or_b32 vcc_lo, vcc_lo, s13
	v_mul_f32_e32 v99, v101, v99
	v_mul_f32_e32 v101, 0x3f317218, v22
	s_delay_alu instid0(VALU_DEP_3) | instskip(NEXT) | instid1(VALU_DEP_3)
	v_sub_f32_e32 v23, v23, v87
	v_add_f32_e32 v97, v100, v99
	s_delay_alu instid0(VALU_DEP_2) | instskip(NEXT) | instid1(VALU_DEP_2)
	v_ldexp_f32 v23, v23, 1
	v_sub_f32_e32 v87, v97, v100
	v_fma_f32 v100, 0x3f317218, v22, -v101
	s_delay_alu instid0(VALU_DEP_1) | instskip(NEXT) | instid1(VALU_DEP_1)
	v_dual_sub_f32 v87, v99, v87 :: v_dual_fmamk_f32 v22, v22, 0xb102e308, v100
	v_add_f32_e32 v23, v23, v87
	s_delay_alu instid0(VALU_DEP_2) | instskip(NEXT) | instid1(VALU_DEP_2)
	v_add_f32_e32 v87, v101, v22
	v_add_f32_e32 v99, v97, v23
	s_delay_alu instid0(VALU_DEP_2) | instskip(NEXT) | instid1(VALU_DEP_2)
	v_sub_f32_e32 v101, v87, v101
	v_add_f32_e32 v100, v87, v99
	v_sub_f32_e32 v97, v99, v97
	s_delay_alu instid0(VALU_DEP_3) | instskip(NEXT) | instid1(VALU_DEP_2)
	v_sub_f32_e32 v22, v22, v101
	v_dual_sub_f32 v102, v100, v87 :: v_dual_sub_f32 v23, v23, v97
	s_delay_alu instid0(VALU_DEP_1) | instskip(SKIP_1) | instid1(VALU_DEP_3)
	v_sub_f32_e32 v103, v100, v102
	v_sub_f32_e32 v97, v99, v102
	v_add_f32_e32 v99, v22, v23
	s_delay_alu instid0(VALU_DEP_3) | instskip(NEXT) | instid1(VALU_DEP_1)
	v_sub_f32_e32 v87, v87, v103
	v_add_f32_e32 v87, v97, v87
	s_delay_alu instid0(VALU_DEP_3) | instskip(NEXT) | instid1(VALU_DEP_2)
	v_sub_f32_e32 v97, v99, v22
	v_add_f32_e32 v87, v99, v87
	s_delay_alu instid0(VALU_DEP_2) | instskip(SKIP_1) | instid1(VALU_DEP_3)
	v_sub_f32_e32 v99, v99, v97
	v_sub_f32_e32 v23, v23, v97
	v_add_f32_e32 v101, v100, v87
	s_delay_alu instid0(VALU_DEP_1) | instskip(NEXT) | instid1(VALU_DEP_1)
	v_dual_sub_f32 v22, v22, v99 :: v_dual_sub_f32 v97, v101, v100
	v_add_f32_e32 v22, v23, v22
	s_delay_alu instid0(VALU_DEP_2) | instskip(NEXT) | instid1(VALU_DEP_1)
	v_sub_f32_e32 v23, v87, v97
	v_add_f32_e32 v22, v22, v23
	s_delay_alu instid0(VALU_DEP_1) | instskip(NEXT) | instid1(VALU_DEP_1)
	v_add_f32_e32 v22, v101, v22
	v_cndmask_b32_e32 v17, v22, v17, vcc_lo
	s_delay_alu instid0(VALU_DEP_1)
	v_add_f32_e32 v17, v16, v17
.LBB481_69:
	s_or_b32 exec_lo, exec_lo, s12
	s_delay_alu instid0(VALU_DEP_1) | instskip(SKIP_1) | instid1(VALU_DEP_2)
	v_bfe_u32 v16, v17, 16, 1
	v_cmp_o_f32_e32 vcc_lo, v17, v17
	v_add3_u32 v16, v17, v16, 0x7fff
	s_delay_alu instid0(VALU_DEP_1) | instskip(NEXT) | instid1(VALU_DEP_1)
	v_and_b32_e32 v16, 0xffff0000, v16
	v_cndmask_b32_e32 v17, 0x7fc00000, v16, vcc_lo
	s_delay_alu instid0(VALU_DEP_1) | instskip(NEXT) | instid1(VALU_DEP_1)
	v_dual_max_f32 v16, v17, v17 :: v_dual_lshlrev_b32 v87, 16, v39
	v_max_f32_e32 v100, v87, v87
	v_cmp_u_f32_e32 vcc_lo, v17, v17
	v_cmp_u_f32_e64 s12, v87, v87
	s_delay_alu instid0(VALU_DEP_3) | instskip(SKIP_1) | instid1(VALU_DEP_2)
	v_min_f32_e32 v22, v16, v100
	v_max_f32_e32 v16, v16, v100
	v_cndmask_b32_e32 v22, v22, v17, vcc_lo
	s_delay_alu instid0(VALU_DEP_2) | instskip(NEXT) | instid1(VALU_DEP_2)
	v_cndmask_b32_e32 v16, v16, v17, vcc_lo
	v_cndmask_b32_e64 v22, v22, v87, s12
	s_delay_alu instid0(VALU_DEP_2) | instskip(NEXT) | instid1(VALU_DEP_2)
	v_cndmask_b32_e64 v16, v16, v87, s12
	v_cmp_class_f32_e64 s13, v22, 0x1f8
	s_delay_alu instid0(VALU_DEP_2) | instskip(NEXT) | instid1(VALU_DEP_2)
	v_cmp_neq_f32_e32 vcc_lo, v22, v16
	s_or_b32 s14, vcc_lo, s13
	s_delay_alu instid0(SALU_CYCLE_1)
	s_and_saveexec_b32 s13, s14
	s_cbranch_execz .LBB481_71
; %bb.70:
	v_sub_f32_e32 v17, v22, v16
	s_mov_b32 s14, 0x3e9b6dac
	s_delay_alu instid0(VALU_DEP_1) | instskip(SKIP_1) | instid1(VALU_DEP_2)
	v_mul_f32_e32 v22, 0x3fb8aa3b, v17
	v_cmp_ngt_f32_e32 vcc_lo, 0xc2ce8ed0, v17
	v_fma_f32 v23, 0x3fb8aa3b, v17, -v22
	v_rndne_f32_e32 v97, v22
	s_delay_alu instid0(VALU_DEP_1) | instskip(NEXT) | instid1(VALU_DEP_1)
	v_dual_fmamk_f32 v23, v17, 0x32a5705f, v23 :: v_dual_sub_f32 v22, v22, v97
	v_add_f32_e32 v22, v22, v23
	v_cvt_i32_f32_e32 v23, v97
	s_delay_alu instid0(VALU_DEP_2) | instskip(SKIP_2) | instid1(VALU_DEP_1)
	v_exp_f32_e32 v22, v22
	s_waitcnt_depctr 0xfff
	v_ldexp_f32 v22, v22, v23
	v_cndmask_b32_e32 v22, 0, v22, vcc_lo
	v_cmp_nlt_f32_e32 vcc_lo, 0x42b17218, v17
	s_delay_alu instid0(VALU_DEP_2) | instskip(NEXT) | instid1(VALU_DEP_1)
	v_cndmask_b32_e32 v17, 0x7f800000, v22, vcc_lo
	v_add_f32_e32 v97, 1.0, v17
	s_delay_alu instid0(VALU_DEP_1) | instskip(NEXT) | instid1(VALU_DEP_1)
	v_cvt_f64_f32_e32 v[22:23], v97
	v_frexp_exp_i32_f64_e32 v22, v[22:23]
	v_frexp_mant_f32_e32 v23, v97
	s_delay_alu instid0(VALU_DEP_1) | instskip(SKIP_1) | instid1(VALU_DEP_1)
	v_cmp_gt_f32_e32 vcc_lo, 0x3f2aaaab, v23
	v_add_f32_e32 v23, -1.0, v97
	v_sub_f32_e32 v101, v23, v97
	s_delay_alu instid0(VALU_DEP_1) | instskip(SKIP_1) | instid1(VALU_DEP_1)
	v_add_f32_e32 v101, 1.0, v101
	v_subrev_co_ci_u32_e32 v22, vcc_lo, 0, v22, vcc_lo
	v_sub_nc_u32_e32 v99, 0, v22
	v_cvt_f32_i32_e32 v22, v22
	s_delay_alu instid0(VALU_DEP_2) | instskip(NEXT) | instid1(VALU_DEP_1)
	v_ldexp_f32 v97, v97, v99
	v_dual_add_f32 v102, 1.0, v97 :: v_dual_sub_f32 v23, v17, v23
	v_cmp_eq_f32_e32 vcc_lo, 0x7f800000, v17
	s_delay_alu instid0(VALU_DEP_2) | instskip(NEXT) | instid1(VALU_DEP_3)
	v_add_f32_e32 v23, v23, v101
	v_add_f32_e32 v101, -1.0, v102
	s_delay_alu instid0(VALU_DEP_2) | instskip(SKIP_1) | instid1(VALU_DEP_3)
	v_ldexp_f32 v23, v23, v99
	v_add_f32_e32 v99, -1.0, v97
	v_sub_f32_e32 v101, v97, v101
	s_delay_alu instid0(VALU_DEP_2) | instskip(NEXT) | instid1(VALU_DEP_2)
	v_add_f32_e32 v103, 1.0, v99
	v_add_f32_e32 v101, v23, v101
	s_delay_alu instid0(VALU_DEP_2) | instskip(NEXT) | instid1(VALU_DEP_2)
	v_sub_f32_e32 v97, v97, v103
	v_add_f32_e32 v103, v102, v101
	s_delay_alu instid0(VALU_DEP_2) | instskip(NEXT) | instid1(VALU_DEP_2)
	v_add_f32_e32 v23, v23, v97
	v_rcp_f32_e32 v97, v103
	v_sub_f32_e32 v102, v102, v103
	s_delay_alu instid0(VALU_DEP_1) | instskip(NEXT) | instid1(VALU_DEP_1)
	v_dual_add_f32 v112, v99, v23 :: v_dual_add_f32 v101, v101, v102
	v_sub_f32_e32 v99, v99, v112
	s_waitcnt_depctr 0xfff
	v_mul_f32_e32 v113, v112, v97
	v_add_f32_e32 v23, v23, v99
	s_delay_alu instid0(VALU_DEP_2) | instskip(NEXT) | instid1(VALU_DEP_1)
	v_mul_f32_e32 v114, v103, v113
	v_fma_f32 v102, v113, v103, -v114
	s_delay_alu instid0(VALU_DEP_1) | instskip(NEXT) | instid1(VALU_DEP_1)
	v_fmac_f32_e32 v102, v113, v101
	v_add_f32_e32 v115, v114, v102
	s_delay_alu instid0(VALU_DEP_1) | instskip(NEXT) | instid1(VALU_DEP_1)
	v_dual_sub_f32 v116, v112, v115 :: v_dual_sub_f32 v99, v115, v114
	v_dual_sub_f32 v112, v112, v116 :: v_dual_sub_f32 v99, v99, v102
	s_delay_alu instid0(VALU_DEP_1) | instskip(NEXT) | instid1(VALU_DEP_1)
	v_sub_f32_e32 v112, v112, v115
	v_add_f32_e32 v23, v23, v112
	s_delay_alu instid0(VALU_DEP_1) | instskip(NEXT) | instid1(VALU_DEP_1)
	v_add_f32_e32 v23, v99, v23
	v_add_f32_e32 v99, v116, v23
	s_delay_alu instid0(VALU_DEP_1) | instskip(NEXT) | instid1(VALU_DEP_1)
	v_mul_f32_e32 v102, v97, v99
	v_dual_sub_f32 v115, v116, v99 :: v_dual_mul_f32 v112, v103, v102
	s_delay_alu instid0(VALU_DEP_1) | instskip(NEXT) | instid1(VALU_DEP_2)
	v_add_f32_e32 v23, v23, v115
	v_fma_f32 v103, v102, v103, -v112
	s_delay_alu instid0(VALU_DEP_1) | instskip(NEXT) | instid1(VALU_DEP_1)
	v_fmac_f32_e32 v103, v102, v101
	v_add_f32_e32 v101, v112, v103
	s_delay_alu instid0(VALU_DEP_1) | instskip(NEXT) | instid1(VALU_DEP_1)
	v_sub_f32_e32 v114, v99, v101
	v_dual_sub_f32 v112, v101, v112 :: v_dual_sub_f32 v99, v99, v114
	s_delay_alu instid0(VALU_DEP_1) | instskip(NEXT) | instid1(VALU_DEP_2)
	v_sub_f32_e32 v99, v99, v101
	v_sub_f32_e32 v101, v112, v103
	s_delay_alu instid0(VALU_DEP_2) | instskip(SKIP_1) | instid1(VALU_DEP_2)
	v_add_f32_e32 v23, v23, v99
	v_add_f32_e32 v99, v113, v102
	v_add_f32_e32 v23, v101, v23
	s_delay_alu instid0(VALU_DEP_2) | instskip(NEXT) | instid1(VALU_DEP_2)
	v_sub_f32_e32 v101, v99, v113
	v_add_f32_e32 v23, v114, v23
	s_delay_alu instid0(VALU_DEP_2) | instskip(NEXT) | instid1(VALU_DEP_2)
	v_sub_f32_e32 v101, v102, v101
	v_mul_f32_e32 v23, v97, v23
	s_delay_alu instid0(VALU_DEP_1) | instskip(NEXT) | instid1(VALU_DEP_1)
	v_add_f32_e32 v23, v101, v23
	v_add_f32_e32 v97, v99, v23
	s_delay_alu instid0(VALU_DEP_1) | instskip(NEXT) | instid1(VALU_DEP_1)
	v_mul_f32_e32 v101, v97, v97
	v_fmaak_f32 v102, s14, v101, 0x3ecc95a3
	v_mul_f32_e32 v103, v97, v101
	v_cmp_gt_f32_e64 s14, 0x33800000, |v17|
	s_delay_alu instid0(VALU_DEP_3) | instskip(SKIP_2) | instid1(VALU_DEP_4)
	v_fmaak_f32 v101, v101, v102, 0x3f2aaada
	v_ldexp_f32 v102, v97, 1
	v_sub_f32_e32 v97, v97, v99
	s_or_b32 vcc_lo, vcc_lo, s14
	s_delay_alu instid0(VALU_DEP_3) | instskip(SKIP_1) | instid1(VALU_DEP_3)
	v_mul_f32_e32 v101, v103, v101
	v_mul_f32_e32 v103, 0x3f317218, v22
	v_sub_f32_e32 v23, v23, v97
	s_delay_alu instid0(VALU_DEP_3) | instskip(NEXT) | instid1(VALU_DEP_2)
	v_add_f32_e32 v99, v102, v101
	v_ldexp_f32 v23, v23, 1
	s_delay_alu instid0(VALU_DEP_2) | instskip(SKIP_1) | instid1(VALU_DEP_1)
	v_sub_f32_e32 v97, v99, v102
	v_fma_f32 v102, 0x3f317218, v22, -v103
	v_dual_sub_f32 v97, v101, v97 :: v_dual_fmamk_f32 v22, v22, 0xb102e308, v102
	s_delay_alu instid0(VALU_DEP_1) | instskip(NEXT) | instid1(VALU_DEP_2)
	v_add_f32_e32 v23, v23, v97
	v_add_f32_e32 v97, v103, v22
	s_delay_alu instid0(VALU_DEP_2) | instskip(NEXT) | instid1(VALU_DEP_2)
	v_add_f32_e32 v101, v99, v23
	v_sub_f32_e32 v103, v97, v103
	s_delay_alu instid0(VALU_DEP_2) | instskip(SKIP_1) | instid1(VALU_DEP_3)
	v_add_f32_e32 v102, v97, v101
	v_sub_f32_e32 v99, v101, v99
	v_sub_f32_e32 v22, v22, v103
	s_delay_alu instid0(VALU_DEP_2) | instskip(NEXT) | instid1(VALU_DEP_1)
	v_dual_sub_f32 v112, v102, v97 :: v_dual_sub_f32 v23, v23, v99
	v_sub_f32_e32 v113, v102, v112
	v_sub_f32_e32 v99, v101, v112
	s_delay_alu instid0(VALU_DEP_3) | instskip(NEXT) | instid1(VALU_DEP_3)
	v_add_f32_e32 v101, v22, v23
	v_sub_f32_e32 v97, v97, v113
	s_delay_alu instid0(VALU_DEP_1) | instskip(NEXT) | instid1(VALU_DEP_3)
	v_add_f32_e32 v97, v99, v97
	v_sub_f32_e32 v99, v101, v22
	s_delay_alu instid0(VALU_DEP_2) | instskip(NEXT) | instid1(VALU_DEP_2)
	v_add_f32_e32 v97, v101, v97
	v_sub_f32_e32 v101, v101, v99
	v_sub_f32_e32 v23, v23, v99
	s_delay_alu instid0(VALU_DEP_3) | instskip(NEXT) | instid1(VALU_DEP_1)
	v_add_f32_e32 v103, v102, v97
	v_dual_sub_f32 v22, v22, v101 :: v_dual_sub_f32 v99, v103, v102
	s_delay_alu instid0(VALU_DEP_1) | instskip(NEXT) | instid1(VALU_DEP_1)
	v_dual_add_f32 v22, v23, v22 :: v_dual_sub_f32 v23, v97, v99
	v_add_f32_e32 v22, v22, v23
	s_delay_alu instid0(VALU_DEP_1) | instskip(NEXT) | instid1(VALU_DEP_1)
	v_add_f32_e32 v22, v103, v22
	v_cndmask_b32_e32 v17, v22, v17, vcc_lo
	s_delay_alu instid0(VALU_DEP_1)
	v_add_f32_e32 v17, v16, v17
.LBB481_71:
	s_or_b32 exec_lo, exec_lo, s13
	s_delay_alu instid0(VALU_DEP_1) | instskip(SKIP_1) | instid1(VALU_DEP_2)
	v_bfe_u32 v16, v17, 16, 1
	v_cmp_o_f32_e32 vcc_lo, v17, v17
	v_add3_u32 v16, v17, v16, 0x7fff
	s_delay_alu instid0(VALU_DEP_1) | instskip(NEXT) | instid1(VALU_DEP_1)
	v_and_b32_e32 v16, 0xffff0000, v16
	v_cndmask_b32_e32 v17, 0x7fc00000, v16, vcc_lo
	s_delay_alu instid0(VALU_DEP_1) | instskip(NEXT) | instid1(VALU_DEP_1)
	v_dual_max_f32 v16, v17, v17 :: v_dual_lshlrev_b32 v97, 16, v38
	v_max_f32_e32 v102, v97, v97
	v_cmp_u_f32_e32 vcc_lo, v17, v17
	v_cmp_u_f32_e64 s13, v97, v97
	s_delay_alu instid0(VALU_DEP_3) | instskip(SKIP_1) | instid1(VALU_DEP_2)
	v_min_f32_e32 v22, v16, v102
	v_max_f32_e32 v16, v16, v102
	v_cndmask_b32_e32 v22, v22, v17, vcc_lo
	s_delay_alu instid0(VALU_DEP_2) | instskip(NEXT) | instid1(VALU_DEP_2)
	v_cndmask_b32_e32 v16, v16, v17, vcc_lo
	v_cndmask_b32_e64 v22, v22, v97, s13
	s_delay_alu instid0(VALU_DEP_2) | instskip(NEXT) | instid1(VALU_DEP_2)
	v_cndmask_b32_e64 v16, v16, v97, s13
	v_cmp_class_f32_e64 s14, v22, 0x1f8
	s_delay_alu instid0(VALU_DEP_2) | instskip(NEXT) | instid1(VALU_DEP_2)
	v_cmp_neq_f32_e32 vcc_lo, v22, v16
	s_or_b32 s15, vcc_lo, s14
	s_delay_alu instid0(SALU_CYCLE_1)
	s_and_saveexec_b32 s14, s15
	s_cbranch_execz .LBB481_73
; %bb.72:
	v_sub_f32_e32 v17, v22, v16
	s_mov_b32 s15, 0x3e9b6dac
	s_delay_alu instid0(VALU_DEP_1) | instskip(SKIP_1) | instid1(VALU_DEP_2)
	v_mul_f32_e32 v22, 0x3fb8aa3b, v17
	v_cmp_ngt_f32_e32 vcc_lo, 0xc2ce8ed0, v17
	v_fma_f32 v23, 0x3fb8aa3b, v17, -v22
	v_rndne_f32_e32 v99, v22
	s_delay_alu instid0(VALU_DEP_1) | instskip(NEXT) | instid1(VALU_DEP_1)
	v_dual_fmamk_f32 v23, v17, 0x32a5705f, v23 :: v_dual_sub_f32 v22, v22, v99
	v_add_f32_e32 v22, v22, v23
	v_cvt_i32_f32_e32 v23, v99
	s_delay_alu instid0(VALU_DEP_2) | instskip(SKIP_2) | instid1(VALU_DEP_1)
	v_exp_f32_e32 v22, v22
	s_waitcnt_depctr 0xfff
	v_ldexp_f32 v22, v22, v23
	v_cndmask_b32_e32 v22, 0, v22, vcc_lo
	v_cmp_nlt_f32_e32 vcc_lo, 0x42b17218, v17
	s_delay_alu instid0(VALU_DEP_2) | instskip(NEXT) | instid1(VALU_DEP_1)
	v_cndmask_b32_e32 v17, 0x7f800000, v22, vcc_lo
	v_add_f32_e32 v99, 1.0, v17
	s_delay_alu instid0(VALU_DEP_1) | instskip(NEXT) | instid1(VALU_DEP_1)
	v_cvt_f64_f32_e32 v[22:23], v99
	v_frexp_exp_i32_f64_e32 v22, v[22:23]
	v_frexp_mant_f32_e32 v23, v99
	s_delay_alu instid0(VALU_DEP_1) | instskip(SKIP_1) | instid1(VALU_DEP_1)
	v_cmp_gt_f32_e32 vcc_lo, 0x3f2aaaab, v23
	v_add_f32_e32 v23, -1.0, v99
	v_sub_f32_e32 v103, v23, v99
	s_delay_alu instid0(VALU_DEP_1) | instskip(SKIP_1) | instid1(VALU_DEP_1)
	v_add_f32_e32 v103, 1.0, v103
	v_subrev_co_ci_u32_e32 v22, vcc_lo, 0, v22, vcc_lo
	v_sub_nc_u32_e32 v101, 0, v22
	v_cvt_f32_i32_e32 v22, v22
	s_delay_alu instid0(VALU_DEP_2) | instskip(NEXT) | instid1(VALU_DEP_1)
	v_ldexp_f32 v99, v99, v101
	v_add_f32_e32 v112, 1.0, v99
	v_sub_f32_e32 v23, v17, v23
	v_cmp_eq_f32_e32 vcc_lo, 0x7f800000, v17
	s_delay_alu instid0(VALU_DEP_2) | instskip(NEXT) | instid1(VALU_DEP_1)
	v_add_f32_e32 v23, v23, v103
	v_ldexp_f32 v23, v23, v101
	v_add_f32_e32 v101, -1.0, v99
	v_add_f32_e32 v103, -1.0, v112
	s_delay_alu instid0(VALU_DEP_2) | instskip(NEXT) | instid1(VALU_DEP_2)
	v_add_f32_e32 v113, 1.0, v101
	v_sub_f32_e32 v103, v99, v103
	s_delay_alu instid0(VALU_DEP_2) | instskip(NEXT) | instid1(VALU_DEP_2)
	v_sub_f32_e32 v99, v99, v113
	v_add_f32_e32 v103, v23, v103
	s_delay_alu instid0(VALU_DEP_2) | instskip(NEXT) | instid1(VALU_DEP_2)
	v_add_f32_e32 v23, v23, v99
	v_add_f32_e32 v113, v112, v103
	s_delay_alu instid0(VALU_DEP_2) | instskip(NEXT) | instid1(VALU_DEP_2)
	v_add_f32_e32 v114, v101, v23
	v_rcp_f32_e32 v99, v113
	s_delay_alu instid0(VALU_DEP_1) | instskip(NEXT) | instid1(VALU_DEP_1)
	v_dual_sub_f32 v112, v112, v113 :: v_dual_sub_f32 v101, v101, v114
	v_add_f32_e32 v103, v103, v112
	s_delay_alu instid0(VALU_DEP_2) | instskip(SKIP_2) | instid1(VALU_DEP_1)
	v_add_f32_e32 v23, v23, v101
	s_waitcnt_depctr 0xfff
	v_mul_f32_e32 v115, v114, v99
	v_mul_f32_e32 v116, v113, v115
	s_delay_alu instid0(VALU_DEP_1) | instskip(NEXT) | instid1(VALU_DEP_1)
	v_fma_f32 v112, v115, v113, -v116
	v_fmac_f32_e32 v112, v115, v103
	s_delay_alu instid0(VALU_DEP_1) | instskip(NEXT) | instid1(VALU_DEP_1)
	v_add_f32_e32 v117, v116, v112
	v_dual_sub_f32 v118, v114, v117 :: v_dual_sub_f32 v101, v117, v116
	s_delay_alu instid0(VALU_DEP_1) | instskip(NEXT) | instid1(VALU_DEP_1)
	v_dual_sub_f32 v114, v114, v118 :: v_dual_sub_f32 v101, v101, v112
	v_sub_f32_e32 v114, v114, v117
	s_delay_alu instid0(VALU_DEP_1) | instskip(NEXT) | instid1(VALU_DEP_1)
	v_add_f32_e32 v23, v23, v114
	v_add_f32_e32 v23, v101, v23
	s_delay_alu instid0(VALU_DEP_1) | instskip(NEXT) | instid1(VALU_DEP_1)
	v_add_f32_e32 v101, v118, v23
	v_mul_f32_e32 v112, v99, v101
	s_delay_alu instid0(VALU_DEP_1) | instskip(NEXT) | instid1(VALU_DEP_1)
	v_dual_sub_f32 v117, v118, v101 :: v_dual_mul_f32 v114, v113, v112
	v_add_f32_e32 v23, v23, v117
	s_delay_alu instid0(VALU_DEP_2) | instskip(NEXT) | instid1(VALU_DEP_1)
	v_fma_f32 v113, v112, v113, -v114
	v_fmac_f32_e32 v113, v112, v103
	s_delay_alu instid0(VALU_DEP_1) | instskip(NEXT) | instid1(VALU_DEP_1)
	v_add_f32_e32 v103, v114, v113
	v_sub_f32_e32 v116, v101, v103
	s_delay_alu instid0(VALU_DEP_1) | instskip(NEXT) | instid1(VALU_DEP_1)
	v_dual_sub_f32 v114, v103, v114 :: v_dual_sub_f32 v101, v101, v116
	v_sub_f32_e32 v101, v101, v103
	s_delay_alu instid0(VALU_DEP_2) | instskip(NEXT) | instid1(VALU_DEP_2)
	v_sub_f32_e32 v103, v114, v113
	v_add_f32_e32 v23, v23, v101
	v_add_f32_e32 v101, v115, v112
	s_delay_alu instid0(VALU_DEP_2) | instskip(NEXT) | instid1(VALU_DEP_2)
	v_add_f32_e32 v23, v103, v23
	v_sub_f32_e32 v103, v101, v115
	s_delay_alu instid0(VALU_DEP_2) | instskip(NEXT) | instid1(VALU_DEP_2)
	v_add_f32_e32 v23, v116, v23
	v_sub_f32_e32 v103, v112, v103
	s_delay_alu instid0(VALU_DEP_2) | instskip(NEXT) | instid1(VALU_DEP_1)
	v_mul_f32_e32 v23, v99, v23
	v_add_f32_e32 v23, v103, v23
	s_delay_alu instid0(VALU_DEP_1) | instskip(NEXT) | instid1(VALU_DEP_1)
	v_add_f32_e32 v99, v101, v23
	v_mul_f32_e32 v103, v99, v99
	s_delay_alu instid0(VALU_DEP_1) | instskip(SKIP_2) | instid1(VALU_DEP_3)
	v_fmaak_f32 v112, s15, v103, 0x3ecc95a3
	v_mul_f32_e32 v113, v99, v103
	v_cmp_gt_f32_e64 s15, 0x33800000, |v17|
	v_fmaak_f32 v103, v103, v112, 0x3f2aaada
	v_ldexp_f32 v112, v99, 1
	v_sub_f32_e32 v99, v99, v101
	s_delay_alu instid0(VALU_DEP_4) | instskip(NEXT) | instid1(VALU_DEP_3)
	s_or_b32 vcc_lo, vcc_lo, s15
	v_mul_f32_e32 v103, v113, v103
	v_mul_f32_e32 v113, 0x3f317218, v22
	s_delay_alu instid0(VALU_DEP_3) | instskip(NEXT) | instid1(VALU_DEP_3)
	v_sub_f32_e32 v23, v23, v99
	v_add_f32_e32 v101, v112, v103
	s_delay_alu instid0(VALU_DEP_2) | instskip(NEXT) | instid1(VALU_DEP_2)
	v_ldexp_f32 v23, v23, 1
	v_sub_f32_e32 v99, v101, v112
	v_fma_f32 v112, 0x3f317218, v22, -v113
	s_delay_alu instid0(VALU_DEP_1) | instskip(NEXT) | instid1(VALU_DEP_1)
	v_dual_sub_f32 v99, v103, v99 :: v_dual_fmamk_f32 v22, v22, 0xb102e308, v112
	v_add_f32_e32 v23, v23, v99
	s_delay_alu instid0(VALU_DEP_2) | instskip(NEXT) | instid1(VALU_DEP_2)
	v_add_f32_e32 v99, v113, v22
	v_add_f32_e32 v103, v101, v23
	s_delay_alu instid0(VALU_DEP_2) | instskip(NEXT) | instid1(VALU_DEP_2)
	v_sub_f32_e32 v113, v99, v113
	v_add_f32_e32 v112, v99, v103
	v_sub_f32_e32 v101, v103, v101
	s_delay_alu instid0(VALU_DEP_3) | instskip(NEXT) | instid1(VALU_DEP_2)
	v_sub_f32_e32 v22, v22, v113
	v_dual_sub_f32 v114, v112, v99 :: v_dual_sub_f32 v23, v23, v101
	s_delay_alu instid0(VALU_DEP_1) | instskip(SKIP_1) | instid1(VALU_DEP_3)
	v_sub_f32_e32 v115, v112, v114
	v_sub_f32_e32 v101, v103, v114
	v_add_f32_e32 v103, v22, v23
	s_delay_alu instid0(VALU_DEP_3) | instskip(NEXT) | instid1(VALU_DEP_1)
	v_sub_f32_e32 v99, v99, v115
	v_add_f32_e32 v99, v101, v99
	s_delay_alu instid0(VALU_DEP_3) | instskip(NEXT) | instid1(VALU_DEP_2)
	v_sub_f32_e32 v101, v103, v22
	v_add_f32_e32 v99, v103, v99
	s_delay_alu instid0(VALU_DEP_2) | instskip(SKIP_1) | instid1(VALU_DEP_3)
	v_sub_f32_e32 v103, v103, v101
	v_sub_f32_e32 v23, v23, v101
	v_add_f32_e32 v113, v112, v99
	s_delay_alu instid0(VALU_DEP_1) | instskip(NEXT) | instid1(VALU_DEP_1)
	v_dual_sub_f32 v22, v22, v103 :: v_dual_sub_f32 v101, v113, v112
	v_add_f32_e32 v22, v23, v22
	s_delay_alu instid0(VALU_DEP_2) | instskip(NEXT) | instid1(VALU_DEP_1)
	v_sub_f32_e32 v23, v99, v101
	v_add_f32_e32 v22, v22, v23
	s_delay_alu instid0(VALU_DEP_1) | instskip(NEXT) | instid1(VALU_DEP_1)
	v_add_f32_e32 v22, v113, v22
	v_cndmask_b32_e32 v17, v22, v17, vcc_lo
	s_delay_alu instid0(VALU_DEP_1)
	v_add_f32_e32 v17, v16, v17
.LBB481_73:
	s_or_b32 exec_lo, exec_lo, s14
	s_delay_alu instid0(VALU_DEP_1) | instskip(SKIP_1) | instid1(VALU_DEP_2)
	v_bfe_u32 v16, v17, 16, 1
	v_cmp_o_f32_e32 vcc_lo, v17, v17
	v_add3_u32 v16, v17, v16, 0x7fff
	s_delay_alu instid0(VALU_DEP_1) | instskip(NEXT) | instid1(VALU_DEP_1)
	v_and_b32_e32 v16, 0xffff0000, v16
	v_cndmask_b32_e32 v17, 0x7fc00000, v16, vcc_lo
	s_delay_alu instid0(VALU_DEP_1) | instskip(SKIP_1) | instid1(VALU_DEP_1)
	v_max_f32_e32 v16, v17, v17
	v_lshlrev_b32_e32 v99, 16, v37
	v_max_f32_e32 v112, v99, v99
	v_cmp_u_f32_e32 vcc_lo, v17, v17
	s_delay_alu instid0(VALU_DEP_2) | instskip(SKIP_2) | instid1(VALU_DEP_3)
	v_min_f32_e32 v22, v16, v112
	v_max_f32_e32 v16, v16, v112
	v_cmp_u_f32_e64 s14, v99, v99
	v_cndmask_b32_e32 v22, v22, v17, vcc_lo
	s_delay_alu instid0(VALU_DEP_3) | instskip(NEXT) | instid1(VALU_DEP_2)
	v_cndmask_b32_e32 v16, v16, v17, vcc_lo
	v_cndmask_b32_e64 v22, v22, v99, s14
	s_delay_alu instid0(VALU_DEP_2) | instskip(NEXT) | instid1(VALU_DEP_2)
	v_cndmask_b32_e64 v16, v16, v99, s14
	v_cmp_class_f32_e64 s15, v22, 0x1f8
	s_delay_alu instid0(VALU_DEP_2) | instskip(NEXT) | instid1(VALU_DEP_2)
	v_cmp_neq_f32_e32 vcc_lo, v22, v16
	s_or_b32 s16, vcc_lo, s15
	s_delay_alu instid0(SALU_CYCLE_1)
	s_and_saveexec_b32 s15, s16
	s_cbranch_execz .LBB481_75
; %bb.74:
	v_sub_f32_e32 v17, v22, v16
	s_mov_b32 s16, 0x3e9b6dac
	s_delay_alu instid0(VALU_DEP_1) | instskip(SKIP_1) | instid1(VALU_DEP_2)
	v_mul_f32_e32 v22, 0x3fb8aa3b, v17
	v_cmp_ngt_f32_e32 vcc_lo, 0xc2ce8ed0, v17
	v_fma_f32 v23, 0x3fb8aa3b, v17, -v22
	v_rndne_f32_e32 v101, v22
	s_delay_alu instid0(VALU_DEP_1) | instskip(NEXT) | instid1(VALU_DEP_1)
	v_dual_fmamk_f32 v23, v17, 0x32a5705f, v23 :: v_dual_sub_f32 v22, v22, v101
	v_add_f32_e32 v22, v22, v23
	v_cvt_i32_f32_e32 v23, v101
	s_delay_alu instid0(VALU_DEP_2) | instskip(SKIP_2) | instid1(VALU_DEP_1)
	v_exp_f32_e32 v22, v22
	s_waitcnt_depctr 0xfff
	v_ldexp_f32 v22, v22, v23
	v_cndmask_b32_e32 v22, 0, v22, vcc_lo
	v_cmp_nlt_f32_e32 vcc_lo, 0x42b17218, v17
	s_delay_alu instid0(VALU_DEP_2) | instskip(NEXT) | instid1(VALU_DEP_1)
	v_cndmask_b32_e32 v17, 0x7f800000, v22, vcc_lo
	v_add_f32_e32 v101, 1.0, v17
	s_delay_alu instid0(VALU_DEP_1) | instskip(NEXT) | instid1(VALU_DEP_1)
	v_cvt_f64_f32_e32 v[22:23], v101
	v_frexp_exp_i32_f64_e32 v22, v[22:23]
	v_frexp_mant_f32_e32 v23, v101
	s_delay_alu instid0(VALU_DEP_1) | instskip(SKIP_1) | instid1(VALU_DEP_1)
	v_cmp_gt_f32_e32 vcc_lo, 0x3f2aaaab, v23
	v_add_f32_e32 v23, -1.0, v101
	v_sub_f32_e32 v113, v23, v101
	s_delay_alu instid0(VALU_DEP_1) | instskip(SKIP_1) | instid1(VALU_DEP_1)
	v_add_f32_e32 v113, 1.0, v113
	v_subrev_co_ci_u32_e32 v22, vcc_lo, 0, v22, vcc_lo
	v_sub_nc_u32_e32 v103, 0, v22
	v_cvt_f32_i32_e32 v22, v22
	s_delay_alu instid0(VALU_DEP_2) | instskip(NEXT) | instid1(VALU_DEP_1)
	v_ldexp_f32 v101, v101, v103
	v_dual_add_f32 v114, 1.0, v101 :: v_dual_sub_f32 v23, v17, v23
	v_cmp_eq_f32_e32 vcc_lo, 0x7f800000, v17
	s_delay_alu instid0(VALU_DEP_2) | instskip(NEXT) | instid1(VALU_DEP_3)
	v_add_f32_e32 v23, v23, v113
	v_add_f32_e32 v113, -1.0, v114
	s_delay_alu instid0(VALU_DEP_2) | instskip(SKIP_1) | instid1(VALU_DEP_3)
	v_ldexp_f32 v23, v23, v103
	v_add_f32_e32 v103, -1.0, v101
	v_sub_f32_e32 v113, v101, v113
	s_delay_alu instid0(VALU_DEP_2) | instskip(NEXT) | instid1(VALU_DEP_2)
	v_add_f32_e32 v115, 1.0, v103
	v_add_f32_e32 v113, v23, v113
	s_delay_alu instid0(VALU_DEP_2) | instskip(NEXT) | instid1(VALU_DEP_2)
	v_sub_f32_e32 v101, v101, v115
	v_add_f32_e32 v115, v114, v113
	s_delay_alu instid0(VALU_DEP_2) | instskip(NEXT) | instid1(VALU_DEP_2)
	v_add_f32_e32 v23, v23, v101
	v_rcp_f32_e32 v101, v115
	v_sub_f32_e32 v114, v114, v115
	s_delay_alu instid0(VALU_DEP_1) | instskip(NEXT) | instid1(VALU_DEP_1)
	v_dual_add_f32 v116, v103, v23 :: v_dual_add_f32 v113, v113, v114
	v_sub_f32_e32 v103, v103, v116
	s_waitcnt_depctr 0xfff
	v_mul_f32_e32 v117, v116, v101
	v_add_f32_e32 v23, v23, v103
	s_delay_alu instid0(VALU_DEP_2) | instskip(NEXT) | instid1(VALU_DEP_1)
	v_mul_f32_e32 v118, v115, v117
	v_fma_f32 v114, v117, v115, -v118
	s_delay_alu instid0(VALU_DEP_1) | instskip(NEXT) | instid1(VALU_DEP_1)
	v_fmac_f32_e32 v114, v117, v113
	v_add_f32_e32 v119, v118, v114
	s_delay_alu instid0(VALU_DEP_1) | instskip(NEXT) | instid1(VALU_DEP_1)
	v_dual_sub_f32 v128, v116, v119 :: v_dual_sub_f32 v103, v119, v118
	v_dual_sub_f32 v116, v116, v128 :: v_dual_sub_f32 v103, v103, v114
	s_delay_alu instid0(VALU_DEP_1) | instskip(NEXT) | instid1(VALU_DEP_1)
	v_sub_f32_e32 v116, v116, v119
	v_add_f32_e32 v23, v23, v116
	s_delay_alu instid0(VALU_DEP_1) | instskip(NEXT) | instid1(VALU_DEP_1)
	v_add_f32_e32 v23, v103, v23
	v_add_f32_e32 v103, v128, v23
	s_delay_alu instid0(VALU_DEP_1) | instskip(NEXT) | instid1(VALU_DEP_1)
	v_mul_f32_e32 v114, v101, v103
	v_dual_sub_f32 v119, v128, v103 :: v_dual_mul_f32 v116, v115, v114
	s_delay_alu instid0(VALU_DEP_1) | instskip(NEXT) | instid1(VALU_DEP_2)
	v_add_f32_e32 v23, v23, v119
	v_fma_f32 v115, v114, v115, -v116
	s_delay_alu instid0(VALU_DEP_1) | instskip(NEXT) | instid1(VALU_DEP_1)
	v_fmac_f32_e32 v115, v114, v113
	v_add_f32_e32 v113, v116, v115
	s_delay_alu instid0(VALU_DEP_1) | instskip(NEXT) | instid1(VALU_DEP_1)
	v_sub_f32_e32 v118, v103, v113
	v_dual_sub_f32 v116, v113, v116 :: v_dual_sub_f32 v103, v103, v118
	s_delay_alu instid0(VALU_DEP_1) | instskip(NEXT) | instid1(VALU_DEP_2)
	v_sub_f32_e32 v103, v103, v113
	v_sub_f32_e32 v113, v116, v115
	s_delay_alu instid0(VALU_DEP_2) | instskip(SKIP_1) | instid1(VALU_DEP_2)
	v_add_f32_e32 v23, v23, v103
	v_add_f32_e32 v103, v117, v114
	;; [unrolled: 1-line block ×3, first 2 shown]
	s_delay_alu instid0(VALU_DEP_2) | instskip(NEXT) | instid1(VALU_DEP_2)
	v_sub_f32_e32 v113, v103, v117
	v_add_f32_e32 v23, v118, v23
	s_delay_alu instid0(VALU_DEP_2) | instskip(NEXT) | instid1(VALU_DEP_2)
	v_sub_f32_e32 v113, v114, v113
	v_mul_f32_e32 v23, v101, v23
	s_delay_alu instid0(VALU_DEP_1) | instskip(NEXT) | instid1(VALU_DEP_1)
	v_add_f32_e32 v23, v113, v23
	v_add_f32_e32 v101, v103, v23
	s_delay_alu instid0(VALU_DEP_1) | instskip(NEXT) | instid1(VALU_DEP_1)
	v_mul_f32_e32 v113, v101, v101
	v_fmaak_f32 v114, s16, v113, 0x3ecc95a3
	v_mul_f32_e32 v115, v101, v113
	v_cmp_gt_f32_e64 s16, 0x33800000, |v17|
	s_delay_alu instid0(VALU_DEP_3) | instskip(SKIP_2) | instid1(VALU_DEP_4)
	v_fmaak_f32 v113, v113, v114, 0x3f2aaada
	v_ldexp_f32 v114, v101, 1
	v_sub_f32_e32 v101, v101, v103
	s_or_b32 vcc_lo, vcc_lo, s16
	s_delay_alu instid0(VALU_DEP_3) | instskip(SKIP_1) | instid1(VALU_DEP_3)
	v_mul_f32_e32 v113, v115, v113
	v_mul_f32_e32 v115, 0x3f317218, v22
	v_sub_f32_e32 v23, v23, v101
	s_delay_alu instid0(VALU_DEP_3) | instskip(NEXT) | instid1(VALU_DEP_2)
	v_add_f32_e32 v103, v114, v113
	v_ldexp_f32 v23, v23, 1
	s_delay_alu instid0(VALU_DEP_2) | instskip(SKIP_1) | instid1(VALU_DEP_1)
	v_sub_f32_e32 v101, v103, v114
	v_fma_f32 v114, 0x3f317218, v22, -v115
	v_dual_sub_f32 v101, v113, v101 :: v_dual_fmamk_f32 v22, v22, 0xb102e308, v114
	s_delay_alu instid0(VALU_DEP_1) | instskip(NEXT) | instid1(VALU_DEP_2)
	v_add_f32_e32 v23, v23, v101
	v_add_f32_e32 v101, v115, v22
	s_delay_alu instid0(VALU_DEP_2) | instskip(NEXT) | instid1(VALU_DEP_2)
	v_add_f32_e32 v113, v103, v23
	v_sub_f32_e32 v115, v101, v115
	s_delay_alu instid0(VALU_DEP_2) | instskip(SKIP_1) | instid1(VALU_DEP_3)
	v_add_f32_e32 v114, v101, v113
	v_sub_f32_e32 v103, v113, v103
	v_sub_f32_e32 v22, v22, v115
	s_delay_alu instid0(VALU_DEP_2) | instskip(NEXT) | instid1(VALU_DEP_1)
	v_dual_sub_f32 v116, v114, v101 :: v_dual_sub_f32 v23, v23, v103
	v_sub_f32_e32 v117, v114, v116
	v_sub_f32_e32 v103, v113, v116
	s_delay_alu instid0(VALU_DEP_3) | instskip(NEXT) | instid1(VALU_DEP_3)
	v_add_f32_e32 v113, v22, v23
	v_sub_f32_e32 v101, v101, v117
	s_delay_alu instid0(VALU_DEP_1) | instskip(NEXT) | instid1(VALU_DEP_3)
	v_add_f32_e32 v101, v103, v101
	v_sub_f32_e32 v103, v113, v22
	s_delay_alu instid0(VALU_DEP_2) | instskip(NEXT) | instid1(VALU_DEP_2)
	v_add_f32_e32 v101, v113, v101
	v_sub_f32_e32 v113, v113, v103
	v_sub_f32_e32 v23, v23, v103
	s_delay_alu instid0(VALU_DEP_3) | instskip(NEXT) | instid1(VALU_DEP_1)
	v_add_f32_e32 v115, v114, v101
	v_dual_sub_f32 v22, v22, v113 :: v_dual_sub_f32 v103, v115, v114
	s_delay_alu instid0(VALU_DEP_1) | instskip(NEXT) | instid1(VALU_DEP_1)
	v_dual_add_f32 v22, v23, v22 :: v_dual_sub_f32 v23, v101, v103
	v_add_f32_e32 v22, v22, v23
	s_delay_alu instid0(VALU_DEP_1) | instskip(NEXT) | instid1(VALU_DEP_1)
	v_add_f32_e32 v22, v115, v22
	v_cndmask_b32_e32 v17, v22, v17, vcc_lo
	s_delay_alu instid0(VALU_DEP_1)
	v_add_f32_e32 v17, v16, v17
.LBB481_75:
	s_or_b32 exec_lo, exec_lo, s15
	s_delay_alu instid0(VALU_DEP_1) | instskip(SKIP_1) | instid1(VALU_DEP_2)
	v_bfe_u32 v16, v17, 16, 1
	v_cmp_o_f32_e32 vcc_lo, v17, v17
	v_add3_u32 v16, v17, v16, 0x7fff
	s_delay_alu instid0(VALU_DEP_1) | instskip(NEXT) | instid1(VALU_DEP_1)
	v_and_b32_e32 v16, 0xffff0000, v16
	v_cndmask_b32_e32 v17, 0x7fc00000, v16, vcc_lo
	s_delay_alu instid0(VALU_DEP_1) | instskip(NEXT) | instid1(VALU_DEP_1)
	v_dual_max_f32 v16, v17, v17 :: v_dual_lshlrev_b32 v101, 16, v36
	v_max_f32_e32 v114, v101, v101
	v_cmp_u_f32_e32 vcc_lo, v17, v17
	v_cmp_u_f32_e64 s15, v101, v101
	s_delay_alu instid0(VALU_DEP_3) | instskip(SKIP_1) | instid1(VALU_DEP_2)
	v_min_f32_e32 v22, v16, v114
	v_max_f32_e32 v16, v16, v114
	v_cndmask_b32_e32 v22, v22, v17, vcc_lo
	s_delay_alu instid0(VALU_DEP_2) | instskip(NEXT) | instid1(VALU_DEP_2)
	v_cndmask_b32_e32 v16, v16, v17, vcc_lo
	v_cndmask_b32_e64 v22, v22, v101, s15
	s_delay_alu instid0(VALU_DEP_2) | instskip(NEXT) | instid1(VALU_DEP_2)
	v_cndmask_b32_e64 v16, v16, v101, s15
	v_cmp_class_f32_e64 s16, v22, 0x1f8
	s_delay_alu instid0(VALU_DEP_2) | instskip(NEXT) | instid1(VALU_DEP_2)
	v_cmp_neq_f32_e32 vcc_lo, v22, v16
	s_or_b32 s17, vcc_lo, s16
	s_delay_alu instid0(SALU_CYCLE_1)
	s_and_saveexec_b32 s16, s17
	s_cbranch_execz .LBB481_77
; %bb.76:
	v_sub_f32_e32 v17, v22, v16
	s_mov_b32 s17, 0x3e9b6dac
	s_delay_alu instid0(VALU_DEP_1) | instskip(SKIP_1) | instid1(VALU_DEP_2)
	v_mul_f32_e32 v22, 0x3fb8aa3b, v17
	v_cmp_ngt_f32_e32 vcc_lo, 0xc2ce8ed0, v17
	v_fma_f32 v23, 0x3fb8aa3b, v17, -v22
	v_rndne_f32_e32 v103, v22
	s_delay_alu instid0(VALU_DEP_1) | instskip(NEXT) | instid1(VALU_DEP_1)
	v_dual_fmamk_f32 v23, v17, 0x32a5705f, v23 :: v_dual_sub_f32 v22, v22, v103
	v_add_f32_e32 v22, v22, v23
	v_cvt_i32_f32_e32 v23, v103
	s_delay_alu instid0(VALU_DEP_2) | instskip(SKIP_2) | instid1(VALU_DEP_1)
	v_exp_f32_e32 v22, v22
	s_waitcnt_depctr 0xfff
	v_ldexp_f32 v22, v22, v23
	v_cndmask_b32_e32 v22, 0, v22, vcc_lo
	v_cmp_nlt_f32_e32 vcc_lo, 0x42b17218, v17
	s_delay_alu instid0(VALU_DEP_2) | instskip(NEXT) | instid1(VALU_DEP_1)
	v_cndmask_b32_e32 v17, 0x7f800000, v22, vcc_lo
	v_add_f32_e32 v103, 1.0, v17
	s_delay_alu instid0(VALU_DEP_1) | instskip(NEXT) | instid1(VALU_DEP_1)
	v_cvt_f64_f32_e32 v[22:23], v103
	v_frexp_exp_i32_f64_e32 v22, v[22:23]
	v_frexp_mant_f32_e32 v23, v103
	s_delay_alu instid0(VALU_DEP_1) | instskip(SKIP_1) | instid1(VALU_DEP_1)
	v_cmp_gt_f32_e32 vcc_lo, 0x3f2aaaab, v23
	v_add_f32_e32 v23, -1.0, v103
	v_sub_f32_e32 v115, v23, v103
	s_delay_alu instid0(VALU_DEP_1) | instskip(SKIP_1) | instid1(VALU_DEP_1)
	v_add_f32_e32 v115, 1.0, v115
	v_subrev_co_ci_u32_e32 v22, vcc_lo, 0, v22, vcc_lo
	v_sub_nc_u32_e32 v113, 0, v22
	v_cvt_f32_i32_e32 v22, v22
	s_delay_alu instid0(VALU_DEP_2) | instskip(NEXT) | instid1(VALU_DEP_1)
	v_ldexp_f32 v103, v103, v113
	v_add_f32_e32 v116, 1.0, v103
	v_sub_f32_e32 v23, v17, v23
	v_cmp_eq_f32_e32 vcc_lo, 0x7f800000, v17
	s_delay_alu instid0(VALU_DEP_2) | instskip(NEXT) | instid1(VALU_DEP_1)
	v_add_f32_e32 v23, v23, v115
	v_ldexp_f32 v23, v23, v113
	v_add_f32_e32 v113, -1.0, v103
	v_add_f32_e32 v115, -1.0, v116
	s_delay_alu instid0(VALU_DEP_2) | instskip(NEXT) | instid1(VALU_DEP_2)
	v_add_f32_e32 v117, 1.0, v113
	v_sub_f32_e32 v115, v103, v115
	s_delay_alu instid0(VALU_DEP_2) | instskip(NEXT) | instid1(VALU_DEP_2)
	v_sub_f32_e32 v103, v103, v117
	v_add_f32_e32 v115, v23, v115
	s_delay_alu instid0(VALU_DEP_2) | instskip(NEXT) | instid1(VALU_DEP_2)
	v_add_f32_e32 v23, v23, v103
	v_add_f32_e32 v117, v116, v115
	s_delay_alu instid0(VALU_DEP_2) | instskip(NEXT) | instid1(VALU_DEP_2)
	v_add_f32_e32 v118, v113, v23
	v_rcp_f32_e32 v103, v117
	s_delay_alu instid0(VALU_DEP_1) | instskip(NEXT) | instid1(VALU_DEP_1)
	v_dual_sub_f32 v116, v116, v117 :: v_dual_sub_f32 v113, v113, v118
	v_add_f32_e32 v115, v115, v116
	s_delay_alu instid0(VALU_DEP_2) | instskip(SKIP_2) | instid1(VALU_DEP_1)
	v_add_f32_e32 v23, v23, v113
	s_waitcnt_depctr 0xfff
	v_mul_f32_e32 v119, v118, v103
	v_mul_f32_e32 v128, v117, v119
	s_delay_alu instid0(VALU_DEP_1) | instskip(NEXT) | instid1(VALU_DEP_1)
	v_fma_f32 v116, v119, v117, -v128
	v_fmac_f32_e32 v116, v119, v115
	s_delay_alu instid0(VALU_DEP_1) | instskip(NEXT) | instid1(VALU_DEP_1)
	v_add_f32_e32 v129, v128, v116
	v_dual_sub_f32 v130, v118, v129 :: v_dual_sub_f32 v113, v129, v128
	s_delay_alu instid0(VALU_DEP_1) | instskip(NEXT) | instid1(VALU_DEP_1)
	v_dual_sub_f32 v118, v118, v130 :: v_dual_sub_f32 v113, v113, v116
	v_sub_f32_e32 v118, v118, v129
	s_delay_alu instid0(VALU_DEP_1) | instskip(NEXT) | instid1(VALU_DEP_1)
	v_add_f32_e32 v23, v23, v118
	v_add_f32_e32 v23, v113, v23
	s_delay_alu instid0(VALU_DEP_1) | instskip(NEXT) | instid1(VALU_DEP_1)
	v_add_f32_e32 v113, v130, v23
	v_mul_f32_e32 v116, v103, v113
	s_delay_alu instid0(VALU_DEP_1) | instskip(NEXT) | instid1(VALU_DEP_1)
	v_dual_sub_f32 v129, v130, v113 :: v_dual_mul_f32 v118, v117, v116
	v_add_f32_e32 v23, v23, v129
	s_delay_alu instid0(VALU_DEP_2) | instskip(NEXT) | instid1(VALU_DEP_1)
	v_fma_f32 v117, v116, v117, -v118
	v_fmac_f32_e32 v117, v116, v115
	s_delay_alu instid0(VALU_DEP_1) | instskip(NEXT) | instid1(VALU_DEP_1)
	v_add_f32_e32 v115, v118, v117
	v_sub_f32_e32 v128, v113, v115
	s_delay_alu instid0(VALU_DEP_1) | instskip(NEXT) | instid1(VALU_DEP_1)
	v_dual_sub_f32 v118, v115, v118 :: v_dual_sub_f32 v113, v113, v128
	v_sub_f32_e32 v113, v113, v115
	s_delay_alu instid0(VALU_DEP_2) | instskip(NEXT) | instid1(VALU_DEP_2)
	v_sub_f32_e32 v115, v118, v117
	v_add_f32_e32 v23, v23, v113
	v_add_f32_e32 v113, v119, v116
	s_delay_alu instid0(VALU_DEP_2) | instskip(NEXT) | instid1(VALU_DEP_2)
	v_add_f32_e32 v23, v115, v23
	v_sub_f32_e32 v115, v113, v119
	s_delay_alu instid0(VALU_DEP_2) | instskip(NEXT) | instid1(VALU_DEP_2)
	v_add_f32_e32 v23, v128, v23
	v_sub_f32_e32 v115, v116, v115
	s_delay_alu instid0(VALU_DEP_2) | instskip(NEXT) | instid1(VALU_DEP_1)
	v_mul_f32_e32 v23, v103, v23
	v_add_f32_e32 v23, v115, v23
	s_delay_alu instid0(VALU_DEP_1) | instskip(NEXT) | instid1(VALU_DEP_1)
	v_add_f32_e32 v103, v113, v23
	v_mul_f32_e32 v115, v103, v103
	s_delay_alu instid0(VALU_DEP_1) | instskip(SKIP_2) | instid1(VALU_DEP_3)
	v_fmaak_f32 v116, s17, v115, 0x3ecc95a3
	v_mul_f32_e32 v117, v103, v115
	v_cmp_gt_f32_e64 s17, 0x33800000, |v17|
	v_fmaak_f32 v115, v115, v116, 0x3f2aaada
	v_ldexp_f32 v116, v103, 1
	v_sub_f32_e32 v103, v103, v113
	s_delay_alu instid0(VALU_DEP_4) | instskip(NEXT) | instid1(VALU_DEP_3)
	s_or_b32 vcc_lo, vcc_lo, s17
	v_mul_f32_e32 v115, v117, v115
	v_mul_f32_e32 v117, 0x3f317218, v22
	s_delay_alu instid0(VALU_DEP_3) | instskip(NEXT) | instid1(VALU_DEP_3)
	v_sub_f32_e32 v23, v23, v103
	v_add_f32_e32 v113, v116, v115
	s_delay_alu instid0(VALU_DEP_2) | instskip(NEXT) | instid1(VALU_DEP_2)
	v_ldexp_f32 v23, v23, 1
	v_sub_f32_e32 v103, v113, v116
	v_fma_f32 v116, 0x3f317218, v22, -v117
	s_delay_alu instid0(VALU_DEP_1) | instskip(NEXT) | instid1(VALU_DEP_1)
	v_dual_sub_f32 v103, v115, v103 :: v_dual_fmamk_f32 v22, v22, 0xb102e308, v116
	v_add_f32_e32 v23, v23, v103
	s_delay_alu instid0(VALU_DEP_2) | instskip(NEXT) | instid1(VALU_DEP_2)
	v_add_f32_e32 v103, v117, v22
	v_add_f32_e32 v115, v113, v23
	s_delay_alu instid0(VALU_DEP_2) | instskip(NEXT) | instid1(VALU_DEP_2)
	v_sub_f32_e32 v117, v103, v117
	v_add_f32_e32 v116, v103, v115
	v_sub_f32_e32 v113, v115, v113
	s_delay_alu instid0(VALU_DEP_3) | instskip(NEXT) | instid1(VALU_DEP_2)
	v_sub_f32_e32 v22, v22, v117
	v_dual_sub_f32 v118, v116, v103 :: v_dual_sub_f32 v23, v23, v113
	s_delay_alu instid0(VALU_DEP_1) | instskip(SKIP_1) | instid1(VALU_DEP_3)
	v_sub_f32_e32 v119, v116, v118
	v_sub_f32_e32 v113, v115, v118
	v_add_f32_e32 v115, v22, v23
	s_delay_alu instid0(VALU_DEP_3) | instskip(NEXT) | instid1(VALU_DEP_1)
	v_sub_f32_e32 v103, v103, v119
	v_add_f32_e32 v103, v113, v103
	s_delay_alu instid0(VALU_DEP_3) | instskip(NEXT) | instid1(VALU_DEP_2)
	v_sub_f32_e32 v113, v115, v22
	v_add_f32_e32 v103, v115, v103
	s_delay_alu instid0(VALU_DEP_2) | instskip(SKIP_1) | instid1(VALU_DEP_3)
	v_sub_f32_e32 v115, v115, v113
	v_sub_f32_e32 v23, v23, v113
	v_add_f32_e32 v117, v116, v103
	s_delay_alu instid0(VALU_DEP_1) | instskip(NEXT) | instid1(VALU_DEP_1)
	v_dual_sub_f32 v22, v22, v115 :: v_dual_sub_f32 v113, v117, v116
	v_add_f32_e32 v22, v23, v22
	s_delay_alu instid0(VALU_DEP_2) | instskip(NEXT) | instid1(VALU_DEP_1)
	v_sub_f32_e32 v23, v103, v113
	v_add_f32_e32 v22, v22, v23
	s_delay_alu instid0(VALU_DEP_1) | instskip(NEXT) | instid1(VALU_DEP_1)
	v_add_f32_e32 v22, v117, v22
	v_cndmask_b32_e32 v17, v22, v17, vcc_lo
	s_delay_alu instid0(VALU_DEP_1)
	v_add_f32_e32 v17, v16, v17
.LBB481_77:
	s_or_b32 exec_lo, exec_lo, s16
	s_delay_alu instid0(VALU_DEP_1) | instskip(SKIP_1) | instid1(VALU_DEP_2)
	v_bfe_u32 v16, v17, 16, 1
	v_cmp_o_f32_e32 vcc_lo, v17, v17
	v_add3_u32 v16, v17, v16, 0x7fff
	s_delay_alu instid0(VALU_DEP_1) | instskip(NEXT) | instid1(VALU_DEP_1)
	v_and_b32_e32 v16, 0xffff0000, v16
	v_cndmask_b32_e32 v17, 0x7fc00000, v16, vcc_lo
	s_delay_alu instid0(VALU_DEP_1) | instskip(NEXT) | instid1(VALU_DEP_1)
	v_dual_max_f32 v16, v17, v17 :: v_dual_lshlrev_b32 v103, 16, v35
	v_max_f32_e32 v116, v103, v103
	v_cmp_u_f32_e32 vcc_lo, v17, v17
	v_cmp_u_f32_e64 s16, v103, v103
	s_delay_alu instid0(VALU_DEP_3) | instskip(SKIP_1) | instid1(VALU_DEP_2)
	v_min_f32_e32 v22, v16, v116
	v_max_f32_e32 v16, v16, v116
	v_cndmask_b32_e32 v22, v22, v17, vcc_lo
	s_delay_alu instid0(VALU_DEP_2) | instskip(NEXT) | instid1(VALU_DEP_2)
	v_cndmask_b32_e32 v16, v16, v17, vcc_lo
	v_cndmask_b32_e64 v22, v22, v103, s16
	s_delay_alu instid0(VALU_DEP_2) | instskip(NEXT) | instid1(VALU_DEP_2)
	v_cndmask_b32_e64 v16, v16, v103, s16
	v_cmp_class_f32_e64 s17, v22, 0x1f8
	s_delay_alu instid0(VALU_DEP_2) | instskip(NEXT) | instid1(VALU_DEP_2)
	v_cmp_neq_f32_e32 vcc_lo, v22, v16
	s_or_b32 s18, vcc_lo, s17
	s_delay_alu instid0(SALU_CYCLE_1)
	s_and_saveexec_b32 s17, s18
	s_cbranch_execz .LBB481_79
; %bb.78:
	v_sub_f32_e32 v17, v22, v16
	s_mov_b32 s18, 0x3e9b6dac
	s_delay_alu instid0(VALU_DEP_1) | instskip(SKIP_1) | instid1(VALU_DEP_2)
	v_mul_f32_e32 v22, 0x3fb8aa3b, v17
	v_cmp_ngt_f32_e32 vcc_lo, 0xc2ce8ed0, v17
	v_fma_f32 v23, 0x3fb8aa3b, v17, -v22
	v_rndne_f32_e32 v113, v22
	s_delay_alu instid0(VALU_DEP_1) | instskip(NEXT) | instid1(VALU_DEP_1)
	v_dual_fmamk_f32 v23, v17, 0x32a5705f, v23 :: v_dual_sub_f32 v22, v22, v113
	v_add_f32_e32 v22, v22, v23
	v_cvt_i32_f32_e32 v23, v113
	s_delay_alu instid0(VALU_DEP_2) | instskip(SKIP_2) | instid1(VALU_DEP_1)
	v_exp_f32_e32 v22, v22
	s_waitcnt_depctr 0xfff
	v_ldexp_f32 v22, v22, v23
	v_cndmask_b32_e32 v22, 0, v22, vcc_lo
	v_cmp_nlt_f32_e32 vcc_lo, 0x42b17218, v17
	s_delay_alu instid0(VALU_DEP_2) | instskip(NEXT) | instid1(VALU_DEP_1)
	v_cndmask_b32_e32 v17, 0x7f800000, v22, vcc_lo
	v_add_f32_e32 v113, 1.0, v17
	s_delay_alu instid0(VALU_DEP_1) | instskip(NEXT) | instid1(VALU_DEP_1)
	v_cvt_f64_f32_e32 v[22:23], v113
	v_frexp_exp_i32_f64_e32 v22, v[22:23]
	v_frexp_mant_f32_e32 v23, v113
	s_delay_alu instid0(VALU_DEP_1) | instskip(SKIP_1) | instid1(VALU_DEP_1)
	v_cmp_gt_f32_e32 vcc_lo, 0x3f2aaaab, v23
	v_add_f32_e32 v23, -1.0, v113
	v_sub_f32_e32 v117, v23, v113
	s_delay_alu instid0(VALU_DEP_1) | instskip(SKIP_1) | instid1(VALU_DEP_1)
	v_add_f32_e32 v117, 1.0, v117
	v_subrev_co_ci_u32_e32 v22, vcc_lo, 0, v22, vcc_lo
	v_sub_nc_u32_e32 v115, 0, v22
	v_cvt_f32_i32_e32 v22, v22
	s_delay_alu instid0(VALU_DEP_2) | instskip(NEXT) | instid1(VALU_DEP_1)
	v_ldexp_f32 v113, v113, v115
	v_dual_add_f32 v118, 1.0, v113 :: v_dual_sub_f32 v23, v17, v23
	v_cmp_eq_f32_e32 vcc_lo, 0x7f800000, v17
	s_delay_alu instid0(VALU_DEP_2) | instskip(NEXT) | instid1(VALU_DEP_3)
	v_add_f32_e32 v23, v23, v117
	v_add_f32_e32 v117, -1.0, v118
	s_delay_alu instid0(VALU_DEP_2) | instskip(SKIP_1) | instid1(VALU_DEP_3)
	v_ldexp_f32 v23, v23, v115
	v_add_f32_e32 v115, -1.0, v113
	v_sub_f32_e32 v117, v113, v117
	s_delay_alu instid0(VALU_DEP_2) | instskip(NEXT) | instid1(VALU_DEP_2)
	v_add_f32_e32 v119, 1.0, v115
	v_add_f32_e32 v117, v23, v117
	s_delay_alu instid0(VALU_DEP_2) | instskip(NEXT) | instid1(VALU_DEP_2)
	v_sub_f32_e32 v113, v113, v119
	v_add_f32_e32 v119, v118, v117
	s_delay_alu instid0(VALU_DEP_2) | instskip(NEXT) | instid1(VALU_DEP_2)
	v_add_f32_e32 v23, v23, v113
	v_rcp_f32_e32 v113, v119
	v_sub_f32_e32 v118, v118, v119
	s_delay_alu instid0(VALU_DEP_1) | instskip(NEXT) | instid1(VALU_DEP_1)
	v_dual_add_f32 v128, v115, v23 :: v_dual_add_f32 v117, v117, v118
	v_sub_f32_e32 v115, v115, v128
	s_waitcnt_depctr 0xfff
	v_mul_f32_e32 v129, v128, v113
	v_add_f32_e32 v23, v23, v115
	s_delay_alu instid0(VALU_DEP_2) | instskip(NEXT) | instid1(VALU_DEP_1)
	v_mul_f32_e32 v130, v119, v129
	v_fma_f32 v118, v129, v119, -v130
	s_delay_alu instid0(VALU_DEP_1) | instskip(NEXT) | instid1(VALU_DEP_1)
	v_fmac_f32_e32 v118, v129, v117
	v_add_f32_e32 v131, v130, v118
	s_delay_alu instid0(VALU_DEP_1) | instskip(NEXT) | instid1(VALU_DEP_1)
	v_dual_sub_f32 v132, v128, v131 :: v_dual_sub_f32 v115, v131, v130
	v_dual_sub_f32 v128, v128, v132 :: v_dual_sub_f32 v115, v115, v118
	s_delay_alu instid0(VALU_DEP_1) | instskip(NEXT) | instid1(VALU_DEP_1)
	v_sub_f32_e32 v128, v128, v131
	v_add_f32_e32 v23, v23, v128
	s_delay_alu instid0(VALU_DEP_1) | instskip(NEXT) | instid1(VALU_DEP_1)
	v_add_f32_e32 v23, v115, v23
	v_add_f32_e32 v115, v132, v23
	s_delay_alu instid0(VALU_DEP_1) | instskip(NEXT) | instid1(VALU_DEP_1)
	v_mul_f32_e32 v118, v113, v115
	v_dual_sub_f32 v131, v132, v115 :: v_dual_mul_f32 v128, v119, v118
	s_delay_alu instid0(VALU_DEP_1) | instskip(NEXT) | instid1(VALU_DEP_2)
	v_add_f32_e32 v23, v23, v131
	v_fma_f32 v119, v118, v119, -v128
	s_delay_alu instid0(VALU_DEP_1) | instskip(NEXT) | instid1(VALU_DEP_1)
	v_fmac_f32_e32 v119, v118, v117
	v_add_f32_e32 v117, v128, v119
	s_delay_alu instid0(VALU_DEP_1) | instskip(NEXT) | instid1(VALU_DEP_1)
	v_sub_f32_e32 v130, v115, v117
	v_dual_sub_f32 v128, v117, v128 :: v_dual_sub_f32 v115, v115, v130
	s_delay_alu instid0(VALU_DEP_1) | instskip(NEXT) | instid1(VALU_DEP_2)
	v_sub_f32_e32 v115, v115, v117
	v_sub_f32_e32 v117, v128, v119
	s_delay_alu instid0(VALU_DEP_2) | instskip(SKIP_1) | instid1(VALU_DEP_2)
	v_add_f32_e32 v23, v23, v115
	v_add_f32_e32 v115, v129, v118
	v_add_f32_e32 v23, v117, v23
	s_delay_alu instid0(VALU_DEP_2) | instskip(NEXT) | instid1(VALU_DEP_2)
	v_sub_f32_e32 v117, v115, v129
	v_add_f32_e32 v23, v130, v23
	s_delay_alu instid0(VALU_DEP_2) | instskip(NEXT) | instid1(VALU_DEP_2)
	v_sub_f32_e32 v117, v118, v117
	v_mul_f32_e32 v23, v113, v23
	s_delay_alu instid0(VALU_DEP_1) | instskip(NEXT) | instid1(VALU_DEP_1)
	v_add_f32_e32 v23, v117, v23
	v_add_f32_e32 v113, v115, v23
	s_delay_alu instid0(VALU_DEP_1) | instskip(NEXT) | instid1(VALU_DEP_1)
	v_mul_f32_e32 v117, v113, v113
	v_fmaak_f32 v118, s18, v117, 0x3ecc95a3
	v_mul_f32_e32 v119, v113, v117
	v_cmp_gt_f32_e64 s18, 0x33800000, |v17|
	s_delay_alu instid0(VALU_DEP_3) | instskip(SKIP_2) | instid1(VALU_DEP_4)
	v_fmaak_f32 v117, v117, v118, 0x3f2aaada
	v_ldexp_f32 v118, v113, 1
	v_sub_f32_e32 v113, v113, v115
	s_or_b32 vcc_lo, vcc_lo, s18
	s_delay_alu instid0(VALU_DEP_3) | instskip(SKIP_1) | instid1(VALU_DEP_3)
	v_mul_f32_e32 v117, v119, v117
	v_mul_f32_e32 v119, 0x3f317218, v22
	v_sub_f32_e32 v23, v23, v113
	s_delay_alu instid0(VALU_DEP_3) | instskip(NEXT) | instid1(VALU_DEP_2)
	v_add_f32_e32 v115, v118, v117
	v_ldexp_f32 v23, v23, 1
	s_delay_alu instid0(VALU_DEP_2) | instskip(SKIP_1) | instid1(VALU_DEP_1)
	v_sub_f32_e32 v113, v115, v118
	v_fma_f32 v118, 0x3f317218, v22, -v119
	v_dual_sub_f32 v113, v117, v113 :: v_dual_fmamk_f32 v22, v22, 0xb102e308, v118
	s_delay_alu instid0(VALU_DEP_1) | instskip(NEXT) | instid1(VALU_DEP_2)
	v_add_f32_e32 v23, v23, v113
	v_add_f32_e32 v113, v119, v22
	s_delay_alu instid0(VALU_DEP_2) | instskip(NEXT) | instid1(VALU_DEP_2)
	v_add_f32_e32 v117, v115, v23
	v_sub_f32_e32 v119, v113, v119
	s_delay_alu instid0(VALU_DEP_2) | instskip(SKIP_1) | instid1(VALU_DEP_3)
	v_add_f32_e32 v118, v113, v117
	v_sub_f32_e32 v115, v117, v115
	v_sub_f32_e32 v22, v22, v119
	s_delay_alu instid0(VALU_DEP_2) | instskip(NEXT) | instid1(VALU_DEP_1)
	v_dual_sub_f32 v128, v118, v113 :: v_dual_sub_f32 v23, v23, v115
	v_sub_f32_e32 v129, v118, v128
	v_sub_f32_e32 v115, v117, v128
	s_delay_alu instid0(VALU_DEP_3) | instskip(NEXT) | instid1(VALU_DEP_3)
	v_add_f32_e32 v117, v22, v23
	v_sub_f32_e32 v113, v113, v129
	s_delay_alu instid0(VALU_DEP_1) | instskip(NEXT) | instid1(VALU_DEP_3)
	v_add_f32_e32 v113, v115, v113
	v_sub_f32_e32 v115, v117, v22
	s_delay_alu instid0(VALU_DEP_2) | instskip(NEXT) | instid1(VALU_DEP_2)
	v_add_f32_e32 v113, v117, v113
	v_sub_f32_e32 v117, v117, v115
	v_sub_f32_e32 v23, v23, v115
	s_delay_alu instid0(VALU_DEP_3) | instskip(NEXT) | instid1(VALU_DEP_1)
	v_add_f32_e32 v119, v118, v113
	v_dual_sub_f32 v22, v22, v117 :: v_dual_sub_f32 v115, v119, v118
	s_delay_alu instid0(VALU_DEP_1) | instskip(NEXT) | instid1(VALU_DEP_1)
	v_dual_add_f32 v22, v23, v22 :: v_dual_sub_f32 v23, v113, v115
	v_add_f32_e32 v22, v22, v23
	s_delay_alu instid0(VALU_DEP_1) | instskip(NEXT) | instid1(VALU_DEP_1)
	v_add_f32_e32 v22, v119, v22
	v_cndmask_b32_e32 v17, v22, v17, vcc_lo
	s_delay_alu instid0(VALU_DEP_1)
	v_add_f32_e32 v17, v16, v17
.LBB481_79:
	s_or_b32 exec_lo, exec_lo, s17
	s_delay_alu instid0(VALU_DEP_1) | instskip(SKIP_1) | instid1(VALU_DEP_2)
	v_bfe_u32 v16, v17, 16, 1
	v_cmp_o_f32_e32 vcc_lo, v17, v17
	v_add3_u32 v16, v17, v16, 0x7fff
	s_delay_alu instid0(VALU_DEP_1) | instskip(NEXT) | instid1(VALU_DEP_1)
	v_and_b32_e32 v16, 0xffff0000, v16
	v_cndmask_b32_e32 v17, 0x7fc00000, v16, vcc_lo
	s_delay_alu instid0(VALU_DEP_1) | instskip(NEXT) | instid1(VALU_DEP_1)
	v_dual_max_f32 v16, v17, v17 :: v_dual_lshlrev_b32 v113, 16, v34
	v_max_f32_e32 v118, v113, v113
	v_cmp_u_f32_e32 vcc_lo, v17, v17
	v_cmp_u_f32_e64 s17, v113, v113
	s_delay_alu instid0(VALU_DEP_3) | instskip(SKIP_1) | instid1(VALU_DEP_2)
	v_min_f32_e32 v22, v16, v118
	v_max_f32_e32 v16, v16, v118
	v_cndmask_b32_e32 v22, v22, v17, vcc_lo
	s_delay_alu instid0(VALU_DEP_2) | instskip(NEXT) | instid1(VALU_DEP_2)
	v_cndmask_b32_e32 v16, v16, v17, vcc_lo
	v_cndmask_b32_e64 v22, v22, v113, s17
	s_delay_alu instid0(VALU_DEP_2) | instskip(NEXT) | instid1(VALU_DEP_2)
	v_cndmask_b32_e64 v16, v16, v113, s17
	v_cmp_class_f32_e64 s18, v22, 0x1f8
	s_delay_alu instid0(VALU_DEP_2) | instskip(NEXT) | instid1(VALU_DEP_2)
	v_cmp_neq_f32_e32 vcc_lo, v22, v16
	s_or_b32 s19, vcc_lo, s18
	s_delay_alu instid0(SALU_CYCLE_1)
	s_and_saveexec_b32 s18, s19
	s_cbranch_execz .LBB481_81
; %bb.80:
	v_sub_f32_e32 v17, v22, v16
	s_mov_b32 s19, 0x3e9b6dac
	s_delay_alu instid0(VALU_DEP_1) | instskip(SKIP_1) | instid1(VALU_DEP_2)
	v_mul_f32_e32 v22, 0x3fb8aa3b, v17
	v_cmp_ngt_f32_e32 vcc_lo, 0xc2ce8ed0, v17
	v_fma_f32 v23, 0x3fb8aa3b, v17, -v22
	v_rndne_f32_e32 v115, v22
	s_delay_alu instid0(VALU_DEP_1) | instskip(NEXT) | instid1(VALU_DEP_1)
	v_dual_fmamk_f32 v23, v17, 0x32a5705f, v23 :: v_dual_sub_f32 v22, v22, v115
	v_add_f32_e32 v22, v22, v23
	v_cvt_i32_f32_e32 v23, v115
	s_delay_alu instid0(VALU_DEP_2) | instskip(SKIP_2) | instid1(VALU_DEP_1)
	v_exp_f32_e32 v22, v22
	s_waitcnt_depctr 0xfff
	v_ldexp_f32 v22, v22, v23
	v_cndmask_b32_e32 v22, 0, v22, vcc_lo
	v_cmp_nlt_f32_e32 vcc_lo, 0x42b17218, v17
	s_delay_alu instid0(VALU_DEP_2) | instskip(NEXT) | instid1(VALU_DEP_1)
	v_cndmask_b32_e32 v17, 0x7f800000, v22, vcc_lo
	v_add_f32_e32 v115, 1.0, v17
	s_delay_alu instid0(VALU_DEP_1) | instskip(NEXT) | instid1(VALU_DEP_1)
	v_cvt_f64_f32_e32 v[22:23], v115
	v_frexp_exp_i32_f64_e32 v22, v[22:23]
	v_frexp_mant_f32_e32 v23, v115
	s_delay_alu instid0(VALU_DEP_1) | instskip(SKIP_1) | instid1(VALU_DEP_1)
	v_cmp_gt_f32_e32 vcc_lo, 0x3f2aaaab, v23
	v_add_f32_e32 v23, -1.0, v115
	v_sub_f32_e32 v119, v23, v115
	s_delay_alu instid0(VALU_DEP_1) | instskip(SKIP_1) | instid1(VALU_DEP_1)
	v_add_f32_e32 v119, 1.0, v119
	v_subrev_co_ci_u32_e32 v22, vcc_lo, 0, v22, vcc_lo
	v_sub_nc_u32_e32 v117, 0, v22
	v_cvt_f32_i32_e32 v22, v22
	s_delay_alu instid0(VALU_DEP_2) | instskip(NEXT) | instid1(VALU_DEP_1)
	v_ldexp_f32 v115, v115, v117
	v_add_f32_e32 v128, 1.0, v115
	v_sub_f32_e32 v23, v17, v23
	v_cmp_eq_f32_e32 vcc_lo, 0x7f800000, v17
	s_delay_alu instid0(VALU_DEP_2) | instskip(NEXT) | instid1(VALU_DEP_1)
	v_add_f32_e32 v23, v23, v119
	v_ldexp_f32 v23, v23, v117
	v_add_f32_e32 v117, -1.0, v115
	v_add_f32_e32 v119, -1.0, v128
	s_delay_alu instid0(VALU_DEP_2) | instskip(NEXT) | instid1(VALU_DEP_2)
	v_add_f32_e32 v129, 1.0, v117
	v_sub_f32_e32 v119, v115, v119
	s_delay_alu instid0(VALU_DEP_2) | instskip(NEXT) | instid1(VALU_DEP_2)
	v_sub_f32_e32 v115, v115, v129
	v_add_f32_e32 v119, v23, v119
	s_delay_alu instid0(VALU_DEP_2) | instskip(NEXT) | instid1(VALU_DEP_2)
	v_add_f32_e32 v23, v23, v115
	v_add_f32_e32 v129, v128, v119
	s_delay_alu instid0(VALU_DEP_2) | instskip(NEXT) | instid1(VALU_DEP_2)
	v_add_f32_e32 v130, v117, v23
	v_rcp_f32_e32 v115, v129
	s_delay_alu instid0(VALU_DEP_1) | instskip(NEXT) | instid1(VALU_DEP_1)
	v_dual_sub_f32 v128, v128, v129 :: v_dual_sub_f32 v117, v117, v130
	v_add_f32_e32 v119, v119, v128
	s_delay_alu instid0(VALU_DEP_2) | instskip(SKIP_2) | instid1(VALU_DEP_1)
	v_add_f32_e32 v23, v23, v117
	s_waitcnt_depctr 0xfff
	v_mul_f32_e32 v131, v130, v115
	v_mul_f32_e32 v132, v129, v131
	s_delay_alu instid0(VALU_DEP_1) | instskip(NEXT) | instid1(VALU_DEP_1)
	v_fma_f32 v128, v131, v129, -v132
	v_fmac_f32_e32 v128, v131, v119
	s_delay_alu instid0(VALU_DEP_1) | instskip(NEXT) | instid1(VALU_DEP_1)
	v_add_f32_e32 v133, v132, v128
	v_dual_sub_f32 v134, v130, v133 :: v_dual_sub_f32 v117, v133, v132
	s_delay_alu instid0(VALU_DEP_1) | instskip(NEXT) | instid1(VALU_DEP_1)
	v_dual_sub_f32 v130, v130, v134 :: v_dual_sub_f32 v117, v117, v128
	v_sub_f32_e32 v130, v130, v133
	s_delay_alu instid0(VALU_DEP_1) | instskip(NEXT) | instid1(VALU_DEP_1)
	v_add_f32_e32 v23, v23, v130
	v_add_f32_e32 v23, v117, v23
	s_delay_alu instid0(VALU_DEP_1) | instskip(NEXT) | instid1(VALU_DEP_1)
	v_add_f32_e32 v117, v134, v23
	v_mul_f32_e32 v128, v115, v117
	s_delay_alu instid0(VALU_DEP_1) | instskip(NEXT) | instid1(VALU_DEP_1)
	v_dual_sub_f32 v133, v134, v117 :: v_dual_mul_f32 v130, v129, v128
	v_add_f32_e32 v23, v23, v133
	s_delay_alu instid0(VALU_DEP_2) | instskip(NEXT) | instid1(VALU_DEP_1)
	v_fma_f32 v129, v128, v129, -v130
	v_fmac_f32_e32 v129, v128, v119
	s_delay_alu instid0(VALU_DEP_1) | instskip(NEXT) | instid1(VALU_DEP_1)
	v_add_f32_e32 v119, v130, v129
	v_sub_f32_e32 v132, v117, v119
	s_delay_alu instid0(VALU_DEP_1) | instskip(NEXT) | instid1(VALU_DEP_1)
	v_dual_sub_f32 v130, v119, v130 :: v_dual_sub_f32 v117, v117, v132
	v_sub_f32_e32 v117, v117, v119
	s_delay_alu instid0(VALU_DEP_2) | instskip(NEXT) | instid1(VALU_DEP_2)
	v_sub_f32_e32 v119, v130, v129
	v_add_f32_e32 v23, v23, v117
	v_add_f32_e32 v117, v131, v128
	s_delay_alu instid0(VALU_DEP_2) | instskip(NEXT) | instid1(VALU_DEP_2)
	v_add_f32_e32 v23, v119, v23
	v_sub_f32_e32 v119, v117, v131
	s_delay_alu instid0(VALU_DEP_2) | instskip(NEXT) | instid1(VALU_DEP_2)
	v_add_f32_e32 v23, v132, v23
	v_sub_f32_e32 v119, v128, v119
	s_delay_alu instid0(VALU_DEP_2) | instskip(NEXT) | instid1(VALU_DEP_1)
	v_mul_f32_e32 v23, v115, v23
	v_add_f32_e32 v23, v119, v23
	s_delay_alu instid0(VALU_DEP_1) | instskip(NEXT) | instid1(VALU_DEP_1)
	v_add_f32_e32 v115, v117, v23
	v_mul_f32_e32 v119, v115, v115
	s_delay_alu instid0(VALU_DEP_1) | instskip(SKIP_2) | instid1(VALU_DEP_3)
	v_fmaak_f32 v128, s19, v119, 0x3ecc95a3
	v_mul_f32_e32 v129, v115, v119
	v_cmp_gt_f32_e64 s19, 0x33800000, |v17|
	v_fmaak_f32 v119, v119, v128, 0x3f2aaada
	v_ldexp_f32 v128, v115, 1
	v_sub_f32_e32 v115, v115, v117
	s_delay_alu instid0(VALU_DEP_4) | instskip(NEXT) | instid1(VALU_DEP_3)
	s_or_b32 vcc_lo, vcc_lo, s19
	v_mul_f32_e32 v119, v129, v119
	v_mul_f32_e32 v129, 0x3f317218, v22
	s_delay_alu instid0(VALU_DEP_3) | instskip(NEXT) | instid1(VALU_DEP_3)
	v_sub_f32_e32 v23, v23, v115
	v_add_f32_e32 v117, v128, v119
	s_delay_alu instid0(VALU_DEP_2) | instskip(NEXT) | instid1(VALU_DEP_2)
	v_ldexp_f32 v23, v23, 1
	v_sub_f32_e32 v115, v117, v128
	v_fma_f32 v128, 0x3f317218, v22, -v129
	s_delay_alu instid0(VALU_DEP_1) | instskip(NEXT) | instid1(VALU_DEP_1)
	v_dual_sub_f32 v115, v119, v115 :: v_dual_fmamk_f32 v22, v22, 0xb102e308, v128
	v_add_f32_e32 v23, v23, v115
	s_delay_alu instid0(VALU_DEP_2) | instskip(NEXT) | instid1(VALU_DEP_2)
	v_add_f32_e32 v115, v129, v22
	v_add_f32_e32 v119, v117, v23
	s_delay_alu instid0(VALU_DEP_2) | instskip(NEXT) | instid1(VALU_DEP_2)
	v_sub_f32_e32 v129, v115, v129
	v_add_f32_e32 v128, v115, v119
	v_sub_f32_e32 v117, v119, v117
	s_delay_alu instid0(VALU_DEP_3) | instskip(NEXT) | instid1(VALU_DEP_2)
	v_sub_f32_e32 v22, v22, v129
	v_dual_sub_f32 v130, v128, v115 :: v_dual_sub_f32 v23, v23, v117
	s_delay_alu instid0(VALU_DEP_1) | instskip(SKIP_1) | instid1(VALU_DEP_3)
	v_sub_f32_e32 v131, v128, v130
	v_sub_f32_e32 v117, v119, v130
	v_add_f32_e32 v119, v22, v23
	s_delay_alu instid0(VALU_DEP_3) | instskip(NEXT) | instid1(VALU_DEP_1)
	v_sub_f32_e32 v115, v115, v131
	v_add_f32_e32 v115, v117, v115
	s_delay_alu instid0(VALU_DEP_3) | instskip(NEXT) | instid1(VALU_DEP_2)
	v_sub_f32_e32 v117, v119, v22
	v_add_f32_e32 v115, v119, v115
	s_delay_alu instid0(VALU_DEP_2) | instskip(SKIP_1) | instid1(VALU_DEP_3)
	v_sub_f32_e32 v119, v119, v117
	v_sub_f32_e32 v23, v23, v117
	v_add_f32_e32 v129, v128, v115
	s_delay_alu instid0(VALU_DEP_1) | instskip(NEXT) | instid1(VALU_DEP_1)
	v_dual_sub_f32 v22, v22, v119 :: v_dual_sub_f32 v117, v129, v128
	v_add_f32_e32 v22, v23, v22
	s_delay_alu instid0(VALU_DEP_2) | instskip(NEXT) | instid1(VALU_DEP_1)
	v_sub_f32_e32 v23, v115, v117
	v_add_f32_e32 v22, v22, v23
	s_delay_alu instid0(VALU_DEP_1) | instskip(NEXT) | instid1(VALU_DEP_1)
	v_add_f32_e32 v22, v129, v22
	v_cndmask_b32_e32 v17, v22, v17, vcc_lo
	s_delay_alu instid0(VALU_DEP_1)
	v_add_f32_e32 v17, v16, v17
.LBB481_81:
	s_or_b32 exec_lo, exec_lo, s18
	s_delay_alu instid0(VALU_DEP_1) | instskip(SKIP_1) | instid1(VALU_DEP_2)
	v_bfe_u32 v16, v17, 16, 1
	v_cmp_o_f32_e32 vcc_lo, v17, v17
	v_add3_u32 v16, v17, v16, 0x7fff
	s_delay_alu instid0(VALU_DEP_1) | instskip(NEXT) | instid1(VALU_DEP_1)
	v_and_b32_e32 v16, 0xffff0000, v16
	v_cndmask_b32_e32 v17, 0x7fc00000, v16, vcc_lo
	s_delay_alu instid0(VALU_DEP_1) | instskip(SKIP_1) | instid1(VALU_DEP_1)
	v_max_f32_e32 v16, v17, v17
	v_lshlrev_b32_e32 v115, 16, v33
	v_max_f32_e32 v128, v115, v115
	v_cmp_u_f32_e32 vcc_lo, v17, v17
	s_delay_alu instid0(VALU_DEP_2) | instskip(SKIP_2) | instid1(VALU_DEP_3)
	v_min_f32_e32 v22, v16, v128
	v_max_f32_e32 v16, v16, v128
	v_cmp_u_f32_e64 s18, v115, v115
	v_cndmask_b32_e32 v22, v22, v17, vcc_lo
	s_delay_alu instid0(VALU_DEP_3) | instskip(NEXT) | instid1(VALU_DEP_2)
	v_cndmask_b32_e32 v16, v16, v17, vcc_lo
	v_cndmask_b32_e64 v22, v22, v115, s18
	s_delay_alu instid0(VALU_DEP_2) | instskip(NEXT) | instid1(VALU_DEP_2)
	v_cndmask_b32_e64 v16, v16, v115, s18
	v_cmp_class_f32_e64 s19, v22, 0x1f8
	s_delay_alu instid0(VALU_DEP_2) | instskip(NEXT) | instid1(VALU_DEP_2)
	v_cmp_neq_f32_e32 vcc_lo, v22, v16
	s_or_b32 s20, vcc_lo, s19
	s_delay_alu instid0(SALU_CYCLE_1)
	s_and_saveexec_b32 s19, s20
	s_cbranch_execz .LBB481_83
; %bb.82:
	v_sub_f32_e32 v17, v22, v16
	s_mov_b32 s20, 0x3e9b6dac
	s_delay_alu instid0(VALU_DEP_1) | instskip(SKIP_1) | instid1(VALU_DEP_2)
	v_mul_f32_e32 v22, 0x3fb8aa3b, v17
	v_cmp_ngt_f32_e32 vcc_lo, 0xc2ce8ed0, v17
	v_fma_f32 v23, 0x3fb8aa3b, v17, -v22
	v_rndne_f32_e32 v117, v22
	s_delay_alu instid0(VALU_DEP_1) | instskip(NEXT) | instid1(VALU_DEP_1)
	v_dual_fmamk_f32 v23, v17, 0x32a5705f, v23 :: v_dual_sub_f32 v22, v22, v117
	v_add_f32_e32 v22, v22, v23
	v_cvt_i32_f32_e32 v23, v117
	s_delay_alu instid0(VALU_DEP_2) | instskip(SKIP_2) | instid1(VALU_DEP_1)
	v_exp_f32_e32 v22, v22
	s_waitcnt_depctr 0xfff
	v_ldexp_f32 v22, v22, v23
	v_cndmask_b32_e32 v22, 0, v22, vcc_lo
	v_cmp_nlt_f32_e32 vcc_lo, 0x42b17218, v17
	s_delay_alu instid0(VALU_DEP_2) | instskip(NEXT) | instid1(VALU_DEP_1)
	v_cndmask_b32_e32 v17, 0x7f800000, v22, vcc_lo
	v_add_f32_e32 v117, 1.0, v17
	s_delay_alu instid0(VALU_DEP_1) | instskip(NEXT) | instid1(VALU_DEP_1)
	v_cvt_f64_f32_e32 v[22:23], v117
	v_frexp_exp_i32_f64_e32 v22, v[22:23]
	v_frexp_mant_f32_e32 v23, v117
	s_delay_alu instid0(VALU_DEP_1) | instskip(SKIP_1) | instid1(VALU_DEP_1)
	v_cmp_gt_f32_e32 vcc_lo, 0x3f2aaaab, v23
	v_add_f32_e32 v23, -1.0, v117
	v_sub_f32_e32 v129, v23, v117
	s_delay_alu instid0(VALU_DEP_1) | instskip(SKIP_1) | instid1(VALU_DEP_1)
	v_add_f32_e32 v129, 1.0, v129
	v_subrev_co_ci_u32_e32 v22, vcc_lo, 0, v22, vcc_lo
	v_sub_nc_u32_e32 v119, 0, v22
	v_cvt_f32_i32_e32 v22, v22
	s_delay_alu instid0(VALU_DEP_2) | instskip(NEXT) | instid1(VALU_DEP_1)
	v_ldexp_f32 v117, v117, v119
	v_dual_add_f32 v130, 1.0, v117 :: v_dual_sub_f32 v23, v17, v23
	v_cmp_eq_f32_e32 vcc_lo, 0x7f800000, v17
	s_delay_alu instid0(VALU_DEP_2) | instskip(NEXT) | instid1(VALU_DEP_3)
	v_add_f32_e32 v23, v23, v129
	v_add_f32_e32 v129, -1.0, v130
	s_delay_alu instid0(VALU_DEP_2) | instskip(SKIP_1) | instid1(VALU_DEP_3)
	v_ldexp_f32 v23, v23, v119
	v_add_f32_e32 v119, -1.0, v117
	v_sub_f32_e32 v129, v117, v129
	s_delay_alu instid0(VALU_DEP_2) | instskip(NEXT) | instid1(VALU_DEP_2)
	v_add_f32_e32 v131, 1.0, v119
	v_add_f32_e32 v129, v23, v129
	s_delay_alu instid0(VALU_DEP_2) | instskip(NEXT) | instid1(VALU_DEP_2)
	v_sub_f32_e32 v117, v117, v131
	v_add_f32_e32 v131, v130, v129
	s_delay_alu instid0(VALU_DEP_2) | instskip(NEXT) | instid1(VALU_DEP_2)
	v_add_f32_e32 v23, v23, v117
	v_rcp_f32_e32 v117, v131
	v_sub_f32_e32 v130, v130, v131
	s_delay_alu instid0(VALU_DEP_1) | instskip(NEXT) | instid1(VALU_DEP_1)
	v_dual_add_f32 v132, v119, v23 :: v_dual_add_f32 v129, v129, v130
	v_sub_f32_e32 v119, v119, v132
	s_waitcnt_depctr 0xfff
	v_mul_f32_e32 v133, v132, v117
	v_add_f32_e32 v23, v23, v119
	s_delay_alu instid0(VALU_DEP_2) | instskip(NEXT) | instid1(VALU_DEP_1)
	v_mul_f32_e32 v134, v131, v133
	v_fma_f32 v130, v133, v131, -v134
	s_delay_alu instid0(VALU_DEP_1) | instskip(NEXT) | instid1(VALU_DEP_1)
	v_fmac_f32_e32 v130, v133, v129
	v_add_f32_e32 v135, v134, v130
	s_delay_alu instid0(VALU_DEP_1) | instskip(NEXT) | instid1(VALU_DEP_1)
	v_dual_sub_f32 v144, v132, v135 :: v_dual_sub_f32 v119, v135, v134
	v_dual_sub_f32 v132, v132, v144 :: v_dual_sub_f32 v119, v119, v130
	s_delay_alu instid0(VALU_DEP_1) | instskip(NEXT) | instid1(VALU_DEP_1)
	v_sub_f32_e32 v132, v132, v135
	v_add_f32_e32 v23, v23, v132
	s_delay_alu instid0(VALU_DEP_1) | instskip(NEXT) | instid1(VALU_DEP_1)
	v_add_f32_e32 v23, v119, v23
	v_add_f32_e32 v119, v144, v23
	s_delay_alu instid0(VALU_DEP_1) | instskip(NEXT) | instid1(VALU_DEP_1)
	v_mul_f32_e32 v130, v117, v119
	v_dual_sub_f32 v135, v144, v119 :: v_dual_mul_f32 v132, v131, v130
	s_delay_alu instid0(VALU_DEP_1) | instskip(NEXT) | instid1(VALU_DEP_2)
	v_add_f32_e32 v23, v23, v135
	v_fma_f32 v131, v130, v131, -v132
	s_delay_alu instid0(VALU_DEP_1) | instskip(NEXT) | instid1(VALU_DEP_1)
	v_fmac_f32_e32 v131, v130, v129
	v_add_f32_e32 v129, v132, v131
	s_delay_alu instid0(VALU_DEP_1) | instskip(NEXT) | instid1(VALU_DEP_1)
	v_sub_f32_e32 v134, v119, v129
	v_dual_sub_f32 v132, v129, v132 :: v_dual_sub_f32 v119, v119, v134
	s_delay_alu instid0(VALU_DEP_1) | instskip(NEXT) | instid1(VALU_DEP_2)
	v_sub_f32_e32 v119, v119, v129
	v_sub_f32_e32 v129, v132, v131
	s_delay_alu instid0(VALU_DEP_2) | instskip(SKIP_1) | instid1(VALU_DEP_2)
	v_add_f32_e32 v23, v23, v119
	v_add_f32_e32 v119, v133, v130
	;; [unrolled: 1-line block ×3, first 2 shown]
	s_delay_alu instid0(VALU_DEP_2) | instskip(NEXT) | instid1(VALU_DEP_2)
	v_sub_f32_e32 v129, v119, v133
	v_add_f32_e32 v23, v134, v23
	s_delay_alu instid0(VALU_DEP_2) | instskip(NEXT) | instid1(VALU_DEP_2)
	v_sub_f32_e32 v129, v130, v129
	v_mul_f32_e32 v23, v117, v23
	s_delay_alu instid0(VALU_DEP_1) | instskip(NEXT) | instid1(VALU_DEP_1)
	v_add_f32_e32 v23, v129, v23
	v_add_f32_e32 v117, v119, v23
	s_delay_alu instid0(VALU_DEP_1) | instskip(NEXT) | instid1(VALU_DEP_1)
	v_mul_f32_e32 v129, v117, v117
	v_fmaak_f32 v130, s20, v129, 0x3ecc95a3
	v_mul_f32_e32 v131, v117, v129
	v_cmp_gt_f32_e64 s20, 0x33800000, |v17|
	s_delay_alu instid0(VALU_DEP_3) | instskip(SKIP_2) | instid1(VALU_DEP_4)
	v_fmaak_f32 v129, v129, v130, 0x3f2aaada
	v_ldexp_f32 v130, v117, 1
	v_sub_f32_e32 v117, v117, v119
	s_or_b32 vcc_lo, vcc_lo, s20
	s_delay_alu instid0(VALU_DEP_3) | instskip(SKIP_1) | instid1(VALU_DEP_3)
	v_mul_f32_e32 v129, v131, v129
	v_mul_f32_e32 v131, 0x3f317218, v22
	v_sub_f32_e32 v23, v23, v117
	s_delay_alu instid0(VALU_DEP_3) | instskip(NEXT) | instid1(VALU_DEP_2)
	v_add_f32_e32 v119, v130, v129
	v_ldexp_f32 v23, v23, 1
	s_delay_alu instid0(VALU_DEP_2) | instskip(SKIP_1) | instid1(VALU_DEP_1)
	v_sub_f32_e32 v117, v119, v130
	v_fma_f32 v130, 0x3f317218, v22, -v131
	v_dual_sub_f32 v117, v129, v117 :: v_dual_fmamk_f32 v22, v22, 0xb102e308, v130
	s_delay_alu instid0(VALU_DEP_1) | instskip(NEXT) | instid1(VALU_DEP_2)
	v_add_f32_e32 v23, v23, v117
	v_add_f32_e32 v117, v131, v22
	s_delay_alu instid0(VALU_DEP_2) | instskip(NEXT) | instid1(VALU_DEP_2)
	v_add_f32_e32 v129, v119, v23
	v_sub_f32_e32 v131, v117, v131
	s_delay_alu instid0(VALU_DEP_2) | instskip(SKIP_1) | instid1(VALU_DEP_3)
	v_add_f32_e32 v130, v117, v129
	v_sub_f32_e32 v119, v129, v119
	v_sub_f32_e32 v22, v22, v131
	s_delay_alu instid0(VALU_DEP_2) | instskip(NEXT) | instid1(VALU_DEP_1)
	v_dual_sub_f32 v132, v130, v117 :: v_dual_sub_f32 v23, v23, v119
	v_sub_f32_e32 v133, v130, v132
	v_sub_f32_e32 v119, v129, v132
	s_delay_alu instid0(VALU_DEP_3) | instskip(NEXT) | instid1(VALU_DEP_3)
	v_add_f32_e32 v129, v22, v23
	v_sub_f32_e32 v117, v117, v133
	s_delay_alu instid0(VALU_DEP_1) | instskip(NEXT) | instid1(VALU_DEP_3)
	v_add_f32_e32 v117, v119, v117
	v_sub_f32_e32 v119, v129, v22
	s_delay_alu instid0(VALU_DEP_2) | instskip(NEXT) | instid1(VALU_DEP_2)
	v_add_f32_e32 v117, v129, v117
	v_sub_f32_e32 v129, v129, v119
	v_sub_f32_e32 v23, v23, v119
	s_delay_alu instid0(VALU_DEP_3) | instskip(NEXT) | instid1(VALU_DEP_1)
	v_add_f32_e32 v131, v130, v117
	v_dual_sub_f32 v22, v22, v129 :: v_dual_sub_f32 v119, v131, v130
	s_delay_alu instid0(VALU_DEP_1) | instskip(NEXT) | instid1(VALU_DEP_1)
	v_dual_add_f32 v22, v23, v22 :: v_dual_sub_f32 v23, v117, v119
	v_add_f32_e32 v22, v22, v23
	s_delay_alu instid0(VALU_DEP_1) | instskip(NEXT) | instid1(VALU_DEP_1)
	v_add_f32_e32 v22, v131, v22
	v_cndmask_b32_e32 v17, v22, v17, vcc_lo
	s_delay_alu instid0(VALU_DEP_1)
	v_add_f32_e32 v17, v16, v17
.LBB481_83:
	s_or_b32 exec_lo, exec_lo, s19
	s_delay_alu instid0(VALU_DEP_1) | instskip(SKIP_1) | instid1(VALU_DEP_2)
	v_bfe_u32 v16, v17, 16, 1
	v_cmp_o_f32_e32 vcc_lo, v17, v17
	v_add3_u32 v16, v17, v16, 0x7fff
	s_delay_alu instid0(VALU_DEP_1) | instskip(NEXT) | instid1(VALU_DEP_1)
	v_and_b32_e32 v16, 0xffff0000, v16
	v_cndmask_b32_e32 v17, 0x7fc00000, v16, vcc_lo
	s_delay_alu instid0(VALU_DEP_1) | instskip(NEXT) | instid1(VALU_DEP_1)
	v_dual_max_f32 v16, v17, v17 :: v_dual_lshlrev_b32 v117, 16, v32
	v_max_f32_e32 v130, v117, v117
	v_cmp_u_f32_e32 vcc_lo, v17, v17
	v_cmp_u_f32_e64 s19, v117, v117
	s_delay_alu instid0(VALU_DEP_3) | instskip(SKIP_1) | instid1(VALU_DEP_2)
	v_min_f32_e32 v22, v16, v130
	v_max_f32_e32 v16, v16, v130
	v_cndmask_b32_e32 v22, v22, v17, vcc_lo
	s_delay_alu instid0(VALU_DEP_2) | instskip(NEXT) | instid1(VALU_DEP_2)
	v_cndmask_b32_e32 v16, v16, v17, vcc_lo
	v_cndmask_b32_e64 v22, v22, v117, s19
	s_delay_alu instid0(VALU_DEP_2) | instskip(NEXT) | instid1(VALU_DEP_2)
	v_cndmask_b32_e64 v16, v16, v117, s19
	v_cmp_class_f32_e64 s20, v22, 0x1f8
	s_delay_alu instid0(VALU_DEP_2) | instskip(NEXT) | instid1(VALU_DEP_2)
	v_cmp_neq_f32_e32 vcc_lo, v22, v16
	s_or_b32 s21, vcc_lo, s20
	s_delay_alu instid0(SALU_CYCLE_1)
	s_and_saveexec_b32 s20, s21
	s_cbranch_execz .LBB481_85
; %bb.84:
	v_sub_f32_e32 v17, v22, v16
	s_mov_b32 s21, 0x3e9b6dac
	s_delay_alu instid0(VALU_DEP_1) | instskip(SKIP_1) | instid1(VALU_DEP_2)
	v_mul_f32_e32 v22, 0x3fb8aa3b, v17
	v_cmp_ngt_f32_e32 vcc_lo, 0xc2ce8ed0, v17
	v_fma_f32 v23, 0x3fb8aa3b, v17, -v22
	v_rndne_f32_e32 v119, v22
	s_delay_alu instid0(VALU_DEP_1) | instskip(NEXT) | instid1(VALU_DEP_1)
	v_dual_fmamk_f32 v23, v17, 0x32a5705f, v23 :: v_dual_sub_f32 v22, v22, v119
	v_add_f32_e32 v22, v22, v23
	v_cvt_i32_f32_e32 v23, v119
	s_delay_alu instid0(VALU_DEP_2) | instskip(SKIP_2) | instid1(VALU_DEP_1)
	v_exp_f32_e32 v22, v22
	s_waitcnt_depctr 0xfff
	v_ldexp_f32 v22, v22, v23
	v_cndmask_b32_e32 v22, 0, v22, vcc_lo
	v_cmp_nlt_f32_e32 vcc_lo, 0x42b17218, v17
	s_delay_alu instid0(VALU_DEP_2) | instskip(NEXT) | instid1(VALU_DEP_1)
	v_cndmask_b32_e32 v17, 0x7f800000, v22, vcc_lo
	v_add_f32_e32 v119, 1.0, v17
	s_delay_alu instid0(VALU_DEP_1) | instskip(NEXT) | instid1(VALU_DEP_1)
	v_cvt_f64_f32_e32 v[22:23], v119
	v_frexp_exp_i32_f64_e32 v22, v[22:23]
	v_frexp_mant_f32_e32 v23, v119
	s_delay_alu instid0(VALU_DEP_1) | instskip(SKIP_1) | instid1(VALU_DEP_1)
	v_cmp_gt_f32_e32 vcc_lo, 0x3f2aaaab, v23
	v_add_f32_e32 v23, -1.0, v119
	v_sub_f32_e32 v131, v23, v119
	s_delay_alu instid0(VALU_DEP_1) | instskip(SKIP_1) | instid1(VALU_DEP_1)
	v_add_f32_e32 v131, 1.0, v131
	v_subrev_co_ci_u32_e32 v22, vcc_lo, 0, v22, vcc_lo
	v_sub_nc_u32_e32 v129, 0, v22
	v_cvt_f32_i32_e32 v22, v22
	s_delay_alu instid0(VALU_DEP_2) | instskip(NEXT) | instid1(VALU_DEP_1)
	v_ldexp_f32 v119, v119, v129
	v_add_f32_e32 v132, 1.0, v119
	v_sub_f32_e32 v23, v17, v23
	v_cmp_eq_f32_e32 vcc_lo, 0x7f800000, v17
	s_delay_alu instid0(VALU_DEP_2) | instskip(NEXT) | instid1(VALU_DEP_1)
	v_add_f32_e32 v23, v23, v131
	v_ldexp_f32 v23, v23, v129
	v_add_f32_e32 v129, -1.0, v119
	v_add_f32_e32 v131, -1.0, v132
	s_delay_alu instid0(VALU_DEP_2) | instskip(NEXT) | instid1(VALU_DEP_2)
	v_add_f32_e32 v133, 1.0, v129
	v_sub_f32_e32 v131, v119, v131
	s_delay_alu instid0(VALU_DEP_2) | instskip(NEXT) | instid1(VALU_DEP_2)
	v_sub_f32_e32 v119, v119, v133
	v_add_f32_e32 v131, v23, v131
	s_delay_alu instid0(VALU_DEP_2) | instskip(NEXT) | instid1(VALU_DEP_2)
	v_add_f32_e32 v23, v23, v119
	v_add_f32_e32 v133, v132, v131
	s_delay_alu instid0(VALU_DEP_2) | instskip(NEXT) | instid1(VALU_DEP_2)
	v_add_f32_e32 v134, v129, v23
	v_rcp_f32_e32 v119, v133
	v_sub_f32_e32 v132, v132, v133
	s_delay_alu instid0(VALU_DEP_1) | instskip(SKIP_2) | instid1(VALU_DEP_1)
	v_add_f32_e32 v131, v131, v132
	s_waitcnt_depctr 0xfff
	v_mul_f32_e32 v135, v134, v119
	v_mul_f32_e32 v144, v133, v135
	s_delay_alu instid0(VALU_DEP_1) | instskip(NEXT) | instid1(VALU_DEP_1)
	v_fma_f32 v132, v135, v133, -v144
	v_fmac_f32_e32 v132, v135, v131
	s_delay_alu instid0(VALU_DEP_1) | instskip(NEXT) | instid1(VALU_DEP_1)
	v_add_f32_e32 v147, v144, v132
	v_dual_sub_f32 v129, v129, v134 :: v_dual_sub_f32 v148, v134, v147
	s_delay_alu instid0(VALU_DEP_1) | instskip(NEXT) | instid1(VALU_DEP_1)
	v_sub_f32_e32 v134, v134, v148
	v_dual_sub_f32 v134, v134, v147 :: v_dual_add_f32 v23, v23, v129
	v_sub_f32_e32 v129, v147, v144
	s_delay_alu instid0(VALU_DEP_2) | instskip(NEXT) | instid1(VALU_DEP_2)
	v_add_f32_e32 v23, v23, v134
	v_sub_f32_e32 v129, v129, v132
	s_delay_alu instid0(VALU_DEP_1) | instskip(NEXT) | instid1(VALU_DEP_1)
	v_add_f32_e32 v23, v129, v23
	v_add_f32_e32 v129, v148, v23
	s_delay_alu instid0(VALU_DEP_1) | instskip(NEXT) | instid1(VALU_DEP_1)
	v_mul_f32_e32 v132, v119, v129
	v_dual_sub_f32 v147, v148, v129 :: v_dual_mul_f32 v134, v133, v132
	s_delay_alu instid0(VALU_DEP_1) | instskip(NEXT) | instid1(VALU_DEP_2)
	v_add_f32_e32 v23, v23, v147
	v_fma_f32 v133, v132, v133, -v134
	s_delay_alu instid0(VALU_DEP_1) | instskip(NEXT) | instid1(VALU_DEP_1)
	v_fmac_f32_e32 v133, v132, v131
	v_add_f32_e32 v131, v134, v133
	s_delay_alu instid0(VALU_DEP_1) | instskip(NEXT) | instid1(VALU_DEP_1)
	v_sub_f32_e32 v144, v129, v131
	v_dual_sub_f32 v134, v131, v134 :: v_dual_sub_f32 v129, v129, v144
	s_delay_alu instid0(VALU_DEP_1) | instskip(NEXT) | instid1(VALU_DEP_2)
	v_sub_f32_e32 v129, v129, v131
	v_sub_f32_e32 v131, v134, v133
	s_delay_alu instid0(VALU_DEP_2) | instskip(SKIP_1) | instid1(VALU_DEP_2)
	v_add_f32_e32 v23, v23, v129
	v_add_f32_e32 v129, v135, v132
	;; [unrolled: 1-line block ×3, first 2 shown]
	s_delay_alu instid0(VALU_DEP_2) | instskip(NEXT) | instid1(VALU_DEP_2)
	v_sub_f32_e32 v131, v129, v135
	v_add_f32_e32 v23, v144, v23
	s_delay_alu instid0(VALU_DEP_2) | instskip(NEXT) | instid1(VALU_DEP_2)
	v_sub_f32_e32 v131, v132, v131
	v_mul_f32_e32 v23, v119, v23
	s_delay_alu instid0(VALU_DEP_1) | instskip(NEXT) | instid1(VALU_DEP_1)
	v_add_f32_e32 v23, v131, v23
	v_add_f32_e32 v119, v129, v23
	s_delay_alu instid0(VALU_DEP_1) | instskip(NEXT) | instid1(VALU_DEP_1)
	v_mul_f32_e32 v131, v119, v119
	v_fmaak_f32 v132, s21, v131, 0x3ecc95a3
	v_mul_f32_e32 v133, v119, v131
	v_cmp_gt_f32_e64 s21, 0x33800000, |v17|
	s_delay_alu instid0(VALU_DEP_3) | instskip(SKIP_2) | instid1(VALU_DEP_4)
	v_fmaak_f32 v131, v131, v132, 0x3f2aaada
	v_ldexp_f32 v132, v119, 1
	v_sub_f32_e32 v119, v119, v129
	s_or_b32 vcc_lo, vcc_lo, s21
	s_delay_alu instid0(VALU_DEP_3) | instskip(SKIP_1) | instid1(VALU_DEP_3)
	v_mul_f32_e32 v131, v133, v131
	v_mul_f32_e32 v133, 0x3f317218, v22
	v_sub_f32_e32 v23, v23, v119
	s_delay_alu instid0(VALU_DEP_3) | instskip(NEXT) | instid1(VALU_DEP_2)
	v_add_f32_e32 v129, v132, v131
	v_ldexp_f32 v23, v23, 1
	s_delay_alu instid0(VALU_DEP_2) | instskip(SKIP_1) | instid1(VALU_DEP_1)
	v_sub_f32_e32 v119, v129, v132
	v_fma_f32 v132, 0x3f317218, v22, -v133
	v_dual_sub_f32 v119, v131, v119 :: v_dual_fmamk_f32 v22, v22, 0xb102e308, v132
	s_delay_alu instid0(VALU_DEP_1) | instskip(NEXT) | instid1(VALU_DEP_2)
	v_add_f32_e32 v23, v23, v119
	v_add_f32_e32 v119, v133, v22
	s_delay_alu instid0(VALU_DEP_2) | instskip(NEXT) | instid1(VALU_DEP_2)
	v_add_f32_e32 v131, v129, v23
	v_sub_f32_e32 v133, v119, v133
	s_delay_alu instid0(VALU_DEP_2) | instskip(SKIP_1) | instid1(VALU_DEP_3)
	v_add_f32_e32 v132, v119, v131
	v_sub_f32_e32 v129, v131, v129
	v_sub_f32_e32 v22, v22, v133
	s_delay_alu instid0(VALU_DEP_2) | instskip(NEXT) | instid1(VALU_DEP_1)
	v_dual_sub_f32 v134, v132, v119 :: v_dual_sub_f32 v23, v23, v129
	v_sub_f32_e32 v135, v132, v134
	v_sub_f32_e32 v129, v131, v134
	s_delay_alu instid0(VALU_DEP_3) | instskip(NEXT) | instid1(VALU_DEP_3)
	v_add_f32_e32 v131, v22, v23
	v_sub_f32_e32 v119, v119, v135
	s_delay_alu instid0(VALU_DEP_1) | instskip(NEXT) | instid1(VALU_DEP_3)
	v_add_f32_e32 v119, v129, v119
	v_sub_f32_e32 v129, v131, v22
	s_delay_alu instid0(VALU_DEP_2) | instskip(NEXT) | instid1(VALU_DEP_2)
	v_add_f32_e32 v119, v131, v119
	v_sub_f32_e32 v131, v131, v129
	v_sub_f32_e32 v23, v23, v129
	s_delay_alu instid0(VALU_DEP_3) | instskip(NEXT) | instid1(VALU_DEP_1)
	v_add_f32_e32 v133, v132, v119
	v_dual_sub_f32 v22, v22, v131 :: v_dual_sub_f32 v129, v133, v132
	s_delay_alu instid0(VALU_DEP_1) | instskip(NEXT) | instid1(VALU_DEP_2)
	v_add_f32_e32 v22, v23, v22
	v_sub_f32_e32 v23, v119, v129
	s_delay_alu instid0(VALU_DEP_1) | instskip(NEXT) | instid1(VALU_DEP_1)
	v_add_f32_e32 v22, v22, v23
	v_add_f32_e32 v22, v133, v22
	s_delay_alu instid0(VALU_DEP_1) | instskip(NEXT) | instid1(VALU_DEP_1)
	v_cndmask_b32_e32 v17, v22, v17, vcc_lo
	v_add_f32_e32 v17, v16, v17
.LBB481_85:
	s_or_b32 exec_lo, exec_lo, s20
	s_delay_alu instid0(VALU_DEP_1) | instskip(SKIP_1) | instid1(VALU_DEP_2)
	v_bfe_u32 v16, v17, 16, 1
	v_cmp_o_f32_e32 vcc_lo, v17, v17
	v_add3_u32 v16, v17, v16, 0x7fff
	s_delay_alu instid0(VALU_DEP_1) | instskip(NEXT) | instid1(VALU_DEP_1)
	v_and_b32_e32 v16, 0xffff0000, v16
	v_cndmask_b32_e32 v17, 0x7fc00000, v16, vcc_lo
	s_delay_alu instid0(VALU_DEP_1) | instskip(NEXT) | instid1(VALU_DEP_1)
	v_dual_max_f32 v16, v17, v17 :: v_dual_lshlrev_b32 v119, 16, v31
	v_max_f32_e32 v132, v119, v119
	v_cmp_u_f32_e32 vcc_lo, v17, v17
	v_cmp_u_f32_e64 s20, v119, v119
	s_delay_alu instid0(VALU_DEP_3) | instskip(SKIP_1) | instid1(VALU_DEP_2)
	v_min_f32_e32 v22, v16, v132
	v_max_f32_e32 v16, v16, v132
	v_cndmask_b32_e32 v22, v22, v17, vcc_lo
	s_delay_alu instid0(VALU_DEP_2) | instskip(NEXT) | instid1(VALU_DEP_2)
	v_cndmask_b32_e32 v16, v16, v17, vcc_lo
	v_cndmask_b32_e64 v22, v22, v119, s20
	s_delay_alu instid0(VALU_DEP_2) | instskip(NEXT) | instid1(VALU_DEP_2)
	v_cndmask_b32_e64 v16, v16, v119, s20
	v_cmp_class_f32_e64 s21, v22, 0x1f8
	s_delay_alu instid0(VALU_DEP_2) | instskip(NEXT) | instid1(VALU_DEP_2)
	v_cmp_neq_f32_e32 vcc_lo, v22, v16
	s_or_b32 s22, vcc_lo, s21
	s_delay_alu instid0(SALU_CYCLE_1)
	s_and_saveexec_b32 s21, s22
	s_cbranch_execz .LBB481_87
; %bb.86:
	v_sub_f32_e32 v17, v22, v16
	s_mov_b32 s22, 0x3e9b6dac
	s_delay_alu instid0(VALU_DEP_1) | instskip(SKIP_1) | instid1(VALU_DEP_2)
	v_mul_f32_e32 v22, 0x3fb8aa3b, v17
	v_cmp_ngt_f32_e32 vcc_lo, 0xc2ce8ed0, v17
	v_fma_f32 v23, 0x3fb8aa3b, v17, -v22
	v_rndne_f32_e32 v129, v22
	s_delay_alu instid0(VALU_DEP_1) | instskip(NEXT) | instid1(VALU_DEP_1)
	v_dual_fmamk_f32 v23, v17, 0x32a5705f, v23 :: v_dual_sub_f32 v22, v22, v129
	v_add_f32_e32 v22, v22, v23
	v_cvt_i32_f32_e32 v23, v129
	s_delay_alu instid0(VALU_DEP_2) | instskip(SKIP_2) | instid1(VALU_DEP_1)
	v_exp_f32_e32 v22, v22
	s_waitcnt_depctr 0xfff
	v_ldexp_f32 v22, v22, v23
	v_cndmask_b32_e32 v22, 0, v22, vcc_lo
	v_cmp_nlt_f32_e32 vcc_lo, 0x42b17218, v17
	s_delay_alu instid0(VALU_DEP_2) | instskip(NEXT) | instid1(VALU_DEP_1)
	v_cndmask_b32_e32 v17, 0x7f800000, v22, vcc_lo
	v_add_f32_e32 v129, 1.0, v17
	s_delay_alu instid0(VALU_DEP_1) | instskip(NEXT) | instid1(VALU_DEP_1)
	v_cvt_f64_f32_e32 v[22:23], v129
	v_frexp_exp_i32_f64_e32 v22, v[22:23]
	v_frexp_mant_f32_e32 v23, v129
	s_delay_alu instid0(VALU_DEP_1) | instskip(SKIP_1) | instid1(VALU_DEP_1)
	v_cmp_gt_f32_e32 vcc_lo, 0x3f2aaaab, v23
	v_add_f32_e32 v23, -1.0, v129
	v_sub_f32_e32 v133, v23, v129
	s_delay_alu instid0(VALU_DEP_1) | instskip(SKIP_1) | instid1(VALU_DEP_1)
	v_add_f32_e32 v133, 1.0, v133
	v_subrev_co_ci_u32_e32 v22, vcc_lo, 0, v22, vcc_lo
	v_sub_nc_u32_e32 v131, 0, v22
	v_cvt_f32_i32_e32 v22, v22
	s_delay_alu instid0(VALU_DEP_2) | instskip(NEXT) | instid1(VALU_DEP_1)
	v_ldexp_f32 v129, v129, v131
	v_dual_add_f32 v134, 1.0, v129 :: v_dual_sub_f32 v23, v17, v23
	v_cmp_eq_f32_e32 vcc_lo, 0x7f800000, v17
	s_delay_alu instid0(VALU_DEP_2) | instskip(NEXT) | instid1(VALU_DEP_3)
	v_add_f32_e32 v23, v23, v133
	v_add_f32_e32 v133, -1.0, v134
	s_delay_alu instid0(VALU_DEP_2) | instskip(SKIP_1) | instid1(VALU_DEP_3)
	v_ldexp_f32 v23, v23, v131
	v_add_f32_e32 v131, -1.0, v129
	v_sub_f32_e32 v133, v129, v133
	s_delay_alu instid0(VALU_DEP_2) | instskip(NEXT) | instid1(VALU_DEP_2)
	v_add_f32_e32 v135, 1.0, v131
	v_add_f32_e32 v133, v23, v133
	s_delay_alu instid0(VALU_DEP_2) | instskip(NEXT) | instid1(VALU_DEP_2)
	v_sub_f32_e32 v129, v129, v135
	v_add_f32_e32 v135, v134, v133
	s_delay_alu instid0(VALU_DEP_2) | instskip(NEXT) | instid1(VALU_DEP_2)
	v_add_f32_e32 v23, v23, v129
	v_rcp_f32_e32 v129, v135
	v_sub_f32_e32 v134, v134, v135
	s_delay_alu instid0(VALU_DEP_1) | instskip(NEXT) | instid1(VALU_DEP_1)
	v_dual_add_f32 v144, v131, v23 :: v_dual_add_f32 v133, v133, v134
	v_sub_f32_e32 v131, v131, v144
	s_waitcnt_depctr 0xfff
	v_mul_f32_e32 v147, v144, v129
	v_add_f32_e32 v23, v23, v131
	s_delay_alu instid0(VALU_DEP_2) | instskip(NEXT) | instid1(VALU_DEP_1)
	v_mul_f32_e32 v148, v135, v147
	v_fma_f32 v134, v147, v135, -v148
	s_delay_alu instid0(VALU_DEP_1) | instskip(NEXT) | instid1(VALU_DEP_1)
	v_fmac_f32_e32 v134, v147, v133
	v_add_f32_e32 v149, v148, v134
	s_delay_alu instid0(VALU_DEP_1) | instskip(NEXT) | instid1(VALU_DEP_1)
	v_dual_sub_f32 v150, v144, v149 :: v_dual_sub_f32 v131, v149, v148
	v_sub_f32_e32 v144, v144, v150
	s_delay_alu instid0(VALU_DEP_1) | instskip(NEXT) | instid1(VALU_DEP_1)
	v_dual_sub_f32 v131, v131, v134 :: v_dual_sub_f32 v144, v144, v149
	v_add_f32_e32 v23, v23, v144
	s_delay_alu instid0(VALU_DEP_1) | instskip(NEXT) | instid1(VALU_DEP_1)
	v_add_f32_e32 v23, v131, v23
	v_add_f32_e32 v131, v150, v23
	s_delay_alu instid0(VALU_DEP_1) | instskip(NEXT) | instid1(VALU_DEP_1)
	v_mul_f32_e32 v134, v129, v131
	v_dual_sub_f32 v149, v150, v131 :: v_dual_mul_f32 v144, v135, v134
	s_delay_alu instid0(VALU_DEP_1) | instskip(NEXT) | instid1(VALU_DEP_2)
	v_add_f32_e32 v23, v23, v149
	v_fma_f32 v135, v134, v135, -v144
	s_delay_alu instid0(VALU_DEP_1) | instskip(NEXT) | instid1(VALU_DEP_1)
	v_fmac_f32_e32 v135, v134, v133
	v_add_f32_e32 v133, v144, v135
	s_delay_alu instid0(VALU_DEP_1) | instskip(SKIP_1) | instid1(VALU_DEP_2)
	v_sub_f32_e32 v148, v131, v133
	v_sub_f32_e32 v144, v133, v144
	;; [unrolled: 1-line block ×3, first 2 shown]
	s_delay_alu instid0(VALU_DEP_1) | instskip(NEXT) | instid1(VALU_DEP_3)
	v_sub_f32_e32 v131, v131, v133
	v_sub_f32_e32 v133, v144, v135
	s_delay_alu instid0(VALU_DEP_2) | instskip(SKIP_1) | instid1(VALU_DEP_2)
	v_add_f32_e32 v23, v23, v131
	v_add_f32_e32 v131, v147, v134
	;; [unrolled: 1-line block ×3, first 2 shown]
	s_delay_alu instid0(VALU_DEP_2) | instskip(NEXT) | instid1(VALU_DEP_2)
	v_sub_f32_e32 v133, v131, v147
	v_add_f32_e32 v23, v148, v23
	s_delay_alu instid0(VALU_DEP_2) | instskip(NEXT) | instid1(VALU_DEP_2)
	v_sub_f32_e32 v133, v134, v133
	v_mul_f32_e32 v23, v129, v23
	s_delay_alu instid0(VALU_DEP_1) | instskip(NEXT) | instid1(VALU_DEP_1)
	v_add_f32_e32 v23, v133, v23
	v_add_f32_e32 v129, v131, v23
	s_delay_alu instid0(VALU_DEP_1) | instskip(NEXT) | instid1(VALU_DEP_1)
	v_mul_f32_e32 v133, v129, v129
	v_fmaak_f32 v134, s22, v133, 0x3ecc95a3
	v_mul_f32_e32 v135, v129, v133
	v_cmp_gt_f32_e64 s22, 0x33800000, |v17|
	s_delay_alu instid0(VALU_DEP_3) | instskip(SKIP_2) | instid1(VALU_DEP_4)
	v_fmaak_f32 v133, v133, v134, 0x3f2aaada
	v_ldexp_f32 v134, v129, 1
	v_sub_f32_e32 v129, v129, v131
	s_or_b32 vcc_lo, vcc_lo, s22
	s_delay_alu instid0(VALU_DEP_3) | instskip(SKIP_1) | instid1(VALU_DEP_3)
	v_mul_f32_e32 v133, v135, v133
	v_mul_f32_e32 v135, 0x3f317218, v22
	v_sub_f32_e32 v23, v23, v129
	s_delay_alu instid0(VALU_DEP_3) | instskip(NEXT) | instid1(VALU_DEP_2)
	v_add_f32_e32 v131, v134, v133
	v_ldexp_f32 v23, v23, 1
	s_delay_alu instid0(VALU_DEP_2) | instskip(SKIP_1) | instid1(VALU_DEP_1)
	v_sub_f32_e32 v129, v131, v134
	v_fma_f32 v134, 0x3f317218, v22, -v135
	v_dual_sub_f32 v129, v133, v129 :: v_dual_fmamk_f32 v22, v22, 0xb102e308, v134
	s_delay_alu instid0(VALU_DEP_1) | instskip(NEXT) | instid1(VALU_DEP_2)
	v_add_f32_e32 v23, v23, v129
	v_add_f32_e32 v129, v135, v22
	s_delay_alu instid0(VALU_DEP_2) | instskip(NEXT) | instid1(VALU_DEP_2)
	v_add_f32_e32 v133, v131, v23
	v_sub_f32_e32 v135, v129, v135
	s_delay_alu instid0(VALU_DEP_2) | instskip(SKIP_1) | instid1(VALU_DEP_3)
	v_add_f32_e32 v134, v129, v133
	v_sub_f32_e32 v131, v133, v131
	v_sub_f32_e32 v22, v22, v135
	s_delay_alu instid0(VALU_DEP_2) | instskip(NEXT) | instid1(VALU_DEP_1)
	v_dual_sub_f32 v144, v134, v129 :: v_dual_sub_f32 v23, v23, v131
	v_sub_f32_e32 v147, v134, v144
	v_sub_f32_e32 v131, v133, v144
	s_delay_alu instid0(VALU_DEP_3) | instskip(NEXT) | instid1(VALU_DEP_3)
	v_add_f32_e32 v133, v22, v23
	v_sub_f32_e32 v129, v129, v147
	s_delay_alu instid0(VALU_DEP_1) | instskip(NEXT) | instid1(VALU_DEP_3)
	v_add_f32_e32 v129, v131, v129
	v_sub_f32_e32 v131, v133, v22
	s_delay_alu instid0(VALU_DEP_2) | instskip(NEXT) | instid1(VALU_DEP_2)
	v_add_f32_e32 v129, v133, v129
	v_sub_f32_e32 v133, v133, v131
	v_sub_f32_e32 v23, v23, v131
	s_delay_alu instid0(VALU_DEP_3) | instskip(NEXT) | instid1(VALU_DEP_1)
	v_add_f32_e32 v135, v134, v129
	v_dual_sub_f32 v22, v22, v133 :: v_dual_sub_f32 v131, v135, v134
	s_delay_alu instid0(VALU_DEP_1) | instskip(NEXT) | instid1(VALU_DEP_1)
	v_dual_add_f32 v22, v23, v22 :: v_dual_sub_f32 v23, v129, v131
	v_add_f32_e32 v22, v22, v23
	s_delay_alu instid0(VALU_DEP_1) | instskip(NEXT) | instid1(VALU_DEP_1)
	v_add_f32_e32 v22, v135, v22
	v_cndmask_b32_e32 v17, v22, v17, vcc_lo
	s_delay_alu instid0(VALU_DEP_1)
	v_add_f32_e32 v17, v16, v17
.LBB481_87:
	s_or_b32 exec_lo, exec_lo, s21
	s_delay_alu instid0(VALU_DEP_1) | instskip(SKIP_1) | instid1(VALU_DEP_2)
	v_bfe_u32 v16, v17, 16, 1
	v_cmp_o_f32_e32 vcc_lo, v17, v17
	v_add3_u32 v16, v17, v16, 0x7fff
	s_delay_alu instid0(VALU_DEP_1) | instskip(NEXT) | instid1(VALU_DEP_1)
	v_and_b32_e32 v16, 0xffff0000, v16
	v_cndmask_b32_e32 v17, 0x7fc00000, v16, vcc_lo
	s_delay_alu instid0(VALU_DEP_1) | instskip(NEXT) | instid1(VALU_DEP_1)
	v_dual_max_f32 v16, v17, v17 :: v_dual_lshlrev_b32 v129, 16, v30
	v_max_f32_e32 v134, v129, v129
	v_cmp_u_f32_e32 vcc_lo, v17, v17
	v_cmp_u_f32_e64 s21, v129, v129
	s_delay_alu instid0(VALU_DEP_3) | instskip(SKIP_1) | instid1(VALU_DEP_2)
	v_min_f32_e32 v22, v16, v134
	v_max_f32_e32 v16, v16, v134
	v_cndmask_b32_e32 v22, v22, v17, vcc_lo
	s_delay_alu instid0(VALU_DEP_2) | instskip(NEXT) | instid1(VALU_DEP_2)
	v_cndmask_b32_e32 v16, v16, v17, vcc_lo
	v_cndmask_b32_e64 v22, v22, v129, s21
	s_delay_alu instid0(VALU_DEP_2) | instskip(NEXT) | instid1(VALU_DEP_2)
	v_cndmask_b32_e64 v16, v16, v129, s21
	v_cmp_class_f32_e64 s22, v22, 0x1f8
	s_delay_alu instid0(VALU_DEP_2) | instskip(NEXT) | instid1(VALU_DEP_2)
	v_cmp_neq_f32_e32 vcc_lo, v22, v16
	s_or_b32 s23, vcc_lo, s22
	s_delay_alu instid0(SALU_CYCLE_1)
	s_and_saveexec_b32 s22, s23
	s_cbranch_execz .LBB481_89
; %bb.88:
	v_sub_f32_e32 v17, v22, v16
	s_mov_b32 s23, 0x3e9b6dac
	s_delay_alu instid0(VALU_DEP_1) | instskip(SKIP_1) | instid1(VALU_DEP_2)
	v_mul_f32_e32 v22, 0x3fb8aa3b, v17
	v_cmp_ngt_f32_e32 vcc_lo, 0xc2ce8ed0, v17
	v_fma_f32 v23, 0x3fb8aa3b, v17, -v22
	v_rndne_f32_e32 v131, v22
	s_delay_alu instid0(VALU_DEP_1) | instskip(NEXT) | instid1(VALU_DEP_1)
	v_dual_fmamk_f32 v23, v17, 0x32a5705f, v23 :: v_dual_sub_f32 v22, v22, v131
	v_add_f32_e32 v22, v22, v23
	v_cvt_i32_f32_e32 v23, v131
	s_delay_alu instid0(VALU_DEP_2) | instskip(SKIP_2) | instid1(VALU_DEP_1)
	v_exp_f32_e32 v22, v22
	s_waitcnt_depctr 0xfff
	v_ldexp_f32 v22, v22, v23
	v_cndmask_b32_e32 v22, 0, v22, vcc_lo
	v_cmp_nlt_f32_e32 vcc_lo, 0x42b17218, v17
	s_delay_alu instid0(VALU_DEP_2) | instskip(NEXT) | instid1(VALU_DEP_1)
	v_cndmask_b32_e32 v17, 0x7f800000, v22, vcc_lo
	v_add_f32_e32 v131, 1.0, v17
	s_delay_alu instid0(VALU_DEP_1) | instskip(NEXT) | instid1(VALU_DEP_1)
	v_cvt_f64_f32_e32 v[22:23], v131
	v_frexp_exp_i32_f64_e32 v22, v[22:23]
	v_frexp_mant_f32_e32 v23, v131
	s_delay_alu instid0(VALU_DEP_1) | instskip(SKIP_1) | instid1(VALU_DEP_1)
	v_cmp_gt_f32_e32 vcc_lo, 0x3f2aaaab, v23
	v_add_f32_e32 v23, -1.0, v131
	v_sub_f32_e32 v135, v23, v131
	s_delay_alu instid0(VALU_DEP_1) | instskip(SKIP_1) | instid1(VALU_DEP_1)
	v_add_f32_e32 v135, 1.0, v135
	v_subrev_co_ci_u32_e32 v22, vcc_lo, 0, v22, vcc_lo
	v_sub_nc_u32_e32 v133, 0, v22
	v_cvt_f32_i32_e32 v22, v22
	s_delay_alu instid0(VALU_DEP_2) | instskip(NEXT) | instid1(VALU_DEP_1)
	v_ldexp_f32 v131, v131, v133
	v_add_f32_e32 v144, 1.0, v131
	v_sub_f32_e32 v23, v17, v23
	v_cmp_eq_f32_e32 vcc_lo, 0x7f800000, v17
	s_delay_alu instid0(VALU_DEP_2) | instskip(NEXT) | instid1(VALU_DEP_1)
	v_add_f32_e32 v23, v23, v135
	v_ldexp_f32 v23, v23, v133
	v_add_f32_e32 v133, -1.0, v131
	v_add_f32_e32 v135, -1.0, v144
	s_delay_alu instid0(VALU_DEP_2) | instskip(NEXT) | instid1(VALU_DEP_2)
	v_add_f32_e32 v147, 1.0, v133
	v_sub_f32_e32 v135, v131, v135
	s_delay_alu instid0(VALU_DEP_2) | instskip(NEXT) | instid1(VALU_DEP_2)
	v_sub_f32_e32 v131, v131, v147
	v_add_f32_e32 v135, v23, v135
	s_delay_alu instid0(VALU_DEP_2) | instskip(NEXT) | instid1(VALU_DEP_2)
	v_add_f32_e32 v23, v23, v131
	v_add_f32_e32 v147, v144, v135
	s_delay_alu instid0(VALU_DEP_2) | instskip(NEXT) | instid1(VALU_DEP_2)
	v_add_f32_e32 v148, v133, v23
	v_rcp_f32_e32 v131, v147
	s_delay_alu instid0(VALU_DEP_1) | instskip(NEXT) | instid1(VALU_DEP_1)
	v_dual_sub_f32 v144, v144, v147 :: v_dual_sub_f32 v133, v133, v148
	v_add_f32_e32 v135, v135, v144
	s_waitcnt_depctr 0xfff
	v_mul_f32_e32 v149, v148, v131
	s_delay_alu instid0(VALU_DEP_1) | instskip(NEXT) | instid1(VALU_DEP_1)
	v_mul_f32_e32 v150, v147, v149
	v_fma_f32 v144, v149, v147, -v150
	s_delay_alu instid0(VALU_DEP_1) | instskip(NEXT) | instid1(VALU_DEP_1)
	v_fmac_f32_e32 v144, v149, v135
	v_add_f32_e32 v151, v150, v144
	s_delay_alu instid0(VALU_DEP_1) | instskip(NEXT) | instid1(VALU_DEP_1)
	v_sub_f32_e32 v160, v148, v151
	v_dual_sub_f32 v148, v148, v160 :: v_dual_add_f32 v23, v23, v133
	s_delay_alu instid0(VALU_DEP_1) | instskip(NEXT) | instid1(VALU_DEP_1)
	v_dual_sub_f32 v133, v151, v150 :: v_dual_sub_f32 v148, v148, v151
	v_sub_f32_e32 v133, v133, v144
	s_delay_alu instid0(VALU_DEP_2) | instskip(NEXT) | instid1(VALU_DEP_1)
	v_add_f32_e32 v23, v23, v148
	v_add_f32_e32 v23, v133, v23
	s_delay_alu instid0(VALU_DEP_1) | instskip(NEXT) | instid1(VALU_DEP_1)
	v_add_f32_e32 v133, v160, v23
	v_mul_f32_e32 v144, v131, v133
	s_delay_alu instid0(VALU_DEP_1) | instskip(NEXT) | instid1(VALU_DEP_1)
	v_dual_sub_f32 v151, v160, v133 :: v_dual_mul_f32 v148, v147, v144
	v_add_f32_e32 v23, v23, v151
	s_delay_alu instid0(VALU_DEP_2) | instskip(NEXT) | instid1(VALU_DEP_1)
	v_fma_f32 v147, v144, v147, -v148
	v_fmac_f32_e32 v147, v144, v135
	s_delay_alu instid0(VALU_DEP_1) | instskip(NEXT) | instid1(VALU_DEP_1)
	v_add_f32_e32 v135, v148, v147
	v_sub_f32_e32 v150, v133, v135
	s_delay_alu instid0(VALU_DEP_1) | instskip(NEXT) | instid1(VALU_DEP_1)
	v_dual_sub_f32 v148, v135, v148 :: v_dual_sub_f32 v133, v133, v150
	v_sub_f32_e32 v133, v133, v135
	s_delay_alu instid0(VALU_DEP_2) | instskip(NEXT) | instid1(VALU_DEP_2)
	v_sub_f32_e32 v135, v148, v147
	v_add_f32_e32 v23, v23, v133
	v_add_f32_e32 v133, v149, v144
	s_delay_alu instid0(VALU_DEP_2) | instskip(NEXT) | instid1(VALU_DEP_2)
	v_add_f32_e32 v23, v135, v23
	v_sub_f32_e32 v135, v133, v149
	s_delay_alu instid0(VALU_DEP_2) | instskip(NEXT) | instid1(VALU_DEP_2)
	v_add_f32_e32 v23, v150, v23
	v_sub_f32_e32 v135, v144, v135
	s_delay_alu instid0(VALU_DEP_2) | instskip(NEXT) | instid1(VALU_DEP_1)
	v_mul_f32_e32 v23, v131, v23
	v_add_f32_e32 v23, v135, v23
	s_delay_alu instid0(VALU_DEP_1) | instskip(NEXT) | instid1(VALU_DEP_1)
	v_add_f32_e32 v131, v133, v23
	v_mul_f32_e32 v135, v131, v131
	s_delay_alu instid0(VALU_DEP_1) | instskip(SKIP_2) | instid1(VALU_DEP_3)
	v_fmaak_f32 v144, s23, v135, 0x3ecc95a3
	v_mul_f32_e32 v147, v131, v135
	v_cmp_gt_f32_e64 s23, 0x33800000, |v17|
	v_fmaak_f32 v135, v135, v144, 0x3f2aaada
	v_ldexp_f32 v144, v131, 1
	v_sub_f32_e32 v131, v131, v133
	s_delay_alu instid0(VALU_DEP_4) | instskip(NEXT) | instid1(VALU_DEP_3)
	s_or_b32 vcc_lo, vcc_lo, s23
	v_mul_f32_e32 v135, v147, v135
	v_mul_f32_e32 v147, 0x3f317218, v22
	s_delay_alu instid0(VALU_DEP_3) | instskip(NEXT) | instid1(VALU_DEP_3)
	v_sub_f32_e32 v23, v23, v131
	v_add_f32_e32 v133, v144, v135
	s_delay_alu instid0(VALU_DEP_2) | instskip(NEXT) | instid1(VALU_DEP_2)
	v_ldexp_f32 v23, v23, 1
	v_sub_f32_e32 v131, v133, v144
	v_fma_f32 v144, 0x3f317218, v22, -v147
	s_delay_alu instid0(VALU_DEP_1) | instskip(NEXT) | instid1(VALU_DEP_1)
	v_dual_sub_f32 v131, v135, v131 :: v_dual_fmamk_f32 v22, v22, 0xb102e308, v144
	v_add_f32_e32 v23, v23, v131
	s_delay_alu instid0(VALU_DEP_2) | instskip(NEXT) | instid1(VALU_DEP_2)
	v_add_f32_e32 v131, v147, v22
	v_add_f32_e32 v135, v133, v23
	s_delay_alu instid0(VALU_DEP_2) | instskip(NEXT) | instid1(VALU_DEP_2)
	v_sub_f32_e32 v147, v131, v147
	v_add_f32_e32 v144, v131, v135
	s_delay_alu instid0(VALU_DEP_2) | instskip(NEXT) | instid1(VALU_DEP_1)
	v_dual_sub_f32 v133, v135, v133 :: v_dual_sub_f32 v22, v22, v147
	v_dual_sub_f32 v148, v144, v131 :: v_dual_sub_f32 v23, v23, v133
	s_delay_alu instid0(VALU_DEP_1) | instskip(SKIP_1) | instid1(VALU_DEP_3)
	v_sub_f32_e32 v149, v144, v148
	v_sub_f32_e32 v133, v135, v148
	v_add_f32_e32 v135, v22, v23
	s_delay_alu instid0(VALU_DEP_3) | instskip(NEXT) | instid1(VALU_DEP_1)
	v_sub_f32_e32 v131, v131, v149
	v_add_f32_e32 v131, v133, v131
	s_delay_alu instid0(VALU_DEP_3) | instskip(NEXT) | instid1(VALU_DEP_2)
	v_sub_f32_e32 v133, v135, v22
	v_add_f32_e32 v131, v135, v131
	s_delay_alu instid0(VALU_DEP_2) | instskip(SKIP_1) | instid1(VALU_DEP_3)
	v_sub_f32_e32 v135, v135, v133
	v_sub_f32_e32 v23, v23, v133
	v_add_f32_e32 v147, v144, v131
	s_delay_alu instid0(VALU_DEP_1) | instskip(NEXT) | instid1(VALU_DEP_1)
	v_dual_sub_f32 v22, v22, v135 :: v_dual_sub_f32 v133, v147, v144
	v_add_f32_e32 v22, v23, v22
	s_delay_alu instid0(VALU_DEP_2) | instskip(NEXT) | instid1(VALU_DEP_1)
	v_sub_f32_e32 v23, v131, v133
	v_add_f32_e32 v22, v22, v23
	s_delay_alu instid0(VALU_DEP_1) | instskip(NEXT) | instid1(VALU_DEP_1)
	v_add_f32_e32 v22, v147, v22
	v_cndmask_b32_e32 v17, v22, v17, vcc_lo
	s_delay_alu instid0(VALU_DEP_1)
	v_add_f32_e32 v17, v16, v17
.LBB481_89:
	s_or_b32 exec_lo, exec_lo, s22
	s_delay_alu instid0(VALU_DEP_1) | instskip(SKIP_2) | instid1(VALU_DEP_3)
	v_bfe_u32 v16, v17, 16, 1
	v_lshlrev_b32_e32 v131, 16, v29
	v_cmp_o_f32_e32 vcc_lo, v17, v17
	v_add3_u32 v16, v17, v16, 0x7fff
	s_delay_alu instid0(VALU_DEP_1) | instskip(NEXT) | instid1(VALU_DEP_1)
	v_dual_max_f32 v135, v131, v131 :: v_dual_and_b32 v16, 0xffff0000, v16
	v_cndmask_b32_e32 v17, 0x7fc00000, v16, vcc_lo
	s_delay_alu instid0(VALU_DEP_1) | instskip(NEXT) | instid1(VALU_DEP_1)
	v_max_f32_e32 v16, v17, v17
	v_min_f32_e32 v22, v16, v135
	v_max_f32_e32 v16, v16, v135
	v_cmp_u_f32_e32 vcc_lo, v17, v17
	v_cmp_u_f32_e64 s22, v131, v131
	s_delay_alu instid0(VALU_DEP_4) | instskip(NEXT) | instid1(VALU_DEP_4)
	v_cndmask_b32_e32 v22, v22, v17, vcc_lo
	v_cndmask_b32_e32 v16, v16, v17, vcc_lo
	s_delay_alu instid0(VALU_DEP_2) | instskip(NEXT) | instid1(VALU_DEP_2)
	v_cndmask_b32_e64 v22, v22, v131, s22
	v_cndmask_b32_e64 v16, v16, v131, s22
	s_delay_alu instid0(VALU_DEP_2) | instskip(NEXT) | instid1(VALU_DEP_2)
	v_cmp_class_f32_e64 s23, v22, 0x1f8
	v_cmp_neq_f32_e32 vcc_lo, v22, v16
	s_delay_alu instid0(VALU_DEP_2) | instskip(NEXT) | instid1(SALU_CYCLE_1)
	s_or_b32 s25, vcc_lo, s23
	s_and_saveexec_b32 s23, s25
	s_cbranch_execz .LBB481_91
; %bb.90:
	v_sub_f32_e32 v17, v22, v16
	s_mov_b32 s25, 0x3e9b6dac
	s_delay_alu instid0(VALU_DEP_1) | instskip(SKIP_1) | instid1(VALU_DEP_2)
	v_mul_f32_e32 v22, 0x3fb8aa3b, v17
	v_cmp_ngt_f32_e32 vcc_lo, 0xc2ce8ed0, v17
	v_fma_f32 v23, 0x3fb8aa3b, v17, -v22
	v_rndne_f32_e32 v133, v22
	s_delay_alu instid0(VALU_DEP_1) | instskip(NEXT) | instid1(VALU_DEP_1)
	v_dual_fmamk_f32 v23, v17, 0x32a5705f, v23 :: v_dual_sub_f32 v22, v22, v133
	v_add_f32_e32 v22, v22, v23
	v_cvt_i32_f32_e32 v23, v133
	s_delay_alu instid0(VALU_DEP_2) | instskip(SKIP_2) | instid1(VALU_DEP_1)
	v_exp_f32_e32 v22, v22
	s_waitcnt_depctr 0xfff
	v_ldexp_f32 v22, v22, v23
	v_cndmask_b32_e32 v22, 0, v22, vcc_lo
	v_cmp_nlt_f32_e32 vcc_lo, 0x42b17218, v17
	s_delay_alu instid0(VALU_DEP_2) | instskip(NEXT) | instid1(VALU_DEP_1)
	v_cndmask_b32_e32 v17, 0x7f800000, v22, vcc_lo
	v_add_f32_e32 v133, 1.0, v17
	s_delay_alu instid0(VALU_DEP_1) | instskip(NEXT) | instid1(VALU_DEP_1)
	v_cvt_f64_f32_e32 v[22:23], v133
	v_frexp_exp_i32_f64_e32 v22, v[22:23]
	v_frexp_mant_f32_e32 v23, v133
	s_delay_alu instid0(VALU_DEP_1) | instskip(SKIP_1) | instid1(VALU_DEP_1)
	v_cmp_gt_f32_e32 vcc_lo, 0x3f2aaaab, v23
	v_add_f32_e32 v23, -1.0, v133
	v_sub_f32_e32 v147, v23, v133
	v_subrev_co_ci_u32_e32 v22, vcc_lo, 0, v22, vcc_lo
	s_delay_alu instid0(VALU_DEP_1) | instskip(SKIP_1) | instid1(VALU_DEP_2)
	v_sub_nc_u32_e32 v144, 0, v22
	v_cvt_f32_i32_e32 v22, v22
	v_ldexp_f32 v133, v133, v144
	s_delay_alu instid0(VALU_DEP_1) | instskip(SKIP_2) | instid1(VALU_DEP_2)
	v_dual_add_f32 v147, 1.0, v147 :: v_dual_add_f32 v148, 1.0, v133
	v_sub_f32_e32 v23, v17, v23
	v_cmp_eq_f32_e32 vcc_lo, 0x7f800000, v17
	v_add_f32_e32 v23, v23, v147
	s_delay_alu instid0(VALU_DEP_4) | instskip(NEXT) | instid1(VALU_DEP_2)
	v_add_f32_e32 v147, -1.0, v148
	v_ldexp_f32 v23, v23, v144
	s_delay_alu instid0(VALU_DEP_2) | instskip(NEXT) | instid1(VALU_DEP_1)
	v_dual_add_f32 v144, -1.0, v133 :: v_dual_sub_f32 v147, v133, v147
	v_add_f32_e32 v149, 1.0, v144
	s_delay_alu instid0(VALU_DEP_2) | instskip(NEXT) | instid1(VALU_DEP_2)
	v_add_f32_e32 v147, v23, v147
	v_sub_f32_e32 v133, v133, v149
	s_delay_alu instid0(VALU_DEP_2) | instskip(NEXT) | instid1(VALU_DEP_2)
	v_add_f32_e32 v149, v148, v147
	v_add_f32_e32 v23, v23, v133
	s_delay_alu instid0(VALU_DEP_2) | instskip(SKIP_1) | instid1(VALU_DEP_1)
	v_rcp_f32_e32 v133, v149
	v_sub_f32_e32 v148, v148, v149
	v_dual_add_f32 v150, v144, v23 :: v_dual_add_f32 v147, v147, v148
	s_waitcnt_depctr 0xfff
	v_dual_sub_f32 v144, v144, v150 :: v_dual_mul_f32 v151, v150, v133
	s_delay_alu instid0(VALU_DEP_1) | instskip(NEXT) | instid1(VALU_DEP_1)
	v_dual_add_f32 v23, v23, v144 :: v_dual_mul_f32 v160, v149, v151
	v_fma_f32 v148, v151, v149, -v160
	s_delay_alu instid0(VALU_DEP_1) | instskip(NEXT) | instid1(VALU_DEP_1)
	v_fmac_f32_e32 v148, v151, v147
	v_add_f32_e32 v161, v160, v148
	s_delay_alu instid0(VALU_DEP_1) | instskip(SKIP_1) | instid1(VALU_DEP_2)
	v_sub_f32_e32 v162, v150, v161
	v_sub_f32_e32 v144, v161, v160
	v_sub_f32_e32 v150, v150, v162
	s_delay_alu instid0(VALU_DEP_2) | instskip(NEXT) | instid1(VALU_DEP_2)
	v_sub_f32_e32 v144, v144, v148
	v_sub_f32_e32 v150, v150, v161
	s_delay_alu instid0(VALU_DEP_1) | instskip(NEXT) | instid1(VALU_DEP_1)
	v_add_f32_e32 v23, v23, v150
	v_add_f32_e32 v23, v144, v23
	s_delay_alu instid0(VALU_DEP_1) | instskip(NEXT) | instid1(VALU_DEP_1)
	v_add_f32_e32 v144, v162, v23
	v_mul_f32_e32 v148, v133, v144
	s_delay_alu instid0(VALU_DEP_1) | instskip(NEXT) | instid1(VALU_DEP_1)
	v_mul_f32_e32 v150, v149, v148
	v_fma_f32 v149, v148, v149, -v150
	s_delay_alu instid0(VALU_DEP_1) | instskip(NEXT) | instid1(VALU_DEP_1)
	v_fmac_f32_e32 v149, v148, v147
	v_add_f32_e32 v147, v150, v149
	s_delay_alu instid0(VALU_DEP_1) | instskip(SKIP_1) | instid1(VALU_DEP_2)
	v_dual_sub_f32 v161, v162, v144 :: v_dual_sub_f32 v160, v144, v147
	v_sub_f32_e32 v150, v147, v150
	v_sub_f32_e32 v144, v144, v160
	s_delay_alu instid0(VALU_DEP_1) | instskip(NEXT) | instid1(VALU_DEP_1)
	v_dual_sub_f32 v144, v144, v147 :: v_dual_add_f32 v23, v23, v161
	v_add_f32_e32 v23, v23, v144
	s_delay_alu instid0(VALU_DEP_4) | instskip(NEXT) | instid1(VALU_DEP_1)
	v_dual_add_f32 v144, v151, v148 :: v_dual_sub_f32 v147, v150, v149
	v_add_f32_e32 v23, v147, v23
	s_delay_alu instid0(VALU_DEP_2) | instskip(NEXT) | instid1(VALU_DEP_2)
	v_sub_f32_e32 v147, v144, v151
	v_add_f32_e32 v23, v160, v23
	s_delay_alu instid0(VALU_DEP_2) | instskip(NEXT) | instid1(VALU_DEP_2)
	v_sub_f32_e32 v147, v148, v147
	v_mul_f32_e32 v23, v133, v23
	s_delay_alu instid0(VALU_DEP_1) | instskip(NEXT) | instid1(VALU_DEP_1)
	v_add_f32_e32 v23, v147, v23
	v_add_f32_e32 v133, v144, v23
	s_delay_alu instid0(VALU_DEP_1) | instskip(NEXT) | instid1(VALU_DEP_1)
	v_mul_f32_e32 v147, v133, v133
	v_fmaak_f32 v148, s25, v147, 0x3ecc95a3
	v_mul_f32_e32 v149, v133, v147
	v_cmp_gt_f32_e64 s25, 0x33800000, |v17|
	s_delay_alu instid0(VALU_DEP_3) | instskip(SKIP_2) | instid1(VALU_DEP_4)
	v_fmaak_f32 v147, v147, v148, 0x3f2aaada
	v_ldexp_f32 v148, v133, 1
	v_sub_f32_e32 v133, v133, v144
	s_or_b32 vcc_lo, vcc_lo, s25
	s_delay_alu instid0(VALU_DEP_3) | instskip(NEXT) | instid1(VALU_DEP_1)
	v_mul_f32_e32 v147, v149, v147
	v_dual_sub_f32 v23, v23, v133 :: v_dual_add_f32 v144, v148, v147
	s_delay_alu instid0(VALU_DEP_1) | instskip(NEXT) | instid1(VALU_DEP_2)
	v_ldexp_f32 v23, v23, 1
	v_sub_f32_e32 v133, v144, v148
	s_delay_alu instid0(VALU_DEP_1) | instskip(NEXT) | instid1(VALU_DEP_1)
	v_sub_f32_e32 v133, v147, v133
	v_add_f32_e32 v23, v23, v133
	s_delay_alu instid0(VALU_DEP_1) | instskip(NEXT) | instid1(VALU_DEP_1)
	v_add_f32_e32 v147, v144, v23
	v_dual_mul_f32 v149, 0x3f317218, v22 :: v_dual_sub_f32 v144, v147, v144
	s_delay_alu instid0(VALU_DEP_1) | instskip(NEXT) | instid1(VALU_DEP_1)
	v_fma_f32 v148, 0x3f317218, v22, -v149
	v_dual_sub_f32 v23, v23, v144 :: v_dual_fmamk_f32 v22, v22, 0xb102e308, v148
	s_delay_alu instid0(VALU_DEP_1) | instskip(NEXT) | instid1(VALU_DEP_1)
	v_add_f32_e32 v133, v149, v22
	v_add_f32_e32 v148, v133, v147
	v_sub_f32_e32 v149, v133, v149
	s_delay_alu instid0(VALU_DEP_2) | instskip(NEXT) | instid1(VALU_DEP_1)
	v_sub_f32_e32 v150, v148, v133
	v_dual_sub_f32 v22, v22, v149 :: v_dual_sub_f32 v151, v148, v150
	s_delay_alu instid0(VALU_DEP_1) | instskip(NEXT) | instid1(VALU_DEP_2)
	v_dual_sub_f32 v144, v147, v150 :: v_dual_add_f32 v147, v22, v23
	v_sub_f32_e32 v133, v133, v151
	s_delay_alu instid0(VALU_DEP_1) | instskip(NEXT) | instid1(VALU_DEP_1)
	v_dual_add_f32 v133, v144, v133 :: v_dual_sub_f32 v144, v147, v22
	v_add_f32_e32 v133, v147, v133
	s_delay_alu instid0(VALU_DEP_2) | instskip(SKIP_1) | instid1(VALU_DEP_2)
	v_sub_f32_e32 v147, v147, v144
	v_sub_f32_e32 v23, v23, v144
	v_dual_add_f32 v149, v148, v133 :: v_dual_sub_f32 v22, v22, v147
	s_delay_alu instid0(VALU_DEP_1) | instskip(NEXT) | instid1(VALU_DEP_1)
	v_sub_f32_e32 v144, v149, v148
	v_dual_add_f32 v22, v23, v22 :: v_dual_sub_f32 v23, v133, v144
	s_delay_alu instid0(VALU_DEP_1) | instskip(NEXT) | instid1(VALU_DEP_1)
	v_add_f32_e32 v22, v22, v23
	v_add_f32_e32 v22, v149, v22
	s_delay_alu instid0(VALU_DEP_1) | instskip(NEXT) | instid1(VALU_DEP_1)
	v_cndmask_b32_e32 v17, v22, v17, vcc_lo
	v_add_f32_e32 v17, v16, v17
.LBB481_91:
	s_or_b32 exec_lo, exec_lo, s23
	s_delay_alu instid0(VALU_DEP_1) | instskip(SKIP_1) | instid1(VALU_DEP_2)
	v_bfe_u32 v16, v17, 16, 1
	v_cmp_o_f32_e32 vcc_lo, v17, v17
	v_add3_u32 v16, v17, v16, 0x7fff
	s_delay_alu instid0(VALU_DEP_1) | instskip(NEXT) | instid1(VALU_DEP_1)
	v_and_b32_e32 v16, 0xffff0000, v16
	v_cndmask_b32_e32 v17, 0x7fc00000, v16, vcc_lo
	s_delay_alu instid0(VALU_DEP_1) | instskip(NEXT) | instid1(VALU_DEP_1)
	v_dual_max_f32 v16, v17, v17 :: v_dual_lshlrev_b32 v133, 16, v28
	v_max_f32_e32 v144, v133, v133
	v_cmp_u_f32_e32 vcc_lo, v17, v17
	v_cmp_u_f32_e64 s23, v133, v133
	s_delay_alu instid0(VALU_DEP_3) | instskip(SKIP_1) | instid1(VALU_DEP_2)
	v_min_f32_e32 v22, v16, v144
	v_max_f32_e32 v16, v16, v144
	v_cndmask_b32_e32 v22, v22, v17, vcc_lo
	s_delay_alu instid0(VALU_DEP_2) | instskip(NEXT) | instid1(VALU_DEP_2)
	v_cndmask_b32_e32 v16, v16, v17, vcc_lo
	v_cndmask_b32_e64 v22, v22, v133, s23
	s_delay_alu instid0(VALU_DEP_2) | instskip(NEXT) | instid1(VALU_DEP_2)
	v_cndmask_b32_e64 v16, v16, v133, s23
	v_cmp_class_f32_e64 s25, v22, 0x1f8
	s_delay_alu instid0(VALU_DEP_2) | instskip(NEXT) | instid1(VALU_DEP_2)
	v_cmp_neq_f32_e32 vcc_lo, v22, v16
	s_or_b32 s26, vcc_lo, s25
	s_delay_alu instid0(SALU_CYCLE_1)
	s_and_saveexec_b32 s25, s26
	s_cbranch_execz .LBB481_93
; %bb.92:
	v_sub_f32_e32 v17, v22, v16
	s_mov_b32 s26, 0x3e9b6dac
	s_delay_alu instid0(VALU_DEP_1) | instskip(SKIP_1) | instid1(VALU_DEP_2)
	v_mul_f32_e32 v22, 0x3fb8aa3b, v17
	v_cmp_ngt_f32_e32 vcc_lo, 0xc2ce8ed0, v17
	v_fma_f32 v23, 0x3fb8aa3b, v17, -v22
	v_rndne_f32_e32 v147, v22
	s_delay_alu instid0(VALU_DEP_1) | instskip(NEXT) | instid1(VALU_DEP_1)
	v_dual_fmamk_f32 v23, v17, 0x32a5705f, v23 :: v_dual_sub_f32 v22, v22, v147
	v_add_f32_e32 v22, v22, v23
	v_cvt_i32_f32_e32 v23, v147
	s_delay_alu instid0(VALU_DEP_2) | instskip(SKIP_2) | instid1(VALU_DEP_1)
	v_exp_f32_e32 v22, v22
	s_waitcnt_depctr 0xfff
	v_ldexp_f32 v22, v22, v23
	v_cndmask_b32_e32 v22, 0, v22, vcc_lo
	v_cmp_nlt_f32_e32 vcc_lo, 0x42b17218, v17
	s_delay_alu instid0(VALU_DEP_2) | instskip(NEXT) | instid1(VALU_DEP_1)
	v_cndmask_b32_e32 v17, 0x7f800000, v22, vcc_lo
	v_add_f32_e32 v147, 1.0, v17
	s_delay_alu instid0(VALU_DEP_1) | instskip(NEXT) | instid1(VALU_DEP_1)
	v_cvt_f64_f32_e32 v[22:23], v147
	v_frexp_exp_i32_f64_e32 v22, v[22:23]
	v_frexp_mant_f32_e32 v23, v147
	s_delay_alu instid0(VALU_DEP_1) | instskip(SKIP_1) | instid1(VALU_DEP_1)
	v_cmp_gt_f32_e32 vcc_lo, 0x3f2aaaab, v23
	v_add_f32_e32 v23, -1.0, v147
	v_sub_f32_e32 v149, v23, v147
	v_subrev_co_ci_u32_e32 v22, vcc_lo, 0, v22, vcc_lo
	s_delay_alu instid0(VALU_DEP_1) | instskip(SKIP_1) | instid1(VALU_DEP_2)
	v_sub_nc_u32_e32 v148, 0, v22
	v_cvt_f32_i32_e32 v22, v22
	v_ldexp_f32 v147, v147, v148
	s_delay_alu instid0(VALU_DEP_1) | instskip(SKIP_2) | instid1(VALU_DEP_2)
	v_dual_add_f32 v149, 1.0, v149 :: v_dual_add_f32 v150, 1.0, v147
	v_sub_f32_e32 v23, v17, v23
	v_cmp_eq_f32_e32 vcc_lo, 0x7f800000, v17
	v_add_f32_e32 v23, v23, v149
	s_delay_alu instid0(VALU_DEP_1) | instskip(SKIP_1) | instid1(VALU_DEP_1)
	v_ldexp_f32 v23, v23, v148
	v_dual_add_f32 v148, -1.0, v147 :: v_dual_add_f32 v149, -1.0, v150
	v_add_f32_e32 v151, 1.0, v148
	s_delay_alu instid0(VALU_DEP_2) | instskip(NEXT) | instid1(VALU_DEP_2)
	v_sub_f32_e32 v149, v147, v149
	v_sub_f32_e32 v147, v147, v151
	s_delay_alu instid0(VALU_DEP_2) | instskip(NEXT) | instid1(VALU_DEP_2)
	v_add_f32_e32 v149, v23, v149
	v_add_f32_e32 v23, v23, v147
	s_delay_alu instid0(VALU_DEP_1) | instskip(NEXT) | instid1(VALU_DEP_1)
	v_dual_add_f32 v151, v150, v149 :: v_dual_add_f32 v160, v148, v23
	v_rcp_f32_e32 v147, v151
	v_sub_f32_e32 v150, v150, v151
	s_delay_alu instid0(VALU_DEP_1) | instskip(NEXT) | instid1(VALU_DEP_1)
	v_dual_sub_f32 v148, v148, v160 :: v_dual_add_f32 v149, v149, v150
	v_add_f32_e32 v23, v23, v148
	s_waitcnt_depctr 0xfff
	v_mul_f32_e32 v161, v160, v147
	s_delay_alu instid0(VALU_DEP_1) | instskip(NEXT) | instid1(VALU_DEP_1)
	v_mul_f32_e32 v162, v151, v161
	v_fma_f32 v150, v161, v151, -v162
	s_delay_alu instid0(VALU_DEP_1) | instskip(NEXT) | instid1(VALU_DEP_1)
	v_fmac_f32_e32 v150, v161, v149
	v_add_f32_e32 v163, v162, v150
	s_delay_alu instid0(VALU_DEP_1) | instskip(SKIP_1) | instid1(VALU_DEP_2)
	v_sub_f32_e32 v164, v160, v163
	v_sub_f32_e32 v148, v163, v162
	;; [unrolled: 1-line block ×3, first 2 shown]
	s_delay_alu instid0(VALU_DEP_2) | instskip(NEXT) | instid1(VALU_DEP_2)
	v_sub_f32_e32 v148, v148, v150
	v_sub_f32_e32 v160, v160, v163
	s_delay_alu instid0(VALU_DEP_1) | instskip(NEXT) | instid1(VALU_DEP_1)
	v_add_f32_e32 v23, v23, v160
	v_add_f32_e32 v23, v148, v23
	s_delay_alu instid0(VALU_DEP_1) | instskip(NEXT) | instid1(VALU_DEP_1)
	v_add_f32_e32 v148, v164, v23
	v_mul_f32_e32 v150, v147, v148
	s_delay_alu instid0(VALU_DEP_1) | instskip(NEXT) | instid1(VALU_DEP_1)
	v_dual_sub_f32 v163, v164, v148 :: v_dual_mul_f32 v160, v151, v150
	v_add_f32_e32 v23, v23, v163
	s_delay_alu instid0(VALU_DEP_2) | instskip(NEXT) | instid1(VALU_DEP_1)
	v_fma_f32 v151, v150, v151, -v160
	v_fmac_f32_e32 v151, v150, v149
	s_delay_alu instid0(VALU_DEP_1) | instskip(NEXT) | instid1(VALU_DEP_1)
	v_add_f32_e32 v149, v160, v151
	v_sub_f32_e32 v162, v148, v149
	s_delay_alu instid0(VALU_DEP_1) | instskip(NEXT) | instid1(VALU_DEP_1)
	v_sub_f32_e32 v148, v148, v162
	v_sub_f32_e32 v148, v148, v149
	s_delay_alu instid0(VALU_DEP_1) | instskip(SKIP_1) | instid1(VALU_DEP_1)
	v_dual_add_f32 v23, v23, v148 :: v_dual_add_f32 v148, v161, v150
	v_sub_f32_e32 v160, v149, v160
	v_sub_f32_e32 v149, v160, v151
	s_delay_alu instid0(VALU_DEP_1) | instskip(NEXT) | instid1(VALU_DEP_4)
	v_add_f32_e32 v23, v149, v23
	v_sub_f32_e32 v149, v148, v161
	s_delay_alu instid0(VALU_DEP_2) | instskip(NEXT) | instid1(VALU_DEP_2)
	v_add_f32_e32 v23, v162, v23
	v_sub_f32_e32 v149, v150, v149
	s_delay_alu instid0(VALU_DEP_2) | instskip(NEXT) | instid1(VALU_DEP_1)
	v_mul_f32_e32 v23, v147, v23
	v_add_f32_e32 v23, v149, v23
	s_delay_alu instid0(VALU_DEP_1) | instskip(NEXT) | instid1(VALU_DEP_1)
	v_add_f32_e32 v147, v148, v23
	v_mul_f32_e32 v149, v147, v147
	s_delay_alu instid0(VALU_DEP_1) | instskip(SKIP_2) | instid1(VALU_DEP_3)
	v_fmaak_f32 v150, s26, v149, 0x3ecc95a3
	v_mul_f32_e32 v151, v147, v149
	v_cmp_gt_f32_e64 s26, 0x33800000, |v17|
	v_fmaak_f32 v149, v149, v150, 0x3f2aaada
	v_ldexp_f32 v150, v147, 1
	v_sub_f32_e32 v147, v147, v148
	s_delay_alu instid0(VALU_DEP_4) | instskip(NEXT) | instid1(VALU_DEP_3)
	s_or_b32 vcc_lo, vcc_lo, s26
	v_mul_f32_e32 v149, v151, v149
	v_mul_f32_e32 v151, 0x3f317218, v22
	s_delay_alu instid0(VALU_DEP_2) | instskip(NEXT) | instid1(VALU_DEP_1)
	v_dual_sub_f32 v23, v23, v147 :: v_dual_add_f32 v148, v150, v149
	v_ldexp_f32 v23, v23, 1
	s_delay_alu instid0(VALU_DEP_2) | instskip(NEXT) | instid1(VALU_DEP_4)
	v_sub_f32_e32 v147, v148, v150
	v_fma_f32 v150, 0x3f317218, v22, -v151
	s_delay_alu instid0(VALU_DEP_1) | instskip(NEXT) | instid1(VALU_DEP_1)
	v_dual_sub_f32 v147, v149, v147 :: v_dual_fmamk_f32 v22, v22, 0xb102e308, v150
	v_add_f32_e32 v23, v23, v147
	s_delay_alu instid0(VALU_DEP_2) | instskip(NEXT) | instid1(VALU_DEP_2)
	v_add_f32_e32 v147, v151, v22
	v_add_f32_e32 v149, v148, v23
	s_delay_alu instid0(VALU_DEP_2) | instskip(NEXT) | instid1(VALU_DEP_2)
	v_sub_f32_e32 v151, v147, v151
	v_add_f32_e32 v150, v147, v149
	v_sub_f32_e32 v148, v149, v148
	s_delay_alu instid0(VALU_DEP_3) | instskip(NEXT) | instid1(VALU_DEP_2)
	v_sub_f32_e32 v22, v22, v151
	v_dual_sub_f32 v160, v150, v147 :: v_dual_sub_f32 v23, v23, v148
	s_delay_alu instid0(VALU_DEP_1) | instskip(NEXT) | instid1(VALU_DEP_2)
	v_sub_f32_e32 v161, v150, v160
	v_dual_sub_f32 v148, v149, v160 :: v_dual_add_f32 v149, v22, v23
	s_delay_alu instid0(VALU_DEP_2) | instskip(NEXT) | instid1(VALU_DEP_1)
	v_sub_f32_e32 v147, v147, v161
	v_dual_add_f32 v147, v148, v147 :: v_dual_sub_f32 v148, v149, v22
	s_delay_alu instid0(VALU_DEP_1) | instskip(NEXT) | instid1(VALU_DEP_2)
	v_add_f32_e32 v147, v149, v147
	v_sub_f32_e32 v149, v149, v148
	v_sub_f32_e32 v23, v23, v148
	s_delay_alu instid0(VALU_DEP_3) | instskip(NEXT) | instid1(VALU_DEP_3)
	v_add_f32_e32 v151, v150, v147
	v_sub_f32_e32 v22, v22, v149
	s_delay_alu instid0(VALU_DEP_2) | instskip(NEXT) | instid1(VALU_DEP_2)
	v_sub_f32_e32 v148, v151, v150
	v_add_f32_e32 v22, v23, v22
	s_delay_alu instid0(VALU_DEP_2) | instskip(NEXT) | instid1(VALU_DEP_1)
	v_sub_f32_e32 v23, v147, v148
	v_add_f32_e32 v22, v22, v23
	s_delay_alu instid0(VALU_DEP_1) | instskip(NEXT) | instid1(VALU_DEP_1)
	v_add_f32_e32 v22, v151, v22
	v_cndmask_b32_e32 v17, v22, v17, vcc_lo
	s_delay_alu instid0(VALU_DEP_1)
	v_add_f32_e32 v17, v16, v17
.LBB481_93:
	s_or_b32 exec_lo, exec_lo, s25
	s_delay_alu instid0(VALU_DEP_1) | instskip(SKIP_2) | instid1(VALU_DEP_3)
	v_bfe_u32 v16, v17, 16, 1
	v_lshrrev_b32_e32 v22, 5, v21
	v_cmp_o_f32_e32 vcc_lo, v17, v17
	v_add3_u32 v16, v17, v16, 0x7fff
	s_delay_alu instid0(VALU_DEP_3) | instskip(NEXT) | instid1(VALU_DEP_2)
	v_add_lshl_u32 v22, v22, v21, 1
	v_lshrrev_b32_e32 v16, 16, v16
	s_delay_alu instid0(VALU_DEP_1)
	v_cndmask_b32_e32 v147, 0x7fc0, v16, vcc_lo
	v_cmp_gt_u32_e32 vcc_lo, 32, v21
	ds_store_b16 v22, v147
	s_waitcnt lgkmcnt(0)
	s_barrier
	buffer_gl0_inv
	s_and_saveexec_b32 s27, vcc_lo
	s_cbranch_execz .LBB481_121
; %bb.94:
	v_lshrrev_b32_e32 v16, 3, v21
	s_delay_alu instid0(VALU_DEP_1) | instskip(NEXT) | instid1(VALU_DEP_1)
	v_and_b32_e32 v16, 0x7e, v16
	v_lshl_or_b32 v16, v21, 2, v16
	ds_load_u16 v17, v16 offset:2
	ds_load_u16 v22, v16
	s_waitcnt lgkmcnt(1)
	v_lshlrev_b32_e32 v23, 16, v17
	s_waitcnt lgkmcnt(0)
	s_delay_alu instid0(VALU_DEP_1) | instskip(NEXT) | instid1(VALU_DEP_1)
	v_dual_max_f32 v148, v23, v23 :: v_dual_lshlrev_b32 v17, 16, v22
	v_max_f32_e32 v22, v17, v17
	v_cmp_u_f32_e64 s25, v17, v17
	s_delay_alu instid0(VALU_DEP_2) | instskip(SKIP_2) | instid1(VALU_DEP_3)
	v_min_f32_e32 v149, v22, v148
	v_max_f32_e32 v148, v22, v148
	v_cmp_u_f32_e64 s26, v23, v23
	v_cndmask_b32_e64 v149, v149, v17, s25
	s_delay_alu instid0(VALU_DEP_3) | instskip(NEXT) | instid1(VALU_DEP_2)
	v_cndmask_b32_e64 v148, v148, v17, s25
	v_cndmask_b32_e64 v149, v149, v23, s26
	s_delay_alu instid0(VALU_DEP_2) | instskip(SKIP_1) | instid1(VALU_DEP_3)
	v_cndmask_b32_e64 v23, v148, v23, s26
	v_mov_b32_e32 v148, v17
	v_cmp_class_f32_e64 s29, v149, 0x1f8
	s_delay_alu instid0(VALU_DEP_3) | instskip(NEXT) | instid1(VALU_DEP_1)
	v_cmp_neq_f32_e64 s26, v149, v23
	s_or_b32 s26, s26, s29
	s_delay_alu instid0(SALU_CYCLE_1)
	s_and_saveexec_b32 s29, s26
	s_cbranch_execz .LBB481_96
; %bb.95:
	v_sub_f32_e32 v148, v149, v23
	s_delay_alu instid0(VALU_DEP_1) | instskip(SKIP_1) | instid1(VALU_DEP_2)
	v_mul_f32_e32 v149, 0x3fb8aa3b, v148
	v_cmp_ngt_f32_e64 s26, 0xc2ce8ed0, v148
	v_fma_f32 v150, 0x3fb8aa3b, v148, -v149
	v_rndne_f32_e32 v151, v149
	s_delay_alu instid0(VALU_DEP_1) | instskip(NEXT) | instid1(VALU_DEP_1)
	v_dual_fmamk_f32 v150, v148, 0x32a5705f, v150 :: v_dual_sub_f32 v149, v149, v151
	v_add_f32_e32 v149, v149, v150
	v_cvt_i32_f32_e32 v150, v151
	s_delay_alu instid0(VALU_DEP_2) | instskip(SKIP_2) | instid1(VALU_DEP_1)
	v_exp_f32_e32 v149, v149
	s_waitcnt_depctr 0xfff
	v_ldexp_f32 v149, v149, v150
	v_cndmask_b32_e64 v149, 0, v149, s26
	v_cmp_nlt_f32_e64 s26, 0x42b17218, v148
	s_delay_alu instid0(VALU_DEP_1) | instskip(NEXT) | instid1(VALU_DEP_1)
	v_cndmask_b32_e64 v150, 0x7f800000, v149, s26
	v_add_f32_e32 v151, 1.0, v150
	v_cmp_gt_f32_e64 vcc_hi, 0x33800000, |v150|
	s_delay_alu instid0(VALU_DEP_2) | instskip(NEXT) | instid1(VALU_DEP_1)
	v_cvt_f64_f32_e32 v[148:149], v151
	v_frexp_exp_i32_f64_e32 v148, v[148:149]
	v_frexp_mant_f32_e32 v149, v151
	s_delay_alu instid0(VALU_DEP_1) | instskip(SKIP_1) | instid1(VALU_DEP_1)
	v_cmp_gt_f32_e64 s26, 0x3f2aaaab, v149
	v_add_f32_e32 v149, -1.0, v151
	v_sub_f32_e32 v161, v149, v151
	v_sub_f32_e32 v149, v150, v149
	s_delay_alu instid0(VALU_DEP_4) | instskip(SKIP_1) | instid1(VALU_DEP_1)
	v_subrev_co_ci_u32_e64 v148, s26, 0, v148, s26
	s_mov_b32 s26, 0x3e9b6dac
	v_sub_nc_u32_e32 v160, 0, v148
	v_cvt_f32_i32_e32 v148, v148
	s_delay_alu instid0(VALU_DEP_2) | instskip(NEXT) | instid1(VALU_DEP_1)
	v_ldexp_f32 v151, v151, v160
	v_dual_add_f32 v162, 1.0, v151 :: v_dual_add_f32 v161, 1.0, v161
	s_delay_alu instid0(VALU_DEP_1) | instskip(NEXT) | instid1(VALU_DEP_2)
	v_add_f32_e32 v149, v149, v161
	v_add_f32_e32 v161, -1.0, v162
	s_delay_alu instid0(VALU_DEP_2) | instskip(NEXT) | instid1(VALU_DEP_2)
	v_ldexp_f32 v149, v149, v160
	v_dual_add_f32 v160, -1.0, v151 :: v_dual_sub_f32 v161, v151, v161
	s_delay_alu instid0(VALU_DEP_1) | instskip(NEXT) | instid1(VALU_DEP_2)
	v_add_f32_e32 v163, 1.0, v160
	v_add_f32_e32 v161, v149, v161
	s_delay_alu instid0(VALU_DEP_2) | instskip(NEXT) | instid1(VALU_DEP_2)
	v_sub_f32_e32 v151, v151, v163
	v_add_f32_e32 v163, v162, v161
	s_delay_alu instid0(VALU_DEP_2) | instskip(NEXT) | instid1(VALU_DEP_2)
	v_add_f32_e32 v149, v149, v151
	v_rcp_f32_e32 v151, v163
	v_sub_f32_e32 v162, v162, v163
	s_delay_alu instid0(VALU_DEP_1) | instskip(NEXT) | instid1(VALU_DEP_1)
	v_dual_add_f32 v164, v160, v149 :: v_dual_add_f32 v161, v161, v162
	v_sub_f32_e32 v160, v160, v164
	s_waitcnt_depctr 0xfff
	v_mul_f32_e32 v165, v164, v151
	s_delay_alu instid0(VALU_DEP_1) | instskip(NEXT) | instid1(VALU_DEP_1)
	v_dual_add_f32 v149, v149, v160 :: v_dual_mul_f32 v166, v163, v165
	v_fma_f32 v162, v165, v163, -v166
	s_delay_alu instid0(VALU_DEP_1) | instskip(NEXT) | instid1(VALU_DEP_1)
	v_fmac_f32_e32 v162, v165, v161
	v_add_f32_e32 v167, v166, v162
	s_delay_alu instid0(VALU_DEP_1) | instskip(SKIP_1) | instid1(VALU_DEP_2)
	v_sub_f32_e32 v176, v164, v167
	v_sub_f32_e32 v160, v167, v166
	;; [unrolled: 1-line block ×3, first 2 shown]
	s_delay_alu instid0(VALU_DEP_2) | instskip(NEXT) | instid1(VALU_DEP_2)
	v_sub_f32_e32 v160, v160, v162
	v_sub_f32_e32 v164, v164, v167
	s_delay_alu instid0(VALU_DEP_1) | instskip(NEXT) | instid1(VALU_DEP_1)
	v_add_f32_e32 v149, v149, v164
	v_add_f32_e32 v149, v160, v149
	s_delay_alu instid0(VALU_DEP_1) | instskip(NEXT) | instid1(VALU_DEP_1)
	v_add_f32_e32 v160, v176, v149
	v_mul_f32_e32 v162, v151, v160
	s_delay_alu instid0(VALU_DEP_1) | instskip(NEXT) | instid1(VALU_DEP_1)
	v_dual_sub_f32 v167, v176, v160 :: v_dual_mul_f32 v164, v163, v162
	v_add_f32_e32 v149, v149, v167
	s_delay_alu instid0(VALU_DEP_2) | instskip(NEXT) | instid1(VALU_DEP_1)
	v_fma_f32 v163, v162, v163, -v164
	v_fmac_f32_e32 v163, v162, v161
	s_delay_alu instid0(VALU_DEP_1) | instskip(NEXT) | instid1(VALU_DEP_1)
	v_add_f32_e32 v161, v164, v163
	v_sub_f32_e32 v166, v160, v161
	v_sub_f32_e32 v164, v161, v164
	s_delay_alu instid0(VALU_DEP_2) | instskip(NEXT) | instid1(VALU_DEP_1)
	v_sub_f32_e32 v160, v160, v166
	v_sub_f32_e32 v160, v160, v161
	s_delay_alu instid0(VALU_DEP_3) | instskip(NEXT) | instid1(VALU_DEP_2)
	v_sub_f32_e32 v161, v164, v163
	v_add_f32_e32 v149, v149, v160
	v_add_f32_e32 v160, v165, v162
	s_delay_alu instid0(VALU_DEP_2) | instskip(NEXT) | instid1(VALU_DEP_2)
	v_add_f32_e32 v149, v161, v149
	v_sub_f32_e32 v161, v160, v165
	s_delay_alu instid0(VALU_DEP_2) | instskip(NEXT) | instid1(VALU_DEP_2)
	v_add_f32_e32 v149, v166, v149
	v_sub_f32_e32 v161, v162, v161
	s_delay_alu instid0(VALU_DEP_2) | instskip(NEXT) | instid1(VALU_DEP_1)
	v_mul_f32_e32 v149, v151, v149
	v_add_f32_e32 v149, v161, v149
	s_delay_alu instid0(VALU_DEP_1) | instskip(NEXT) | instid1(VALU_DEP_1)
	v_add_f32_e32 v151, v160, v149
	v_mul_f32_e32 v161, v151, v151
	s_delay_alu instid0(VALU_DEP_1) | instskip(SKIP_2) | instid1(VALU_DEP_3)
	v_fmaak_f32 v162, s26, v161, 0x3ecc95a3
	v_mul_f32_e32 v163, v151, v161
	v_cmp_eq_f32_e64 s26, 0x7f800000, v150
	v_fmaak_f32 v161, v161, v162, 0x3f2aaada
	v_ldexp_f32 v162, v151, 1
	v_sub_f32_e32 v151, v151, v160
	s_delay_alu instid0(VALU_DEP_4) | instskip(NEXT) | instid1(VALU_DEP_3)
	s_or_b32 s26, s26, vcc_hi
	v_mul_f32_e32 v161, v163, v161
	v_mul_f32_e32 v163, 0x3f317218, v148
	s_delay_alu instid0(VALU_DEP_2) | instskip(NEXT) | instid1(VALU_DEP_1)
	v_dual_sub_f32 v149, v149, v151 :: v_dual_add_f32 v160, v162, v161
	v_ldexp_f32 v149, v149, 1
	s_delay_alu instid0(VALU_DEP_2) | instskip(NEXT) | instid1(VALU_DEP_4)
	v_sub_f32_e32 v151, v160, v162
	v_fma_f32 v162, 0x3f317218, v148, -v163
	s_delay_alu instid0(VALU_DEP_1) | instskip(NEXT) | instid1(VALU_DEP_1)
	v_dual_sub_f32 v151, v161, v151 :: v_dual_fmamk_f32 v148, v148, 0xb102e308, v162
	v_add_f32_e32 v149, v149, v151
	s_delay_alu instid0(VALU_DEP_2) | instskip(NEXT) | instid1(VALU_DEP_2)
	v_add_f32_e32 v151, v163, v148
	v_add_f32_e32 v161, v160, v149
	s_delay_alu instid0(VALU_DEP_2) | instskip(NEXT) | instid1(VALU_DEP_2)
	v_sub_f32_e32 v163, v151, v163
	v_add_f32_e32 v162, v151, v161
	v_sub_f32_e32 v160, v161, v160
	s_delay_alu instid0(VALU_DEP_3) | instskip(NEXT) | instid1(VALU_DEP_2)
	v_sub_f32_e32 v148, v148, v163
	v_dual_sub_f32 v164, v162, v151 :: v_dual_sub_f32 v149, v149, v160
	s_delay_alu instid0(VALU_DEP_1) | instskip(NEXT) | instid1(VALU_DEP_2)
	v_sub_f32_e32 v165, v162, v164
	v_dual_sub_f32 v160, v161, v164 :: v_dual_add_f32 v161, v148, v149
	s_delay_alu instid0(VALU_DEP_2) | instskip(NEXT) | instid1(VALU_DEP_1)
	v_sub_f32_e32 v151, v151, v165
	v_dual_add_f32 v151, v160, v151 :: v_dual_sub_f32 v160, v161, v148
	s_delay_alu instid0(VALU_DEP_1) | instskip(NEXT) | instid1(VALU_DEP_2)
	v_add_f32_e32 v151, v161, v151
	v_sub_f32_e32 v161, v161, v160
	v_sub_f32_e32 v149, v149, v160
	s_delay_alu instid0(VALU_DEP_2) | instskip(NEXT) | instid1(VALU_DEP_1)
	v_dual_add_f32 v163, v162, v151 :: v_dual_sub_f32 v148, v148, v161
	v_sub_f32_e32 v160, v163, v162
	s_delay_alu instid0(VALU_DEP_2) | instskip(NEXT) | instid1(VALU_DEP_2)
	v_add_f32_e32 v148, v149, v148
	v_sub_f32_e32 v149, v151, v160
	s_delay_alu instid0(VALU_DEP_1) | instskip(NEXT) | instid1(VALU_DEP_1)
	v_add_f32_e32 v148, v148, v149
	v_add_f32_e32 v148, v163, v148
	s_delay_alu instid0(VALU_DEP_1) | instskip(NEXT) | instid1(VALU_DEP_1)
	v_cndmask_b32_e64 v148, v148, v150, s26
	v_add_f32_e32 v148, v23, v148
.LBB481_96:
	s_or_b32 exec_lo, exec_lo, s29
	s_delay_alu instid0(VALU_DEP_1) | instskip(SKIP_2) | instid1(VALU_DEP_2)
	v_bfe_u32 v23, v148, 16, 1
	v_cmp_o_f32_e64 s26, v148, v148
	s_mov_b32 s29, exec_lo
	v_add3_u32 v23, v148, v23, 0x7fff
	s_delay_alu instid0(VALU_DEP_1) | instskip(NEXT) | instid1(VALU_DEP_1)
	v_lshrrev_b32_e32 v23, 16, v23
	v_cndmask_b32_e64 v149, 0x7fc0, v23, s26
	v_mbcnt_lo_u32_b32 v23, -1, 0
	s_delay_alu instid0(VALU_DEP_2) | instskip(NEXT) | instid1(VALU_DEP_2)
	v_and_b32_e32 v150, 0xffff, v149
	v_and_b32_e32 v148, 15, v23
	s_delay_alu instid0(VALU_DEP_2) | instskip(NEXT) | instid1(VALU_DEP_2)
	v_mov_b32_dpp v151, v150 row_shr:1 row_mask:0xf bank_mask:0xf
	v_cmpx_ne_u32_e32 0, v148
	s_cbranch_execz .LBB481_100
; %bb.97:
	v_lshlrev_b32_e32 v149, 16, v150
	s_delay_alu instid0(VALU_DEP_1) | instskip(NEXT) | instid1(VALU_DEP_1)
	v_dual_max_f32 v151, v149, v149 :: v_dual_lshlrev_b32 v150, 16, v151
	v_max_f32_e32 v160, v150, v150
	v_cmp_u_f32_e64 s26, v150, v150
	s_delay_alu instid0(VALU_DEP_2) | instskip(SKIP_1) | instid1(VALU_DEP_2)
	v_min_f32_e32 v161, v160, v151
	v_max_f32_e32 v151, v160, v151
	v_cndmask_b32_e64 v160, v161, v150, s26
	s_delay_alu instid0(VALU_DEP_2) | instskip(SKIP_1) | instid1(VALU_DEP_1)
	v_cndmask_b32_e64 v161, v151, v150, s26
	v_cmp_u_f32_e64 s26, v149, v149
	v_cndmask_b32_e64 v151, v160, v149, s26
	s_delay_alu instid0(VALU_DEP_3) | instskip(NEXT) | instid1(VALU_DEP_2)
	v_cndmask_b32_e64 v149, v161, v149, s26
	v_cmp_class_f32_e64 vcc_hi, v151, 0x1f8
	s_delay_alu instid0(VALU_DEP_2) | instskip(NEXT) | instid1(VALU_DEP_1)
	v_cmp_neq_f32_e64 s26, v151, v149
	s_or_b32 s26, s26, vcc_hi
	s_delay_alu instid0(SALU_CYCLE_1)
	s_and_saveexec_b32 vcc_hi, s26
	s_cbranch_execz .LBB481_99
; %bb.98:
	v_sub_f32_e32 v150, v151, v149
	s_delay_alu instid0(VALU_DEP_1) | instskip(SKIP_1) | instid1(VALU_DEP_2)
	v_mul_f32_e32 v151, 0x3fb8aa3b, v150
	v_cmp_ngt_f32_e64 s26, 0xc2ce8ed0, v150
	v_fma_f32 v160, 0x3fb8aa3b, v150, -v151
	v_rndne_f32_e32 v161, v151
	s_delay_alu instid0(VALU_DEP_1) | instskip(NEXT) | instid1(VALU_DEP_1)
	v_dual_fmamk_f32 v160, v150, 0x32a5705f, v160 :: v_dual_sub_f32 v151, v151, v161
	v_add_f32_e32 v151, v151, v160
	v_cvt_i32_f32_e32 v160, v161
	s_delay_alu instid0(VALU_DEP_2) | instskip(SKIP_2) | instid1(VALU_DEP_1)
	v_exp_f32_e32 v151, v151
	s_waitcnt_depctr 0xfff
	v_ldexp_f32 v151, v151, v160
	v_cndmask_b32_e64 v151, 0, v151, s26
	v_cmp_nlt_f32_e64 s26, 0x42b17218, v150
	s_delay_alu instid0(VALU_DEP_1) | instskip(NEXT) | instid1(VALU_DEP_1)
	v_cndmask_b32_e64 v160, 0x7f800000, v151, s26
	v_add_f32_e32 v161, 1.0, v160
	v_cmp_gt_f32_e64 s30, 0x33800000, |v160|
	s_delay_alu instid0(VALU_DEP_2) | instskip(NEXT) | instid1(VALU_DEP_1)
	v_cvt_f64_f32_e32 v[150:151], v161
	v_frexp_exp_i32_f64_e32 v150, v[150:151]
	v_frexp_mant_f32_e32 v151, v161
	s_delay_alu instid0(VALU_DEP_1) | instskip(SKIP_1) | instid1(VALU_DEP_1)
	v_cmp_gt_f32_e64 s26, 0x3f2aaaab, v151
	v_add_f32_e32 v151, -1.0, v161
	v_sub_f32_e32 v163, v151, v161
	v_sub_f32_e32 v151, v160, v151
	s_delay_alu instid0(VALU_DEP_4) | instskip(SKIP_1) | instid1(VALU_DEP_1)
	v_subrev_co_ci_u32_e64 v150, s26, 0, v150, s26
	s_mov_b32 s26, 0x3e9b6dac
	v_sub_nc_u32_e32 v162, 0, v150
	v_cvt_f32_i32_e32 v150, v150
	s_delay_alu instid0(VALU_DEP_2) | instskip(NEXT) | instid1(VALU_DEP_1)
	v_ldexp_f32 v161, v161, v162
	v_dual_add_f32 v164, 1.0, v161 :: v_dual_add_f32 v163, 1.0, v163
	s_delay_alu instid0(VALU_DEP_1) | instskip(NEXT) | instid1(VALU_DEP_2)
	v_add_f32_e32 v151, v151, v163
	v_add_f32_e32 v163, -1.0, v164
	s_delay_alu instid0(VALU_DEP_2) | instskip(NEXT) | instid1(VALU_DEP_2)
	v_ldexp_f32 v151, v151, v162
	v_dual_add_f32 v162, -1.0, v161 :: v_dual_sub_f32 v163, v161, v163
	s_delay_alu instid0(VALU_DEP_1) | instskip(NEXT) | instid1(VALU_DEP_2)
	v_add_f32_e32 v165, 1.0, v162
	v_add_f32_e32 v163, v151, v163
	s_delay_alu instid0(VALU_DEP_2) | instskip(NEXT) | instid1(VALU_DEP_2)
	v_sub_f32_e32 v161, v161, v165
	v_add_f32_e32 v165, v164, v163
	s_delay_alu instid0(VALU_DEP_2) | instskip(NEXT) | instid1(VALU_DEP_2)
	v_add_f32_e32 v151, v151, v161
	v_rcp_f32_e32 v161, v165
	v_sub_f32_e32 v164, v164, v165
	s_delay_alu instid0(VALU_DEP_1) | instskip(NEXT) | instid1(VALU_DEP_1)
	v_dual_add_f32 v166, v162, v151 :: v_dual_add_f32 v163, v163, v164
	v_sub_f32_e32 v162, v162, v166
	s_waitcnt_depctr 0xfff
	v_mul_f32_e32 v167, v166, v161
	s_delay_alu instid0(VALU_DEP_1) | instskip(NEXT) | instid1(VALU_DEP_1)
	v_dual_add_f32 v151, v151, v162 :: v_dual_mul_f32 v176, v165, v167
	v_fma_f32 v164, v167, v165, -v176
	s_delay_alu instid0(VALU_DEP_1) | instskip(NEXT) | instid1(VALU_DEP_1)
	v_fmac_f32_e32 v164, v167, v163
	v_add_f32_e32 v177, v176, v164
	s_delay_alu instid0(VALU_DEP_1) | instskip(SKIP_1) | instid1(VALU_DEP_2)
	v_sub_f32_e32 v178, v166, v177
	v_sub_f32_e32 v162, v177, v176
	;; [unrolled: 1-line block ×3, first 2 shown]
	s_delay_alu instid0(VALU_DEP_2) | instskip(NEXT) | instid1(VALU_DEP_2)
	v_sub_f32_e32 v162, v162, v164
	v_sub_f32_e32 v166, v166, v177
	s_delay_alu instid0(VALU_DEP_1) | instskip(NEXT) | instid1(VALU_DEP_1)
	v_add_f32_e32 v151, v151, v166
	v_add_f32_e32 v151, v162, v151
	s_delay_alu instid0(VALU_DEP_1) | instskip(NEXT) | instid1(VALU_DEP_1)
	v_add_f32_e32 v162, v178, v151
	v_mul_f32_e32 v164, v161, v162
	s_delay_alu instid0(VALU_DEP_1) | instskip(NEXT) | instid1(VALU_DEP_1)
	v_dual_sub_f32 v177, v178, v162 :: v_dual_mul_f32 v166, v165, v164
	v_add_f32_e32 v151, v151, v177
	s_delay_alu instid0(VALU_DEP_2) | instskip(NEXT) | instid1(VALU_DEP_1)
	v_fma_f32 v165, v164, v165, -v166
	v_fmac_f32_e32 v165, v164, v163
	s_delay_alu instid0(VALU_DEP_1) | instskip(NEXT) | instid1(VALU_DEP_1)
	v_add_f32_e32 v163, v166, v165
	v_sub_f32_e32 v176, v162, v163
	v_sub_f32_e32 v166, v163, v166
	s_delay_alu instid0(VALU_DEP_2) | instskip(NEXT) | instid1(VALU_DEP_1)
	v_sub_f32_e32 v162, v162, v176
	v_sub_f32_e32 v162, v162, v163
	s_delay_alu instid0(VALU_DEP_3) | instskip(NEXT) | instid1(VALU_DEP_2)
	v_sub_f32_e32 v163, v166, v165
	v_add_f32_e32 v151, v151, v162
	v_add_f32_e32 v162, v167, v164
	s_delay_alu instid0(VALU_DEP_2) | instskip(NEXT) | instid1(VALU_DEP_2)
	v_add_f32_e32 v151, v163, v151
	v_sub_f32_e32 v163, v162, v167
	s_delay_alu instid0(VALU_DEP_2) | instskip(NEXT) | instid1(VALU_DEP_2)
	v_add_f32_e32 v151, v176, v151
	v_sub_f32_e32 v163, v164, v163
	s_delay_alu instid0(VALU_DEP_2) | instskip(NEXT) | instid1(VALU_DEP_1)
	v_mul_f32_e32 v151, v161, v151
	v_add_f32_e32 v151, v163, v151
	s_delay_alu instid0(VALU_DEP_1) | instskip(NEXT) | instid1(VALU_DEP_1)
	v_add_f32_e32 v161, v162, v151
	v_mul_f32_e32 v163, v161, v161
	s_delay_alu instid0(VALU_DEP_1) | instskip(SKIP_2) | instid1(VALU_DEP_3)
	v_fmaak_f32 v164, s26, v163, 0x3ecc95a3
	v_mul_f32_e32 v165, v161, v163
	v_cmp_eq_f32_e64 s26, 0x7f800000, v160
	v_fmaak_f32 v163, v163, v164, 0x3f2aaada
	v_ldexp_f32 v164, v161, 1
	v_sub_f32_e32 v161, v161, v162
	s_delay_alu instid0(VALU_DEP_4) | instskip(NEXT) | instid1(VALU_DEP_3)
	s_or_b32 s26, s26, s30
	v_mul_f32_e32 v163, v165, v163
	v_mul_f32_e32 v165, 0x3f317218, v150
	s_delay_alu instid0(VALU_DEP_2) | instskip(NEXT) | instid1(VALU_DEP_1)
	v_dual_sub_f32 v151, v151, v161 :: v_dual_add_f32 v162, v164, v163
	v_ldexp_f32 v151, v151, 1
	s_delay_alu instid0(VALU_DEP_2) | instskip(NEXT) | instid1(VALU_DEP_4)
	v_sub_f32_e32 v161, v162, v164
	v_fma_f32 v164, 0x3f317218, v150, -v165
	s_delay_alu instid0(VALU_DEP_1) | instskip(NEXT) | instid1(VALU_DEP_1)
	v_dual_sub_f32 v161, v163, v161 :: v_dual_fmamk_f32 v150, v150, 0xb102e308, v164
	v_add_f32_e32 v151, v151, v161
	s_delay_alu instid0(VALU_DEP_2) | instskip(NEXT) | instid1(VALU_DEP_2)
	v_add_f32_e32 v161, v165, v150
	v_add_f32_e32 v163, v162, v151
	s_delay_alu instid0(VALU_DEP_2) | instskip(NEXT) | instid1(VALU_DEP_2)
	v_sub_f32_e32 v165, v161, v165
	v_add_f32_e32 v164, v161, v163
	v_sub_f32_e32 v162, v163, v162
	s_delay_alu instid0(VALU_DEP_3) | instskip(NEXT) | instid1(VALU_DEP_2)
	v_sub_f32_e32 v150, v150, v165
	v_dual_sub_f32 v166, v164, v161 :: v_dual_sub_f32 v151, v151, v162
	s_delay_alu instid0(VALU_DEP_1) | instskip(NEXT) | instid1(VALU_DEP_2)
	v_sub_f32_e32 v167, v164, v166
	v_dual_sub_f32 v162, v163, v166 :: v_dual_add_f32 v163, v150, v151
	s_delay_alu instid0(VALU_DEP_2) | instskip(NEXT) | instid1(VALU_DEP_1)
	v_sub_f32_e32 v161, v161, v167
	v_dual_add_f32 v161, v162, v161 :: v_dual_sub_f32 v162, v163, v150
	s_delay_alu instid0(VALU_DEP_1) | instskip(NEXT) | instid1(VALU_DEP_2)
	v_add_f32_e32 v161, v163, v161
	v_sub_f32_e32 v163, v163, v162
	v_sub_f32_e32 v151, v151, v162
	s_delay_alu instid0(VALU_DEP_2) | instskip(NEXT) | instid1(VALU_DEP_1)
	v_dual_add_f32 v165, v164, v161 :: v_dual_sub_f32 v150, v150, v163
	v_sub_f32_e32 v162, v165, v164
	s_delay_alu instid0(VALU_DEP_2) | instskip(NEXT) | instid1(VALU_DEP_2)
	v_add_f32_e32 v150, v151, v150
	v_sub_f32_e32 v151, v161, v162
	s_delay_alu instid0(VALU_DEP_1) | instskip(NEXT) | instid1(VALU_DEP_1)
	v_add_f32_e32 v150, v150, v151
	v_add_f32_e32 v150, v165, v150
	s_delay_alu instid0(VALU_DEP_1) | instskip(NEXT) | instid1(VALU_DEP_1)
	v_cndmask_b32_e64 v150, v150, v160, s26
	v_add_f32_e32 v150, v149, v150
.LBB481_99:
	s_or_b32 exec_lo, exec_lo, vcc_hi
	s_delay_alu instid0(VALU_DEP_1) | instskip(SKIP_1) | instid1(VALU_DEP_2)
	v_bfe_u32 v149, v150, 16, 1
	v_cmp_o_f32_e64 s26, v150, v150
	v_add3_u32 v149, v150, v149, 0x7fff
	s_delay_alu instid0(VALU_DEP_1) | instskip(NEXT) | instid1(VALU_DEP_1)
	v_lshrrev_b32_e32 v149, 16, v149
	v_cndmask_b32_e64 v149, 0x7fc0, v149, s26
	s_delay_alu instid0(VALU_DEP_1)
	v_and_b32_e32 v150, 0xffff, v149
.LBB481_100:
	s_or_b32 exec_lo, exec_lo, s29
	s_delay_alu instid0(VALU_DEP_1)
	v_mov_b32_dpp v151, v150 row_shr:2 row_mask:0xf bank_mask:0xf
	s_mov_b32 s29, exec_lo
	v_cmpx_lt_u32_e32 1, v148
	s_cbranch_execz .LBB481_104
; %bb.101:
	v_lshlrev_b32_e32 v149, 16, v150
	s_delay_alu instid0(VALU_DEP_1) | instskip(NEXT) | instid1(VALU_DEP_1)
	v_dual_max_f32 v151, v149, v149 :: v_dual_lshlrev_b32 v150, 16, v151
	v_max_f32_e32 v160, v150, v150
	v_cmp_u_f32_e64 s26, v150, v150
	s_delay_alu instid0(VALU_DEP_2) | instskip(SKIP_1) | instid1(VALU_DEP_2)
	v_min_f32_e32 v161, v160, v151
	v_max_f32_e32 v151, v160, v151
	v_cndmask_b32_e64 v160, v161, v150, s26
	s_delay_alu instid0(VALU_DEP_2) | instskip(SKIP_1) | instid1(VALU_DEP_1)
	v_cndmask_b32_e64 v161, v151, v150, s26
	v_cmp_u_f32_e64 s26, v149, v149
	v_cndmask_b32_e64 v151, v160, v149, s26
	s_delay_alu instid0(VALU_DEP_3) | instskip(NEXT) | instid1(VALU_DEP_2)
	v_cndmask_b32_e64 v149, v161, v149, s26
	v_cmp_class_f32_e64 vcc_hi, v151, 0x1f8
	s_delay_alu instid0(VALU_DEP_2) | instskip(NEXT) | instid1(VALU_DEP_1)
	v_cmp_neq_f32_e64 s26, v151, v149
	s_or_b32 s26, s26, vcc_hi
	s_delay_alu instid0(SALU_CYCLE_1)
	s_and_saveexec_b32 vcc_hi, s26
	s_cbranch_execz .LBB481_103
; %bb.102:
	v_sub_f32_e32 v150, v151, v149
	s_delay_alu instid0(VALU_DEP_1) | instskip(SKIP_1) | instid1(VALU_DEP_2)
	v_mul_f32_e32 v151, 0x3fb8aa3b, v150
	v_cmp_ngt_f32_e64 s26, 0xc2ce8ed0, v150
	v_fma_f32 v160, 0x3fb8aa3b, v150, -v151
	v_rndne_f32_e32 v161, v151
	s_delay_alu instid0(VALU_DEP_1) | instskip(NEXT) | instid1(VALU_DEP_1)
	v_dual_fmamk_f32 v160, v150, 0x32a5705f, v160 :: v_dual_sub_f32 v151, v151, v161
	v_add_f32_e32 v151, v151, v160
	v_cvt_i32_f32_e32 v160, v161
	s_delay_alu instid0(VALU_DEP_2) | instskip(SKIP_2) | instid1(VALU_DEP_1)
	v_exp_f32_e32 v151, v151
	s_waitcnt_depctr 0xfff
	v_ldexp_f32 v151, v151, v160
	v_cndmask_b32_e64 v151, 0, v151, s26
	v_cmp_nlt_f32_e64 s26, 0x42b17218, v150
	s_delay_alu instid0(VALU_DEP_1) | instskip(NEXT) | instid1(VALU_DEP_1)
	v_cndmask_b32_e64 v160, 0x7f800000, v151, s26
	v_add_f32_e32 v161, 1.0, v160
	v_cmp_gt_f32_e64 s30, 0x33800000, |v160|
	s_delay_alu instid0(VALU_DEP_2) | instskip(NEXT) | instid1(VALU_DEP_1)
	v_cvt_f64_f32_e32 v[150:151], v161
	v_frexp_exp_i32_f64_e32 v150, v[150:151]
	v_frexp_mant_f32_e32 v151, v161
	s_delay_alu instid0(VALU_DEP_1) | instskip(SKIP_1) | instid1(VALU_DEP_1)
	v_cmp_gt_f32_e64 s26, 0x3f2aaaab, v151
	v_add_f32_e32 v151, -1.0, v161
	v_sub_f32_e32 v163, v151, v161
	v_sub_f32_e32 v151, v160, v151
	s_delay_alu instid0(VALU_DEP_4) | instskip(SKIP_1) | instid1(VALU_DEP_1)
	v_subrev_co_ci_u32_e64 v150, s26, 0, v150, s26
	s_mov_b32 s26, 0x3e9b6dac
	v_sub_nc_u32_e32 v162, 0, v150
	v_cvt_f32_i32_e32 v150, v150
	s_delay_alu instid0(VALU_DEP_2) | instskip(NEXT) | instid1(VALU_DEP_1)
	v_ldexp_f32 v161, v161, v162
	v_dual_add_f32 v164, 1.0, v161 :: v_dual_add_f32 v163, 1.0, v163
	s_delay_alu instid0(VALU_DEP_1) | instskip(NEXT) | instid1(VALU_DEP_2)
	v_add_f32_e32 v151, v151, v163
	v_add_f32_e32 v163, -1.0, v164
	s_delay_alu instid0(VALU_DEP_2) | instskip(NEXT) | instid1(VALU_DEP_2)
	v_ldexp_f32 v151, v151, v162
	v_dual_add_f32 v162, -1.0, v161 :: v_dual_sub_f32 v163, v161, v163
	s_delay_alu instid0(VALU_DEP_1) | instskip(NEXT) | instid1(VALU_DEP_2)
	v_add_f32_e32 v165, 1.0, v162
	v_add_f32_e32 v163, v151, v163
	s_delay_alu instid0(VALU_DEP_2) | instskip(NEXT) | instid1(VALU_DEP_2)
	v_sub_f32_e32 v161, v161, v165
	v_add_f32_e32 v165, v164, v163
	s_delay_alu instid0(VALU_DEP_2) | instskip(NEXT) | instid1(VALU_DEP_2)
	v_add_f32_e32 v151, v151, v161
	v_rcp_f32_e32 v161, v165
	v_sub_f32_e32 v164, v164, v165
	s_delay_alu instid0(VALU_DEP_1) | instskip(NEXT) | instid1(VALU_DEP_1)
	v_dual_add_f32 v166, v162, v151 :: v_dual_add_f32 v163, v163, v164
	v_sub_f32_e32 v162, v162, v166
	s_waitcnt_depctr 0xfff
	v_mul_f32_e32 v167, v166, v161
	s_delay_alu instid0(VALU_DEP_1) | instskip(NEXT) | instid1(VALU_DEP_1)
	v_dual_add_f32 v151, v151, v162 :: v_dual_mul_f32 v176, v165, v167
	v_fma_f32 v164, v167, v165, -v176
	s_delay_alu instid0(VALU_DEP_1) | instskip(NEXT) | instid1(VALU_DEP_1)
	v_fmac_f32_e32 v164, v167, v163
	v_add_f32_e32 v177, v176, v164
	s_delay_alu instid0(VALU_DEP_1) | instskip(SKIP_1) | instid1(VALU_DEP_2)
	v_sub_f32_e32 v178, v166, v177
	v_sub_f32_e32 v162, v177, v176
	;; [unrolled: 1-line block ×3, first 2 shown]
	s_delay_alu instid0(VALU_DEP_2) | instskip(NEXT) | instid1(VALU_DEP_2)
	v_sub_f32_e32 v162, v162, v164
	v_sub_f32_e32 v166, v166, v177
	s_delay_alu instid0(VALU_DEP_1) | instskip(NEXT) | instid1(VALU_DEP_1)
	v_add_f32_e32 v151, v151, v166
	v_add_f32_e32 v151, v162, v151
	s_delay_alu instid0(VALU_DEP_1) | instskip(NEXT) | instid1(VALU_DEP_1)
	v_add_f32_e32 v162, v178, v151
	v_mul_f32_e32 v164, v161, v162
	s_delay_alu instid0(VALU_DEP_1) | instskip(NEXT) | instid1(VALU_DEP_1)
	v_dual_sub_f32 v177, v178, v162 :: v_dual_mul_f32 v166, v165, v164
	v_add_f32_e32 v151, v151, v177
	s_delay_alu instid0(VALU_DEP_2) | instskip(NEXT) | instid1(VALU_DEP_1)
	v_fma_f32 v165, v164, v165, -v166
	v_fmac_f32_e32 v165, v164, v163
	s_delay_alu instid0(VALU_DEP_1) | instskip(NEXT) | instid1(VALU_DEP_1)
	v_add_f32_e32 v163, v166, v165
	v_sub_f32_e32 v176, v162, v163
	v_sub_f32_e32 v166, v163, v166
	s_delay_alu instid0(VALU_DEP_2) | instskip(NEXT) | instid1(VALU_DEP_1)
	v_sub_f32_e32 v162, v162, v176
	v_sub_f32_e32 v162, v162, v163
	s_delay_alu instid0(VALU_DEP_3) | instskip(NEXT) | instid1(VALU_DEP_2)
	v_sub_f32_e32 v163, v166, v165
	v_add_f32_e32 v151, v151, v162
	v_add_f32_e32 v162, v167, v164
	s_delay_alu instid0(VALU_DEP_2) | instskip(NEXT) | instid1(VALU_DEP_2)
	v_add_f32_e32 v151, v163, v151
	v_sub_f32_e32 v163, v162, v167
	s_delay_alu instid0(VALU_DEP_2) | instskip(NEXT) | instid1(VALU_DEP_2)
	v_add_f32_e32 v151, v176, v151
	v_sub_f32_e32 v163, v164, v163
	s_delay_alu instid0(VALU_DEP_2) | instskip(NEXT) | instid1(VALU_DEP_1)
	v_mul_f32_e32 v151, v161, v151
	v_add_f32_e32 v151, v163, v151
	s_delay_alu instid0(VALU_DEP_1) | instskip(NEXT) | instid1(VALU_DEP_1)
	v_add_f32_e32 v161, v162, v151
	v_mul_f32_e32 v163, v161, v161
	s_delay_alu instid0(VALU_DEP_1) | instskip(SKIP_2) | instid1(VALU_DEP_3)
	v_fmaak_f32 v164, s26, v163, 0x3ecc95a3
	v_mul_f32_e32 v165, v161, v163
	v_cmp_eq_f32_e64 s26, 0x7f800000, v160
	v_fmaak_f32 v163, v163, v164, 0x3f2aaada
	v_ldexp_f32 v164, v161, 1
	v_sub_f32_e32 v161, v161, v162
	s_delay_alu instid0(VALU_DEP_4) | instskip(NEXT) | instid1(VALU_DEP_3)
	s_or_b32 s26, s26, s30
	v_mul_f32_e32 v163, v165, v163
	v_mul_f32_e32 v165, 0x3f317218, v150
	s_delay_alu instid0(VALU_DEP_2) | instskip(NEXT) | instid1(VALU_DEP_1)
	v_dual_sub_f32 v151, v151, v161 :: v_dual_add_f32 v162, v164, v163
	v_ldexp_f32 v151, v151, 1
	s_delay_alu instid0(VALU_DEP_2) | instskip(NEXT) | instid1(VALU_DEP_4)
	v_sub_f32_e32 v161, v162, v164
	v_fma_f32 v164, 0x3f317218, v150, -v165
	s_delay_alu instid0(VALU_DEP_1) | instskip(NEXT) | instid1(VALU_DEP_1)
	v_dual_sub_f32 v161, v163, v161 :: v_dual_fmamk_f32 v150, v150, 0xb102e308, v164
	v_add_f32_e32 v151, v151, v161
	s_delay_alu instid0(VALU_DEP_2) | instskip(NEXT) | instid1(VALU_DEP_2)
	v_add_f32_e32 v161, v165, v150
	v_add_f32_e32 v163, v162, v151
	s_delay_alu instid0(VALU_DEP_2) | instskip(NEXT) | instid1(VALU_DEP_2)
	v_sub_f32_e32 v165, v161, v165
	v_add_f32_e32 v164, v161, v163
	v_sub_f32_e32 v162, v163, v162
	s_delay_alu instid0(VALU_DEP_3) | instskip(NEXT) | instid1(VALU_DEP_2)
	v_sub_f32_e32 v150, v150, v165
	v_dual_sub_f32 v166, v164, v161 :: v_dual_sub_f32 v151, v151, v162
	s_delay_alu instid0(VALU_DEP_1) | instskip(NEXT) | instid1(VALU_DEP_2)
	v_sub_f32_e32 v167, v164, v166
	v_dual_sub_f32 v162, v163, v166 :: v_dual_add_f32 v163, v150, v151
	s_delay_alu instid0(VALU_DEP_2) | instskip(NEXT) | instid1(VALU_DEP_1)
	v_sub_f32_e32 v161, v161, v167
	v_dual_add_f32 v161, v162, v161 :: v_dual_sub_f32 v162, v163, v150
	s_delay_alu instid0(VALU_DEP_1) | instskip(NEXT) | instid1(VALU_DEP_2)
	v_add_f32_e32 v161, v163, v161
	v_sub_f32_e32 v163, v163, v162
	v_sub_f32_e32 v151, v151, v162
	s_delay_alu instid0(VALU_DEP_2) | instskip(NEXT) | instid1(VALU_DEP_1)
	v_dual_add_f32 v165, v164, v161 :: v_dual_sub_f32 v150, v150, v163
	v_sub_f32_e32 v162, v165, v164
	s_delay_alu instid0(VALU_DEP_2) | instskip(NEXT) | instid1(VALU_DEP_2)
	v_add_f32_e32 v150, v151, v150
	v_sub_f32_e32 v151, v161, v162
	s_delay_alu instid0(VALU_DEP_1) | instskip(NEXT) | instid1(VALU_DEP_1)
	v_add_f32_e32 v150, v150, v151
	v_add_f32_e32 v150, v165, v150
	s_delay_alu instid0(VALU_DEP_1) | instskip(NEXT) | instid1(VALU_DEP_1)
	v_cndmask_b32_e64 v150, v150, v160, s26
	v_add_f32_e32 v150, v149, v150
.LBB481_103:
	s_or_b32 exec_lo, exec_lo, vcc_hi
	s_delay_alu instid0(VALU_DEP_1) | instskip(SKIP_1) | instid1(VALU_DEP_2)
	v_bfe_u32 v149, v150, 16, 1
	v_cmp_o_f32_e64 s26, v150, v150
	v_add3_u32 v149, v150, v149, 0x7fff
	s_delay_alu instid0(VALU_DEP_1) | instskip(NEXT) | instid1(VALU_DEP_1)
	v_lshrrev_b32_e32 v149, 16, v149
	v_cndmask_b32_e64 v149, 0x7fc0, v149, s26
	s_delay_alu instid0(VALU_DEP_1)
	v_and_b32_e32 v150, 0xffff, v149
.LBB481_104:
	s_or_b32 exec_lo, exec_lo, s29
	s_delay_alu instid0(VALU_DEP_1)
	v_mov_b32_dpp v151, v150 row_shr:4 row_mask:0xf bank_mask:0xf
	s_mov_b32 s29, exec_lo
	v_cmpx_lt_u32_e32 3, v148
	s_cbranch_execz .LBB481_108
; %bb.105:
	v_lshlrev_b32_e32 v149, 16, v150
	s_delay_alu instid0(VALU_DEP_1) | instskip(NEXT) | instid1(VALU_DEP_1)
	v_dual_max_f32 v151, v149, v149 :: v_dual_lshlrev_b32 v150, 16, v151
	v_max_f32_e32 v160, v150, v150
	v_cmp_u_f32_e64 s26, v150, v150
	s_delay_alu instid0(VALU_DEP_2) | instskip(SKIP_1) | instid1(VALU_DEP_2)
	v_min_f32_e32 v161, v160, v151
	v_max_f32_e32 v151, v160, v151
	v_cndmask_b32_e64 v160, v161, v150, s26
	s_delay_alu instid0(VALU_DEP_2) | instskip(SKIP_1) | instid1(VALU_DEP_1)
	v_cndmask_b32_e64 v161, v151, v150, s26
	v_cmp_u_f32_e64 s26, v149, v149
	v_cndmask_b32_e64 v151, v160, v149, s26
	s_delay_alu instid0(VALU_DEP_3) | instskip(NEXT) | instid1(VALU_DEP_2)
	v_cndmask_b32_e64 v149, v161, v149, s26
	v_cmp_class_f32_e64 vcc_hi, v151, 0x1f8
	s_delay_alu instid0(VALU_DEP_2) | instskip(NEXT) | instid1(VALU_DEP_1)
	v_cmp_neq_f32_e64 s26, v151, v149
	s_or_b32 s26, s26, vcc_hi
	s_delay_alu instid0(SALU_CYCLE_1)
	s_and_saveexec_b32 vcc_hi, s26
	s_cbranch_execz .LBB481_107
; %bb.106:
	v_sub_f32_e32 v150, v151, v149
	s_delay_alu instid0(VALU_DEP_1) | instskip(SKIP_1) | instid1(VALU_DEP_2)
	v_mul_f32_e32 v151, 0x3fb8aa3b, v150
	v_cmp_ngt_f32_e64 s26, 0xc2ce8ed0, v150
	v_fma_f32 v160, 0x3fb8aa3b, v150, -v151
	v_rndne_f32_e32 v161, v151
	s_delay_alu instid0(VALU_DEP_1) | instskip(NEXT) | instid1(VALU_DEP_1)
	v_dual_fmamk_f32 v160, v150, 0x32a5705f, v160 :: v_dual_sub_f32 v151, v151, v161
	v_add_f32_e32 v151, v151, v160
	v_cvt_i32_f32_e32 v160, v161
	s_delay_alu instid0(VALU_DEP_2) | instskip(SKIP_2) | instid1(VALU_DEP_1)
	v_exp_f32_e32 v151, v151
	s_waitcnt_depctr 0xfff
	v_ldexp_f32 v151, v151, v160
	v_cndmask_b32_e64 v151, 0, v151, s26
	v_cmp_nlt_f32_e64 s26, 0x42b17218, v150
	s_delay_alu instid0(VALU_DEP_1) | instskip(NEXT) | instid1(VALU_DEP_1)
	v_cndmask_b32_e64 v160, 0x7f800000, v151, s26
	v_add_f32_e32 v161, 1.0, v160
	v_cmp_gt_f32_e64 s30, 0x33800000, |v160|
	s_delay_alu instid0(VALU_DEP_2) | instskip(NEXT) | instid1(VALU_DEP_1)
	v_cvt_f64_f32_e32 v[150:151], v161
	v_frexp_exp_i32_f64_e32 v150, v[150:151]
	v_frexp_mant_f32_e32 v151, v161
	s_delay_alu instid0(VALU_DEP_1) | instskip(SKIP_1) | instid1(VALU_DEP_1)
	v_cmp_gt_f32_e64 s26, 0x3f2aaaab, v151
	v_add_f32_e32 v151, -1.0, v161
	v_sub_f32_e32 v163, v151, v161
	v_sub_f32_e32 v151, v160, v151
	s_delay_alu instid0(VALU_DEP_4) | instskip(SKIP_1) | instid1(VALU_DEP_1)
	v_subrev_co_ci_u32_e64 v150, s26, 0, v150, s26
	s_mov_b32 s26, 0x3e9b6dac
	v_sub_nc_u32_e32 v162, 0, v150
	v_cvt_f32_i32_e32 v150, v150
	s_delay_alu instid0(VALU_DEP_2) | instskip(NEXT) | instid1(VALU_DEP_1)
	v_ldexp_f32 v161, v161, v162
	v_dual_add_f32 v164, 1.0, v161 :: v_dual_add_f32 v163, 1.0, v163
	s_delay_alu instid0(VALU_DEP_1) | instskip(NEXT) | instid1(VALU_DEP_2)
	v_add_f32_e32 v151, v151, v163
	v_add_f32_e32 v163, -1.0, v164
	s_delay_alu instid0(VALU_DEP_2) | instskip(NEXT) | instid1(VALU_DEP_2)
	v_ldexp_f32 v151, v151, v162
	v_dual_add_f32 v162, -1.0, v161 :: v_dual_sub_f32 v163, v161, v163
	s_delay_alu instid0(VALU_DEP_1) | instskip(NEXT) | instid1(VALU_DEP_2)
	v_add_f32_e32 v165, 1.0, v162
	v_add_f32_e32 v163, v151, v163
	s_delay_alu instid0(VALU_DEP_2) | instskip(NEXT) | instid1(VALU_DEP_2)
	v_sub_f32_e32 v161, v161, v165
	v_add_f32_e32 v165, v164, v163
	s_delay_alu instid0(VALU_DEP_2) | instskip(NEXT) | instid1(VALU_DEP_2)
	v_add_f32_e32 v151, v151, v161
	v_rcp_f32_e32 v161, v165
	v_sub_f32_e32 v164, v164, v165
	s_delay_alu instid0(VALU_DEP_1) | instskip(NEXT) | instid1(VALU_DEP_1)
	v_dual_add_f32 v166, v162, v151 :: v_dual_add_f32 v163, v163, v164
	v_sub_f32_e32 v162, v162, v166
	s_waitcnt_depctr 0xfff
	v_mul_f32_e32 v167, v166, v161
	s_delay_alu instid0(VALU_DEP_1) | instskip(NEXT) | instid1(VALU_DEP_1)
	v_dual_add_f32 v151, v151, v162 :: v_dual_mul_f32 v176, v165, v167
	v_fma_f32 v164, v167, v165, -v176
	s_delay_alu instid0(VALU_DEP_1) | instskip(NEXT) | instid1(VALU_DEP_1)
	v_fmac_f32_e32 v164, v167, v163
	v_add_f32_e32 v177, v176, v164
	s_delay_alu instid0(VALU_DEP_1) | instskip(SKIP_1) | instid1(VALU_DEP_2)
	v_sub_f32_e32 v178, v166, v177
	v_sub_f32_e32 v162, v177, v176
	;; [unrolled: 1-line block ×3, first 2 shown]
	s_delay_alu instid0(VALU_DEP_2) | instskip(NEXT) | instid1(VALU_DEP_2)
	v_sub_f32_e32 v162, v162, v164
	v_sub_f32_e32 v166, v166, v177
	s_delay_alu instid0(VALU_DEP_1) | instskip(NEXT) | instid1(VALU_DEP_1)
	v_add_f32_e32 v151, v151, v166
	v_add_f32_e32 v151, v162, v151
	s_delay_alu instid0(VALU_DEP_1) | instskip(NEXT) | instid1(VALU_DEP_1)
	v_add_f32_e32 v162, v178, v151
	v_mul_f32_e32 v164, v161, v162
	s_delay_alu instid0(VALU_DEP_1) | instskip(NEXT) | instid1(VALU_DEP_1)
	v_dual_sub_f32 v177, v178, v162 :: v_dual_mul_f32 v166, v165, v164
	v_add_f32_e32 v151, v151, v177
	s_delay_alu instid0(VALU_DEP_2) | instskip(NEXT) | instid1(VALU_DEP_1)
	v_fma_f32 v165, v164, v165, -v166
	v_fmac_f32_e32 v165, v164, v163
	s_delay_alu instid0(VALU_DEP_1) | instskip(NEXT) | instid1(VALU_DEP_1)
	v_add_f32_e32 v163, v166, v165
	v_sub_f32_e32 v176, v162, v163
	v_sub_f32_e32 v166, v163, v166
	s_delay_alu instid0(VALU_DEP_2) | instskip(NEXT) | instid1(VALU_DEP_1)
	v_sub_f32_e32 v162, v162, v176
	v_sub_f32_e32 v162, v162, v163
	s_delay_alu instid0(VALU_DEP_3) | instskip(NEXT) | instid1(VALU_DEP_2)
	v_sub_f32_e32 v163, v166, v165
	v_add_f32_e32 v151, v151, v162
	v_add_f32_e32 v162, v167, v164
	s_delay_alu instid0(VALU_DEP_2) | instskip(NEXT) | instid1(VALU_DEP_2)
	v_add_f32_e32 v151, v163, v151
	v_sub_f32_e32 v163, v162, v167
	s_delay_alu instid0(VALU_DEP_2) | instskip(NEXT) | instid1(VALU_DEP_2)
	v_add_f32_e32 v151, v176, v151
	v_sub_f32_e32 v163, v164, v163
	s_delay_alu instid0(VALU_DEP_2) | instskip(NEXT) | instid1(VALU_DEP_1)
	v_mul_f32_e32 v151, v161, v151
	v_add_f32_e32 v151, v163, v151
	s_delay_alu instid0(VALU_DEP_1) | instskip(NEXT) | instid1(VALU_DEP_1)
	v_add_f32_e32 v161, v162, v151
	v_mul_f32_e32 v163, v161, v161
	s_delay_alu instid0(VALU_DEP_1) | instskip(SKIP_2) | instid1(VALU_DEP_3)
	v_fmaak_f32 v164, s26, v163, 0x3ecc95a3
	v_mul_f32_e32 v165, v161, v163
	v_cmp_eq_f32_e64 s26, 0x7f800000, v160
	v_fmaak_f32 v163, v163, v164, 0x3f2aaada
	v_ldexp_f32 v164, v161, 1
	v_sub_f32_e32 v161, v161, v162
	s_delay_alu instid0(VALU_DEP_4) | instskip(NEXT) | instid1(VALU_DEP_3)
	s_or_b32 s26, s26, s30
	v_mul_f32_e32 v163, v165, v163
	v_mul_f32_e32 v165, 0x3f317218, v150
	s_delay_alu instid0(VALU_DEP_2) | instskip(NEXT) | instid1(VALU_DEP_1)
	v_dual_sub_f32 v151, v151, v161 :: v_dual_add_f32 v162, v164, v163
	v_ldexp_f32 v151, v151, 1
	s_delay_alu instid0(VALU_DEP_2) | instskip(NEXT) | instid1(VALU_DEP_4)
	v_sub_f32_e32 v161, v162, v164
	v_fma_f32 v164, 0x3f317218, v150, -v165
	s_delay_alu instid0(VALU_DEP_1) | instskip(NEXT) | instid1(VALU_DEP_1)
	v_dual_sub_f32 v161, v163, v161 :: v_dual_fmamk_f32 v150, v150, 0xb102e308, v164
	v_add_f32_e32 v151, v151, v161
	s_delay_alu instid0(VALU_DEP_2) | instskip(NEXT) | instid1(VALU_DEP_2)
	v_add_f32_e32 v161, v165, v150
	v_add_f32_e32 v163, v162, v151
	s_delay_alu instid0(VALU_DEP_2) | instskip(NEXT) | instid1(VALU_DEP_2)
	v_sub_f32_e32 v165, v161, v165
	v_add_f32_e32 v164, v161, v163
	v_sub_f32_e32 v162, v163, v162
	s_delay_alu instid0(VALU_DEP_3) | instskip(NEXT) | instid1(VALU_DEP_2)
	v_sub_f32_e32 v150, v150, v165
	v_dual_sub_f32 v166, v164, v161 :: v_dual_sub_f32 v151, v151, v162
	s_delay_alu instid0(VALU_DEP_1) | instskip(NEXT) | instid1(VALU_DEP_2)
	v_sub_f32_e32 v167, v164, v166
	v_dual_sub_f32 v162, v163, v166 :: v_dual_add_f32 v163, v150, v151
	s_delay_alu instid0(VALU_DEP_2) | instskip(NEXT) | instid1(VALU_DEP_1)
	v_sub_f32_e32 v161, v161, v167
	v_dual_add_f32 v161, v162, v161 :: v_dual_sub_f32 v162, v163, v150
	s_delay_alu instid0(VALU_DEP_1) | instskip(NEXT) | instid1(VALU_DEP_2)
	v_add_f32_e32 v161, v163, v161
	v_sub_f32_e32 v163, v163, v162
	v_sub_f32_e32 v151, v151, v162
	s_delay_alu instid0(VALU_DEP_2) | instskip(NEXT) | instid1(VALU_DEP_1)
	v_dual_add_f32 v165, v164, v161 :: v_dual_sub_f32 v150, v150, v163
	v_sub_f32_e32 v162, v165, v164
	s_delay_alu instid0(VALU_DEP_2) | instskip(NEXT) | instid1(VALU_DEP_2)
	v_add_f32_e32 v150, v151, v150
	v_sub_f32_e32 v151, v161, v162
	s_delay_alu instid0(VALU_DEP_1) | instskip(NEXT) | instid1(VALU_DEP_1)
	v_add_f32_e32 v150, v150, v151
	v_add_f32_e32 v150, v165, v150
	s_delay_alu instid0(VALU_DEP_1) | instskip(NEXT) | instid1(VALU_DEP_1)
	v_cndmask_b32_e64 v150, v150, v160, s26
	v_add_f32_e32 v150, v149, v150
.LBB481_107:
	s_or_b32 exec_lo, exec_lo, vcc_hi
	s_delay_alu instid0(VALU_DEP_1) | instskip(SKIP_1) | instid1(VALU_DEP_2)
	v_bfe_u32 v149, v150, 16, 1
	v_cmp_o_f32_e64 s26, v150, v150
	v_add3_u32 v149, v150, v149, 0x7fff
	s_delay_alu instid0(VALU_DEP_1) | instskip(NEXT) | instid1(VALU_DEP_1)
	v_lshrrev_b32_e32 v149, 16, v149
	v_cndmask_b32_e64 v149, 0x7fc0, v149, s26
	s_delay_alu instid0(VALU_DEP_1)
	v_and_b32_e32 v150, 0xffff, v149
.LBB481_108:
	s_or_b32 exec_lo, exec_lo, s29
	s_delay_alu instid0(VALU_DEP_1)
	v_mov_b32_dpp v151, v150 row_shr:8 row_mask:0xf bank_mask:0xf
	s_mov_b32 s29, exec_lo
	v_cmpx_lt_u32_e32 7, v148
	s_cbranch_execz .LBB481_112
; %bb.109:
	s_delay_alu instid0(VALU_DEP_2) | instskip(NEXT) | instid1(VALU_DEP_1)
	v_lshlrev_b32_e32 v149, 16, v151
	v_dual_max_f32 v151, v149, v149 :: v_dual_lshlrev_b32 v148, 16, v150
	s_delay_alu instid0(VALU_DEP_1) | instskip(SKIP_1) | instid1(VALU_DEP_2)
	v_max_f32_e32 v150, v148, v148
	v_cmp_u_f32_e64 s26, v149, v149
	v_min_f32_e32 v160, v151, v150
	v_max_f32_e32 v150, v151, v150
	s_delay_alu instid0(VALU_DEP_2) | instskip(NEXT) | instid1(VALU_DEP_2)
	v_cndmask_b32_e64 v151, v160, v149, s26
	v_cndmask_b32_e64 v160, v150, v149, s26
	v_cmp_u_f32_e64 s26, v148, v148
	s_delay_alu instid0(VALU_DEP_1) | instskip(NEXT) | instid1(VALU_DEP_3)
	v_cndmask_b32_e64 v150, v151, v148, s26
	v_cndmask_b32_e64 v148, v160, v148, s26
	s_delay_alu instid0(VALU_DEP_2) | instskip(NEXT) | instid1(VALU_DEP_2)
	v_cmp_class_f32_e64 vcc_hi, v150, 0x1f8
	v_cmp_neq_f32_e64 s26, v150, v148
	s_delay_alu instid0(VALU_DEP_1) | instskip(NEXT) | instid1(SALU_CYCLE_1)
	s_or_b32 s26, s26, vcc_hi
	s_and_saveexec_b32 vcc_hi, s26
	s_cbranch_execz .LBB481_111
; %bb.110:
	v_sub_f32_e32 v149, v150, v148
	s_delay_alu instid0(VALU_DEP_1) | instskip(SKIP_1) | instid1(VALU_DEP_2)
	v_mul_f32_e32 v150, 0x3fb8aa3b, v149
	v_cmp_ngt_f32_e64 s26, 0xc2ce8ed0, v149
	v_fma_f32 v151, 0x3fb8aa3b, v149, -v150
	v_rndne_f32_e32 v160, v150
	s_delay_alu instid0(VALU_DEP_1) | instskip(NEXT) | instid1(VALU_DEP_1)
	v_dual_fmamk_f32 v151, v149, 0x32a5705f, v151 :: v_dual_sub_f32 v150, v150, v160
	v_add_f32_e32 v150, v150, v151
	v_cvt_i32_f32_e32 v151, v160
	s_delay_alu instid0(VALU_DEP_2) | instskip(SKIP_2) | instid1(VALU_DEP_1)
	v_exp_f32_e32 v150, v150
	s_waitcnt_depctr 0xfff
	v_ldexp_f32 v150, v150, v151
	v_cndmask_b32_e64 v150, 0, v150, s26
	v_cmp_nlt_f32_e64 s26, 0x42b17218, v149
	s_delay_alu instid0(VALU_DEP_1) | instskip(NEXT) | instid1(VALU_DEP_1)
	v_cndmask_b32_e64 v151, 0x7f800000, v150, s26
	v_add_f32_e32 v160, 1.0, v151
	v_cmp_gt_f32_e64 s30, 0x33800000, |v151|
	s_delay_alu instid0(VALU_DEP_2) | instskip(NEXT) | instid1(VALU_DEP_1)
	v_cvt_f64_f32_e32 v[149:150], v160
	v_frexp_exp_i32_f64_e32 v149, v[149:150]
	v_frexp_mant_f32_e32 v150, v160
	s_delay_alu instid0(VALU_DEP_1) | instskip(SKIP_1) | instid1(VALU_DEP_1)
	v_cmp_gt_f32_e64 s26, 0x3f2aaaab, v150
	v_add_f32_e32 v150, -1.0, v160
	v_sub_f32_e32 v162, v150, v160
	v_sub_f32_e32 v150, v151, v150
	s_delay_alu instid0(VALU_DEP_4) | instskip(SKIP_1) | instid1(VALU_DEP_1)
	v_subrev_co_ci_u32_e64 v149, s26, 0, v149, s26
	s_mov_b32 s26, 0x3e9b6dac
	v_sub_nc_u32_e32 v161, 0, v149
	v_cvt_f32_i32_e32 v149, v149
	s_delay_alu instid0(VALU_DEP_2) | instskip(NEXT) | instid1(VALU_DEP_1)
	v_ldexp_f32 v160, v160, v161
	v_dual_add_f32 v163, 1.0, v160 :: v_dual_add_f32 v162, 1.0, v162
	s_delay_alu instid0(VALU_DEP_1) | instskip(NEXT) | instid1(VALU_DEP_2)
	v_add_f32_e32 v150, v150, v162
	v_add_f32_e32 v162, -1.0, v163
	s_delay_alu instid0(VALU_DEP_2) | instskip(NEXT) | instid1(VALU_DEP_2)
	v_ldexp_f32 v150, v150, v161
	v_dual_add_f32 v161, -1.0, v160 :: v_dual_sub_f32 v162, v160, v162
	s_delay_alu instid0(VALU_DEP_1) | instskip(NEXT) | instid1(VALU_DEP_2)
	v_add_f32_e32 v164, 1.0, v161
	v_add_f32_e32 v162, v150, v162
	s_delay_alu instid0(VALU_DEP_2) | instskip(NEXT) | instid1(VALU_DEP_2)
	v_sub_f32_e32 v160, v160, v164
	v_add_f32_e32 v164, v163, v162
	s_delay_alu instid0(VALU_DEP_2) | instskip(NEXT) | instid1(VALU_DEP_2)
	v_add_f32_e32 v150, v150, v160
	v_rcp_f32_e32 v160, v164
	v_sub_f32_e32 v163, v163, v164
	s_delay_alu instid0(VALU_DEP_1) | instskip(NEXT) | instid1(VALU_DEP_1)
	v_dual_add_f32 v165, v161, v150 :: v_dual_add_f32 v162, v162, v163
	v_sub_f32_e32 v161, v161, v165
	s_waitcnt_depctr 0xfff
	v_mul_f32_e32 v166, v165, v160
	s_delay_alu instid0(VALU_DEP_1) | instskip(NEXT) | instid1(VALU_DEP_1)
	v_dual_add_f32 v150, v150, v161 :: v_dual_mul_f32 v167, v164, v166
	v_fma_f32 v163, v166, v164, -v167
	s_delay_alu instid0(VALU_DEP_1) | instskip(NEXT) | instid1(VALU_DEP_1)
	v_fmac_f32_e32 v163, v166, v162
	v_add_f32_e32 v176, v167, v163
	s_delay_alu instid0(VALU_DEP_1) | instskip(SKIP_1) | instid1(VALU_DEP_2)
	v_sub_f32_e32 v177, v165, v176
	v_sub_f32_e32 v161, v176, v167
	;; [unrolled: 1-line block ×3, first 2 shown]
	s_delay_alu instid0(VALU_DEP_2) | instskip(NEXT) | instid1(VALU_DEP_2)
	v_sub_f32_e32 v161, v161, v163
	v_sub_f32_e32 v165, v165, v176
	s_delay_alu instid0(VALU_DEP_1) | instskip(NEXT) | instid1(VALU_DEP_1)
	v_add_f32_e32 v150, v150, v165
	v_add_f32_e32 v150, v161, v150
	s_delay_alu instid0(VALU_DEP_1) | instskip(NEXT) | instid1(VALU_DEP_1)
	v_add_f32_e32 v161, v177, v150
	v_mul_f32_e32 v163, v160, v161
	s_delay_alu instid0(VALU_DEP_1) | instskip(NEXT) | instid1(VALU_DEP_1)
	v_dual_sub_f32 v176, v177, v161 :: v_dual_mul_f32 v165, v164, v163
	v_add_f32_e32 v150, v150, v176
	s_delay_alu instid0(VALU_DEP_2) | instskip(NEXT) | instid1(VALU_DEP_1)
	v_fma_f32 v164, v163, v164, -v165
	v_fmac_f32_e32 v164, v163, v162
	s_delay_alu instid0(VALU_DEP_1) | instskip(NEXT) | instid1(VALU_DEP_1)
	v_add_f32_e32 v162, v165, v164
	v_sub_f32_e32 v167, v161, v162
	v_sub_f32_e32 v165, v162, v165
	s_delay_alu instid0(VALU_DEP_2) | instskip(NEXT) | instid1(VALU_DEP_1)
	v_sub_f32_e32 v161, v161, v167
	v_sub_f32_e32 v161, v161, v162
	s_delay_alu instid0(VALU_DEP_3) | instskip(NEXT) | instid1(VALU_DEP_2)
	v_sub_f32_e32 v162, v165, v164
	v_add_f32_e32 v150, v150, v161
	v_add_f32_e32 v161, v166, v163
	s_delay_alu instid0(VALU_DEP_2) | instskip(NEXT) | instid1(VALU_DEP_2)
	v_add_f32_e32 v150, v162, v150
	v_sub_f32_e32 v162, v161, v166
	s_delay_alu instid0(VALU_DEP_2) | instskip(NEXT) | instid1(VALU_DEP_2)
	v_add_f32_e32 v150, v167, v150
	v_sub_f32_e32 v162, v163, v162
	s_delay_alu instid0(VALU_DEP_2) | instskip(NEXT) | instid1(VALU_DEP_1)
	v_mul_f32_e32 v150, v160, v150
	v_add_f32_e32 v150, v162, v150
	s_delay_alu instid0(VALU_DEP_1) | instskip(NEXT) | instid1(VALU_DEP_1)
	v_add_f32_e32 v160, v161, v150
	v_mul_f32_e32 v162, v160, v160
	s_delay_alu instid0(VALU_DEP_1) | instskip(SKIP_2) | instid1(VALU_DEP_3)
	v_fmaak_f32 v163, s26, v162, 0x3ecc95a3
	v_mul_f32_e32 v164, v160, v162
	v_cmp_eq_f32_e64 s26, 0x7f800000, v151
	v_fmaak_f32 v162, v162, v163, 0x3f2aaada
	v_ldexp_f32 v163, v160, 1
	v_sub_f32_e32 v160, v160, v161
	s_delay_alu instid0(VALU_DEP_4) | instskip(NEXT) | instid1(VALU_DEP_3)
	s_or_b32 s26, s26, s30
	v_mul_f32_e32 v162, v164, v162
	v_mul_f32_e32 v164, 0x3f317218, v149
	s_delay_alu instid0(VALU_DEP_2) | instskip(NEXT) | instid1(VALU_DEP_1)
	v_dual_sub_f32 v150, v150, v160 :: v_dual_add_f32 v161, v163, v162
	v_ldexp_f32 v150, v150, 1
	s_delay_alu instid0(VALU_DEP_2) | instskip(NEXT) | instid1(VALU_DEP_4)
	v_sub_f32_e32 v160, v161, v163
	v_fma_f32 v163, 0x3f317218, v149, -v164
	s_delay_alu instid0(VALU_DEP_1) | instskip(NEXT) | instid1(VALU_DEP_1)
	v_dual_sub_f32 v160, v162, v160 :: v_dual_fmamk_f32 v149, v149, 0xb102e308, v163
	v_add_f32_e32 v150, v150, v160
	s_delay_alu instid0(VALU_DEP_2) | instskip(NEXT) | instid1(VALU_DEP_2)
	v_add_f32_e32 v160, v164, v149
	v_add_f32_e32 v162, v161, v150
	s_delay_alu instid0(VALU_DEP_2) | instskip(NEXT) | instid1(VALU_DEP_2)
	v_sub_f32_e32 v164, v160, v164
	v_add_f32_e32 v163, v160, v162
	v_sub_f32_e32 v161, v162, v161
	s_delay_alu instid0(VALU_DEP_3) | instskip(NEXT) | instid1(VALU_DEP_2)
	v_sub_f32_e32 v149, v149, v164
	v_dual_sub_f32 v165, v163, v160 :: v_dual_sub_f32 v150, v150, v161
	s_delay_alu instid0(VALU_DEP_1) | instskip(NEXT) | instid1(VALU_DEP_2)
	v_sub_f32_e32 v166, v163, v165
	v_dual_sub_f32 v161, v162, v165 :: v_dual_add_f32 v162, v149, v150
	s_delay_alu instid0(VALU_DEP_2) | instskip(NEXT) | instid1(VALU_DEP_1)
	v_sub_f32_e32 v160, v160, v166
	v_dual_add_f32 v160, v161, v160 :: v_dual_sub_f32 v161, v162, v149
	s_delay_alu instid0(VALU_DEP_1) | instskip(NEXT) | instid1(VALU_DEP_2)
	v_add_f32_e32 v160, v162, v160
	v_sub_f32_e32 v162, v162, v161
	v_sub_f32_e32 v150, v150, v161
	s_delay_alu instid0(VALU_DEP_2) | instskip(NEXT) | instid1(VALU_DEP_1)
	v_dual_add_f32 v164, v163, v160 :: v_dual_sub_f32 v149, v149, v162
	v_sub_f32_e32 v161, v164, v163
	s_delay_alu instid0(VALU_DEP_2) | instskip(NEXT) | instid1(VALU_DEP_2)
	v_add_f32_e32 v149, v150, v149
	v_sub_f32_e32 v150, v160, v161
	s_delay_alu instid0(VALU_DEP_1) | instskip(NEXT) | instid1(VALU_DEP_1)
	v_add_f32_e32 v149, v149, v150
	v_add_f32_e32 v149, v164, v149
	s_delay_alu instid0(VALU_DEP_1) | instskip(NEXT) | instid1(VALU_DEP_1)
	v_cndmask_b32_e64 v149, v149, v151, s26
	v_add_f32_e32 v149, v148, v149
.LBB481_111:
	s_or_b32 exec_lo, exec_lo, vcc_hi
	s_delay_alu instid0(VALU_DEP_1) | instskip(SKIP_1) | instid1(VALU_DEP_2)
	v_bfe_u32 v148, v149, 16, 1
	v_cmp_o_f32_e64 s26, v149, v149
	v_add3_u32 v148, v149, v148, 0x7fff
	s_delay_alu instid0(VALU_DEP_1) | instskip(NEXT) | instid1(VALU_DEP_1)
	v_lshrrev_b32_e32 v148, 16, v148
	v_cndmask_b32_e64 v149, 0x7fc0, v148, s26
	s_delay_alu instid0(VALU_DEP_1)
	v_and_b32_e32 v150, 0xffff, v149
.LBB481_112:
	s_or_b32 exec_lo, exec_lo, s29
	ds_swizzle_b32 v148, v150 offset:swizzle(BROADCAST,32,15)
	v_and_b32_e32 v151, 16, v23
	s_mov_b32 s29, exec_lo
	s_delay_alu instid0(VALU_DEP_1)
	v_cmpx_ne_u32_e32 0, v151
	s_cbranch_execz .LBB481_116
; %bb.113:
	s_waitcnt lgkmcnt(0)
	v_lshlrev_b32_e32 v149, 16, v148
	s_delay_alu instid0(VALU_DEP_1) | instskip(NEXT) | instid1(VALU_DEP_1)
	v_dual_max_f32 v150, v149, v149 :: v_dual_lshlrev_b32 v151, 16, v150
	v_max_f32_e32 v148, v151, v151
	v_cmp_u_f32_e64 s26, v149, v149
	s_delay_alu instid0(VALU_DEP_2) | instskip(SKIP_1) | instid1(VALU_DEP_2)
	v_min_f32_e32 v160, v150, v148
	v_max_f32_e32 v148, v150, v148
	v_cndmask_b32_e64 v150, v160, v149, s26
	s_delay_alu instid0(VALU_DEP_2) | instskip(SKIP_1) | instid1(VALU_DEP_1)
	v_cndmask_b32_e64 v148, v148, v149, s26
	v_cmp_u_f32_e64 s26, v151, v151
	v_cndmask_b32_e64 v150, v150, v151, s26
	s_delay_alu instid0(VALU_DEP_3) | instskip(NEXT) | instid1(VALU_DEP_2)
	v_cndmask_b32_e64 v148, v148, v151, s26
	v_cmp_class_f32_e64 vcc_hi, v150, 0x1f8
	s_delay_alu instid0(VALU_DEP_2) | instskip(NEXT) | instid1(VALU_DEP_1)
	v_cmp_neq_f32_e64 s26, v150, v148
	s_or_b32 s26, s26, vcc_hi
	s_delay_alu instid0(SALU_CYCLE_1)
	s_and_saveexec_b32 vcc_hi, s26
	s_cbranch_execz .LBB481_115
; %bb.114:
	v_sub_f32_e32 v149, v150, v148
	s_delay_alu instid0(VALU_DEP_1) | instskip(SKIP_1) | instid1(VALU_DEP_2)
	v_mul_f32_e32 v150, 0x3fb8aa3b, v149
	v_cmp_ngt_f32_e64 s26, 0xc2ce8ed0, v149
	v_fma_f32 v151, 0x3fb8aa3b, v149, -v150
	v_rndne_f32_e32 v160, v150
	s_delay_alu instid0(VALU_DEP_1) | instskip(NEXT) | instid1(VALU_DEP_1)
	v_dual_fmamk_f32 v151, v149, 0x32a5705f, v151 :: v_dual_sub_f32 v150, v150, v160
	v_add_f32_e32 v150, v150, v151
	v_cvt_i32_f32_e32 v151, v160
	s_delay_alu instid0(VALU_DEP_2) | instskip(SKIP_2) | instid1(VALU_DEP_1)
	v_exp_f32_e32 v150, v150
	s_waitcnt_depctr 0xfff
	v_ldexp_f32 v150, v150, v151
	v_cndmask_b32_e64 v150, 0, v150, s26
	v_cmp_nlt_f32_e64 s26, 0x42b17218, v149
	s_delay_alu instid0(VALU_DEP_1) | instskip(NEXT) | instid1(VALU_DEP_1)
	v_cndmask_b32_e64 v151, 0x7f800000, v150, s26
	v_add_f32_e32 v160, 1.0, v151
	v_cmp_gt_f32_e64 s30, 0x33800000, |v151|
	s_delay_alu instid0(VALU_DEP_2) | instskip(NEXT) | instid1(VALU_DEP_1)
	v_cvt_f64_f32_e32 v[149:150], v160
	v_frexp_exp_i32_f64_e32 v149, v[149:150]
	v_frexp_mant_f32_e32 v150, v160
	s_delay_alu instid0(VALU_DEP_1) | instskip(SKIP_1) | instid1(VALU_DEP_1)
	v_cmp_gt_f32_e64 s26, 0x3f2aaaab, v150
	v_add_f32_e32 v150, -1.0, v160
	v_sub_f32_e32 v162, v150, v160
	v_sub_f32_e32 v150, v151, v150
	s_delay_alu instid0(VALU_DEP_4) | instskip(SKIP_1) | instid1(VALU_DEP_1)
	v_subrev_co_ci_u32_e64 v149, s26, 0, v149, s26
	s_mov_b32 s26, 0x3e9b6dac
	v_sub_nc_u32_e32 v161, 0, v149
	v_cvt_f32_i32_e32 v149, v149
	s_delay_alu instid0(VALU_DEP_2) | instskip(NEXT) | instid1(VALU_DEP_1)
	v_ldexp_f32 v160, v160, v161
	v_dual_add_f32 v163, 1.0, v160 :: v_dual_add_f32 v162, 1.0, v162
	s_delay_alu instid0(VALU_DEP_1) | instskip(NEXT) | instid1(VALU_DEP_2)
	v_add_f32_e32 v150, v150, v162
	v_add_f32_e32 v162, -1.0, v163
	s_delay_alu instid0(VALU_DEP_2) | instskip(NEXT) | instid1(VALU_DEP_2)
	v_ldexp_f32 v150, v150, v161
	v_dual_add_f32 v161, -1.0, v160 :: v_dual_sub_f32 v162, v160, v162
	s_delay_alu instid0(VALU_DEP_1) | instskip(NEXT) | instid1(VALU_DEP_2)
	v_add_f32_e32 v164, 1.0, v161
	v_add_f32_e32 v162, v150, v162
	s_delay_alu instid0(VALU_DEP_2) | instskip(NEXT) | instid1(VALU_DEP_2)
	v_sub_f32_e32 v160, v160, v164
	v_add_f32_e32 v164, v163, v162
	s_delay_alu instid0(VALU_DEP_2) | instskip(NEXT) | instid1(VALU_DEP_2)
	v_add_f32_e32 v150, v150, v160
	v_rcp_f32_e32 v160, v164
	v_sub_f32_e32 v163, v163, v164
	s_delay_alu instid0(VALU_DEP_1) | instskip(NEXT) | instid1(VALU_DEP_1)
	v_dual_add_f32 v165, v161, v150 :: v_dual_add_f32 v162, v162, v163
	v_sub_f32_e32 v161, v161, v165
	s_waitcnt_depctr 0xfff
	v_mul_f32_e32 v166, v165, v160
	s_delay_alu instid0(VALU_DEP_1) | instskip(NEXT) | instid1(VALU_DEP_1)
	v_dual_add_f32 v150, v150, v161 :: v_dual_mul_f32 v167, v164, v166
	v_fma_f32 v163, v166, v164, -v167
	s_delay_alu instid0(VALU_DEP_1) | instskip(NEXT) | instid1(VALU_DEP_1)
	v_fmac_f32_e32 v163, v166, v162
	v_add_f32_e32 v176, v167, v163
	s_delay_alu instid0(VALU_DEP_1) | instskip(SKIP_1) | instid1(VALU_DEP_2)
	v_sub_f32_e32 v177, v165, v176
	v_sub_f32_e32 v161, v176, v167
	;; [unrolled: 1-line block ×3, first 2 shown]
	s_delay_alu instid0(VALU_DEP_2) | instskip(NEXT) | instid1(VALU_DEP_2)
	v_sub_f32_e32 v161, v161, v163
	v_sub_f32_e32 v165, v165, v176
	s_delay_alu instid0(VALU_DEP_1) | instskip(NEXT) | instid1(VALU_DEP_1)
	v_add_f32_e32 v150, v150, v165
	v_add_f32_e32 v150, v161, v150
	s_delay_alu instid0(VALU_DEP_1) | instskip(NEXT) | instid1(VALU_DEP_1)
	v_add_f32_e32 v161, v177, v150
	v_mul_f32_e32 v163, v160, v161
	s_delay_alu instid0(VALU_DEP_1) | instskip(NEXT) | instid1(VALU_DEP_1)
	v_dual_sub_f32 v176, v177, v161 :: v_dual_mul_f32 v165, v164, v163
	v_add_f32_e32 v150, v150, v176
	s_delay_alu instid0(VALU_DEP_2) | instskip(NEXT) | instid1(VALU_DEP_1)
	v_fma_f32 v164, v163, v164, -v165
	v_fmac_f32_e32 v164, v163, v162
	s_delay_alu instid0(VALU_DEP_1) | instskip(NEXT) | instid1(VALU_DEP_1)
	v_add_f32_e32 v162, v165, v164
	v_sub_f32_e32 v167, v161, v162
	v_sub_f32_e32 v165, v162, v165
	s_delay_alu instid0(VALU_DEP_2) | instskip(NEXT) | instid1(VALU_DEP_1)
	v_sub_f32_e32 v161, v161, v167
	v_sub_f32_e32 v161, v161, v162
	s_delay_alu instid0(VALU_DEP_3) | instskip(NEXT) | instid1(VALU_DEP_2)
	v_sub_f32_e32 v162, v165, v164
	v_add_f32_e32 v150, v150, v161
	v_add_f32_e32 v161, v166, v163
	s_delay_alu instid0(VALU_DEP_2) | instskip(NEXT) | instid1(VALU_DEP_2)
	v_add_f32_e32 v150, v162, v150
	v_sub_f32_e32 v162, v161, v166
	s_delay_alu instid0(VALU_DEP_2) | instskip(NEXT) | instid1(VALU_DEP_2)
	v_add_f32_e32 v150, v167, v150
	v_sub_f32_e32 v162, v163, v162
	s_delay_alu instid0(VALU_DEP_2) | instskip(NEXT) | instid1(VALU_DEP_1)
	v_mul_f32_e32 v150, v160, v150
	v_add_f32_e32 v150, v162, v150
	s_delay_alu instid0(VALU_DEP_1) | instskip(NEXT) | instid1(VALU_DEP_1)
	v_add_f32_e32 v160, v161, v150
	v_mul_f32_e32 v162, v160, v160
	s_delay_alu instid0(VALU_DEP_1) | instskip(SKIP_2) | instid1(VALU_DEP_3)
	v_fmaak_f32 v163, s26, v162, 0x3ecc95a3
	v_mul_f32_e32 v164, v160, v162
	v_cmp_eq_f32_e64 s26, 0x7f800000, v151
	v_fmaak_f32 v162, v162, v163, 0x3f2aaada
	v_ldexp_f32 v163, v160, 1
	v_sub_f32_e32 v160, v160, v161
	s_delay_alu instid0(VALU_DEP_4) | instskip(NEXT) | instid1(VALU_DEP_3)
	s_or_b32 s26, s26, s30
	v_mul_f32_e32 v162, v164, v162
	v_mul_f32_e32 v164, 0x3f317218, v149
	s_delay_alu instid0(VALU_DEP_2) | instskip(NEXT) | instid1(VALU_DEP_1)
	v_dual_sub_f32 v150, v150, v160 :: v_dual_add_f32 v161, v163, v162
	v_ldexp_f32 v150, v150, 1
	s_delay_alu instid0(VALU_DEP_2) | instskip(NEXT) | instid1(VALU_DEP_4)
	v_sub_f32_e32 v160, v161, v163
	v_fma_f32 v163, 0x3f317218, v149, -v164
	s_delay_alu instid0(VALU_DEP_1) | instskip(NEXT) | instid1(VALU_DEP_1)
	v_dual_sub_f32 v160, v162, v160 :: v_dual_fmamk_f32 v149, v149, 0xb102e308, v163
	v_add_f32_e32 v150, v150, v160
	s_delay_alu instid0(VALU_DEP_2) | instskip(NEXT) | instid1(VALU_DEP_2)
	v_add_f32_e32 v160, v164, v149
	v_add_f32_e32 v162, v161, v150
	s_delay_alu instid0(VALU_DEP_2) | instskip(NEXT) | instid1(VALU_DEP_2)
	v_sub_f32_e32 v164, v160, v164
	v_add_f32_e32 v163, v160, v162
	v_sub_f32_e32 v161, v162, v161
	s_delay_alu instid0(VALU_DEP_3) | instskip(NEXT) | instid1(VALU_DEP_2)
	v_sub_f32_e32 v149, v149, v164
	v_dual_sub_f32 v165, v163, v160 :: v_dual_sub_f32 v150, v150, v161
	s_delay_alu instid0(VALU_DEP_1) | instskip(NEXT) | instid1(VALU_DEP_2)
	v_sub_f32_e32 v166, v163, v165
	v_dual_sub_f32 v161, v162, v165 :: v_dual_add_f32 v162, v149, v150
	s_delay_alu instid0(VALU_DEP_2) | instskip(NEXT) | instid1(VALU_DEP_1)
	v_sub_f32_e32 v160, v160, v166
	v_dual_add_f32 v160, v161, v160 :: v_dual_sub_f32 v161, v162, v149
	s_delay_alu instid0(VALU_DEP_1) | instskip(NEXT) | instid1(VALU_DEP_2)
	v_add_f32_e32 v160, v162, v160
	v_sub_f32_e32 v162, v162, v161
	v_sub_f32_e32 v150, v150, v161
	s_delay_alu instid0(VALU_DEP_2) | instskip(NEXT) | instid1(VALU_DEP_1)
	v_dual_add_f32 v164, v163, v160 :: v_dual_sub_f32 v149, v149, v162
	v_sub_f32_e32 v161, v164, v163
	s_delay_alu instid0(VALU_DEP_2) | instskip(NEXT) | instid1(VALU_DEP_2)
	v_add_f32_e32 v149, v150, v149
	v_sub_f32_e32 v150, v160, v161
	s_delay_alu instid0(VALU_DEP_1) | instskip(NEXT) | instid1(VALU_DEP_1)
	v_add_f32_e32 v149, v149, v150
	v_add_f32_e32 v149, v164, v149
	s_delay_alu instid0(VALU_DEP_1) | instskip(NEXT) | instid1(VALU_DEP_1)
	v_cndmask_b32_e64 v149, v149, v151, s26
	v_add_f32_e32 v149, v148, v149
.LBB481_115:
	s_or_b32 exec_lo, exec_lo, vcc_hi
	s_delay_alu instid0(VALU_DEP_1) | instskip(SKIP_1) | instid1(VALU_DEP_2)
	v_bfe_u32 v148, v149, 16, 1
	v_cmp_o_f32_e64 s26, v149, v149
	v_add3_u32 v148, v149, v148, 0x7fff
	s_delay_alu instid0(VALU_DEP_1) | instskip(NEXT) | instid1(VALU_DEP_1)
	v_lshrrev_b32_e32 v148, 16, v148
	v_cndmask_b32_e64 v149, 0x7fc0, v148, s26
.LBB481_116:
	s_or_b32 exec_lo, exec_lo, s29
	s_waitcnt lgkmcnt(0)
	v_add_nc_u32_e32 v148, -1, v23
	s_delay_alu instid0(VALU_DEP_1) | instskip(NEXT) | instid1(VALU_DEP_1)
	v_cmp_gt_i32_e64 s26, 0, v148
	v_cndmask_b32_e64 v23, v148, v23, s26
	v_and_b32_e32 v148, 0xffff, v149
	s_delay_alu instid0(VALU_DEP_2) | instskip(SKIP_3) | instid1(VALU_DEP_1)
	v_lshlrev_b32_e32 v23, 2, v23
	ds_bpermute_b32 v23, v23, v148
	s_waitcnt lgkmcnt(0)
	v_lshlrev_b32_e32 v23, 16, v23
	v_max_f32_e32 v148, v23, v23
	v_cmp_u_f32_e64 s26, v23, v23
	s_delay_alu instid0(VALU_DEP_2) | instskip(SKIP_1) | instid1(VALU_DEP_2)
	v_min_f32_e32 v149, v148, v22
	v_max_f32_e32 v22, v148, v22
	v_cndmask_b32_e64 v148, v149, v23, s26
	s_delay_alu instid0(VALU_DEP_2) | instskip(NEXT) | instid1(VALU_DEP_2)
	v_cndmask_b32_e64 v149, v22, v23, s26
	v_cndmask_b32_e64 v22, v148, v17, s25
	s_delay_alu instid0(VALU_DEP_2) | instskip(NEXT) | instid1(VALU_DEP_2)
	v_cndmask_b32_e64 v17, v149, v17, s25
	v_cmp_class_f32_e64 s26, v22, 0x1f8
	s_delay_alu instid0(VALU_DEP_2) | instskip(NEXT) | instid1(VALU_DEP_1)
	v_cmp_neq_f32_e64 s25, v22, v17
	s_or_b32 s25, s25, s26
	s_delay_alu instid0(SALU_CYCLE_1)
	s_and_saveexec_b32 s26, s25
	s_cbranch_execz .LBB481_118
; %bb.117:
	v_sub_f32_e32 v22, v22, v17
	s_delay_alu instid0(VALU_DEP_1) | instskip(NEXT) | instid1(VALU_DEP_1)
	v_mul_f32_e32 v23, 0x3fb8aa3b, v22
	v_fma_f32 v148, 0x3fb8aa3b, v22, -v23
	v_rndne_f32_e32 v149, v23
	s_delay_alu instid0(VALU_DEP_1) | instskip(NEXT) | instid1(VALU_DEP_1)
	v_dual_fmamk_f32 v148, v22, 0x32a5705f, v148 :: v_dual_sub_f32 v23, v23, v149
	v_add_f32_e32 v23, v23, v148
	v_cvt_i32_f32_e32 v148, v149
	v_cmp_ngt_f32_e64 s25, 0xc2ce8ed0, v22
	s_delay_alu instid0(VALU_DEP_3) | instskip(SKIP_2) | instid1(VALU_DEP_1)
	v_exp_f32_e32 v23, v23
	s_waitcnt_depctr 0xfff
	v_ldexp_f32 v23, v23, v148
	v_cndmask_b32_e64 v23, 0, v23, s25
	v_cmp_nlt_f32_e64 s25, 0x42b17218, v22
	s_delay_alu instid0(VALU_DEP_1) | instskip(NEXT) | instid1(VALU_DEP_1)
	v_cndmask_b32_e64 v148, 0x7f800000, v23, s25
	v_add_f32_e32 v149, 1.0, v148
	v_cmp_gt_f32_e64 s29, 0x33800000, |v148|
	s_delay_alu instid0(VALU_DEP_2) | instskip(NEXT) | instid1(VALU_DEP_1)
	v_cvt_f64_f32_e32 v[22:23], v149
	v_frexp_exp_i32_f64_e32 v22, v[22:23]
	v_frexp_mant_f32_e32 v23, v149
	s_delay_alu instid0(VALU_DEP_1) | instskip(SKIP_1) | instid1(VALU_DEP_1)
	v_cmp_gt_f32_e64 s25, 0x3f2aaaab, v23
	v_add_f32_e32 v23, -1.0, v149
	v_sub_f32_e32 v151, v23, v149
	s_delay_alu instid0(VALU_DEP_3) | instskip(SKIP_1) | instid1(VALU_DEP_1)
	v_subrev_co_ci_u32_e64 v22, s25, 0, v22, s25
	s_mov_b32 s25, 0x3e9b6dac
	v_sub_nc_u32_e32 v150, 0, v22
	v_cvt_f32_i32_e32 v22, v22
	s_delay_alu instid0(VALU_DEP_2) | instskip(NEXT) | instid1(VALU_DEP_1)
	v_ldexp_f32 v149, v149, v150
	v_dual_sub_f32 v23, v148, v23 :: v_dual_add_f32 v160, 1.0, v149
	v_add_f32_e32 v151, 1.0, v151
	s_delay_alu instid0(VALU_DEP_1) | instskip(NEXT) | instid1(VALU_DEP_3)
	v_add_f32_e32 v23, v23, v151
	v_add_f32_e32 v151, -1.0, v160
	s_delay_alu instid0(VALU_DEP_2) | instskip(NEXT) | instid1(VALU_DEP_2)
	v_ldexp_f32 v23, v23, v150
	v_dual_add_f32 v150, -1.0, v149 :: v_dual_sub_f32 v151, v149, v151
	s_delay_alu instid0(VALU_DEP_1) | instskip(NEXT) | instid1(VALU_DEP_2)
	v_add_f32_e32 v161, 1.0, v150
	v_add_f32_e32 v151, v23, v151
	s_delay_alu instid0(VALU_DEP_2) | instskip(NEXT) | instid1(VALU_DEP_2)
	v_sub_f32_e32 v149, v149, v161
	v_add_f32_e32 v161, v160, v151
	s_delay_alu instid0(VALU_DEP_2) | instskip(NEXT) | instid1(VALU_DEP_2)
	v_add_f32_e32 v23, v23, v149
	v_rcp_f32_e32 v149, v161
	v_sub_f32_e32 v160, v160, v161
	s_delay_alu instid0(VALU_DEP_1) | instskip(NEXT) | instid1(VALU_DEP_1)
	v_dual_add_f32 v162, v150, v23 :: v_dual_add_f32 v151, v151, v160
	v_sub_f32_e32 v150, v150, v162
	s_waitcnt_depctr 0xfff
	v_mul_f32_e32 v163, v162, v149
	s_delay_alu instid0(VALU_DEP_1) | instskip(NEXT) | instid1(VALU_DEP_1)
	v_dual_add_f32 v23, v23, v150 :: v_dual_mul_f32 v164, v161, v163
	v_fma_f32 v160, v163, v161, -v164
	s_delay_alu instid0(VALU_DEP_1) | instskip(NEXT) | instid1(VALU_DEP_1)
	v_fmac_f32_e32 v160, v163, v151
	v_add_f32_e32 v165, v164, v160
	s_delay_alu instid0(VALU_DEP_1) | instskip(SKIP_1) | instid1(VALU_DEP_2)
	v_sub_f32_e32 v166, v162, v165
	v_sub_f32_e32 v150, v165, v164
	;; [unrolled: 1-line block ×3, first 2 shown]
	s_delay_alu instid0(VALU_DEP_2) | instskip(NEXT) | instid1(VALU_DEP_2)
	v_sub_f32_e32 v150, v150, v160
	v_sub_f32_e32 v162, v162, v165
	s_delay_alu instid0(VALU_DEP_1) | instskip(NEXT) | instid1(VALU_DEP_1)
	v_add_f32_e32 v23, v23, v162
	v_add_f32_e32 v23, v150, v23
	s_delay_alu instid0(VALU_DEP_1) | instskip(NEXT) | instid1(VALU_DEP_1)
	v_add_f32_e32 v150, v166, v23
	v_mul_f32_e32 v160, v149, v150
	s_delay_alu instid0(VALU_DEP_1) | instskip(NEXT) | instid1(VALU_DEP_1)
	v_dual_sub_f32 v165, v166, v150 :: v_dual_mul_f32 v162, v161, v160
	v_add_f32_e32 v23, v23, v165
	s_delay_alu instid0(VALU_DEP_2) | instskip(NEXT) | instid1(VALU_DEP_1)
	v_fma_f32 v161, v160, v161, -v162
	v_fmac_f32_e32 v161, v160, v151
	s_delay_alu instid0(VALU_DEP_1) | instskip(NEXT) | instid1(VALU_DEP_1)
	v_add_f32_e32 v151, v162, v161
	v_sub_f32_e32 v164, v150, v151
	v_sub_f32_e32 v162, v151, v162
	s_delay_alu instid0(VALU_DEP_2) | instskip(NEXT) | instid1(VALU_DEP_1)
	v_sub_f32_e32 v150, v150, v164
	v_sub_f32_e32 v150, v150, v151
	s_delay_alu instid0(VALU_DEP_3) | instskip(NEXT) | instid1(VALU_DEP_2)
	v_sub_f32_e32 v151, v162, v161
	v_add_f32_e32 v23, v23, v150
	v_add_f32_e32 v150, v163, v160
	s_delay_alu instid0(VALU_DEP_2) | instskip(NEXT) | instid1(VALU_DEP_2)
	v_add_f32_e32 v23, v151, v23
	v_sub_f32_e32 v151, v150, v163
	s_delay_alu instid0(VALU_DEP_2) | instskip(NEXT) | instid1(VALU_DEP_2)
	v_add_f32_e32 v23, v164, v23
	v_sub_f32_e32 v151, v160, v151
	s_delay_alu instid0(VALU_DEP_2) | instskip(NEXT) | instid1(VALU_DEP_1)
	v_mul_f32_e32 v23, v149, v23
	v_add_f32_e32 v23, v151, v23
	s_delay_alu instid0(VALU_DEP_1) | instskip(NEXT) | instid1(VALU_DEP_1)
	v_add_f32_e32 v149, v150, v23
	v_mul_f32_e32 v151, v149, v149
	s_delay_alu instid0(VALU_DEP_1) | instskip(SKIP_2) | instid1(VALU_DEP_3)
	v_fmaak_f32 v160, s25, v151, 0x3ecc95a3
	v_mul_f32_e32 v161, v149, v151
	v_cmp_eq_f32_e64 s25, 0x7f800000, v148
	v_fmaak_f32 v151, v151, v160, 0x3f2aaada
	v_ldexp_f32 v160, v149, 1
	v_sub_f32_e32 v149, v149, v150
	s_delay_alu instid0(VALU_DEP_4) | instskip(NEXT) | instid1(VALU_DEP_3)
	s_or_b32 s25, s25, s29
	v_mul_f32_e32 v151, v161, v151
	v_mul_f32_e32 v161, 0x3f317218, v22
	s_delay_alu instid0(VALU_DEP_2) | instskip(NEXT) | instid1(VALU_DEP_1)
	v_dual_sub_f32 v23, v23, v149 :: v_dual_add_f32 v150, v160, v151
	v_ldexp_f32 v23, v23, 1
	s_delay_alu instid0(VALU_DEP_2) | instskip(NEXT) | instid1(VALU_DEP_4)
	v_sub_f32_e32 v149, v150, v160
	v_fma_f32 v160, 0x3f317218, v22, -v161
	s_delay_alu instid0(VALU_DEP_1) | instskip(NEXT) | instid1(VALU_DEP_1)
	v_dual_sub_f32 v149, v151, v149 :: v_dual_fmamk_f32 v22, v22, 0xb102e308, v160
	v_add_f32_e32 v23, v23, v149
	s_delay_alu instid0(VALU_DEP_2) | instskip(NEXT) | instid1(VALU_DEP_2)
	v_add_f32_e32 v149, v161, v22
	v_add_f32_e32 v151, v150, v23
	s_delay_alu instid0(VALU_DEP_2) | instskip(NEXT) | instid1(VALU_DEP_2)
	v_sub_f32_e32 v161, v149, v161
	v_add_f32_e32 v160, v149, v151
	v_sub_f32_e32 v150, v151, v150
	s_delay_alu instid0(VALU_DEP_3) | instskip(NEXT) | instid1(VALU_DEP_2)
	v_sub_f32_e32 v22, v22, v161
	v_dual_sub_f32 v162, v160, v149 :: v_dual_sub_f32 v23, v23, v150
	s_delay_alu instid0(VALU_DEP_1) | instskip(NEXT) | instid1(VALU_DEP_2)
	v_sub_f32_e32 v163, v160, v162
	v_dual_sub_f32 v150, v151, v162 :: v_dual_add_f32 v151, v22, v23
	s_delay_alu instid0(VALU_DEP_2) | instskip(NEXT) | instid1(VALU_DEP_1)
	v_sub_f32_e32 v149, v149, v163
	v_dual_add_f32 v149, v150, v149 :: v_dual_sub_f32 v150, v151, v22
	s_delay_alu instid0(VALU_DEP_1) | instskip(NEXT) | instid1(VALU_DEP_2)
	v_add_f32_e32 v149, v151, v149
	v_sub_f32_e32 v151, v151, v150
	v_sub_f32_e32 v23, v23, v150
	s_delay_alu instid0(VALU_DEP_2) | instskip(NEXT) | instid1(VALU_DEP_1)
	v_dual_add_f32 v161, v160, v149 :: v_dual_sub_f32 v22, v22, v151
	v_sub_f32_e32 v150, v161, v160
	s_delay_alu instid0(VALU_DEP_2) | instskip(NEXT) | instid1(VALU_DEP_2)
	v_add_f32_e32 v22, v23, v22
	v_sub_f32_e32 v23, v149, v150
	s_delay_alu instid0(VALU_DEP_1) | instskip(NEXT) | instid1(VALU_DEP_1)
	v_add_f32_e32 v22, v22, v23
	v_add_f32_e32 v22, v161, v22
	s_delay_alu instid0(VALU_DEP_1) | instskip(NEXT) | instid1(VALU_DEP_1)
	v_cndmask_b32_e64 v22, v22, v148, s25
	v_add_f32_e32 v23, v17, v22
.LBB481_118:
	s_or_b32 exec_lo, exec_lo, s26
	s_delay_alu instid0(VALU_DEP_1) | instskip(SKIP_1) | instid1(VALU_DEP_2)
	v_bfe_u32 v17, v23, 16, 1
	v_cmp_o_f32_e64 s25, v23, v23
	; wave barrier
	v_add3_u32 v17, v23, v17, 0x7fff
	s_delay_alu instid0(VALU_DEP_1) | instskip(NEXT) | instid1(VALU_DEP_1)
	v_lshrrev_b32_e32 v17, 16, v17
	v_cndmask_b32_e64 v17, 0x7fc0, v17, s25
	s_delay_alu instid0(VALU_DEP_1)
	v_cndmask_b32_e64 v17, v17, v147, s2
	ds_store_b16 v16, v17
	; wave barrier
	ds_load_u16 v23, v16 offset:2
	v_lshlrev_b32_e32 v22, 16, v17
	s_waitcnt lgkmcnt(0)
	v_lshlrev_b32_e32 v17, 16, v23
	s_delay_alu instid0(VALU_DEP_1) | instskip(NEXT) | instid1(VALU_DEP_1)
	v_dual_max_f32 v23, v22, v22 :: v_dual_max_f32 v148, v17, v17
	v_min_f32_e32 v149, v23, v148
	v_max_f32_e32 v23, v23, v148
	v_cmp_u_f32_e64 s25, v22, v22
	s_delay_alu instid0(VALU_DEP_1) | instskip(NEXT) | instid1(VALU_DEP_3)
	v_cndmask_b32_e64 v148, v149, v22, s25
	v_cndmask_b32_e64 v149, v23, v22, s25
	v_cmp_u_f32_e64 s25, v17, v17
	s_delay_alu instid0(VALU_DEP_1) | instskip(NEXT) | instid1(VALU_DEP_3)
	v_cndmask_b32_e64 v23, v148, v17, s25
	v_cndmask_b32_e64 v17, v149, v17, s25
	s_delay_alu instid0(VALU_DEP_2) | instskip(NEXT) | instid1(VALU_DEP_2)
	v_cmp_class_f32_e64 s26, v23, 0x1f8
	v_cmp_neq_f32_e64 s25, v23, v17
	s_delay_alu instid0(VALU_DEP_1) | instskip(NEXT) | instid1(SALU_CYCLE_1)
	s_or_b32 s25, s25, s26
	s_and_saveexec_b32 s26, s25
	s_cbranch_execz .LBB481_120
; %bb.119:
	v_sub_f32_e32 v22, v23, v17
	s_delay_alu instid0(VALU_DEP_1) | instskip(SKIP_1) | instid1(VALU_DEP_2)
	v_mul_f32_e32 v23, 0x3fb8aa3b, v22
	v_cmp_ngt_f32_e64 s25, 0xc2ce8ed0, v22
	v_fma_f32 v148, 0x3fb8aa3b, v22, -v23
	v_rndne_f32_e32 v149, v23
	s_delay_alu instid0(VALU_DEP_1) | instskip(NEXT) | instid1(VALU_DEP_1)
	v_dual_fmamk_f32 v148, v22, 0x32a5705f, v148 :: v_dual_sub_f32 v23, v23, v149
	v_add_f32_e32 v23, v23, v148
	v_cvt_i32_f32_e32 v148, v149
	s_delay_alu instid0(VALU_DEP_2) | instskip(SKIP_2) | instid1(VALU_DEP_1)
	v_exp_f32_e32 v23, v23
	s_waitcnt_depctr 0xfff
	v_ldexp_f32 v23, v23, v148
	v_cndmask_b32_e64 v23, 0, v23, s25
	v_cmp_nlt_f32_e64 s25, 0x42b17218, v22
	s_delay_alu instid0(VALU_DEP_1) | instskip(NEXT) | instid1(VALU_DEP_1)
	v_cndmask_b32_e64 v148, 0x7f800000, v23, s25
	v_add_f32_e32 v149, 1.0, v148
	v_cmp_gt_f32_e64 s29, 0x33800000, |v148|
	s_delay_alu instid0(VALU_DEP_2) | instskip(NEXT) | instid1(VALU_DEP_1)
	v_cvt_f64_f32_e32 v[22:23], v149
	v_frexp_exp_i32_f64_e32 v22, v[22:23]
	v_frexp_mant_f32_e32 v23, v149
	s_delay_alu instid0(VALU_DEP_1) | instskip(SKIP_1) | instid1(VALU_DEP_1)
	v_cmp_gt_f32_e64 s25, 0x3f2aaaab, v23
	v_add_f32_e32 v23, -1.0, v149
	v_sub_f32_e32 v151, v23, v149
	v_sub_f32_e32 v23, v148, v23
	s_delay_alu instid0(VALU_DEP_4) | instskip(SKIP_1) | instid1(VALU_DEP_1)
	v_subrev_co_ci_u32_e64 v22, s25, 0, v22, s25
	s_mov_b32 s25, 0x3e9b6dac
	v_sub_nc_u32_e32 v150, 0, v22
	v_cvt_f32_i32_e32 v22, v22
	s_delay_alu instid0(VALU_DEP_2) | instskip(NEXT) | instid1(VALU_DEP_1)
	v_ldexp_f32 v149, v149, v150
	v_dual_add_f32 v160, 1.0, v149 :: v_dual_add_f32 v151, 1.0, v151
	s_delay_alu instid0(VALU_DEP_1) | instskip(NEXT) | instid1(VALU_DEP_2)
	v_add_f32_e32 v23, v23, v151
	v_add_f32_e32 v151, -1.0, v160
	s_delay_alu instid0(VALU_DEP_2) | instskip(NEXT) | instid1(VALU_DEP_2)
	v_ldexp_f32 v23, v23, v150
	v_dual_add_f32 v150, -1.0, v149 :: v_dual_sub_f32 v151, v149, v151
	s_delay_alu instid0(VALU_DEP_1) | instskip(NEXT) | instid1(VALU_DEP_2)
	v_add_f32_e32 v161, 1.0, v150
	v_add_f32_e32 v151, v23, v151
	s_delay_alu instid0(VALU_DEP_2) | instskip(NEXT) | instid1(VALU_DEP_2)
	v_sub_f32_e32 v149, v149, v161
	v_add_f32_e32 v161, v160, v151
	s_delay_alu instid0(VALU_DEP_2) | instskip(NEXT) | instid1(VALU_DEP_2)
	v_add_f32_e32 v23, v23, v149
	v_rcp_f32_e32 v149, v161
	v_sub_f32_e32 v160, v160, v161
	s_delay_alu instid0(VALU_DEP_1) | instskip(NEXT) | instid1(VALU_DEP_1)
	v_dual_add_f32 v162, v150, v23 :: v_dual_add_f32 v151, v151, v160
	v_sub_f32_e32 v150, v150, v162
	s_waitcnt_depctr 0xfff
	v_mul_f32_e32 v163, v162, v149
	s_delay_alu instid0(VALU_DEP_1) | instskip(NEXT) | instid1(VALU_DEP_1)
	v_dual_add_f32 v23, v23, v150 :: v_dual_mul_f32 v164, v161, v163
	v_fma_f32 v160, v163, v161, -v164
	s_delay_alu instid0(VALU_DEP_1) | instskip(NEXT) | instid1(VALU_DEP_1)
	v_fmac_f32_e32 v160, v163, v151
	v_add_f32_e32 v165, v164, v160
	s_delay_alu instid0(VALU_DEP_1) | instskip(SKIP_1) | instid1(VALU_DEP_2)
	v_sub_f32_e32 v166, v162, v165
	v_sub_f32_e32 v150, v165, v164
	;; [unrolled: 1-line block ×3, first 2 shown]
	s_delay_alu instid0(VALU_DEP_2) | instskip(NEXT) | instid1(VALU_DEP_2)
	v_sub_f32_e32 v150, v150, v160
	v_sub_f32_e32 v162, v162, v165
	s_delay_alu instid0(VALU_DEP_1) | instskip(NEXT) | instid1(VALU_DEP_1)
	v_add_f32_e32 v23, v23, v162
	v_add_f32_e32 v23, v150, v23
	s_delay_alu instid0(VALU_DEP_1) | instskip(NEXT) | instid1(VALU_DEP_1)
	v_add_f32_e32 v150, v166, v23
	v_mul_f32_e32 v160, v149, v150
	s_delay_alu instid0(VALU_DEP_1) | instskip(NEXT) | instid1(VALU_DEP_1)
	v_dual_sub_f32 v165, v166, v150 :: v_dual_mul_f32 v162, v161, v160
	v_add_f32_e32 v23, v23, v165
	s_delay_alu instid0(VALU_DEP_2) | instskip(NEXT) | instid1(VALU_DEP_1)
	v_fma_f32 v161, v160, v161, -v162
	v_fmac_f32_e32 v161, v160, v151
	s_delay_alu instid0(VALU_DEP_1) | instskip(NEXT) | instid1(VALU_DEP_1)
	v_add_f32_e32 v151, v162, v161
	v_sub_f32_e32 v164, v150, v151
	v_sub_f32_e32 v162, v151, v162
	s_delay_alu instid0(VALU_DEP_2) | instskip(NEXT) | instid1(VALU_DEP_1)
	v_sub_f32_e32 v150, v150, v164
	v_sub_f32_e32 v150, v150, v151
	s_delay_alu instid0(VALU_DEP_3) | instskip(NEXT) | instid1(VALU_DEP_2)
	v_sub_f32_e32 v151, v162, v161
	v_add_f32_e32 v23, v23, v150
	v_add_f32_e32 v150, v163, v160
	s_delay_alu instid0(VALU_DEP_2) | instskip(NEXT) | instid1(VALU_DEP_2)
	v_add_f32_e32 v23, v151, v23
	v_sub_f32_e32 v151, v150, v163
	s_delay_alu instid0(VALU_DEP_2) | instskip(NEXT) | instid1(VALU_DEP_2)
	v_add_f32_e32 v23, v164, v23
	v_sub_f32_e32 v151, v160, v151
	s_delay_alu instid0(VALU_DEP_2) | instskip(NEXT) | instid1(VALU_DEP_1)
	v_mul_f32_e32 v23, v149, v23
	v_add_f32_e32 v23, v151, v23
	s_delay_alu instid0(VALU_DEP_1) | instskip(NEXT) | instid1(VALU_DEP_1)
	v_add_f32_e32 v149, v150, v23
	v_mul_f32_e32 v151, v149, v149
	s_delay_alu instid0(VALU_DEP_1) | instskip(SKIP_2) | instid1(VALU_DEP_3)
	v_fmaak_f32 v160, s25, v151, 0x3ecc95a3
	v_mul_f32_e32 v161, v149, v151
	v_cmp_eq_f32_e64 s25, 0x7f800000, v148
	v_fmaak_f32 v151, v151, v160, 0x3f2aaada
	v_ldexp_f32 v160, v149, 1
	v_sub_f32_e32 v149, v149, v150
	s_delay_alu instid0(VALU_DEP_4) | instskip(NEXT) | instid1(VALU_DEP_3)
	s_or_b32 s25, s25, s29
	v_mul_f32_e32 v151, v161, v151
	v_mul_f32_e32 v161, 0x3f317218, v22
	s_delay_alu instid0(VALU_DEP_2) | instskip(NEXT) | instid1(VALU_DEP_1)
	v_dual_sub_f32 v23, v23, v149 :: v_dual_add_f32 v150, v160, v151
	v_ldexp_f32 v23, v23, 1
	s_delay_alu instid0(VALU_DEP_2) | instskip(NEXT) | instid1(VALU_DEP_4)
	v_sub_f32_e32 v149, v150, v160
	v_fma_f32 v160, 0x3f317218, v22, -v161
	s_delay_alu instid0(VALU_DEP_1) | instskip(NEXT) | instid1(VALU_DEP_1)
	v_dual_sub_f32 v149, v151, v149 :: v_dual_fmamk_f32 v22, v22, 0xb102e308, v160
	v_add_f32_e32 v23, v23, v149
	s_delay_alu instid0(VALU_DEP_2) | instskip(NEXT) | instid1(VALU_DEP_2)
	v_add_f32_e32 v149, v161, v22
	v_add_f32_e32 v151, v150, v23
	s_delay_alu instid0(VALU_DEP_2) | instskip(NEXT) | instid1(VALU_DEP_2)
	v_sub_f32_e32 v161, v149, v161
	v_add_f32_e32 v160, v149, v151
	v_sub_f32_e32 v150, v151, v150
	s_delay_alu instid0(VALU_DEP_3) | instskip(NEXT) | instid1(VALU_DEP_2)
	v_sub_f32_e32 v22, v22, v161
	v_dual_sub_f32 v162, v160, v149 :: v_dual_sub_f32 v23, v23, v150
	s_delay_alu instid0(VALU_DEP_1) | instskip(NEXT) | instid1(VALU_DEP_2)
	v_sub_f32_e32 v163, v160, v162
	v_dual_sub_f32 v150, v151, v162 :: v_dual_add_f32 v151, v22, v23
	s_delay_alu instid0(VALU_DEP_2) | instskip(NEXT) | instid1(VALU_DEP_1)
	v_sub_f32_e32 v149, v149, v163
	v_dual_add_f32 v149, v150, v149 :: v_dual_sub_f32 v150, v151, v22
	s_delay_alu instid0(VALU_DEP_1) | instskip(NEXT) | instid1(VALU_DEP_2)
	v_add_f32_e32 v149, v151, v149
	v_sub_f32_e32 v151, v151, v150
	v_sub_f32_e32 v23, v23, v150
	s_delay_alu instid0(VALU_DEP_2) | instskip(NEXT) | instid1(VALU_DEP_1)
	v_dual_add_f32 v161, v160, v149 :: v_dual_sub_f32 v22, v22, v151
	v_sub_f32_e32 v150, v161, v160
	s_delay_alu instid0(VALU_DEP_2) | instskip(NEXT) | instid1(VALU_DEP_2)
	v_add_f32_e32 v22, v23, v22
	v_sub_f32_e32 v23, v149, v150
	s_delay_alu instid0(VALU_DEP_1) | instskip(NEXT) | instid1(VALU_DEP_1)
	v_add_f32_e32 v22, v22, v23
	v_add_f32_e32 v22, v161, v22
	s_delay_alu instid0(VALU_DEP_1) | instskip(NEXT) | instid1(VALU_DEP_1)
	v_cndmask_b32_e64 v22, v22, v148, s25
	v_add_f32_e32 v22, v17, v22
.LBB481_120:
	s_or_b32 exec_lo, exec_lo, s26
	s_delay_alu instid0(VALU_DEP_1) | instskip(SKIP_1) | instid1(VALU_DEP_2)
	v_bfe_u32 v17, v22, 16, 1
	v_cmp_o_f32_e64 s25, v22, v22
	v_add3_u32 v17, v22, v17, 0x7fff
	s_delay_alu instid0(VALU_DEP_1) | instskip(NEXT) | instid1(VALU_DEP_1)
	v_lshrrev_b32_e32 v17, 16, v17
	v_cndmask_b32_e64 v17, 0x7fc0, v17, s25
	ds_store_b16 v16, v17 offset:2
.LBB481_121:
	s_or_b32 exec_lo, exec_lo, s27
	s_waitcnt lgkmcnt(0)
	s_barrier
	buffer_gl0_inv
	s_and_saveexec_b32 s25, s1
	s_cbranch_execz .LBB481_123
; %bb.122:
	v_add_nc_u32_e32 v16, -1, v21
	s_delay_alu instid0(VALU_DEP_1) | instskip(NEXT) | instid1(VALU_DEP_1)
	v_lshrrev_b32_e32 v17, 5, v16
	v_add_lshl_u32 v16, v17, v16, 1
	ds_load_u16 v147, v16
.LBB481_123:
	s_or_b32 exec_lo, exec_lo, s25
	s_and_saveexec_b32 s29, vcc_lo
	s_cbranch_execz .LBB481_190
; %bb.124:
	v_mov_b32_e32 v23, 0
	v_mbcnt_lo_u32_b32 v149, -1, 0
	s_mov_b32 s27, 0
	ds_load_u16 v148, v23 offset:128
	v_cmp_eq_u32_e64 s25, 0, v149
	s_delay_alu instid0(VALU_DEP_1)
	s_and_saveexec_b32 vcc_hi, s25
	s_cbranch_execz .LBB481_126
; %bb.125:
	s_add_i32 s26, s28, 32
	s_waitcnt lgkmcnt(0)
	v_or_b32_e32 v22, 0x10000, v148
	s_lshl_b64 s[26:27], s[26:27], 2
	s_delay_alu instid0(SALU_CYCLE_1)
	v_add_co_u32 v16, vcc_lo, v18, s26
	v_add_co_ci_u32_e32 v17, vcc_lo, s27, v19, vcc_lo
	flat_store_b32 v[16:17], v22
.LBB481_126:
	s_or_b32 exec_lo, exec_lo, vcc_hi
	v_xad_u32 v16, v149, -1, s28
	s_mov_b32 s26, exec_lo
	s_delay_alu instid0(VALU_DEP_1) | instskip(NEXT) | instid1(VALU_DEP_1)
	v_add_nc_u32_e32 v22, 32, v16
	v_lshlrev_b64 v[22:23], 2, v[22:23]
	s_delay_alu instid0(VALU_DEP_1) | instskip(NEXT) | instid1(VALU_DEP_2)
	v_add_co_u32 v22, vcc_lo, v18, v22
	v_add_co_ci_u32_e32 v23, vcc_lo, v19, v23, vcc_lo
	flat_load_b32 v178, v[22:23] glc
	s_waitcnt vmcnt(0) lgkmcnt(0)
	v_lshrrev_b32_e32 v160, 16, v178
	s_delay_alu instid0(VALU_DEP_1) | instskip(NEXT) | instid1(VALU_DEP_1)
	v_and_b32_e32 v17, 0xff, v160
	v_cmpx_eq_u16_e32 0, v17
	s_cbranch_execz .LBB481_132
; %bb.127:
	s_mov_b32 vcc_hi, 1
	s_mov_b32 s27, 0
	.p2align	6
.LBB481_128:                            ; =>This Loop Header: Depth=1
                                        ;     Child Loop BB481_129 Depth 2
	s_max_u32 vcc_lo, vcc_hi, 1
.LBB481_129:                            ;   Parent Loop BB481_128 Depth=1
                                        ; =>  This Inner Loop Header: Depth=2
	s_delay_alu instid0(SALU_CYCLE_1)
	s_add_i32 vcc_lo, vcc_lo, -1
	s_sleep 1
	s_cmp_eq_u32 vcc_lo, 0
	s_cbranch_scc0 .LBB481_129
; %bb.130:                              ;   in Loop: Header=BB481_128 Depth=1
	flat_load_b32 v178, v[22:23] glc
	s_cmp_lt_u32 vcc_hi, 32
	s_cselect_b32 s30, -1, 0
	s_delay_alu instid0(SALU_CYCLE_1) | instskip(SKIP_2) | instid1(VALU_DEP_1)
	s_cmp_lg_u32 s30, 0
	s_waitcnt vmcnt(0) lgkmcnt(0)
	v_lshrrev_b32_e32 v160, 16, v178
	v_and_b32_e32 v17, 0xff, v160
	s_delay_alu instid0(VALU_DEP_1) | instskip(SKIP_2) | instid1(SALU_CYCLE_1)
	v_cmp_ne_u16_e32 vcc_lo, 0, v17
	s_addc_u32 vcc_hi, vcc_hi, 0
	s_or_b32 s27, vcc_lo, s27
	s_and_not1_b32 exec_lo, exec_lo, s27
	s_cbranch_execnz .LBB481_128
; %bb.131:
	s_or_b32 exec_lo, exec_lo, s27
.LBB481_132:
	s_delay_alu instid0(SALU_CYCLE_1)
	s_or_b32 exec_lo, exec_lo, s26
	v_cmp_ne_u32_e32 vcc_lo, 31, v149
	v_and_b32_e32 v23, 0xff, v160
	v_and_b32_e32 v22, 0xffff, v178
	v_lshlrev_b32_e64 v151, v149, -1
	s_mov_b32 s26, exec_lo
	v_add_co_ci_u32_e32 v17, vcc_lo, 0, v149, vcc_lo
	v_cmp_eq_u16_e32 vcc_lo, 2, v23
	s_delay_alu instid0(VALU_DEP_2) | instskip(SKIP_3) | instid1(VALU_DEP_1)
	v_lshlrev_b32_e32 v150, 2, v17
	v_and_or_b32 v17, vcc_lo, v151, 0x80000000
	ds_bpermute_b32 v23, v150, v22
	v_ctz_i32_b32_e32 v17, v17
	v_cmpx_lt_u32_e64 v149, v17
	s_cbranch_execz .LBB481_136
; %bb.133:
	s_waitcnt lgkmcnt(0)
	v_lshlrev_b32_e32 v23, 16, v23
	s_delay_alu instid0(VALU_DEP_1) | instskip(SKIP_2) | instid1(VALU_DEP_2)
	v_max_f32_e32 v162, v23, v23
	v_lshlrev_b32_e32 v22, 16, v22
	v_cmp_u_f32_e32 vcc_lo, v23, v23
	v_max_f32_e32 v161, v22, v22
	s_delay_alu instid0(VALU_DEP_1) | instskip(NEXT) | instid1(VALU_DEP_1)
	v_min_f32_e32 v163, v162, v161
	v_dual_max_f32 v161, v162, v161 :: v_dual_cndmask_b32 v162, v163, v23
	s_delay_alu instid0(VALU_DEP_1) | instskip(SKIP_1) | instid1(VALU_DEP_3)
	v_cndmask_b32_e32 v163, v161, v23, vcc_lo
	v_cmp_u_f32_e32 vcc_lo, v22, v22
	v_cndmask_b32_e32 v161, v162, v22, vcc_lo
	s_delay_alu instid0(VALU_DEP_3) | instskip(NEXT) | instid1(VALU_DEP_2)
	v_cndmask_b32_e32 v22, v163, v22, vcc_lo
	v_cmp_class_f32_e64 s27, v161, 0x1f8
	s_delay_alu instid0(VALU_DEP_2) | instskip(NEXT) | instid1(VALU_DEP_2)
	v_cmp_neq_f32_e32 vcc_lo, v161, v22
	s_or_b32 vcc_lo, vcc_lo, s27
	s_delay_alu instid0(SALU_CYCLE_1)
	s_and_saveexec_b32 s27, vcc_lo
	s_cbranch_execz .LBB481_135
; %bb.134:
	v_sub_f32_e32 v23, v161, v22
	s_mov_b32 s30, 0x3e9b6dac
	s_delay_alu instid0(VALU_DEP_1) | instskip(SKIP_1) | instid1(VALU_DEP_2)
	v_mul_f32_e32 v161, 0x3fb8aa3b, v23
	v_cmp_ngt_f32_e32 vcc_lo, 0xc2ce8ed0, v23
	v_fma_f32 v162, 0x3fb8aa3b, v23, -v161
	v_rndne_f32_e32 v163, v161
	s_delay_alu instid0(VALU_DEP_1) | instskip(NEXT) | instid1(VALU_DEP_1)
	v_dual_fmamk_f32 v162, v23, 0x32a5705f, v162 :: v_dual_sub_f32 v161, v161, v163
	v_add_f32_e32 v161, v161, v162
	v_cvt_i32_f32_e32 v162, v163
	s_delay_alu instid0(VALU_DEP_2) | instskip(SKIP_2) | instid1(VALU_DEP_1)
	v_exp_f32_e32 v161, v161
	s_waitcnt_depctr 0xfff
	v_ldexp_f32 v161, v161, v162
	v_cndmask_b32_e32 v161, 0, v161, vcc_lo
	v_cmp_nlt_f32_e32 vcc_lo, 0x42b17218, v23
	s_delay_alu instid0(VALU_DEP_2) | instskip(NEXT) | instid1(VALU_DEP_1)
	v_cndmask_b32_e32 v23, 0x7f800000, v161, vcc_lo
	v_add_f32_e32 v163, 1.0, v23
	s_delay_alu instid0(VALU_DEP_1) | instskip(NEXT) | instid1(VALU_DEP_1)
	v_cvt_f64_f32_e32 v[161:162], v163
	v_frexp_exp_i32_f64_e32 v161, v[161:162]
	v_frexp_mant_f32_e32 v162, v163
	s_delay_alu instid0(VALU_DEP_1) | instskip(SKIP_1) | instid1(VALU_DEP_1)
	v_cmp_gt_f32_e32 vcc_lo, 0x3f2aaaab, v162
	v_add_f32_e32 v162, -1.0, v163
	v_dual_sub_f32 v165, v162, v163 :: v_dual_sub_f32 v162, v23, v162
	s_delay_alu instid0(VALU_DEP_1) | instskip(NEXT) | instid1(VALU_DEP_1)
	v_add_f32_e32 v165, 1.0, v165
	v_add_f32_e32 v162, v162, v165
	v_subrev_co_ci_u32_e32 v161, vcc_lo, 0, v161, vcc_lo
	s_delay_alu instid0(VALU_DEP_1) | instskip(SKIP_1) | instid1(VALU_DEP_2)
	v_sub_nc_u32_e32 v164, 0, v161
	v_cvt_f32_i32_e32 v161, v161
	v_ldexp_f32 v163, v163, v164
	v_ldexp_f32 v162, v162, v164
	s_delay_alu instid0(VALU_DEP_2) | instskip(NEXT) | instid1(VALU_DEP_1)
	v_add_f32_e32 v166, 1.0, v163
	v_dual_add_f32 v164, -1.0, v163 :: v_dual_add_f32 v165, -1.0, v166
	s_delay_alu instid0(VALU_DEP_1) | instskip(NEXT) | instid1(VALU_DEP_2)
	v_add_f32_e32 v167, 1.0, v164
	v_sub_f32_e32 v165, v163, v165
	s_delay_alu instid0(VALU_DEP_2) | instskip(NEXT) | instid1(VALU_DEP_2)
	v_sub_f32_e32 v163, v163, v167
	v_add_f32_e32 v165, v162, v165
	s_delay_alu instid0(VALU_DEP_2) | instskip(SKIP_2) | instid1(VALU_DEP_3)
	v_add_f32_e32 v162, v162, v163
	v_cmp_eq_f32_e32 vcc_lo, 0x7f800000, v23
	v_cmp_gt_f32_e64 vcc_hi, 0x33800000, |v23|
	v_add_f32_e32 v176, v164, v162
	s_delay_alu instid0(VALU_DEP_2) | instskip(NEXT) | instid1(VALU_DEP_1)
	s_or_b32 vcc_lo, vcc_lo, vcc_hi
	v_dual_sub_f32 v164, v164, v176 :: v_dual_add_f32 v167, v166, v165
	s_delay_alu instid0(VALU_DEP_1) | instskip(NEXT) | instid1(VALU_DEP_2)
	v_add_f32_e32 v162, v162, v164
	v_rcp_f32_e32 v163, v167
	v_sub_f32_e32 v166, v166, v167
	s_delay_alu instid0(VALU_DEP_1) | instskip(SKIP_2) | instid1(VALU_DEP_1)
	v_add_f32_e32 v165, v165, v166
	s_waitcnt_depctr 0xfff
	v_mul_f32_e32 v177, v176, v163
	v_mul_f32_e32 v178, v167, v177
	s_delay_alu instid0(VALU_DEP_1) | instskip(NEXT) | instid1(VALU_DEP_1)
	v_fma_f32 v166, v177, v167, -v178
	v_fmac_f32_e32 v166, v177, v165
	s_delay_alu instid0(VALU_DEP_1) | instskip(NEXT) | instid1(VALU_DEP_1)
	v_add_f32_e32 v179, v178, v166
	v_sub_f32_e32 v180, v176, v179
	v_sub_f32_e32 v164, v179, v178
	s_delay_alu instid0(VALU_DEP_2) | instskip(NEXT) | instid1(VALU_DEP_1)
	v_sub_f32_e32 v176, v176, v180
	v_sub_f32_e32 v176, v176, v179
	s_delay_alu instid0(VALU_DEP_3) | instskip(NEXT) | instid1(VALU_DEP_2)
	v_sub_f32_e32 v164, v164, v166
	v_add_f32_e32 v162, v162, v176
	s_delay_alu instid0(VALU_DEP_1) | instskip(NEXT) | instid1(VALU_DEP_1)
	v_add_f32_e32 v162, v164, v162
	v_add_f32_e32 v164, v180, v162
	s_delay_alu instid0(VALU_DEP_1) | instskip(NEXT) | instid1(VALU_DEP_1)
	v_mul_f32_e32 v166, v163, v164
	v_dual_sub_f32 v179, v180, v164 :: v_dual_mul_f32 v176, v167, v166
	s_delay_alu instid0(VALU_DEP_1) | instskip(NEXT) | instid1(VALU_DEP_2)
	v_add_f32_e32 v162, v162, v179
	v_fma_f32 v167, v166, v167, -v176
	s_delay_alu instid0(VALU_DEP_1) | instskip(NEXT) | instid1(VALU_DEP_1)
	v_fmac_f32_e32 v167, v166, v165
	v_add_f32_e32 v165, v176, v167
	s_delay_alu instid0(VALU_DEP_1) | instskip(NEXT) | instid1(VALU_DEP_1)
	v_sub_f32_e32 v178, v164, v165
	v_sub_f32_e32 v164, v164, v178
	s_delay_alu instid0(VALU_DEP_1) | instskip(NEXT) | instid1(VALU_DEP_1)
	v_sub_f32_e32 v164, v164, v165
	v_add_f32_e32 v162, v162, v164
	v_add_f32_e32 v164, v177, v166
	v_sub_f32_e32 v176, v165, v176
	s_delay_alu instid0(VALU_DEP_1) | instskip(NEXT) | instid1(VALU_DEP_1)
	v_sub_f32_e32 v165, v176, v167
	v_dual_add_f32 v162, v165, v162 :: v_dual_sub_f32 v165, v164, v177
	s_delay_alu instid0(VALU_DEP_1) | instskip(NEXT) | instid1(VALU_DEP_1)
	v_add_f32_e32 v162, v178, v162
	v_dual_sub_f32 v165, v166, v165 :: v_dual_mul_f32 v162, v163, v162
	s_delay_alu instid0(VALU_DEP_1) | instskip(NEXT) | instid1(VALU_DEP_1)
	v_add_f32_e32 v162, v165, v162
	v_add_f32_e32 v163, v164, v162
	s_delay_alu instid0(VALU_DEP_1) | instskip(NEXT) | instid1(VALU_DEP_1)
	v_mul_f32_e32 v165, v163, v163
	v_fmaak_f32 v166, s30, v165, 0x3ecc95a3
	v_mul_f32_e32 v167, v163, v165
	s_delay_alu instid0(VALU_DEP_2) | instskip(SKIP_1) | instid1(VALU_DEP_2)
	v_fmaak_f32 v165, v165, v166, 0x3f2aaada
	v_ldexp_f32 v166, v163, 1
	v_mul_f32_e32 v165, v167, v165
	v_mul_f32_e32 v167, 0x3f317218, v161
	s_delay_alu instid0(VALU_DEP_2) | instskip(NEXT) | instid1(VALU_DEP_1)
	v_dual_sub_f32 v163, v163, v164 :: v_dual_add_f32 v164, v166, v165
	v_dual_sub_f32 v162, v162, v163 :: v_dual_sub_f32 v163, v164, v166
	s_delay_alu instid0(VALU_DEP_3) | instskip(NEXT) | instid1(VALU_DEP_2)
	v_fma_f32 v166, 0x3f317218, v161, -v167
	v_ldexp_f32 v162, v162, 1
	s_delay_alu instid0(VALU_DEP_3) | instskip(NEXT) | instid1(VALU_DEP_1)
	v_sub_f32_e32 v163, v165, v163
	v_dual_fmamk_f32 v161, v161, 0xb102e308, v166 :: v_dual_add_f32 v162, v162, v163
	s_delay_alu instid0(VALU_DEP_1) | instskip(NEXT) | instid1(VALU_DEP_1)
	v_add_f32_e32 v163, v167, v161
	v_sub_f32_e32 v167, v163, v167
	s_delay_alu instid0(VALU_DEP_3) | instskip(NEXT) | instid1(VALU_DEP_1)
	v_add_f32_e32 v165, v164, v162
	v_dual_sub_f32 v161, v161, v167 :: v_dual_add_f32 v166, v163, v165
	v_sub_f32_e32 v164, v165, v164
	s_delay_alu instid0(VALU_DEP_2) | instskip(NEXT) | instid1(VALU_DEP_1)
	v_sub_f32_e32 v176, v166, v163
	v_sub_f32_e32 v177, v166, v176
	s_delay_alu instid0(VALU_DEP_1) | instskip(SKIP_1) | instid1(VALU_DEP_1)
	v_dual_sub_f32 v163, v163, v177 :: v_dual_sub_f32 v162, v162, v164
	v_sub_f32_e32 v164, v165, v176
	v_add_f32_e32 v163, v164, v163
	s_delay_alu instid0(VALU_DEP_3) | instskip(NEXT) | instid1(VALU_DEP_1)
	v_add_f32_e32 v165, v161, v162
	v_sub_f32_e32 v164, v165, v161
	s_delay_alu instid0(VALU_DEP_1) | instskip(NEXT) | instid1(VALU_DEP_1)
	v_dual_add_f32 v163, v165, v163 :: v_dual_sub_f32 v162, v162, v164
	v_add_f32_e32 v167, v166, v163
	s_delay_alu instid0(VALU_DEP_1) | instskip(NEXT) | instid1(VALU_DEP_1)
	v_dual_sub_f32 v165, v165, v164 :: v_dual_sub_f32 v164, v167, v166
	v_sub_f32_e32 v161, v161, v165
	s_delay_alu instid0(VALU_DEP_1) | instskip(NEXT) | instid1(VALU_DEP_1)
	v_dual_add_f32 v161, v162, v161 :: v_dual_sub_f32 v162, v163, v164
	v_add_f32_e32 v161, v161, v162
	s_delay_alu instid0(VALU_DEP_1) | instskip(NEXT) | instid1(VALU_DEP_1)
	v_add_f32_e32 v161, v167, v161
	v_cndmask_b32_e32 v23, v161, v23, vcc_lo
	s_delay_alu instid0(VALU_DEP_1)
	v_add_f32_e32 v23, v22, v23
.LBB481_135:
	s_or_b32 exec_lo, exec_lo, s27
	s_delay_alu instid0(VALU_DEP_1) | instskip(SKIP_1) | instid1(VALU_DEP_2)
	v_bfe_u32 v22, v23, 16, 1
	v_cmp_o_f32_e32 vcc_lo, v23, v23
	v_add3_u32 v22, v23, v22, 0x7fff
	s_delay_alu instid0(VALU_DEP_1) | instskip(NEXT) | instid1(VALU_DEP_1)
	v_lshrrev_b32_e32 v22, 16, v22
	v_cndmask_b32_e32 v178, 0x7fc0, v22, vcc_lo
	s_delay_alu instid0(VALU_DEP_1)
	v_and_b32_e32 v22, 0xffff, v178
.LBB481_136:
	s_or_b32 exec_lo, exec_lo, s26
	v_cmp_gt_u32_e32 vcc_lo, 30, v149
	v_add_nc_u32_e32 v162, 2, v149
	s_mov_b32 s26, exec_lo
	s_waitcnt lgkmcnt(0)
	v_cndmask_b32_e64 v23, 0, 1, vcc_lo
	s_delay_alu instid0(VALU_DEP_1) | instskip(NEXT) | instid1(VALU_DEP_1)
	v_lshlrev_b32_e32 v23, 1, v23
	v_add_lshl_u32 v161, v23, v149, 2
	ds_bpermute_b32 v23, v161, v22
	v_cmpx_le_u32_e64 v162, v17
	s_cbranch_execz .LBB481_140
; %bb.137:
	s_waitcnt lgkmcnt(0)
	v_lshlrev_b32_e32 v23, 16, v23
	s_delay_alu instid0(VALU_DEP_1) | instskip(SKIP_2) | instid1(VALU_DEP_2)
	v_max_f32_e32 v164, v23, v23
	v_lshlrev_b32_e32 v22, 16, v22
	v_cmp_u_f32_e32 vcc_lo, v23, v23
	v_max_f32_e32 v163, v22, v22
	s_delay_alu instid0(VALU_DEP_1) | instskip(SKIP_1) | instid1(VALU_DEP_2)
	v_min_f32_e32 v165, v164, v163
	v_max_f32_e32 v163, v164, v163
	v_cndmask_b32_e32 v164, v165, v23, vcc_lo
	s_delay_alu instid0(VALU_DEP_2) | instskip(SKIP_1) | instid1(VALU_DEP_3)
	v_cndmask_b32_e32 v165, v163, v23, vcc_lo
	v_cmp_u_f32_e32 vcc_lo, v22, v22
	v_cndmask_b32_e32 v163, v164, v22, vcc_lo
	s_delay_alu instid0(VALU_DEP_3) | instskip(NEXT) | instid1(VALU_DEP_2)
	v_cndmask_b32_e32 v22, v165, v22, vcc_lo
	v_cmp_class_f32_e64 s27, v163, 0x1f8
	s_delay_alu instid0(VALU_DEP_2) | instskip(NEXT) | instid1(VALU_DEP_2)
	v_cmp_neq_f32_e32 vcc_lo, v163, v22
	s_or_b32 vcc_lo, vcc_lo, s27
	s_delay_alu instid0(SALU_CYCLE_1)
	s_and_saveexec_b32 s27, vcc_lo
	s_cbranch_execz .LBB481_139
; %bb.138:
	v_sub_f32_e32 v23, v163, v22
	s_mov_b32 s30, 0x3e9b6dac
	s_delay_alu instid0(VALU_DEP_1) | instskip(SKIP_1) | instid1(VALU_DEP_2)
	v_mul_f32_e32 v163, 0x3fb8aa3b, v23
	v_cmp_ngt_f32_e32 vcc_lo, 0xc2ce8ed0, v23
	v_fma_f32 v164, 0x3fb8aa3b, v23, -v163
	v_rndne_f32_e32 v165, v163
	s_delay_alu instid0(VALU_DEP_2) | instskip(NEXT) | instid1(VALU_DEP_2)
	v_fmamk_f32 v164, v23, 0x32a5705f, v164
	v_sub_f32_e32 v163, v163, v165
	s_delay_alu instid0(VALU_DEP_1) | instskip(SKIP_1) | instid1(VALU_DEP_2)
	v_add_f32_e32 v163, v163, v164
	v_cvt_i32_f32_e32 v164, v165
	v_exp_f32_e32 v163, v163
	s_waitcnt_depctr 0xfff
	v_ldexp_f32 v163, v163, v164
	s_delay_alu instid0(VALU_DEP_1) | instskip(SKIP_1) | instid1(VALU_DEP_2)
	v_cndmask_b32_e32 v163, 0, v163, vcc_lo
	v_cmp_nlt_f32_e32 vcc_lo, 0x42b17218, v23
	v_cndmask_b32_e32 v23, 0x7f800000, v163, vcc_lo
	s_delay_alu instid0(VALU_DEP_1) | instskip(NEXT) | instid1(VALU_DEP_1)
	v_add_f32_e32 v165, 1.0, v23
	v_cvt_f64_f32_e32 v[163:164], v165
	s_delay_alu instid0(VALU_DEP_1) | instskip(SKIP_1) | instid1(VALU_DEP_1)
	v_frexp_exp_i32_f64_e32 v163, v[163:164]
	v_frexp_mant_f32_e32 v164, v165
	v_cmp_gt_f32_e32 vcc_lo, 0x3f2aaaab, v164
	v_add_f32_e32 v164, -1.0, v165
	s_delay_alu instid0(VALU_DEP_1) | instskip(NEXT) | instid1(VALU_DEP_1)
	v_dual_sub_f32 v167, v164, v165 :: v_dual_sub_f32 v164, v23, v164
	v_add_f32_e32 v167, 1.0, v167
	s_delay_alu instid0(VALU_DEP_1) | instskip(SKIP_1) | instid1(VALU_DEP_1)
	v_add_f32_e32 v164, v164, v167
	v_subrev_co_ci_u32_e32 v163, vcc_lo, 0, v163, vcc_lo
	v_sub_nc_u32_e32 v166, 0, v163
	v_cvt_f32_i32_e32 v163, v163
	s_delay_alu instid0(VALU_DEP_2) | instskip(SKIP_1) | instid1(VALU_DEP_2)
	v_ldexp_f32 v165, v165, v166
	v_ldexp_f32 v164, v164, v166
	v_add_f32_e32 v176, 1.0, v165
	v_add_f32_e32 v166, -1.0, v165
	v_cmp_eq_f32_e32 vcc_lo, 0x7f800000, v23
	v_cmp_gt_f32_e64 vcc_hi, 0x33800000, |v23|
	s_delay_alu instid0(VALU_DEP_4) | instskip(NEXT) | instid1(VALU_DEP_4)
	v_add_f32_e32 v167, -1.0, v176
	v_add_f32_e32 v177, 1.0, v166
	s_delay_alu instid0(VALU_DEP_3) | instskip(NEXT) | instid1(VALU_DEP_2)
	s_or_b32 vcc_lo, vcc_lo, vcc_hi
	v_sub_f32_e32 v167, v165, v167
	s_delay_alu instid0(VALU_DEP_2) | instskip(NEXT) | instid1(VALU_DEP_2)
	v_sub_f32_e32 v165, v165, v177
	v_add_f32_e32 v167, v164, v167
	s_delay_alu instid0(VALU_DEP_2) | instskip(NEXT) | instid1(VALU_DEP_1)
	v_add_f32_e32 v164, v164, v165
	v_add_f32_e32 v178, v166, v164
	s_delay_alu instid0(VALU_DEP_1) | instskip(NEXT) | instid1(VALU_DEP_1)
	v_dual_sub_f32 v166, v166, v178 :: v_dual_add_f32 v177, v176, v167
	v_add_f32_e32 v164, v164, v166
	s_delay_alu instid0(VALU_DEP_2) | instskip(SKIP_1) | instid1(VALU_DEP_1)
	v_rcp_f32_e32 v165, v177
	v_sub_f32_e32 v176, v176, v177
	v_add_f32_e32 v167, v167, v176
	s_waitcnt_depctr 0xfff
	v_mul_f32_e32 v179, v178, v165
	s_delay_alu instid0(VALU_DEP_1) | instskip(NEXT) | instid1(VALU_DEP_1)
	v_mul_f32_e32 v180, v177, v179
	v_fma_f32 v176, v179, v177, -v180
	s_delay_alu instid0(VALU_DEP_1) | instskip(NEXT) | instid1(VALU_DEP_1)
	v_fmac_f32_e32 v176, v179, v167
	v_add_f32_e32 v181, v180, v176
	s_delay_alu instid0(VALU_DEP_1) | instskip(SKIP_1) | instid1(VALU_DEP_2)
	v_sub_f32_e32 v182, v178, v181
	v_sub_f32_e32 v166, v181, v180
	;; [unrolled: 1-line block ×3, first 2 shown]
	s_delay_alu instid0(VALU_DEP_1) | instskip(NEXT) | instid1(VALU_DEP_3)
	v_sub_f32_e32 v178, v178, v181
	v_sub_f32_e32 v166, v166, v176
	s_delay_alu instid0(VALU_DEP_2) | instskip(NEXT) | instid1(VALU_DEP_1)
	v_add_f32_e32 v164, v164, v178
	v_add_f32_e32 v164, v166, v164
	s_delay_alu instid0(VALU_DEP_1) | instskip(NEXT) | instid1(VALU_DEP_1)
	v_add_f32_e32 v166, v182, v164
	v_mul_f32_e32 v176, v165, v166
	s_delay_alu instid0(VALU_DEP_1) | instskip(NEXT) | instid1(VALU_DEP_1)
	v_dual_sub_f32 v181, v182, v166 :: v_dual_mul_f32 v178, v177, v176
	v_add_f32_e32 v164, v164, v181
	s_delay_alu instid0(VALU_DEP_2) | instskip(NEXT) | instid1(VALU_DEP_1)
	v_fma_f32 v177, v176, v177, -v178
	v_fmac_f32_e32 v177, v176, v167
	s_delay_alu instid0(VALU_DEP_1) | instskip(NEXT) | instid1(VALU_DEP_1)
	v_add_f32_e32 v167, v178, v177
	v_sub_f32_e32 v180, v166, v167
	s_delay_alu instid0(VALU_DEP_1) | instskip(NEXT) | instid1(VALU_DEP_1)
	v_sub_f32_e32 v166, v166, v180
	v_sub_f32_e32 v166, v166, v167
	s_delay_alu instid0(VALU_DEP_1) | instskip(SKIP_2) | instid1(VALU_DEP_1)
	v_add_f32_e32 v164, v164, v166
	v_add_f32_e32 v166, v179, v176
	v_sub_f32_e32 v178, v167, v178
	v_sub_f32_e32 v167, v178, v177
	s_delay_alu instid0(VALU_DEP_1) | instskip(NEXT) | instid1(VALU_DEP_1)
	v_dual_add_f32 v164, v167, v164 :: v_dual_sub_f32 v167, v166, v179
	v_add_f32_e32 v164, v180, v164
	s_delay_alu instid0(VALU_DEP_1) | instskip(NEXT) | instid1(VALU_DEP_1)
	v_dual_sub_f32 v167, v176, v167 :: v_dual_mul_f32 v164, v165, v164
	v_add_f32_e32 v164, v167, v164
	s_delay_alu instid0(VALU_DEP_1) | instskip(NEXT) | instid1(VALU_DEP_1)
	v_add_f32_e32 v165, v166, v164
	v_mul_f32_e32 v167, v165, v165
	s_delay_alu instid0(VALU_DEP_1) | instskip(SKIP_1) | instid1(VALU_DEP_2)
	v_fmaak_f32 v176, s30, v167, 0x3ecc95a3
	v_mul_f32_e32 v177, v165, v167
	v_fmaak_f32 v167, v167, v176, 0x3f2aaada
	v_ldexp_f32 v176, v165, 1
	s_delay_alu instid0(VALU_DEP_2) | instskip(SKIP_1) | instid1(VALU_DEP_2)
	v_mul_f32_e32 v167, v177, v167
	v_mul_f32_e32 v177, 0x3f317218, v163
	v_dual_sub_f32 v165, v165, v166 :: v_dual_add_f32 v166, v176, v167
	s_delay_alu instid0(VALU_DEP_1) | instskip(NEXT) | instid1(VALU_DEP_3)
	v_dual_sub_f32 v164, v164, v165 :: v_dual_sub_f32 v165, v166, v176
	v_fma_f32 v176, 0x3f317218, v163, -v177
	s_delay_alu instid0(VALU_DEP_2) | instskip(NEXT) | instid1(VALU_DEP_3)
	v_ldexp_f32 v164, v164, 1
	v_sub_f32_e32 v165, v167, v165
	s_delay_alu instid0(VALU_DEP_1) | instskip(NEXT) | instid1(VALU_DEP_1)
	v_dual_fmamk_f32 v163, v163, 0xb102e308, v176 :: v_dual_add_f32 v164, v164, v165
	v_add_f32_e32 v165, v177, v163
	s_delay_alu instid0(VALU_DEP_1) | instskip(NEXT) | instid1(VALU_DEP_3)
	v_sub_f32_e32 v177, v165, v177
	v_add_f32_e32 v167, v166, v164
	s_delay_alu instid0(VALU_DEP_1) | instskip(SKIP_1) | instid1(VALU_DEP_2)
	v_dual_sub_f32 v163, v163, v177 :: v_dual_add_f32 v176, v165, v167
	v_sub_f32_e32 v166, v167, v166
	v_sub_f32_e32 v178, v176, v165
	s_delay_alu instid0(VALU_DEP_1) | instskip(NEXT) | instid1(VALU_DEP_1)
	v_sub_f32_e32 v179, v176, v178
	v_dual_sub_f32 v165, v165, v179 :: v_dual_sub_f32 v164, v164, v166
	v_sub_f32_e32 v166, v167, v178
	s_delay_alu instid0(VALU_DEP_1) | instskip(NEXT) | instid1(VALU_DEP_3)
	v_add_f32_e32 v165, v166, v165
	v_add_f32_e32 v167, v163, v164
	s_delay_alu instid0(VALU_DEP_1) | instskip(NEXT) | instid1(VALU_DEP_1)
	v_sub_f32_e32 v166, v167, v163
	v_dual_add_f32 v165, v167, v165 :: v_dual_sub_f32 v164, v164, v166
	s_delay_alu instid0(VALU_DEP_1) | instskip(NEXT) | instid1(VALU_DEP_1)
	v_add_f32_e32 v177, v176, v165
	v_dual_sub_f32 v167, v167, v166 :: v_dual_sub_f32 v166, v177, v176
	s_delay_alu instid0(VALU_DEP_1) | instskip(NEXT) | instid1(VALU_DEP_1)
	v_sub_f32_e32 v163, v163, v167
	v_dual_add_f32 v163, v164, v163 :: v_dual_sub_f32 v164, v165, v166
	s_delay_alu instid0(VALU_DEP_1) | instskip(NEXT) | instid1(VALU_DEP_1)
	v_add_f32_e32 v163, v163, v164
	v_add_f32_e32 v163, v177, v163
	s_delay_alu instid0(VALU_DEP_1) | instskip(NEXT) | instid1(VALU_DEP_1)
	v_cndmask_b32_e32 v23, v163, v23, vcc_lo
	v_add_f32_e32 v23, v22, v23
.LBB481_139:
	s_or_b32 exec_lo, exec_lo, s27
	s_delay_alu instid0(VALU_DEP_1) | instskip(SKIP_1) | instid1(VALU_DEP_2)
	v_bfe_u32 v22, v23, 16, 1
	v_cmp_o_f32_e32 vcc_lo, v23, v23
	v_add3_u32 v22, v23, v22, 0x7fff
	s_delay_alu instid0(VALU_DEP_1) | instskip(NEXT) | instid1(VALU_DEP_1)
	v_lshrrev_b32_e32 v22, 16, v22
	v_cndmask_b32_e32 v178, 0x7fc0, v22, vcc_lo
	s_delay_alu instid0(VALU_DEP_1)
	v_and_b32_e32 v22, 0xffff, v178
.LBB481_140:
	s_or_b32 exec_lo, exec_lo, s26
	v_cmp_gt_u32_e32 vcc_lo, 28, v149
	v_add_nc_u32_e32 v164, 4, v149
	s_mov_b32 s26, exec_lo
	s_waitcnt lgkmcnt(0)
	v_cndmask_b32_e64 v23, 0, 1, vcc_lo
	s_delay_alu instid0(VALU_DEP_1) | instskip(NEXT) | instid1(VALU_DEP_1)
	v_lshlrev_b32_e32 v23, 2, v23
	v_add_lshl_u32 v163, v23, v149, 2
	ds_bpermute_b32 v23, v163, v22
	v_cmpx_le_u32_e64 v164, v17
	s_cbranch_execz .LBB481_144
; %bb.141:
	s_waitcnt lgkmcnt(0)
	v_lshlrev_b32_e32 v23, 16, v23
	s_delay_alu instid0(VALU_DEP_1) | instskip(SKIP_2) | instid1(VALU_DEP_2)
	v_max_f32_e32 v166, v23, v23
	v_lshlrev_b32_e32 v22, 16, v22
	v_cmp_u_f32_e32 vcc_lo, v23, v23
	v_max_f32_e32 v165, v22, v22
	s_delay_alu instid0(VALU_DEP_1) | instskip(NEXT) | instid1(VALU_DEP_1)
	v_min_f32_e32 v167, v166, v165
	v_dual_max_f32 v165, v166, v165 :: v_dual_cndmask_b32 v166, v167, v23
	s_delay_alu instid0(VALU_DEP_1) | instskip(SKIP_1) | instid1(VALU_DEP_3)
	v_cndmask_b32_e32 v167, v165, v23, vcc_lo
	v_cmp_u_f32_e32 vcc_lo, v22, v22
	v_cndmask_b32_e32 v165, v166, v22, vcc_lo
	s_delay_alu instid0(VALU_DEP_3) | instskip(NEXT) | instid1(VALU_DEP_2)
	v_cndmask_b32_e32 v22, v167, v22, vcc_lo
	v_cmp_class_f32_e64 s27, v165, 0x1f8
	s_delay_alu instid0(VALU_DEP_2) | instskip(NEXT) | instid1(VALU_DEP_2)
	v_cmp_neq_f32_e32 vcc_lo, v165, v22
	s_or_b32 vcc_lo, vcc_lo, s27
	s_delay_alu instid0(SALU_CYCLE_1)
	s_and_saveexec_b32 s27, vcc_lo
	s_cbranch_execz .LBB481_143
; %bb.142:
	v_sub_f32_e32 v23, v165, v22
	s_mov_b32 s30, 0x3e9b6dac
	s_delay_alu instid0(VALU_DEP_1) | instskip(SKIP_1) | instid1(VALU_DEP_2)
	v_mul_f32_e32 v165, 0x3fb8aa3b, v23
	v_cmp_ngt_f32_e32 vcc_lo, 0xc2ce8ed0, v23
	v_fma_f32 v166, 0x3fb8aa3b, v23, -v165
	v_rndne_f32_e32 v167, v165
	s_delay_alu instid0(VALU_DEP_1) | instskip(NEXT) | instid1(VALU_DEP_1)
	v_dual_fmamk_f32 v166, v23, 0x32a5705f, v166 :: v_dual_sub_f32 v165, v165, v167
	v_add_f32_e32 v165, v165, v166
	v_cvt_i32_f32_e32 v166, v167
	s_delay_alu instid0(VALU_DEP_2) | instskip(SKIP_2) | instid1(VALU_DEP_1)
	v_exp_f32_e32 v165, v165
	s_waitcnt_depctr 0xfff
	v_ldexp_f32 v165, v165, v166
	v_cndmask_b32_e32 v165, 0, v165, vcc_lo
	v_cmp_nlt_f32_e32 vcc_lo, 0x42b17218, v23
	s_delay_alu instid0(VALU_DEP_2) | instskip(NEXT) | instid1(VALU_DEP_1)
	v_cndmask_b32_e32 v23, 0x7f800000, v165, vcc_lo
	v_add_f32_e32 v167, 1.0, v23
	s_delay_alu instid0(VALU_DEP_1) | instskip(NEXT) | instid1(VALU_DEP_1)
	v_cvt_f64_f32_e32 v[165:166], v167
	v_frexp_exp_i32_f64_e32 v165, v[165:166]
	v_frexp_mant_f32_e32 v166, v167
	s_delay_alu instid0(VALU_DEP_1) | instskip(SKIP_1) | instid1(VALU_DEP_1)
	v_cmp_gt_f32_e32 vcc_lo, 0x3f2aaaab, v166
	v_add_f32_e32 v166, -1.0, v167
	v_dual_sub_f32 v177, v166, v167 :: v_dual_sub_f32 v166, v23, v166
	s_delay_alu instid0(VALU_DEP_1) | instskip(NEXT) | instid1(VALU_DEP_1)
	v_add_f32_e32 v177, 1.0, v177
	v_add_f32_e32 v166, v166, v177
	v_subrev_co_ci_u32_e32 v165, vcc_lo, 0, v165, vcc_lo
	s_delay_alu instid0(VALU_DEP_1) | instskip(SKIP_1) | instid1(VALU_DEP_2)
	v_sub_nc_u32_e32 v176, 0, v165
	v_cvt_f32_i32_e32 v165, v165
	v_ldexp_f32 v167, v167, v176
	v_ldexp_f32 v166, v166, v176
	s_delay_alu instid0(VALU_DEP_2) | instskip(NEXT) | instid1(VALU_DEP_1)
	v_add_f32_e32 v178, 1.0, v167
	v_dual_add_f32 v176, -1.0, v167 :: v_dual_add_f32 v177, -1.0, v178
	s_delay_alu instid0(VALU_DEP_1) | instskip(NEXT) | instid1(VALU_DEP_2)
	v_add_f32_e32 v179, 1.0, v176
	v_sub_f32_e32 v177, v167, v177
	s_delay_alu instid0(VALU_DEP_2) | instskip(NEXT) | instid1(VALU_DEP_2)
	v_sub_f32_e32 v167, v167, v179
	v_add_f32_e32 v177, v166, v177
	s_delay_alu instid0(VALU_DEP_2) | instskip(SKIP_2) | instid1(VALU_DEP_3)
	v_add_f32_e32 v166, v166, v167
	v_cmp_eq_f32_e32 vcc_lo, 0x7f800000, v23
	v_cmp_gt_f32_e64 vcc_hi, 0x33800000, |v23|
	v_add_f32_e32 v180, v176, v166
	s_delay_alu instid0(VALU_DEP_2) | instskip(NEXT) | instid1(VALU_DEP_1)
	s_or_b32 vcc_lo, vcc_lo, vcc_hi
	v_dual_sub_f32 v176, v176, v180 :: v_dual_add_f32 v179, v178, v177
	s_delay_alu instid0(VALU_DEP_1) | instskip(NEXT) | instid1(VALU_DEP_2)
	v_add_f32_e32 v166, v166, v176
	v_rcp_f32_e32 v167, v179
	v_sub_f32_e32 v178, v178, v179
	s_delay_alu instid0(VALU_DEP_1) | instskip(SKIP_2) | instid1(VALU_DEP_1)
	v_add_f32_e32 v177, v177, v178
	s_waitcnt_depctr 0xfff
	v_mul_f32_e32 v181, v180, v167
	v_mul_f32_e32 v182, v179, v181
	s_delay_alu instid0(VALU_DEP_1) | instskip(NEXT) | instid1(VALU_DEP_1)
	v_fma_f32 v178, v181, v179, -v182
	v_fmac_f32_e32 v178, v181, v177
	s_delay_alu instid0(VALU_DEP_1) | instskip(NEXT) | instid1(VALU_DEP_1)
	v_add_f32_e32 v183, v182, v178
	v_sub_f32_e32 v192, v180, v183
	v_sub_f32_e32 v176, v183, v182
	s_delay_alu instid0(VALU_DEP_2) | instskip(NEXT) | instid1(VALU_DEP_1)
	v_sub_f32_e32 v180, v180, v192
	v_sub_f32_e32 v180, v180, v183
	s_delay_alu instid0(VALU_DEP_3) | instskip(NEXT) | instid1(VALU_DEP_2)
	v_sub_f32_e32 v176, v176, v178
	v_add_f32_e32 v166, v166, v180
	s_delay_alu instid0(VALU_DEP_1) | instskip(NEXT) | instid1(VALU_DEP_1)
	v_add_f32_e32 v166, v176, v166
	v_add_f32_e32 v176, v192, v166
	s_delay_alu instid0(VALU_DEP_1) | instskip(NEXT) | instid1(VALU_DEP_1)
	v_mul_f32_e32 v178, v167, v176
	v_dual_sub_f32 v183, v192, v176 :: v_dual_mul_f32 v180, v179, v178
	s_delay_alu instid0(VALU_DEP_1) | instskip(NEXT) | instid1(VALU_DEP_2)
	v_add_f32_e32 v166, v166, v183
	v_fma_f32 v179, v178, v179, -v180
	s_delay_alu instid0(VALU_DEP_1) | instskip(NEXT) | instid1(VALU_DEP_1)
	v_fmac_f32_e32 v179, v178, v177
	v_add_f32_e32 v177, v180, v179
	s_delay_alu instid0(VALU_DEP_1) | instskip(NEXT) | instid1(VALU_DEP_1)
	v_sub_f32_e32 v182, v176, v177
	v_sub_f32_e32 v176, v176, v182
	s_delay_alu instid0(VALU_DEP_1) | instskip(NEXT) | instid1(VALU_DEP_1)
	v_sub_f32_e32 v176, v176, v177
	v_add_f32_e32 v166, v166, v176
	v_add_f32_e32 v176, v181, v178
	v_sub_f32_e32 v180, v177, v180
	s_delay_alu instid0(VALU_DEP_1) | instskip(NEXT) | instid1(VALU_DEP_1)
	v_sub_f32_e32 v177, v180, v179
	v_dual_add_f32 v166, v177, v166 :: v_dual_sub_f32 v177, v176, v181
	s_delay_alu instid0(VALU_DEP_1) | instskip(NEXT) | instid1(VALU_DEP_1)
	v_add_f32_e32 v166, v182, v166
	v_dual_sub_f32 v177, v178, v177 :: v_dual_mul_f32 v166, v167, v166
	s_delay_alu instid0(VALU_DEP_1) | instskip(NEXT) | instid1(VALU_DEP_1)
	v_add_f32_e32 v166, v177, v166
	v_add_f32_e32 v167, v176, v166
	s_delay_alu instid0(VALU_DEP_1) | instskip(NEXT) | instid1(VALU_DEP_1)
	v_mul_f32_e32 v177, v167, v167
	v_fmaak_f32 v178, s30, v177, 0x3ecc95a3
	v_mul_f32_e32 v179, v167, v177
	s_delay_alu instid0(VALU_DEP_2) | instskip(SKIP_1) | instid1(VALU_DEP_2)
	v_fmaak_f32 v177, v177, v178, 0x3f2aaada
	v_ldexp_f32 v178, v167, 1
	v_mul_f32_e32 v177, v179, v177
	v_mul_f32_e32 v179, 0x3f317218, v165
	s_delay_alu instid0(VALU_DEP_2) | instskip(NEXT) | instid1(VALU_DEP_1)
	v_dual_sub_f32 v167, v167, v176 :: v_dual_add_f32 v176, v178, v177
	v_dual_sub_f32 v166, v166, v167 :: v_dual_sub_f32 v167, v176, v178
	s_delay_alu instid0(VALU_DEP_3) | instskip(NEXT) | instid1(VALU_DEP_2)
	v_fma_f32 v178, 0x3f317218, v165, -v179
	v_ldexp_f32 v166, v166, 1
	s_delay_alu instid0(VALU_DEP_3) | instskip(NEXT) | instid1(VALU_DEP_1)
	v_sub_f32_e32 v167, v177, v167
	v_dual_fmamk_f32 v165, v165, 0xb102e308, v178 :: v_dual_add_f32 v166, v166, v167
	s_delay_alu instid0(VALU_DEP_1) | instskip(NEXT) | instid1(VALU_DEP_1)
	v_add_f32_e32 v167, v179, v165
	v_sub_f32_e32 v179, v167, v179
	s_delay_alu instid0(VALU_DEP_3) | instskip(NEXT) | instid1(VALU_DEP_1)
	v_add_f32_e32 v177, v176, v166
	v_dual_sub_f32 v165, v165, v179 :: v_dual_add_f32 v178, v167, v177
	v_sub_f32_e32 v176, v177, v176
	s_delay_alu instid0(VALU_DEP_2) | instskip(NEXT) | instid1(VALU_DEP_1)
	v_sub_f32_e32 v180, v178, v167
	v_sub_f32_e32 v181, v178, v180
	s_delay_alu instid0(VALU_DEP_1) | instskip(SKIP_1) | instid1(VALU_DEP_1)
	v_dual_sub_f32 v167, v167, v181 :: v_dual_sub_f32 v166, v166, v176
	v_sub_f32_e32 v176, v177, v180
	v_add_f32_e32 v167, v176, v167
	s_delay_alu instid0(VALU_DEP_3) | instskip(NEXT) | instid1(VALU_DEP_1)
	v_add_f32_e32 v177, v165, v166
	v_sub_f32_e32 v176, v177, v165
	s_delay_alu instid0(VALU_DEP_1) | instskip(NEXT) | instid1(VALU_DEP_1)
	v_dual_add_f32 v167, v177, v167 :: v_dual_sub_f32 v166, v166, v176
	v_add_f32_e32 v179, v178, v167
	s_delay_alu instid0(VALU_DEP_1) | instskip(NEXT) | instid1(VALU_DEP_1)
	v_dual_sub_f32 v177, v177, v176 :: v_dual_sub_f32 v176, v179, v178
	v_sub_f32_e32 v165, v165, v177
	s_delay_alu instid0(VALU_DEP_1) | instskip(NEXT) | instid1(VALU_DEP_1)
	v_dual_add_f32 v165, v166, v165 :: v_dual_sub_f32 v166, v167, v176
	v_add_f32_e32 v165, v165, v166
	s_delay_alu instid0(VALU_DEP_1) | instskip(NEXT) | instid1(VALU_DEP_1)
	v_add_f32_e32 v165, v179, v165
	v_cndmask_b32_e32 v23, v165, v23, vcc_lo
	s_delay_alu instid0(VALU_DEP_1)
	v_add_f32_e32 v23, v22, v23
.LBB481_143:
	s_or_b32 exec_lo, exec_lo, s27
	s_delay_alu instid0(VALU_DEP_1) | instskip(SKIP_1) | instid1(VALU_DEP_2)
	v_bfe_u32 v22, v23, 16, 1
	v_cmp_o_f32_e32 vcc_lo, v23, v23
	v_add3_u32 v22, v23, v22, 0x7fff
	s_delay_alu instid0(VALU_DEP_1) | instskip(NEXT) | instid1(VALU_DEP_1)
	v_lshrrev_b32_e32 v22, 16, v22
	v_cndmask_b32_e32 v178, 0x7fc0, v22, vcc_lo
	s_delay_alu instid0(VALU_DEP_1)
	v_and_b32_e32 v22, 0xffff, v178
.LBB481_144:
	s_or_b32 exec_lo, exec_lo, s26
	v_cmp_gt_u32_e32 vcc_lo, 24, v149
	v_add_nc_u32_e32 v166, 8, v149
	s_mov_b32 s26, exec_lo
	s_waitcnt lgkmcnt(0)
	v_cndmask_b32_e64 v23, 0, 1, vcc_lo
	s_delay_alu instid0(VALU_DEP_1) | instskip(NEXT) | instid1(VALU_DEP_1)
	v_lshlrev_b32_e32 v23, 3, v23
	v_add_lshl_u32 v165, v23, v149, 2
	ds_bpermute_b32 v23, v165, v22
	v_cmpx_le_u32_e64 v166, v17
	s_cbranch_execz .LBB481_148
; %bb.145:
	s_waitcnt lgkmcnt(0)
	v_lshlrev_b32_e32 v23, 16, v23
	s_delay_alu instid0(VALU_DEP_1) | instskip(SKIP_2) | instid1(VALU_DEP_2)
	v_max_f32_e32 v176, v23, v23
	v_lshlrev_b32_e32 v22, 16, v22
	v_cmp_u_f32_e32 vcc_lo, v23, v23
	v_max_f32_e32 v167, v22, v22
	s_delay_alu instid0(VALU_DEP_1) | instskip(SKIP_1) | instid1(VALU_DEP_2)
	v_min_f32_e32 v177, v176, v167
	v_max_f32_e32 v167, v176, v167
	v_cndmask_b32_e32 v176, v177, v23, vcc_lo
	s_delay_alu instid0(VALU_DEP_2) | instskip(SKIP_1) | instid1(VALU_DEP_3)
	v_cndmask_b32_e32 v177, v167, v23, vcc_lo
	v_cmp_u_f32_e32 vcc_lo, v22, v22
	v_cndmask_b32_e32 v167, v176, v22, vcc_lo
	s_delay_alu instid0(VALU_DEP_3) | instskip(NEXT) | instid1(VALU_DEP_2)
	v_cndmask_b32_e32 v22, v177, v22, vcc_lo
	v_cmp_class_f32_e64 s27, v167, 0x1f8
	s_delay_alu instid0(VALU_DEP_2) | instskip(NEXT) | instid1(VALU_DEP_2)
	v_cmp_neq_f32_e32 vcc_lo, v167, v22
	s_or_b32 vcc_lo, vcc_lo, s27
	s_delay_alu instid0(SALU_CYCLE_1)
	s_and_saveexec_b32 s27, vcc_lo
	s_cbranch_execz .LBB481_147
; %bb.146:
	v_sub_f32_e32 v23, v167, v22
	s_mov_b32 s30, 0x3e9b6dac
	s_delay_alu instid0(VALU_DEP_1) | instskip(SKIP_1) | instid1(VALU_DEP_2)
	v_mul_f32_e32 v167, 0x3fb8aa3b, v23
	v_cmp_ngt_f32_e32 vcc_lo, 0xc2ce8ed0, v23
	v_fma_f32 v176, 0x3fb8aa3b, v23, -v167
	v_rndne_f32_e32 v177, v167
	s_delay_alu instid0(VALU_DEP_2) | instskip(NEXT) | instid1(VALU_DEP_2)
	v_fmamk_f32 v176, v23, 0x32a5705f, v176
	v_sub_f32_e32 v167, v167, v177
	s_delay_alu instid0(VALU_DEP_1) | instskip(SKIP_1) | instid1(VALU_DEP_2)
	v_add_f32_e32 v167, v167, v176
	v_cvt_i32_f32_e32 v176, v177
	v_exp_f32_e32 v167, v167
	s_waitcnt_depctr 0xfff
	v_ldexp_f32 v167, v167, v176
	s_delay_alu instid0(VALU_DEP_1) | instskip(SKIP_1) | instid1(VALU_DEP_2)
	v_cndmask_b32_e32 v167, 0, v167, vcc_lo
	v_cmp_nlt_f32_e32 vcc_lo, 0x42b17218, v23
	v_cndmask_b32_e32 v23, 0x7f800000, v167, vcc_lo
	s_delay_alu instid0(VALU_DEP_1) | instskip(NEXT) | instid1(VALU_DEP_1)
	v_add_f32_e32 v167, 1.0, v23
	v_cvt_f64_f32_e32 v[176:177], v167
	s_delay_alu instid0(VALU_DEP_1) | instskip(SKIP_1) | instid1(VALU_DEP_1)
	v_frexp_exp_i32_f64_e32 v176, v[176:177]
	v_frexp_mant_f32_e32 v177, v167
	v_cmp_gt_f32_e32 vcc_lo, 0x3f2aaaab, v177
	v_add_f32_e32 v177, -1.0, v167
	s_delay_alu instid0(VALU_DEP_1) | instskip(NEXT) | instid1(VALU_DEP_1)
	v_sub_f32_e32 v179, v177, v167
	v_add_f32_e32 v179, 1.0, v179
	v_subrev_co_ci_u32_e32 v176, vcc_lo, 0, v176, vcc_lo
	s_delay_alu instid0(VALU_DEP_1) | instskip(SKIP_1) | instid1(VALU_DEP_2)
	v_sub_nc_u32_e32 v178, 0, v176
	v_cvt_f32_i32_e32 v176, v176
	v_ldexp_f32 v167, v167, v178
	s_delay_alu instid0(VALU_DEP_1) | instskip(NEXT) | instid1(VALU_DEP_1)
	v_dual_sub_f32 v177, v23, v177 :: v_dual_add_f32 v180, 1.0, v167
	v_add_f32_e32 v177, v177, v179
	s_delay_alu instid0(VALU_DEP_1) | instskip(NEXT) | instid1(VALU_DEP_3)
	v_ldexp_f32 v177, v177, v178
	v_dual_add_f32 v178, -1.0, v167 :: v_dual_add_f32 v179, -1.0, v180
	s_delay_alu instid0(VALU_DEP_1) | instskip(NEXT) | instid1(VALU_DEP_2)
	v_add_f32_e32 v181, 1.0, v178
	v_sub_f32_e32 v179, v167, v179
	s_delay_alu instid0(VALU_DEP_2) | instskip(NEXT) | instid1(VALU_DEP_2)
	v_sub_f32_e32 v167, v167, v181
	v_add_f32_e32 v179, v177, v179
	s_delay_alu instid0(VALU_DEP_2) | instskip(NEXT) | instid1(VALU_DEP_2)
	v_add_f32_e32 v167, v177, v167
	v_add_f32_e32 v181, v180, v179
	s_delay_alu instid0(VALU_DEP_2) | instskip(NEXT) | instid1(VALU_DEP_2)
	v_add_f32_e32 v182, v178, v167
	v_rcp_f32_e32 v177, v181
	v_sub_f32_e32 v180, v180, v181
	s_delay_alu instid0(VALU_DEP_2) | instskip(SKIP_1) | instid1(VALU_DEP_3)
	v_sub_f32_e32 v178, v178, v182
	v_cmp_eq_f32_e32 vcc_lo, 0x7f800000, v23
	v_add_f32_e32 v179, v179, v180
	v_cmp_gt_f32_e64 vcc_hi, 0x33800000, |v23|
	s_delay_alu instid0(VALU_DEP_4) | instskip(NEXT) | instid1(TRANS32_DEP_1)
	v_add_f32_e32 v167, v167, v178
	v_mul_f32_e32 v183, v182, v177
	s_delay_alu instid0(VALU_DEP_3) | instskip(NEXT) | instid1(VALU_DEP_1)
	s_or_b32 vcc_lo, vcc_lo, vcc_hi
	v_mul_f32_e32 v192, v181, v183
	s_delay_alu instid0(VALU_DEP_1) | instskip(NEXT) | instid1(VALU_DEP_1)
	v_fma_f32 v180, v183, v181, -v192
	v_fmac_f32_e32 v180, v183, v179
	s_delay_alu instid0(VALU_DEP_1) | instskip(NEXT) | instid1(VALU_DEP_1)
	v_add_f32_e32 v193, v192, v180
	v_sub_f32_e32 v194, v182, v193
	v_sub_f32_e32 v178, v193, v192
	s_delay_alu instid0(VALU_DEP_2) | instskip(NEXT) | instid1(VALU_DEP_2)
	v_sub_f32_e32 v182, v182, v194
	v_sub_f32_e32 v178, v178, v180
	s_delay_alu instid0(VALU_DEP_2) | instskip(NEXT) | instid1(VALU_DEP_1)
	v_sub_f32_e32 v182, v182, v193
	v_add_f32_e32 v167, v167, v182
	s_delay_alu instid0(VALU_DEP_1) | instskip(NEXT) | instid1(VALU_DEP_1)
	v_add_f32_e32 v167, v178, v167
	v_add_f32_e32 v178, v194, v167
	s_delay_alu instid0(VALU_DEP_1) | instskip(NEXT) | instid1(VALU_DEP_1)
	v_mul_f32_e32 v180, v177, v178
	v_dual_sub_f32 v193, v194, v178 :: v_dual_mul_f32 v182, v181, v180
	s_delay_alu instid0(VALU_DEP_1) | instskip(NEXT) | instid1(VALU_DEP_2)
	v_add_f32_e32 v167, v167, v193
	v_fma_f32 v181, v180, v181, -v182
	s_delay_alu instid0(VALU_DEP_1) | instskip(NEXT) | instid1(VALU_DEP_1)
	v_fmac_f32_e32 v181, v180, v179
	v_add_f32_e32 v179, v182, v181
	s_delay_alu instid0(VALU_DEP_1) | instskip(SKIP_1) | instid1(VALU_DEP_2)
	v_sub_f32_e32 v192, v178, v179
	v_sub_f32_e32 v182, v179, v182
	;; [unrolled: 1-line block ×3, first 2 shown]
	s_delay_alu instid0(VALU_DEP_1) | instskip(NEXT) | instid1(VALU_DEP_3)
	v_sub_f32_e32 v178, v178, v179
	v_sub_f32_e32 v179, v182, v181
	s_delay_alu instid0(VALU_DEP_2) | instskip(SKIP_1) | instid1(VALU_DEP_2)
	v_add_f32_e32 v167, v167, v178
	v_add_f32_e32 v178, v183, v180
	;; [unrolled: 1-line block ×3, first 2 shown]
	s_delay_alu instid0(VALU_DEP_2) | instskip(NEXT) | instid1(VALU_DEP_2)
	v_sub_f32_e32 v179, v178, v183
	v_add_f32_e32 v167, v192, v167
	s_delay_alu instid0(VALU_DEP_2) | instskip(NEXT) | instid1(VALU_DEP_2)
	v_sub_f32_e32 v179, v180, v179
	v_mul_f32_e32 v167, v177, v167
	s_delay_alu instid0(VALU_DEP_1) | instskip(NEXT) | instid1(VALU_DEP_1)
	v_add_f32_e32 v167, v179, v167
	v_add_f32_e32 v177, v178, v167
	s_delay_alu instid0(VALU_DEP_1) | instskip(NEXT) | instid1(VALU_DEP_1)
	v_mul_f32_e32 v179, v177, v177
	v_fmaak_f32 v180, s30, v179, 0x3ecc95a3
	v_mul_f32_e32 v181, v177, v179
	s_delay_alu instid0(VALU_DEP_2) | instskip(SKIP_2) | instid1(VALU_DEP_3)
	v_fmaak_f32 v179, v179, v180, 0x3f2aaada
	v_ldexp_f32 v180, v177, 1
	v_sub_f32_e32 v177, v177, v178
	v_mul_f32_e32 v179, v181, v179
	v_mul_f32_e32 v181, 0x3f317218, v176
	s_delay_alu instid0(VALU_DEP_2) | instskip(NEXT) | instid1(VALU_DEP_1)
	v_dual_sub_f32 v167, v167, v177 :: v_dual_add_f32 v178, v180, v179
	v_ldexp_f32 v167, v167, 1
	s_delay_alu instid0(VALU_DEP_2) | instskip(NEXT) | instid1(VALU_DEP_4)
	v_sub_f32_e32 v177, v178, v180
	v_fma_f32 v180, 0x3f317218, v176, -v181
	s_delay_alu instid0(VALU_DEP_1) | instskip(NEXT) | instid1(VALU_DEP_1)
	v_dual_sub_f32 v177, v179, v177 :: v_dual_fmamk_f32 v176, v176, 0xb102e308, v180
	v_add_f32_e32 v167, v167, v177
	s_delay_alu instid0(VALU_DEP_2) | instskip(NEXT) | instid1(VALU_DEP_2)
	v_add_f32_e32 v177, v181, v176
	v_add_f32_e32 v179, v178, v167
	s_delay_alu instid0(VALU_DEP_2) | instskip(NEXT) | instid1(VALU_DEP_2)
	v_sub_f32_e32 v181, v177, v181
	v_add_f32_e32 v180, v177, v179
	v_sub_f32_e32 v178, v179, v178
	s_delay_alu instid0(VALU_DEP_3) | instskip(NEXT) | instid1(VALU_DEP_2)
	v_sub_f32_e32 v176, v176, v181
	v_dual_sub_f32 v182, v180, v177 :: v_dual_sub_f32 v167, v167, v178
	s_delay_alu instid0(VALU_DEP_1) | instskip(NEXT) | instid1(VALU_DEP_2)
	v_sub_f32_e32 v183, v180, v182
	v_dual_sub_f32 v178, v179, v182 :: v_dual_add_f32 v179, v176, v167
	s_delay_alu instid0(VALU_DEP_2) | instskip(NEXT) | instid1(VALU_DEP_1)
	v_sub_f32_e32 v177, v177, v183
	v_dual_add_f32 v177, v178, v177 :: v_dual_sub_f32 v178, v179, v176
	s_delay_alu instid0(VALU_DEP_1) | instskip(NEXT) | instid1(VALU_DEP_2)
	v_add_f32_e32 v177, v179, v177
	v_sub_f32_e32 v179, v179, v178
	v_sub_f32_e32 v167, v167, v178
	s_delay_alu instid0(VALU_DEP_3) | instskip(NEXT) | instid1(VALU_DEP_3)
	v_add_f32_e32 v181, v180, v177
	v_sub_f32_e32 v176, v176, v179
	s_delay_alu instid0(VALU_DEP_2) | instskip(NEXT) | instid1(VALU_DEP_1)
	v_sub_f32_e32 v178, v181, v180
	v_dual_add_f32 v167, v167, v176 :: v_dual_sub_f32 v176, v177, v178
	s_delay_alu instid0(VALU_DEP_1) | instskip(NEXT) | instid1(VALU_DEP_1)
	v_add_f32_e32 v167, v167, v176
	v_add_f32_e32 v167, v181, v167
	s_delay_alu instid0(VALU_DEP_1) | instskip(NEXT) | instid1(VALU_DEP_1)
	v_cndmask_b32_e32 v23, v167, v23, vcc_lo
	v_add_f32_e32 v23, v22, v23
.LBB481_147:
	s_or_b32 exec_lo, exec_lo, s27
	s_delay_alu instid0(VALU_DEP_1) | instskip(SKIP_1) | instid1(VALU_DEP_2)
	v_bfe_u32 v22, v23, 16, 1
	v_cmp_o_f32_e32 vcc_lo, v23, v23
	v_add3_u32 v22, v23, v22, 0x7fff
	s_delay_alu instid0(VALU_DEP_1) | instskip(NEXT) | instid1(VALU_DEP_1)
	v_lshrrev_b32_e32 v22, 16, v22
	v_cndmask_b32_e32 v178, 0x7fc0, v22, vcc_lo
	s_delay_alu instid0(VALU_DEP_1)
	v_and_b32_e32 v22, 0xffff, v178
.LBB481_148:
	s_or_b32 exec_lo, exec_lo, s26
	v_cmp_gt_u32_e32 vcc_lo, 16, v149
	v_add_nc_u32_e32 v177, 16, v149
	s_mov_b32 s26, exec_lo
	s_waitcnt lgkmcnt(0)
	v_cndmask_b32_e64 v23, 0, 1, vcc_lo
	s_delay_alu instid0(VALU_DEP_1) | instskip(NEXT) | instid1(VALU_DEP_1)
	v_lshlrev_b32_e32 v23, 4, v23
	v_add_lshl_u32 v167, v23, v149, 2
	ds_bpermute_b32 v23, v167, v22
	v_cmpx_le_u32_e64 v177, v17
	s_cbranch_execz .LBB481_152
; %bb.149:
	v_lshlrev_b32_e32 v17, 16, v22
	s_waitcnt lgkmcnt(0)
	s_delay_alu instid0(VALU_DEP_1) | instskip(NEXT) | instid1(VALU_DEP_1)
	v_dual_max_f32 v23, v17, v17 :: v_dual_lshlrev_b32 v22, 16, v23
	v_max_f32_e32 v176, v22, v22
	v_cmp_u_f32_e32 vcc_lo, v22, v22
	s_delay_alu instid0(VALU_DEP_2) | instskip(NEXT) | instid1(VALU_DEP_1)
	v_min_f32_e32 v178, v176, v23
	v_dual_max_f32 v23, v176, v23 :: v_dual_cndmask_b32 v176, v178, v22
	s_delay_alu instid0(VALU_DEP_1) | instskip(SKIP_1) | instid1(VALU_DEP_3)
	v_cndmask_b32_e32 v178, v23, v22, vcc_lo
	v_cmp_u_f32_e32 vcc_lo, v17, v17
	v_cndmask_b32_e32 v23, v176, v17, vcc_lo
	s_delay_alu instid0(VALU_DEP_3) | instskip(NEXT) | instid1(VALU_DEP_2)
	v_cndmask_b32_e32 v17, v178, v17, vcc_lo
	v_cmp_class_f32_e64 s27, v23, 0x1f8
	s_delay_alu instid0(VALU_DEP_2) | instskip(NEXT) | instid1(VALU_DEP_2)
	v_cmp_neq_f32_e32 vcc_lo, v23, v17
	s_or_b32 vcc_lo, vcc_lo, s27
	s_delay_alu instid0(SALU_CYCLE_1)
	s_and_saveexec_b32 s27, vcc_lo
	s_cbranch_execz .LBB481_151
; %bb.150:
	v_sub_f32_e32 v22, v23, v17
	s_mov_b32 s30, 0x3e9b6dac
	s_delay_alu instid0(VALU_DEP_1) | instskip(SKIP_1) | instid1(VALU_DEP_2)
	v_mul_f32_e32 v23, 0x3fb8aa3b, v22
	v_cmp_ngt_f32_e32 vcc_lo, 0xc2ce8ed0, v22
	v_fma_f32 v176, 0x3fb8aa3b, v22, -v23
	v_rndne_f32_e32 v178, v23
	s_delay_alu instid0(VALU_DEP_1) | instskip(NEXT) | instid1(VALU_DEP_1)
	v_dual_fmamk_f32 v176, v22, 0x32a5705f, v176 :: v_dual_sub_f32 v23, v23, v178
	v_add_f32_e32 v23, v23, v176
	v_cvt_i32_f32_e32 v176, v178
	s_delay_alu instid0(VALU_DEP_2) | instskip(SKIP_2) | instid1(VALU_DEP_1)
	v_exp_f32_e32 v23, v23
	s_waitcnt_depctr 0xfff
	v_ldexp_f32 v23, v23, v176
	v_cndmask_b32_e32 v23, 0, v23, vcc_lo
	v_cmp_nlt_f32_e32 vcc_lo, 0x42b17218, v22
	s_delay_alu instid0(VALU_DEP_2) | instskip(NEXT) | instid1(VALU_DEP_1)
	v_cndmask_b32_e32 v176, 0x7f800000, v23, vcc_lo
	v_add_f32_e32 v178, 1.0, v176
	s_delay_alu instid0(VALU_DEP_1) | instskip(NEXT) | instid1(VALU_DEP_1)
	v_cvt_f64_f32_e32 v[22:23], v178
	v_frexp_exp_i32_f64_e32 v22, v[22:23]
	v_frexp_mant_f32_e32 v23, v178
	s_delay_alu instid0(VALU_DEP_1) | instskip(SKIP_1) | instid1(VALU_DEP_1)
	v_cmp_gt_f32_e32 vcc_lo, 0x3f2aaaab, v23
	v_add_f32_e32 v23, -1.0, v178
	v_dual_sub_f32 v180, v23, v178 :: v_dual_sub_f32 v23, v176, v23
	v_subrev_co_ci_u32_e32 v22, vcc_lo, 0, v22, vcc_lo
	v_cmp_eq_f32_e32 vcc_lo, 0x7f800000, v176
	v_cmp_gt_f32_e64 vcc_hi, 0x33800000, |v176|
	s_delay_alu instid0(VALU_DEP_3) | instskip(SKIP_1) | instid1(VALU_DEP_3)
	v_sub_nc_u32_e32 v179, 0, v22
	v_cvt_f32_i32_e32 v22, v22
	s_or_b32 vcc_lo, vcc_lo, vcc_hi
	s_delay_alu instid0(VALU_DEP_2) | instskip(NEXT) | instid1(VALU_DEP_1)
	v_ldexp_f32 v178, v178, v179
	v_dual_add_f32 v180, 1.0, v180 :: v_dual_add_f32 v181, 1.0, v178
	s_delay_alu instid0(VALU_DEP_1) | instskip(NEXT) | instid1(VALU_DEP_1)
	v_dual_add_f32 v23, v23, v180 :: v_dual_add_f32 v180, -1.0, v181
	v_ldexp_f32 v23, v23, v179
	s_delay_alu instid0(VALU_DEP_2) | instskip(NEXT) | instid1(VALU_DEP_1)
	v_dual_add_f32 v179, -1.0, v178 :: v_dual_sub_f32 v180, v178, v180
	v_add_f32_e32 v182, 1.0, v179
	s_delay_alu instid0(VALU_DEP_2) | instskip(NEXT) | instid1(VALU_DEP_2)
	v_add_f32_e32 v180, v23, v180
	v_sub_f32_e32 v178, v178, v182
	s_delay_alu instid0(VALU_DEP_1) | instskip(NEXT) | instid1(VALU_DEP_1)
	v_dual_add_f32 v182, v181, v180 :: v_dual_add_f32 v23, v23, v178
	v_rcp_f32_e32 v178, v182
	v_sub_f32_e32 v181, v181, v182
	s_delay_alu instid0(VALU_DEP_1) | instskip(NEXT) | instid1(VALU_DEP_1)
	v_dual_add_f32 v183, v179, v23 :: v_dual_add_f32 v180, v180, v181
	v_sub_f32_e32 v179, v179, v183
	s_waitcnt_depctr 0xfff
	v_mul_f32_e32 v192, v183, v178
	v_add_f32_e32 v23, v23, v179
	s_delay_alu instid0(VALU_DEP_2) | instskip(NEXT) | instid1(VALU_DEP_1)
	v_mul_f32_e32 v193, v182, v192
	v_fma_f32 v181, v192, v182, -v193
	s_delay_alu instid0(VALU_DEP_1) | instskip(NEXT) | instid1(VALU_DEP_1)
	v_fmac_f32_e32 v181, v192, v180
	v_add_f32_e32 v194, v193, v181
	s_delay_alu instid0(VALU_DEP_1) | instskip(SKIP_1) | instid1(VALU_DEP_2)
	v_sub_f32_e32 v195, v183, v194
	v_sub_f32_e32 v179, v194, v193
	;; [unrolled: 1-line block ×3, first 2 shown]
	s_delay_alu instid0(VALU_DEP_2) | instskip(NEXT) | instid1(VALU_DEP_2)
	v_sub_f32_e32 v179, v179, v181
	v_sub_f32_e32 v183, v183, v194
	s_delay_alu instid0(VALU_DEP_1) | instskip(NEXT) | instid1(VALU_DEP_1)
	v_add_f32_e32 v23, v23, v183
	v_add_f32_e32 v23, v179, v23
	s_delay_alu instid0(VALU_DEP_1) | instskip(NEXT) | instid1(VALU_DEP_1)
	v_add_f32_e32 v179, v195, v23
	v_mul_f32_e32 v181, v178, v179
	s_delay_alu instid0(VALU_DEP_1) | instskip(NEXT) | instid1(VALU_DEP_1)
	v_mul_f32_e32 v183, v182, v181
	v_fma_f32 v182, v181, v182, -v183
	s_delay_alu instid0(VALU_DEP_1) | instskip(SKIP_1) | instid1(VALU_DEP_2)
	v_fmac_f32_e32 v182, v181, v180
	v_sub_f32_e32 v194, v195, v179
	v_add_f32_e32 v180, v183, v182
	s_delay_alu instid0(VALU_DEP_2) | instskip(NEXT) | instid1(VALU_DEP_2)
	v_add_f32_e32 v23, v23, v194
	v_sub_f32_e32 v193, v179, v180
	v_sub_f32_e32 v183, v180, v183
	s_delay_alu instid0(VALU_DEP_2) | instskip(NEXT) | instid1(VALU_DEP_1)
	v_sub_f32_e32 v179, v179, v193
	v_sub_f32_e32 v179, v179, v180
	s_delay_alu instid0(VALU_DEP_3) | instskip(NEXT) | instid1(VALU_DEP_2)
	v_sub_f32_e32 v180, v183, v182
	v_add_f32_e32 v23, v23, v179
	v_add_f32_e32 v179, v192, v181
	s_delay_alu instid0(VALU_DEP_1) | instskip(NEXT) | instid1(VALU_DEP_1)
	v_dual_add_f32 v23, v180, v23 :: v_dual_sub_f32 v180, v179, v192
	v_add_f32_e32 v23, v193, v23
	s_delay_alu instid0(VALU_DEP_1) | instskip(NEXT) | instid1(VALU_DEP_1)
	v_dual_sub_f32 v180, v181, v180 :: v_dual_mul_f32 v23, v178, v23
	v_add_f32_e32 v23, v180, v23
	s_delay_alu instid0(VALU_DEP_1) | instskip(NEXT) | instid1(VALU_DEP_1)
	v_add_f32_e32 v178, v179, v23
	v_mul_f32_e32 v180, v178, v178
	s_delay_alu instid0(VALU_DEP_1) | instskip(SKIP_1) | instid1(VALU_DEP_2)
	v_fmaak_f32 v181, s30, v180, 0x3ecc95a3
	v_mul_f32_e32 v182, v178, v180
	v_fmaak_f32 v180, v180, v181, 0x3f2aaada
	v_ldexp_f32 v181, v178, 1
	v_sub_f32_e32 v178, v178, v179
	s_delay_alu instid0(VALU_DEP_3) | instskip(SKIP_1) | instid1(VALU_DEP_3)
	v_mul_f32_e32 v180, v182, v180
	v_mul_f32_e32 v182, 0x3f317218, v22
	v_sub_f32_e32 v23, v23, v178
	s_delay_alu instid0(VALU_DEP_3) | instskip(NEXT) | instid1(VALU_DEP_2)
	v_add_f32_e32 v179, v181, v180
	v_ldexp_f32 v23, v23, 1
	s_delay_alu instid0(VALU_DEP_2) | instskip(SKIP_1) | instid1(VALU_DEP_2)
	v_sub_f32_e32 v178, v179, v181
	v_fma_f32 v181, 0x3f317218, v22, -v182
	v_sub_f32_e32 v178, v180, v178
	s_delay_alu instid0(VALU_DEP_1) | instskip(NEXT) | instid1(VALU_DEP_1)
	v_dual_fmamk_f32 v22, v22, 0xb102e308, v181 :: v_dual_add_f32 v23, v23, v178
	v_add_f32_e32 v178, v182, v22
	s_delay_alu instid0(VALU_DEP_2) | instskip(NEXT) | instid1(VALU_DEP_2)
	v_add_f32_e32 v180, v179, v23
	v_sub_f32_e32 v182, v178, v182
	s_delay_alu instid0(VALU_DEP_2) | instskip(NEXT) | instid1(VALU_DEP_2)
	v_add_f32_e32 v181, v178, v180
	v_sub_f32_e32 v22, v22, v182
	s_delay_alu instid0(VALU_DEP_2) | instskip(SKIP_1) | instid1(VALU_DEP_2)
	v_sub_f32_e32 v183, v181, v178
	v_sub_f32_e32 v179, v180, v179
	;; [unrolled: 1-line block ×3, first 2 shown]
	s_delay_alu instid0(VALU_DEP_2) | instskip(NEXT) | instid1(VALU_DEP_2)
	v_sub_f32_e32 v23, v23, v179
	v_dual_sub_f32 v179, v180, v183 :: v_dual_sub_f32 v178, v178, v192
	s_delay_alu instid0(VALU_DEP_2) | instskip(NEXT) | instid1(VALU_DEP_2)
	v_add_f32_e32 v180, v22, v23
	v_add_f32_e32 v178, v179, v178
	s_delay_alu instid0(VALU_DEP_2) | instskip(NEXT) | instid1(VALU_DEP_2)
	v_sub_f32_e32 v179, v180, v22
	v_add_f32_e32 v178, v180, v178
	s_delay_alu instid0(VALU_DEP_2) | instskip(NEXT) | instid1(VALU_DEP_2)
	v_sub_f32_e32 v180, v180, v179
	v_dual_sub_f32 v23, v23, v179 :: v_dual_add_f32 v182, v181, v178
	s_delay_alu instid0(VALU_DEP_2) | instskip(NEXT) | instid1(VALU_DEP_1)
	v_sub_f32_e32 v22, v22, v180
	v_dual_sub_f32 v179, v182, v181 :: v_dual_add_f32 v22, v23, v22
	s_delay_alu instid0(VALU_DEP_1) | instskip(NEXT) | instid1(VALU_DEP_1)
	v_sub_f32_e32 v23, v178, v179
	v_add_f32_e32 v22, v22, v23
	s_delay_alu instid0(VALU_DEP_1) | instskip(NEXT) | instid1(VALU_DEP_1)
	v_add_f32_e32 v22, v182, v22
	v_cndmask_b32_e32 v22, v22, v176, vcc_lo
	s_delay_alu instid0(VALU_DEP_1)
	v_add_f32_e32 v22, v17, v22
.LBB481_151:
	s_or_b32 exec_lo, exec_lo, s27
	s_delay_alu instid0(VALU_DEP_1) | instskip(SKIP_1) | instid1(VALU_DEP_2)
	v_bfe_u32 v17, v22, 16, 1
	v_cmp_o_f32_e32 vcc_lo, v22, v22
	v_add3_u32 v17, v22, v17, 0x7fff
	s_delay_alu instid0(VALU_DEP_1) | instskip(NEXT) | instid1(VALU_DEP_1)
	v_lshrrev_b32_e32 v17, 16, v17
	v_cndmask_b32_e32 v178, 0x7fc0, v17, vcc_lo
.LBB481_152:
	s_or_b32 exec_lo, exec_lo, s26
	v_mov_b32_e32 v17, 0
	s_mov_b32 s26, 0x3e9b6dac
	s_branch .LBB481_154
.LBB481_153:                            ;   in Loop: Header=BB481_154 Depth=1
                                        ; implicit-def: $vgpr178
                                        ; implicit-def: $vgpr160
	s_cbranch_execnz .LBB481_184
.LBB481_154:                            ; =>This Loop Header: Depth=1
                                        ;     Child Loop BB481_157 Depth 2
                                        ;       Child Loop BB481_158 Depth 3
	v_and_b32_e32 v22, 0xff, v160
	s_delay_alu instid0(VALU_DEP_2) | instskip(NEXT) | instid1(VALU_DEP_2)
	v_mov_b32_e32 v176, v178
	v_cmp_ne_u16_e32 vcc_lo, 2, v22
	v_cndmask_b32_e64 v22, 0, 1, vcc_lo
	;;#ASMSTART
	;;#ASMEND
	s_delay_alu instid0(VALU_DEP_1)
	v_cmp_ne_u32_e32 vcc_lo, 0, v22
	s_cmp_lg_u32 vcc_lo, exec_lo
	s_cbranch_scc1 .LBB481_153
; %bb.155:                              ;   in Loop: Header=BB481_154 Depth=1
	s_waitcnt lgkmcnt(0)
	v_lshlrev_b64 v[22:23], 2, v[16:17]
	s_mov_b32 s27, exec_lo
	s_delay_alu instid0(VALU_DEP_1) | instskip(NEXT) | instid1(VALU_DEP_2)
	v_add_co_u32 v22, vcc_lo, v18, v22
	v_add_co_ci_u32_e32 v23, vcc_lo, v19, v23, vcc_lo
	flat_load_b32 v178, v[22:23] glc
	s_waitcnt vmcnt(0) lgkmcnt(0)
	v_lshrrev_b32_e32 v160, 16, v178
	s_delay_alu instid0(VALU_DEP_1) | instskip(NEXT) | instid1(VALU_DEP_1)
	v_and_b32_e32 v179, 0xff, v160
	v_cmpx_eq_u16_e64 0, v179
	s_cbranch_execz .LBB481_161
; %bb.156:                              ;   in Loop: Header=BB481_154 Depth=1
	s_mov_b32 s30, 1
	s_mov_b32 vcc_hi, 0
	.p2align	6
.LBB481_157:                            ;   Parent Loop BB481_154 Depth=1
                                        ; =>  This Loop Header: Depth=2
                                        ;       Child Loop BB481_158 Depth 3
	s_max_u32 vcc_lo, s30, 1
.LBB481_158:                            ;   Parent Loop BB481_154 Depth=1
                                        ;     Parent Loop BB481_157 Depth=2
                                        ; =>    This Inner Loop Header: Depth=3
	s_delay_alu instid0(SALU_CYCLE_1)
	s_add_i32 vcc_lo, vcc_lo, -1
	s_sleep 1
	s_cmp_eq_u32 vcc_lo, 0
	s_cbranch_scc0 .LBB481_158
; %bb.159:                              ;   in Loop: Header=BB481_157 Depth=2
	flat_load_b32 v178, v[22:23] glc
	s_cmp_lt_u32 s30, 32
	s_cselect_b32 s31, -1, 0
	s_delay_alu instid0(SALU_CYCLE_1) | instskip(SKIP_3) | instid1(VALU_DEP_1)
	s_cmp_lg_u32 s31, 0
	s_addc_u32 s30, s30, 0
	s_waitcnt vmcnt(0) lgkmcnt(0)
	v_lshrrev_b32_e32 v160, 16, v178
	v_and_b32_e32 v179, 0xff, v160
	s_delay_alu instid0(VALU_DEP_1) | instskip(NEXT) | instid1(VALU_DEP_1)
	v_cmp_ne_u16_e64 vcc_lo, 0, v179
	s_or_b32 vcc_hi, vcc_lo, vcc_hi
	s_delay_alu instid0(SALU_CYCLE_1)
	s_and_not1_b32 exec_lo, exec_lo, vcc_hi
	s_cbranch_execnz .LBB481_157
; %bb.160:                              ;   in Loop: Header=BB481_154 Depth=1
	s_or_b32 exec_lo, exec_lo, vcc_hi
.LBB481_161:                            ;   in Loop: Header=BB481_154 Depth=1
	s_delay_alu instid0(SALU_CYCLE_1)
	s_or_b32 exec_lo, exec_lo, s27
	v_and_b32_e32 v23, 0xffff, v178
	v_and_b32_e32 v22, 0xff, v160
	s_mov_b32 s27, exec_lo
	ds_bpermute_b32 v179, v150, v23
	v_cmp_eq_u16_e32 vcc_lo, 2, v22
	v_and_or_b32 v22, vcc_lo, v151, 0x80000000
	s_delay_alu instid0(VALU_DEP_1) | instskip(NEXT) | instid1(VALU_DEP_1)
	v_ctz_i32_b32_e32 v22, v22
	v_cmpx_lt_u32_e64 v149, v22
	s_cbranch_execz .LBB481_165
; %bb.162:                              ;   in Loop: Header=BB481_154 Depth=1
	s_waitcnt lgkmcnt(0)
	v_lshlrev_b32_e32 v178, 16, v179
	s_delay_alu instid0(VALU_DEP_1) | instskip(SKIP_1) | instid1(VALU_DEP_2)
	v_dual_max_f32 v180, v178, v178 :: v_dual_lshlrev_b32 v23, 16, v23
	v_cmp_u_f32_e32 vcc_lo, v178, v178
	v_max_f32_e32 v179, v23, v23
	s_delay_alu instid0(VALU_DEP_1) | instskip(NEXT) | instid1(VALU_DEP_1)
	v_min_f32_e32 v181, v180, v179
	v_dual_max_f32 v179, v180, v179 :: v_dual_cndmask_b32 v180, v181, v178
	s_delay_alu instid0(VALU_DEP_1) | instskip(SKIP_1) | instid1(VALU_DEP_3)
	v_cndmask_b32_e32 v181, v179, v178, vcc_lo
	v_cmp_u_f32_e32 vcc_lo, v23, v23
	v_cndmask_b32_e32 v179, v180, v23, vcc_lo
	s_delay_alu instid0(VALU_DEP_3) | instskip(NEXT) | instid1(VALU_DEP_1)
	v_cndmask_b32_e32 v23, v181, v23, vcc_lo
	v_cmp_neq_f32_e32 vcc_lo, v179, v23
	v_cmp_class_f32_e64 vcc_hi, v179, 0x1f8
	s_delay_alu instid0(VALU_DEP_1) | instskip(NEXT) | instid1(SALU_CYCLE_1)
	s_or_b32 vcc_lo, vcc_lo, vcc_hi
	s_and_saveexec_b32 vcc_hi, vcc_lo
	s_cbranch_execz .LBB481_164
; %bb.163:                              ;   in Loop: Header=BB481_154 Depth=1
	v_sub_f32_e32 v178, v179, v23
	s_delay_alu instid0(VALU_DEP_1) | instskip(SKIP_1) | instid1(VALU_DEP_2)
	v_mul_f32_e32 v179, 0x3fb8aa3b, v178
	v_cmp_ngt_f32_e32 vcc_lo, 0xc2ce8ed0, v178
	v_fma_f32 v180, 0x3fb8aa3b, v178, -v179
	v_rndne_f32_e32 v181, v179
	s_delay_alu instid0(VALU_DEP_1) | instskip(NEXT) | instid1(VALU_DEP_1)
	v_dual_fmac_f32 v180, 0x32a5705f, v178 :: v_dual_sub_f32 v179, v179, v181
	v_add_f32_e32 v179, v179, v180
	v_cvt_i32_f32_e32 v180, v181
	s_delay_alu instid0(VALU_DEP_2) | instskip(SKIP_2) | instid1(VALU_DEP_1)
	v_exp_f32_e32 v179, v179
	s_waitcnt_depctr 0xfff
	v_ldexp_f32 v179, v179, v180
	v_cndmask_b32_e32 v179, 0, v179, vcc_lo
	v_cmp_nlt_f32_e32 vcc_lo, 0x42b17218, v178
	s_delay_alu instid0(VALU_DEP_2) | instskip(NEXT) | instid1(VALU_DEP_1)
	v_cndmask_b32_e32 v180, 0x7f800000, v179, vcc_lo
	v_add_f32_e32 v181, 1.0, v180
	s_delay_alu instid0(VALU_DEP_1) | instskip(NEXT) | instid1(VALU_DEP_1)
	v_cvt_f64_f32_e32 v[178:179], v181
	v_frexp_exp_i32_f64_e32 v178, v[178:179]
	v_frexp_mant_f32_e32 v179, v181
	s_delay_alu instid0(VALU_DEP_1) | instskip(SKIP_2) | instid1(VALU_DEP_2)
	v_cmp_gt_f32_e32 vcc_lo, 0x3f2aaaab, v179
	v_add_f32_e32 v179, -1.0, v181
	v_cmp_gt_f32_e64 s30, 0x33800000, |v180|
	v_sub_f32_e32 v183, v179, v181
	v_sub_f32_e32 v179, v180, v179
	s_delay_alu instid0(VALU_DEP_2) | instskip(NEXT) | instid1(VALU_DEP_1)
	v_add_f32_e32 v183, 1.0, v183
	v_add_f32_e32 v179, v179, v183
	v_subrev_co_ci_u32_e32 v178, vcc_lo, 0, v178, vcc_lo
	v_cmp_eq_f32_e32 vcc_lo, 0x7f800000, v180
	s_delay_alu instid0(VALU_DEP_2) | instskip(SKIP_2) | instid1(VALU_DEP_2)
	v_sub_nc_u32_e32 v182, 0, v178
	v_cvt_f32_i32_e32 v178, v178
	s_or_b32 vcc_lo, vcc_lo, s30
	v_ldexp_f32 v181, v181, v182
	v_ldexp_f32 v179, v179, v182
	s_delay_alu instid0(VALU_DEP_2) | instskip(NEXT) | instid1(VALU_DEP_1)
	v_add_f32_e32 v192, 1.0, v181
	v_dual_add_f32 v182, -1.0, v181 :: v_dual_add_f32 v183, -1.0, v192
	s_delay_alu instid0(VALU_DEP_1) | instskip(NEXT) | instid1(VALU_DEP_2)
	v_add_f32_e32 v193, 1.0, v182
	v_sub_f32_e32 v183, v181, v183
	s_delay_alu instid0(VALU_DEP_2) | instskip(NEXT) | instid1(VALU_DEP_2)
	v_sub_f32_e32 v181, v181, v193
	v_add_f32_e32 v183, v179, v183
	s_delay_alu instid0(VALU_DEP_1) | instskip(NEXT) | instid1(VALU_DEP_3)
	v_add_f32_e32 v193, v192, v183
	v_add_f32_e32 v179, v179, v181
	s_delay_alu instid0(VALU_DEP_2) | instskip(NEXT) | instid1(VALU_DEP_1)
	v_rcp_f32_e32 v181, v193
	v_add_f32_e32 v194, v182, v179
	v_sub_f32_e32 v192, v192, v193
	s_delay_alu instid0(VALU_DEP_1) | instskip(SKIP_2) | instid1(VALU_DEP_1)
	v_dual_sub_f32 v182, v182, v194 :: v_dual_add_f32 v183, v183, v192
	s_waitcnt_depctr 0xfff
	v_mul_f32_e32 v195, v194, v181
	v_dual_add_f32 v179, v179, v182 :: v_dual_mul_f32 v196, v193, v195
	s_delay_alu instid0(VALU_DEP_1) | instskip(NEXT) | instid1(VALU_DEP_1)
	v_fma_f32 v192, v195, v193, -v196
	v_fmac_f32_e32 v192, v195, v183
	s_delay_alu instid0(VALU_DEP_1) | instskip(NEXT) | instid1(VALU_DEP_1)
	v_add_f32_e32 v197, v196, v192
	v_sub_f32_e32 v198, v194, v197
	v_sub_f32_e32 v182, v197, v196
	s_delay_alu instid0(VALU_DEP_2) | instskip(NEXT) | instid1(VALU_DEP_2)
	v_sub_f32_e32 v194, v194, v198
	v_sub_f32_e32 v182, v182, v192
	s_delay_alu instid0(VALU_DEP_2) | instskip(NEXT) | instid1(VALU_DEP_1)
	v_sub_f32_e32 v194, v194, v197
	v_add_f32_e32 v179, v179, v194
	s_delay_alu instid0(VALU_DEP_1) | instskip(NEXT) | instid1(VALU_DEP_1)
	v_add_f32_e32 v179, v182, v179
	v_add_f32_e32 v182, v198, v179
	s_delay_alu instid0(VALU_DEP_1) | instskip(NEXT) | instid1(VALU_DEP_1)
	v_mul_f32_e32 v192, v181, v182
	v_dual_sub_f32 v197, v198, v182 :: v_dual_mul_f32 v194, v193, v192
	s_delay_alu instid0(VALU_DEP_1) | instskip(NEXT) | instid1(VALU_DEP_2)
	v_add_f32_e32 v179, v179, v197
	v_fma_f32 v193, v192, v193, -v194
	s_delay_alu instid0(VALU_DEP_1) | instskip(NEXT) | instid1(VALU_DEP_1)
	v_fmac_f32_e32 v193, v192, v183
	v_add_f32_e32 v183, v194, v193
	s_delay_alu instid0(VALU_DEP_1) | instskip(SKIP_1) | instid1(VALU_DEP_2)
	v_sub_f32_e32 v196, v182, v183
	v_sub_f32_e32 v194, v183, v194
	;; [unrolled: 1-line block ×3, first 2 shown]
	s_delay_alu instid0(VALU_DEP_1) | instskip(NEXT) | instid1(VALU_DEP_3)
	v_sub_f32_e32 v182, v182, v183
	v_sub_f32_e32 v183, v194, v193
	s_delay_alu instid0(VALU_DEP_2) | instskip(SKIP_1) | instid1(VALU_DEP_2)
	v_add_f32_e32 v179, v179, v182
	v_add_f32_e32 v182, v195, v192
	;; [unrolled: 1-line block ×3, first 2 shown]
	s_delay_alu instid0(VALU_DEP_2) | instskip(NEXT) | instid1(VALU_DEP_2)
	v_sub_f32_e32 v183, v182, v195
	v_add_f32_e32 v179, v196, v179
	s_delay_alu instid0(VALU_DEP_2) | instskip(NEXT) | instid1(VALU_DEP_2)
	v_sub_f32_e32 v183, v192, v183
	v_mul_f32_e32 v179, v181, v179
	s_delay_alu instid0(VALU_DEP_1) | instskip(NEXT) | instid1(VALU_DEP_1)
	v_add_f32_e32 v179, v183, v179
	v_add_f32_e32 v181, v182, v179
	s_delay_alu instid0(VALU_DEP_1) | instskip(NEXT) | instid1(VALU_DEP_1)
	v_mul_f32_e32 v183, v181, v181
	v_fmaak_f32 v192, s26, v183, 0x3ecc95a3
	v_mul_f32_e32 v193, v181, v183
	s_delay_alu instid0(VALU_DEP_2) | instskip(SKIP_2) | instid1(VALU_DEP_3)
	v_fmaak_f32 v183, v183, v192, 0x3f2aaada
	v_ldexp_f32 v192, v181, 1
	v_sub_f32_e32 v181, v181, v182
	v_mul_f32_e32 v183, v193, v183
	v_mul_f32_e32 v193, 0x3f317218, v178
	s_delay_alu instid0(VALU_DEP_2) | instskip(NEXT) | instid1(VALU_DEP_1)
	v_dual_sub_f32 v179, v179, v181 :: v_dual_add_f32 v182, v192, v183
	v_ldexp_f32 v179, v179, 1
	s_delay_alu instid0(VALU_DEP_2) | instskip(NEXT) | instid1(VALU_DEP_4)
	v_sub_f32_e32 v181, v182, v192
	v_fma_f32 v192, 0x3f317218, v178, -v193
	s_delay_alu instid0(VALU_DEP_1) | instskip(NEXT) | instid1(VALU_DEP_1)
	v_dual_sub_f32 v181, v183, v181 :: v_dual_fmac_f32 v192, 0xb102e308, v178
	v_dual_add_f32 v178, v179, v181 :: v_dual_add_f32 v179, v193, v192
	s_delay_alu instid0(VALU_DEP_1) | instskip(NEXT) | instid1(VALU_DEP_2)
	v_add_f32_e32 v181, v182, v178
	v_sub_f32_e32 v193, v179, v193
	s_delay_alu instid0(VALU_DEP_2) | instskip(NEXT) | instid1(VALU_DEP_2)
	v_dual_add_f32 v183, v179, v181 :: v_dual_sub_f32 v182, v181, v182
	v_sub_f32_e32 v192, v192, v193
	s_delay_alu instid0(VALU_DEP_2) | instskip(NEXT) | instid1(VALU_DEP_3)
	v_sub_f32_e32 v194, v183, v179
	v_sub_f32_e32 v178, v178, v182
	s_delay_alu instid0(VALU_DEP_2) | instskip(SKIP_1) | instid1(VALU_DEP_2)
	v_sub_f32_e32 v195, v183, v194
	v_sub_f32_e32 v181, v181, v194
	v_dual_add_f32 v182, v192, v178 :: v_dual_sub_f32 v179, v179, v195
	s_delay_alu instid0(VALU_DEP_1) | instskip(NEXT) | instid1(VALU_DEP_2)
	v_add_f32_e32 v179, v181, v179
	v_sub_f32_e32 v181, v182, v192
	s_delay_alu instid0(VALU_DEP_2) | instskip(NEXT) | instid1(VALU_DEP_2)
	v_add_f32_e32 v179, v182, v179
	v_sub_f32_e32 v182, v182, v181
	s_delay_alu instid0(VALU_DEP_2) | instskip(NEXT) | instid1(VALU_DEP_1)
	v_dual_sub_f32 v178, v178, v181 :: v_dual_add_f32 v193, v183, v179
	v_dual_sub_f32 v182, v192, v182 :: v_dual_sub_f32 v181, v193, v183
	s_delay_alu instid0(VALU_DEP_1) | instskip(NEXT) | instid1(VALU_DEP_1)
	v_dual_add_f32 v178, v178, v182 :: v_dual_sub_f32 v179, v179, v181
	v_add_f32_e32 v178, v178, v179
	s_delay_alu instid0(VALU_DEP_1) | instskip(NEXT) | instid1(VALU_DEP_1)
	v_add_f32_e32 v178, v193, v178
	v_cndmask_b32_e32 v178, v178, v180, vcc_lo
	s_delay_alu instid0(VALU_DEP_1)
	v_add_f32_e32 v178, v23, v178
.LBB481_164:                            ;   in Loop: Header=BB481_154 Depth=1
	s_or_b32 exec_lo, exec_lo, vcc_hi
	s_delay_alu instid0(VALU_DEP_1) | instskip(SKIP_1) | instid1(VALU_DEP_2)
	v_bfe_u32 v23, v178, 16, 1
	v_cmp_o_f32_e32 vcc_lo, v178, v178
	v_add3_u32 v23, v178, v23, 0x7fff
	s_delay_alu instid0(VALU_DEP_1) | instskip(NEXT) | instid1(VALU_DEP_1)
	v_lshrrev_b32_e32 v23, 16, v23
	v_cndmask_b32_e32 v178, 0x7fc0, v23, vcc_lo
	s_delay_alu instid0(VALU_DEP_1)
	v_and_b32_e32 v23, 0xffff, v178
.LBB481_165:                            ;   in Loop: Header=BB481_154 Depth=1
	s_or_b32 exec_lo, exec_lo, s27
	s_waitcnt lgkmcnt(0)
	ds_bpermute_b32 v179, v161, v23
	s_mov_b32 s27, exec_lo
	v_cmpx_le_u32_e64 v162, v22
	s_cbranch_execz .LBB481_169
; %bb.166:                              ;   in Loop: Header=BB481_154 Depth=1
	s_waitcnt lgkmcnt(0)
	v_lshlrev_b32_e32 v178, 16, v179
	s_delay_alu instid0(VALU_DEP_1) | instskip(SKIP_1) | instid1(VALU_DEP_2)
	v_dual_max_f32 v180, v178, v178 :: v_dual_lshlrev_b32 v23, 16, v23
	v_cmp_u_f32_e32 vcc_lo, v178, v178
	v_max_f32_e32 v179, v23, v23
	s_delay_alu instid0(VALU_DEP_1) | instskip(NEXT) | instid1(VALU_DEP_1)
	v_min_f32_e32 v181, v180, v179
	v_dual_max_f32 v179, v180, v179 :: v_dual_cndmask_b32 v180, v181, v178
	s_delay_alu instid0(VALU_DEP_1) | instskip(SKIP_1) | instid1(VALU_DEP_3)
	v_cndmask_b32_e32 v181, v179, v178, vcc_lo
	v_cmp_u_f32_e32 vcc_lo, v23, v23
	v_cndmask_b32_e32 v179, v180, v23, vcc_lo
	s_delay_alu instid0(VALU_DEP_3) | instskip(NEXT) | instid1(VALU_DEP_1)
	v_cndmask_b32_e32 v23, v181, v23, vcc_lo
	v_cmp_neq_f32_e32 vcc_lo, v179, v23
	v_cmp_class_f32_e64 vcc_hi, v179, 0x1f8
	s_delay_alu instid0(VALU_DEP_1) | instskip(NEXT) | instid1(SALU_CYCLE_1)
	s_or_b32 vcc_lo, vcc_lo, vcc_hi
	s_and_saveexec_b32 vcc_hi, vcc_lo
	s_cbranch_execz .LBB481_168
; %bb.167:                              ;   in Loop: Header=BB481_154 Depth=1
	v_sub_f32_e32 v178, v179, v23
	s_delay_alu instid0(VALU_DEP_1) | instskip(SKIP_1) | instid1(VALU_DEP_2)
	v_mul_f32_e32 v179, 0x3fb8aa3b, v178
	v_cmp_ngt_f32_e32 vcc_lo, 0xc2ce8ed0, v178
	v_fma_f32 v180, 0x3fb8aa3b, v178, -v179
	v_rndne_f32_e32 v181, v179
	s_delay_alu instid0(VALU_DEP_1) | instskip(NEXT) | instid1(VALU_DEP_1)
	v_dual_fmac_f32 v180, 0x32a5705f, v178 :: v_dual_sub_f32 v179, v179, v181
	v_add_f32_e32 v179, v179, v180
	v_cvt_i32_f32_e32 v180, v181
	s_delay_alu instid0(VALU_DEP_2) | instskip(SKIP_2) | instid1(VALU_DEP_1)
	v_exp_f32_e32 v179, v179
	s_waitcnt_depctr 0xfff
	v_ldexp_f32 v179, v179, v180
	v_cndmask_b32_e32 v179, 0, v179, vcc_lo
	v_cmp_nlt_f32_e32 vcc_lo, 0x42b17218, v178
	s_delay_alu instid0(VALU_DEP_2) | instskip(NEXT) | instid1(VALU_DEP_1)
	v_cndmask_b32_e32 v180, 0x7f800000, v179, vcc_lo
	v_add_f32_e32 v181, 1.0, v180
	s_delay_alu instid0(VALU_DEP_1) | instskip(NEXT) | instid1(VALU_DEP_1)
	v_cvt_f64_f32_e32 v[178:179], v181
	v_frexp_exp_i32_f64_e32 v178, v[178:179]
	v_frexp_mant_f32_e32 v179, v181
	s_delay_alu instid0(VALU_DEP_1) | instskip(SKIP_2) | instid1(VALU_DEP_2)
	v_cmp_gt_f32_e32 vcc_lo, 0x3f2aaaab, v179
	v_add_f32_e32 v179, -1.0, v181
	v_cmp_gt_f32_e64 s30, 0x33800000, |v180|
	v_sub_f32_e32 v183, v179, v181
	v_sub_f32_e32 v179, v180, v179
	s_delay_alu instid0(VALU_DEP_2) | instskip(NEXT) | instid1(VALU_DEP_1)
	v_add_f32_e32 v183, 1.0, v183
	v_add_f32_e32 v179, v179, v183
	v_subrev_co_ci_u32_e32 v178, vcc_lo, 0, v178, vcc_lo
	v_cmp_eq_f32_e32 vcc_lo, 0x7f800000, v180
	s_delay_alu instid0(VALU_DEP_2) | instskip(SKIP_2) | instid1(VALU_DEP_2)
	v_sub_nc_u32_e32 v182, 0, v178
	v_cvt_f32_i32_e32 v178, v178
	s_or_b32 vcc_lo, vcc_lo, s30
	v_ldexp_f32 v181, v181, v182
	v_ldexp_f32 v179, v179, v182
	s_delay_alu instid0(VALU_DEP_2) | instskip(NEXT) | instid1(VALU_DEP_1)
	v_add_f32_e32 v192, 1.0, v181
	v_dual_add_f32 v182, -1.0, v181 :: v_dual_add_f32 v183, -1.0, v192
	s_delay_alu instid0(VALU_DEP_1) | instskip(NEXT) | instid1(VALU_DEP_2)
	v_add_f32_e32 v193, 1.0, v182
	v_sub_f32_e32 v183, v181, v183
	s_delay_alu instid0(VALU_DEP_2) | instskip(NEXT) | instid1(VALU_DEP_2)
	v_sub_f32_e32 v181, v181, v193
	v_add_f32_e32 v183, v179, v183
	s_delay_alu instid0(VALU_DEP_1) | instskip(NEXT) | instid1(VALU_DEP_3)
	v_add_f32_e32 v193, v192, v183
	v_add_f32_e32 v179, v179, v181
	s_delay_alu instid0(VALU_DEP_2) | instskip(NEXT) | instid1(VALU_DEP_1)
	v_rcp_f32_e32 v181, v193
	v_add_f32_e32 v194, v182, v179
	v_sub_f32_e32 v192, v192, v193
	s_delay_alu instid0(VALU_DEP_1) | instskip(SKIP_2) | instid1(VALU_DEP_1)
	v_dual_sub_f32 v182, v182, v194 :: v_dual_add_f32 v183, v183, v192
	s_waitcnt_depctr 0xfff
	v_mul_f32_e32 v195, v194, v181
	v_dual_add_f32 v179, v179, v182 :: v_dual_mul_f32 v196, v193, v195
	s_delay_alu instid0(VALU_DEP_1) | instskip(NEXT) | instid1(VALU_DEP_1)
	v_fma_f32 v192, v195, v193, -v196
	v_fmac_f32_e32 v192, v195, v183
	s_delay_alu instid0(VALU_DEP_1) | instskip(NEXT) | instid1(VALU_DEP_1)
	v_add_f32_e32 v197, v196, v192
	v_sub_f32_e32 v198, v194, v197
	v_sub_f32_e32 v182, v197, v196
	s_delay_alu instid0(VALU_DEP_2) | instskip(NEXT) | instid1(VALU_DEP_2)
	v_sub_f32_e32 v194, v194, v198
	v_sub_f32_e32 v182, v182, v192
	s_delay_alu instid0(VALU_DEP_2) | instskip(NEXT) | instid1(VALU_DEP_1)
	v_sub_f32_e32 v194, v194, v197
	v_add_f32_e32 v179, v179, v194
	s_delay_alu instid0(VALU_DEP_1) | instskip(NEXT) | instid1(VALU_DEP_1)
	v_add_f32_e32 v179, v182, v179
	v_add_f32_e32 v182, v198, v179
	s_delay_alu instid0(VALU_DEP_1) | instskip(NEXT) | instid1(VALU_DEP_1)
	v_mul_f32_e32 v192, v181, v182
	v_dual_sub_f32 v197, v198, v182 :: v_dual_mul_f32 v194, v193, v192
	s_delay_alu instid0(VALU_DEP_1) | instskip(NEXT) | instid1(VALU_DEP_2)
	v_add_f32_e32 v179, v179, v197
	v_fma_f32 v193, v192, v193, -v194
	s_delay_alu instid0(VALU_DEP_1) | instskip(NEXT) | instid1(VALU_DEP_1)
	v_fmac_f32_e32 v193, v192, v183
	v_add_f32_e32 v183, v194, v193
	s_delay_alu instid0(VALU_DEP_1) | instskip(SKIP_1) | instid1(VALU_DEP_2)
	v_sub_f32_e32 v196, v182, v183
	v_sub_f32_e32 v194, v183, v194
	;; [unrolled: 1-line block ×3, first 2 shown]
	s_delay_alu instid0(VALU_DEP_1) | instskip(NEXT) | instid1(VALU_DEP_3)
	v_sub_f32_e32 v182, v182, v183
	v_sub_f32_e32 v183, v194, v193
	s_delay_alu instid0(VALU_DEP_2) | instskip(SKIP_1) | instid1(VALU_DEP_2)
	v_add_f32_e32 v179, v179, v182
	v_add_f32_e32 v182, v195, v192
	;; [unrolled: 1-line block ×3, first 2 shown]
	s_delay_alu instid0(VALU_DEP_2) | instskip(NEXT) | instid1(VALU_DEP_2)
	v_sub_f32_e32 v183, v182, v195
	v_add_f32_e32 v179, v196, v179
	s_delay_alu instid0(VALU_DEP_2) | instskip(NEXT) | instid1(VALU_DEP_2)
	v_sub_f32_e32 v183, v192, v183
	v_mul_f32_e32 v179, v181, v179
	s_delay_alu instid0(VALU_DEP_1) | instskip(NEXT) | instid1(VALU_DEP_1)
	v_add_f32_e32 v179, v183, v179
	v_add_f32_e32 v181, v182, v179
	s_delay_alu instid0(VALU_DEP_1) | instskip(NEXT) | instid1(VALU_DEP_1)
	v_mul_f32_e32 v183, v181, v181
	v_fmaak_f32 v192, s26, v183, 0x3ecc95a3
	v_mul_f32_e32 v193, v181, v183
	s_delay_alu instid0(VALU_DEP_2) | instskip(SKIP_2) | instid1(VALU_DEP_3)
	v_fmaak_f32 v183, v183, v192, 0x3f2aaada
	v_ldexp_f32 v192, v181, 1
	v_sub_f32_e32 v181, v181, v182
	v_mul_f32_e32 v183, v193, v183
	v_mul_f32_e32 v193, 0x3f317218, v178
	s_delay_alu instid0(VALU_DEP_2) | instskip(NEXT) | instid1(VALU_DEP_1)
	v_dual_sub_f32 v179, v179, v181 :: v_dual_add_f32 v182, v192, v183
	v_ldexp_f32 v179, v179, 1
	s_delay_alu instid0(VALU_DEP_2) | instskip(NEXT) | instid1(VALU_DEP_4)
	v_sub_f32_e32 v181, v182, v192
	v_fma_f32 v192, 0x3f317218, v178, -v193
	s_delay_alu instid0(VALU_DEP_1) | instskip(NEXT) | instid1(VALU_DEP_1)
	v_dual_sub_f32 v181, v183, v181 :: v_dual_fmac_f32 v192, 0xb102e308, v178
	v_dual_add_f32 v178, v179, v181 :: v_dual_add_f32 v179, v193, v192
	s_delay_alu instid0(VALU_DEP_1) | instskip(NEXT) | instid1(VALU_DEP_2)
	v_add_f32_e32 v181, v182, v178
	v_sub_f32_e32 v193, v179, v193
	s_delay_alu instid0(VALU_DEP_2) | instskip(NEXT) | instid1(VALU_DEP_2)
	v_dual_add_f32 v183, v179, v181 :: v_dual_sub_f32 v182, v181, v182
	v_sub_f32_e32 v192, v192, v193
	s_delay_alu instid0(VALU_DEP_2) | instskip(NEXT) | instid1(VALU_DEP_3)
	v_sub_f32_e32 v194, v183, v179
	v_sub_f32_e32 v178, v178, v182
	s_delay_alu instid0(VALU_DEP_2) | instskip(SKIP_1) | instid1(VALU_DEP_2)
	v_sub_f32_e32 v195, v183, v194
	v_sub_f32_e32 v181, v181, v194
	v_dual_add_f32 v182, v192, v178 :: v_dual_sub_f32 v179, v179, v195
	s_delay_alu instid0(VALU_DEP_1) | instskip(NEXT) | instid1(VALU_DEP_2)
	v_add_f32_e32 v179, v181, v179
	v_sub_f32_e32 v181, v182, v192
	s_delay_alu instid0(VALU_DEP_2) | instskip(NEXT) | instid1(VALU_DEP_2)
	v_add_f32_e32 v179, v182, v179
	v_sub_f32_e32 v182, v182, v181
	s_delay_alu instid0(VALU_DEP_2) | instskip(NEXT) | instid1(VALU_DEP_1)
	v_dual_sub_f32 v178, v178, v181 :: v_dual_add_f32 v193, v183, v179
	v_dual_sub_f32 v182, v192, v182 :: v_dual_sub_f32 v181, v193, v183
	s_delay_alu instid0(VALU_DEP_1) | instskip(NEXT) | instid1(VALU_DEP_1)
	v_dual_add_f32 v178, v178, v182 :: v_dual_sub_f32 v179, v179, v181
	v_add_f32_e32 v178, v178, v179
	s_delay_alu instid0(VALU_DEP_1) | instskip(NEXT) | instid1(VALU_DEP_1)
	v_add_f32_e32 v178, v193, v178
	v_cndmask_b32_e32 v178, v178, v180, vcc_lo
	s_delay_alu instid0(VALU_DEP_1)
	v_add_f32_e32 v178, v23, v178
.LBB481_168:                            ;   in Loop: Header=BB481_154 Depth=1
	s_or_b32 exec_lo, exec_lo, vcc_hi
	s_delay_alu instid0(VALU_DEP_1) | instskip(SKIP_1) | instid1(VALU_DEP_2)
	v_bfe_u32 v23, v178, 16, 1
	v_cmp_o_f32_e32 vcc_lo, v178, v178
	v_add3_u32 v23, v178, v23, 0x7fff
	s_delay_alu instid0(VALU_DEP_1) | instskip(NEXT) | instid1(VALU_DEP_1)
	v_lshrrev_b32_e32 v23, 16, v23
	v_cndmask_b32_e32 v178, 0x7fc0, v23, vcc_lo
	s_delay_alu instid0(VALU_DEP_1)
	v_and_b32_e32 v23, 0xffff, v178
.LBB481_169:                            ;   in Loop: Header=BB481_154 Depth=1
	s_or_b32 exec_lo, exec_lo, s27
	s_waitcnt lgkmcnt(0)
	ds_bpermute_b32 v179, v163, v23
	s_mov_b32 s27, exec_lo
	v_cmpx_le_u32_e64 v164, v22
	s_cbranch_execz .LBB481_173
; %bb.170:                              ;   in Loop: Header=BB481_154 Depth=1
	s_waitcnt lgkmcnt(0)
	v_lshlrev_b32_e32 v178, 16, v179
	s_delay_alu instid0(VALU_DEP_1) | instskip(SKIP_1) | instid1(VALU_DEP_2)
	v_dual_max_f32 v180, v178, v178 :: v_dual_lshlrev_b32 v23, 16, v23
	v_cmp_u_f32_e32 vcc_lo, v178, v178
	v_max_f32_e32 v179, v23, v23
	s_delay_alu instid0(VALU_DEP_1) | instskip(NEXT) | instid1(VALU_DEP_1)
	v_min_f32_e32 v181, v180, v179
	v_dual_max_f32 v179, v180, v179 :: v_dual_cndmask_b32 v180, v181, v178
	s_delay_alu instid0(VALU_DEP_1) | instskip(SKIP_1) | instid1(VALU_DEP_3)
	v_cndmask_b32_e32 v181, v179, v178, vcc_lo
	v_cmp_u_f32_e32 vcc_lo, v23, v23
	v_cndmask_b32_e32 v179, v180, v23, vcc_lo
	s_delay_alu instid0(VALU_DEP_3) | instskip(NEXT) | instid1(VALU_DEP_1)
	v_cndmask_b32_e32 v23, v181, v23, vcc_lo
	v_cmp_neq_f32_e32 vcc_lo, v179, v23
	v_cmp_class_f32_e64 vcc_hi, v179, 0x1f8
	s_delay_alu instid0(VALU_DEP_1) | instskip(NEXT) | instid1(SALU_CYCLE_1)
	s_or_b32 vcc_lo, vcc_lo, vcc_hi
	s_and_saveexec_b32 vcc_hi, vcc_lo
	s_cbranch_execz .LBB481_172
; %bb.171:                              ;   in Loop: Header=BB481_154 Depth=1
	v_sub_f32_e32 v178, v179, v23
	s_delay_alu instid0(VALU_DEP_1) | instskip(SKIP_1) | instid1(VALU_DEP_2)
	v_mul_f32_e32 v179, 0x3fb8aa3b, v178
	v_cmp_ngt_f32_e32 vcc_lo, 0xc2ce8ed0, v178
	v_fma_f32 v180, 0x3fb8aa3b, v178, -v179
	v_rndne_f32_e32 v181, v179
	s_delay_alu instid0(VALU_DEP_1) | instskip(NEXT) | instid1(VALU_DEP_1)
	v_dual_fmac_f32 v180, 0x32a5705f, v178 :: v_dual_sub_f32 v179, v179, v181
	v_add_f32_e32 v179, v179, v180
	v_cvt_i32_f32_e32 v180, v181
	s_delay_alu instid0(VALU_DEP_2) | instskip(SKIP_2) | instid1(VALU_DEP_1)
	v_exp_f32_e32 v179, v179
	s_waitcnt_depctr 0xfff
	v_ldexp_f32 v179, v179, v180
	v_cndmask_b32_e32 v179, 0, v179, vcc_lo
	v_cmp_nlt_f32_e32 vcc_lo, 0x42b17218, v178
	s_delay_alu instid0(VALU_DEP_2) | instskip(NEXT) | instid1(VALU_DEP_1)
	v_cndmask_b32_e32 v180, 0x7f800000, v179, vcc_lo
	v_add_f32_e32 v181, 1.0, v180
	s_delay_alu instid0(VALU_DEP_1) | instskip(NEXT) | instid1(VALU_DEP_1)
	v_cvt_f64_f32_e32 v[178:179], v181
	v_frexp_exp_i32_f64_e32 v178, v[178:179]
	v_frexp_mant_f32_e32 v179, v181
	s_delay_alu instid0(VALU_DEP_1) | instskip(SKIP_2) | instid1(VALU_DEP_2)
	v_cmp_gt_f32_e32 vcc_lo, 0x3f2aaaab, v179
	v_add_f32_e32 v179, -1.0, v181
	v_cmp_gt_f32_e64 s30, 0x33800000, |v180|
	v_sub_f32_e32 v183, v179, v181
	v_sub_f32_e32 v179, v180, v179
	s_delay_alu instid0(VALU_DEP_2) | instskip(NEXT) | instid1(VALU_DEP_1)
	v_add_f32_e32 v183, 1.0, v183
	v_add_f32_e32 v179, v179, v183
	v_subrev_co_ci_u32_e32 v178, vcc_lo, 0, v178, vcc_lo
	v_cmp_eq_f32_e32 vcc_lo, 0x7f800000, v180
	s_delay_alu instid0(VALU_DEP_2) | instskip(SKIP_2) | instid1(VALU_DEP_2)
	v_sub_nc_u32_e32 v182, 0, v178
	v_cvt_f32_i32_e32 v178, v178
	s_or_b32 vcc_lo, vcc_lo, s30
	v_ldexp_f32 v181, v181, v182
	v_ldexp_f32 v179, v179, v182
	s_delay_alu instid0(VALU_DEP_2) | instskip(NEXT) | instid1(VALU_DEP_1)
	v_add_f32_e32 v192, 1.0, v181
	v_dual_add_f32 v182, -1.0, v181 :: v_dual_add_f32 v183, -1.0, v192
	s_delay_alu instid0(VALU_DEP_1) | instskip(NEXT) | instid1(VALU_DEP_2)
	v_add_f32_e32 v193, 1.0, v182
	v_sub_f32_e32 v183, v181, v183
	s_delay_alu instid0(VALU_DEP_2) | instskip(NEXT) | instid1(VALU_DEP_2)
	v_sub_f32_e32 v181, v181, v193
	v_add_f32_e32 v183, v179, v183
	s_delay_alu instid0(VALU_DEP_1) | instskip(NEXT) | instid1(VALU_DEP_3)
	v_add_f32_e32 v193, v192, v183
	v_add_f32_e32 v179, v179, v181
	s_delay_alu instid0(VALU_DEP_2) | instskip(NEXT) | instid1(VALU_DEP_1)
	v_rcp_f32_e32 v181, v193
	v_add_f32_e32 v194, v182, v179
	v_sub_f32_e32 v192, v192, v193
	s_delay_alu instid0(VALU_DEP_1) | instskip(SKIP_2) | instid1(VALU_DEP_1)
	v_dual_sub_f32 v182, v182, v194 :: v_dual_add_f32 v183, v183, v192
	s_waitcnt_depctr 0xfff
	v_mul_f32_e32 v195, v194, v181
	v_dual_add_f32 v179, v179, v182 :: v_dual_mul_f32 v196, v193, v195
	s_delay_alu instid0(VALU_DEP_1) | instskip(NEXT) | instid1(VALU_DEP_1)
	v_fma_f32 v192, v195, v193, -v196
	v_fmac_f32_e32 v192, v195, v183
	s_delay_alu instid0(VALU_DEP_1) | instskip(NEXT) | instid1(VALU_DEP_1)
	v_add_f32_e32 v197, v196, v192
	v_sub_f32_e32 v198, v194, v197
	v_sub_f32_e32 v182, v197, v196
	s_delay_alu instid0(VALU_DEP_2) | instskip(NEXT) | instid1(VALU_DEP_2)
	v_sub_f32_e32 v194, v194, v198
	v_sub_f32_e32 v182, v182, v192
	s_delay_alu instid0(VALU_DEP_2) | instskip(NEXT) | instid1(VALU_DEP_1)
	v_sub_f32_e32 v194, v194, v197
	v_add_f32_e32 v179, v179, v194
	s_delay_alu instid0(VALU_DEP_1) | instskip(NEXT) | instid1(VALU_DEP_1)
	v_add_f32_e32 v179, v182, v179
	v_add_f32_e32 v182, v198, v179
	s_delay_alu instid0(VALU_DEP_1) | instskip(NEXT) | instid1(VALU_DEP_1)
	v_mul_f32_e32 v192, v181, v182
	v_dual_sub_f32 v197, v198, v182 :: v_dual_mul_f32 v194, v193, v192
	s_delay_alu instid0(VALU_DEP_1) | instskip(NEXT) | instid1(VALU_DEP_2)
	v_add_f32_e32 v179, v179, v197
	v_fma_f32 v193, v192, v193, -v194
	s_delay_alu instid0(VALU_DEP_1) | instskip(NEXT) | instid1(VALU_DEP_1)
	v_fmac_f32_e32 v193, v192, v183
	v_add_f32_e32 v183, v194, v193
	s_delay_alu instid0(VALU_DEP_1) | instskip(SKIP_1) | instid1(VALU_DEP_2)
	v_sub_f32_e32 v196, v182, v183
	v_sub_f32_e32 v194, v183, v194
	;; [unrolled: 1-line block ×3, first 2 shown]
	s_delay_alu instid0(VALU_DEP_1) | instskip(NEXT) | instid1(VALU_DEP_3)
	v_sub_f32_e32 v182, v182, v183
	v_sub_f32_e32 v183, v194, v193
	s_delay_alu instid0(VALU_DEP_2) | instskip(SKIP_1) | instid1(VALU_DEP_2)
	v_add_f32_e32 v179, v179, v182
	v_add_f32_e32 v182, v195, v192
	;; [unrolled: 1-line block ×3, first 2 shown]
	s_delay_alu instid0(VALU_DEP_2) | instskip(NEXT) | instid1(VALU_DEP_2)
	v_sub_f32_e32 v183, v182, v195
	v_add_f32_e32 v179, v196, v179
	s_delay_alu instid0(VALU_DEP_2) | instskip(NEXT) | instid1(VALU_DEP_2)
	v_sub_f32_e32 v183, v192, v183
	v_mul_f32_e32 v179, v181, v179
	s_delay_alu instid0(VALU_DEP_1) | instskip(NEXT) | instid1(VALU_DEP_1)
	v_add_f32_e32 v179, v183, v179
	v_add_f32_e32 v181, v182, v179
	s_delay_alu instid0(VALU_DEP_1) | instskip(NEXT) | instid1(VALU_DEP_1)
	v_mul_f32_e32 v183, v181, v181
	v_fmaak_f32 v192, s26, v183, 0x3ecc95a3
	v_mul_f32_e32 v193, v181, v183
	s_delay_alu instid0(VALU_DEP_2) | instskip(SKIP_2) | instid1(VALU_DEP_3)
	v_fmaak_f32 v183, v183, v192, 0x3f2aaada
	v_ldexp_f32 v192, v181, 1
	v_sub_f32_e32 v181, v181, v182
	v_mul_f32_e32 v183, v193, v183
	v_mul_f32_e32 v193, 0x3f317218, v178
	s_delay_alu instid0(VALU_DEP_2) | instskip(NEXT) | instid1(VALU_DEP_1)
	v_dual_sub_f32 v179, v179, v181 :: v_dual_add_f32 v182, v192, v183
	v_ldexp_f32 v179, v179, 1
	s_delay_alu instid0(VALU_DEP_2) | instskip(NEXT) | instid1(VALU_DEP_4)
	v_sub_f32_e32 v181, v182, v192
	v_fma_f32 v192, 0x3f317218, v178, -v193
	s_delay_alu instid0(VALU_DEP_1) | instskip(NEXT) | instid1(VALU_DEP_1)
	v_dual_sub_f32 v181, v183, v181 :: v_dual_fmac_f32 v192, 0xb102e308, v178
	v_dual_add_f32 v178, v179, v181 :: v_dual_add_f32 v179, v193, v192
	s_delay_alu instid0(VALU_DEP_1) | instskip(NEXT) | instid1(VALU_DEP_2)
	v_add_f32_e32 v181, v182, v178
	v_sub_f32_e32 v193, v179, v193
	s_delay_alu instid0(VALU_DEP_2) | instskip(NEXT) | instid1(VALU_DEP_2)
	v_dual_add_f32 v183, v179, v181 :: v_dual_sub_f32 v182, v181, v182
	v_sub_f32_e32 v192, v192, v193
	s_delay_alu instid0(VALU_DEP_2) | instskip(NEXT) | instid1(VALU_DEP_3)
	v_sub_f32_e32 v194, v183, v179
	v_sub_f32_e32 v178, v178, v182
	s_delay_alu instid0(VALU_DEP_2) | instskip(SKIP_1) | instid1(VALU_DEP_2)
	v_sub_f32_e32 v195, v183, v194
	v_sub_f32_e32 v181, v181, v194
	v_dual_add_f32 v182, v192, v178 :: v_dual_sub_f32 v179, v179, v195
	s_delay_alu instid0(VALU_DEP_1) | instskip(NEXT) | instid1(VALU_DEP_2)
	v_add_f32_e32 v179, v181, v179
	v_sub_f32_e32 v181, v182, v192
	s_delay_alu instid0(VALU_DEP_2) | instskip(NEXT) | instid1(VALU_DEP_2)
	v_add_f32_e32 v179, v182, v179
	v_sub_f32_e32 v182, v182, v181
	s_delay_alu instid0(VALU_DEP_2) | instskip(NEXT) | instid1(VALU_DEP_1)
	v_dual_sub_f32 v178, v178, v181 :: v_dual_add_f32 v193, v183, v179
	v_dual_sub_f32 v182, v192, v182 :: v_dual_sub_f32 v181, v193, v183
	s_delay_alu instid0(VALU_DEP_1) | instskip(NEXT) | instid1(VALU_DEP_1)
	v_dual_add_f32 v178, v178, v182 :: v_dual_sub_f32 v179, v179, v181
	v_add_f32_e32 v178, v178, v179
	s_delay_alu instid0(VALU_DEP_1) | instskip(NEXT) | instid1(VALU_DEP_1)
	v_add_f32_e32 v178, v193, v178
	v_cndmask_b32_e32 v178, v178, v180, vcc_lo
	s_delay_alu instid0(VALU_DEP_1)
	v_add_f32_e32 v178, v23, v178
.LBB481_172:                            ;   in Loop: Header=BB481_154 Depth=1
	s_or_b32 exec_lo, exec_lo, vcc_hi
	s_delay_alu instid0(VALU_DEP_1) | instskip(SKIP_1) | instid1(VALU_DEP_2)
	v_bfe_u32 v23, v178, 16, 1
	v_cmp_o_f32_e32 vcc_lo, v178, v178
	v_add3_u32 v23, v178, v23, 0x7fff
	s_delay_alu instid0(VALU_DEP_1) | instskip(NEXT) | instid1(VALU_DEP_1)
	v_lshrrev_b32_e32 v23, 16, v23
	v_cndmask_b32_e32 v178, 0x7fc0, v23, vcc_lo
	s_delay_alu instid0(VALU_DEP_1)
	v_and_b32_e32 v23, 0xffff, v178
.LBB481_173:                            ;   in Loop: Header=BB481_154 Depth=1
	s_or_b32 exec_lo, exec_lo, s27
	s_waitcnt lgkmcnt(0)
	ds_bpermute_b32 v179, v165, v23
	s_mov_b32 s27, exec_lo
	v_cmpx_le_u32_e64 v166, v22
	s_cbranch_execz .LBB481_177
; %bb.174:                              ;   in Loop: Header=BB481_154 Depth=1
	s_waitcnt lgkmcnt(0)
	v_lshlrev_b32_e32 v178, 16, v179
	s_delay_alu instid0(VALU_DEP_1) | instskip(SKIP_1) | instid1(VALU_DEP_2)
	v_dual_max_f32 v180, v178, v178 :: v_dual_lshlrev_b32 v23, 16, v23
	v_cmp_u_f32_e32 vcc_lo, v178, v178
	v_max_f32_e32 v179, v23, v23
	s_delay_alu instid0(VALU_DEP_1) | instskip(NEXT) | instid1(VALU_DEP_1)
	v_min_f32_e32 v181, v180, v179
	v_dual_max_f32 v179, v180, v179 :: v_dual_cndmask_b32 v180, v181, v178
	s_delay_alu instid0(VALU_DEP_1) | instskip(SKIP_1) | instid1(VALU_DEP_3)
	v_cndmask_b32_e32 v181, v179, v178, vcc_lo
	v_cmp_u_f32_e32 vcc_lo, v23, v23
	v_cndmask_b32_e32 v179, v180, v23, vcc_lo
	s_delay_alu instid0(VALU_DEP_3) | instskip(NEXT) | instid1(VALU_DEP_1)
	v_cndmask_b32_e32 v23, v181, v23, vcc_lo
	v_cmp_neq_f32_e32 vcc_lo, v179, v23
	v_cmp_class_f32_e64 vcc_hi, v179, 0x1f8
	s_delay_alu instid0(VALU_DEP_1) | instskip(NEXT) | instid1(SALU_CYCLE_1)
	s_or_b32 vcc_lo, vcc_lo, vcc_hi
	s_and_saveexec_b32 vcc_hi, vcc_lo
	s_cbranch_execz .LBB481_176
; %bb.175:                              ;   in Loop: Header=BB481_154 Depth=1
	v_sub_f32_e32 v178, v179, v23
	s_delay_alu instid0(VALU_DEP_1) | instskip(SKIP_1) | instid1(VALU_DEP_2)
	v_mul_f32_e32 v179, 0x3fb8aa3b, v178
	v_cmp_ngt_f32_e32 vcc_lo, 0xc2ce8ed0, v178
	v_fma_f32 v180, 0x3fb8aa3b, v178, -v179
	v_rndne_f32_e32 v181, v179
	s_delay_alu instid0(VALU_DEP_1) | instskip(NEXT) | instid1(VALU_DEP_1)
	v_dual_fmac_f32 v180, 0x32a5705f, v178 :: v_dual_sub_f32 v179, v179, v181
	v_add_f32_e32 v179, v179, v180
	v_cvt_i32_f32_e32 v180, v181
	s_delay_alu instid0(VALU_DEP_2) | instskip(SKIP_2) | instid1(VALU_DEP_1)
	v_exp_f32_e32 v179, v179
	s_waitcnt_depctr 0xfff
	v_ldexp_f32 v179, v179, v180
	v_cndmask_b32_e32 v179, 0, v179, vcc_lo
	v_cmp_nlt_f32_e32 vcc_lo, 0x42b17218, v178
	s_delay_alu instid0(VALU_DEP_2) | instskip(NEXT) | instid1(VALU_DEP_1)
	v_cndmask_b32_e32 v180, 0x7f800000, v179, vcc_lo
	v_add_f32_e32 v181, 1.0, v180
	s_delay_alu instid0(VALU_DEP_1) | instskip(NEXT) | instid1(VALU_DEP_1)
	v_cvt_f64_f32_e32 v[178:179], v181
	v_frexp_exp_i32_f64_e32 v178, v[178:179]
	v_frexp_mant_f32_e32 v179, v181
	s_delay_alu instid0(VALU_DEP_1) | instskip(SKIP_2) | instid1(VALU_DEP_2)
	v_cmp_gt_f32_e32 vcc_lo, 0x3f2aaaab, v179
	v_add_f32_e32 v179, -1.0, v181
	v_cmp_gt_f32_e64 s30, 0x33800000, |v180|
	v_sub_f32_e32 v183, v179, v181
	v_sub_f32_e32 v179, v180, v179
	s_delay_alu instid0(VALU_DEP_2) | instskip(NEXT) | instid1(VALU_DEP_1)
	v_add_f32_e32 v183, 1.0, v183
	v_add_f32_e32 v179, v179, v183
	v_subrev_co_ci_u32_e32 v178, vcc_lo, 0, v178, vcc_lo
	v_cmp_eq_f32_e32 vcc_lo, 0x7f800000, v180
	s_delay_alu instid0(VALU_DEP_2) | instskip(SKIP_2) | instid1(VALU_DEP_2)
	v_sub_nc_u32_e32 v182, 0, v178
	v_cvt_f32_i32_e32 v178, v178
	s_or_b32 vcc_lo, vcc_lo, s30
	v_ldexp_f32 v181, v181, v182
	v_ldexp_f32 v179, v179, v182
	s_delay_alu instid0(VALU_DEP_2) | instskip(NEXT) | instid1(VALU_DEP_1)
	v_add_f32_e32 v192, 1.0, v181
	v_dual_add_f32 v182, -1.0, v181 :: v_dual_add_f32 v183, -1.0, v192
	s_delay_alu instid0(VALU_DEP_1) | instskip(NEXT) | instid1(VALU_DEP_2)
	v_add_f32_e32 v193, 1.0, v182
	v_sub_f32_e32 v183, v181, v183
	s_delay_alu instid0(VALU_DEP_2) | instskip(NEXT) | instid1(VALU_DEP_2)
	v_sub_f32_e32 v181, v181, v193
	v_add_f32_e32 v183, v179, v183
	s_delay_alu instid0(VALU_DEP_1) | instskip(NEXT) | instid1(VALU_DEP_3)
	v_add_f32_e32 v193, v192, v183
	v_add_f32_e32 v179, v179, v181
	s_delay_alu instid0(VALU_DEP_2) | instskip(NEXT) | instid1(VALU_DEP_1)
	v_rcp_f32_e32 v181, v193
	v_add_f32_e32 v194, v182, v179
	v_sub_f32_e32 v192, v192, v193
	s_delay_alu instid0(VALU_DEP_1) | instskip(SKIP_2) | instid1(VALU_DEP_1)
	v_dual_sub_f32 v182, v182, v194 :: v_dual_add_f32 v183, v183, v192
	s_waitcnt_depctr 0xfff
	v_mul_f32_e32 v195, v194, v181
	v_dual_add_f32 v179, v179, v182 :: v_dual_mul_f32 v196, v193, v195
	s_delay_alu instid0(VALU_DEP_1) | instskip(NEXT) | instid1(VALU_DEP_1)
	v_fma_f32 v192, v195, v193, -v196
	v_fmac_f32_e32 v192, v195, v183
	s_delay_alu instid0(VALU_DEP_1) | instskip(NEXT) | instid1(VALU_DEP_1)
	v_add_f32_e32 v197, v196, v192
	v_sub_f32_e32 v198, v194, v197
	v_sub_f32_e32 v182, v197, v196
	s_delay_alu instid0(VALU_DEP_2) | instskip(NEXT) | instid1(VALU_DEP_2)
	v_sub_f32_e32 v194, v194, v198
	v_sub_f32_e32 v182, v182, v192
	s_delay_alu instid0(VALU_DEP_2) | instskip(NEXT) | instid1(VALU_DEP_1)
	v_sub_f32_e32 v194, v194, v197
	v_add_f32_e32 v179, v179, v194
	s_delay_alu instid0(VALU_DEP_1) | instskip(NEXT) | instid1(VALU_DEP_1)
	v_add_f32_e32 v179, v182, v179
	v_add_f32_e32 v182, v198, v179
	s_delay_alu instid0(VALU_DEP_1) | instskip(NEXT) | instid1(VALU_DEP_1)
	v_mul_f32_e32 v192, v181, v182
	v_dual_sub_f32 v197, v198, v182 :: v_dual_mul_f32 v194, v193, v192
	s_delay_alu instid0(VALU_DEP_1) | instskip(NEXT) | instid1(VALU_DEP_2)
	v_add_f32_e32 v179, v179, v197
	v_fma_f32 v193, v192, v193, -v194
	s_delay_alu instid0(VALU_DEP_1) | instskip(NEXT) | instid1(VALU_DEP_1)
	v_fmac_f32_e32 v193, v192, v183
	v_add_f32_e32 v183, v194, v193
	s_delay_alu instid0(VALU_DEP_1) | instskip(SKIP_1) | instid1(VALU_DEP_2)
	v_sub_f32_e32 v196, v182, v183
	v_sub_f32_e32 v194, v183, v194
	;; [unrolled: 1-line block ×3, first 2 shown]
	s_delay_alu instid0(VALU_DEP_1) | instskip(NEXT) | instid1(VALU_DEP_3)
	v_sub_f32_e32 v182, v182, v183
	v_sub_f32_e32 v183, v194, v193
	s_delay_alu instid0(VALU_DEP_2) | instskip(SKIP_1) | instid1(VALU_DEP_2)
	v_add_f32_e32 v179, v179, v182
	v_add_f32_e32 v182, v195, v192
	;; [unrolled: 1-line block ×3, first 2 shown]
	s_delay_alu instid0(VALU_DEP_2) | instskip(NEXT) | instid1(VALU_DEP_2)
	v_sub_f32_e32 v183, v182, v195
	v_add_f32_e32 v179, v196, v179
	s_delay_alu instid0(VALU_DEP_2) | instskip(NEXT) | instid1(VALU_DEP_2)
	v_sub_f32_e32 v183, v192, v183
	v_mul_f32_e32 v179, v181, v179
	s_delay_alu instid0(VALU_DEP_1) | instskip(NEXT) | instid1(VALU_DEP_1)
	v_add_f32_e32 v179, v183, v179
	v_add_f32_e32 v181, v182, v179
	s_delay_alu instid0(VALU_DEP_1) | instskip(NEXT) | instid1(VALU_DEP_1)
	v_mul_f32_e32 v183, v181, v181
	v_fmaak_f32 v192, s26, v183, 0x3ecc95a3
	v_mul_f32_e32 v193, v181, v183
	s_delay_alu instid0(VALU_DEP_2) | instskip(SKIP_2) | instid1(VALU_DEP_3)
	v_fmaak_f32 v183, v183, v192, 0x3f2aaada
	v_ldexp_f32 v192, v181, 1
	v_sub_f32_e32 v181, v181, v182
	v_mul_f32_e32 v183, v193, v183
	v_mul_f32_e32 v193, 0x3f317218, v178
	s_delay_alu instid0(VALU_DEP_2) | instskip(NEXT) | instid1(VALU_DEP_1)
	v_dual_sub_f32 v179, v179, v181 :: v_dual_add_f32 v182, v192, v183
	v_ldexp_f32 v179, v179, 1
	s_delay_alu instid0(VALU_DEP_2) | instskip(NEXT) | instid1(VALU_DEP_4)
	v_sub_f32_e32 v181, v182, v192
	v_fma_f32 v192, 0x3f317218, v178, -v193
	s_delay_alu instid0(VALU_DEP_1) | instskip(NEXT) | instid1(VALU_DEP_1)
	v_dual_sub_f32 v181, v183, v181 :: v_dual_fmac_f32 v192, 0xb102e308, v178
	v_dual_add_f32 v178, v179, v181 :: v_dual_add_f32 v179, v193, v192
	s_delay_alu instid0(VALU_DEP_1) | instskip(NEXT) | instid1(VALU_DEP_2)
	v_add_f32_e32 v181, v182, v178
	v_sub_f32_e32 v193, v179, v193
	s_delay_alu instid0(VALU_DEP_2) | instskip(NEXT) | instid1(VALU_DEP_2)
	v_dual_add_f32 v183, v179, v181 :: v_dual_sub_f32 v182, v181, v182
	v_sub_f32_e32 v192, v192, v193
	s_delay_alu instid0(VALU_DEP_2) | instskip(NEXT) | instid1(VALU_DEP_3)
	v_sub_f32_e32 v194, v183, v179
	v_sub_f32_e32 v178, v178, v182
	s_delay_alu instid0(VALU_DEP_2) | instskip(SKIP_1) | instid1(VALU_DEP_2)
	v_sub_f32_e32 v195, v183, v194
	v_sub_f32_e32 v181, v181, v194
	v_dual_add_f32 v182, v192, v178 :: v_dual_sub_f32 v179, v179, v195
	s_delay_alu instid0(VALU_DEP_1) | instskip(NEXT) | instid1(VALU_DEP_2)
	v_add_f32_e32 v179, v181, v179
	v_sub_f32_e32 v181, v182, v192
	s_delay_alu instid0(VALU_DEP_2) | instskip(NEXT) | instid1(VALU_DEP_2)
	v_add_f32_e32 v179, v182, v179
	v_sub_f32_e32 v182, v182, v181
	s_delay_alu instid0(VALU_DEP_2) | instskip(NEXT) | instid1(VALU_DEP_1)
	v_dual_sub_f32 v178, v178, v181 :: v_dual_add_f32 v193, v183, v179
	v_dual_sub_f32 v182, v192, v182 :: v_dual_sub_f32 v181, v193, v183
	s_delay_alu instid0(VALU_DEP_1) | instskip(NEXT) | instid1(VALU_DEP_1)
	v_dual_add_f32 v178, v178, v182 :: v_dual_sub_f32 v179, v179, v181
	v_add_f32_e32 v178, v178, v179
	s_delay_alu instid0(VALU_DEP_1) | instskip(NEXT) | instid1(VALU_DEP_1)
	v_add_f32_e32 v178, v193, v178
	v_cndmask_b32_e32 v178, v178, v180, vcc_lo
	s_delay_alu instid0(VALU_DEP_1)
	v_add_f32_e32 v178, v23, v178
.LBB481_176:                            ;   in Loop: Header=BB481_154 Depth=1
	s_or_b32 exec_lo, exec_lo, vcc_hi
	s_delay_alu instid0(VALU_DEP_1) | instskip(SKIP_1) | instid1(VALU_DEP_2)
	v_bfe_u32 v23, v178, 16, 1
	v_cmp_o_f32_e32 vcc_lo, v178, v178
	v_add3_u32 v23, v178, v23, 0x7fff
	s_delay_alu instid0(VALU_DEP_1) | instskip(NEXT) | instid1(VALU_DEP_1)
	v_lshrrev_b32_e32 v23, 16, v23
	v_cndmask_b32_e32 v178, 0x7fc0, v23, vcc_lo
	s_delay_alu instid0(VALU_DEP_1)
	v_and_b32_e32 v23, 0xffff, v178
.LBB481_177:                            ;   in Loop: Header=BB481_154 Depth=1
	s_or_b32 exec_lo, exec_lo, s27
	s_waitcnt lgkmcnt(0)
	ds_bpermute_b32 v179, v167, v23
	s_mov_b32 s27, exec_lo
	v_cmpx_le_u32_e64 v177, v22
	s_cbranch_execz .LBB481_181
; %bb.178:                              ;   in Loop: Header=BB481_154 Depth=1
	v_lshlrev_b32_e32 v22, 16, v23
	s_waitcnt lgkmcnt(0)
	s_delay_alu instid0(VALU_DEP_1) | instskip(NEXT) | instid1(VALU_DEP_1)
	v_dual_max_f32 v178, v22, v22 :: v_dual_lshlrev_b32 v23, 16, v179
	v_max_f32_e32 v179, v23, v23
	v_cmp_u_f32_e32 vcc_lo, v23, v23
	s_delay_alu instid0(VALU_DEP_2) | instskip(NEXT) | instid1(VALU_DEP_1)
	v_min_f32_e32 v180, v179, v178
	v_dual_max_f32 v178, v179, v178 :: v_dual_cndmask_b32 v179, v180, v23
	s_delay_alu instid0(VALU_DEP_1) | instskip(SKIP_1) | instid1(VALU_DEP_3)
	v_cndmask_b32_e32 v180, v178, v23, vcc_lo
	v_cmp_u_f32_e32 vcc_lo, v22, v22
	v_cndmask_b32_e32 v178, v179, v22, vcc_lo
	s_delay_alu instid0(VALU_DEP_3) | instskip(NEXT) | instid1(VALU_DEP_1)
	v_cndmask_b32_e32 v22, v180, v22, vcc_lo
	v_cmp_neq_f32_e32 vcc_lo, v178, v22
	v_cmp_class_f32_e64 vcc_hi, v178, 0x1f8
	s_delay_alu instid0(VALU_DEP_1) | instskip(NEXT) | instid1(SALU_CYCLE_1)
	s_or_b32 vcc_lo, vcc_lo, vcc_hi
	s_and_saveexec_b32 vcc_hi, vcc_lo
	s_cbranch_execz .LBB481_180
; %bb.179:                              ;   in Loop: Header=BB481_154 Depth=1
	v_sub_f32_e32 v23, v178, v22
	s_delay_alu instid0(VALU_DEP_1) | instskip(SKIP_1) | instid1(VALU_DEP_2)
	v_mul_f32_e32 v178, 0x3fb8aa3b, v23
	v_cmp_ngt_f32_e32 vcc_lo, 0xc2ce8ed0, v23
	v_fma_f32 v179, 0x3fb8aa3b, v23, -v178
	v_rndne_f32_e32 v180, v178
	s_delay_alu instid0(VALU_DEP_1) | instskip(NEXT) | instid1(VALU_DEP_1)
	v_dual_fmac_f32 v179, 0x32a5705f, v23 :: v_dual_sub_f32 v178, v178, v180
	v_add_f32_e32 v178, v178, v179
	v_cvt_i32_f32_e32 v179, v180
	s_delay_alu instid0(VALU_DEP_2) | instskip(SKIP_2) | instid1(VALU_DEP_1)
	v_exp_f32_e32 v178, v178
	s_waitcnt_depctr 0xfff
	v_ldexp_f32 v178, v178, v179
	v_cndmask_b32_e32 v178, 0, v178, vcc_lo
	v_cmp_nlt_f32_e32 vcc_lo, 0x42b17218, v23
	s_delay_alu instid0(VALU_DEP_2) | instskip(NEXT) | instid1(VALU_DEP_1)
	v_cndmask_b32_e32 v23, 0x7f800000, v178, vcc_lo
	v_add_f32_e32 v180, 1.0, v23
	s_delay_alu instid0(VALU_DEP_1) | instskip(NEXT) | instid1(VALU_DEP_1)
	v_cvt_f64_f32_e32 v[178:179], v180
	v_frexp_exp_i32_f64_e32 v178, v[178:179]
	v_frexp_mant_f32_e32 v179, v180
	s_delay_alu instid0(VALU_DEP_1) | instskip(SKIP_1) | instid1(VALU_DEP_1)
	v_cmp_gt_f32_e32 vcc_lo, 0x3f2aaaab, v179
	v_add_f32_e32 v179, -1.0, v180
	v_sub_f32_e32 v182, v179, v180
	s_delay_alu instid0(VALU_DEP_1) | instskip(NEXT) | instid1(VALU_DEP_1)
	v_dual_sub_f32 v179, v23, v179 :: v_dual_add_f32 v182, 1.0, v182
	v_add_f32_e32 v179, v179, v182
	v_subrev_co_ci_u32_e32 v178, vcc_lo, 0, v178, vcc_lo
	s_delay_alu instid0(VALU_DEP_1) | instskip(SKIP_1) | instid1(VALU_DEP_2)
	v_sub_nc_u32_e32 v181, 0, v178
	v_cvt_f32_i32_e32 v178, v178
	v_ldexp_f32 v180, v180, v181
	v_ldexp_f32 v179, v179, v181
	s_delay_alu instid0(VALU_DEP_2) | instskip(NEXT) | instid1(VALU_DEP_1)
	v_add_f32_e32 v181, -1.0, v180
	v_dual_add_f32 v183, 1.0, v180 :: v_dual_add_f32 v192, 1.0, v181
	s_delay_alu instid0(VALU_DEP_1) | instskip(SKIP_2) | instid1(VALU_DEP_3)
	v_add_f32_e32 v182, -1.0, v183
	v_cmp_eq_f32_e32 vcc_lo, 0x7f800000, v23
	v_cmp_gt_f32_e64 s30, 0x33800000, |v23|
	v_sub_f32_e32 v182, v180, v182
	v_sub_f32_e32 v180, v180, v192
	s_delay_alu instid0(VALU_DEP_3) | instskip(NEXT) | instid1(VALU_DEP_2)
	s_or_b32 vcc_lo, vcc_lo, s30
	v_add_f32_e32 v182, v179, v182
	s_delay_alu instid0(VALU_DEP_2) | instskip(NEXT) | instid1(VALU_DEP_1)
	v_add_f32_e32 v179, v179, v180
	v_dual_add_f32 v193, v181, v179 :: v_dual_add_f32 v192, v183, v182
	s_delay_alu instid0(VALU_DEP_1) | instskip(NEXT) | instid1(VALU_DEP_2)
	v_sub_f32_e32 v181, v181, v193
	v_rcp_f32_e32 v180, v192
	v_sub_f32_e32 v183, v183, v192
	s_delay_alu instid0(VALU_DEP_1) | instskip(SKIP_2) | instid1(VALU_DEP_1)
	v_dual_add_f32 v179, v179, v181 :: v_dual_add_f32 v182, v182, v183
	s_waitcnt_depctr 0xfff
	v_mul_f32_e32 v194, v193, v180
	v_mul_f32_e32 v195, v192, v194
	s_delay_alu instid0(VALU_DEP_1) | instskip(NEXT) | instid1(VALU_DEP_1)
	v_fma_f32 v183, v194, v192, -v195
	v_fmac_f32_e32 v183, v194, v182
	s_delay_alu instid0(VALU_DEP_1) | instskip(NEXT) | instid1(VALU_DEP_1)
	v_add_f32_e32 v196, v195, v183
	v_sub_f32_e32 v197, v193, v196
	s_delay_alu instid0(VALU_DEP_1) | instskip(SKIP_1) | instid1(VALU_DEP_2)
	v_sub_f32_e32 v193, v193, v197
	v_sub_f32_e32 v181, v196, v195
	;; [unrolled: 1-line block ×3, first 2 shown]
	s_delay_alu instid0(VALU_DEP_2) | instskip(NEXT) | instid1(VALU_DEP_2)
	v_sub_f32_e32 v181, v181, v183
	v_add_f32_e32 v179, v179, v193
	s_delay_alu instid0(VALU_DEP_1) | instskip(NEXT) | instid1(VALU_DEP_1)
	v_add_f32_e32 v179, v181, v179
	v_add_f32_e32 v181, v197, v179
	s_delay_alu instid0(VALU_DEP_1) | instskip(NEXT) | instid1(VALU_DEP_1)
	v_mul_f32_e32 v183, v180, v181
	v_dual_sub_f32 v196, v197, v181 :: v_dual_mul_f32 v193, v192, v183
	s_delay_alu instid0(VALU_DEP_1) | instskip(NEXT) | instid1(VALU_DEP_2)
	v_add_f32_e32 v179, v179, v196
	v_fma_f32 v192, v183, v192, -v193
	s_delay_alu instid0(VALU_DEP_1) | instskip(NEXT) | instid1(VALU_DEP_1)
	v_fmac_f32_e32 v192, v183, v182
	v_add_f32_e32 v182, v193, v192
	s_delay_alu instid0(VALU_DEP_1) | instskip(SKIP_1) | instid1(VALU_DEP_2)
	v_sub_f32_e32 v195, v181, v182
	v_sub_f32_e32 v193, v182, v193
	;; [unrolled: 1-line block ×3, first 2 shown]
	s_delay_alu instid0(VALU_DEP_1) | instskip(NEXT) | instid1(VALU_DEP_1)
	v_sub_f32_e32 v181, v181, v182
	v_dual_sub_f32 v182, v193, v192 :: v_dual_add_f32 v179, v179, v181
	v_add_f32_e32 v181, v194, v183
	s_delay_alu instid0(VALU_DEP_1) | instskip(NEXT) | instid1(VALU_DEP_1)
	v_dual_add_f32 v179, v182, v179 :: v_dual_sub_f32 v182, v181, v194
	v_add_f32_e32 v179, v195, v179
	s_delay_alu instid0(VALU_DEP_1) | instskip(NEXT) | instid1(VALU_DEP_1)
	v_dual_sub_f32 v182, v183, v182 :: v_dual_mul_f32 v179, v180, v179
	v_add_f32_e32 v179, v182, v179
	s_delay_alu instid0(VALU_DEP_1) | instskip(NEXT) | instid1(VALU_DEP_1)
	v_add_f32_e32 v180, v181, v179
	v_mul_f32_e32 v182, v180, v180
	s_delay_alu instid0(VALU_DEP_1) | instskip(SKIP_1) | instid1(VALU_DEP_2)
	v_fmaak_f32 v183, s26, v182, 0x3ecc95a3
	v_mul_f32_e32 v192, v180, v182
	v_fmaak_f32 v182, v182, v183, 0x3f2aaada
	v_ldexp_f32 v183, v180, 1
	v_sub_f32_e32 v180, v180, v181
	s_delay_alu instid0(VALU_DEP_3) | instskip(NEXT) | instid1(VALU_DEP_2)
	v_mul_f32_e32 v182, v192, v182
	v_dual_mul_f32 v192, 0x3f317218, v178 :: v_dual_sub_f32 v179, v179, v180
	s_delay_alu instid0(VALU_DEP_2) | instskip(NEXT) | instid1(VALU_DEP_2)
	v_add_f32_e32 v181, v183, v182
	v_ldexp_f32 v179, v179, 1
	s_delay_alu instid0(VALU_DEP_2) | instskip(NEXT) | instid1(VALU_DEP_4)
	v_sub_f32_e32 v180, v181, v183
	v_fma_f32 v183, 0x3f317218, v178, -v192
	s_delay_alu instid0(VALU_DEP_1) | instskip(NEXT) | instid1(VALU_DEP_1)
	v_dual_sub_f32 v180, v182, v180 :: v_dual_fmac_f32 v183, 0xb102e308, v178
	v_add_f32_e32 v178, v179, v180
	s_delay_alu instid0(VALU_DEP_1) | instskip(NEXT) | instid1(VALU_DEP_1)
	v_add_f32_e32 v180, v181, v178
	v_sub_f32_e32 v181, v180, v181
	s_delay_alu instid0(VALU_DEP_1) | instskip(NEXT) | instid1(VALU_DEP_1)
	v_dual_sub_f32 v178, v178, v181 :: v_dual_add_f32 v179, v192, v183
	v_add_f32_e32 v182, v179, v180
	s_delay_alu instid0(VALU_DEP_1) | instskip(NEXT) | instid1(VALU_DEP_1)
	v_dual_sub_f32 v192, v179, v192 :: v_dual_sub_f32 v193, v182, v179
	v_dual_sub_f32 v183, v183, v192 :: v_dual_sub_f32 v194, v182, v193
	s_delay_alu instid0(VALU_DEP_1) | instskip(NEXT) | instid1(VALU_DEP_2)
	v_dual_sub_f32 v180, v180, v193 :: v_dual_add_f32 v181, v183, v178
	v_sub_f32_e32 v179, v179, v194
	s_delay_alu instid0(VALU_DEP_1) | instskip(NEXT) | instid1(VALU_DEP_3)
	v_add_f32_e32 v179, v180, v179
	v_sub_f32_e32 v180, v181, v183
	s_delay_alu instid0(VALU_DEP_2) | instskip(NEXT) | instid1(VALU_DEP_2)
	v_add_f32_e32 v179, v181, v179
	v_sub_f32_e32 v181, v181, v180
	v_sub_f32_e32 v178, v178, v180
	s_delay_alu instid0(VALU_DEP_2) | instskip(NEXT) | instid1(VALU_DEP_1)
	v_dual_add_f32 v192, v182, v179 :: v_dual_sub_f32 v181, v183, v181
	v_sub_f32_e32 v180, v192, v182
	s_delay_alu instid0(VALU_DEP_1) | instskip(NEXT) | instid1(VALU_DEP_1)
	v_dual_add_f32 v178, v178, v181 :: v_dual_sub_f32 v179, v179, v180
	v_add_f32_e32 v178, v178, v179
	s_delay_alu instid0(VALU_DEP_1) | instskip(NEXT) | instid1(VALU_DEP_1)
	v_add_f32_e32 v178, v192, v178
	v_cndmask_b32_e32 v23, v178, v23, vcc_lo
	s_delay_alu instid0(VALU_DEP_1)
	v_add_f32_e32 v23, v22, v23
.LBB481_180:                            ;   in Loop: Header=BB481_154 Depth=1
	s_or_b32 exec_lo, exec_lo, vcc_hi
	s_delay_alu instid0(VALU_DEP_1) | instskip(SKIP_1) | instid1(VALU_DEP_2)
	v_bfe_u32 v22, v23, 16, 1
	v_cmp_o_f32_e32 vcc_lo, v23, v23
	v_add3_u32 v22, v23, v22, 0x7fff
	s_delay_alu instid0(VALU_DEP_1) | instskip(NEXT) | instid1(VALU_DEP_1)
	v_lshrrev_b32_e32 v22, 16, v22
	v_cndmask_b32_e32 v178, 0x7fc0, v22, vcc_lo
.LBB481_181:                            ;   in Loop: Header=BB481_154 Depth=1
	s_or_b32 exec_lo, exec_lo, s27
	s_delay_alu instid0(VALU_DEP_1) | instskip(SKIP_1) | instid1(VALU_DEP_1)
	v_lshlrev_b32_e32 v23, 16, v178
	s_waitcnt lgkmcnt(0)
	v_dual_max_f32 v179, v23, v23 :: v_dual_lshlrev_b32 v22, 16, v176
	v_cmp_u_f32_e32 vcc_lo, v23, v23
	s_delay_alu instid0(VALU_DEP_2) | instskip(NEXT) | instid1(VALU_DEP_1)
	v_max_f32_e32 v178, v22, v22
	v_min_f32_e32 v180, v179, v178
	s_delay_alu instid0(VALU_DEP_1) | instskip(NEXT) | instid1(VALU_DEP_1)
	v_dual_max_f32 v178, v179, v178 :: v_dual_cndmask_b32 v179, v180, v23
	v_cndmask_b32_e32 v180, v178, v23, vcc_lo
	v_cmp_u_f32_e32 vcc_lo, v22, v22
	s_delay_alu instid0(VALU_DEP_3) | instskip(NEXT) | instid1(VALU_DEP_3)
	v_cndmask_b32_e32 v178, v179, v22, vcc_lo
	v_cndmask_b32_e32 v22, v180, v22, vcc_lo
	s_delay_alu instid0(VALU_DEP_2) | instskip(NEXT) | instid1(VALU_DEP_2)
	v_cmp_class_f32_e64 s27, v178, 0x1f8
	v_cmp_neq_f32_e32 vcc_lo, v178, v22
	s_delay_alu instid0(VALU_DEP_2) | instskip(NEXT) | instid1(SALU_CYCLE_1)
	s_or_b32 vcc_lo, vcc_lo, s27
	s_and_saveexec_b32 s27, vcc_lo
	s_cbranch_execz .LBB481_183
; %bb.182:                              ;   in Loop: Header=BB481_154 Depth=1
	v_sub_f32_e32 v23, v178, v22
	s_delay_alu instid0(VALU_DEP_1) | instskip(SKIP_1) | instid1(VALU_DEP_2)
	v_mul_f32_e32 v178, 0x3fb8aa3b, v23
	v_cmp_ngt_f32_e32 vcc_lo, 0xc2ce8ed0, v23
	v_fma_f32 v179, 0x3fb8aa3b, v23, -v178
	v_rndne_f32_e32 v180, v178
	s_delay_alu instid0(VALU_DEP_1) | instskip(NEXT) | instid1(VALU_DEP_1)
	v_dual_fmac_f32 v179, 0x32a5705f, v23 :: v_dual_sub_f32 v178, v178, v180
	v_add_f32_e32 v178, v178, v179
	v_cvt_i32_f32_e32 v179, v180
	s_delay_alu instid0(VALU_DEP_2) | instskip(SKIP_2) | instid1(VALU_DEP_1)
	v_exp_f32_e32 v178, v178
	s_waitcnt_depctr 0xfff
	v_ldexp_f32 v178, v178, v179
	v_cndmask_b32_e32 v178, 0, v178, vcc_lo
	v_cmp_nlt_f32_e32 vcc_lo, 0x42b17218, v23
	s_delay_alu instid0(VALU_DEP_2) | instskip(NEXT) | instid1(VALU_DEP_1)
	v_cndmask_b32_e32 v23, 0x7f800000, v178, vcc_lo
	v_add_f32_e32 v180, 1.0, v23
	s_delay_alu instid0(VALU_DEP_1) | instskip(NEXT) | instid1(VALU_DEP_1)
	v_cvt_f64_f32_e32 v[178:179], v180
	v_frexp_exp_i32_f64_e32 v178, v[178:179]
	v_frexp_mant_f32_e32 v179, v180
	s_delay_alu instid0(VALU_DEP_1) | instskip(SKIP_1) | instid1(VALU_DEP_1)
	v_cmp_gt_f32_e32 vcc_lo, 0x3f2aaaab, v179
	v_add_f32_e32 v179, -1.0, v180
	v_sub_f32_e32 v182, v179, v180
	s_delay_alu instid0(VALU_DEP_1) | instskip(NEXT) | instid1(VALU_DEP_1)
	v_dual_sub_f32 v179, v23, v179 :: v_dual_add_f32 v182, 1.0, v182
	v_add_f32_e32 v179, v179, v182
	v_subrev_co_ci_u32_e32 v178, vcc_lo, 0, v178, vcc_lo
	s_delay_alu instid0(VALU_DEP_1) | instskip(SKIP_1) | instid1(VALU_DEP_2)
	v_sub_nc_u32_e32 v181, 0, v178
	v_cvt_f32_i32_e32 v178, v178
	v_ldexp_f32 v180, v180, v181
	v_ldexp_f32 v179, v179, v181
	s_delay_alu instid0(VALU_DEP_2) | instskip(NEXT) | instid1(VALU_DEP_1)
	v_add_f32_e32 v181, -1.0, v180
	v_dual_add_f32 v183, 1.0, v180 :: v_dual_add_f32 v192, 1.0, v181
	s_delay_alu instid0(VALU_DEP_1) | instskip(SKIP_2) | instid1(VALU_DEP_3)
	v_add_f32_e32 v182, -1.0, v183
	v_cmp_eq_f32_e32 vcc_lo, 0x7f800000, v23
	v_cmp_gt_f32_e64 vcc_hi, 0x33800000, |v23|
	v_sub_f32_e32 v182, v180, v182
	v_sub_f32_e32 v180, v180, v192
	s_delay_alu instid0(VALU_DEP_3) | instskip(NEXT) | instid1(VALU_DEP_2)
	s_or_b32 vcc_lo, vcc_lo, vcc_hi
	v_add_f32_e32 v182, v179, v182
	s_delay_alu instid0(VALU_DEP_2) | instskip(NEXT) | instid1(VALU_DEP_1)
	v_add_f32_e32 v179, v179, v180
	v_dual_add_f32 v193, v181, v179 :: v_dual_add_f32 v192, v183, v182
	s_delay_alu instid0(VALU_DEP_1) | instskip(NEXT) | instid1(VALU_DEP_2)
	v_sub_f32_e32 v181, v181, v193
	v_rcp_f32_e32 v180, v192
	v_sub_f32_e32 v183, v183, v192
	s_delay_alu instid0(VALU_DEP_1) | instskip(SKIP_2) | instid1(VALU_DEP_1)
	v_dual_add_f32 v179, v179, v181 :: v_dual_add_f32 v182, v182, v183
	s_waitcnt_depctr 0xfff
	v_mul_f32_e32 v194, v193, v180
	v_mul_f32_e32 v195, v192, v194
	s_delay_alu instid0(VALU_DEP_1) | instskip(NEXT) | instid1(VALU_DEP_1)
	v_fma_f32 v183, v194, v192, -v195
	v_fmac_f32_e32 v183, v194, v182
	s_delay_alu instid0(VALU_DEP_1) | instskip(NEXT) | instid1(VALU_DEP_1)
	v_add_f32_e32 v196, v195, v183
	v_sub_f32_e32 v197, v193, v196
	s_delay_alu instid0(VALU_DEP_1) | instskip(SKIP_1) | instid1(VALU_DEP_2)
	v_sub_f32_e32 v193, v193, v197
	v_sub_f32_e32 v181, v196, v195
	;; [unrolled: 1-line block ×3, first 2 shown]
	s_delay_alu instid0(VALU_DEP_2) | instskip(NEXT) | instid1(VALU_DEP_2)
	v_sub_f32_e32 v181, v181, v183
	v_add_f32_e32 v179, v179, v193
	s_delay_alu instid0(VALU_DEP_1) | instskip(NEXT) | instid1(VALU_DEP_1)
	v_add_f32_e32 v179, v181, v179
	v_add_f32_e32 v181, v197, v179
	s_delay_alu instid0(VALU_DEP_1) | instskip(NEXT) | instid1(VALU_DEP_1)
	v_mul_f32_e32 v183, v180, v181
	v_dual_sub_f32 v196, v197, v181 :: v_dual_mul_f32 v193, v192, v183
	s_delay_alu instid0(VALU_DEP_1) | instskip(NEXT) | instid1(VALU_DEP_2)
	v_add_f32_e32 v179, v179, v196
	v_fma_f32 v192, v183, v192, -v193
	s_delay_alu instid0(VALU_DEP_1) | instskip(NEXT) | instid1(VALU_DEP_1)
	v_fmac_f32_e32 v192, v183, v182
	v_add_f32_e32 v182, v193, v192
	s_delay_alu instid0(VALU_DEP_1) | instskip(SKIP_1) | instid1(VALU_DEP_2)
	v_sub_f32_e32 v195, v181, v182
	v_sub_f32_e32 v193, v182, v193
	;; [unrolled: 1-line block ×3, first 2 shown]
	s_delay_alu instid0(VALU_DEP_1) | instskip(NEXT) | instid1(VALU_DEP_1)
	v_sub_f32_e32 v181, v181, v182
	v_dual_sub_f32 v182, v193, v192 :: v_dual_add_f32 v179, v179, v181
	v_add_f32_e32 v181, v194, v183
	s_delay_alu instid0(VALU_DEP_1) | instskip(NEXT) | instid1(VALU_DEP_1)
	v_dual_add_f32 v179, v182, v179 :: v_dual_sub_f32 v182, v181, v194
	v_add_f32_e32 v179, v195, v179
	s_delay_alu instid0(VALU_DEP_1) | instskip(NEXT) | instid1(VALU_DEP_1)
	v_dual_sub_f32 v182, v183, v182 :: v_dual_mul_f32 v179, v180, v179
	v_add_f32_e32 v179, v182, v179
	s_delay_alu instid0(VALU_DEP_1) | instskip(NEXT) | instid1(VALU_DEP_1)
	v_add_f32_e32 v180, v181, v179
	v_mul_f32_e32 v182, v180, v180
	s_delay_alu instid0(VALU_DEP_1) | instskip(SKIP_1) | instid1(VALU_DEP_2)
	v_fmaak_f32 v183, s26, v182, 0x3ecc95a3
	v_mul_f32_e32 v192, v180, v182
	v_fmaak_f32 v182, v182, v183, 0x3f2aaada
	v_ldexp_f32 v183, v180, 1
	v_sub_f32_e32 v180, v180, v181
	s_delay_alu instid0(VALU_DEP_3) | instskip(NEXT) | instid1(VALU_DEP_2)
	v_mul_f32_e32 v182, v192, v182
	v_dual_mul_f32 v192, 0x3f317218, v178 :: v_dual_sub_f32 v179, v179, v180
	s_delay_alu instid0(VALU_DEP_2) | instskip(NEXT) | instid1(VALU_DEP_2)
	v_add_f32_e32 v181, v183, v182
	v_ldexp_f32 v179, v179, 1
	s_delay_alu instid0(VALU_DEP_2) | instskip(NEXT) | instid1(VALU_DEP_4)
	v_sub_f32_e32 v180, v181, v183
	v_fma_f32 v183, 0x3f317218, v178, -v192
	s_delay_alu instid0(VALU_DEP_1) | instskip(NEXT) | instid1(VALU_DEP_1)
	v_dual_sub_f32 v180, v182, v180 :: v_dual_fmac_f32 v183, 0xb102e308, v178
	v_add_f32_e32 v178, v179, v180
	s_delay_alu instid0(VALU_DEP_1) | instskip(NEXT) | instid1(VALU_DEP_1)
	v_add_f32_e32 v180, v181, v178
	v_sub_f32_e32 v181, v180, v181
	s_delay_alu instid0(VALU_DEP_1) | instskip(NEXT) | instid1(VALU_DEP_1)
	v_dual_sub_f32 v178, v178, v181 :: v_dual_add_f32 v179, v192, v183
	v_add_f32_e32 v182, v179, v180
	s_delay_alu instid0(VALU_DEP_1) | instskip(NEXT) | instid1(VALU_DEP_1)
	v_dual_sub_f32 v192, v179, v192 :: v_dual_sub_f32 v193, v182, v179
	v_dual_sub_f32 v183, v183, v192 :: v_dual_sub_f32 v194, v182, v193
	s_delay_alu instid0(VALU_DEP_1) | instskip(NEXT) | instid1(VALU_DEP_2)
	v_dual_sub_f32 v180, v180, v193 :: v_dual_add_f32 v181, v183, v178
	v_sub_f32_e32 v179, v179, v194
	s_delay_alu instid0(VALU_DEP_1) | instskip(NEXT) | instid1(VALU_DEP_3)
	v_add_f32_e32 v179, v180, v179
	v_sub_f32_e32 v180, v181, v183
	s_delay_alu instid0(VALU_DEP_2) | instskip(NEXT) | instid1(VALU_DEP_2)
	v_add_f32_e32 v179, v181, v179
	v_sub_f32_e32 v181, v181, v180
	v_sub_f32_e32 v178, v178, v180
	s_delay_alu instid0(VALU_DEP_2) | instskip(NEXT) | instid1(VALU_DEP_1)
	v_dual_add_f32 v192, v182, v179 :: v_dual_sub_f32 v181, v183, v181
	v_sub_f32_e32 v180, v192, v182
	s_delay_alu instid0(VALU_DEP_1) | instskip(NEXT) | instid1(VALU_DEP_1)
	v_dual_add_f32 v178, v178, v181 :: v_dual_sub_f32 v179, v179, v180
	v_add_f32_e32 v178, v178, v179
	s_delay_alu instid0(VALU_DEP_1) | instskip(NEXT) | instid1(VALU_DEP_1)
	v_add_f32_e32 v178, v192, v178
	v_cndmask_b32_e32 v23, v178, v23, vcc_lo
	s_delay_alu instid0(VALU_DEP_1)
	v_add_f32_e32 v23, v22, v23
.LBB481_183:                            ;   in Loop: Header=BB481_154 Depth=1
	s_or_b32 exec_lo, exec_lo, s27
	s_delay_alu instid0(VALU_DEP_1) | instskip(SKIP_2) | instid1(VALU_DEP_3)
	v_bfe_u32 v22, v23, 16, 1
	v_cmp_o_f32_e32 vcc_lo, v23, v23
	v_subrev_nc_u32_e32 v16, 32, v16
	v_add3_u32 v22, v23, v22, 0x7fff
	s_delay_alu instid0(VALU_DEP_1) | instskip(NEXT) | instid1(VALU_DEP_1)
	v_lshrrev_b32_e32 v22, 16, v22
	v_cndmask_b32_e32 v178, 0x7fc0, v22, vcc_lo
	s_branch .LBB481_154
.LBB481_184:
	s_and_saveexec_b32 s26, s25
	s_cbranch_execz .LBB481_188
; %bb.185:
	v_lshlrev_b32_e32 v17, 16, v176
	s_waitcnt lgkmcnt(0)
	s_delay_alu instid0(VALU_DEP_1) | instskip(NEXT) | instid1(VALU_DEP_1)
	v_dual_max_f32 v23, v17, v17 :: v_dual_lshlrev_b32 v16, 16, v148
	v_max_f32_e32 v22, v16, v16
	s_delay_alu instid0(VALU_DEP_1) | instskip(SKIP_1) | instid1(VALU_DEP_2)
	v_min_f32_e32 v148, v23, v22
	v_cmp_u_f32_e32 vcc_lo, v17, v17
	v_dual_max_f32 v22, v23, v22 :: v_dual_cndmask_b32 v23, v148, v17
	s_delay_alu instid0(VALU_DEP_1) | instskip(SKIP_1) | instid1(VALU_DEP_3)
	v_cndmask_b32_e32 v148, v22, v17, vcc_lo
	v_cmp_u_f32_e32 vcc_lo, v16, v16
	v_cndmask_b32_e32 v22, v23, v16, vcc_lo
	s_delay_alu instid0(VALU_DEP_3) | instskip(NEXT) | instid1(VALU_DEP_2)
	v_cndmask_b32_e32 v16, v148, v16, vcc_lo
	v_cmp_class_f32_e64 s25, v22, 0x1f8
	s_delay_alu instid0(VALU_DEP_2) | instskip(NEXT) | instid1(VALU_DEP_2)
	v_cmp_neq_f32_e32 vcc_lo, v22, v16
	s_or_b32 s27, vcc_lo, s25
	s_delay_alu instid0(SALU_CYCLE_1)
	s_and_saveexec_b32 s25, s27
	s_cbranch_execz .LBB481_187
; %bb.186:
	v_sub_f32_e32 v17, v22, v16
	s_mov_b32 s27, 0x3e9b6dac
	s_delay_alu instid0(VALU_DEP_1) | instskip(SKIP_1) | instid1(VALU_DEP_2)
	v_mul_f32_e32 v22, 0x3fb8aa3b, v17
	v_cmp_ngt_f32_e32 vcc_lo, 0xc2ce8ed0, v17
	v_fma_f32 v23, 0x3fb8aa3b, v17, -v22
	v_rndne_f32_e32 v148, v22
	s_delay_alu instid0(VALU_DEP_1) | instskip(NEXT) | instid1(VALU_DEP_1)
	v_dual_fmamk_f32 v23, v17, 0x32a5705f, v23 :: v_dual_sub_f32 v22, v22, v148
	v_add_f32_e32 v22, v22, v23
	v_cvt_i32_f32_e32 v23, v148
	s_delay_alu instid0(VALU_DEP_2) | instskip(SKIP_2) | instid1(VALU_DEP_1)
	v_exp_f32_e32 v22, v22
	s_waitcnt_depctr 0xfff
	v_ldexp_f32 v22, v22, v23
	v_cndmask_b32_e32 v22, 0, v22, vcc_lo
	v_cmp_nlt_f32_e32 vcc_lo, 0x42b17218, v17
	s_delay_alu instid0(VALU_DEP_2) | instskip(NEXT) | instid1(VALU_DEP_1)
	v_cndmask_b32_e32 v17, 0x7f800000, v22, vcc_lo
	v_add_f32_e32 v148, 1.0, v17
	s_delay_alu instid0(VALU_DEP_1) | instskip(NEXT) | instid1(VALU_DEP_1)
	v_cvt_f64_f32_e32 v[22:23], v148
	v_frexp_exp_i32_f64_e32 v22, v[22:23]
	v_frexp_mant_f32_e32 v23, v148
	s_delay_alu instid0(VALU_DEP_1) | instskip(SKIP_1) | instid1(VALU_DEP_1)
	v_cmp_gt_f32_e32 vcc_lo, 0x3f2aaaab, v23
	v_add_f32_e32 v23, -1.0, v148
	v_dual_sub_f32 v150, v23, v148 :: v_dual_sub_f32 v23, v17, v23
	v_subrev_co_ci_u32_e32 v22, vcc_lo, 0, v22, vcc_lo
	v_cmp_eq_f32_e32 vcc_lo, 0x7f800000, v17
	s_delay_alu instid0(VALU_DEP_2) | instskip(SKIP_1) | instid1(VALU_DEP_2)
	v_sub_nc_u32_e32 v149, 0, v22
	v_cvt_f32_i32_e32 v22, v22
	v_ldexp_f32 v148, v148, v149
	s_delay_alu instid0(VALU_DEP_1) | instskip(NEXT) | instid1(VALU_DEP_1)
	v_dual_add_f32 v150, 1.0, v150 :: v_dual_add_f32 v151, 1.0, v148
	v_dual_add_f32 v23, v23, v150 :: v_dual_add_f32 v150, -1.0, v151
	s_delay_alu instid0(VALU_DEP_1) | instskip(NEXT) | instid1(VALU_DEP_2)
	v_ldexp_f32 v23, v23, v149
	v_dual_add_f32 v149, -1.0, v148 :: v_dual_sub_f32 v150, v148, v150
	s_delay_alu instid0(VALU_DEP_1) | instskip(NEXT) | instid1(VALU_DEP_2)
	v_add_f32_e32 v160, 1.0, v149
	v_add_f32_e32 v150, v23, v150
	s_delay_alu instid0(VALU_DEP_2) | instskip(NEXT) | instid1(VALU_DEP_1)
	v_sub_f32_e32 v148, v148, v160
	v_add_f32_e32 v23, v23, v148
	s_delay_alu instid0(VALU_DEP_1) | instskip(NEXT) | instid1(VALU_DEP_1)
	v_dual_add_f32 v161, v149, v23 :: v_dual_add_f32 v160, v151, v150
	v_sub_f32_e32 v149, v149, v161
	s_delay_alu instid0(VALU_DEP_2) | instskip(SKIP_1) | instid1(VALU_DEP_1)
	v_rcp_f32_e32 v148, v160
	v_sub_f32_e32 v151, v151, v160
	v_dual_add_f32 v23, v23, v149 :: v_dual_add_f32 v150, v150, v151
	s_waitcnt_depctr 0xfff
	v_mul_f32_e32 v162, v161, v148
	s_delay_alu instid0(VALU_DEP_1) | instskip(NEXT) | instid1(VALU_DEP_1)
	v_mul_f32_e32 v163, v160, v162
	v_fma_f32 v151, v162, v160, -v163
	s_delay_alu instid0(VALU_DEP_1) | instskip(NEXT) | instid1(VALU_DEP_1)
	v_fmac_f32_e32 v151, v162, v150
	v_add_f32_e32 v164, v163, v151
	s_delay_alu instid0(VALU_DEP_1) | instskip(NEXT) | instid1(VALU_DEP_1)
	v_sub_f32_e32 v165, v161, v164
	v_sub_f32_e32 v161, v161, v165
	;; [unrolled: 1-line block ×3, first 2 shown]
	s_delay_alu instid0(VALU_DEP_2) | instskip(NEXT) | instid1(VALU_DEP_2)
	v_sub_f32_e32 v161, v161, v164
	v_sub_f32_e32 v149, v149, v151
	s_delay_alu instid0(VALU_DEP_2) | instskip(NEXT) | instid1(VALU_DEP_1)
	v_add_f32_e32 v23, v23, v161
	v_add_f32_e32 v23, v149, v23
	s_delay_alu instid0(VALU_DEP_1) | instskip(NEXT) | instid1(VALU_DEP_1)
	v_add_f32_e32 v149, v165, v23
	v_mul_f32_e32 v151, v148, v149
	s_delay_alu instid0(VALU_DEP_1) | instskip(NEXT) | instid1(VALU_DEP_1)
	v_dual_sub_f32 v164, v165, v149 :: v_dual_mul_f32 v161, v160, v151
	v_add_f32_e32 v23, v23, v164
	s_delay_alu instid0(VALU_DEP_2) | instskip(NEXT) | instid1(VALU_DEP_1)
	v_fma_f32 v160, v151, v160, -v161
	v_fmac_f32_e32 v160, v151, v150
	s_delay_alu instid0(VALU_DEP_1) | instskip(NEXT) | instid1(VALU_DEP_1)
	v_add_f32_e32 v150, v161, v160
	v_sub_f32_e32 v163, v149, v150
	v_sub_f32_e32 v161, v150, v161
	s_delay_alu instid0(VALU_DEP_2) | instskip(NEXT) | instid1(VALU_DEP_1)
	v_sub_f32_e32 v149, v149, v163
	v_sub_f32_e32 v149, v149, v150
	s_delay_alu instid0(VALU_DEP_1) | instskip(SKIP_1) | instid1(VALU_DEP_1)
	v_dual_sub_f32 v150, v161, v160 :: v_dual_add_f32 v23, v23, v149
	v_add_f32_e32 v149, v162, v151
	v_dual_add_f32 v23, v150, v23 :: v_dual_sub_f32 v150, v149, v162
	s_delay_alu instid0(VALU_DEP_1) | instskip(NEXT) | instid1(VALU_DEP_1)
	v_add_f32_e32 v23, v163, v23
	v_dual_sub_f32 v150, v151, v150 :: v_dual_mul_f32 v23, v148, v23
	s_delay_alu instid0(VALU_DEP_1) | instskip(NEXT) | instid1(VALU_DEP_1)
	v_add_f32_e32 v23, v150, v23
	v_add_f32_e32 v148, v149, v23
	s_delay_alu instid0(VALU_DEP_1) | instskip(NEXT) | instid1(VALU_DEP_1)
	v_mul_f32_e32 v150, v148, v148
	v_fmaak_f32 v151, s27, v150, 0x3ecc95a3
	v_mul_f32_e32 v160, v148, v150
	v_cmp_gt_f32_e64 s27, 0x33800000, |v17|
	s_delay_alu instid0(VALU_DEP_3) | instskip(SKIP_2) | instid1(VALU_DEP_4)
	v_fmaak_f32 v150, v150, v151, 0x3f2aaada
	v_ldexp_f32 v151, v148, 1
	v_sub_f32_e32 v148, v148, v149
	s_or_b32 vcc_lo, vcc_lo, s27
	s_delay_alu instid0(VALU_DEP_3) | instskip(NEXT) | instid1(VALU_DEP_2)
	v_mul_f32_e32 v150, v160, v150
	v_dual_mul_f32 v160, 0x3f317218, v22 :: v_dual_sub_f32 v23, v23, v148
	s_delay_alu instid0(VALU_DEP_2) | instskip(NEXT) | instid1(VALU_DEP_2)
	v_add_f32_e32 v149, v151, v150
	v_ldexp_f32 v23, v23, 1
	s_delay_alu instid0(VALU_DEP_2) | instskip(NEXT) | instid1(VALU_DEP_4)
	v_sub_f32_e32 v148, v149, v151
	v_fma_f32 v151, 0x3f317218, v22, -v160
	s_delay_alu instid0(VALU_DEP_2) | instskip(NEXT) | instid1(VALU_DEP_1)
	v_sub_f32_e32 v148, v150, v148
	v_dual_fmamk_f32 v22, v22, 0xb102e308, v151 :: v_dual_add_f32 v23, v23, v148
	s_delay_alu instid0(VALU_DEP_1) | instskip(NEXT) | instid1(VALU_DEP_1)
	v_add_f32_e32 v148, v160, v22
	v_sub_f32_e32 v160, v148, v160
	s_delay_alu instid0(VALU_DEP_1) | instskip(NEXT) | instid1(VALU_DEP_4)
	v_sub_f32_e32 v22, v22, v160
	v_add_f32_e32 v150, v149, v23
	s_delay_alu instid0(VALU_DEP_1) | instskip(NEXT) | instid1(VALU_DEP_1)
	v_sub_f32_e32 v149, v150, v149
	v_sub_f32_e32 v23, v23, v149
	v_add_f32_e32 v151, v148, v150
	s_delay_alu instid0(VALU_DEP_1) | instskip(NEXT) | instid1(VALU_DEP_1)
	v_sub_f32_e32 v161, v151, v148
	v_sub_f32_e32 v149, v150, v161
	s_delay_alu instid0(VALU_DEP_4) | instskip(SKIP_1) | instid1(VALU_DEP_1)
	v_add_f32_e32 v150, v22, v23
	v_sub_f32_e32 v162, v151, v161
	v_sub_f32_e32 v148, v148, v162
	s_delay_alu instid0(VALU_DEP_1) | instskip(NEXT) | instid1(VALU_DEP_1)
	v_dual_add_f32 v148, v149, v148 :: v_dual_sub_f32 v149, v150, v22
	v_dual_add_f32 v148, v150, v148 :: v_dual_sub_f32 v23, v23, v149
	v_sub_f32_e32 v150, v150, v149
	s_delay_alu instid0(VALU_DEP_2) | instskip(NEXT) | instid1(VALU_DEP_1)
	v_add_f32_e32 v160, v151, v148
	v_dual_sub_f32 v22, v22, v150 :: v_dual_sub_f32 v149, v160, v151
	s_delay_alu instid0(VALU_DEP_1) | instskip(NEXT) | instid1(VALU_DEP_1)
	v_dual_add_f32 v22, v23, v22 :: v_dual_sub_f32 v23, v148, v149
	v_add_f32_e32 v22, v22, v23
	s_delay_alu instid0(VALU_DEP_1) | instskip(NEXT) | instid1(VALU_DEP_1)
	v_add_f32_e32 v22, v160, v22
	v_cndmask_b32_e32 v17, v22, v17, vcc_lo
	s_delay_alu instid0(VALU_DEP_1)
	v_add_f32_e32 v17, v16, v17
.LBB481_187:
	s_or_b32 exec_lo, exec_lo, s25
	s_delay_alu instid0(VALU_DEP_1) | instskip(SKIP_2) | instid1(SALU_CYCLE_1)
	v_bfe_u32 v16, v17, 16, 1
	s_add_i32 vcc_lo, s28, 32
	s_mov_b32 vcc_hi, 0
	s_lshl_b64 vcc, vcc, 2
	s_delay_alu instid0(VALU_DEP_1) | instskip(SKIP_2) | instid1(VALU_DEP_3)
	v_add3_u32 v16, v17, v16, 0x7fff
	v_add_co_u32 v22, vcc_lo, v18, vcc_lo
	v_add_co_ci_u32_e32 v23, vcc_lo, vcc_hi, v19, vcc_lo
	v_lshrrev_b32_e32 v16, 16, v16
	v_cmp_o_f32_e32 vcc_lo, v17, v17
	s_delay_alu instid0(VALU_DEP_2) | instskip(NEXT) | instid1(VALU_DEP_1)
	v_or_b32_e32 v16, 0x20000, v16
	v_cndmask_b32_e32 v16, 0x27fc0, v16, vcc_lo
	flat_store_b32 v[22:23], v16
.LBB481_188:
	s_or_b32 exec_lo, exec_lo, s26
	s_delay_alu instid0(SALU_CYCLE_1)
	s_and_b32 exec_lo, exec_lo, s2
	s_cbranch_execz .LBB481_190
; %bb.189:
	v_mov_b32_e32 v16, 0
	ds_store_b16 v16, v176
.LBB481_190:
	s_or_b32 exec_lo, exec_lo, s29
	v_mov_b32_e32 v16, 0
	s_waitcnt lgkmcnt(0)
	s_waitcnt_vscnt null, 0x0
	s_barrier
	buffer_gl0_inv
	ds_load_u16 v16, v16
	s_and_saveexec_b32 s25, s1
	s_cbranch_execz .LBB481_194
; %bb.191:
	v_lshlrev_b32_e32 v22, 16, v147
	s_delay_alu instid0(VALU_DEP_1) | instskip(NEXT) | instid1(VALU_DEP_1)
	v_max_f32_e32 v17, v22, v22
	v_min_f32_e32 v23, v17, v146
	v_max_f32_e32 v17, v17, v146
	v_cmp_u_f32_e32 vcc_lo, v22, v22
	s_delay_alu instid0(VALU_DEP_3) | instskip(NEXT) | instid1(VALU_DEP_3)
	v_cndmask_b32_e32 v23, v23, v22, vcc_lo
	v_cndmask_b32_e32 v17, v17, v22, vcc_lo
	s_delay_alu instid0(VALU_DEP_2) | instskip(NEXT) | instid1(VALU_DEP_2)
	v_cndmask_b32_e64 v23, v23, v145, s24
	v_cndmask_b32_e64 v17, v17, v145, s24
	s_delay_alu instid0(VALU_DEP_2) | instskip(NEXT) | instid1(VALU_DEP_2)
	v_cmp_class_f32_e64 s24, v23, 0x1f8
	v_cmp_neq_f32_e32 vcc_lo, v23, v17
	s_delay_alu instid0(VALU_DEP_2) | instskip(NEXT) | instid1(SALU_CYCLE_1)
	s_or_b32 s26, vcc_lo, s24
	s_and_saveexec_b32 s24, s26
	s_cbranch_execz .LBB481_193
; %bb.192:
	v_sub_f32_e32 v22, v23, v17
	s_mov_b32 s26, 0x3e9b6dac
	s_delay_alu instid0(VALU_DEP_1) | instskip(SKIP_1) | instid1(VALU_DEP_2)
	v_mul_f32_e32 v23, 0x3fb8aa3b, v22
	v_cmp_ngt_f32_e32 vcc_lo, 0xc2ce8ed0, v22
	v_fma_f32 v145, 0x3fb8aa3b, v22, -v23
	v_rndne_f32_e32 v146, v23
	s_delay_alu instid0(VALU_DEP_2) | instskip(NEXT) | instid1(VALU_DEP_2)
	v_fmamk_f32 v145, v22, 0x32a5705f, v145
	v_sub_f32_e32 v23, v23, v146
	s_delay_alu instid0(VALU_DEP_1) | instskip(SKIP_1) | instid1(VALU_DEP_2)
	v_add_f32_e32 v23, v23, v145
	v_cvt_i32_f32_e32 v145, v146
	v_exp_f32_e32 v23, v23
	s_waitcnt_depctr 0xfff
	v_ldexp_f32 v23, v23, v145
	s_delay_alu instid0(VALU_DEP_1) | instskip(SKIP_1) | instid1(VALU_DEP_2)
	v_cndmask_b32_e32 v23, 0, v23, vcc_lo
	v_cmp_nlt_f32_e32 vcc_lo, 0x42b17218, v22
	v_cndmask_b32_e32 v145, 0x7f800000, v23, vcc_lo
	s_delay_alu instid0(VALU_DEP_1) | instskip(NEXT) | instid1(VALU_DEP_1)
	v_add_f32_e32 v146, 1.0, v145
	v_cvt_f64_f32_e32 v[22:23], v146
	s_delay_alu instid0(VALU_DEP_1) | instskip(SKIP_1) | instid1(VALU_DEP_1)
	v_frexp_exp_i32_f64_e32 v22, v[22:23]
	v_frexp_mant_f32_e32 v23, v146
	v_cmp_gt_f32_e32 vcc_lo, 0x3f2aaaab, v23
	v_add_f32_e32 v23, -1.0, v146
	s_delay_alu instid0(VALU_DEP_1) | instskip(NEXT) | instid1(VALU_DEP_1)
	v_sub_f32_e32 v148, v23, v146
	v_add_f32_e32 v148, 1.0, v148
	v_subrev_co_ci_u32_e32 v22, vcc_lo, 0, v22, vcc_lo
	s_delay_alu instid0(VALU_DEP_1) | instskip(SKIP_1) | instid1(VALU_DEP_2)
	v_sub_nc_u32_e32 v147, 0, v22
	v_cvt_f32_i32_e32 v22, v22
	v_ldexp_f32 v146, v146, v147
	v_sub_f32_e32 v23, v145, v23
	s_delay_alu instid0(VALU_DEP_1) | instskip(NEXT) | instid1(VALU_DEP_1)
	v_add_f32_e32 v23, v23, v148
	v_ldexp_f32 v23, v23, v147
	s_delay_alu instid0(VALU_DEP_4) | instskip(NEXT) | instid1(VALU_DEP_1)
	v_add_f32_e32 v149, 1.0, v146
	v_add_f32_e32 v148, -1.0, v149
	v_cmp_eq_f32_e32 vcc_lo, 0x7f800000, v145
	s_delay_alu instid0(VALU_DEP_2) | instskip(NEXT) | instid1(VALU_DEP_1)
	v_sub_f32_e32 v148, v146, v148
	v_dual_add_f32 v148, v23, v148 :: v_dual_add_f32 v147, -1.0, v146
	s_delay_alu instid0(VALU_DEP_1) | instskip(NEXT) | instid1(VALU_DEP_1)
	v_add_f32_e32 v150, 1.0, v147
	v_sub_f32_e32 v146, v146, v150
	s_delay_alu instid0(VALU_DEP_1) | instskip(NEXT) | instid1(VALU_DEP_1)
	v_dual_add_f32 v150, v149, v148 :: v_dual_add_f32 v23, v23, v146
	v_rcp_f32_e32 v146, v150
	v_sub_f32_e32 v149, v149, v150
	s_delay_alu instid0(VALU_DEP_1) | instskip(SKIP_3) | instid1(VALU_DEP_2)
	v_dual_add_f32 v148, v148, v149 :: v_dual_add_f32 v151, v147, v23
	s_waitcnt_depctr 0xfff
	v_mul_f32_e32 v160, v151, v146
	v_sub_f32_e32 v147, v147, v151
	v_mul_f32_e32 v161, v150, v160
	s_delay_alu instid0(VALU_DEP_1) | instskip(NEXT) | instid1(VALU_DEP_1)
	v_fma_f32 v149, v160, v150, -v161
	v_fmac_f32_e32 v149, v160, v148
	s_delay_alu instid0(VALU_DEP_1) | instskip(NEXT) | instid1(VALU_DEP_1)
	v_dual_add_f32 v162, v161, v149 :: v_dual_add_f32 v23, v23, v147
	v_sub_f32_e32 v163, v151, v162
	v_sub_f32_e32 v147, v162, v161
	s_delay_alu instid0(VALU_DEP_2) | instskip(NEXT) | instid1(VALU_DEP_2)
	v_sub_f32_e32 v151, v151, v163
	v_sub_f32_e32 v147, v147, v149
	s_delay_alu instid0(VALU_DEP_2) | instskip(NEXT) | instid1(VALU_DEP_1)
	v_sub_f32_e32 v151, v151, v162
	v_add_f32_e32 v23, v23, v151
	s_delay_alu instid0(VALU_DEP_1) | instskip(NEXT) | instid1(VALU_DEP_1)
	v_add_f32_e32 v23, v147, v23
	v_add_f32_e32 v147, v163, v23
	s_delay_alu instid0(VALU_DEP_1) | instskip(NEXT) | instid1(VALU_DEP_1)
	v_mul_f32_e32 v149, v146, v147
	v_dual_sub_f32 v162, v163, v147 :: v_dual_mul_f32 v151, v150, v149
	s_delay_alu instid0(VALU_DEP_1) | instskip(NEXT) | instid1(VALU_DEP_2)
	v_add_f32_e32 v23, v23, v162
	v_fma_f32 v150, v149, v150, -v151
	s_delay_alu instid0(VALU_DEP_1) | instskip(NEXT) | instid1(VALU_DEP_1)
	v_fmac_f32_e32 v150, v149, v148
	v_add_f32_e32 v148, v151, v150
	s_delay_alu instid0(VALU_DEP_1) | instskip(SKIP_1) | instid1(VALU_DEP_2)
	v_sub_f32_e32 v161, v147, v148
	v_sub_f32_e32 v151, v148, v151
	;; [unrolled: 1-line block ×3, first 2 shown]
	s_delay_alu instid0(VALU_DEP_1) | instskip(NEXT) | instid1(VALU_DEP_3)
	v_sub_f32_e32 v147, v147, v148
	v_sub_f32_e32 v148, v151, v150
	s_delay_alu instid0(VALU_DEP_2) | instskip(SKIP_1) | instid1(VALU_DEP_1)
	v_add_f32_e32 v23, v23, v147
	v_add_f32_e32 v147, v160, v149
	v_dual_add_f32 v23, v148, v23 :: v_dual_sub_f32 v148, v147, v160
	s_delay_alu instid0(VALU_DEP_1) | instskip(NEXT) | instid1(VALU_DEP_1)
	v_add_f32_e32 v23, v161, v23
	v_dual_sub_f32 v148, v149, v148 :: v_dual_mul_f32 v23, v146, v23
	s_delay_alu instid0(VALU_DEP_1) | instskip(NEXT) | instid1(VALU_DEP_1)
	v_add_f32_e32 v23, v148, v23
	v_add_f32_e32 v146, v147, v23
	s_delay_alu instid0(VALU_DEP_1) | instskip(NEXT) | instid1(VALU_DEP_1)
	v_mul_f32_e32 v148, v146, v146
	v_fmaak_f32 v149, s26, v148, 0x3ecc95a3
	v_mul_f32_e32 v150, v146, v148
	v_cmp_gt_f32_e64 s26, 0x33800000, |v145|
	s_delay_alu instid0(VALU_DEP_3) | instskip(SKIP_2) | instid1(VALU_DEP_4)
	v_fmaak_f32 v148, v148, v149, 0x3f2aaada
	v_ldexp_f32 v149, v146, 1
	v_sub_f32_e32 v146, v146, v147
	s_or_b32 vcc_lo, vcc_lo, s26
	s_delay_alu instid0(VALU_DEP_3) | instskip(SKIP_1) | instid1(VALU_DEP_3)
	v_mul_f32_e32 v148, v150, v148
	v_mul_f32_e32 v150, 0x3f317218, v22
	v_sub_f32_e32 v23, v23, v146
	s_delay_alu instid0(VALU_DEP_3) | instskip(NEXT) | instid1(VALU_DEP_2)
	v_add_f32_e32 v147, v149, v148
	v_ldexp_f32 v23, v23, 1
	s_delay_alu instid0(VALU_DEP_2) | instskip(SKIP_1) | instid1(VALU_DEP_2)
	v_sub_f32_e32 v146, v147, v149
	v_fma_f32 v149, 0x3f317218, v22, -v150
	v_sub_f32_e32 v146, v148, v146
	s_delay_alu instid0(VALU_DEP_1) | instskip(NEXT) | instid1(VALU_DEP_1)
	v_dual_fmamk_f32 v22, v22, 0xb102e308, v149 :: v_dual_add_f32 v23, v23, v146
	v_add_f32_e32 v146, v150, v22
	s_delay_alu instid0(VALU_DEP_2) | instskip(NEXT) | instid1(VALU_DEP_2)
	v_add_f32_e32 v148, v147, v23
	v_sub_f32_e32 v150, v146, v150
	s_delay_alu instid0(VALU_DEP_2) | instskip(NEXT) | instid1(VALU_DEP_2)
	v_add_f32_e32 v149, v146, v148
	v_dual_sub_f32 v147, v148, v147 :: v_dual_sub_f32 v22, v22, v150
	s_delay_alu instid0(VALU_DEP_2) | instskip(NEXT) | instid1(VALU_DEP_2)
	v_sub_f32_e32 v151, v149, v146
	v_sub_f32_e32 v23, v23, v147
	s_delay_alu instid0(VALU_DEP_2) | instskip(SKIP_1) | instid1(VALU_DEP_3)
	v_sub_f32_e32 v160, v149, v151
	v_sub_f32_e32 v147, v148, v151
	v_add_f32_e32 v148, v22, v23
	s_delay_alu instid0(VALU_DEP_3) | instskip(NEXT) | instid1(VALU_DEP_1)
	v_sub_f32_e32 v146, v146, v160
	v_add_f32_e32 v146, v147, v146
	s_delay_alu instid0(VALU_DEP_3) | instskip(NEXT) | instid1(VALU_DEP_2)
	v_sub_f32_e32 v147, v148, v22
	v_add_f32_e32 v146, v148, v146
	s_delay_alu instid0(VALU_DEP_2) | instskip(NEXT) | instid1(VALU_DEP_2)
	v_sub_f32_e32 v148, v148, v147
	v_dual_sub_f32 v23, v23, v147 :: v_dual_add_f32 v150, v149, v146
	s_delay_alu instid0(VALU_DEP_2) | instskip(NEXT) | instid1(VALU_DEP_1)
	v_sub_f32_e32 v22, v22, v148
	v_dual_sub_f32 v147, v150, v149 :: v_dual_add_f32 v22, v23, v22
	s_delay_alu instid0(VALU_DEP_1) | instskip(NEXT) | instid1(VALU_DEP_1)
	v_sub_f32_e32 v23, v146, v147
	v_add_f32_e32 v22, v22, v23
	s_delay_alu instid0(VALU_DEP_1) | instskip(NEXT) | instid1(VALU_DEP_1)
	v_add_f32_e32 v22, v150, v22
	v_cndmask_b32_e32 v22, v22, v145, vcc_lo
	s_delay_alu instid0(VALU_DEP_1)
	v_add_f32_e32 v22, v17, v22
.LBB481_193:
	s_or_b32 exec_lo, exec_lo, s24
	s_delay_alu instid0(VALU_DEP_1) | instskip(SKIP_1) | instid1(VALU_DEP_2)
	v_bfe_u32 v17, v22, 16, 1
	v_cmp_o_f32_e32 vcc_lo, v22, v22
	v_add3_u32 v17, v22, v17, 0x7fff
	s_delay_alu instid0(VALU_DEP_1) | instskip(NEXT) | instid1(VALU_DEP_1)
	v_and_b32_e32 v17, 0xffff0000, v17
	v_cndmask_b32_e32 v145, 0x7fc00000, v17, vcc_lo
.LBB481_194:
	s_or_b32 exec_lo, exec_lo, s25
	s_waitcnt lgkmcnt(0)
	s_delay_alu instid0(VALU_DEP_1) | instskip(NEXT) | instid1(VALU_DEP_1)
	v_dual_max_f32 v16, v145, v145 :: v_dual_lshlrev_b32 v17, 16, v16
	v_max_f32_e32 v22, v17, v17
	v_cmp_u_f32_e32 vcc_lo, v17, v17
	s_delay_alu instid0(VALU_DEP_2) | instskip(SKIP_1) | instid1(VALU_DEP_1)
	v_min_f32_e32 v23, v22, v16
	v_max_f32_e32 v16, v22, v16
	v_cndmask_b32_e32 v16, v16, v17, vcc_lo
	s_delay_alu instid0(VALU_DEP_3) | instskip(SKIP_1) | instid1(VALU_DEP_2)
	v_cndmask_b32_e32 v22, v23, v17, vcc_lo
	v_cmp_u_f32_e32 vcc_lo, v145, v145
	v_cndmask_b32_e32 v22, v22, v145, vcc_lo
	s_delay_alu instid0(VALU_DEP_4) | instskip(NEXT) | instid1(VALU_DEP_2)
	v_cndmask_b32_e32 v16, v16, v145, vcc_lo
	v_cmp_class_f32_e64 s24, v22, 0x1f8
	s_delay_alu instid0(VALU_DEP_2) | instskip(NEXT) | instid1(VALU_DEP_2)
	v_cmp_neq_f32_e32 vcc_lo, v22, v16
	s_or_b32 s25, vcc_lo, s24
	s_delay_alu instid0(SALU_CYCLE_1)
	s_and_saveexec_b32 s24, s25
	s_cbranch_execz .LBB481_196
; %bb.195:
	v_sub_f32_e32 v17, v22, v16
	s_mov_b32 s25, 0x3e9b6dac
	s_delay_alu instid0(VALU_DEP_1) | instskip(SKIP_1) | instid1(VALU_DEP_2)
	v_mul_f32_e32 v22, 0x3fb8aa3b, v17
	v_cmp_ngt_f32_e32 vcc_lo, 0xc2ce8ed0, v17
	v_fma_f32 v23, 0x3fb8aa3b, v17, -v22
	v_rndne_f32_e32 v145, v22
	s_delay_alu instid0(VALU_DEP_1) | instskip(NEXT) | instid1(VALU_DEP_1)
	v_dual_fmamk_f32 v23, v17, 0x32a5705f, v23 :: v_dual_sub_f32 v22, v22, v145
	v_add_f32_e32 v22, v22, v23
	v_cvt_i32_f32_e32 v23, v145
	s_delay_alu instid0(VALU_DEP_2) | instskip(SKIP_2) | instid1(VALU_DEP_1)
	v_exp_f32_e32 v22, v22
	s_waitcnt_depctr 0xfff
	v_ldexp_f32 v22, v22, v23
	v_cndmask_b32_e32 v22, 0, v22, vcc_lo
	v_cmp_nlt_f32_e32 vcc_lo, 0x42b17218, v17
	s_delay_alu instid0(VALU_DEP_2) | instskip(NEXT) | instid1(VALU_DEP_1)
	v_cndmask_b32_e32 v17, 0x7f800000, v22, vcc_lo
	v_add_f32_e32 v145, 1.0, v17
	s_delay_alu instid0(VALU_DEP_1) | instskip(NEXT) | instid1(VALU_DEP_1)
	v_cvt_f64_f32_e32 v[22:23], v145
	v_frexp_exp_i32_f64_e32 v22, v[22:23]
	v_frexp_mant_f32_e32 v23, v145
	s_delay_alu instid0(VALU_DEP_1) | instskip(SKIP_1) | instid1(VALU_DEP_1)
	v_cmp_gt_f32_e32 vcc_lo, 0x3f2aaaab, v23
	v_add_f32_e32 v23, -1.0, v145
	v_sub_f32_e32 v147, v23, v145
	v_subrev_co_ci_u32_e32 v22, vcc_lo, 0, v22, vcc_lo
	s_delay_alu instid0(VALU_DEP_1) | instskip(SKIP_1) | instid1(VALU_DEP_2)
	v_sub_nc_u32_e32 v146, 0, v22
	v_cvt_f32_i32_e32 v22, v22
	v_ldexp_f32 v145, v145, v146
	s_delay_alu instid0(VALU_DEP_1) | instskip(SKIP_2) | instid1(VALU_DEP_2)
	v_dual_add_f32 v147, 1.0, v147 :: v_dual_add_f32 v148, 1.0, v145
	v_sub_f32_e32 v23, v17, v23
	v_cmp_eq_f32_e32 vcc_lo, 0x7f800000, v17
	v_add_f32_e32 v23, v23, v147
	s_delay_alu instid0(VALU_DEP_4) | instskip(NEXT) | instid1(VALU_DEP_2)
	v_add_f32_e32 v147, -1.0, v148
	v_ldexp_f32 v23, v23, v146
	s_delay_alu instid0(VALU_DEP_2) | instskip(NEXT) | instid1(VALU_DEP_1)
	v_dual_add_f32 v146, -1.0, v145 :: v_dual_sub_f32 v147, v145, v147
	v_add_f32_e32 v149, 1.0, v146
	s_delay_alu instid0(VALU_DEP_2) | instskip(NEXT) | instid1(VALU_DEP_2)
	v_add_f32_e32 v147, v23, v147
	v_sub_f32_e32 v145, v145, v149
	s_delay_alu instid0(VALU_DEP_2) | instskip(NEXT) | instid1(VALU_DEP_2)
	v_add_f32_e32 v149, v148, v147
	v_add_f32_e32 v23, v23, v145
	s_delay_alu instid0(VALU_DEP_2) | instskip(SKIP_1) | instid1(VALU_DEP_1)
	v_rcp_f32_e32 v145, v149
	v_sub_f32_e32 v148, v148, v149
	v_dual_add_f32 v150, v146, v23 :: v_dual_add_f32 v147, v147, v148
	s_delay_alu instid0(VALU_DEP_1) | instskip(SKIP_2) | instid1(VALU_DEP_1)
	v_sub_f32_e32 v146, v146, v150
	s_waitcnt_depctr 0xfff
	v_mul_f32_e32 v151, v150, v145
	v_dual_add_f32 v23, v23, v146 :: v_dual_mul_f32 v160, v149, v151
	s_delay_alu instid0(VALU_DEP_1) | instskip(NEXT) | instid1(VALU_DEP_1)
	v_fma_f32 v148, v151, v149, -v160
	v_fmac_f32_e32 v148, v151, v147
	s_delay_alu instid0(VALU_DEP_1) | instskip(NEXT) | instid1(VALU_DEP_1)
	v_add_f32_e32 v161, v160, v148
	v_sub_f32_e32 v162, v150, v161
	v_sub_f32_e32 v146, v161, v160
	s_delay_alu instid0(VALU_DEP_2) | instskip(NEXT) | instid1(VALU_DEP_2)
	v_sub_f32_e32 v150, v150, v162
	v_sub_f32_e32 v146, v146, v148
	s_delay_alu instid0(VALU_DEP_2) | instskip(NEXT) | instid1(VALU_DEP_1)
	v_sub_f32_e32 v150, v150, v161
	v_add_f32_e32 v23, v23, v150
	s_delay_alu instid0(VALU_DEP_1) | instskip(NEXT) | instid1(VALU_DEP_1)
	v_add_f32_e32 v23, v146, v23
	v_add_f32_e32 v146, v162, v23
	s_delay_alu instid0(VALU_DEP_1) | instskip(NEXT) | instid1(VALU_DEP_1)
	v_mul_f32_e32 v148, v145, v146
	v_dual_sub_f32 v161, v162, v146 :: v_dual_mul_f32 v150, v149, v148
	s_delay_alu instid0(VALU_DEP_1) | instskip(NEXT) | instid1(VALU_DEP_1)
	v_fma_f32 v149, v148, v149, -v150
	v_fmac_f32_e32 v149, v148, v147
	s_delay_alu instid0(VALU_DEP_1) | instskip(NEXT) | instid1(VALU_DEP_1)
	v_add_f32_e32 v147, v150, v149
	v_sub_f32_e32 v160, v146, v147
	v_sub_f32_e32 v150, v147, v150
	s_delay_alu instid0(VALU_DEP_2) | instskip(NEXT) | instid1(VALU_DEP_1)
	v_dual_sub_f32 v146, v146, v160 :: v_dual_add_f32 v23, v23, v161
	v_sub_f32_e32 v146, v146, v147
	s_delay_alu instid0(VALU_DEP_1) | instskip(NEXT) | instid1(VALU_DEP_4)
	v_add_f32_e32 v23, v23, v146
	v_dual_add_f32 v146, v151, v148 :: v_dual_sub_f32 v147, v150, v149
	s_delay_alu instid0(VALU_DEP_1) | instskip(NEXT) | instid1(VALU_DEP_2)
	v_add_f32_e32 v23, v147, v23
	v_sub_f32_e32 v147, v146, v151
	s_delay_alu instid0(VALU_DEP_2) | instskip(NEXT) | instid1(VALU_DEP_2)
	v_add_f32_e32 v23, v160, v23
	v_sub_f32_e32 v147, v148, v147
	s_delay_alu instid0(VALU_DEP_2) | instskip(NEXT) | instid1(VALU_DEP_1)
	v_mul_f32_e32 v23, v145, v23
	v_add_f32_e32 v23, v147, v23
	s_delay_alu instid0(VALU_DEP_1) | instskip(NEXT) | instid1(VALU_DEP_1)
	v_add_f32_e32 v145, v146, v23
	v_mul_f32_e32 v147, v145, v145
	s_delay_alu instid0(VALU_DEP_1) | instskip(SKIP_2) | instid1(VALU_DEP_3)
	v_fmaak_f32 v148, s25, v147, 0x3ecc95a3
	v_mul_f32_e32 v149, v145, v147
	v_cmp_gt_f32_e64 s25, 0x33800000, |v17|
	v_fmaak_f32 v147, v147, v148, 0x3f2aaada
	v_ldexp_f32 v148, v145, 1
	v_sub_f32_e32 v145, v145, v146
	s_delay_alu instid0(VALU_DEP_4) | instskip(NEXT) | instid1(VALU_DEP_3)
	s_or_b32 vcc_lo, vcc_lo, s25
	v_mul_f32_e32 v147, v149, v147
	s_delay_alu instid0(VALU_DEP_1) | instskip(NEXT) | instid1(VALU_DEP_1)
	v_dual_sub_f32 v23, v23, v145 :: v_dual_add_f32 v146, v148, v147
	v_ldexp_f32 v23, v23, 1
	s_delay_alu instid0(VALU_DEP_2) | instskip(NEXT) | instid1(VALU_DEP_1)
	v_sub_f32_e32 v145, v146, v148
	v_sub_f32_e32 v145, v147, v145
	s_delay_alu instid0(VALU_DEP_1) | instskip(NEXT) | instid1(VALU_DEP_1)
	v_add_f32_e32 v23, v23, v145
	v_add_f32_e32 v147, v146, v23
	v_mul_f32_e32 v149, 0x3f317218, v22
	s_delay_alu instid0(VALU_DEP_2) | instskip(NEXT) | instid1(VALU_DEP_2)
	v_sub_f32_e32 v146, v147, v146
	v_fma_f32 v148, 0x3f317218, v22, -v149
	s_delay_alu instid0(VALU_DEP_1) | instskip(NEXT) | instid1(VALU_DEP_1)
	v_dual_sub_f32 v23, v23, v146 :: v_dual_fmamk_f32 v22, v22, 0xb102e308, v148
	v_add_f32_e32 v145, v149, v22
	s_delay_alu instid0(VALU_DEP_1) | instskip(SKIP_1) | instid1(VALU_DEP_2)
	v_add_f32_e32 v148, v145, v147
	v_sub_f32_e32 v149, v145, v149
	v_sub_f32_e32 v150, v148, v145
	s_delay_alu instid0(VALU_DEP_1) | instskip(NEXT) | instid1(VALU_DEP_1)
	v_dual_sub_f32 v22, v22, v149 :: v_dual_sub_f32 v151, v148, v150
	v_dual_sub_f32 v146, v147, v150 :: v_dual_add_f32 v147, v22, v23
	s_delay_alu instid0(VALU_DEP_2) | instskip(NEXT) | instid1(VALU_DEP_1)
	v_sub_f32_e32 v145, v145, v151
	v_dual_add_f32 v145, v146, v145 :: v_dual_sub_f32 v146, v147, v22
	s_delay_alu instid0(VALU_DEP_1) | instskip(NEXT) | instid1(VALU_DEP_2)
	v_add_f32_e32 v145, v147, v145
	v_sub_f32_e32 v147, v147, v146
	v_sub_f32_e32 v23, v23, v146
	s_delay_alu instid0(VALU_DEP_2) | instskip(NEXT) | instid1(VALU_DEP_1)
	v_dual_add_f32 v149, v148, v145 :: v_dual_sub_f32 v22, v22, v147
	v_sub_f32_e32 v146, v149, v148
	s_delay_alu instid0(VALU_DEP_2) | instskip(NEXT) | instid1(VALU_DEP_2)
	v_add_f32_e32 v22, v23, v22
	v_sub_f32_e32 v23, v145, v146
	s_delay_alu instid0(VALU_DEP_1) | instskip(NEXT) | instid1(VALU_DEP_1)
	v_add_f32_e32 v22, v22, v23
	v_add_f32_e32 v22, v149, v22
	s_delay_alu instid0(VALU_DEP_1) | instskip(NEXT) | instid1(VALU_DEP_1)
	v_cndmask_b32_e32 v17, v22, v17, vcc_lo
	v_add_f32_e32 v17, v16, v17
.LBB481_196:
	s_or_b32 exec_lo, exec_lo, s24
	s_delay_alu instid0(VALU_DEP_1) | instskip(SKIP_1) | instid1(VALU_DEP_2)
	v_bfe_u32 v16, v17, 16, 1
	v_cmp_o_f32_e32 vcc_lo, v17, v17
	v_add3_u32 v16, v17, v16, 0x7fff
	s_delay_alu instid0(VALU_DEP_1) | instskip(NEXT) | instid1(VALU_DEP_1)
	v_lshrrev_b32_e32 v16, 16, v16
	v_cndmask_b32_e32 v16, 0x7fc0, v16, vcc_lo
	s_delay_alu instid0(VALU_DEP_1) | instskip(NEXT) | instid1(VALU_DEP_1)
	v_lshlrev_b32_e32 v22, 16, v16
	v_max_f32_e32 v17, v22, v22
	s_delay_alu instid0(VALU_DEP_1) | instskip(SKIP_2) | instid1(VALU_DEP_3)
	v_min_f32_e32 v23, v17, v65
	v_max_f32_e32 v17, v17, v65
	v_cmp_u_f32_e32 vcc_lo, v22, v22
	v_cndmask_b32_e32 v23, v23, v22, vcc_lo
	s_delay_alu instid0(VALU_DEP_3) | instskip(NEXT) | instid1(VALU_DEP_2)
	v_cndmask_b32_e32 v17, v17, v22, vcc_lo
	v_cndmask_b32_e64 v23, v23, v13, s3
	s_delay_alu instid0(VALU_DEP_2) | instskip(NEXT) | instid1(VALU_DEP_2)
	v_cndmask_b32_e64 v17, v17, v13, s3
	v_cmp_class_f32_e64 s3, v23, 0x1f8
	s_delay_alu instid0(VALU_DEP_2) | instskip(NEXT) | instid1(VALU_DEP_2)
	v_cmp_neq_f32_e32 vcc_lo, v23, v17
	s_or_b32 s24, vcc_lo, s3
	s_delay_alu instid0(SALU_CYCLE_1)
	s_and_saveexec_b32 s3, s24
	s_cbranch_execz .LBB481_198
; %bb.197:
	v_sub_f32_e32 v22, v23, v17
	s_mov_b32 s24, 0x3e9b6dac
	s_delay_alu instid0(VALU_DEP_1) | instskip(SKIP_1) | instid1(VALU_DEP_2)
	v_mul_f32_e32 v23, 0x3fb8aa3b, v22
	v_cmp_ngt_f32_e32 vcc_lo, 0xc2ce8ed0, v22
	v_fma_f32 v65, 0x3fb8aa3b, v22, -v23
	v_rndne_f32_e32 v145, v23
	s_delay_alu instid0(VALU_DEP_2) | instskip(NEXT) | instid1(VALU_DEP_2)
	v_fmamk_f32 v65, v22, 0x32a5705f, v65
	v_sub_f32_e32 v23, v23, v145
	s_delay_alu instid0(VALU_DEP_1) | instskip(SKIP_1) | instid1(VALU_DEP_2)
	v_add_f32_e32 v23, v23, v65
	v_cvt_i32_f32_e32 v65, v145
	v_exp_f32_e32 v23, v23
	s_waitcnt_depctr 0xfff
	v_ldexp_f32 v23, v23, v65
	s_delay_alu instid0(VALU_DEP_1) | instskip(SKIP_1) | instid1(VALU_DEP_2)
	v_cndmask_b32_e32 v23, 0, v23, vcc_lo
	v_cmp_nlt_f32_e32 vcc_lo, 0x42b17218, v22
	v_cndmask_b32_e32 v65, 0x7f800000, v23, vcc_lo
	s_delay_alu instid0(VALU_DEP_1) | instskip(NEXT) | instid1(VALU_DEP_1)
	v_add_f32_e32 v145, 1.0, v65
	v_cvt_f64_f32_e32 v[22:23], v145
	s_delay_alu instid0(VALU_DEP_1) | instskip(SKIP_1) | instid1(VALU_DEP_1)
	v_frexp_exp_i32_f64_e32 v22, v[22:23]
	v_frexp_mant_f32_e32 v23, v145
	v_cmp_gt_f32_e32 vcc_lo, 0x3f2aaaab, v23
	v_add_f32_e32 v23, -1.0, v145
	s_delay_alu instid0(VALU_DEP_1) | instskip(SKIP_1) | instid1(VALU_DEP_2)
	v_sub_f32_e32 v147, v23, v145
	v_sub_f32_e32 v23, v65, v23
	v_add_f32_e32 v147, 1.0, v147
	s_delay_alu instid0(VALU_DEP_1) | instskip(SKIP_1) | instid1(VALU_DEP_1)
	v_add_f32_e32 v23, v23, v147
	v_subrev_co_ci_u32_e32 v22, vcc_lo, 0, v22, vcc_lo
	v_sub_nc_u32_e32 v146, 0, v22
	v_cvt_f32_i32_e32 v22, v22
	s_delay_alu instid0(VALU_DEP_2) | instskip(SKIP_1) | instid1(VALU_DEP_2)
	v_ldexp_f32 v145, v145, v146
	v_ldexp_f32 v23, v23, v146
	v_add_f32_e32 v148, 1.0, v145
	s_delay_alu instid0(VALU_DEP_1) | instskip(NEXT) | instid1(VALU_DEP_1)
	v_dual_add_f32 v146, -1.0, v145 :: v_dual_add_f32 v147, -1.0, v148
	v_add_f32_e32 v149, 1.0, v146
	s_delay_alu instid0(VALU_DEP_2) | instskip(NEXT) | instid1(VALU_DEP_2)
	v_sub_f32_e32 v147, v145, v147
	v_sub_f32_e32 v145, v145, v149
	s_delay_alu instid0(VALU_DEP_2) | instskip(NEXT) | instid1(VALU_DEP_1)
	v_add_f32_e32 v147, v23, v147
	v_add_f32_e32 v149, v148, v147
	s_delay_alu instid0(VALU_DEP_3) | instskip(NEXT) | instid1(VALU_DEP_2)
	v_add_f32_e32 v23, v23, v145
	v_rcp_f32_e32 v145, v149
	s_delay_alu instid0(VALU_DEP_1) | instskip(SKIP_2) | instid1(VALU_DEP_2)
	v_add_f32_e32 v150, v146, v23
	v_sub_f32_e32 v148, v148, v149
	v_cmp_eq_f32_e32 vcc_lo, 0x7f800000, v65
	v_dual_sub_f32 v146, v146, v150 :: v_dual_add_f32 v147, v147, v148
	s_waitcnt_depctr 0xfff
	v_mul_f32_e32 v151, v150, v145
	s_delay_alu instid0(VALU_DEP_1) | instskip(NEXT) | instid1(VALU_DEP_1)
	v_dual_add_f32 v23, v23, v146 :: v_dual_mul_f32 v160, v149, v151
	v_fma_f32 v148, v151, v149, -v160
	s_delay_alu instid0(VALU_DEP_1) | instskip(NEXT) | instid1(VALU_DEP_1)
	v_fmac_f32_e32 v148, v151, v147
	v_add_f32_e32 v161, v160, v148
	s_delay_alu instid0(VALU_DEP_1) | instskip(SKIP_1) | instid1(VALU_DEP_2)
	v_sub_f32_e32 v162, v150, v161
	v_sub_f32_e32 v146, v161, v160
	;; [unrolled: 1-line block ×3, first 2 shown]
	s_delay_alu instid0(VALU_DEP_2) | instskip(NEXT) | instid1(VALU_DEP_2)
	v_sub_f32_e32 v146, v146, v148
	v_sub_f32_e32 v150, v150, v161
	s_delay_alu instid0(VALU_DEP_1) | instskip(NEXT) | instid1(VALU_DEP_1)
	v_add_f32_e32 v23, v23, v150
	v_add_f32_e32 v23, v146, v23
	s_delay_alu instid0(VALU_DEP_1) | instskip(NEXT) | instid1(VALU_DEP_1)
	v_add_f32_e32 v146, v162, v23
	v_mul_f32_e32 v148, v145, v146
	s_delay_alu instid0(VALU_DEP_1) | instskip(NEXT) | instid1(VALU_DEP_1)
	v_dual_sub_f32 v161, v162, v146 :: v_dual_mul_f32 v150, v149, v148
	v_add_f32_e32 v23, v23, v161
	s_delay_alu instid0(VALU_DEP_2) | instskip(NEXT) | instid1(VALU_DEP_1)
	v_fma_f32 v149, v148, v149, -v150
	v_fmac_f32_e32 v149, v148, v147
	s_delay_alu instid0(VALU_DEP_1) | instskip(NEXT) | instid1(VALU_DEP_1)
	v_add_f32_e32 v147, v150, v149
	v_sub_f32_e32 v160, v146, v147
	v_sub_f32_e32 v150, v147, v150
	s_delay_alu instid0(VALU_DEP_2) | instskip(NEXT) | instid1(VALU_DEP_1)
	v_sub_f32_e32 v146, v146, v160
	v_sub_f32_e32 v146, v146, v147
	s_delay_alu instid0(VALU_DEP_3) | instskip(NEXT) | instid1(VALU_DEP_2)
	v_sub_f32_e32 v147, v150, v149
	v_add_f32_e32 v23, v23, v146
	v_add_f32_e32 v146, v151, v148
	s_delay_alu instid0(VALU_DEP_2) | instskip(NEXT) | instid1(VALU_DEP_2)
	v_add_f32_e32 v23, v147, v23
	v_sub_f32_e32 v147, v146, v151
	s_delay_alu instid0(VALU_DEP_2) | instskip(NEXT) | instid1(VALU_DEP_2)
	v_add_f32_e32 v23, v160, v23
	v_sub_f32_e32 v147, v148, v147
	s_delay_alu instid0(VALU_DEP_2) | instskip(NEXT) | instid1(VALU_DEP_1)
	v_mul_f32_e32 v23, v145, v23
	v_add_f32_e32 v23, v147, v23
	s_delay_alu instid0(VALU_DEP_1) | instskip(NEXT) | instid1(VALU_DEP_1)
	v_add_f32_e32 v145, v146, v23
	v_mul_f32_e32 v147, v145, v145
	s_delay_alu instid0(VALU_DEP_1) | instskip(SKIP_2) | instid1(VALU_DEP_3)
	v_fmaak_f32 v148, s24, v147, 0x3ecc95a3
	v_mul_f32_e32 v149, v145, v147
	v_cmp_gt_f32_e64 s24, 0x33800000, |v65|
	v_fmaak_f32 v147, v147, v148, 0x3f2aaada
	v_ldexp_f32 v148, v145, 1
	v_sub_f32_e32 v145, v145, v146
	s_delay_alu instid0(VALU_DEP_4) | instskip(NEXT) | instid1(VALU_DEP_3)
	s_or_b32 vcc_lo, vcc_lo, s24
	v_mul_f32_e32 v147, v149, v147
	v_mul_f32_e32 v149, 0x3f317218, v22
	s_delay_alu instid0(VALU_DEP_2) | instskip(NEXT) | instid1(VALU_DEP_1)
	v_dual_sub_f32 v23, v23, v145 :: v_dual_add_f32 v146, v148, v147
	v_ldexp_f32 v23, v23, 1
	s_delay_alu instid0(VALU_DEP_2) | instskip(NEXT) | instid1(VALU_DEP_4)
	v_sub_f32_e32 v145, v146, v148
	v_fma_f32 v148, 0x3f317218, v22, -v149
	s_delay_alu instid0(VALU_DEP_1) | instskip(NEXT) | instid1(VALU_DEP_1)
	v_dual_sub_f32 v145, v147, v145 :: v_dual_fmamk_f32 v22, v22, 0xb102e308, v148
	v_add_f32_e32 v23, v23, v145
	s_delay_alu instid0(VALU_DEP_2) | instskip(NEXT) | instid1(VALU_DEP_2)
	v_add_f32_e32 v145, v149, v22
	v_add_f32_e32 v147, v146, v23
	s_delay_alu instid0(VALU_DEP_2) | instskip(NEXT) | instid1(VALU_DEP_2)
	v_sub_f32_e32 v149, v145, v149
	v_add_f32_e32 v148, v145, v147
	v_sub_f32_e32 v146, v147, v146
	s_delay_alu instid0(VALU_DEP_3) | instskip(NEXT) | instid1(VALU_DEP_2)
	v_sub_f32_e32 v22, v22, v149
	v_dual_sub_f32 v150, v148, v145 :: v_dual_sub_f32 v23, v23, v146
	s_delay_alu instid0(VALU_DEP_1) | instskip(NEXT) | instid1(VALU_DEP_2)
	v_sub_f32_e32 v151, v148, v150
	v_dual_sub_f32 v146, v147, v150 :: v_dual_add_f32 v147, v22, v23
	s_delay_alu instid0(VALU_DEP_2) | instskip(NEXT) | instid1(VALU_DEP_1)
	v_sub_f32_e32 v145, v145, v151
	v_dual_add_f32 v145, v146, v145 :: v_dual_sub_f32 v146, v147, v22
	s_delay_alu instid0(VALU_DEP_1) | instskip(NEXT) | instid1(VALU_DEP_2)
	v_add_f32_e32 v145, v147, v145
	v_sub_f32_e32 v147, v147, v146
	v_sub_f32_e32 v23, v23, v146
	s_delay_alu instid0(VALU_DEP_2) | instskip(NEXT) | instid1(VALU_DEP_1)
	v_dual_add_f32 v149, v148, v145 :: v_dual_sub_f32 v22, v22, v147
	v_sub_f32_e32 v146, v149, v148
	s_delay_alu instid0(VALU_DEP_2) | instskip(NEXT) | instid1(VALU_DEP_2)
	v_add_f32_e32 v22, v23, v22
	v_sub_f32_e32 v23, v145, v146
	s_delay_alu instid0(VALU_DEP_1) | instskip(NEXT) | instid1(VALU_DEP_1)
	v_add_f32_e32 v22, v22, v23
	v_add_f32_e32 v22, v149, v22
	s_delay_alu instid0(VALU_DEP_1) | instskip(NEXT) | instid1(VALU_DEP_1)
	v_cndmask_b32_e32 v22, v22, v65, vcc_lo
	v_add_f32_e32 v22, v17, v22
.LBB481_198:
	s_or_b32 exec_lo, exec_lo, s3
	s_delay_alu instid0(VALU_DEP_1) | instskip(SKIP_1) | instid1(VALU_DEP_2)
	v_bfe_u32 v17, v22, 16, 1
	v_cmp_o_f32_e32 vcc_lo, v22, v22
	v_add3_u32 v17, v22, v17, 0x7fff
	s_delay_alu instid0(VALU_DEP_1) | instskip(NEXT) | instid1(VALU_DEP_1)
	v_lshrrev_b32_e32 v17, 16, v17
	v_cndmask_b32_e32 v17, 0x7fc0, v17, vcc_lo
	s_delay_alu instid0(VALU_DEP_1) | instskip(NEXT) | instid1(VALU_DEP_1)
	v_lshlrev_b32_e32 v23, 16, v17
	v_max_f32_e32 v22, v23, v23
	s_delay_alu instid0(VALU_DEP_1) | instskip(SKIP_2) | instid1(VALU_DEP_3)
	v_min_f32_e32 v65, v22, v68
	v_max_f32_e32 v22, v22, v68
	v_cmp_u_f32_e32 vcc_lo, v23, v23
	v_cndmask_b32_e32 v65, v65, v23, vcc_lo
	s_delay_alu instid0(VALU_DEP_3) | instskip(NEXT) | instid1(VALU_DEP_2)
	v_cndmask_b32_e32 v22, v22, v23, vcc_lo
	v_cndmask_b32_e64 v65, v65, v64, s4
	s_delay_alu instid0(VALU_DEP_2) | instskip(NEXT) | instid1(VALU_DEP_2)
	v_cndmask_b32_e64 v22, v22, v64, s4
	v_cmp_class_f32_e64 s3, v65, 0x1f8
	s_delay_alu instid0(VALU_DEP_2) | instskip(NEXT) | instid1(VALU_DEP_2)
	v_cmp_neq_f32_e32 vcc_lo, v65, v22
	s_or_b32 s4, vcc_lo, s3
	s_delay_alu instid0(SALU_CYCLE_1)
	s_and_saveexec_b32 s3, s4
	s_cbranch_execz .LBB481_200
; %bb.199:
	v_sub_f32_e32 v23, v65, v22
	s_mov_b32 s4, 0x3e9b6dac
	s_delay_alu instid0(VALU_DEP_1) | instskip(NEXT) | instid1(VALU_DEP_1)
	v_mul_f32_e32 v64, 0x3fb8aa3b, v23
	v_fma_f32 v65, 0x3fb8aa3b, v23, -v64
	v_rndne_f32_e32 v68, v64
	s_delay_alu instid0(VALU_DEP_1) | instskip(SKIP_1) | instid1(VALU_DEP_4)
	v_sub_f32_e32 v64, v64, v68
	v_cmp_ngt_f32_e32 vcc_lo, 0xc2ce8ed0, v23
	v_fmamk_f32 v65, v23, 0x32a5705f, v65
	s_delay_alu instid0(VALU_DEP_1) | instskip(SKIP_1) | instid1(VALU_DEP_2)
	v_add_f32_e32 v64, v64, v65
	v_cvt_i32_f32_e32 v65, v68
	v_exp_f32_e32 v64, v64
	s_waitcnt_depctr 0xfff
	v_ldexp_f32 v64, v64, v65
	s_delay_alu instid0(VALU_DEP_1) | instskip(SKIP_1) | instid1(VALU_DEP_2)
	v_cndmask_b32_e32 v64, 0, v64, vcc_lo
	v_cmp_nlt_f32_e32 vcc_lo, 0x42b17218, v23
	v_cndmask_b32_e32 v23, 0x7f800000, v64, vcc_lo
	s_delay_alu instid0(VALU_DEP_1) | instskip(NEXT) | instid1(VALU_DEP_1)
	v_add_f32_e32 v68, 1.0, v23
	v_cvt_f64_f32_e32 v[64:65], v68
	s_delay_alu instid0(VALU_DEP_1) | instskip(SKIP_1) | instid1(VALU_DEP_1)
	v_frexp_exp_i32_f64_e32 v64, v[64:65]
	v_frexp_mant_f32_e32 v65, v68
	v_cmp_gt_f32_e32 vcc_lo, 0x3f2aaaab, v65
	v_add_f32_e32 v65, -1.0, v68
	s_delay_alu instid0(VALU_DEP_1) | instskip(NEXT) | instid1(VALU_DEP_1)
	v_sub_f32_e32 v146, v65, v68
	v_dual_add_f32 v146, 1.0, v146 :: v_dual_sub_f32 v65, v23, v65
	v_subrev_co_ci_u32_e32 v64, vcc_lo, 0, v64, vcc_lo
	v_cmp_eq_f32_e32 vcc_lo, 0x7f800000, v23
	s_delay_alu instid0(VALU_DEP_2) | instskip(SKIP_1) | instid1(VALU_DEP_2)
	v_sub_nc_u32_e32 v145, 0, v64
	v_cvt_f32_i32_e32 v64, v64
	v_ldexp_f32 v68, v68, v145
	s_delay_alu instid0(VALU_DEP_1) | instskip(NEXT) | instid1(VALU_DEP_1)
	v_add_f32_e32 v147, 1.0, v68
	v_dual_add_f32 v65, v65, v146 :: v_dual_add_f32 v146, -1.0, v147
	s_delay_alu instid0(VALU_DEP_1) | instskip(NEXT) | instid1(VALU_DEP_2)
	v_ldexp_f32 v65, v65, v145
	v_dual_add_f32 v145, -1.0, v68 :: v_dual_sub_f32 v146, v68, v146
	s_delay_alu instid0(VALU_DEP_1) | instskip(NEXT) | instid1(VALU_DEP_2)
	v_add_f32_e32 v148, 1.0, v145
	v_add_f32_e32 v146, v65, v146
	s_delay_alu instid0(VALU_DEP_2) | instskip(NEXT) | instid1(VALU_DEP_1)
	v_sub_f32_e32 v68, v68, v148
	v_add_f32_e32 v65, v65, v68
	s_delay_alu instid0(VALU_DEP_1) | instskip(NEXT) | instid1(VALU_DEP_1)
	v_dual_add_f32 v149, v145, v65 :: v_dual_add_f32 v148, v147, v146
	v_sub_f32_e32 v145, v145, v149
	s_delay_alu instid0(VALU_DEP_2) | instskip(SKIP_1) | instid1(VALU_DEP_1)
	v_rcp_f32_e32 v68, v148
	v_sub_f32_e32 v147, v147, v148
	v_dual_add_f32 v146, v146, v147 :: v_dual_add_f32 v65, v65, v145
	s_waitcnt_depctr 0xfff
	v_mul_f32_e32 v150, v149, v68
	s_delay_alu instid0(VALU_DEP_1) | instskip(NEXT) | instid1(VALU_DEP_1)
	v_mul_f32_e32 v151, v148, v150
	v_fma_f32 v147, v150, v148, -v151
	s_delay_alu instid0(VALU_DEP_1) | instskip(NEXT) | instid1(VALU_DEP_1)
	v_fmac_f32_e32 v147, v150, v146
	v_add_f32_e32 v160, v151, v147
	s_delay_alu instid0(VALU_DEP_1) | instskip(NEXT) | instid1(VALU_DEP_1)
	v_sub_f32_e32 v161, v149, v160
	v_sub_f32_e32 v149, v149, v161
	;; [unrolled: 1-line block ×3, first 2 shown]
	s_delay_alu instid0(VALU_DEP_2) | instskip(NEXT) | instid1(VALU_DEP_2)
	v_sub_f32_e32 v149, v149, v160
	v_sub_f32_e32 v145, v145, v147
	s_delay_alu instid0(VALU_DEP_2) | instskip(NEXT) | instid1(VALU_DEP_1)
	v_add_f32_e32 v65, v65, v149
	v_add_f32_e32 v65, v145, v65
	s_delay_alu instid0(VALU_DEP_1) | instskip(NEXT) | instid1(VALU_DEP_1)
	v_add_f32_e32 v145, v161, v65
	v_mul_f32_e32 v147, v68, v145
	s_delay_alu instid0(VALU_DEP_1) | instskip(NEXT) | instid1(VALU_DEP_1)
	v_dual_sub_f32 v160, v161, v145 :: v_dual_mul_f32 v149, v148, v147
	v_add_f32_e32 v65, v65, v160
	s_delay_alu instid0(VALU_DEP_2) | instskip(NEXT) | instid1(VALU_DEP_1)
	v_fma_f32 v148, v147, v148, -v149
	v_fmac_f32_e32 v148, v147, v146
	s_delay_alu instid0(VALU_DEP_1) | instskip(NEXT) | instid1(VALU_DEP_1)
	v_add_f32_e32 v146, v149, v148
	v_sub_f32_e32 v151, v145, v146
	v_sub_f32_e32 v149, v146, v149
	s_delay_alu instid0(VALU_DEP_2) | instskip(NEXT) | instid1(VALU_DEP_1)
	v_sub_f32_e32 v145, v145, v151
	v_sub_f32_e32 v145, v145, v146
	s_delay_alu instid0(VALU_DEP_3) | instskip(NEXT) | instid1(VALU_DEP_2)
	v_sub_f32_e32 v146, v149, v148
	v_add_f32_e32 v65, v65, v145
	v_add_f32_e32 v145, v150, v147
	s_delay_alu instid0(VALU_DEP_1) | instskip(NEXT) | instid1(VALU_DEP_1)
	v_dual_add_f32 v65, v146, v65 :: v_dual_sub_f32 v146, v145, v150
	v_add_f32_e32 v65, v151, v65
	s_delay_alu instid0(VALU_DEP_1) | instskip(NEXT) | instid1(VALU_DEP_1)
	v_dual_sub_f32 v146, v147, v146 :: v_dual_mul_f32 v65, v68, v65
	v_add_f32_e32 v65, v146, v65
	s_delay_alu instid0(VALU_DEP_1) | instskip(NEXT) | instid1(VALU_DEP_1)
	v_add_f32_e32 v68, v145, v65
	v_mul_f32_e32 v146, v68, v68
	s_delay_alu instid0(VALU_DEP_1) | instskip(SKIP_2) | instid1(VALU_DEP_3)
	v_fmaak_f32 v147, s4, v146, 0x3ecc95a3
	v_mul_f32_e32 v148, v68, v146
	v_cmp_gt_f32_e64 s4, 0x33800000, |v23|
	v_fmaak_f32 v146, v146, v147, 0x3f2aaada
	v_ldexp_f32 v147, v68, 1
	v_sub_f32_e32 v68, v68, v145
	s_delay_alu instid0(VALU_DEP_4) | instskip(NEXT) | instid1(VALU_DEP_3)
	s_or_b32 vcc_lo, vcc_lo, s4
	v_mul_f32_e32 v146, v148, v146
	v_mul_f32_e32 v148, 0x3f317218, v64
	s_delay_alu instid0(VALU_DEP_3) | instskip(NEXT) | instid1(VALU_DEP_3)
	v_sub_f32_e32 v65, v65, v68
	v_add_f32_e32 v145, v147, v146
	s_delay_alu instid0(VALU_DEP_2) | instskip(NEXT) | instid1(VALU_DEP_2)
	v_ldexp_f32 v65, v65, 1
	v_sub_f32_e32 v68, v145, v147
	v_fma_f32 v147, 0x3f317218, v64, -v148
	s_delay_alu instid0(VALU_DEP_2) | instskip(NEXT) | instid1(VALU_DEP_1)
	v_sub_f32_e32 v68, v146, v68
	v_dual_fmamk_f32 v64, v64, 0xb102e308, v147 :: v_dual_add_f32 v65, v65, v68
	s_delay_alu instid0(VALU_DEP_1) | instskip(NEXT) | instid1(VALU_DEP_2)
	v_add_f32_e32 v68, v148, v64
	v_add_f32_e32 v146, v145, v65
	s_delay_alu instid0(VALU_DEP_2) | instskip(NEXT) | instid1(VALU_DEP_2)
	v_sub_f32_e32 v148, v68, v148
	v_add_f32_e32 v147, v68, v146
	s_delay_alu instid0(VALU_DEP_2) | instskip(NEXT) | instid1(VALU_DEP_2)
	v_sub_f32_e32 v64, v64, v148
	v_sub_f32_e32 v149, v147, v68
	;; [unrolled: 1-line block ×3, first 2 shown]
	s_delay_alu instid0(VALU_DEP_2) | instskip(NEXT) | instid1(VALU_DEP_2)
	v_sub_f32_e32 v150, v147, v149
	v_sub_f32_e32 v65, v65, v145
	s_delay_alu instid0(VALU_DEP_2) | instskip(NEXT) | instid1(VALU_DEP_2)
	v_dual_sub_f32 v145, v146, v149 :: v_dual_sub_f32 v68, v68, v150
	v_add_f32_e32 v146, v64, v65
	s_delay_alu instid0(VALU_DEP_2) | instskip(NEXT) | instid1(VALU_DEP_2)
	v_add_f32_e32 v68, v145, v68
	v_sub_f32_e32 v145, v146, v64
	s_delay_alu instid0(VALU_DEP_2) | instskip(NEXT) | instid1(VALU_DEP_2)
	v_add_f32_e32 v68, v146, v68
	v_sub_f32_e32 v146, v146, v145
	s_delay_alu instid0(VALU_DEP_2) | instskip(NEXT) | instid1(VALU_DEP_2)
	v_add_f32_e32 v148, v147, v68
	v_dual_sub_f32 v64, v64, v146 :: v_dual_sub_f32 v65, v65, v145
	s_delay_alu instid0(VALU_DEP_1) | instskip(NEXT) | instid1(VALU_DEP_1)
	v_dual_sub_f32 v145, v148, v147 :: v_dual_add_f32 v64, v65, v64
	v_sub_f32_e32 v65, v68, v145
	s_delay_alu instid0(VALU_DEP_1) | instskip(NEXT) | instid1(VALU_DEP_1)
	v_add_f32_e32 v64, v64, v65
	v_add_f32_e32 v64, v148, v64
	s_delay_alu instid0(VALU_DEP_1) | instskip(NEXT) | instid1(VALU_DEP_1)
	v_cndmask_b32_e32 v23, v64, v23, vcc_lo
	v_add_f32_e32 v23, v22, v23
.LBB481_200:
	s_or_b32 exec_lo, exec_lo, s3
	s_delay_alu instid0(VALU_DEP_1) | instskip(SKIP_1) | instid1(VALU_DEP_2)
	v_bfe_u32 v22, v23, 16, 1
	v_cmp_o_f32_e32 vcc_lo, v23, v23
	v_add3_u32 v22, v23, v22, 0x7fff
	s_delay_alu instid0(VALU_DEP_1) | instskip(NEXT) | instid1(VALU_DEP_1)
	v_lshrrev_b32_e32 v22, 16, v22
	v_cndmask_b32_e32 v22, 0x7fc0, v22, vcc_lo
	s_delay_alu instid0(VALU_DEP_1) | instskip(NEXT) | instid1(VALU_DEP_1)
	v_lshlrev_b32_e32 v64, 16, v22
	v_max_f32_e32 v23, v64, v64
	v_cmp_u_f32_e32 vcc_lo, v64, v64
	s_delay_alu instid0(VALU_DEP_2) | instskip(SKIP_1) | instid1(VALU_DEP_2)
	v_min_f32_e32 v65, v23, v70
	v_max_f32_e32 v23, v23, v70
	v_cndmask_b32_e32 v65, v65, v64, vcc_lo
	s_delay_alu instid0(VALU_DEP_2) | instskip(NEXT) | instid1(VALU_DEP_2)
	v_cndmask_b32_e32 v23, v23, v64, vcc_lo
	v_cndmask_b32_e64 v65, v65, v66, s5
	s_delay_alu instid0(VALU_DEP_2) | instskip(NEXT) | instid1(VALU_DEP_2)
	v_cndmask_b32_e64 v23, v23, v66, s5
	v_cmp_class_f32_e64 s3, v65, 0x1f8
	s_delay_alu instid0(VALU_DEP_2) | instskip(NEXT) | instid1(VALU_DEP_2)
	v_cmp_neq_f32_e32 vcc_lo, v65, v23
	s_or_b32 s4, vcc_lo, s3
	s_delay_alu instid0(SALU_CYCLE_1)
	s_and_saveexec_b32 s3, s4
	s_cbranch_execz .LBB481_202
; %bb.201:
	v_sub_f32_e32 v64, v65, v23
	s_mov_b32 s4, 0x3e9b6dac
	s_delay_alu instid0(VALU_DEP_1) | instskip(SKIP_1) | instid1(VALU_DEP_2)
	v_mul_f32_e32 v65, 0x3fb8aa3b, v64
	v_cmp_ngt_f32_e32 vcc_lo, 0xc2ce8ed0, v64
	v_fma_f32 v66, 0x3fb8aa3b, v64, -v65
	v_rndne_f32_e32 v68, v65
	s_delay_alu instid0(VALU_DEP_1) | instskip(NEXT) | instid1(VALU_DEP_1)
	v_dual_fmamk_f32 v66, v64, 0x32a5705f, v66 :: v_dual_sub_f32 v65, v65, v68
	v_add_f32_e32 v65, v65, v66
	v_cvt_i32_f32_e32 v66, v68
	s_delay_alu instid0(VALU_DEP_2) | instskip(SKIP_2) | instid1(VALU_DEP_1)
	v_exp_f32_e32 v65, v65
	s_waitcnt_depctr 0xfff
	v_ldexp_f32 v65, v65, v66
	v_cndmask_b32_e32 v65, 0, v65, vcc_lo
	v_cmp_nlt_f32_e32 vcc_lo, 0x42b17218, v64
	s_delay_alu instid0(VALU_DEP_2) | instskip(NEXT) | instid1(VALU_DEP_1)
	v_cndmask_b32_e32 v66, 0x7f800000, v65, vcc_lo
	v_add_f32_e32 v68, 1.0, v66
	s_delay_alu instid0(VALU_DEP_1) | instskip(NEXT) | instid1(VALU_DEP_1)
	v_cvt_f64_f32_e32 v[64:65], v68
	v_frexp_exp_i32_f64_e32 v64, v[64:65]
	v_frexp_mant_f32_e32 v65, v68
	s_delay_alu instid0(VALU_DEP_1) | instskip(SKIP_1) | instid1(VALU_DEP_1)
	v_cmp_gt_f32_e32 vcc_lo, 0x3f2aaaab, v65
	v_add_f32_e32 v65, -1.0, v68
	v_sub_f32_e32 v145, v65, v68
	v_subrev_co_ci_u32_e32 v64, vcc_lo, 0, v64, vcc_lo
	v_cmp_eq_f32_e32 vcc_lo, 0x7f800000, v66
	s_delay_alu instid0(VALU_DEP_2) | instskip(SKIP_1) | instid1(VALU_DEP_2)
	v_sub_nc_u32_e32 v70, 0, v64
	v_cvt_f32_i32_e32 v64, v64
	v_ldexp_f32 v68, v68, v70
	s_delay_alu instid0(VALU_DEP_1) | instskip(SKIP_1) | instid1(VALU_DEP_1)
	v_dual_sub_f32 v65, v66, v65 :: v_dual_add_f32 v146, 1.0, v68
	v_add_f32_e32 v145, 1.0, v145
	v_add_f32_e32 v65, v65, v145
	s_delay_alu instid0(VALU_DEP_1) | instskip(NEXT) | instid1(VALU_DEP_4)
	v_ldexp_f32 v65, v65, v70
	v_dual_add_f32 v70, -1.0, v68 :: v_dual_add_f32 v145, -1.0, v146
	s_delay_alu instid0(VALU_DEP_1) | instskip(NEXT) | instid1(VALU_DEP_2)
	v_add_f32_e32 v147, 1.0, v70
	v_sub_f32_e32 v145, v68, v145
	s_delay_alu instid0(VALU_DEP_1) | instskip(NEXT) | instid1(VALU_DEP_1)
	v_dual_sub_f32 v68, v68, v147 :: v_dual_add_f32 v145, v65, v145
	v_add_f32_e32 v147, v146, v145
	s_delay_alu instid0(VALU_DEP_2) | instskip(NEXT) | instid1(VALU_DEP_2)
	v_add_f32_e32 v65, v65, v68
	v_rcp_f32_e32 v68, v147
	s_delay_alu instid0(VALU_DEP_1) | instskip(SKIP_1) | instid1(VALU_DEP_1)
	v_add_f32_e32 v148, v70, v65
	v_sub_f32_e32 v146, v146, v147
	v_dual_sub_f32 v70, v70, v148 :: v_dual_add_f32 v145, v145, v146
	s_waitcnt_depctr 0xfff
	v_mul_f32_e32 v149, v148, v68
	s_delay_alu instid0(VALU_DEP_1) | instskip(NEXT) | instid1(VALU_DEP_1)
	v_dual_mul_f32 v150, v147, v149 :: v_dual_add_f32 v65, v65, v70
	v_fma_f32 v146, v149, v147, -v150
	s_delay_alu instid0(VALU_DEP_1) | instskip(NEXT) | instid1(VALU_DEP_1)
	v_fmac_f32_e32 v146, v149, v145
	v_add_f32_e32 v151, v150, v146
	s_delay_alu instid0(VALU_DEP_1) | instskip(SKIP_1) | instid1(VALU_DEP_2)
	v_sub_f32_e32 v160, v148, v151
	v_sub_f32_e32 v70, v151, v150
	;; [unrolled: 1-line block ×3, first 2 shown]
	s_delay_alu instid0(VALU_DEP_2) | instskip(NEXT) | instid1(VALU_DEP_2)
	v_sub_f32_e32 v70, v70, v146
	v_sub_f32_e32 v148, v148, v151
	s_delay_alu instid0(VALU_DEP_1) | instskip(NEXT) | instid1(VALU_DEP_1)
	v_add_f32_e32 v65, v65, v148
	v_add_f32_e32 v65, v70, v65
	s_delay_alu instid0(VALU_DEP_1) | instskip(NEXT) | instid1(VALU_DEP_1)
	v_add_f32_e32 v70, v160, v65
	v_mul_f32_e32 v146, v68, v70
	s_delay_alu instid0(VALU_DEP_1) | instskip(NEXT) | instid1(VALU_DEP_1)
	v_mul_f32_e32 v148, v147, v146
	v_fma_f32 v147, v146, v147, -v148
	s_delay_alu instid0(VALU_DEP_1) | instskip(NEXT) | instid1(VALU_DEP_1)
	v_fmac_f32_e32 v147, v146, v145
	v_add_f32_e32 v145, v148, v147
	s_delay_alu instid0(VALU_DEP_1) | instskip(NEXT) | instid1(VALU_DEP_1)
	v_dual_sub_f32 v151, v160, v70 :: v_dual_sub_f32 v150, v70, v145
	v_sub_f32_e32 v70, v70, v150
	v_sub_f32_e32 v148, v145, v148
	s_delay_alu instid0(VALU_DEP_2) | instskip(NEXT) | instid1(VALU_DEP_2)
	v_dual_sub_f32 v70, v70, v145 :: v_dual_add_f32 v65, v65, v151
	v_sub_f32_e32 v145, v148, v147
	s_delay_alu instid0(VALU_DEP_2) | instskip(SKIP_1) | instid1(VALU_DEP_2)
	v_add_f32_e32 v65, v65, v70
	v_add_f32_e32 v70, v149, v146
	;; [unrolled: 1-line block ×3, first 2 shown]
	s_delay_alu instid0(VALU_DEP_2) | instskip(NEXT) | instid1(VALU_DEP_2)
	v_sub_f32_e32 v145, v70, v149
	v_add_f32_e32 v65, v150, v65
	s_delay_alu instid0(VALU_DEP_2) | instskip(NEXT) | instid1(VALU_DEP_2)
	v_sub_f32_e32 v145, v146, v145
	v_mul_f32_e32 v65, v68, v65
	s_delay_alu instid0(VALU_DEP_1) | instskip(NEXT) | instid1(VALU_DEP_1)
	v_add_f32_e32 v65, v145, v65
	v_add_f32_e32 v68, v70, v65
	s_delay_alu instid0(VALU_DEP_1) | instskip(NEXT) | instid1(VALU_DEP_1)
	v_mul_f32_e32 v145, v68, v68
	v_fmaak_f32 v146, s4, v145, 0x3ecc95a3
	v_mul_f32_e32 v147, v68, v145
	v_cmp_gt_f32_e64 s4, 0x33800000, |v66|
	s_delay_alu instid0(VALU_DEP_3) | instskip(SKIP_2) | instid1(VALU_DEP_4)
	v_fmaak_f32 v145, v145, v146, 0x3f2aaada
	v_ldexp_f32 v146, v68, 1
	v_sub_f32_e32 v68, v68, v70
	s_or_b32 vcc_lo, vcc_lo, s4
	s_delay_alu instid0(VALU_DEP_3) | instskip(NEXT) | instid1(VALU_DEP_1)
	v_mul_f32_e32 v145, v147, v145
	v_dual_sub_f32 v65, v65, v68 :: v_dual_add_f32 v70, v146, v145
	s_delay_alu instid0(VALU_DEP_1) | instskip(NEXT) | instid1(VALU_DEP_2)
	v_ldexp_f32 v65, v65, 1
	v_sub_f32_e32 v68, v70, v146
	s_delay_alu instid0(VALU_DEP_1) | instskip(NEXT) | instid1(VALU_DEP_1)
	v_sub_f32_e32 v68, v145, v68
	v_add_f32_e32 v65, v65, v68
	s_delay_alu instid0(VALU_DEP_1) | instskip(NEXT) | instid1(VALU_DEP_1)
	v_add_f32_e32 v145, v70, v65
	v_dual_mul_f32 v147, 0x3f317218, v64 :: v_dual_sub_f32 v70, v145, v70
	s_delay_alu instid0(VALU_DEP_1) | instskip(NEXT) | instid1(VALU_DEP_1)
	v_fma_f32 v146, 0x3f317218, v64, -v147
	v_fmamk_f32 v64, v64, 0xb102e308, v146
	s_delay_alu instid0(VALU_DEP_1) | instskip(NEXT) | instid1(VALU_DEP_1)
	v_add_f32_e32 v68, v147, v64
	v_add_f32_e32 v146, v68, v145
	s_delay_alu instid0(VALU_DEP_1) | instskip(NEXT) | instid1(VALU_DEP_1)
	v_dual_sub_f32 v148, v146, v68 :: v_dual_sub_f32 v147, v68, v147
	v_sub_f32_e32 v149, v146, v148
	s_delay_alu instid0(VALU_DEP_1) | instskip(SKIP_1) | instid1(VALU_DEP_4)
	v_dual_sub_f32 v68, v68, v149 :: v_dual_sub_f32 v65, v65, v70
	v_sub_f32_e32 v70, v145, v148
	v_sub_f32_e32 v64, v64, v147
	s_delay_alu instid0(VALU_DEP_1) | instskip(NEXT) | instid1(VALU_DEP_1)
	v_dual_add_f32 v68, v70, v68 :: v_dual_add_f32 v145, v64, v65
	v_sub_f32_e32 v70, v145, v64
	s_delay_alu instid0(VALU_DEP_2) | instskip(NEXT) | instid1(VALU_DEP_2)
	v_add_f32_e32 v68, v145, v68
	v_sub_f32_e32 v145, v145, v70
	s_delay_alu instid0(VALU_DEP_2) | instskip(NEXT) | instid1(VALU_DEP_2)
	v_add_f32_e32 v147, v146, v68
	v_dual_sub_f32 v65, v65, v70 :: v_dual_sub_f32 v64, v64, v145
	s_delay_alu instid0(VALU_DEP_2) | instskip(NEXT) | instid1(VALU_DEP_1)
	v_sub_f32_e32 v70, v147, v146
	v_dual_add_f32 v64, v65, v64 :: v_dual_sub_f32 v65, v68, v70
	s_delay_alu instid0(VALU_DEP_1) | instskip(NEXT) | instid1(VALU_DEP_1)
	v_add_f32_e32 v64, v64, v65
	v_add_f32_e32 v64, v147, v64
	s_delay_alu instid0(VALU_DEP_1) | instskip(NEXT) | instid1(VALU_DEP_1)
	v_cndmask_b32_e32 v64, v64, v66, vcc_lo
	v_add_f32_e32 v64, v23, v64
.LBB481_202:
	s_or_b32 exec_lo, exec_lo, s3
	s_delay_alu instid0(VALU_DEP_1) | instskip(SKIP_1) | instid1(VALU_DEP_2)
	v_bfe_u32 v23, v64, 16, 1
	v_cmp_o_f32_e32 vcc_lo, v64, v64
	v_add3_u32 v23, v64, v23, 0x7fff
	s_delay_alu instid0(VALU_DEP_1) | instskip(NEXT) | instid1(VALU_DEP_1)
	v_lshrrev_b32_e32 v23, 16, v23
	v_cndmask_b32_e32 v23, 0x7fc0, v23, vcc_lo
	s_delay_alu instid0(VALU_DEP_1) | instskip(NEXT) | instid1(VALU_DEP_1)
	v_lshlrev_b32_e32 v65, 16, v23
	v_max_f32_e32 v64, v65, v65
	s_delay_alu instid0(VALU_DEP_1) | instskip(SKIP_2) | instid1(VALU_DEP_3)
	v_min_f32_e32 v66, v64, v80
	v_max_f32_e32 v64, v64, v80
	v_cmp_u_f32_e32 vcc_lo, v65, v65
	v_cndmask_b32_e32 v66, v66, v65, vcc_lo
	s_delay_alu instid0(VALU_DEP_3) | instskip(NEXT) | instid1(VALU_DEP_2)
	v_cndmask_b32_e32 v64, v64, v65, vcc_lo
	v_cndmask_b32_e64 v66, v66, v67, s6
	s_delay_alu instid0(VALU_DEP_2) | instskip(NEXT) | instid1(VALU_DEP_2)
	v_cndmask_b32_e64 v64, v64, v67, s6
	v_cmp_class_f32_e64 s3, v66, 0x1f8
	s_delay_alu instid0(VALU_DEP_2) | instskip(NEXT) | instid1(VALU_DEP_2)
	v_cmp_neq_f32_e32 vcc_lo, v66, v64
	s_or_b32 s4, vcc_lo, s3
	s_delay_alu instid0(SALU_CYCLE_1)
	s_and_saveexec_b32 s3, s4
	s_cbranch_execz .LBB481_204
; %bb.203:
	v_sub_f32_e32 v65, v66, v64
	s_mov_b32 s4, 0x3e9b6dac
	s_delay_alu instid0(VALU_DEP_1) | instskip(SKIP_1) | instid1(VALU_DEP_2)
	v_mul_f32_e32 v66, 0x3fb8aa3b, v65
	v_cmp_ngt_f32_e32 vcc_lo, 0xc2ce8ed0, v65
	v_fma_f32 v67, 0x3fb8aa3b, v65, -v66
	v_rndne_f32_e32 v68, v66
	s_delay_alu instid0(VALU_DEP_1) | instskip(NEXT) | instid1(VALU_DEP_1)
	v_dual_fmamk_f32 v67, v65, 0x32a5705f, v67 :: v_dual_sub_f32 v66, v66, v68
	v_add_f32_e32 v66, v66, v67
	v_cvt_i32_f32_e32 v67, v68
	s_delay_alu instid0(VALU_DEP_2) | instskip(SKIP_2) | instid1(VALU_DEP_1)
	v_exp_f32_e32 v66, v66
	s_waitcnt_depctr 0xfff
	v_ldexp_f32 v66, v66, v67
	v_cndmask_b32_e32 v66, 0, v66, vcc_lo
	v_cmp_nlt_f32_e32 vcc_lo, 0x42b17218, v65
	s_delay_alu instid0(VALU_DEP_2) | instskip(NEXT) | instid1(VALU_DEP_1)
	v_cndmask_b32_e32 v67, 0x7f800000, v66, vcc_lo
	v_add_f32_e32 v68, 1.0, v67
	s_delay_alu instid0(VALU_DEP_1) | instskip(NEXT) | instid1(VALU_DEP_1)
	v_cvt_f64_f32_e32 v[65:66], v68
	v_frexp_exp_i32_f64_e32 v65, v[65:66]
	v_frexp_mant_f32_e32 v66, v68
	s_delay_alu instid0(VALU_DEP_1) | instskip(SKIP_1) | instid1(VALU_DEP_1)
	v_cmp_gt_f32_e32 vcc_lo, 0x3f2aaaab, v66
	v_add_f32_e32 v66, -1.0, v68
	v_sub_f32_e32 v80, v66, v68
	v_sub_f32_e32 v66, v67, v66
	s_delay_alu instid0(VALU_DEP_2) | instskip(NEXT) | instid1(VALU_DEP_1)
	v_add_f32_e32 v80, 1.0, v80
	v_add_f32_e32 v66, v66, v80
	v_subrev_co_ci_u32_e32 v65, vcc_lo, 0, v65, vcc_lo
	v_cmp_eq_f32_e32 vcc_lo, 0x7f800000, v67
	s_delay_alu instid0(VALU_DEP_2) | instskip(SKIP_1) | instid1(VALU_DEP_2)
	v_sub_nc_u32_e32 v70, 0, v65
	v_cvt_f32_i32_e32 v65, v65
	v_ldexp_f32 v68, v68, v70
	v_ldexp_f32 v66, v66, v70
	s_delay_alu instid0(VALU_DEP_2) | instskip(SKIP_1) | instid1(VALU_DEP_2)
	v_add_f32_e32 v145, 1.0, v68
	v_add_f32_e32 v70, -1.0, v68
	v_add_f32_e32 v80, -1.0, v145
	s_delay_alu instid0(VALU_DEP_2) | instskip(NEXT) | instid1(VALU_DEP_2)
	v_add_f32_e32 v146, 1.0, v70
	v_sub_f32_e32 v80, v68, v80
	s_delay_alu instid0(VALU_DEP_2) | instskip(NEXT) | instid1(VALU_DEP_2)
	v_sub_f32_e32 v68, v68, v146
	v_add_f32_e32 v80, v66, v80
	s_delay_alu instid0(VALU_DEP_2) | instskip(NEXT) | instid1(VALU_DEP_1)
	v_add_f32_e32 v66, v66, v68
	v_dual_add_f32 v146, v145, v80 :: v_dual_add_f32 v147, v70, v66
	s_delay_alu instid0(VALU_DEP_1) | instskip(NEXT) | instid1(VALU_DEP_1)
	v_rcp_f32_e32 v68, v146
	v_dual_sub_f32 v145, v145, v146 :: v_dual_sub_f32 v70, v70, v147
	s_delay_alu instid0(VALU_DEP_1) | instskip(NEXT) | instid1(VALU_DEP_2)
	v_add_f32_e32 v80, v80, v145
	v_add_f32_e32 v66, v66, v70
	s_waitcnt_depctr 0xfff
	v_mul_f32_e32 v148, v147, v68
	s_delay_alu instid0(VALU_DEP_1) | instskip(NEXT) | instid1(VALU_DEP_1)
	v_mul_f32_e32 v149, v146, v148
	v_fma_f32 v145, v148, v146, -v149
	s_delay_alu instid0(VALU_DEP_1) | instskip(NEXT) | instid1(VALU_DEP_1)
	v_fmac_f32_e32 v145, v148, v80
	v_add_f32_e32 v150, v149, v145
	s_delay_alu instid0(VALU_DEP_1) | instskip(NEXT) | instid1(VALU_DEP_1)
	v_dual_sub_f32 v151, v147, v150 :: v_dual_sub_f32 v70, v150, v149
	v_dual_sub_f32 v147, v147, v151 :: v_dual_sub_f32 v70, v70, v145
	s_delay_alu instid0(VALU_DEP_1) | instskip(NEXT) | instid1(VALU_DEP_1)
	v_sub_f32_e32 v147, v147, v150
	v_add_f32_e32 v66, v66, v147
	s_delay_alu instid0(VALU_DEP_1) | instskip(NEXT) | instid1(VALU_DEP_1)
	v_add_f32_e32 v66, v70, v66
	v_add_f32_e32 v70, v151, v66
	s_delay_alu instid0(VALU_DEP_1) | instskip(NEXT) | instid1(VALU_DEP_1)
	v_mul_f32_e32 v145, v68, v70
	v_dual_sub_f32 v150, v151, v70 :: v_dual_mul_f32 v147, v146, v145
	s_delay_alu instid0(VALU_DEP_1) | instskip(NEXT) | instid1(VALU_DEP_2)
	v_add_f32_e32 v66, v66, v150
	v_fma_f32 v146, v145, v146, -v147
	s_delay_alu instid0(VALU_DEP_1) | instskip(NEXT) | instid1(VALU_DEP_1)
	v_fmac_f32_e32 v146, v145, v80
	v_add_f32_e32 v80, v147, v146
	s_delay_alu instid0(VALU_DEP_1) | instskip(NEXT) | instid1(VALU_DEP_1)
	v_sub_f32_e32 v149, v70, v80
	v_dual_sub_f32 v147, v80, v147 :: v_dual_sub_f32 v70, v70, v149
	s_delay_alu instid0(VALU_DEP_1) | instskip(NEXT) | instid1(VALU_DEP_2)
	v_sub_f32_e32 v70, v70, v80
	v_sub_f32_e32 v80, v147, v146
	s_delay_alu instid0(VALU_DEP_2) | instskip(SKIP_1) | instid1(VALU_DEP_2)
	v_add_f32_e32 v66, v66, v70
	v_add_f32_e32 v70, v148, v145
	;; [unrolled: 1-line block ×3, first 2 shown]
	s_delay_alu instid0(VALU_DEP_2) | instskip(NEXT) | instid1(VALU_DEP_2)
	v_sub_f32_e32 v80, v70, v148
	v_add_f32_e32 v66, v149, v66
	s_delay_alu instid0(VALU_DEP_2) | instskip(NEXT) | instid1(VALU_DEP_2)
	v_sub_f32_e32 v80, v145, v80
	v_mul_f32_e32 v66, v68, v66
	s_delay_alu instid0(VALU_DEP_1) | instskip(NEXT) | instid1(VALU_DEP_1)
	v_add_f32_e32 v66, v80, v66
	v_add_f32_e32 v68, v70, v66
	s_delay_alu instid0(VALU_DEP_1) | instskip(NEXT) | instid1(VALU_DEP_1)
	v_mul_f32_e32 v80, v68, v68
	v_fmaak_f32 v145, s4, v80, 0x3ecc95a3
	v_mul_f32_e32 v146, v68, v80
	v_cmp_gt_f32_e64 s4, 0x33800000, |v67|
	s_delay_alu instid0(VALU_DEP_3) | instskip(SKIP_2) | instid1(VALU_DEP_4)
	v_fmaak_f32 v80, v80, v145, 0x3f2aaada
	v_ldexp_f32 v145, v68, 1
	v_sub_f32_e32 v68, v68, v70
	s_or_b32 vcc_lo, vcc_lo, s4
	s_delay_alu instid0(VALU_DEP_3) | instskip(SKIP_1) | instid1(VALU_DEP_3)
	v_mul_f32_e32 v80, v146, v80
	v_mul_f32_e32 v146, 0x3f317218, v65
	v_sub_f32_e32 v66, v66, v68
	s_delay_alu instid0(VALU_DEP_3) | instskip(NEXT) | instid1(VALU_DEP_2)
	v_add_f32_e32 v70, v145, v80
	v_ldexp_f32 v66, v66, 1
	s_delay_alu instid0(VALU_DEP_2) | instskip(SKIP_1) | instid1(VALU_DEP_1)
	v_sub_f32_e32 v68, v70, v145
	v_fma_f32 v145, 0x3f317218, v65, -v146
	v_dual_sub_f32 v68, v80, v68 :: v_dual_fmamk_f32 v65, v65, 0xb102e308, v145
	s_delay_alu instid0(VALU_DEP_1) | instskip(NEXT) | instid1(VALU_DEP_2)
	v_add_f32_e32 v66, v66, v68
	v_add_f32_e32 v68, v146, v65
	s_delay_alu instid0(VALU_DEP_2) | instskip(NEXT) | instid1(VALU_DEP_2)
	v_add_f32_e32 v80, v70, v66
	v_sub_f32_e32 v146, v68, v146
	s_delay_alu instid0(VALU_DEP_2) | instskip(SKIP_1) | instid1(VALU_DEP_3)
	v_add_f32_e32 v145, v68, v80
	v_sub_f32_e32 v70, v80, v70
	v_sub_f32_e32 v65, v65, v146
	s_delay_alu instid0(VALU_DEP_2) | instskip(NEXT) | instid1(VALU_DEP_1)
	v_dual_sub_f32 v147, v145, v68 :: v_dual_sub_f32 v66, v66, v70
	v_sub_f32_e32 v148, v145, v147
	v_sub_f32_e32 v70, v80, v147
	s_delay_alu instid0(VALU_DEP_3) | instskip(NEXT) | instid1(VALU_DEP_3)
	v_add_f32_e32 v80, v65, v66
	v_sub_f32_e32 v68, v68, v148
	s_delay_alu instid0(VALU_DEP_1) | instskip(NEXT) | instid1(VALU_DEP_3)
	v_add_f32_e32 v68, v70, v68
	v_sub_f32_e32 v70, v80, v65
	s_delay_alu instid0(VALU_DEP_2) | instskip(NEXT) | instid1(VALU_DEP_2)
	v_add_f32_e32 v68, v80, v68
	v_sub_f32_e32 v80, v80, v70
	v_sub_f32_e32 v66, v66, v70
	s_delay_alu instid0(VALU_DEP_3) | instskip(NEXT) | instid1(VALU_DEP_1)
	v_add_f32_e32 v146, v145, v68
	v_dual_sub_f32 v65, v65, v80 :: v_dual_sub_f32 v70, v146, v145
	s_delay_alu instid0(VALU_DEP_1) | instskip(NEXT) | instid1(VALU_DEP_1)
	v_dual_add_f32 v65, v66, v65 :: v_dual_sub_f32 v66, v68, v70
	v_add_f32_e32 v65, v65, v66
	s_delay_alu instid0(VALU_DEP_1) | instskip(NEXT) | instid1(VALU_DEP_1)
	v_add_f32_e32 v65, v146, v65
	v_cndmask_b32_e32 v65, v65, v67, vcc_lo
	s_delay_alu instid0(VALU_DEP_1)
	v_add_f32_e32 v65, v64, v65
.LBB481_204:
	s_or_b32 exec_lo, exec_lo, s3
	s_delay_alu instid0(VALU_DEP_1) | instskip(SKIP_1) | instid1(VALU_DEP_2)
	v_bfe_u32 v64, v65, 16, 1
	v_cmp_o_f32_e32 vcc_lo, v65, v65
	v_add3_u32 v64, v65, v64, 0x7fff
	s_delay_alu instid0(VALU_DEP_1) | instskip(NEXT) | instid1(VALU_DEP_1)
	v_lshrrev_b32_e32 v64, 16, v64
	v_cndmask_b32_e32 v64, 0x7fc0, v64, vcc_lo
	s_delay_alu instid0(VALU_DEP_1) | instskip(NEXT) | instid1(VALU_DEP_1)
	v_lshlrev_b32_e32 v66, 16, v64
	v_max_f32_e32 v65, v66, v66
	s_delay_alu instid0(VALU_DEP_1) | instskip(SKIP_2) | instid1(VALU_DEP_3)
	v_min_f32_e32 v67, v65, v82
	v_max_f32_e32 v65, v65, v82
	v_cmp_u_f32_e32 vcc_lo, v66, v66
	v_cndmask_b32_e32 v67, v67, v66, vcc_lo
	s_delay_alu instid0(VALU_DEP_3) | instskip(NEXT) | instid1(VALU_DEP_2)
	v_cndmask_b32_e32 v65, v65, v66, vcc_lo
	v_cndmask_b32_e64 v67, v67, v69, s7
	s_delay_alu instid0(VALU_DEP_2) | instskip(NEXT) | instid1(VALU_DEP_2)
	v_cndmask_b32_e64 v65, v65, v69, s7
	v_cmp_class_f32_e64 s3, v67, 0x1f8
	s_delay_alu instid0(VALU_DEP_2) | instskip(NEXT) | instid1(VALU_DEP_2)
	v_cmp_neq_f32_e32 vcc_lo, v67, v65
	s_or_b32 s4, vcc_lo, s3
	s_delay_alu instid0(SALU_CYCLE_1)
	s_and_saveexec_b32 s3, s4
	s_cbranch_execz .LBB481_206
; %bb.205:
	v_sub_f32_e32 v66, v67, v65
	s_mov_b32 s4, 0x3e9b6dac
	s_delay_alu instid0(VALU_DEP_1) | instskip(SKIP_1) | instid1(VALU_DEP_2)
	v_mul_f32_e32 v67, 0x3fb8aa3b, v66
	v_cmp_ngt_f32_e32 vcc_lo, 0xc2ce8ed0, v66
	v_fma_f32 v68, 0x3fb8aa3b, v66, -v67
	v_rndne_f32_e32 v69, v67
	s_delay_alu instid0(VALU_DEP_1) | instskip(NEXT) | instid1(VALU_DEP_1)
	v_dual_fmamk_f32 v68, v66, 0x32a5705f, v68 :: v_dual_sub_f32 v67, v67, v69
	v_add_f32_e32 v67, v67, v68
	v_cvt_i32_f32_e32 v68, v69
	s_delay_alu instid0(VALU_DEP_2) | instskip(SKIP_2) | instid1(VALU_DEP_1)
	v_exp_f32_e32 v67, v67
	s_waitcnt_depctr 0xfff
	v_ldexp_f32 v67, v67, v68
	v_cndmask_b32_e32 v67, 0, v67, vcc_lo
	v_cmp_nlt_f32_e32 vcc_lo, 0x42b17218, v66
	s_delay_alu instid0(VALU_DEP_2) | instskip(NEXT) | instid1(VALU_DEP_1)
	v_cndmask_b32_e32 v68, 0x7f800000, v67, vcc_lo
	v_add_f32_e32 v69, 1.0, v68
	s_delay_alu instid0(VALU_DEP_1) | instskip(NEXT) | instid1(VALU_DEP_1)
	v_cvt_f64_f32_e32 v[66:67], v69
	v_frexp_exp_i32_f64_e32 v66, v[66:67]
	v_frexp_mant_f32_e32 v67, v69
	s_delay_alu instid0(VALU_DEP_1) | instskip(SKIP_1) | instid1(VALU_DEP_1)
	v_cmp_gt_f32_e32 vcc_lo, 0x3f2aaaab, v67
	v_add_f32_e32 v67, -1.0, v69
	v_dual_sub_f32 v80, v67, v69 :: v_dual_sub_f32 v67, v68, v67
	s_delay_alu instid0(VALU_DEP_1) | instskip(SKIP_2) | instid1(VALU_DEP_2)
	v_add_f32_e32 v80, 1.0, v80
	v_subrev_co_ci_u32_e32 v66, vcc_lo, 0, v66, vcc_lo
	v_cmp_eq_f32_e32 vcc_lo, 0x7f800000, v68
	v_sub_nc_u32_e32 v70, 0, v66
	v_cvt_f32_i32_e32 v66, v66
	s_delay_alu instid0(VALU_DEP_2) | instskip(NEXT) | instid1(VALU_DEP_1)
	v_ldexp_f32 v69, v69, v70
	v_dual_add_f32 v67, v67, v80 :: v_dual_add_f32 v82, 1.0, v69
	s_delay_alu instid0(VALU_DEP_1) | instskip(SKIP_1) | instid1(VALU_DEP_3)
	v_ldexp_f32 v67, v67, v70
	v_add_f32_e32 v70, -1.0, v69
	v_add_f32_e32 v80, -1.0, v82
	s_delay_alu instid0(VALU_DEP_1) | instskip(NEXT) | instid1(VALU_DEP_1)
	v_dual_add_f32 v145, 1.0, v70 :: v_dual_sub_f32 v80, v69, v80
	v_dual_sub_f32 v69, v69, v145 :: v_dual_add_f32 v80, v67, v80
	s_delay_alu instid0(VALU_DEP_1) | instskip(NEXT) | instid1(VALU_DEP_1)
	v_add_f32_e32 v145, v82, v80
	v_sub_f32_e32 v82, v82, v145
	s_delay_alu instid0(VALU_DEP_1) | instskip(SKIP_1) | instid1(VALU_DEP_1)
	v_dual_add_f32 v80, v80, v82 :: v_dual_add_f32 v67, v67, v69
	v_rcp_f32_e32 v69, v145
	v_add_f32_e32 v146, v70, v67
	s_waitcnt_depctr 0xfff
	v_mul_f32_e32 v147, v146, v69
	s_delay_alu instid0(VALU_DEP_1) | instskip(NEXT) | instid1(VALU_DEP_1)
	v_mul_f32_e32 v148, v145, v147
	v_fma_f32 v82, v147, v145, -v148
	s_delay_alu instid0(VALU_DEP_1) | instskip(NEXT) | instid1(VALU_DEP_1)
	v_fmac_f32_e32 v82, v147, v80
	v_add_f32_e32 v149, v148, v82
	v_sub_f32_e32 v70, v70, v146
	s_delay_alu instid0(VALU_DEP_1) | instskip(SKIP_1) | instid1(VALU_DEP_2)
	v_dual_add_f32 v67, v67, v70 :: v_dual_sub_f32 v150, v146, v149
	v_sub_f32_e32 v70, v149, v148
	v_sub_f32_e32 v146, v146, v150
	s_delay_alu instid0(VALU_DEP_2) | instskip(NEXT) | instid1(VALU_DEP_2)
	v_sub_f32_e32 v70, v70, v82
	v_sub_f32_e32 v146, v146, v149
	s_delay_alu instid0(VALU_DEP_1) | instskip(NEXT) | instid1(VALU_DEP_1)
	v_add_f32_e32 v67, v67, v146
	v_add_f32_e32 v67, v70, v67
	s_delay_alu instid0(VALU_DEP_1) | instskip(NEXT) | instid1(VALU_DEP_1)
	v_add_f32_e32 v70, v150, v67
	v_mul_f32_e32 v82, v69, v70
	v_sub_f32_e32 v149, v150, v70
	s_delay_alu instid0(VALU_DEP_1) | instskip(NEXT) | instid1(VALU_DEP_1)
	v_dual_mul_f32 v146, v145, v82 :: v_dual_add_f32 v67, v67, v149
	v_fma_f32 v145, v82, v145, -v146
	s_delay_alu instid0(VALU_DEP_1) | instskip(NEXT) | instid1(VALU_DEP_1)
	v_fmac_f32_e32 v145, v82, v80
	v_add_f32_e32 v80, v146, v145
	s_delay_alu instid0(VALU_DEP_1) | instskip(NEXT) | instid1(VALU_DEP_1)
	v_sub_f32_e32 v148, v70, v80
	v_sub_f32_e32 v70, v70, v148
	s_delay_alu instid0(VALU_DEP_1) | instskip(NEXT) | instid1(VALU_DEP_1)
	v_sub_f32_e32 v70, v70, v80
	v_add_f32_e32 v67, v67, v70
	v_add_f32_e32 v70, v147, v82
	v_sub_f32_e32 v146, v80, v146
	s_delay_alu instid0(VALU_DEP_1) | instskip(NEXT) | instid1(VALU_DEP_1)
	v_sub_f32_e32 v80, v146, v145
	v_add_f32_e32 v67, v80, v67
	s_delay_alu instid0(VALU_DEP_4) | instskip(NEXT) | instid1(VALU_DEP_1)
	v_sub_f32_e32 v80, v70, v147
	v_dual_add_f32 v67, v148, v67 :: v_dual_sub_f32 v80, v82, v80
	s_delay_alu instid0(VALU_DEP_1) | instskip(NEXT) | instid1(VALU_DEP_1)
	v_mul_f32_e32 v67, v69, v67
	v_add_f32_e32 v67, v80, v67
	s_delay_alu instid0(VALU_DEP_1) | instskip(NEXT) | instid1(VALU_DEP_1)
	v_add_f32_e32 v69, v70, v67
	v_mul_f32_e32 v80, v69, v69
	s_delay_alu instid0(VALU_DEP_1) | instskip(SKIP_2) | instid1(VALU_DEP_3)
	v_fmaak_f32 v82, s4, v80, 0x3ecc95a3
	v_mul_f32_e32 v145, v69, v80
	v_cmp_gt_f32_e64 s4, 0x33800000, |v68|
	v_fmaak_f32 v80, v80, v82, 0x3f2aaada
	v_ldexp_f32 v82, v69, 1
	v_sub_f32_e32 v69, v69, v70
	s_delay_alu instid0(VALU_DEP_4) | instskip(NEXT) | instid1(VALU_DEP_3)
	s_or_b32 vcc_lo, vcc_lo, s4
	v_dual_mul_f32 v80, v145, v80 :: v_dual_mul_f32 v145, 0x3f317218, v66
	s_delay_alu instid0(VALU_DEP_1) | instskip(NEXT) | instid1(VALU_DEP_1)
	v_dual_sub_f32 v67, v67, v69 :: v_dual_add_f32 v70, v82, v80
	v_ldexp_f32 v67, v67, 1
	s_delay_alu instid0(VALU_DEP_2) | instskip(NEXT) | instid1(VALU_DEP_4)
	v_sub_f32_e32 v69, v70, v82
	v_fma_f32 v82, 0x3f317218, v66, -v145
	s_delay_alu instid0(VALU_DEP_2) | instskip(NEXT) | instid1(VALU_DEP_1)
	v_sub_f32_e32 v69, v80, v69
	v_add_f32_e32 v67, v67, v69
	s_delay_alu instid0(VALU_DEP_1) | instskip(NEXT) | instid1(VALU_DEP_1)
	v_add_f32_e32 v80, v70, v67
	v_sub_f32_e32 v70, v80, v70
	s_delay_alu instid0(VALU_DEP_1) | instskip(NEXT) | instid1(VALU_DEP_1)
	v_dual_sub_f32 v67, v67, v70 :: v_dual_fmamk_f32 v66, v66, 0xb102e308, v82
	v_add_f32_e32 v69, v145, v66
	s_delay_alu instid0(VALU_DEP_1) | instskip(SKIP_1) | instid1(VALU_DEP_2)
	v_add_f32_e32 v82, v69, v80
	v_sub_f32_e32 v145, v69, v145
	v_sub_f32_e32 v146, v82, v69
	s_delay_alu instid0(VALU_DEP_2) | instskip(NEXT) | instid1(VALU_DEP_2)
	v_sub_f32_e32 v66, v66, v145
	v_sub_f32_e32 v147, v82, v146
	;; [unrolled: 1-line block ×3, first 2 shown]
	s_delay_alu instid0(VALU_DEP_3) | instskip(NEXT) | instid1(VALU_DEP_3)
	v_add_f32_e32 v80, v66, v67
	v_sub_f32_e32 v69, v69, v147
	s_delay_alu instid0(VALU_DEP_1) | instskip(NEXT) | instid1(VALU_DEP_1)
	v_dual_add_f32 v69, v70, v69 :: v_dual_sub_f32 v70, v80, v66
	v_add_f32_e32 v69, v80, v69
	s_delay_alu instid0(VALU_DEP_2) | instskip(SKIP_1) | instid1(VALU_DEP_3)
	v_sub_f32_e32 v80, v80, v70
	v_sub_f32_e32 v67, v67, v70
	v_add_f32_e32 v145, v82, v69
	s_delay_alu instid0(VALU_DEP_3) | instskip(NEXT) | instid1(VALU_DEP_2)
	v_sub_f32_e32 v66, v66, v80
	v_sub_f32_e32 v70, v145, v82
	s_delay_alu instid0(VALU_DEP_2) | instskip(NEXT) | instid1(VALU_DEP_2)
	v_add_f32_e32 v66, v67, v66
	v_sub_f32_e32 v67, v69, v70
	s_delay_alu instid0(VALU_DEP_1) | instskip(NEXT) | instid1(VALU_DEP_1)
	v_add_f32_e32 v66, v66, v67
	v_add_f32_e32 v66, v145, v66
	s_delay_alu instid0(VALU_DEP_1) | instskip(NEXT) | instid1(VALU_DEP_1)
	v_cndmask_b32_e32 v66, v66, v68, vcc_lo
	v_add_f32_e32 v66, v65, v66
.LBB481_206:
	s_or_b32 exec_lo, exec_lo, s3
	s_delay_alu instid0(VALU_DEP_1) | instskip(SKIP_1) | instid1(VALU_DEP_2)
	v_bfe_u32 v65, v66, 16, 1
	v_cmp_o_f32_e32 vcc_lo, v66, v66
	v_add3_u32 v65, v66, v65, 0x7fff
	s_delay_alu instid0(VALU_DEP_1) | instskip(NEXT) | instid1(VALU_DEP_1)
	v_lshrrev_b32_e32 v65, 16, v65
	v_cndmask_b32_e32 v65, 0x7fc0, v65, vcc_lo
	s_delay_alu instid0(VALU_DEP_1) | instskip(NEXT) | instid1(VALU_DEP_1)
	v_lshlrev_b32_e32 v67, 16, v65
	v_max_f32_e32 v66, v67, v67
	s_delay_alu instid0(VALU_DEP_1) | instskip(SKIP_2) | instid1(VALU_DEP_3)
	v_min_f32_e32 v68, v66, v84
	v_max_f32_e32 v66, v66, v84
	v_cmp_u_f32_e32 vcc_lo, v67, v67
	v_cndmask_b32_e32 v68, v68, v67, vcc_lo
	s_delay_alu instid0(VALU_DEP_3) | instskip(NEXT) | instid1(VALU_DEP_2)
	v_cndmask_b32_e32 v66, v66, v67, vcc_lo
	v_cndmask_b32_e64 v68, v68, v71, s8
	s_delay_alu instid0(VALU_DEP_2) | instskip(NEXT) | instid1(VALU_DEP_2)
	v_cndmask_b32_e64 v66, v66, v71, s8
	v_cmp_class_f32_e64 s3, v68, 0x1f8
	s_delay_alu instid0(VALU_DEP_2) | instskip(NEXT) | instid1(VALU_DEP_2)
	v_cmp_neq_f32_e32 vcc_lo, v68, v66
	s_or_b32 s4, vcc_lo, s3
	s_delay_alu instid0(SALU_CYCLE_1)
	s_and_saveexec_b32 s3, s4
	s_cbranch_execz .LBB481_208
; %bb.207:
	v_sub_f32_e32 v67, v68, v66
	s_mov_b32 s4, 0x3e9b6dac
	s_delay_alu instid0(VALU_DEP_1) | instskip(SKIP_1) | instid1(VALU_DEP_2)
	v_mul_f32_e32 v68, 0x3fb8aa3b, v67
	v_cmp_ngt_f32_e32 vcc_lo, 0xc2ce8ed0, v67
	v_fma_f32 v69, 0x3fb8aa3b, v67, -v68
	v_rndne_f32_e32 v70, v68
	s_delay_alu instid0(VALU_DEP_1) | instskip(NEXT) | instid1(VALU_DEP_1)
	v_dual_fmamk_f32 v69, v67, 0x32a5705f, v69 :: v_dual_sub_f32 v68, v68, v70
	v_add_f32_e32 v68, v68, v69
	v_cvt_i32_f32_e32 v69, v70
	s_delay_alu instid0(VALU_DEP_2) | instskip(SKIP_2) | instid1(VALU_DEP_1)
	v_exp_f32_e32 v68, v68
	s_waitcnt_depctr 0xfff
	v_ldexp_f32 v68, v68, v69
	v_cndmask_b32_e32 v68, 0, v68, vcc_lo
	v_cmp_nlt_f32_e32 vcc_lo, 0x42b17218, v67
	s_delay_alu instid0(VALU_DEP_2) | instskip(NEXT) | instid1(VALU_DEP_1)
	v_cndmask_b32_e32 v69, 0x7f800000, v68, vcc_lo
	v_add_f32_e32 v70, 1.0, v69
	s_delay_alu instid0(VALU_DEP_1) | instskip(NEXT) | instid1(VALU_DEP_1)
	v_cvt_f64_f32_e32 v[67:68], v70
	v_frexp_exp_i32_f64_e32 v67, v[67:68]
	v_frexp_mant_f32_e32 v68, v70
	s_delay_alu instid0(VALU_DEP_1) | instskip(SKIP_1) | instid1(VALU_DEP_1)
	v_cmp_gt_f32_e32 vcc_lo, 0x3f2aaaab, v68
	v_add_f32_e32 v68, -1.0, v70
	v_sub_f32_e32 v80, v68, v70
	v_sub_f32_e32 v68, v69, v68
	s_delay_alu instid0(VALU_DEP_2) | instskip(NEXT) | instid1(VALU_DEP_1)
	v_add_f32_e32 v80, 1.0, v80
	v_add_f32_e32 v68, v68, v80
	v_subrev_co_ci_u32_e32 v67, vcc_lo, 0, v67, vcc_lo
	v_cmp_eq_f32_e32 vcc_lo, 0x7f800000, v69
	s_delay_alu instid0(VALU_DEP_2) | instskip(SKIP_1) | instid1(VALU_DEP_2)
	v_sub_nc_u32_e32 v71, 0, v67
	v_cvt_f32_i32_e32 v67, v67
	v_ldexp_f32 v70, v70, v71
	v_ldexp_f32 v68, v68, v71
	s_delay_alu instid0(VALU_DEP_2) | instskip(SKIP_1) | instid1(VALU_DEP_2)
	v_add_f32_e32 v82, 1.0, v70
	v_add_f32_e32 v71, -1.0, v70
	v_add_f32_e32 v80, -1.0, v82
	s_delay_alu instid0(VALU_DEP_2) | instskip(NEXT) | instid1(VALU_DEP_2)
	v_add_f32_e32 v84, 1.0, v71
	v_sub_f32_e32 v80, v70, v80
	s_delay_alu instid0(VALU_DEP_2) | instskip(NEXT) | instid1(VALU_DEP_2)
	v_sub_f32_e32 v70, v70, v84
	v_add_f32_e32 v80, v68, v80
	s_delay_alu instid0(VALU_DEP_2) | instskip(NEXT) | instid1(VALU_DEP_2)
	v_add_f32_e32 v68, v68, v70
	v_add_f32_e32 v84, v82, v80
	s_delay_alu instid0(VALU_DEP_2) | instskip(NEXT) | instid1(VALU_DEP_2)
	v_add_f32_e32 v145, v71, v68
	v_rcp_f32_e32 v70, v84
	s_delay_alu instid0(VALU_DEP_1) | instskip(NEXT) | instid1(VALU_DEP_1)
	v_dual_sub_f32 v82, v82, v84 :: v_dual_sub_f32 v71, v71, v145
	v_add_f32_e32 v80, v80, v82
	s_waitcnt_depctr 0xfff
	v_mul_f32_e32 v146, v145, v70
	v_add_f32_e32 v68, v68, v71
	s_delay_alu instid0(VALU_DEP_2) | instskip(NEXT) | instid1(VALU_DEP_1)
	v_mul_f32_e32 v147, v84, v146
	v_fma_f32 v82, v146, v84, -v147
	s_delay_alu instid0(VALU_DEP_1) | instskip(NEXT) | instid1(VALU_DEP_1)
	v_fmac_f32_e32 v82, v146, v80
	v_add_f32_e32 v148, v147, v82
	s_delay_alu instid0(VALU_DEP_1) | instskip(SKIP_1) | instid1(VALU_DEP_2)
	v_sub_f32_e32 v149, v145, v148
	v_sub_f32_e32 v71, v148, v147
	;; [unrolled: 1-line block ×3, first 2 shown]
	s_delay_alu instid0(VALU_DEP_2) | instskip(NEXT) | instid1(VALU_DEP_2)
	v_sub_f32_e32 v71, v71, v82
	v_sub_f32_e32 v145, v145, v148
	s_delay_alu instid0(VALU_DEP_1) | instskip(NEXT) | instid1(VALU_DEP_1)
	v_add_f32_e32 v68, v68, v145
	v_add_f32_e32 v68, v71, v68
	s_delay_alu instid0(VALU_DEP_1) | instskip(NEXT) | instid1(VALU_DEP_1)
	v_add_f32_e32 v71, v149, v68
	v_mul_f32_e32 v82, v70, v71
	s_delay_alu instid0(VALU_DEP_1) | instskip(NEXT) | instid1(VALU_DEP_1)
	v_dual_sub_f32 v148, v149, v71 :: v_dual_mul_f32 v145, v84, v82
	v_add_f32_e32 v68, v68, v148
	s_delay_alu instid0(VALU_DEP_2) | instskip(NEXT) | instid1(VALU_DEP_1)
	v_fma_f32 v84, v82, v84, -v145
	v_fmac_f32_e32 v84, v82, v80
	s_delay_alu instid0(VALU_DEP_1) | instskip(NEXT) | instid1(VALU_DEP_1)
	v_add_f32_e32 v80, v145, v84
	v_sub_f32_e32 v147, v71, v80
	v_sub_f32_e32 v145, v80, v145
	s_delay_alu instid0(VALU_DEP_2) | instskip(NEXT) | instid1(VALU_DEP_1)
	v_sub_f32_e32 v71, v71, v147
	v_sub_f32_e32 v71, v71, v80
	s_delay_alu instid0(VALU_DEP_3) | instskip(NEXT) | instid1(VALU_DEP_2)
	v_sub_f32_e32 v80, v145, v84
	v_dual_add_f32 v68, v68, v71 :: v_dual_add_f32 v71, v146, v82
	s_delay_alu instid0(VALU_DEP_1) | instskip(NEXT) | instid1(VALU_DEP_2)
	v_add_f32_e32 v68, v80, v68
	v_sub_f32_e32 v80, v71, v146
	s_delay_alu instid0(VALU_DEP_2) | instskip(NEXT) | instid1(VALU_DEP_2)
	v_add_f32_e32 v68, v147, v68
	v_sub_f32_e32 v80, v82, v80
	s_delay_alu instid0(VALU_DEP_2) | instskip(NEXT) | instid1(VALU_DEP_1)
	v_mul_f32_e32 v68, v70, v68
	v_add_f32_e32 v68, v80, v68
	s_delay_alu instid0(VALU_DEP_1) | instskip(NEXT) | instid1(VALU_DEP_1)
	v_add_f32_e32 v70, v71, v68
	v_mul_f32_e32 v80, v70, v70
	s_delay_alu instid0(VALU_DEP_1) | instskip(SKIP_2) | instid1(VALU_DEP_3)
	v_fmaak_f32 v82, s4, v80, 0x3ecc95a3
	v_mul_f32_e32 v84, v70, v80
	v_cmp_gt_f32_e64 s4, 0x33800000, |v69|
	v_fmaak_f32 v80, v80, v82, 0x3f2aaada
	v_ldexp_f32 v82, v70, 1
	v_sub_f32_e32 v70, v70, v71
	s_delay_alu instid0(VALU_DEP_4) | instskip(NEXT) | instid1(VALU_DEP_3)
	s_or_b32 vcc_lo, vcc_lo, s4
	v_mul_f32_e32 v80, v84, v80
	v_mul_f32_e32 v84, 0x3f317218, v67
	s_delay_alu instid0(VALU_DEP_2) | instskip(NEXT) | instid1(VALU_DEP_1)
	v_dual_sub_f32 v68, v68, v70 :: v_dual_add_f32 v71, v82, v80
	v_ldexp_f32 v68, v68, 1
	s_delay_alu instid0(VALU_DEP_2) | instskip(NEXT) | instid1(VALU_DEP_4)
	v_sub_f32_e32 v70, v71, v82
	v_fma_f32 v82, 0x3f317218, v67, -v84
	s_delay_alu instid0(VALU_DEP_1) | instskip(NEXT) | instid1(VALU_DEP_1)
	v_dual_sub_f32 v70, v80, v70 :: v_dual_fmamk_f32 v67, v67, 0xb102e308, v82
	v_add_f32_e32 v68, v68, v70
	s_delay_alu instid0(VALU_DEP_2) | instskip(NEXT) | instid1(VALU_DEP_2)
	v_add_f32_e32 v70, v84, v67
	v_add_f32_e32 v80, v71, v68
	s_delay_alu instid0(VALU_DEP_2) | instskip(NEXT) | instid1(VALU_DEP_2)
	v_sub_f32_e32 v84, v70, v84
	v_dual_add_f32 v82, v70, v80 :: v_dual_sub_f32 v71, v80, v71
	s_delay_alu instid0(VALU_DEP_2) | instskip(NEXT) | instid1(VALU_DEP_2)
	v_sub_f32_e32 v67, v67, v84
	v_dual_sub_f32 v145, v82, v70 :: v_dual_sub_f32 v68, v68, v71
	s_delay_alu instid0(VALU_DEP_1) | instskip(NEXT) | instid1(VALU_DEP_2)
	v_sub_f32_e32 v146, v82, v145
	v_dual_sub_f32 v71, v80, v145 :: v_dual_add_f32 v80, v67, v68
	s_delay_alu instid0(VALU_DEP_2) | instskip(NEXT) | instid1(VALU_DEP_1)
	v_sub_f32_e32 v70, v70, v146
	v_dual_add_f32 v70, v71, v70 :: v_dual_sub_f32 v71, v80, v67
	s_delay_alu instid0(VALU_DEP_1) | instskip(NEXT) | instid1(VALU_DEP_2)
	v_add_f32_e32 v70, v80, v70
	v_sub_f32_e32 v80, v80, v71
	v_sub_f32_e32 v68, v68, v71
	s_delay_alu instid0(VALU_DEP_2) | instskip(NEXT) | instid1(VALU_DEP_1)
	v_dual_add_f32 v84, v82, v70 :: v_dual_sub_f32 v67, v67, v80
	v_sub_f32_e32 v71, v84, v82
	s_delay_alu instid0(VALU_DEP_2) | instskip(NEXT) | instid1(VALU_DEP_2)
	v_add_f32_e32 v67, v68, v67
	v_sub_f32_e32 v68, v70, v71
	s_delay_alu instid0(VALU_DEP_1) | instskip(NEXT) | instid1(VALU_DEP_1)
	v_add_f32_e32 v67, v67, v68
	v_add_f32_e32 v67, v84, v67
	s_delay_alu instid0(VALU_DEP_1) | instskip(NEXT) | instid1(VALU_DEP_1)
	v_cndmask_b32_e32 v67, v67, v69, vcc_lo
	v_add_f32_e32 v67, v66, v67
.LBB481_208:
	s_or_b32 exec_lo, exec_lo, s3
	s_delay_alu instid0(VALU_DEP_1) | instskip(SKIP_1) | instid1(VALU_DEP_2)
	v_bfe_u32 v66, v67, 16, 1
	v_cmp_o_f32_e32 vcc_lo, v67, v67
	v_add3_u32 v66, v67, v66, 0x7fff
	s_delay_alu instid0(VALU_DEP_1) | instskip(NEXT) | instid1(VALU_DEP_1)
	v_lshrrev_b32_e32 v66, 16, v66
	v_cndmask_b32_e32 v145, 0x7fc0, v66, vcc_lo
	s_delay_alu instid0(VALU_DEP_1) | instskip(NEXT) | instid1(VALU_DEP_1)
	v_lshlrev_b32_e32 v67, 16, v145
	v_max_f32_e32 v66, v67, v67
	s_delay_alu instid0(VALU_DEP_1) | instskip(SKIP_2) | instid1(VALU_DEP_3)
	v_min_f32_e32 v68, v66, v86
	v_max_f32_e32 v66, v66, v86
	v_cmp_u_f32_e32 vcc_lo, v67, v67
	v_cndmask_b32_e32 v68, v68, v67, vcc_lo
	s_delay_alu instid0(VALU_DEP_3) | instskip(NEXT) | instid1(VALU_DEP_2)
	v_cndmask_b32_e32 v66, v66, v67, vcc_lo
	v_cndmask_b32_e64 v68, v68, v81, s9
	s_delay_alu instid0(VALU_DEP_2) | instskip(NEXT) | instid1(VALU_DEP_2)
	v_cndmask_b32_e64 v66, v66, v81, s9
	v_cmp_class_f32_e64 s3, v68, 0x1f8
	s_delay_alu instid0(VALU_DEP_2) | instskip(NEXT) | instid1(VALU_DEP_2)
	v_cmp_neq_f32_e32 vcc_lo, v68, v66
	s_or_b32 s4, vcc_lo, s3
	s_delay_alu instid0(SALU_CYCLE_1)
	s_and_saveexec_b32 s3, s4
	s_cbranch_execz .LBB481_210
; %bb.209:
	v_sub_f32_e32 v67, v68, v66
	s_mov_b32 s4, 0x3e9b6dac
	s_delay_alu instid0(VALU_DEP_1) | instskip(SKIP_1) | instid1(VALU_DEP_2)
	v_mul_f32_e32 v68, 0x3fb8aa3b, v67
	v_cmp_ngt_f32_e32 vcc_lo, 0xc2ce8ed0, v67
	v_fma_f32 v69, 0x3fb8aa3b, v67, -v68
	v_rndne_f32_e32 v70, v68
	s_delay_alu instid0(VALU_DEP_1) | instskip(NEXT) | instid1(VALU_DEP_1)
	v_dual_fmamk_f32 v69, v67, 0x32a5705f, v69 :: v_dual_sub_f32 v68, v68, v70
	v_add_f32_e32 v68, v68, v69
	v_cvt_i32_f32_e32 v69, v70
	s_delay_alu instid0(VALU_DEP_2) | instskip(SKIP_2) | instid1(VALU_DEP_1)
	v_exp_f32_e32 v68, v68
	s_waitcnt_depctr 0xfff
	v_ldexp_f32 v68, v68, v69
	v_cndmask_b32_e32 v68, 0, v68, vcc_lo
	v_cmp_nlt_f32_e32 vcc_lo, 0x42b17218, v67
	s_delay_alu instid0(VALU_DEP_2) | instskip(NEXT) | instid1(VALU_DEP_1)
	v_cndmask_b32_e32 v69, 0x7f800000, v68, vcc_lo
	v_add_f32_e32 v70, 1.0, v69
	s_delay_alu instid0(VALU_DEP_1) | instskip(NEXT) | instid1(VALU_DEP_1)
	v_cvt_f64_f32_e32 v[67:68], v70
	v_frexp_exp_i32_f64_e32 v67, v[67:68]
	v_frexp_mant_f32_e32 v68, v70
	s_delay_alu instid0(VALU_DEP_1) | instskip(SKIP_1) | instid1(VALU_DEP_1)
	v_cmp_gt_f32_e32 vcc_lo, 0x3f2aaaab, v68
	v_add_f32_e32 v68, -1.0, v70
	v_sub_f32_e32 v80, v68, v70
	v_sub_f32_e32 v68, v69, v68
	s_delay_alu instid0(VALU_DEP_2) | instskip(NEXT) | instid1(VALU_DEP_1)
	v_add_f32_e32 v80, 1.0, v80
	v_add_f32_e32 v68, v68, v80
	v_subrev_co_ci_u32_e32 v67, vcc_lo, 0, v67, vcc_lo
	v_cmp_eq_f32_e32 vcc_lo, 0x7f800000, v69
	s_delay_alu instid0(VALU_DEP_2) | instskip(SKIP_1) | instid1(VALU_DEP_2)
	v_sub_nc_u32_e32 v71, 0, v67
	v_cvt_f32_i32_e32 v67, v67
	v_ldexp_f32 v70, v70, v71
	v_ldexp_f32 v68, v68, v71
	s_delay_alu instid0(VALU_DEP_2) | instskip(NEXT) | instid1(VALU_DEP_1)
	v_add_f32_e32 v81, 1.0, v70
	v_dual_add_f32 v71, -1.0, v70 :: v_dual_add_f32 v80, -1.0, v81
	s_delay_alu instid0(VALU_DEP_1) | instskip(NEXT) | instid1(VALU_DEP_2)
	v_add_f32_e32 v82, 1.0, v71
	v_sub_f32_e32 v80, v70, v80
	s_delay_alu instid0(VALU_DEP_2) | instskip(NEXT) | instid1(VALU_DEP_2)
	v_sub_f32_e32 v70, v70, v82
	v_add_f32_e32 v80, v68, v80
	s_delay_alu instid0(VALU_DEP_2) | instskip(NEXT) | instid1(VALU_DEP_2)
	v_add_f32_e32 v68, v68, v70
	v_add_f32_e32 v82, v81, v80
	s_delay_alu instid0(VALU_DEP_2) | instskip(NEXT) | instid1(VALU_DEP_2)
	v_add_f32_e32 v84, v71, v68
	v_rcp_f32_e32 v70, v82
	v_sub_f32_e32 v81, v81, v82
	s_delay_alu instid0(VALU_DEP_1) | instskip(NEXT) | instid1(VALU_DEP_1)
	v_dual_sub_f32 v71, v71, v84 :: v_dual_add_f32 v80, v80, v81
	v_add_f32_e32 v68, v68, v71
	s_waitcnt_depctr 0xfff
	v_mul_f32_e32 v86, v84, v70
	s_delay_alu instid0(VALU_DEP_1) | instskip(NEXT) | instid1(VALU_DEP_1)
	v_mul_f32_e32 v146, v82, v86
	v_fma_f32 v81, v86, v82, -v146
	s_delay_alu instid0(VALU_DEP_1) | instskip(NEXT) | instid1(VALU_DEP_1)
	v_fmac_f32_e32 v81, v86, v80
	v_add_f32_e32 v147, v146, v81
	s_delay_alu instid0(VALU_DEP_1) | instskip(NEXT) | instid1(VALU_DEP_1)
	v_dual_sub_f32 v148, v84, v147 :: v_dual_sub_f32 v71, v147, v146
	v_dual_sub_f32 v84, v84, v148 :: v_dual_sub_f32 v71, v71, v81
	s_delay_alu instid0(VALU_DEP_1) | instskip(NEXT) | instid1(VALU_DEP_1)
	v_sub_f32_e32 v84, v84, v147
	v_add_f32_e32 v68, v68, v84
	s_delay_alu instid0(VALU_DEP_1) | instskip(NEXT) | instid1(VALU_DEP_1)
	v_add_f32_e32 v68, v71, v68
	v_add_f32_e32 v71, v148, v68
	s_delay_alu instid0(VALU_DEP_1) | instskip(NEXT) | instid1(VALU_DEP_1)
	v_mul_f32_e32 v81, v70, v71
	v_dual_sub_f32 v147, v148, v71 :: v_dual_mul_f32 v84, v82, v81
	s_delay_alu instid0(VALU_DEP_1) | instskip(NEXT) | instid1(VALU_DEP_2)
	v_add_f32_e32 v68, v68, v147
	v_fma_f32 v82, v81, v82, -v84
	s_delay_alu instid0(VALU_DEP_1) | instskip(NEXT) | instid1(VALU_DEP_1)
	v_fmac_f32_e32 v82, v81, v80
	v_add_f32_e32 v80, v84, v82
	s_delay_alu instid0(VALU_DEP_1) | instskip(NEXT) | instid1(VALU_DEP_1)
	v_sub_f32_e32 v146, v71, v80
	v_dual_sub_f32 v84, v80, v84 :: v_dual_sub_f32 v71, v71, v146
	s_delay_alu instid0(VALU_DEP_1) | instskip(NEXT) | instid1(VALU_DEP_1)
	v_dual_sub_f32 v71, v71, v80 :: v_dual_sub_f32 v80, v84, v82
	v_dual_add_f32 v68, v68, v71 :: v_dual_add_f32 v71, v86, v81
	s_delay_alu instid0(VALU_DEP_1) | instskip(NEXT) | instid1(VALU_DEP_2)
	v_add_f32_e32 v68, v80, v68
	v_sub_f32_e32 v80, v71, v86
	s_delay_alu instid0(VALU_DEP_2) | instskip(NEXT) | instid1(VALU_DEP_2)
	v_add_f32_e32 v68, v146, v68
	v_sub_f32_e32 v80, v81, v80
	s_delay_alu instid0(VALU_DEP_2) | instskip(NEXT) | instid1(VALU_DEP_1)
	v_mul_f32_e32 v68, v70, v68
	v_add_f32_e32 v68, v80, v68
	s_delay_alu instid0(VALU_DEP_1) | instskip(NEXT) | instid1(VALU_DEP_1)
	v_add_f32_e32 v70, v71, v68
	v_mul_f32_e32 v80, v70, v70
	s_delay_alu instid0(VALU_DEP_1) | instskip(SKIP_2) | instid1(VALU_DEP_3)
	v_fmaak_f32 v81, s4, v80, 0x3ecc95a3
	v_mul_f32_e32 v82, v70, v80
	v_cmp_gt_f32_e64 s4, 0x33800000, |v69|
	v_fmaak_f32 v80, v80, v81, 0x3f2aaada
	v_ldexp_f32 v81, v70, 1
	v_sub_f32_e32 v70, v70, v71
	s_delay_alu instid0(VALU_DEP_4) | instskip(NEXT) | instid1(VALU_DEP_3)
	s_or_b32 vcc_lo, vcc_lo, s4
	v_mul_f32_e32 v80, v82, v80
	v_mul_f32_e32 v82, 0x3f317218, v67
	s_delay_alu instid0(VALU_DEP_2) | instskip(NEXT) | instid1(VALU_DEP_1)
	v_dual_sub_f32 v68, v68, v70 :: v_dual_add_f32 v71, v81, v80
	v_ldexp_f32 v68, v68, 1
	s_delay_alu instid0(VALU_DEP_2) | instskip(NEXT) | instid1(VALU_DEP_4)
	v_sub_f32_e32 v70, v71, v81
	v_fma_f32 v81, 0x3f317218, v67, -v82
	s_delay_alu instid0(VALU_DEP_1) | instskip(NEXT) | instid1(VALU_DEP_1)
	v_dual_sub_f32 v70, v80, v70 :: v_dual_fmamk_f32 v67, v67, 0xb102e308, v81
	v_add_f32_e32 v68, v68, v70
	s_delay_alu instid0(VALU_DEP_2) | instskip(NEXT) | instid1(VALU_DEP_2)
	v_add_f32_e32 v70, v82, v67
	v_add_f32_e32 v80, v71, v68
	s_delay_alu instid0(VALU_DEP_2) | instskip(NEXT) | instid1(VALU_DEP_2)
	v_sub_f32_e32 v82, v70, v82
	v_add_f32_e32 v81, v70, v80
	v_sub_f32_e32 v71, v80, v71
	s_delay_alu instid0(VALU_DEP_3) | instskip(NEXT) | instid1(VALU_DEP_3)
	v_sub_f32_e32 v67, v67, v82
	v_sub_f32_e32 v84, v81, v70
	s_delay_alu instid0(VALU_DEP_3) | instskip(NEXT) | instid1(VALU_DEP_2)
	v_sub_f32_e32 v68, v68, v71
	v_sub_f32_e32 v71, v80, v84
	;; [unrolled: 1-line block ×3, first 2 shown]
	s_delay_alu instid0(VALU_DEP_3) | instskip(NEXT) | instid1(VALU_DEP_2)
	v_add_f32_e32 v80, v67, v68
	v_sub_f32_e32 v70, v70, v86
	s_delay_alu instid0(VALU_DEP_1) | instskip(NEXT) | instid1(VALU_DEP_1)
	v_dual_add_f32 v70, v71, v70 :: v_dual_sub_f32 v71, v80, v67
	v_add_f32_e32 v70, v80, v70
	s_delay_alu instid0(VALU_DEP_2) | instskip(SKIP_1) | instid1(VALU_DEP_2)
	v_sub_f32_e32 v80, v80, v71
	v_sub_f32_e32 v68, v68, v71
	v_dual_add_f32 v82, v81, v70 :: v_dual_sub_f32 v67, v67, v80
	s_delay_alu instid0(VALU_DEP_1) | instskip(NEXT) | instid1(VALU_DEP_2)
	v_sub_f32_e32 v71, v82, v81
	v_add_f32_e32 v67, v68, v67
	s_delay_alu instid0(VALU_DEP_2) | instskip(NEXT) | instid1(VALU_DEP_1)
	v_sub_f32_e32 v68, v70, v71
	v_add_f32_e32 v67, v67, v68
	s_delay_alu instid0(VALU_DEP_1) | instskip(NEXT) | instid1(VALU_DEP_1)
	v_add_f32_e32 v67, v82, v67
	v_cndmask_b32_e32 v67, v67, v69, vcc_lo
	s_delay_alu instid0(VALU_DEP_1)
	v_add_f32_e32 v67, v66, v67
.LBB481_210:
	s_or_b32 exec_lo, exec_lo, s3
	s_delay_alu instid0(VALU_DEP_1) | instskip(SKIP_1) | instid1(VALU_DEP_2)
	v_bfe_u32 v66, v67, 16, 1
	v_cmp_o_f32_e32 vcc_lo, v67, v67
	v_add3_u32 v66, v67, v66, 0x7fff
	s_delay_alu instid0(VALU_DEP_1) | instskip(NEXT) | instid1(VALU_DEP_1)
	v_lshrrev_b32_e32 v66, 16, v66
	v_cndmask_b32_e32 v146, 0x7fc0, v66, vcc_lo
	s_delay_alu instid0(VALU_DEP_1) | instskip(NEXT) | instid1(VALU_DEP_1)
	v_lshlrev_b32_e32 v67, 16, v146
	v_max_f32_e32 v66, v67, v67
	s_delay_alu instid0(VALU_DEP_1) | instskip(SKIP_2) | instid1(VALU_DEP_3)
	v_min_f32_e32 v68, v66, v96
	v_max_f32_e32 v66, v66, v96
	v_cmp_u_f32_e32 vcc_lo, v67, v67
	v_cndmask_b32_e32 v68, v68, v67, vcc_lo
	s_delay_alu instid0(VALU_DEP_3) | instskip(NEXT) | instid1(VALU_DEP_2)
	v_cndmask_b32_e32 v66, v66, v67, vcc_lo
	v_cndmask_b32_e64 v68, v68, v83, s10
	s_delay_alu instid0(VALU_DEP_2) | instskip(NEXT) | instid1(VALU_DEP_2)
	v_cndmask_b32_e64 v66, v66, v83, s10
	v_cmp_class_f32_e64 s3, v68, 0x1f8
	s_delay_alu instid0(VALU_DEP_2) | instskip(NEXT) | instid1(VALU_DEP_2)
	v_cmp_neq_f32_e32 vcc_lo, v68, v66
	s_or_b32 s4, vcc_lo, s3
	s_delay_alu instid0(SALU_CYCLE_1)
	s_and_saveexec_b32 s3, s4
	s_cbranch_execz .LBB481_212
; %bb.211:
	v_sub_f32_e32 v67, v68, v66
	s_mov_b32 s4, 0x3e9b6dac
	s_delay_alu instid0(VALU_DEP_1) | instskip(SKIP_1) | instid1(VALU_DEP_2)
	v_mul_f32_e32 v68, 0x3fb8aa3b, v67
	v_cmp_ngt_f32_e32 vcc_lo, 0xc2ce8ed0, v67
	v_fma_f32 v69, 0x3fb8aa3b, v67, -v68
	v_rndne_f32_e32 v70, v68
	s_delay_alu instid0(VALU_DEP_1) | instskip(NEXT) | instid1(VALU_DEP_1)
	v_dual_fmamk_f32 v69, v67, 0x32a5705f, v69 :: v_dual_sub_f32 v68, v68, v70
	v_add_f32_e32 v68, v68, v69
	v_cvt_i32_f32_e32 v69, v70
	s_delay_alu instid0(VALU_DEP_2) | instskip(SKIP_2) | instid1(VALU_DEP_1)
	v_exp_f32_e32 v68, v68
	s_waitcnt_depctr 0xfff
	v_ldexp_f32 v68, v68, v69
	v_cndmask_b32_e32 v68, 0, v68, vcc_lo
	v_cmp_nlt_f32_e32 vcc_lo, 0x42b17218, v67
	s_delay_alu instid0(VALU_DEP_2) | instskip(NEXT) | instid1(VALU_DEP_1)
	v_cndmask_b32_e32 v69, 0x7f800000, v68, vcc_lo
	v_add_f32_e32 v70, 1.0, v69
	s_delay_alu instid0(VALU_DEP_1) | instskip(NEXT) | instid1(VALU_DEP_1)
	v_cvt_f64_f32_e32 v[67:68], v70
	v_frexp_exp_i32_f64_e32 v67, v[67:68]
	v_frexp_mant_f32_e32 v68, v70
	s_delay_alu instid0(VALU_DEP_1) | instskip(SKIP_1) | instid1(VALU_DEP_1)
	v_cmp_gt_f32_e32 vcc_lo, 0x3f2aaaab, v68
	v_add_f32_e32 v68, -1.0, v70
	v_sub_f32_e32 v80, v68, v70
	v_sub_f32_e32 v68, v69, v68
	v_subrev_co_ci_u32_e32 v67, vcc_lo, 0, v67, vcc_lo
	v_cmp_eq_f32_e32 vcc_lo, 0x7f800000, v69
	s_delay_alu instid0(VALU_DEP_2) | instskip(SKIP_1) | instid1(VALU_DEP_2)
	v_sub_nc_u32_e32 v71, 0, v67
	v_cvt_f32_i32_e32 v67, v67
	v_ldexp_f32 v70, v70, v71
	s_delay_alu instid0(VALU_DEP_1) | instskip(NEXT) | instid1(VALU_DEP_1)
	v_dual_add_f32 v81, 1.0, v70 :: v_dual_add_f32 v80, 1.0, v80
	v_add_f32_e32 v68, v68, v80
	s_delay_alu instid0(VALU_DEP_2) | instskip(NEXT) | instid1(VALU_DEP_2)
	v_add_f32_e32 v80, -1.0, v81
	v_ldexp_f32 v68, v68, v71
	s_delay_alu instid0(VALU_DEP_2) | instskip(NEXT) | instid1(VALU_DEP_1)
	v_dual_add_f32 v71, -1.0, v70 :: v_dual_sub_f32 v80, v70, v80
	v_add_f32_e32 v82, 1.0, v71
	s_delay_alu instid0(VALU_DEP_2) | instskip(NEXT) | instid1(VALU_DEP_2)
	v_add_f32_e32 v80, v68, v80
	v_sub_f32_e32 v70, v70, v82
	s_delay_alu instid0(VALU_DEP_2) | instskip(NEXT) | instid1(VALU_DEP_2)
	v_add_f32_e32 v82, v81, v80
	v_add_f32_e32 v68, v68, v70
	s_delay_alu instid0(VALU_DEP_2) | instskip(SKIP_1) | instid1(VALU_DEP_1)
	v_rcp_f32_e32 v70, v82
	v_sub_f32_e32 v81, v81, v82
	v_dual_add_f32 v83, v71, v68 :: v_dual_add_f32 v80, v80, v81
	s_delay_alu instid0(VALU_DEP_1) | instskip(SKIP_3) | instid1(VALU_DEP_2)
	v_sub_f32_e32 v71, v71, v83
	s_waitcnt_depctr 0xfff
	v_mul_f32_e32 v84, v83, v70
	v_add_f32_e32 v68, v68, v71
	v_mul_f32_e32 v86, v82, v84
	s_delay_alu instid0(VALU_DEP_1) | instskip(NEXT) | instid1(VALU_DEP_1)
	v_fma_f32 v81, v84, v82, -v86
	v_fmac_f32_e32 v81, v84, v80
	s_delay_alu instid0(VALU_DEP_1) | instskip(NEXT) | instid1(VALU_DEP_1)
	v_add_f32_e32 v96, v86, v81
	v_sub_f32_e32 v147, v83, v96
	v_sub_f32_e32 v71, v96, v86
	s_delay_alu instid0(VALU_DEP_2) | instskip(NEXT) | instid1(VALU_DEP_2)
	v_sub_f32_e32 v83, v83, v147
	v_sub_f32_e32 v71, v71, v81
	s_delay_alu instid0(VALU_DEP_2) | instskip(NEXT) | instid1(VALU_DEP_1)
	v_sub_f32_e32 v83, v83, v96
	v_add_f32_e32 v68, v68, v83
	s_delay_alu instid0(VALU_DEP_1) | instskip(NEXT) | instid1(VALU_DEP_1)
	v_add_f32_e32 v68, v71, v68
	v_add_f32_e32 v71, v147, v68
	s_delay_alu instid0(VALU_DEP_1) | instskip(NEXT) | instid1(VALU_DEP_1)
	v_mul_f32_e32 v81, v70, v71
	v_dual_sub_f32 v96, v147, v71 :: v_dual_mul_f32 v83, v82, v81
	s_delay_alu instid0(VALU_DEP_1) | instskip(NEXT) | instid1(VALU_DEP_2)
	v_add_f32_e32 v68, v68, v96
	v_fma_f32 v82, v81, v82, -v83
	s_delay_alu instid0(VALU_DEP_1) | instskip(NEXT) | instid1(VALU_DEP_1)
	v_fmac_f32_e32 v82, v81, v80
	v_add_f32_e32 v80, v83, v82
	s_delay_alu instid0(VALU_DEP_1) | instskip(NEXT) | instid1(VALU_DEP_1)
	v_dual_sub_f32 v86, v71, v80 :: v_dual_sub_f32 v83, v80, v83
	v_sub_f32_e32 v71, v71, v86
	s_delay_alu instid0(VALU_DEP_1) | instskip(NEXT) | instid1(VALU_DEP_3)
	v_sub_f32_e32 v71, v71, v80
	v_sub_f32_e32 v80, v83, v82
	s_delay_alu instid0(VALU_DEP_2) | instskip(SKIP_1) | instid1(VALU_DEP_2)
	v_add_f32_e32 v68, v68, v71
	v_add_f32_e32 v71, v84, v81
	;; [unrolled: 1-line block ×3, first 2 shown]
	s_delay_alu instid0(VALU_DEP_2) | instskip(NEXT) | instid1(VALU_DEP_2)
	v_sub_f32_e32 v80, v71, v84
	v_add_f32_e32 v68, v86, v68
	s_delay_alu instid0(VALU_DEP_2) | instskip(NEXT) | instid1(VALU_DEP_2)
	v_sub_f32_e32 v80, v81, v80
	v_mul_f32_e32 v68, v70, v68
	s_delay_alu instid0(VALU_DEP_1) | instskip(NEXT) | instid1(VALU_DEP_1)
	v_add_f32_e32 v68, v80, v68
	v_add_f32_e32 v70, v71, v68
	s_delay_alu instid0(VALU_DEP_1) | instskip(NEXT) | instid1(VALU_DEP_1)
	v_mul_f32_e32 v80, v70, v70
	v_fmaak_f32 v81, s4, v80, 0x3ecc95a3
	v_mul_f32_e32 v82, v70, v80
	v_cmp_gt_f32_e64 s4, 0x33800000, |v69|
	s_delay_alu instid0(VALU_DEP_3) | instskip(SKIP_2) | instid1(VALU_DEP_4)
	v_fmaak_f32 v80, v80, v81, 0x3f2aaada
	v_ldexp_f32 v81, v70, 1
	v_sub_f32_e32 v70, v70, v71
	s_or_b32 vcc_lo, vcc_lo, s4
	s_delay_alu instid0(VALU_DEP_3) | instskip(SKIP_1) | instid1(VALU_DEP_2)
	v_mul_f32_e32 v80, v82, v80
	v_mul_f32_e32 v82, 0x3f317218, v67
	v_dual_sub_f32 v68, v68, v70 :: v_dual_add_f32 v71, v81, v80
	s_delay_alu instid0(VALU_DEP_1) | instskip(NEXT) | instid1(VALU_DEP_2)
	v_ldexp_f32 v68, v68, 1
	v_sub_f32_e32 v70, v71, v81
	s_delay_alu instid0(VALU_DEP_4) | instskip(NEXT) | instid1(VALU_DEP_1)
	v_fma_f32 v81, 0x3f317218, v67, -v82
	v_dual_sub_f32 v70, v80, v70 :: v_dual_fmamk_f32 v67, v67, 0xb102e308, v81
	s_delay_alu instid0(VALU_DEP_1) | instskip(NEXT) | instid1(VALU_DEP_2)
	v_add_f32_e32 v68, v68, v70
	v_add_f32_e32 v70, v82, v67
	s_delay_alu instid0(VALU_DEP_2) | instskip(NEXT) | instid1(VALU_DEP_2)
	v_add_f32_e32 v80, v71, v68
	v_sub_f32_e32 v82, v70, v82
	s_delay_alu instid0(VALU_DEP_2) | instskip(SKIP_1) | instid1(VALU_DEP_3)
	v_add_f32_e32 v81, v70, v80
	v_sub_f32_e32 v71, v80, v71
	v_sub_f32_e32 v67, v67, v82
	s_delay_alu instid0(VALU_DEP_2) | instskip(NEXT) | instid1(VALU_DEP_1)
	v_dual_sub_f32 v83, v81, v70 :: v_dual_sub_f32 v68, v68, v71
	v_sub_f32_e32 v84, v81, v83
	s_delay_alu instid0(VALU_DEP_2) | instskip(NEXT) | instid1(VALU_DEP_2)
	v_dual_sub_f32 v71, v80, v83 :: v_dual_add_f32 v80, v67, v68
	v_sub_f32_e32 v70, v70, v84
	s_delay_alu instid0(VALU_DEP_1) | instskip(NEXT) | instid1(VALU_DEP_1)
	v_dual_add_f32 v70, v71, v70 :: v_dual_sub_f32 v71, v80, v67
	v_add_f32_e32 v70, v80, v70
	s_delay_alu instid0(VALU_DEP_2) | instskip(SKIP_1) | instid1(VALU_DEP_2)
	v_sub_f32_e32 v80, v80, v71
	v_sub_f32_e32 v68, v68, v71
	v_dual_add_f32 v82, v81, v70 :: v_dual_sub_f32 v67, v67, v80
	s_delay_alu instid0(VALU_DEP_1) | instskip(NEXT) | instid1(VALU_DEP_2)
	v_sub_f32_e32 v71, v82, v81
	v_add_f32_e32 v67, v68, v67
	s_delay_alu instid0(VALU_DEP_2) | instskip(NEXT) | instid1(VALU_DEP_1)
	v_sub_f32_e32 v68, v70, v71
	v_add_f32_e32 v67, v67, v68
	s_delay_alu instid0(VALU_DEP_1) | instskip(NEXT) | instid1(VALU_DEP_1)
	v_add_f32_e32 v67, v82, v67
	v_cndmask_b32_e32 v67, v67, v69, vcc_lo
	s_delay_alu instid0(VALU_DEP_1)
	v_add_f32_e32 v67, v66, v67
.LBB481_212:
	s_or_b32 exec_lo, exec_lo, s3
	s_delay_alu instid0(VALU_DEP_1) | instskip(SKIP_1) | instid1(VALU_DEP_2)
	v_bfe_u32 v66, v67, 16, 1
	v_cmp_o_f32_e32 vcc_lo, v67, v67
	v_add3_u32 v66, v67, v66, 0x7fff
	s_delay_alu instid0(VALU_DEP_1) | instskip(NEXT) | instid1(VALU_DEP_1)
	v_lshrrev_b32_e32 v66, 16, v66
	v_cndmask_b32_e32 v66, 0x7fc0, v66, vcc_lo
	s_delay_alu instid0(VALU_DEP_1) | instskip(NEXT) | instid1(VALU_DEP_1)
	v_lshlrev_b32_e32 v68, 16, v66
	v_max_f32_e32 v67, v68, v68
	v_cmp_u_f32_e32 vcc_lo, v68, v68
	s_delay_alu instid0(VALU_DEP_2) | instskip(SKIP_1) | instid1(VALU_DEP_2)
	v_min_f32_e32 v69, v67, v98
	v_max_f32_e32 v67, v67, v98
	v_cndmask_b32_e32 v69, v69, v68, vcc_lo
	s_delay_alu instid0(VALU_DEP_2) | instskip(NEXT) | instid1(VALU_DEP_2)
	v_cndmask_b32_e32 v67, v67, v68, vcc_lo
	v_cndmask_b32_e64 v69, v69, v85, s11
	s_delay_alu instid0(VALU_DEP_2) | instskip(NEXT) | instid1(VALU_DEP_2)
	v_cndmask_b32_e64 v67, v67, v85, s11
	v_cmp_class_f32_e64 s3, v69, 0x1f8
	s_delay_alu instid0(VALU_DEP_2) | instskip(NEXT) | instid1(VALU_DEP_2)
	v_cmp_neq_f32_e32 vcc_lo, v69, v67
	s_or_b32 s4, vcc_lo, s3
	s_delay_alu instid0(SALU_CYCLE_1)
	s_and_saveexec_b32 s3, s4
	s_cbranch_execz .LBB481_214
; %bb.213:
	v_sub_f32_e32 v68, v69, v67
	s_mov_b32 s4, 0x3e9b6dac
	s_delay_alu instid0(VALU_DEP_1) | instskip(SKIP_1) | instid1(VALU_DEP_2)
	v_mul_f32_e32 v69, 0x3fb8aa3b, v68
	v_cmp_ngt_f32_e32 vcc_lo, 0xc2ce8ed0, v68
	v_fma_f32 v70, 0x3fb8aa3b, v68, -v69
	v_rndne_f32_e32 v71, v69
	s_delay_alu instid0(VALU_DEP_1) | instskip(NEXT) | instid1(VALU_DEP_1)
	v_dual_fmamk_f32 v70, v68, 0x32a5705f, v70 :: v_dual_sub_f32 v69, v69, v71
	v_add_f32_e32 v69, v69, v70
	v_cvt_i32_f32_e32 v70, v71
	s_delay_alu instid0(VALU_DEP_2) | instskip(SKIP_2) | instid1(VALU_DEP_1)
	v_exp_f32_e32 v69, v69
	s_waitcnt_depctr 0xfff
	v_ldexp_f32 v69, v69, v70
	v_cndmask_b32_e32 v69, 0, v69, vcc_lo
	v_cmp_nlt_f32_e32 vcc_lo, 0x42b17218, v68
	s_delay_alu instid0(VALU_DEP_2) | instskip(NEXT) | instid1(VALU_DEP_1)
	v_cndmask_b32_e32 v70, 0x7f800000, v69, vcc_lo
	v_add_f32_e32 v71, 1.0, v70
	s_delay_alu instid0(VALU_DEP_1) | instskip(NEXT) | instid1(VALU_DEP_1)
	v_cvt_f64_f32_e32 v[68:69], v71
	v_frexp_exp_i32_f64_e32 v68, v[68:69]
	v_frexp_mant_f32_e32 v69, v71
	s_delay_alu instid0(VALU_DEP_1) | instskip(SKIP_1) | instid1(VALU_DEP_1)
	v_cmp_gt_f32_e32 vcc_lo, 0x3f2aaaab, v69
	v_add_f32_e32 v69, -1.0, v71
	v_sub_f32_e32 v81, v69, v71
	v_sub_f32_e32 v69, v70, v69
	v_subrev_co_ci_u32_e32 v68, vcc_lo, 0, v68, vcc_lo
	v_cmp_eq_f32_e32 vcc_lo, 0x7f800000, v70
	s_delay_alu instid0(VALU_DEP_2) | instskip(SKIP_1) | instid1(VALU_DEP_2)
	v_sub_nc_u32_e32 v80, 0, v68
	v_cvt_f32_i32_e32 v68, v68
	v_ldexp_f32 v71, v71, v80
	s_delay_alu instid0(VALU_DEP_1) | instskip(NEXT) | instid1(VALU_DEP_1)
	v_dual_add_f32 v82, 1.0, v71 :: v_dual_add_f32 v81, 1.0, v81
	v_add_f32_e32 v69, v69, v81
	s_delay_alu instid0(VALU_DEP_1) | instskip(NEXT) | instid1(VALU_DEP_3)
	v_ldexp_f32 v69, v69, v80
	v_dual_add_f32 v80, -1.0, v71 :: v_dual_add_f32 v81, -1.0, v82
	s_delay_alu instid0(VALU_DEP_1) | instskip(NEXT) | instid1(VALU_DEP_2)
	v_add_f32_e32 v83, 1.0, v80
	v_sub_f32_e32 v81, v71, v81
	s_delay_alu instid0(VALU_DEP_2) | instskip(NEXT) | instid1(VALU_DEP_2)
	v_sub_f32_e32 v71, v71, v83
	v_add_f32_e32 v81, v69, v81
	s_delay_alu instid0(VALU_DEP_2) | instskip(NEXT) | instid1(VALU_DEP_2)
	v_add_f32_e32 v69, v69, v71
	v_add_f32_e32 v83, v82, v81
	s_delay_alu instid0(VALU_DEP_2) | instskip(NEXT) | instid1(VALU_DEP_2)
	v_add_f32_e32 v84, v80, v69
	v_rcp_f32_e32 v71, v83
	v_sub_f32_e32 v82, v82, v83
	s_delay_alu instid0(VALU_DEP_1) | instskip(NEXT) | instid1(VALU_DEP_1)
	v_dual_sub_f32 v80, v80, v84 :: v_dual_add_f32 v81, v81, v82
	v_add_f32_e32 v69, v69, v80
	s_waitcnt_depctr 0xfff
	v_mul_f32_e32 v85, v84, v71
	s_delay_alu instid0(VALU_DEP_1) | instskip(NEXT) | instid1(VALU_DEP_1)
	v_mul_f32_e32 v86, v83, v85
	v_fma_f32 v82, v85, v83, -v86
	s_delay_alu instid0(VALU_DEP_1) | instskip(NEXT) | instid1(VALU_DEP_1)
	v_fmac_f32_e32 v82, v85, v81
	v_add_f32_e32 v96, v86, v82
	s_delay_alu instid0(VALU_DEP_1) | instskip(SKIP_1) | instid1(VALU_DEP_2)
	v_sub_f32_e32 v98, v84, v96
	v_sub_f32_e32 v80, v96, v86
	v_sub_f32_e32 v84, v84, v98
	s_delay_alu instid0(VALU_DEP_2) | instskip(NEXT) | instid1(VALU_DEP_2)
	v_sub_f32_e32 v80, v80, v82
	v_sub_f32_e32 v84, v84, v96
	s_delay_alu instid0(VALU_DEP_1) | instskip(NEXT) | instid1(VALU_DEP_1)
	v_add_f32_e32 v69, v69, v84
	v_add_f32_e32 v69, v80, v69
	s_delay_alu instid0(VALU_DEP_1) | instskip(NEXT) | instid1(VALU_DEP_1)
	v_add_f32_e32 v80, v98, v69
	v_mul_f32_e32 v82, v71, v80
	v_sub_f32_e32 v96, v98, v80
	s_delay_alu instid0(VALU_DEP_2) | instskip(NEXT) | instid1(VALU_DEP_1)
	v_mul_f32_e32 v84, v83, v82
	v_fma_f32 v83, v82, v83, -v84
	s_delay_alu instid0(VALU_DEP_1) | instskip(NEXT) | instid1(VALU_DEP_1)
	v_fmac_f32_e32 v83, v82, v81
	v_add_f32_e32 v81, v84, v83
	s_delay_alu instid0(VALU_DEP_1) | instskip(SKIP_1) | instid1(VALU_DEP_2)
	v_sub_f32_e32 v86, v80, v81
	v_sub_f32_e32 v84, v81, v84
	v_dual_sub_f32 v80, v80, v86 :: v_dual_add_f32 v69, v69, v96
	s_delay_alu instid0(VALU_DEP_1) | instskip(NEXT) | instid1(VALU_DEP_3)
	v_sub_f32_e32 v80, v80, v81
	v_sub_f32_e32 v81, v84, v83
	s_delay_alu instid0(VALU_DEP_2) | instskip(SKIP_1) | instid1(VALU_DEP_2)
	v_add_f32_e32 v69, v69, v80
	v_add_f32_e32 v80, v85, v82
	;; [unrolled: 1-line block ×3, first 2 shown]
	s_delay_alu instid0(VALU_DEP_2) | instskip(NEXT) | instid1(VALU_DEP_2)
	v_sub_f32_e32 v81, v80, v85
	v_add_f32_e32 v69, v86, v69
	s_delay_alu instid0(VALU_DEP_2) | instskip(NEXT) | instid1(VALU_DEP_2)
	v_sub_f32_e32 v81, v82, v81
	v_mul_f32_e32 v69, v71, v69
	s_delay_alu instid0(VALU_DEP_1) | instskip(NEXT) | instid1(VALU_DEP_1)
	v_add_f32_e32 v69, v81, v69
	v_add_f32_e32 v71, v80, v69
	s_delay_alu instid0(VALU_DEP_1) | instskip(NEXT) | instid1(VALU_DEP_1)
	v_mul_f32_e32 v81, v71, v71
	v_fmaak_f32 v82, s4, v81, 0x3ecc95a3
	v_cmp_gt_f32_e64 s4, 0x33800000, |v70|
	s_delay_alu instid0(VALU_DEP_1) | instskip(SKIP_1) | instid1(VALU_DEP_3)
	s_or_b32 vcc_lo, vcc_lo, s4
	v_mul_f32_e32 v83, v71, v81
	v_fmaak_f32 v81, v81, v82, 0x3f2aaada
	v_ldexp_f32 v82, v71, 1
	s_delay_alu instid0(VALU_DEP_2) | instskip(NEXT) | instid1(VALU_DEP_1)
	v_mul_f32_e32 v81, v83, v81
	v_dual_sub_f32 v71, v71, v80 :: v_dual_add_f32 v80, v82, v81
	s_delay_alu instid0(VALU_DEP_1) | instskip(NEXT) | instid1(VALU_DEP_2)
	v_sub_f32_e32 v69, v69, v71
	v_sub_f32_e32 v71, v80, v82
	s_delay_alu instid0(VALU_DEP_2) | instskip(NEXT) | instid1(VALU_DEP_2)
	v_ldexp_f32 v69, v69, 1
	v_sub_f32_e32 v71, v81, v71
	s_delay_alu instid0(VALU_DEP_1) | instskip(NEXT) | instid1(VALU_DEP_1)
	v_add_f32_e32 v69, v69, v71
	v_add_f32_e32 v81, v80, v69
	v_mul_f32_e32 v83, 0x3f317218, v68
	s_delay_alu instid0(VALU_DEP_2) | instskip(NEXT) | instid1(VALU_DEP_2)
	v_sub_f32_e32 v80, v81, v80
	v_fma_f32 v82, 0x3f317218, v68, -v83
	s_delay_alu instid0(VALU_DEP_1) | instskip(NEXT) | instid1(VALU_DEP_1)
	v_dual_sub_f32 v69, v69, v80 :: v_dual_fmamk_f32 v68, v68, 0xb102e308, v82
	v_add_f32_e32 v71, v83, v68
	s_delay_alu instid0(VALU_DEP_1) | instskip(SKIP_1) | instid1(VALU_DEP_2)
	v_add_f32_e32 v82, v71, v81
	v_sub_f32_e32 v83, v71, v83
	v_sub_f32_e32 v84, v82, v71
	s_delay_alu instid0(VALU_DEP_1) | instskip(NEXT) | instid1(VALU_DEP_1)
	v_dual_sub_f32 v68, v68, v83 :: v_dual_sub_f32 v85, v82, v84
	v_dual_sub_f32 v80, v81, v84 :: v_dual_add_f32 v81, v68, v69
	s_delay_alu instid0(VALU_DEP_2) | instskip(NEXT) | instid1(VALU_DEP_1)
	v_sub_f32_e32 v71, v71, v85
	v_dual_add_f32 v71, v80, v71 :: v_dual_sub_f32 v80, v81, v68
	s_delay_alu instid0(VALU_DEP_1) | instskip(NEXT) | instid1(VALU_DEP_2)
	v_add_f32_e32 v71, v81, v71
	v_sub_f32_e32 v81, v81, v80
	v_sub_f32_e32 v69, v69, v80
	s_delay_alu instid0(VALU_DEP_2) | instskip(NEXT) | instid1(VALU_DEP_1)
	v_dual_add_f32 v83, v82, v71 :: v_dual_sub_f32 v68, v68, v81
	v_sub_f32_e32 v80, v83, v82
	s_delay_alu instid0(VALU_DEP_2) | instskip(NEXT) | instid1(VALU_DEP_2)
	v_add_f32_e32 v68, v69, v68
	v_sub_f32_e32 v69, v71, v80
	s_delay_alu instid0(VALU_DEP_1) | instskip(NEXT) | instid1(VALU_DEP_1)
	v_add_f32_e32 v68, v68, v69
	v_add_f32_e32 v68, v83, v68
	s_delay_alu instid0(VALU_DEP_1) | instskip(NEXT) | instid1(VALU_DEP_1)
	v_cndmask_b32_e32 v68, v68, v70, vcc_lo
	v_add_f32_e32 v68, v67, v68
.LBB481_214:
	s_or_b32 exec_lo, exec_lo, s3
	s_delay_alu instid0(VALU_DEP_1) | instskip(SKIP_1) | instid1(VALU_DEP_2)
	v_bfe_u32 v67, v68, 16, 1
	v_cmp_o_f32_e32 vcc_lo, v68, v68
	v_add3_u32 v67, v68, v67, 0x7fff
	s_delay_alu instid0(VALU_DEP_1) | instskip(NEXT) | instid1(VALU_DEP_1)
	v_lshrrev_b32_e32 v67, 16, v67
	v_cndmask_b32_e32 v67, 0x7fc0, v67, vcc_lo
	s_delay_alu instid0(VALU_DEP_1) | instskip(NEXT) | instid1(VALU_DEP_1)
	v_lshlrev_b32_e32 v69, 16, v67
	v_max_f32_e32 v68, v69, v69
	s_delay_alu instid0(VALU_DEP_1) | instskip(SKIP_2) | instid1(VALU_DEP_3)
	v_min_f32_e32 v70, v68, v100
	v_max_f32_e32 v68, v68, v100
	v_cmp_u_f32_e32 vcc_lo, v69, v69
	v_cndmask_b32_e32 v70, v70, v69, vcc_lo
	s_delay_alu instid0(VALU_DEP_3) | instskip(NEXT) | instid1(VALU_DEP_2)
	v_cndmask_b32_e32 v68, v68, v69, vcc_lo
	v_cndmask_b32_e64 v70, v70, v87, s12
	s_delay_alu instid0(VALU_DEP_2) | instskip(NEXT) | instid1(VALU_DEP_2)
	v_cndmask_b32_e64 v68, v68, v87, s12
	v_cmp_class_f32_e64 s3, v70, 0x1f8
	s_delay_alu instid0(VALU_DEP_2) | instskip(NEXT) | instid1(VALU_DEP_2)
	v_cmp_neq_f32_e32 vcc_lo, v70, v68
	s_or_b32 s4, vcc_lo, s3
	s_delay_alu instid0(SALU_CYCLE_1)
	s_and_saveexec_b32 s3, s4
	s_cbranch_execz .LBB481_216
; %bb.215:
	v_sub_f32_e32 v69, v70, v68
	s_mov_b32 s4, 0x3e9b6dac
	s_delay_alu instid0(VALU_DEP_1) | instskip(SKIP_1) | instid1(VALU_DEP_2)
	v_mul_f32_e32 v70, 0x3fb8aa3b, v69
	v_cmp_ngt_f32_e32 vcc_lo, 0xc2ce8ed0, v69
	v_fma_f32 v71, 0x3fb8aa3b, v69, -v70
	v_rndne_f32_e32 v80, v70
	s_delay_alu instid0(VALU_DEP_1) | instskip(NEXT) | instid1(VALU_DEP_1)
	v_dual_fmamk_f32 v71, v69, 0x32a5705f, v71 :: v_dual_sub_f32 v70, v70, v80
	v_add_f32_e32 v70, v70, v71
	v_cvt_i32_f32_e32 v71, v80
	s_delay_alu instid0(VALU_DEP_2) | instskip(SKIP_2) | instid1(VALU_DEP_1)
	v_exp_f32_e32 v70, v70
	s_waitcnt_depctr 0xfff
	v_ldexp_f32 v70, v70, v71
	v_cndmask_b32_e32 v70, 0, v70, vcc_lo
	v_cmp_nlt_f32_e32 vcc_lo, 0x42b17218, v69
	s_delay_alu instid0(VALU_DEP_2) | instskip(NEXT) | instid1(VALU_DEP_1)
	v_cndmask_b32_e32 v71, 0x7f800000, v70, vcc_lo
	v_add_f32_e32 v80, 1.0, v71
	s_delay_alu instid0(VALU_DEP_1) | instskip(NEXT) | instid1(VALU_DEP_1)
	v_cvt_f64_f32_e32 v[69:70], v80
	v_frexp_exp_i32_f64_e32 v69, v[69:70]
	v_frexp_mant_f32_e32 v70, v80
	s_delay_alu instid0(VALU_DEP_1) | instskip(SKIP_1) | instid1(VALU_DEP_1)
	v_cmp_gt_f32_e32 vcc_lo, 0x3f2aaaab, v70
	v_add_f32_e32 v70, -1.0, v80
	v_sub_f32_e32 v82, v70, v80
	v_sub_f32_e32 v70, v71, v70
	v_subrev_co_ci_u32_e32 v69, vcc_lo, 0, v69, vcc_lo
	v_cmp_eq_f32_e32 vcc_lo, 0x7f800000, v71
	s_delay_alu instid0(VALU_DEP_2) | instskip(SKIP_1) | instid1(VALU_DEP_2)
	v_sub_nc_u32_e32 v81, 0, v69
	v_cvt_f32_i32_e32 v69, v69
	v_ldexp_f32 v80, v80, v81
	s_delay_alu instid0(VALU_DEP_1) | instskip(NEXT) | instid1(VALU_DEP_1)
	v_dual_add_f32 v83, 1.0, v80 :: v_dual_add_f32 v82, 1.0, v82
	v_add_f32_e32 v70, v70, v82
	s_delay_alu instid0(VALU_DEP_2) | instskip(NEXT) | instid1(VALU_DEP_2)
	v_add_f32_e32 v82, -1.0, v83
	v_ldexp_f32 v70, v70, v81
	s_delay_alu instid0(VALU_DEP_2) | instskip(NEXT) | instid1(VALU_DEP_1)
	v_dual_add_f32 v81, -1.0, v80 :: v_dual_sub_f32 v82, v80, v82
	v_add_f32_e32 v84, 1.0, v81
	s_delay_alu instid0(VALU_DEP_2) | instskip(NEXT) | instid1(VALU_DEP_2)
	v_add_f32_e32 v82, v70, v82
	v_sub_f32_e32 v80, v80, v84
	s_delay_alu instid0(VALU_DEP_2) | instskip(NEXT) | instid1(VALU_DEP_2)
	v_add_f32_e32 v84, v83, v82
	v_add_f32_e32 v70, v70, v80
	s_delay_alu instid0(VALU_DEP_2) | instskip(SKIP_1) | instid1(VALU_DEP_1)
	v_rcp_f32_e32 v80, v84
	v_sub_f32_e32 v83, v83, v84
	v_dual_add_f32 v85, v81, v70 :: v_dual_add_f32 v82, v82, v83
	s_delay_alu instid0(VALU_DEP_1) | instskip(SKIP_2) | instid1(VALU_DEP_1)
	v_sub_f32_e32 v81, v81, v85
	s_waitcnt_depctr 0xfff
	v_mul_f32_e32 v86, v85, v80
	v_dual_add_f32 v70, v70, v81 :: v_dual_mul_f32 v87, v84, v86
	s_delay_alu instid0(VALU_DEP_1) | instskip(NEXT) | instid1(VALU_DEP_1)
	v_fma_f32 v83, v86, v84, -v87
	v_fmac_f32_e32 v83, v86, v82
	s_delay_alu instid0(VALU_DEP_1) | instskip(NEXT) | instid1(VALU_DEP_1)
	v_add_f32_e32 v96, v87, v83
	v_dual_sub_f32 v98, v85, v96 :: v_dual_sub_f32 v81, v96, v87
	s_delay_alu instid0(VALU_DEP_1) | instskip(NEXT) | instid1(VALU_DEP_2)
	v_sub_f32_e32 v85, v85, v98
	v_sub_f32_e32 v81, v81, v83
	s_delay_alu instid0(VALU_DEP_2) | instskip(NEXT) | instid1(VALU_DEP_1)
	v_sub_f32_e32 v85, v85, v96
	v_add_f32_e32 v70, v70, v85
	s_delay_alu instid0(VALU_DEP_1) | instskip(NEXT) | instid1(VALU_DEP_1)
	v_add_f32_e32 v70, v81, v70
	v_add_f32_e32 v81, v98, v70
	s_delay_alu instid0(VALU_DEP_1) | instskip(NEXT) | instid1(VALU_DEP_1)
	v_mul_f32_e32 v83, v80, v81
	v_dual_sub_f32 v96, v98, v81 :: v_dual_mul_f32 v85, v84, v83
	s_delay_alu instid0(VALU_DEP_1) | instskip(NEXT) | instid1(VALU_DEP_2)
	v_add_f32_e32 v70, v70, v96
	v_fma_f32 v84, v83, v84, -v85
	s_delay_alu instid0(VALU_DEP_1) | instskip(NEXT) | instid1(VALU_DEP_1)
	v_fmac_f32_e32 v84, v83, v82
	v_add_f32_e32 v82, v85, v84
	s_delay_alu instid0(VALU_DEP_1) | instskip(SKIP_1) | instid1(VALU_DEP_2)
	v_sub_f32_e32 v87, v81, v82
	v_sub_f32_e32 v85, v82, v85
	;; [unrolled: 1-line block ×3, first 2 shown]
	s_delay_alu instid0(VALU_DEP_1) | instskip(NEXT) | instid1(VALU_DEP_3)
	v_sub_f32_e32 v81, v81, v82
	v_sub_f32_e32 v82, v85, v84
	s_delay_alu instid0(VALU_DEP_2) | instskip(SKIP_1) | instid1(VALU_DEP_2)
	v_add_f32_e32 v70, v70, v81
	v_add_f32_e32 v81, v86, v83
	;; [unrolled: 1-line block ×3, first 2 shown]
	s_delay_alu instid0(VALU_DEP_2) | instskip(NEXT) | instid1(VALU_DEP_2)
	v_sub_f32_e32 v82, v81, v86
	v_add_f32_e32 v70, v87, v70
	s_delay_alu instid0(VALU_DEP_2) | instskip(NEXT) | instid1(VALU_DEP_2)
	v_sub_f32_e32 v82, v83, v82
	v_mul_f32_e32 v70, v80, v70
	s_delay_alu instid0(VALU_DEP_1) | instskip(NEXT) | instid1(VALU_DEP_1)
	v_add_f32_e32 v70, v82, v70
	v_add_f32_e32 v80, v81, v70
	s_delay_alu instid0(VALU_DEP_1) | instskip(NEXT) | instid1(VALU_DEP_1)
	v_mul_f32_e32 v82, v80, v80
	v_fmaak_f32 v83, s4, v82, 0x3ecc95a3
	v_mul_f32_e32 v84, v80, v82
	v_cmp_gt_f32_e64 s4, 0x33800000, |v71|
	s_delay_alu instid0(VALU_DEP_3) | instskip(SKIP_2) | instid1(VALU_DEP_4)
	v_fmaak_f32 v82, v82, v83, 0x3f2aaada
	v_ldexp_f32 v83, v80, 1
	v_sub_f32_e32 v80, v80, v81
	s_or_b32 vcc_lo, vcc_lo, s4
	s_delay_alu instid0(VALU_DEP_3) | instskip(SKIP_1) | instid1(VALU_DEP_2)
	v_mul_f32_e32 v82, v84, v82
	v_mul_f32_e32 v84, 0x3f317218, v69
	v_dual_sub_f32 v70, v70, v80 :: v_dual_add_f32 v81, v83, v82
	s_delay_alu instid0(VALU_DEP_1) | instskip(NEXT) | instid1(VALU_DEP_2)
	v_ldexp_f32 v70, v70, 1
	v_sub_f32_e32 v80, v81, v83
	s_delay_alu instid0(VALU_DEP_4) | instskip(NEXT) | instid1(VALU_DEP_1)
	v_fma_f32 v83, 0x3f317218, v69, -v84
	v_dual_sub_f32 v80, v82, v80 :: v_dual_fmamk_f32 v69, v69, 0xb102e308, v83
	s_delay_alu instid0(VALU_DEP_1) | instskip(NEXT) | instid1(VALU_DEP_2)
	v_add_f32_e32 v70, v70, v80
	v_add_f32_e32 v80, v84, v69
	s_delay_alu instid0(VALU_DEP_2) | instskip(NEXT) | instid1(VALU_DEP_2)
	v_add_f32_e32 v82, v81, v70
	v_sub_f32_e32 v84, v80, v84
	s_delay_alu instid0(VALU_DEP_2) | instskip(SKIP_1) | instid1(VALU_DEP_3)
	v_add_f32_e32 v83, v80, v82
	v_sub_f32_e32 v81, v82, v81
	v_sub_f32_e32 v69, v69, v84
	s_delay_alu instid0(VALU_DEP_2) | instskip(NEXT) | instid1(VALU_DEP_1)
	v_dual_sub_f32 v85, v83, v80 :: v_dual_sub_f32 v70, v70, v81
	v_sub_f32_e32 v86, v83, v85
	s_delay_alu instid0(VALU_DEP_2) | instskip(NEXT) | instid1(VALU_DEP_2)
	v_dual_sub_f32 v81, v82, v85 :: v_dual_add_f32 v82, v69, v70
	v_sub_f32_e32 v80, v80, v86
	s_delay_alu instid0(VALU_DEP_1) | instskip(NEXT) | instid1(VALU_DEP_1)
	v_dual_add_f32 v80, v81, v80 :: v_dual_sub_f32 v81, v82, v69
	v_add_f32_e32 v80, v82, v80
	s_delay_alu instid0(VALU_DEP_2) | instskip(SKIP_1) | instid1(VALU_DEP_2)
	v_sub_f32_e32 v82, v82, v81
	v_sub_f32_e32 v70, v70, v81
	v_dual_add_f32 v84, v83, v80 :: v_dual_sub_f32 v69, v69, v82
	s_delay_alu instid0(VALU_DEP_1) | instskip(NEXT) | instid1(VALU_DEP_2)
	v_sub_f32_e32 v81, v84, v83
	v_add_f32_e32 v69, v70, v69
	s_delay_alu instid0(VALU_DEP_2) | instskip(NEXT) | instid1(VALU_DEP_1)
	v_sub_f32_e32 v70, v80, v81
	v_add_f32_e32 v69, v69, v70
	s_delay_alu instid0(VALU_DEP_1) | instskip(NEXT) | instid1(VALU_DEP_1)
	v_add_f32_e32 v69, v84, v69
	v_cndmask_b32_e32 v69, v69, v71, vcc_lo
	s_delay_alu instid0(VALU_DEP_1)
	v_add_f32_e32 v69, v68, v69
.LBB481_216:
	s_or_b32 exec_lo, exec_lo, s3
	s_delay_alu instid0(VALU_DEP_1) | instskip(SKIP_1) | instid1(VALU_DEP_2)
	v_bfe_u32 v68, v69, 16, 1
	v_cmp_o_f32_e32 vcc_lo, v69, v69
	v_add3_u32 v68, v69, v68, 0x7fff
	s_delay_alu instid0(VALU_DEP_1) | instskip(NEXT) | instid1(VALU_DEP_1)
	v_lshrrev_b32_e32 v68, 16, v68
	v_cndmask_b32_e32 v68, 0x7fc0, v68, vcc_lo
	s_delay_alu instid0(VALU_DEP_1) | instskip(NEXT) | instid1(VALU_DEP_1)
	v_lshlrev_b32_e32 v70, 16, v68
	v_max_f32_e32 v69, v70, v70
	s_delay_alu instid0(VALU_DEP_1) | instskip(SKIP_2) | instid1(VALU_DEP_3)
	v_min_f32_e32 v71, v69, v102
	v_max_f32_e32 v69, v69, v102
	v_cmp_u_f32_e32 vcc_lo, v70, v70
	v_cndmask_b32_e32 v71, v71, v70, vcc_lo
	s_delay_alu instid0(VALU_DEP_3) | instskip(NEXT) | instid1(VALU_DEP_2)
	v_cndmask_b32_e32 v69, v69, v70, vcc_lo
	v_cndmask_b32_e64 v71, v71, v97, s13
	s_delay_alu instid0(VALU_DEP_2) | instskip(NEXT) | instid1(VALU_DEP_2)
	v_cndmask_b32_e64 v69, v69, v97, s13
	v_cmp_class_f32_e64 s3, v71, 0x1f8
	s_delay_alu instid0(VALU_DEP_2) | instskip(NEXT) | instid1(VALU_DEP_2)
	v_cmp_neq_f32_e32 vcc_lo, v71, v69
	s_or_b32 s4, vcc_lo, s3
	s_delay_alu instid0(SALU_CYCLE_1)
	s_and_saveexec_b32 s3, s4
	s_cbranch_execz .LBB481_218
; %bb.217:
	v_sub_f32_e32 v70, v71, v69
	s_mov_b32 s4, 0x3e9b6dac
	s_delay_alu instid0(VALU_DEP_1) | instskip(SKIP_1) | instid1(VALU_DEP_2)
	v_mul_f32_e32 v71, 0x3fb8aa3b, v70
	v_cmp_ngt_f32_e32 vcc_lo, 0xc2ce8ed0, v70
	v_fma_f32 v80, 0x3fb8aa3b, v70, -v71
	v_rndne_f32_e32 v81, v71
	s_delay_alu instid0(VALU_DEP_1) | instskip(NEXT) | instid1(VALU_DEP_1)
	v_dual_fmamk_f32 v80, v70, 0x32a5705f, v80 :: v_dual_sub_f32 v71, v71, v81
	v_add_f32_e32 v71, v71, v80
	v_cvt_i32_f32_e32 v80, v81
	s_delay_alu instid0(VALU_DEP_2) | instskip(SKIP_2) | instid1(VALU_DEP_1)
	v_exp_f32_e32 v71, v71
	s_waitcnt_depctr 0xfff
	v_ldexp_f32 v71, v71, v80
	v_cndmask_b32_e32 v71, 0, v71, vcc_lo
	v_cmp_nlt_f32_e32 vcc_lo, 0x42b17218, v70
	s_delay_alu instid0(VALU_DEP_2) | instskip(NEXT) | instid1(VALU_DEP_1)
	v_cndmask_b32_e32 v80, 0x7f800000, v71, vcc_lo
	v_add_f32_e32 v81, 1.0, v80
	s_delay_alu instid0(VALU_DEP_1) | instskip(NEXT) | instid1(VALU_DEP_1)
	v_cvt_f64_f32_e32 v[70:71], v81
	v_frexp_exp_i32_f64_e32 v70, v[70:71]
	v_frexp_mant_f32_e32 v71, v81
	s_delay_alu instid0(VALU_DEP_1) | instskip(SKIP_1) | instid1(VALU_DEP_1)
	v_cmp_gt_f32_e32 vcc_lo, 0x3f2aaaab, v71
	v_add_f32_e32 v71, -1.0, v81
	v_sub_f32_e32 v83, v71, v81
	v_sub_f32_e32 v71, v80, v71
	v_subrev_co_ci_u32_e32 v70, vcc_lo, 0, v70, vcc_lo
	v_cmp_eq_f32_e32 vcc_lo, 0x7f800000, v80
	s_delay_alu instid0(VALU_DEP_2) | instskip(SKIP_1) | instid1(VALU_DEP_2)
	v_sub_nc_u32_e32 v82, 0, v70
	v_cvt_f32_i32_e32 v70, v70
	v_ldexp_f32 v81, v81, v82
	s_delay_alu instid0(VALU_DEP_1) | instskip(NEXT) | instid1(VALU_DEP_1)
	v_dual_add_f32 v84, 1.0, v81 :: v_dual_add_f32 v83, 1.0, v83
	v_add_f32_e32 v71, v71, v83
	s_delay_alu instid0(VALU_DEP_2) | instskip(NEXT) | instid1(VALU_DEP_2)
	v_add_f32_e32 v83, -1.0, v84
	v_ldexp_f32 v71, v71, v82
	s_delay_alu instid0(VALU_DEP_2) | instskip(NEXT) | instid1(VALU_DEP_1)
	v_dual_add_f32 v82, -1.0, v81 :: v_dual_sub_f32 v83, v81, v83
	v_add_f32_e32 v85, 1.0, v82
	s_delay_alu instid0(VALU_DEP_2) | instskip(NEXT) | instid1(VALU_DEP_2)
	v_add_f32_e32 v83, v71, v83
	v_sub_f32_e32 v81, v81, v85
	s_delay_alu instid0(VALU_DEP_2) | instskip(NEXT) | instid1(VALU_DEP_2)
	v_add_f32_e32 v85, v84, v83
	v_add_f32_e32 v71, v71, v81
	s_delay_alu instid0(VALU_DEP_2) | instskip(SKIP_1) | instid1(VALU_DEP_1)
	v_rcp_f32_e32 v81, v85
	v_sub_f32_e32 v84, v84, v85
	v_dual_add_f32 v86, v82, v71 :: v_dual_add_f32 v83, v83, v84
	s_delay_alu instid0(VALU_DEP_1) | instskip(SKIP_2) | instid1(VALU_DEP_1)
	v_sub_f32_e32 v82, v82, v86
	s_waitcnt_depctr 0xfff
	v_mul_f32_e32 v87, v86, v81
	v_dual_add_f32 v71, v71, v82 :: v_dual_mul_f32 v96, v85, v87
	s_delay_alu instid0(VALU_DEP_1) | instskip(NEXT) | instid1(VALU_DEP_1)
	v_fma_f32 v84, v87, v85, -v96
	v_fmac_f32_e32 v84, v87, v83
	s_delay_alu instid0(VALU_DEP_1) | instskip(NEXT) | instid1(VALU_DEP_1)
	v_add_f32_e32 v97, v96, v84
	v_sub_f32_e32 v98, v86, v97
	v_sub_f32_e32 v82, v97, v96
	s_delay_alu instid0(VALU_DEP_2) | instskip(NEXT) | instid1(VALU_DEP_2)
	v_sub_f32_e32 v86, v86, v98
	v_sub_f32_e32 v82, v82, v84
	s_delay_alu instid0(VALU_DEP_2) | instskip(NEXT) | instid1(VALU_DEP_1)
	v_sub_f32_e32 v86, v86, v97
	v_add_f32_e32 v71, v71, v86
	s_delay_alu instid0(VALU_DEP_1) | instskip(NEXT) | instid1(VALU_DEP_1)
	v_add_f32_e32 v71, v82, v71
	v_add_f32_e32 v82, v98, v71
	s_delay_alu instid0(VALU_DEP_1) | instskip(NEXT) | instid1(VALU_DEP_1)
	v_mul_f32_e32 v84, v81, v82
	v_dual_sub_f32 v97, v98, v82 :: v_dual_mul_f32 v86, v85, v84
	s_delay_alu instid0(VALU_DEP_1) | instskip(NEXT) | instid1(VALU_DEP_2)
	v_add_f32_e32 v71, v71, v97
	v_fma_f32 v85, v84, v85, -v86
	s_delay_alu instid0(VALU_DEP_1) | instskip(NEXT) | instid1(VALU_DEP_1)
	v_fmac_f32_e32 v85, v84, v83
	v_add_f32_e32 v83, v86, v85
	s_delay_alu instid0(VALU_DEP_1) | instskip(SKIP_1) | instid1(VALU_DEP_2)
	v_sub_f32_e32 v96, v82, v83
	v_sub_f32_e32 v86, v83, v86
	;; [unrolled: 1-line block ×3, first 2 shown]
	s_delay_alu instid0(VALU_DEP_1) | instskip(NEXT) | instid1(VALU_DEP_3)
	v_sub_f32_e32 v82, v82, v83
	v_sub_f32_e32 v83, v86, v85
	s_delay_alu instid0(VALU_DEP_2) | instskip(SKIP_1) | instid1(VALU_DEP_2)
	v_add_f32_e32 v71, v71, v82
	v_add_f32_e32 v82, v87, v84
	;; [unrolled: 1-line block ×3, first 2 shown]
	s_delay_alu instid0(VALU_DEP_2) | instskip(NEXT) | instid1(VALU_DEP_2)
	v_sub_f32_e32 v83, v82, v87
	v_add_f32_e32 v71, v96, v71
	s_delay_alu instid0(VALU_DEP_2) | instskip(NEXT) | instid1(VALU_DEP_2)
	v_sub_f32_e32 v83, v84, v83
	v_mul_f32_e32 v71, v81, v71
	s_delay_alu instid0(VALU_DEP_1) | instskip(NEXT) | instid1(VALU_DEP_1)
	v_add_f32_e32 v71, v83, v71
	v_add_f32_e32 v81, v82, v71
	s_delay_alu instid0(VALU_DEP_1) | instskip(NEXT) | instid1(VALU_DEP_1)
	v_mul_f32_e32 v83, v81, v81
	v_fmaak_f32 v84, s4, v83, 0x3ecc95a3
	v_mul_f32_e32 v85, v81, v83
	v_cmp_gt_f32_e64 s4, 0x33800000, |v80|
	s_delay_alu instid0(VALU_DEP_3) | instskip(SKIP_2) | instid1(VALU_DEP_4)
	v_fmaak_f32 v83, v83, v84, 0x3f2aaada
	v_ldexp_f32 v84, v81, 1
	v_sub_f32_e32 v81, v81, v82
	s_or_b32 vcc_lo, vcc_lo, s4
	s_delay_alu instid0(VALU_DEP_3) | instskip(SKIP_1) | instid1(VALU_DEP_2)
	v_mul_f32_e32 v83, v85, v83
	v_mul_f32_e32 v85, 0x3f317218, v70
	v_dual_sub_f32 v71, v71, v81 :: v_dual_add_f32 v82, v84, v83
	s_delay_alu instid0(VALU_DEP_1) | instskip(NEXT) | instid1(VALU_DEP_2)
	v_ldexp_f32 v71, v71, 1
	v_sub_f32_e32 v81, v82, v84
	s_delay_alu instid0(VALU_DEP_4) | instskip(NEXT) | instid1(VALU_DEP_1)
	v_fma_f32 v84, 0x3f317218, v70, -v85
	v_dual_sub_f32 v81, v83, v81 :: v_dual_fmamk_f32 v70, v70, 0xb102e308, v84
	s_delay_alu instid0(VALU_DEP_1) | instskip(NEXT) | instid1(VALU_DEP_2)
	v_add_f32_e32 v71, v71, v81
	v_add_f32_e32 v81, v85, v70
	s_delay_alu instid0(VALU_DEP_2) | instskip(NEXT) | instid1(VALU_DEP_2)
	v_add_f32_e32 v83, v82, v71
	v_sub_f32_e32 v85, v81, v85
	s_delay_alu instid0(VALU_DEP_2) | instskip(SKIP_1) | instid1(VALU_DEP_3)
	v_add_f32_e32 v84, v81, v83
	v_sub_f32_e32 v82, v83, v82
	v_sub_f32_e32 v70, v70, v85
	s_delay_alu instid0(VALU_DEP_2) | instskip(NEXT) | instid1(VALU_DEP_1)
	v_dual_sub_f32 v86, v84, v81 :: v_dual_sub_f32 v71, v71, v82
	v_sub_f32_e32 v87, v84, v86
	s_delay_alu instid0(VALU_DEP_2) | instskip(NEXT) | instid1(VALU_DEP_2)
	v_dual_sub_f32 v82, v83, v86 :: v_dual_add_f32 v83, v70, v71
	v_sub_f32_e32 v81, v81, v87
	s_delay_alu instid0(VALU_DEP_1) | instskip(NEXT) | instid1(VALU_DEP_1)
	v_dual_add_f32 v81, v82, v81 :: v_dual_sub_f32 v82, v83, v70
	v_add_f32_e32 v81, v83, v81
	s_delay_alu instid0(VALU_DEP_2) | instskip(SKIP_1) | instid1(VALU_DEP_2)
	v_sub_f32_e32 v83, v83, v82
	v_sub_f32_e32 v71, v71, v82
	v_dual_add_f32 v85, v84, v81 :: v_dual_sub_f32 v70, v70, v83
	s_delay_alu instid0(VALU_DEP_1) | instskip(NEXT) | instid1(VALU_DEP_2)
	v_sub_f32_e32 v82, v85, v84
	v_add_f32_e32 v70, v71, v70
	s_delay_alu instid0(VALU_DEP_2) | instskip(NEXT) | instid1(VALU_DEP_1)
	v_sub_f32_e32 v71, v81, v82
	v_add_f32_e32 v70, v70, v71
	s_delay_alu instid0(VALU_DEP_1) | instskip(NEXT) | instid1(VALU_DEP_1)
	v_add_f32_e32 v70, v85, v70
	v_cndmask_b32_e32 v70, v70, v80, vcc_lo
	s_delay_alu instid0(VALU_DEP_1)
	v_add_f32_e32 v70, v69, v70
.LBB481_218:
	s_or_b32 exec_lo, exec_lo, s3
	s_delay_alu instid0(VALU_DEP_1) | instskip(SKIP_1) | instid1(VALU_DEP_2)
	v_bfe_u32 v69, v70, 16, 1
	v_cmp_o_f32_e32 vcc_lo, v70, v70
	v_add3_u32 v69, v70, v69, 0x7fff
	s_delay_alu instid0(VALU_DEP_1) | instskip(NEXT) | instid1(VALU_DEP_1)
	v_lshrrev_b32_e32 v69, 16, v69
	v_cndmask_b32_e32 v69, 0x7fc0, v69, vcc_lo
	s_delay_alu instid0(VALU_DEP_1) | instskip(NEXT) | instid1(VALU_DEP_1)
	v_lshlrev_b32_e32 v71, 16, v69
	v_max_f32_e32 v70, v71, v71
	s_delay_alu instid0(VALU_DEP_1) | instskip(SKIP_2) | instid1(VALU_DEP_3)
	v_min_f32_e32 v80, v70, v112
	v_max_f32_e32 v70, v70, v112
	v_cmp_u_f32_e32 vcc_lo, v71, v71
	v_cndmask_b32_e32 v80, v80, v71, vcc_lo
	s_delay_alu instid0(VALU_DEP_3) | instskip(NEXT) | instid1(VALU_DEP_2)
	v_cndmask_b32_e32 v70, v70, v71, vcc_lo
	v_cndmask_b32_e64 v80, v80, v99, s14
	s_delay_alu instid0(VALU_DEP_2) | instskip(NEXT) | instid1(VALU_DEP_2)
	v_cndmask_b32_e64 v70, v70, v99, s14
	v_cmp_class_f32_e64 s3, v80, 0x1f8
	s_delay_alu instid0(VALU_DEP_2) | instskip(NEXT) | instid1(VALU_DEP_2)
	v_cmp_neq_f32_e32 vcc_lo, v80, v70
	s_or_b32 s4, vcc_lo, s3
	s_delay_alu instid0(SALU_CYCLE_1)
	s_and_saveexec_b32 s3, s4
	s_cbranch_execz .LBB481_220
; %bb.219:
	v_sub_f32_e32 v71, v80, v70
	s_mov_b32 s4, 0x3e9b6dac
	s_delay_alu instid0(VALU_DEP_1) | instskip(SKIP_1) | instid1(VALU_DEP_2)
	v_mul_f32_e32 v80, 0x3fb8aa3b, v71
	v_cmp_ngt_f32_e32 vcc_lo, 0xc2ce8ed0, v71
	v_fma_f32 v81, 0x3fb8aa3b, v71, -v80
	v_rndne_f32_e32 v82, v80
	s_delay_alu instid0(VALU_DEP_1) | instskip(NEXT) | instid1(VALU_DEP_1)
	v_dual_fmamk_f32 v81, v71, 0x32a5705f, v81 :: v_dual_sub_f32 v80, v80, v82
	v_add_f32_e32 v80, v80, v81
	v_cvt_i32_f32_e32 v81, v82
	s_delay_alu instid0(VALU_DEP_2) | instskip(SKIP_2) | instid1(VALU_DEP_1)
	v_exp_f32_e32 v80, v80
	s_waitcnt_depctr 0xfff
	v_ldexp_f32 v80, v80, v81
	v_cndmask_b32_e32 v80, 0, v80, vcc_lo
	v_cmp_nlt_f32_e32 vcc_lo, 0x42b17218, v71
	s_delay_alu instid0(VALU_DEP_2) | instskip(NEXT) | instid1(VALU_DEP_1)
	v_cndmask_b32_e32 v71, 0x7f800000, v80, vcc_lo
	v_add_f32_e32 v82, 1.0, v71
	s_delay_alu instid0(VALU_DEP_1) | instskip(NEXT) | instid1(VALU_DEP_1)
	v_cvt_f64_f32_e32 v[80:81], v82
	v_frexp_exp_i32_f64_e32 v80, v[80:81]
	v_frexp_mant_f32_e32 v81, v82
	s_delay_alu instid0(VALU_DEP_1) | instskip(SKIP_1) | instid1(VALU_DEP_1)
	v_cmp_gt_f32_e32 vcc_lo, 0x3f2aaaab, v81
	v_add_f32_e32 v81, -1.0, v82
	v_dual_sub_f32 v84, v81, v82 :: v_dual_sub_f32 v81, v71, v81
	v_subrev_co_ci_u32_e32 v80, vcc_lo, 0, v80, vcc_lo
	v_cmp_eq_f32_e32 vcc_lo, 0x7f800000, v71
	s_delay_alu instid0(VALU_DEP_2) | instskip(SKIP_1) | instid1(VALU_DEP_2)
	v_sub_nc_u32_e32 v83, 0, v80
	v_cvt_f32_i32_e32 v80, v80
	v_ldexp_f32 v82, v82, v83
	s_delay_alu instid0(VALU_DEP_1) | instskip(NEXT) | instid1(VALU_DEP_1)
	v_dual_add_f32 v84, 1.0, v84 :: v_dual_add_f32 v85, 1.0, v82
	v_dual_add_f32 v81, v81, v84 :: v_dual_add_f32 v84, -1.0, v85
	s_delay_alu instid0(VALU_DEP_1) | instskip(NEXT) | instid1(VALU_DEP_2)
	v_ldexp_f32 v81, v81, v83
	v_dual_add_f32 v83, -1.0, v82 :: v_dual_sub_f32 v84, v82, v84
	s_delay_alu instid0(VALU_DEP_1) | instskip(NEXT) | instid1(VALU_DEP_2)
	v_add_f32_e32 v86, 1.0, v83
	v_add_f32_e32 v84, v81, v84
	s_delay_alu instid0(VALU_DEP_2) | instskip(NEXT) | instid1(VALU_DEP_1)
	v_sub_f32_e32 v82, v82, v86
	v_add_f32_e32 v81, v81, v82
	s_delay_alu instid0(VALU_DEP_1) | instskip(NEXT) | instid1(VALU_DEP_1)
	v_dual_add_f32 v87, v83, v81 :: v_dual_add_f32 v86, v85, v84
	v_sub_f32_e32 v83, v83, v87
	s_delay_alu instid0(VALU_DEP_2) | instskip(SKIP_1) | instid1(VALU_DEP_1)
	v_rcp_f32_e32 v82, v86
	v_sub_f32_e32 v85, v85, v86
	v_dual_add_f32 v81, v81, v83 :: v_dual_add_f32 v84, v84, v85
	s_waitcnt_depctr 0xfff
	v_mul_f32_e32 v96, v87, v82
	s_delay_alu instid0(VALU_DEP_1) | instskip(NEXT) | instid1(VALU_DEP_1)
	v_mul_f32_e32 v97, v86, v96
	v_fma_f32 v85, v96, v86, -v97
	s_delay_alu instid0(VALU_DEP_1) | instskip(NEXT) | instid1(VALU_DEP_1)
	v_fmac_f32_e32 v85, v96, v84
	v_add_f32_e32 v98, v97, v85
	s_delay_alu instid0(VALU_DEP_1) | instskip(NEXT) | instid1(VALU_DEP_1)
	v_sub_f32_e32 v99, v87, v98
	v_sub_f32_e32 v87, v87, v99
	;; [unrolled: 1-line block ×3, first 2 shown]
	s_delay_alu instid0(VALU_DEP_2) | instskip(NEXT) | instid1(VALU_DEP_2)
	v_sub_f32_e32 v87, v87, v98
	v_sub_f32_e32 v83, v83, v85
	s_delay_alu instid0(VALU_DEP_2) | instskip(NEXT) | instid1(VALU_DEP_1)
	v_add_f32_e32 v81, v81, v87
	v_add_f32_e32 v81, v83, v81
	s_delay_alu instid0(VALU_DEP_1) | instskip(NEXT) | instid1(VALU_DEP_1)
	v_add_f32_e32 v83, v99, v81
	v_mul_f32_e32 v85, v82, v83
	s_delay_alu instid0(VALU_DEP_1) | instskip(NEXT) | instid1(VALU_DEP_1)
	v_dual_sub_f32 v98, v99, v83 :: v_dual_mul_f32 v87, v86, v85
	v_add_f32_e32 v81, v81, v98
	s_delay_alu instid0(VALU_DEP_2) | instskip(NEXT) | instid1(VALU_DEP_1)
	v_fma_f32 v86, v85, v86, -v87
	v_fmac_f32_e32 v86, v85, v84
	s_delay_alu instid0(VALU_DEP_1) | instskip(NEXT) | instid1(VALU_DEP_1)
	v_add_f32_e32 v84, v87, v86
	v_sub_f32_e32 v97, v83, v84
	v_sub_f32_e32 v87, v84, v87
	s_delay_alu instid0(VALU_DEP_2) | instskip(NEXT) | instid1(VALU_DEP_1)
	v_sub_f32_e32 v83, v83, v97
	v_sub_f32_e32 v83, v83, v84
	s_delay_alu instid0(VALU_DEP_1) | instskip(SKIP_1) | instid1(VALU_DEP_1)
	v_dual_sub_f32 v84, v87, v86 :: v_dual_add_f32 v81, v81, v83
	v_add_f32_e32 v83, v96, v85
	v_dual_add_f32 v81, v84, v81 :: v_dual_sub_f32 v84, v83, v96
	s_delay_alu instid0(VALU_DEP_1) | instskip(NEXT) | instid1(VALU_DEP_1)
	v_add_f32_e32 v81, v97, v81
	v_dual_sub_f32 v84, v85, v84 :: v_dual_mul_f32 v81, v82, v81
	s_delay_alu instid0(VALU_DEP_1) | instskip(NEXT) | instid1(VALU_DEP_1)
	v_add_f32_e32 v81, v84, v81
	v_add_f32_e32 v82, v83, v81
	s_delay_alu instid0(VALU_DEP_1) | instskip(NEXT) | instid1(VALU_DEP_1)
	v_mul_f32_e32 v84, v82, v82
	v_fmaak_f32 v85, s4, v84, 0x3ecc95a3
	v_mul_f32_e32 v86, v82, v84
	v_cmp_gt_f32_e64 s4, 0x33800000, |v71|
	s_delay_alu instid0(VALU_DEP_3) | instskip(SKIP_2) | instid1(VALU_DEP_4)
	v_fmaak_f32 v84, v84, v85, 0x3f2aaada
	v_ldexp_f32 v85, v82, 1
	v_sub_f32_e32 v82, v82, v83
	s_or_b32 vcc_lo, vcc_lo, s4
	s_delay_alu instid0(VALU_DEP_3) | instskip(NEXT) | instid1(VALU_DEP_2)
	v_mul_f32_e32 v84, v86, v84
	v_dual_mul_f32 v86, 0x3f317218, v80 :: v_dual_sub_f32 v81, v81, v82
	s_delay_alu instid0(VALU_DEP_2) | instskip(NEXT) | instid1(VALU_DEP_2)
	v_add_f32_e32 v83, v85, v84
	v_ldexp_f32 v81, v81, 1
	s_delay_alu instid0(VALU_DEP_2) | instskip(NEXT) | instid1(VALU_DEP_4)
	v_sub_f32_e32 v82, v83, v85
	v_fma_f32 v85, 0x3f317218, v80, -v86
	s_delay_alu instid0(VALU_DEP_2) | instskip(NEXT) | instid1(VALU_DEP_1)
	v_sub_f32_e32 v82, v84, v82
	v_dual_fmamk_f32 v80, v80, 0xb102e308, v85 :: v_dual_add_f32 v81, v81, v82
	s_delay_alu instid0(VALU_DEP_1) | instskip(NEXT) | instid1(VALU_DEP_1)
	v_add_f32_e32 v82, v86, v80
	v_sub_f32_e32 v86, v82, v86
	s_delay_alu instid0(VALU_DEP_1) | instskip(NEXT) | instid1(VALU_DEP_4)
	v_sub_f32_e32 v80, v80, v86
	v_add_f32_e32 v84, v83, v81
	s_delay_alu instid0(VALU_DEP_1) | instskip(NEXT) | instid1(VALU_DEP_1)
	v_sub_f32_e32 v83, v84, v83
	v_sub_f32_e32 v81, v81, v83
	v_add_f32_e32 v85, v82, v84
	s_delay_alu instid0(VALU_DEP_1) | instskip(NEXT) | instid1(VALU_DEP_1)
	v_sub_f32_e32 v87, v85, v82
	v_sub_f32_e32 v83, v84, v87
	s_delay_alu instid0(VALU_DEP_4) | instskip(SKIP_1) | instid1(VALU_DEP_1)
	v_add_f32_e32 v84, v80, v81
	v_sub_f32_e32 v96, v85, v87
	v_sub_f32_e32 v82, v82, v96
	s_delay_alu instid0(VALU_DEP_1) | instskip(NEXT) | instid1(VALU_DEP_1)
	v_dual_add_f32 v82, v83, v82 :: v_dual_sub_f32 v83, v84, v80
	v_dual_add_f32 v82, v84, v82 :: v_dual_sub_f32 v81, v81, v83
	v_sub_f32_e32 v84, v84, v83
	s_delay_alu instid0(VALU_DEP_2) | instskip(NEXT) | instid1(VALU_DEP_1)
	v_add_f32_e32 v86, v85, v82
	v_dual_sub_f32 v80, v80, v84 :: v_dual_sub_f32 v83, v86, v85
	s_delay_alu instid0(VALU_DEP_1) | instskip(NEXT) | instid1(VALU_DEP_1)
	v_dual_add_f32 v80, v81, v80 :: v_dual_sub_f32 v81, v82, v83
	v_add_f32_e32 v80, v80, v81
	s_delay_alu instid0(VALU_DEP_1) | instskip(NEXT) | instid1(VALU_DEP_1)
	v_add_f32_e32 v80, v86, v80
	v_cndmask_b32_e32 v71, v80, v71, vcc_lo
	s_delay_alu instid0(VALU_DEP_1)
	v_add_f32_e32 v71, v70, v71
.LBB481_220:
	s_or_b32 exec_lo, exec_lo, s3
	s_delay_alu instid0(VALU_DEP_1) | instskip(SKIP_1) | instid1(VALU_DEP_2)
	v_bfe_u32 v70, v71, 16, 1
	v_cmp_o_f32_e32 vcc_lo, v71, v71
	v_add3_u32 v70, v71, v70, 0x7fff
	s_delay_alu instid0(VALU_DEP_1) | instskip(NEXT) | instid1(VALU_DEP_1)
	v_lshrrev_b32_e32 v70, 16, v70
	v_cndmask_b32_e32 v70, 0x7fc0, v70, vcc_lo
	s_delay_alu instid0(VALU_DEP_1) | instskip(NEXT) | instid1(VALU_DEP_1)
	v_lshlrev_b32_e32 v80, 16, v70
	v_max_f32_e32 v71, v80, v80
	v_cmp_u_f32_e32 vcc_lo, v80, v80
	s_delay_alu instid0(VALU_DEP_2) | instskip(SKIP_1) | instid1(VALU_DEP_2)
	v_min_f32_e32 v81, v71, v114
	v_max_f32_e32 v71, v71, v114
	v_cndmask_b32_e32 v81, v81, v80, vcc_lo
	s_delay_alu instid0(VALU_DEP_2) | instskip(NEXT) | instid1(VALU_DEP_2)
	v_cndmask_b32_e32 v71, v71, v80, vcc_lo
	v_cndmask_b32_e64 v81, v81, v101, s15
	s_delay_alu instid0(VALU_DEP_2) | instskip(NEXT) | instid1(VALU_DEP_2)
	v_cndmask_b32_e64 v71, v71, v101, s15
	v_cmp_class_f32_e64 s3, v81, 0x1f8
	s_delay_alu instid0(VALU_DEP_2) | instskip(NEXT) | instid1(VALU_DEP_2)
	v_cmp_neq_f32_e32 vcc_lo, v81, v71
	s_or_b32 s4, vcc_lo, s3
	s_delay_alu instid0(SALU_CYCLE_1)
	s_and_saveexec_b32 s3, s4
	s_cbranch_execz .LBB481_222
; %bb.221:
	v_sub_f32_e32 v80, v81, v71
	s_mov_b32 s4, 0x3e9b6dac
	s_delay_alu instid0(VALU_DEP_1) | instskip(SKIP_1) | instid1(VALU_DEP_2)
	v_mul_f32_e32 v81, 0x3fb8aa3b, v80
	v_cmp_ngt_f32_e32 vcc_lo, 0xc2ce8ed0, v80
	v_fma_f32 v82, 0x3fb8aa3b, v80, -v81
	v_rndne_f32_e32 v83, v81
	s_delay_alu instid0(VALU_DEP_1) | instskip(NEXT) | instid1(VALU_DEP_1)
	v_dual_fmamk_f32 v82, v80, 0x32a5705f, v82 :: v_dual_sub_f32 v81, v81, v83
	v_add_f32_e32 v81, v81, v82
	v_cvt_i32_f32_e32 v82, v83
	s_delay_alu instid0(VALU_DEP_2) | instskip(SKIP_2) | instid1(VALU_DEP_1)
	v_exp_f32_e32 v81, v81
	s_waitcnt_depctr 0xfff
	v_ldexp_f32 v81, v81, v82
	v_cndmask_b32_e32 v81, 0, v81, vcc_lo
	v_cmp_nlt_f32_e32 vcc_lo, 0x42b17218, v80
	s_delay_alu instid0(VALU_DEP_2) | instskip(NEXT) | instid1(VALU_DEP_1)
	v_cndmask_b32_e32 v82, 0x7f800000, v81, vcc_lo
	v_add_f32_e32 v83, 1.0, v82
	s_delay_alu instid0(VALU_DEP_1) | instskip(NEXT) | instid1(VALU_DEP_1)
	v_cvt_f64_f32_e32 v[80:81], v83
	v_frexp_exp_i32_f64_e32 v80, v[80:81]
	v_frexp_mant_f32_e32 v81, v83
	s_delay_alu instid0(VALU_DEP_1) | instskip(SKIP_1) | instid1(VALU_DEP_1)
	v_cmp_gt_f32_e32 vcc_lo, 0x3f2aaaab, v81
	v_add_f32_e32 v81, -1.0, v83
	v_sub_f32_e32 v85, v81, v83
	v_sub_f32_e32 v81, v82, v81
	v_subrev_co_ci_u32_e32 v80, vcc_lo, 0, v80, vcc_lo
	v_cmp_eq_f32_e32 vcc_lo, 0x7f800000, v82
	s_delay_alu instid0(VALU_DEP_2) | instskip(SKIP_1) | instid1(VALU_DEP_2)
	v_sub_nc_u32_e32 v84, 0, v80
	v_cvt_f32_i32_e32 v80, v80
	v_ldexp_f32 v83, v83, v84
	s_delay_alu instid0(VALU_DEP_1) | instskip(NEXT) | instid1(VALU_DEP_1)
	v_dual_add_f32 v86, 1.0, v83 :: v_dual_add_f32 v85, 1.0, v85
	v_add_f32_e32 v81, v81, v85
	s_delay_alu instid0(VALU_DEP_2) | instskip(NEXT) | instid1(VALU_DEP_2)
	v_add_f32_e32 v85, -1.0, v86
	v_ldexp_f32 v81, v81, v84
	s_delay_alu instid0(VALU_DEP_2) | instskip(NEXT) | instid1(VALU_DEP_1)
	v_dual_add_f32 v84, -1.0, v83 :: v_dual_sub_f32 v85, v83, v85
	v_add_f32_e32 v87, 1.0, v84
	s_delay_alu instid0(VALU_DEP_2) | instskip(NEXT) | instid1(VALU_DEP_2)
	v_add_f32_e32 v85, v81, v85
	v_sub_f32_e32 v83, v83, v87
	s_delay_alu instid0(VALU_DEP_2) | instskip(NEXT) | instid1(VALU_DEP_2)
	v_add_f32_e32 v87, v86, v85
	v_add_f32_e32 v81, v81, v83
	s_delay_alu instid0(VALU_DEP_2) | instskip(SKIP_1) | instid1(VALU_DEP_1)
	v_rcp_f32_e32 v83, v87
	v_sub_f32_e32 v86, v86, v87
	v_dual_add_f32 v96, v84, v81 :: v_dual_add_f32 v85, v85, v86
	s_delay_alu instid0(VALU_DEP_1) | instskip(SKIP_2) | instid1(VALU_DEP_1)
	v_sub_f32_e32 v84, v84, v96
	s_waitcnt_depctr 0xfff
	v_mul_f32_e32 v97, v96, v83
	v_dual_add_f32 v81, v81, v84 :: v_dual_mul_f32 v98, v87, v97
	s_delay_alu instid0(VALU_DEP_1) | instskip(NEXT) | instid1(VALU_DEP_1)
	v_fma_f32 v86, v97, v87, -v98
	v_fmac_f32_e32 v86, v97, v85
	s_delay_alu instid0(VALU_DEP_1) | instskip(NEXT) | instid1(VALU_DEP_1)
	v_add_f32_e32 v99, v98, v86
	v_sub_f32_e32 v100, v96, v99
	v_sub_f32_e32 v84, v99, v98
	s_delay_alu instid0(VALU_DEP_2) | instskip(NEXT) | instid1(VALU_DEP_2)
	v_sub_f32_e32 v96, v96, v100
	v_sub_f32_e32 v84, v84, v86
	s_delay_alu instid0(VALU_DEP_2) | instskip(NEXT) | instid1(VALU_DEP_1)
	v_sub_f32_e32 v96, v96, v99
	v_add_f32_e32 v81, v81, v96
	s_delay_alu instid0(VALU_DEP_1) | instskip(NEXT) | instid1(VALU_DEP_1)
	v_add_f32_e32 v81, v84, v81
	v_add_f32_e32 v84, v100, v81
	s_delay_alu instid0(VALU_DEP_1) | instskip(NEXT) | instid1(VALU_DEP_1)
	v_mul_f32_e32 v86, v83, v84
	v_dual_sub_f32 v99, v100, v84 :: v_dual_mul_f32 v96, v87, v86
	s_delay_alu instid0(VALU_DEP_1) | instskip(NEXT) | instid1(VALU_DEP_2)
	v_add_f32_e32 v81, v81, v99
	v_fma_f32 v87, v86, v87, -v96
	s_delay_alu instid0(VALU_DEP_1) | instskip(NEXT) | instid1(VALU_DEP_1)
	v_fmac_f32_e32 v87, v86, v85
	v_add_f32_e32 v85, v96, v87
	s_delay_alu instid0(VALU_DEP_1) | instskip(SKIP_1) | instid1(VALU_DEP_2)
	v_sub_f32_e32 v98, v84, v85
	v_sub_f32_e32 v96, v85, v96
	;; [unrolled: 1-line block ×3, first 2 shown]
	s_delay_alu instid0(VALU_DEP_1) | instskip(NEXT) | instid1(VALU_DEP_3)
	v_sub_f32_e32 v84, v84, v85
	v_sub_f32_e32 v85, v96, v87
	s_delay_alu instid0(VALU_DEP_2) | instskip(SKIP_1) | instid1(VALU_DEP_2)
	v_add_f32_e32 v81, v81, v84
	v_add_f32_e32 v84, v97, v86
	v_add_f32_e32 v81, v85, v81
	s_delay_alu instid0(VALU_DEP_2) | instskip(NEXT) | instid1(VALU_DEP_2)
	v_sub_f32_e32 v85, v84, v97
	v_add_f32_e32 v81, v98, v81
	s_delay_alu instid0(VALU_DEP_2) | instskip(NEXT) | instid1(VALU_DEP_2)
	v_sub_f32_e32 v85, v86, v85
	v_mul_f32_e32 v81, v83, v81
	s_delay_alu instid0(VALU_DEP_1) | instskip(NEXT) | instid1(VALU_DEP_1)
	v_add_f32_e32 v81, v85, v81
	v_add_f32_e32 v83, v84, v81
	s_delay_alu instid0(VALU_DEP_1) | instskip(NEXT) | instid1(VALU_DEP_1)
	v_mul_f32_e32 v85, v83, v83
	v_fmaak_f32 v86, s4, v85, 0x3ecc95a3
	v_mul_f32_e32 v87, v83, v85
	v_cmp_gt_f32_e64 s4, 0x33800000, |v82|
	s_delay_alu instid0(VALU_DEP_3) | instskip(SKIP_2) | instid1(VALU_DEP_4)
	v_fmaak_f32 v85, v85, v86, 0x3f2aaada
	v_ldexp_f32 v86, v83, 1
	v_sub_f32_e32 v83, v83, v84
	s_or_b32 vcc_lo, vcc_lo, s4
	s_delay_alu instid0(VALU_DEP_3) | instskip(SKIP_1) | instid1(VALU_DEP_2)
	v_mul_f32_e32 v85, v87, v85
	v_mul_f32_e32 v87, 0x3f317218, v80
	v_dual_sub_f32 v81, v81, v83 :: v_dual_add_f32 v84, v86, v85
	s_delay_alu instid0(VALU_DEP_1) | instskip(NEXT) | instid1(VALU_DEP_2)
	v_ldexp_f32 v81, v81, 1
	v_sub_f32_e32 v83, v84, v86
	s_delay_alu instid0(VALU_DEP_4) | instskip(NEXT) | instid1(VALU_DEP_1)
	v_fma_f32 v86, 0x3f317218, v80, -v87
	v_dual_sub_f32 v83, v85, v83 :: v_dual_fmamk_f32 v80, v80, 0xb102e308, v86
	s_delay_alu instid0(VALU_DEP_1) | instskip(NEXT) | instid1(VALU_DEP_2)
	v_add_f32_e32 v81, v81, v83
	v_add_f32_e32 v83, v87, v80
	s_delay_alu instid0(VALU_DEP_2) | instskip(NEXT) | instid1(VALU_DEP_2)
	v_add_f32_e32 v85, v84, v81
	v_sub_f32_e32 v87, v83, v87
	s_delay_alu instid0(VALU_DEP_2) | instskip(SKIP_1) | instid1(VALU_DEP_3)
	v_add_f32_e32 v86, v83, v85
	v_sub_f32_e32 v84, v85, v84
	v_sub_f32_e32 v80, v80, v87
	s_delay_alu instid0(VALU_DEP_2) | instskip(NEXT) | instid1(VALU_DEP_1)
	v_dual_sub_f32 v96, v86, v83 :: v_dual_sub_f32 v81, v81, v84
	v_sub_f32_e32 v97, v86, v96
	s_delay_alu instid0(VALU_DEP_2) | instskip(NEXT) | instid1(VALU_DEP_2)
	v_dual_sub_f32 v84, v85, v96 :: v_dual_add_f32 v85, v80, v81
	v_sub_f32_e32 v83, v83, v97
	s_delay_alu instid0(VALU_DEP_1) | instskip(NEXT) | instid1(VALU_DEP_1)
	v_dual_add_f32 v83, v84, v83 :: v_dual_sub_f32 v84, v85, v80
	v_add_f32_e32 v83, v85, v83
	s_delay_alu instid0(VALU_DEP_2) | instskip(SKIP_1) | instid1(VALU_DEP_2)
	v_sub_f32_e32 v85, v85, v84
	v_sub_f32_e32 v81, v81, v84
	v_dual_add_f32 v87, v86, v83 :: v_dual_sub_f32 v80, v80, v85
	s_delay_alu instid0(VALU_DEP_1) | instskip(NEXT) | instid1(VALU_DEP_2)
	v_sub_f32_e32 v84, v87, v86
	v_add_f32_e32 v80, v81, v80
	s_delay_alu instid0(VALU_DEP_2) | instskip(NEXT) | instid1(VALU_DEP_1)
	v_sub_f32_e32 v81, v83, v84
	v_add_f32_e32 v80, v80, v81
	s_delay_alu instid0(VALU_DEP_1) | instskip(NEXT) | instid1(VALU_DEP_1)
	v_add_f32_e32 v80, v87, v80
	v_cndmask_b32_e32 v80, v80, v82, vcc_lo
	s_delay_alu instid0(VALU_DEP_1)
	v_add_f32_e32 v80, v71, v80
.LBB481_222:
	s_or_b32 exec_lo, exec_lo, s3
	s_delay_alu instid0(VALU_DEP_1) | instskip(SKIP_1) | instid1(VALU_DEP_2)
	v_bfe_u32 v71, v80, 16, 1
	v_cmp_o_f32_e32 vcc_lo, v80, v80
	v_add3_u32 v71, v80, v71, 0x7fff
	s_delay_alu instid0(VALU_DEP_1) | instskip(NEXT) | instid1(VALU_DEP_1)
	v_lshrrev_b32_e32 v71, 16, v71
	v_cndmask_b32_e32 v71, 0x7fc0, v71, vcc_lo
	s_delay_alu instid0(VALU_DEP_1) | instskip(NEXT) | instid1(VALU_DEP_1)
	v_lshlrev_b32_e32 v81, 16, v71
	v_max_f32_e32 v80, v81, v81
	s_delay_alu instid0(VALU_DEP_1) | instskip(SKIP_2) | instid1(VALU_DEP_3)
	v_min_f32_e32 v82, v80, v116
	v_max_f32_e32 v80, v80, v116
	v_cmp_u_f32_e32 vcc_lo, v81, v81
	v_cndmask_b32_e32 v82, v82, v81, vcc_lo
	s_delay_alu instid0(VALU_DEP_3) | instskip(NEXT) | instid1(VALU_DEP_2)
	v_cndmask_b32_e32 v80, v80, v81, vcc_lo
	v_cndmask_b32_e64 v82, v82, v103, s16
	s_delay_alu instid0(VALU_DEP_2) | instskip(NEXT) | instid1(VALU_DEP_2)
	v_cndmask_b32_e64 v80, v80, v103, s16
	v_cmp_class_f32_e64 s3, v82, 0x1f8
	s_delay_alu instid0(VALU_DEP_2) | instskip(NEXT) | instid1(VALU_DEP_2)
	v_cmp_neq_f32_e32 vcc_lo, v82, v80
	s_or_b32 s4, vcc_lo, s3
	s_delay_alu instid0(SALU_CYCLE_1)
	s_and_saveexec_b32 s3, s4
	s_cbranch_execz .LBB481_224
; %bb.223:
	v_sub_f32_e32 v81, v82, v80
	s_mov_b32 s4, 0x3e9b6dac
	s_delay_alu instid0(VALU_DEP_1) | instskip(SKIP_1) | instid1(VALU_DEP_2)
	v_mul_f32_e32 v82, 0x3fb8aa3b, v81
	v_cmp_ngt_f32_e32 vcc_lo, 0xc2ce8ed0, v81
	v_fma_f32 v83, 0x3fb8aa3b, v81, -v82
	v_rndne_f32_e32 v84, v82
	s_delay_alu instid0(VALU_DEP_1) | instskip(NEXT) | instid1(VALU_DEP_1)
	v_dual_fmamk_f32 v83, v81, 0x32a5705f, v83 :: v_dual_sub_f32 v82, v82, v84
	v_add_f32_e32 v82, v82, v83
	v_cvt_i32_f32_e32 v83, v84
	s_delay_alu instid0(VALU_DEP_2) | instskip(SKIP_2) | instid1(VALU_DEP_1)
	v_exp_f32_e32 v82, v82
	s_waitcnt_depctr 0xfff
	v_ldexp_f32 v82, v82, v83
	v_cndmask_b32_e32 v82, 0, v82, vcc_lo
	v_cmp_nlt_f32_e32 vcc_lo, 0x42b17218, v81
	s_delay_alu instid0(VALU_DEP_2) | instskip(NEXT) | instid1(VALU_DEP_1)
	v_cndmask_b32_e32 v83, 0x7f800000, v82, vcc_lo
	v_add_f32_e32 v84, 1.0, v83
	s_delay_alu instid0(VALU_DEP_1) | instskip(NEXT) | instid1(VALU_DEP_1)
	v_cvt_f64_f32_e32 v[81:82], v84
	v_frexp_exp_i32_f64_e32 v81, v[81:82]
	v_frexp_mant_f32_e32 v82, v84
	s_delay_alu instid0(VALU_DEP_1) | instskip(SKIP_1) | instid1(VALU_DEP_1)
	v_cmp_gt_f32_e32 vcc_lo, 0x3f2aaaab, v82
	v_add_f32_e32 v82, -1.0, v84
	v_sub_f32_e32 v86, v82, v84
	v_sub_f32_e32 v82, v83, v82
	v_subrev_co_ci_u32_e32 v81, vcc_lo, 0, v81, vcc_lo
	v_cmp_eq_f32_e32 vcc_lo, 0x7f800000, v83
	s_delay_alu instid0(VALU_DEP_2) | instskip(SKIP_1) | instid1(VALU_DEP_2)
	v_sub_nc_u32_e32 v85, 0, v81
	v_cvt_f32_i32_e32 v81, v81
	v_ldexp_f32 v84, v84, v85
	s_delay_alu instid0(VALU_DEP_1) | instskip(NEXT) | instid1(VALU_DEP_1)
	v_dual_add_f32 v87, 1.0, v84 :: v_dual_add_f32 v86, 1.0, v86
	v_add_f32_e32 v82, v82, v86
	s_delay_alu instid0(VALU_DEP_2) | instskip(NEXT) | instid1(VALU_DEP_2)
	v_add_f32_e32 v86, -1.0, v87
	v_ldexp_f32 v82, v82, v85
	s_delay_alu instid0(VALU_DEP_2) | instskip(NEXT) | instid1(VALU_DEP_1)
	v_dual_add_f32 v85, -1.0, v84 :: v_dual_sub_f32 v86, v84, v86
	v_add_f32_e32 v96, 1.0, v85
	s_delay_alu instid0(VALU_DEP_2) | instskip(NEXT) | instid1(VALU_DEP_2)
	v_add_f32_e32 v86, v82, v86
	v_sub_f32_e32 v84, v84, v96
	s_delay_alu instid0(VALU_DEP_2) | instskip(NEXT) | instid1(VALU_DEP_2)
	v_add_f32_e32 v96, v87, v86
	v_add_f32_e32 v82, v82, v84
	s_delay_alu instid0(VALU_DEP_2) | instskip(SKIP_1) | instid1(VALU_DEP_1)
	v_rcp_f32_e32 v84, v96
	v_sub_f32_e32 v87, v87, v96
	v_dual_add_f32 v97, v85, v82 :: v_dual_add_f32 v86, v86, v87
	s_delay_alu instid0(VALU_DEP_1) | instskip(SKIP_2) | instid1(VALU_DEP_1)
	v_sub_f32_e32 v85, v85, v97
	s_waitcnt_depctr 0xfff
	v_mul_f32_e32 v98, v97, v84
	v_dual_add_f32 v82, v82, v85 :: v_dual_mul_f32 v99, v96, v98
	s_delay_alu instid0(VALU_DEP_1) | instskip(NEXT) | instid1(VALU_DEP_1)
	v_fma_f32 v87, v98, v96, -v99
	v_fmac_f32_e32 v87, v98, v86
	s_delay_alu instid0(VALU_DEP_1) | instskip(NEXT) | instid1(VALU_DEP_1)
	v_add_f32_e32 v100, v99, v87
	v_sub_f32_e32 v101, v97, v100
	v_sub_f32_e32 v85, v100, v99
	s_delay_alu instid0(VALU_DEP_2) | instskip(NEXT) | instid1(VALU_DEP_2)
	v_sub_f32_e32 v97, v97, v101
	v_sub_f32_e32 v85, v85, v87
	s_delay_alu instid0(VALU_DEP_2) | instskip(NEXT) | instid1(VALU_DEP_1)
	v_sub_f32_e32 v97, v97, v100
	v_add_f32_e32 v82, v82, v97
	s_delay_alu instid0(VALU_DEP_1) | instskip(NEXT) | instid1(VALU_DEP_1)
	v_add_f32_e32 v82, v85, v82
	v_add_f32_e32 v85, v101, v82
	s_delay_alu instid0(VALU_DEP_1) | instskip(NEXT) | instid1(VALU_DEP_1)
	v_mul_f32_e32 v87, v84, v85
	v_dual_sub_f32 v100, v101, v85 :: v_dual_mul_f32 v97, v96, v87
	s_delay_alu instid0(VALU_DEP_1) | instskip(NEXT) | instid1(VALU_DEP_2)
	v_add_f32_e32 v82, v82, v100
	v_fma_f32 v96, v87, v96, -v97
	s_delay_alu instid0(VALU_DEP_1) | instskip(NEXT) | instid1(VALU_DEP_1)
	v_fmac_f32_e32 v96, v87, v86
	v_add_f32_e32 v86, v97, v96
	s_delay_alu instid0(VALU_DEP_1) | instskip(SKIP_1) | instid1(VALU_DEP_2)
	v_sub_f32_e32 v99, v85, v86
	v_sub_f32_e32 v97, v86, v97
	;; [unrolled: 1-line block ×3, first 2 shown]
	s_delay_alu instid0(VALU_DEP_1) | instskip(NEXT) | instid1(VALU_DEP_3)
	v_sub_f32_e32 v85, v85, v86
	v_sub_f32_e32 v86, v97, v96
	s_delay_alu instid0(VALU_DEP_2) | instskip(SKIP_1) | instid1(VALU_DEP_2)
	v_add_f32_e32 v82, v82, v85
	v_add_f32_e32 v85, v98, v87
	;; [unrolled: 1-line block ×3, first 2 shown]
	s_delay_alu instid0(VALU_DEP_2) | instskip(NEXT) | instid1(VALU_DEP_2)
	v_sub_f32_e32 v86, v85, v98
	v_add_f32_e32 v82, v99, v82
	s_delay_alu instid0(VALU_DEP_2) | instskip(NEXT) | instid1(VALU_DEP_2)
	v_sub_f32_e32 v86, v87, v86
	v_mul_f32_e32 v82, v84, v82
	s_delay_alu instid0(VALU_DEP_1) | instskip(NEXT) | instid1(VALU_DEP_1)
	v_add_f32_e32 v82, v86, v82
	v_add_f32_e32 v84, v85, v82
	s_delay_alu instid0(VALU_DEP_1) | instskip(NEXT) | instid1(VALU_DEP_1)
	v_mul_f32_e32 v86, v84, v84
	v_fmaak_f32 v87, s4, v86, 0x3ecc95a3
	v_mul_f32_e32 v96, v84, v86
	v_cmp_gt_f32_e64 s4, 0x33800000, |v83|
	s_delay_alu instid0(VALU_DEP_3) | instskip(SKIP_2) | instid1(VALU_DEP_4)
	v_fmaak_f32 v86, v86, v87, 0x3f2aaada
	v_ldexp_f32 v87, v84, 1
	v_sub_f32_e32 v84, v84, v85
	s_or_b32 vcc_lo, vcc_lo, s4
	s_delay_alu instid0(VALU_DEP_3) | instskip(SKIP_1) | instid1(VALU_DEP_2)
	v_mul_f32_e32 v86, v96, v86
	v_mul_f32_e32 v96, 0x3f317218, v81
	v_dual_sub_f32 v82, v82, v84 :: v_dual_add_f32 v85, v87, v86
	s_delay_alu instid0(VALU_DEP_1) | instskip(NEXT) | instid1(VALU_DEP_2)
	v_ldexp_f32 v82, v82, 1
	v_sub_f32_e32 v84, v85, v87
	s_delay_alu instid0(VALU_DEP_4) | instskip(NEXT) | instid1(VALU_DEP_1)
	v_fma_f32 v87, 0x3f317218, v81, -v96
	v_dual_sub_f32 v84, v86, v84 :: v_dual_fmamk_f32 v81, v81, 0xb102e308, v87
	s_delay_alu instid0(VALU_DEP_1) | instskip(NEXT) | instid1(VALU_DEP_2)
	v_add_f32_e32 v82, v82, v84
	v_add_f32_e32 v84, v96, v81
	s_delay_alu instid0(VALU_DEP_2) | instskip(NEXT) | instid1(VALU_DEP_2)
	v_add_f32_e32 v86, v85, v82
	v_sub_f32_e32 v96, v84, v96
	s_delay_alu instid0(VALU_DEP_2) | instskip(SKIP_1) | instid1(VALU_DEP_3)
	v_add_f32_e32 v87, v84, v86
	v_sub_f32_e32 v85, v86, v85
	v_sub_f32_e32 v81, v81, v96
	s_delay_alu instid0(VALU_DEP_2) | instskip(NEXT) | instid1(VALU_DEP_1)
	v_dual_sub_f32 v97, v87, v84 :: v_dual_sub_f32 v82, v82, v85
	v_sub_f32_e32 v98, v87, v97
	s_delay_alu instid0(VALU_DEP_2) | instskip(NEXT) | instid1(VALU_DEP_2)
	v_dual_sub_f32 v85, v86, v97 :: v_dual_add_f32 v86, v81, v82
	v_sub_f32_e32 v84, v84, v98
	s_delay_alu instid0(VALU_DEP_1) | instskip(NEXT) | instid1(VALU_DEP_1)
	v_dual_add_f32 v84, v85, v84 :: v_dual_sub_f32 v85, v86, v81
	v_add_f32_e32 v84, v86, v84
	s_delay_alu instid0(VALU_DEP_2) | instskip(SKIP_1) | instid1(VALU_DEP_2)
	v_sub_f32_e32 v86, v86, v85
	v_sub_f32_e32 v82, v82, v85
	v_dual_add_f32 v96, v87, v84 :: v_dual_sub_f32 v81, v81, v86
	s_delay_alu instid0(VALU_DEP_1) | instskip(NEXT) | instid1(VALU_DEP_2)
	v_sub_f32_e32 v85, v96, v87
	v_add_f32_e32 v81, v82, v81
	s_delay_alu instid0(VALU_DEP_2) | instskip(NEXT) | instid1(VALU_DEP_1)
	v_sub_f32_e32 v82, v84, v85
	v_add_f32_e32 v81, v81, v82
	s_delay_alu instid0(VALU_DEP_1) | instskip(NEXT) | instid1(VALU_DEP_1)
	v_add_f32_e32 v81, v96, v81
	v_cndmask_b32_e32 v81, v81, v83, vcc_lo
	s_delay_alu instid0(VALU_DEP_1)
	v_add_f32_e32 v81, v80, v81
.LBB481_224:
	s_or_b32 exec_lo, exec_lo, s3
	s_delay_alu instid0(VALU_DEP_1) | instskip(SKIP_1) | instid1(VALU_DEP_2)
	v_bfe_u32 v80, v81, 16, 1
	v_cmp_o_f32_e32 vcc_lo, v81, v81
	v_add3_u32 v80, v81, v80, 0x7fff
	s_delay_alu instid0(VALU_DEP_1) | instskip(NEXT) | instid1(VALU_DEP_1)
	v_lshrrev_b32_e32 v80, 16, v80
	v_cndmask_b32_e32 v80, 0x7fc0, v80, vcc_lo
	s_delay_alu instid0(VALU_DEP_1) | instskip(NEXT) | instid1(VALU_DEP_1)
	v_lshlrev_b32_e32 v82, 16, v80
	v_max_f32_e32 v81, v82, v82
	s_delay_alu instid0(VALU_DEP_1) | instskip(SKIP_2) | instid1(VALU_DEP_3)
	v_min_f32_e32 v83, v81, v118
	v_max_f32_e32 v81, v81, v118
	v_cmp_u_f32_e32 vcc_lo, v82, v82
	v_cndmask_b32_e32 v83, v83, v82, vcc_lo
	s_delay_alu instid0(VALU_DEP_3) | instskip(NEXT) | instid1(VALU_DEP_2)
	v_cndmask_b32_e32 v81, v81, v82, vcc_lo
	v_cndmask_b32_e64 v83, v83, v113, s17
	s_delay_alu instid0(VALU_DEP_2) | instskip(NEXT) | instid1(VALU_DEP_2)
	v_cndmask_b32_e64 v81, v81, v113, s17
	v_cmp_class_f32_e64 s3, v83, 0x1f8
	s_delay_alu instid0(VALU_DEP_2) | instskip(NEXT) | instid1(VALU_DEP_2)
	v_cmp_neq_f32_e32 vcc_lo, v83, v81
	s_or_b32 s4, vcc_lo, s3
	s_delay_alu instid0(SALU_CYCLE_1)
	s_and_saveexec_b32 s3, s4
	s_cbranch_execz .LBB481_226
; %bb.225:
	v_sub_f32_e32 v82, v83, v81
	s_mov_b32 s4, 0x3e9b6dac
	s_delay_alu instid0(VALU_DEP_1) | instskip(SKIP_1) | instid1(VALU_DEP_2)
	v_mul_f32_e32 v83, 0x3fb8aa3b, v82
	v_cmp_ngt_f32_e32 vcc_lo, 0xc2ce8ed0, v82
	v_fma_f32 v84, 0x3fb8aa3b, v82, -v83
	v_rndne_f32_e32 v85, v83
	s_delay_alu instid0(VALU_DEP_1) | instskip(NEXT) | instid1(VALU_DEP_1)
	v_dual_fmamk_f32 v84, v82, 0x32a5705f, v84 :: v_dual_sub_f32 v83, v83, v85
	v_add_f32_e32 v83, v83, v84
	v_cvt_i32_f32_e32 v84, v85
	s_delay_alu instid0(VALU_DEP_2) | instskip(SKIP_2) | instid1(VALU_DEP_1)
	v_exp_f32_e32 v83, v83
	s_waitcnt_depctr 0xfff
	v_ldexp_f32 v83, v83, v84
	v_cndmask_b32_e32 v83, 0, v83, vcc_lo
	v_cmp_nlt_f32_e32 vcc_lo, 0x42b17218, v82
	s_delay_alu instid0(VALU_DEP_2) | instskip(NEXT) | instid1(VALU_DEP_1)
	v_cndmask_b32_e32 v84, 0x7f800000, v83, vcc_lo
	v_add_f32_e32 v85, 1.0, v84
	s_delay_alu instid0(VALU_DEP_1) | instskip(NEXT) | instid1(VALU_DEP_1)
	v_cvt_f64_f32_e32 v[82:83], v85
	v_frexp_exp_i32_f64_e32 v82, v[82:83]
	v_frexp_mant_f32_e32 v83, v85
	s_delay_alu instid0(VALU_DEP_1) | instskip(SKIP_1) | instid1(VALU_DEP_1)
	v_cmp_gt_f32_e32 vcc_lo, 0x3f2aaaab, v83
	v_add_f32_e32 v83, -1.0, v85
	v_sub_f32_e32 v87, v83, v85
	v_sub_f32_e32 v83, v84, v83
	v_subrev_co_ci_u32_e32 v82, vcc_lo, 0, v82, vcc_lo
	v_cmp_eq_f32_e32 vcc_lo, 0x7f800000, v84
	s_delay_alu instid0(VALU_DEP_2) | instskip(SKIP_1) | instid1(VALU_DEP_2)
	v_sub_nc_u32_e32 v86, 0, v82
	v_cvt_f32_i32_e32 v82, v82
	v_ldexp_f32 v85, v85, v86
	s_delay_alu instid0(VALU_DEP_1) | instskip(NEXT) | instid1(VALU_DEP_1)
	v_dual_add_f32 v96, 1.0, v85 :: v_dual_add_f32 v87, 1.0, v87
	v_add_f32_e32 v83, v83, v87
	s_delay_alu instid0(VALU_DEP_2) | instskip(NEXT) | instid1(VALU_DEP_2)
	v_add_f32_e32 v87, -1.0, v96
	v_ldexp_f32 v83, v83, v86
	s_delay_alu instid0(VALU_DEP_2) | instskip(NEXT) | instid1(VALU_DEP_1)
	v_dual_add_f32 v86, -1.0, v85 :: v_dual_sub_f32 v87, v85, v87
	v_add_f32_e32 v97, 1.0, v86
	s_delay_alu instid0(VALU_DEP_2) | instskip(NEXT) | instid1(VALU_DEP_2)
	v_add_f32_e32 v87, v83, v87
	v_sub_f32_e32 v85, v85, v97
	s_delay_alu instid0(VALU_DEP_2) | instskip(NEXT) | instid1(VALU_DEP_2)
	v_add_f32_e32 v97, v96, v87
	v_add_f32_e32 v83, v83, v85
	s_delay_alu instid0(VALU_DEP_2) | instskip(SKIP_1) | instid1(VALU_DEP_1)
	v_rcp_f32_e32 v85, v97
	v_sub_f32_e32 v96, v96, v97
	v_dual_add_f32 v98, v86, v83 :: v_dual_add_f32 v87, v87, v96
	s_delay_alu instid0(VALU_DEP_1) | instskip(SKIP_2) | instid1(VALU_DEP_1)
	v_sub_f32_e32 v86, v86, v98
	s_waitcnt_depctr 0xfff
	v_mul_f32_e32 v99, v98, v85
	v_dual_add_f32 v83, v83, v86 :: v_dual_mul_f32 v100, v97, v99
	s_delay_alu instid0(VALU_DEP_1) | instskip(NEXT) | instid1(VALU_DEP_1)
	v_fma_f32 v96, v99, v97, -v100
	v_fmac_f32_e32 v96, v99, v87
	s_delay_alu instid0(VALU_DEP_1) | instskip(NEXT) | instid1(VALU_DEP_1)
	v_add_f32_e32 v101, v100, v96
	v_sub_f32_e32 v102, v98, v101
	v_sub_f32_e32 v86, v101, v100
	s_delay_alu instid0(VALU_DEP_2) | instskip(NEXT) | instid1(VALU_DEP_2)
	v_sub_f32_e32 v98, v98, v102
	v_sub_f32_e32 v86, v86, v96
	s_delay_alu instid0(VALU_DEP_2) | instskip(NEXT) | instid1(VALU_DEP_1)
	v_sub_f32_e32 v98, v98, v101
	v_add_f32_e32 v83, v83, v98
	s_delay_alu instid0(VALU_DEP_1) | instskip(NEXT) | instid1(VALU_DEP_1)
	v_add_f32_e32 v83, v86, v83
	v_add_f32_e32 v86, v102, v83
	s_delay_alu instid0(VALU_DEP_1) | instskip(NEXT) | instid1(VALU_DEP_1)
	v_mul_f32_e32 v96, v85, v86
	v_dual_sub_f32 v101, v102, v86 :: v_dual_mul_f32 v98, v97, v96
	s_delay_alu instid0(VALU_DEP_1) | instskip(NEXT) | instid1(VALU_DEP_2)
	v_add_f32_e32 v83, v83, v101
	v_fma_f32 v97, v96, v97, -v98
	s_delay_alu instid0(VALU_DEP_1) | instskip(NEXT) | instid1(VALU_DEP_1)
	v_fmac_f32_e32 v97, v96, v87
	v_add_f32_e32 v87, v98, v97
	s_delay_alu instid0(VALU_DEP_1) | instskip(SKIP_1) | instid1(VALU_DEP_2)
	v_sub_f32_e32 v100, v86, v87
	v_sub_f32_e32 v98, v87, v98
	;; [unrolled: 1-line block ×3, first 2 shown]
	s_delay_alu instid0(VALU_DEP_1) | instskip(NEXT) | instid1(VALU_DEP_3)
	v_sub_f32_e32 v86, v86, v87
	v_sub_f32_e32 v87, v98, v97
	s_delay_alu instid0(VALU_DEP_2) | instskip(SKIP_1) | instid1(VALU_DEP_2)
	v_add_f32_e32 v83, v83, v86
	v_add_f32_e32 v86, v99, v96
	;; [unrolled: 1-line block ×3, first 2 shown]
	s_delay_alu instid0(VALU_DEP_2) | instskip(NEXT) | instid1(VALU_DEP_2)
	v_sub_f32_e32 v87, v86, v99
	v_add_f32_e32 v83, v100, v83
	s_delay_alu instid0(VALU_DEP_2) | instskip(NEXT) | instid1(VALU_DEP_2)
	v_sub_f32_e32 v87, v96, v87
	v_mul_f32_e32 v83, v85, v83
	s_delay_alu instid0(VALU_DEP_1) | instskip(NEXT) | instid1(VALU_DEP_1)
	v_add_f32_e32 v83, v87, v83
	v_add_f32_e32 v85, v86, v83
	s_delay_alu instid0(VALU_DEP_1) | instskip(NEXT) | instid1(VALU_DEP_1)
	v_mul_f32_e32 v87, v85, v85
	v_fmaak_f32 v96, s4, v87, 0x3ecc95a3
	v_mul_f32_e32 v97, v85, v87
	v_cmp_gt_f32_e64 s4, 0x33800000, |v84|
	s_delay_alu instid0(VALU_DEP_3) | instskip(SKIP_2) | instid1(VALU_DEP_4)
	v_fmaak_f32 v87, v87, v96, 0x3f2aaada
	v_ldexp_f32 v96, v85, 1
	v_sub_f32_e32 v85, v85, v86
	s_or_b32 vcc_lo, vcc_lo, s4
	s_delay_alu instid0(VALU_DEP_3) | instskip(SKIP_1) | instid1(VALU_DEP_2)
	v_mul_f32_e32 v87, v97, v87
	v_mul_f32_e32 v97, 0x3f317218, v82
	v_dual_sub_f32 v83, v83, v85 :: v_dual_add_f32 v86, v96, v87
	s_delay_alu instid0(VALU_DEP_1) | instskip(NEXT) | instid1(VALU_DEP_2)
	v_ldexp_f32 v83, v83, 1
	v_sub_f32_e32 v85, v86, v96
	s_delay_alu instid0(VALU_DEP_4) | instskip(NEXT) | instid1(VALU_DEP_1)
	v_fma_f32 v96, 0x3f317218, v82, -v97
	v_dual_sub_f32 v85, v87, v85 :: v_dual_fmamk_f32 v82, v82, 0xb102e308, v96
	s_delay_alu instid0(VALU_DEP_1) | instskip(NEXT) | instid1(VALU_DEP_2)
	v_add_f32_e32 v83, v83, v85
	v_add_f32_e32 v85, v97, v82
	s_delay_alu instid0(VALU_DEP_2) | instskip(NEXT) | instid1(VALU_DEP_2)
	v_add_f32_e32 v87, v86, v83
	v_sub_f32_e32 v97, v85, v97
	s_delay_alu instid0(VALU_DEP_2) | instskip(SKIP_1) | instid1(VALU_DEP_3)
	v_add_f32_e32 v96, v85, v87
	v_sub_f32_e32 v86, v87, v86
	v_sub_f32_e32 v82, v82, v97
	s_delay_alu instid0(VALU_DEP_2) | instskip(NEXT) | instid1(VALU_DEP_1)
	v_dual_sub_f32 v98, v96, v85 :: v_dual_sub_f32 v83, v83, v86
	v_sub_f32_e32 v99, v96, v98
	s_delay_alu instid0(VALU_DEP_2) | instskip(NEXT) | instid1(VALU_DEP_2)
	v_dual_sub_f32 v86, v87, v98 :: v_dual_add_f32 v87, v82, v83
	v_sub_f32_e32 v85, v85, v99
	s_delay_alu instid0(VALU_DEP_1) | instskip(NEXT) | instid1(VALU_DEP_1)
	v_dual_add_f32 v85, v86, v85 :: v_dual_sub_f32 v86, v87, v82
	v_add_f32_e32 v85, v87, v85
	s_delay_alu instid0(VALU_DEP_2) | instskip(SKIP_1) | instid1(VALU_DEP_2)
	v_sub_f32_e32 v87, v87, v86
	v_sub_f32_e32 v83, v83, v86
	v_dual_add_f32 v97, v96, v85 :: v_dual_sub_f32 v82, v82, v87
	s_delay_alu instid0(VALU_DEP_1) | instskip(NEXT) | instid1(VALU_DEP_2)
	v_sub_f32_e32 v86, v97, v96
	v_add_f32_e32 v82, v83, v82
	s_delay_alu instid0(VALU_DEP_2) | instskip(NEXT) | instid1(VALU_DEP_1)
	v_sub_f32_e32 v83, v85, v86
	v_add_f32_e32 v82, v82, v83
	s_delay_alu instid0(VALU_DEP_1) | instskip(NEXT) | instid1(VALU_DEP_1)
	v_add_f32_e32 v82, v97, v82
	v_cndmask_b32_e32 v82, v82, v84, vcc_lo
	s_delay_alu instid0(VALU_DEP_1)
	v_add_f32_e32 v82, v81, v82
.LBB481_226:
	s_or_b32 exec_lo, exec_lo, s3
	s_delay_alu instid0(VALU_DEP_1) | instskip(SKIP_1) | instid1(VALU_DEP_2)
	v_bfe_u32 v81, v82, 16, 1
	v_cmp_o_f32_e32 vcc_lo, v82, v82
	v_add3_u32 v81, v82, v81, 0x7fff
	s_delay_alu instid0(VALU_DEP_1) | instskip(NEXT) | instid1(VALU_DEP_1)
	v_lshrrev_b32_e32 v81, 16, v81
	v_cndmask_b32_e32 v81, 0x7fc0, v81, vcc_lo
	s_delay_alu instid0(VALU_DEP_1) | instskip(NEXT) | instid1(VALU_DEP_1)
	v_lshlrev_b32_e32 v83, 16, v81
	v_max_f32_e32 v82, v83, v83
	s_delay_alu instid0(VALU_DEP_1) | instskip(SKIP_2) | instid1(VALU_DEP_3)
	v_min_f32_e32 v84, v82, v128
	v_max_f32_e32 v82, v82, v128
	v_cmp_u_f32_e32 vcc_lo, v83, v83
	v_cndmask_b32_e32 v84, v84, v83, vcc_lo
	s_delay_alu instid0(VALU_DEP_3) | instskip(NEXT) | instid1(VALU_DEP_2)
	v_cndmask_b32_e32 v82, v82, v83, vcc_lo
	v_cndmask_b32_e64 v84, v84, v115, s18
	s_delay_alu instid0(VALU_DEP_2) | instskip(NEXT) | instid1(VALU_DEP_2)
	v_cndmask_b32_e64 v82, v82, v115, s18
	v_cmp_class_f32_e64 s3, v84, 0x1f8
	s_delay_alu instid0(VALU_DEP_2) | instskip(NEXT) | instid1(VALU_DEP_2)
	v_cmp_neq_f32_e32 vcc_lo, v84, v82
	s_or_b32 s4, vcc_lo, s3
	s_delay_alu instid0(SALU_CYCLE_1)
	s_and_saveexec_b32 s3, s4
	s_cbranch_execz .LBB481_228
; %bb.227:
	v_sub_f32_e32 v83, v84, v82
	s_mov_b32 s4, 0x3e9b6dac
	s_delay_alu instid0(VALU_DEP_1) | instskip(SKIP_1) | instid1(VALU_DEP_2)
	v_mul_f32_e32 v84, 0x3fb8aa3b, v83
	v_cmp_ngt_f32_e32 vcc_lo, 0xc2ce8ed0, v83
	v_fma_f32 v85, 0x3fb8aa3b, v83, -v84
	v_rndne_f32_e32 v86, v84
	s_delay_alu instid0(VALU_DEP_1) | instskip(NEXT) | instid1(VALU_DEP_1)
	v_dual_fmamk_f32 v85, v83, 0x32a5705f, v85 :: v_dual_sub_f32 v84, v84, v86
	v_add_f32_e32 v84, v84, v85
	v_cvt_i32_f32_e32 v85, v86
	s_delay_alu instid0(VALU_DEP_2) | instskip(SKIP_2) | instid1(VALU_DEP_1)
	v_exp_f32_e32 v84, v84
	s_waitcnt_depctr 0xfff
	v_ldexp_f32 v84, v84, v85
	v_cndmask_b32_e32 v84, 0, v84, vcc_lo
	v_cmp_nlt_f32_e32 vcc_lo, 0x42b17218, v83
	s_delay_alu instid0(VALU_DEP_2) | instskip(NEXT) | instid1(VALU_DEP_1)
	v_cndmask_b32_e32 v85, 0x7f800000, v84, vcc_lo
	v_add_f32_e32 v86, 1.0, v85
	s_delay_alu instid0(VALU_DEP_1) | instskip(NEXT) | instid1(VALU_DEP_1)
	v_cvt_f64_f32_e32 v[83:84], v86
	v_frexp_exp_i32_f64_e32 v83, v[83:84]
	v_frexp_mant_f32_e32 v84, v86
	s_delay_alu instid0(VALU_DEP_1) | instskip(SKIP_1) | instid1(VALU_DEP_1)
	v_cmp_gt_f32_e32 vcc_lo, 0x3f2aaaab, v84
	v_add_f32_e32 v84, -1.0, v86
	v_sub_f32_e32 v96, v84, v86
	v_sub_f32_e32 v84, v85, v84
	v_subrev_co_ci_u32_e32 v83, vcc_lo, 0, v83, vcc_lo
	v_cmp_eq_f32_e32 vcc_lo, 0x7f800000, v85
	s_delay_alu instid0(VALU_DEP_2) | instskip(SKIP_1) | instid1(VALU_DEP_2)
	v_sub_nc_u32_e32 v87, 0, v83
	v_cvt_f32_i32_e32 v83, v83
	v_ldexp_f32 v86, v86, v87
	s_delay_alu instid0(VALU_DEP_1) | instskip(NEXT) | instid1(VALU_DEP_1)
	v_dual_add_f32 v97, 1.0, v86 :: v_dual_add_f32 v96, 1.0, v96
	v_add_f32_e32 v84, v84, v96
	s_delay_alu instid0(VALU_DEP_2) | instskip(NEXT) | instid1(VALU_DEP_2)
	v_add_f32_e32 v96, -1.0, v97
	v_ldexp_f32 v84, v84, v87
	s_delay_alu instid0(VALU_DEP_2) | instskip(NEXT) | instid1(VALU_DEP_1)
	v_dual_add_f32 v87, -1.0, v86 :: v_dual_sub_f32 v96, v86, v96
	v_add_f32_e32 v98, 1.0, v87
	s_delay_alu instid0(VALU_DEP_2) | instskip(NEXT) | instid1(VALU_DEP_2)
	v_add_f32_e32 v96, v84, v96
	v_sub_f32_e32 v86, v86, v98
	s_delay_alu instid0(VALU_DEP_2) | instskip(NEXT) | instid1(VALU_DEP_2)
	v_add_f32_e32 v98, v97, v96
	v_add_f32_e32 v84, v84, v86
	s_delay_alu instid0(VALU_DEP_2) | instskip(SKIP_1) | instid1(VALU_DEP_1)
	v_rcp_f32_e32 v86, v98
	v_sub_f32_e32 v97, v97, v98
	v_dual_add_f32 v99, v87, v84 :: v_dual_add_f32 v96, v96, v97
	s_delay_alu instid0(VALU_DEP_1) | instskip(SKIP_2) | instid1(VALU_DEP_1)
	v_sub_f32_e32 v87, v87, v99
	s_waitcnt_depctr 0xfff
	v_mul_f32_e32 v100, v99, v86
	v_dual_add_f32 v84, v84, v87 :: v_dual_mul_f32 v101, v98, v100
	s_delay_alu instid0(VALU_DEP_1) | instskip(NEXT) | instid1(VALU_DEP_1)
	v_fma_f32 v97, v100, v98, -v101
	v_fmac_f32_e32 v97, v100, v96
	s_delay_alu instid0(VALU_DEP_1) | instskip(NEXT) | instid1(VALU_DEP_1)
	v_add_f32_e32 v102, v101, v97
	v_sub_f32_e32 v103, v99, v102
	v_sub_f32_e32 v87, v102, v101
	s_delay_alu instid0(VALU_DEP_2) | instskip(NEXT) | instid1(VALU_DEP_2)
	v_sub_f32_e32 v99, v99, v103
	v_sub_f32_e32 v87, v87, v97
	s_delay_alu instid0(VALU_DEP_2) | instskip(NEXT) | instid1(VALU_DEP_1)
	v_sub_f32_e32 v99, v99, v102
	v_add_f32_e32 v84, v84, v99
	s_delay_alu instid0(VALU_DEP_1) | instskip(NEXT) | instid1(VALU_DEP_1)
	v_add_f32_e32 v84, v87, v84
	v_add_f32_e32 v87, v103, v84
	s_delay_alu instid0(VALU_DEP_1) | instskip(NEXT) | instid1(VALU_DEP_1)
	v_mul_f32_e32 v97, v86, v87
	v_dual_sub_f32 v102, v103, v87 :: v_dual_mul_f32 v99, v98, v97
	s_delay_alu instid0(VALU_DEP_1) | instskip(NEXT) | instid1(VALU_DEP_2)
	v_add_f32_e32 v84, v84, v102
	v_fma_f32 v98, v97, v98, -v99
	s_delay_alu instid0(VALU_DEP_1) | instskip(NEXT) | instid1(VALU_DEP_1)
	v_fmac_f32_e32 v98, v97, v96
	v_add_f32_e32 v96, v99, v98
	s_delay_alu instid0(VALU_DEP_1) | instskip(SKIP_1) | instid1(VALU_DEP_2)
	v_sub_f32_e32 v101, v87, v96
	v_sub_f32_e32 v99, v96, v99
	;; [unrolled: 1-line block ×3, first 2 shown]
	s_delay_alu instid0(VALU_DEP_1) | instskip(NEXT) | instid1(VALU_DEP_3)
	v_sub_f32_e32 v87, v87, v96
	v_sub_f32_e32 v96, v99, v98
	s_delay_alu instid0(VALU_DEP_2) | instskip(SKIP_1) | instid1(VALU_DEP_2)
	v_add_f32_e32 v84, v84, v87
	v_add_f32_e32 v87, v100, v97
	v_add_f32_e32 v84, v96, v84
	s_delay_alu instid0(VALU_DEP_2) | instskip(NEXT) | instid1(VALU_DEP_2)
	v_sub_f32_e32 v96, v87, v100
	v_add_f32_e32 v84, v101, v84
	s_delay_alu instid0(VALU_DEP_2) | instskip(NEXT) | instid1(VALU_DEP_2)
	v_sub_f32_e32 v96, v97, v96
	v_mul_f32_e32 v84, v86, v84
	s_delay_alu instid0(VALU_DEP_1) | instskip(NEXT) | instid1(VALU_DEP_1)
	v_add_f32_e32 v84, v96, v84
	v_add_f32_e32 v86, v87, v84
	s_delay_alu instid0(VALU_DEP_1) | instskip(NEXT) | instid1(VALU_DEP_1)
	v_mul_f32_e32 v96, v86, v86
	v_fmaak_f32 v97, s4, v96, 0x3ecc95a3
	v_mul_f32_e32 v98, v86, v96
	v_cmp_gt_f32_e64 s4, 0x33800000, |v85|
	s_delay_alu instid0(VALU_DEP_3) | instskip(SKIP_2) | instid1(VALU_DEP_4)
	v_fmaak_f32 v96, v96, v97, 0x3f2aaada
	v_ldexp_f32 v97, v86, 1
	v_sub_f32_e32 v86, v86, v87
	s_or_b32 vcc_lo, vcc_lo, s4
	s_delay_alu instid0(VALU_DEP_3) | instskip(SKIP_1) | instid1(VALU_DEP_2)
	v_mul_f32_e32 v96, v98, v96
	v_mul_f32_e32 v98, 0x3f317218, v83
	v_dual_sub_f32 v84, v84, v86 :: v_dual_add_f32 v87, v97, v96
	s_delay_alu instid0(VALU_DEP_1) | instskip(NEXT) | instid1(VALU_DEP_2)
	v_ldexp_f32 v84, v84, 1
	v_sub_f32_e32 v86, v87, v97
	s_delay_alu instid0(VALU_DEP_4) | instskip(NEXT) | instid1(VALU_DEP_1)
	v_fma_f32 v97, 0x3f317218, v83, -v98
	v_dual_sub_f32 v86, v96, v86 :: v_dual_fmamk_f32 v83, v83, 0xb102e308, v97
	s_delay_alu instid0(VALU_DEP_1) | instskip(NEXT) | instid1(VALU_DEP_2)
	v_add_f32_e32 v84, v84, v86
	v_add_f32_e32 v86, v98, v83
	s_delay_alu instid0(VALU_DEP_2) | instskip(NEXT) | instid1(VALU_DEP_2)
	v_add_f32_e32 v96, v87, v84
	v_sub_f32_e32 v98, v86, v98
	s_delay_alu instid0(VALU_DEP_2) | instskip(SKIP_1) | instid1(VALU_DEP_3)
	v_add_f32_e32 v97, v86, v96
	v_sub_f32_e32 v87, v96, v87
	v_sub_f32_e32 v83, v83, v98
	s_delay_alu instid0(VALU_DEP_2) | instskip(NEXT) | instid1(VALU_DEP_1)
	v_dual_sub_f32 v99, v97, v86 :: v_dual_sub_f32 v84, v84, v87
	v_sub_f32_e32 v100, v97, v99
	s_delay_alu instid0(VALU_DEP_2) | instskip(NEXT) | instid1(VALU_DEP_2)
	v_dual_sub_f32 v87, v96, v99 :: v_dual_add_f32 v96, v83, v84
	v_sub_f32_e32 v86, v86, v100
	s_delay_alu instid0(VALU_DEP_1) | instskip(NEXT) | instid1(VALU_DEP_1)
	v_dual_add_f32 v86, v87, v86 :: v_dual_sub_f32 v87, v96, v83
	v_add_f32_e32 v86, v96, v86
	s_delay_alu instid0(VALU_DEP_2) | instskip(SKIP_1) | instid1(VALU_DEP_2)
	v_sub_f32_e32 v96, v96, v87
	v_sub_f32_e32 v84, v84, v87
	v_dual_add_f32 v98, v97, v86 :: v_dual_sub_f32 v83, v83, v96
	s_delay_alu instid0(VALU_DEP_1) | instskip(NEXT) | instid1(VALU_DEP_2)
	v_sub_f32_e32 v87, v98, v97
	v_add_f32_e32 v83, v84, v83
	s_delay_alu instid0(VALU_DEP_2) | instskip(NEXT) | instid1(VALU_DEP_1)
	v_sub_f32_e32 v84, v86, v87
	v_add_f32_e32 v83, v83, v84
	s_delay_alu instid0(VALU_DEP_1) | instskip(NEXT) | instid1(VALU_DEP_1)
	v_add_f32_e32 v83, v98, v83
	v_cndmask_b32_e32 v83, v83, v85, vcc_lo
	s_delay_alu instid0(VALU_DEP_1)
	v_add_f32_e32 v83, v82, v83
.LBB481_228:
	s_or_b32 exec_lo, exec_lo, s3
	s_delay_alu instid0(VALU_DEP_1) | instskip(SKIP_1) | instid1(VALU_DEP_2)
	v_bfe_u32 v82, v83, 16, 1
	v_cmp_o_f32_e32 vcc_lo, v83, v83
	v_add3_u32 v82, v83, v82, 0x7fff
	s_delay_alu instid0(VALU_DEP_1) | instskip(NEXT) | instid1(VALU_DEP_1)
	v_lshrrev_b32_e32 v82, 16, v82
	v_cndmask_b32_e32 v82, 0x7fc0, v82, vcc_lo
	s_delay_alu instid0(VALU_DEP_1) | instskip(NEXT) | instid1(VALU_DEP_1)
	v_lshlrev_b32_e32 v84, 16, v82
	v_max_f32_e32 v83, v84, v84
	v_cmp_u_f32_e32 vcc_lo, v84, v84
	s_delay_alu instid0(VALU_DEP_2) | instskip(SKIP_1) | instid1(VALU_DEP_2)
	v_min_f32_e32 v85, v83, v130
	v_max_f32_e32 v83, v83, v130
	v_cndmask_b32_e32 v85, v85, v84, vcc_lo
	s_delay_alu instid0(VALU_DEP_2) | instskip(NEXT) | instid1(VALU_DEP_2)
	v_cndmask_b32_e32 v83, v83, v84, vcc_lo
	v_cndmask_b32_e64 v85, v85, v117, s19
	s_delay_alu instid0(VALU_DEP_2) | instskip(NEXT) | instid1(VALU_DEP_2)
	v_cndmask_b32_e64 v83, v83, v117, s19
	v_cmp_class_f32_e64 s3, v85, 0x1f8
	s_delay_alu instid0(VALU_DEP_2) | instskip(NEXT) | instid1(VALU_DEP_2)
	v_cmp_neq_f32_e32 vcc_lo, v85, v83
	s_or_b32 s4, vcc_lo, s3
	s_delay_alu instid0(SALU_CYCLE_1)
	s_and_saveexec_b32 s3, s4
	s_cbranch_execz .LBB481_230
; %bb.229:
	v_sub_f32_e32 v84, v85, v83
	s_mov_b32 s4, 0x3e9b6dac
	s_delay_alu instid0(VALU_DEP_1) | instskip(SKIP_1) | instid1(VALU_DEP_2)
	v_mul_f32_e32 v85, 0x3fb8aa3b, v84
	v_cmp_ngt_f32_e32 vcc_lo, 0xc2ce8ed0, v84
	v_fma_f32 v86, 0x3fb8aa3b, v84, -v85
	v_rndne_f32_e32 v87, v85
	s_delay_alu instid0(VALU_DEP_1) | instskip(NEXT) | instid1(VALU_DEP_1)
	v_dual_fmamk_f32 v86, v84, 0x32a5705f, v86 :: v_dual_sub_f32 v85, v85, v87
	v_add_f32_e32 v85, v85, v86
	v_cvt_i32_f32_e32 v86, v87
	s_delay_alu instid0(VALU_DEP_2) | instskip(SKIP_2) | instid1(VALU_DEP_1)
	v_exp_f32_e32 v85, v85
	s_waitcnt_depctr 0xfff
	v_ldexp_f32 v85, v85, v86
	v_cndmask_b32_e32 v85, 0, v85, vcc_lo
	v_cmp_nlt_f32_e32 vcc_lo, 0x42b17218, v84
	s_delay_alu instid0(VALU_DEP_2) | instskip(NEXT) | instid1(VALU_DEP_1)
	v_cndmask_b32_e32 v86, 0x7f800000, v85, vcc_lo
	v_add_f32_e32 v87, 1.0, v86
	s_delay_alu instid0(VALU_DEP_1) | instskip(NEXT) | instid1(VALU_DEP_1)
	v_cvt_f64_f32_e32 v[84:85], v87
	v_frexp_exp_i32_f64_e32 v84, v[84:85]
	v_frexp_mant_f32_e32 v85, v87
	s_delay_alu instid0(VALU_DEP_1) | instskip(SKIP_1) | instid1(VALU_DEP_1)
	v_cmp_gt_f32_e32 vcc_lo, 0x3f2aaaab, v85
	v_add_f32_e32 v85, -1.0, v87
	v_sub_f32_e32 v97, v85, v87
	v_sub_f32_e32 v85, v86, v85
	v_subrev_co_ci_u32_e32 v84, vcc_lo, 0, v84, vcc_lo
	v_cmp_eq_f32_e32 vcc_lo, 0x7f800000, v86
	s_delay_alu instid0(VALU_DEP_2) | instskip(SKIP_1) | instid1(VALU_DEP_2)
	v_sub_nc_u32_e32 v96, 0, v84
	v_cvt_f32_i32_e32 v84, v84
	v_ldexp_f32 v87, v87, v96
	s_delay_alu instid0(VALU_DEP_1) | instskip(NEXT) | instid1(VALU_DEP_1)
	v_dual_add_f32 v98, 1.0, v87 :: v_dual_add_f32 v97, 1.0, v97
	v_add_f32_e32 v85, v85, v97
	s_delay_alu instid0(VALU_DEP_2) | instskip(NEXT) | instid1(VALU_DEP_2)
	v_add_f32_e32 v97, -1.0, v98
	v_ldexp_f32 v85, v85, v96
	s_delay_alu instid0(VALU_DEP_2) | instskip(NEXT) | instid1(VALU_DEP_1)
	v_dual_add_f32 v96, -1.0, v87 :: v_dual_sub_f32 v97, v87, v97
	v_add_f32_e32 v99, 1.0, v96
	s_delay_alu instid0(VALU_DEP_2) | instskip(NEXT) | instid1(VALU_DEP_2)
	v_add_f32_e32 v97, v85, v97
	v_sub_f32_e32 v87, v87, v99
	s_delay_alu instid0(VALU_DEP_2) | instskip(NEXT) | instid1(VALU_DEP_2)
	v_add_f32_e32 v99, v98, v97
	v_add_f32_e32 v85, v85, v87
	s_delay_alu instid0(VALU_DEP_2) | instskip(SKIP_1) | instid1(VALU_DEP_1)
	v_rcp_f32_e32 v87, v99
	v_sub_f32_e32 v98, v98, v99
	v_dual_add_f32 v100, v96, v85 :: v_dual_add_f32 v97, v97, v98
	s_delay_alu instid0(VALU_DEP_1) | instskip(SKIP_2) | instid1(VALU_DEP_1)
	v_sub_f32_e32 v96, v96, v100
	s_waitcnt_depctr 0xfff
	v_mul_f32_e32 v101, v100, v87
	v_dual_add_f32 v85, v85, v96 :: v_dual_mul_f32 v102, v99, v101
	s_delay_alu instid0(VALU_DEP_1) | instskip(NEXT) | instid1(VALU_DEP_1)
	v_fma_f32 v98, v101, v99, -v102
	v_fmac_f32_e32 v98, v101, v97
	s_delay_alu instid0(VALU_DEP_1) | instskip(NEXT) | instid1(VALU_DEP_1)
	v_add_f32_e32 v103, v102, v98
	v_sub_f32_e32 v112, v100, v103
	v_sub_f32_e32 v96, v103, v102
	s_delay_alu instid0(VALU_DEP_2) | instskip(NEXT) | instid1(VALU_DEP_2)
	v_sub_f32_e32 v100, v100, v112
	v_sub_f32_e32 v96, v96, v98
	s_delay_alu instid0(VALU_DEP_2) | instskip(NEXT) | instid1(VALU_DEP_1)
	v_sub_f32_e32 v100, v100, v103
	v_add_f32_e32 v85, v85, v100
	s_delay_alu instid0(VALU_DEP_1) | instskip(NEXT) | instid1(VALU_DEP_1)
	v_add_f32_e32 v85, v96, v85
	v_add_f32_e32 v96, v112, v85
	s_delay_alu instid0(VALU_DEP_1) | instskip(NEXT) | instid1(VALU_DEP_1)
	v_mul_f32_e32 v98, v87, v96
	v_dual_sub_f32 v103, v112, v96 :: v_dual_mul_f32 v100, v99, v98
	s_delay_alu instid0(VALU_DEP_1) | instskip(NEXT) | instid1(VALU_DEP_2)
	v_add_f32_e32 v85, v85, v103
	v_fma_f32 v99, v98, v99, -v100
	s_delay_alu instid0(VALU_DEP_1) | instskip(NEXT) | instid1(VALU_DEP_1)
	v_fmac_f32_e32 v99, v98, v97
	v_add_f32_e32 v97, v100, v99
	s_delay_alu instid0(VALU_DEP_1) | instskip(SKIP_1) | instid1(VALU_DEP_2)
	v_sub_f32_e32 v102, v96, v97
	v_sub_f32_e32 v100, v97, v100
	;; [unrolled: 1-line block ×3, first 2 shown]
	s_delay_alu instid0(VALU_DEP_1) | instskip(NEXT) | instid1(VALU_DEP_3)
	v_sub_f32_e32 v96, v96, v97
	v_sub_f32_e32 v97, v100, v99
	s_delay_alu instid0(VALU_DEP_2) | instskip(SKIP_1) | instid1(VALU_DEP_2)
	v_add_f32_e32 v85, v85, v96
	v_add_f32_e32 v96, v101, v98
	;; [unrolled: 1-line block ×3, first 2 shown]
	s_delay_alu instid0(VALU_DEP_2) | instskip(NEXT) | instid1(VALU_DEP_2)
	v_sub_f32_e32 v97, v96, v101
	v_add_f32_e32 v85, v102, v85
	s_delay_alu instid0(VALU_DEP_2) | instskip(NEXT) | instid1(VALU_DEP_2)
	v_sub_f32_e32 v97, v98, v97
	v_mul_f32_e32 v85, v87, v85
	s_delay_alu instid0(VALU_DEP_1) | instskip(NEXT) | instid1(VALU_DEP_1)
	v_add_f32_e32 v85, v97, v85
	v_add_f32_e32 v87, v96, v85
	s_delay_alu instid0(VALU_DEP_1) | instskip(NEXT) | instid1(VALU_DEP_1)
	v_mul_f32_e32 v97, v87, v87
	v_fmaak_f32 v98, s4, v97, 0x3ecc95a3
	v_mul_f32_e32 v99, v87, v97
	v_cmp_gt_f32_e64 s4, 0x33800000, |v86|
	s_delay_alu instid0(VALU_DEP_3) | instskip(SKIP_2) | instid1(VALU_DEP_4)
	v_fmaak_f32 v97, v97, v98, 0x3f2aaada
	v_ldexp_f32 v98, v87, 1
	v_sub_f32_e32 v87, v87, v96
	s_or_b32 vcc_lo, vcc_lo, s4
	s_delay_alu instid0(VALU_DEP_3) | instskip(SKIP_1) | instid1(VALU_DEP_2)
	v_mul_f32_e32 v97, v99, v97
	v_mul_f32_e32 v99, 0x3f317218, v84
	v_dual_sub_f32 v85, v85, v87 :: v_dual_add_f32 v96, v98, v97
	s_delay_alu instid0(VALU_DEP_1) | instskip(NEXT) | instid1(VALU_DEP_2)
	v_ldexp_f32 v85, v85, 1
	v_sub_f32_e32 v87, v96, v98
	s_delay_alu instid0(VALU_DEP_4) | instskip(NEXT) | instid1(VALU_DEP_1)
	v_fma_f32 v98, 0x3f317218, v84, -v99
	v_dual_sub_f32 v87, v97, v87 :: v_dual_fmamk_f32 v84, v84, 0xb102e308, v98
	s_delay_alu instid0(VALU_DEP_1) | instskip(NEXT) | instid1(VALU_DEP_2)
	v_add_f32_e32 v85, v85, v87
	v_add_f32_e32 v87, v99, v84
	s_delay_alu instid0(VALU_DEP_2) | instskip(NEXT) | instid1(VALU_DEP_2)
	v_add_f32_e32 v97, v96, v85
	v_sub_f32_e32 v99, v87, v99
	s_delay_alu instid0(VALU_DEP_2) | instskip(SKIP_1) | instid1(VALU_DEP_3)
	v_add_f32_e32 v98, v87, v97
	v_sub_f32_e32 v96, v97, v96
	v_sub_f32_e32 v84, v84, v99
	s_delay_alu instid0(VALU_DEP_2) | instskip(NEXT) | instid1(VALU_DEP_1)
	v_dual_sub_f32 v100, v98, v87 :: v_dual_sub_f32 v85, v85, v96
	v_sub_f32_e32 v101, v98, v100
	s_delay_alu instid0(VALU_DEP_2) | instskip(NEXT) | instid1(VALU_DEP_2)
	v_dual_sub_f32 v96, v97, v100 :: v_dual_add_f32 v97, v84, v85
	v_sub_f32_e32 v87, v87, v101
	s_delay_alu instid0(VALU_DEP_1) | instskip(NEXT) | instid1(VALU_DEP_1)
	v_dual_add_f32 v87, v96, v87 :: v_dual_sub_f32 v96, v97, v84
	v_add_f32_e32 v87, v97, v87
	s_delay_alu instid0(VALU_DEP_2) | instskip(SKIP_1) | instid1(VALU_DEP_2)
	v_sub_f32_e32 v97, v97, v96
	v_sub_f32_e32 v85, v85, v96
	v_dual_add_f32 v99, v98, v87 :: v_dual_sub_f32 v84, v84, v97
	s_delay_alu instid0(VALU_DEP_1) | instskip(NEXT) | instid1(VALU_DEP_2)
	v_sub_f32_e32 v96, v99, v98
	v_add_f32_e32 v84, v85, v84
	s_delay_alu instid0(VALU_DEP_2) | instskip(NEXT) | instid1(VALU_DEP_1)
	v_sub_f32_e32 v85, v87, v96
	v_add_f32_e32 v84, v84, v85
	s_delay_alu instid0(VALU_DEP_1) | instskip(NEXT) | instid1(VALU_DEP_1)
	v_add_f32_e32 v84, v99, v84
	v_cndmask_b32_e32 v84, v84, v86, vcc_lo
	s_delay_alu instid0(VALU_DEP_1)
	v_add_f32_e32 v84, v83, v84
.LBB481_230:
	s_or_b32 exec_lo, exec_lo, s3
	s_delay_alu instid0(VALU_DEP_1) | instskip(SKIP_1) | instid1(VALU_DEP_2)
	v_bfe_u32 v83, v84, 16, 1
	v_cmp_o_f32_e32 vcc_lo, v84, v84
	v_add3_u32 v83, v84, v83, 0x7fff
	s_delay_alu instid0(VALU_DEP_1) | instskip(NEXT) | instid1(VALU_DEP_1)
	v_lshrrev_b32_e32 v83, 16, v83
	v_cndmask_b32_e32 v83, 0x7fc0, v83, vcc_lo
	s_delay_alu instid0(VALU_DEP_1) | instskip(NEXT) | instid1(VALU_DEP_1)
	v_lshlrev_b32_e32 v85, 16, v83
	v_max_f32_e32 v84, v85, v85
	s_delay_alu instid0(VALU_DEP_1) | instskip(SKIP_2) | instid1(VALU_DEP_3)
	v_min_f32_e32 v86, v84, v132
	v_max_f32_e32 v84, v84, v132
	v_cmp_u_f32_e32 vcc_lo, v85, v85
	v_cndmask_b32_e32 v86, v86, v85, vcc_lo
	s_delay_alu instid0(VALU_DEP_3) | instskip(NEXT) | instid1(VALU_DEP_2)
	v_cndmask_b32_e32 v84, v84, v85, vcc_lo
	v_cndmask_b32_e64 v86, v86, v119, s20
	s_delay_alu instid0(VALU_DEP_2) | instskip(NEXT) | instid1(VALU_DEP_2)
	v_cndmask_b32_e64 v84, v84, v119, s20
	v_cmp_class_f32_e64 s3, v86, 0x1f8
	s_delay_alu instid0(VALU_DEP_2) | instskip(NEXT) | instid1(VALU_DEP_2)
	v_cmp_neq_f32_e32 vcc_lo, v86, v84
	s_or_b32 s4, vcc_lo, s3
	s_delay_alu instid0(SALU_CYCLE_1)
	s_and_saveexec_b32 s3, s4
	s_cbranch_execz .LBB481_232
; %bb.231:
	v_sub_f32_e32 v85, v86, v84
	s_mov_b32 s4, 0x3e9b6dac
	s_delay_alu instid0(VALU_DEP_1) | instskip(SKIP_1) | instid1(VALU_DEP_2)
	v_mul_f32_e32 v86, 0x3fb8aa3b, v85
	v_cmp_ngt_f32_e32 vcc_lo, 0xc2ce8ed0, v85
	v_fma_f32 v87, 0x3fb8aa3b, v85, -v86
	v_rndne_f32_e32 v96, v86
	s_delay_alu instid0(VALU_DEP_1) | instskip(NEXT) | instid1(VALU_DEP_1)
	v_dual_fmamk_f32 v87, v85, 0x32a5705f, v87 :: v_dual_sub_f32 v86, v86, v96
	v_add_f32_e32 v86, v86, v87
	v_cvt_i32_f32_e32 v87, v96
	s_delay_alu instid0(VALU_DEP_2) | instskip(SKIP_2) | instid1(VALU_DEP_1)
	v_exp_f32_e32 v86, v86
	s_waitcnt_depctr 0xfff
	v_ldexp_f32 v86, v86, v87
	v_cndmask_b32_e32 v86, 0, v86, vcc_lo
	v_cmp_nlt_f32_e32 vcc_lo, 0x42b17218, v85
	s_delay_alu instid0(VALU_DEP_2) | instskip(NEXT) | instid1(VALU_DEP_1)
	v_cndmask_b32_e32 v87, 0x7f800000, v86, vcc_lo
	v_add_f32_e32 v96, 1.0, v87
	s_delay_alu instid0(VALU_DEP_1) | instskip(NEXT) | instid1(VALU_DEP_1)
	v_cvt_f64_f32_e32 v[85:86], v96
	v_frexp_exp_i32_f64_e32 v85, v[85:86]
	v_frexp_mant_f32_e32 v86, v96
	s_delay_alu instid0(VALU_DEP_1) | instskip(SKIP_1) | instid1(VALU_DEP_1)
	v_cmp_gt_f32_e32 vcc_lo, 0x3f2aaaab, v86
	v_add_f32_e32 v86, -1.0, v96
	v_sub_f32_e32 v98, v86, v96
	v_sub_f32_e32 v86, v87, v86
	v_subrev_co_ci_u32_e32 v85, vcc_lo, 0, v85, vcc_lo
	v_cmp_eq_f32_e32 vcc_lo, 0x7f800000, v87
	s_delay_alu instid0(VALU_DEP_2) | instskip(SKIP_1) | instid1(VALU_DEP_2)
	v_sub_nc_u32_e32 v97, 0, v85
	v_cvt_f32_i32_e32 v85, v85
	v_ldexp_f32 v96, v96, v97
	s_delay_alu instid0(VALU_DEP_1) | instskip(NEXT) | instid1(VALU_DEP_1)
	v_dual_add_f32 v99, 1.0, v96 :: v_dual_add_f32 v98, 1.0, v98
	v_add_f32_e32 v86, v86, v98
	s_delay_alu instid0(VALU_DEP_2) | instskip(NEXT) | instid1(VALU_DEP_2)
	v_add_f32_e32 v98, -1.0, v99
	v_ldexp_f32 v86, v86, v97
	s_delay_alu instid0(VALU_DEP_2) | instskip(NEXT) | instid1(VALU_DEP_1)
	v_dual_add_f32 v97, -1.0, v96 :: v_dual_sub_f32 v98, v96, v98
	v_add_f32_e32 v100, 1.0, v97
	s_delay_alu instid0(VALU_DEP_2) | instskip(NEXT) | instid1(VALU_DEP_2)
	v_add_f32_e32 v98, v86, v98
	v_sub_f32_e32 v96, v96, v100
	s_delay_alu instid0(VALU_DEP_2) | instskip(NEXT) | instid1(VALU_DEP_2)
	v_add_f32_e32 v100, v99, v98
	v_add_f32_e32 v86, v86, v96
	s_delay_alu instid0(VALU_DEP_2) | instskip(SKIP_1) | instid1(VALU_DEP_1)
	v_rcp_f32_e32 v96, v100
	v_sub_f32_e32 v99, v99, v100
	v_dual_add_f32 v101, v97, v86 :: v_dual_add_f32 v98, v98, v99
	s_delay_alu instid0(VALU_DEP_1) | instskip(SKIP_2) | instid1(VALU_DEP_1)
	v_sub_f32_e32 v97, v97, v101
	s_waitcnt_depctr 0xfff
	v_mul_f32_e32 v102, v101, v96
	v_dual_add_f32 v86, v86, v97 :: v_dual_mul_f32 v103, v100, v102
	s_delay_alu instid0(VALU_DEP_1) | instskip(NEXT) | instid1(VALU_DEP_1)
	v_fma_f32 v99, v102, v100, -v103
	v_fmac_f32_e32 v99, v102, v98
	s_delay_alu instid0(VALU_DEP_1) | instskip(NEXT) | instid1(VALU_DEP_1)
	v_add_f32_e32 v112, v103, v99
	v_sub_f32_e32 v113, v101, v112
	v_sub_f32_e32 v97, v112, v103
	s_delay_alu instid0(VALU_DEP_2) | instskip(NEXT) | instid1(VALU_DEP_2)
	v_sub_f32_e32 v101, v101, v113
	v_sub_f32_e32 v97, v97, v99
	s_delay_alu instid0(VALU_DEP_2) | instskip(NEXT) | instid1(VALU_DEP_1)
	v_sub_f32_e32 v101, v101, v112
	v_add_f32_e32 v86, v86, v101
	s_delay_alu instid0(VALU_DEP_1) | instskip(NEXT) | instid1(VALU_DEP_1)
	v_add_f32_e32 v86, v97, v86
	v_add_f32_e32 v97, v113, v86
	s_delay_alu instid0(VALU_DEP_1) | instskip(NEXT) | instid1(VALU_DEP_1)
	v_mul_f32_e32 v99, v96, v97
	v_dual_sub_f32 v112, v113, v97 :: v_dual_mul_f32 v101, v100, v99
	s_delay_alu instid0(VALU_DEP_1) | instskip(NEXT) | instid1(VALU_DEP_2)
	v_add_f32_e32 v86, v86, v112
	v_fma_f32 v100, v99, v100, -v101
	s_delay_alu instid0(VALU_DEP_1) | instskip(NEXT) | instid1(VALU_DEP_1)
	v_fmac_f32_e32 v100, v99, v98
	v_add_f32_e32 v98, v101, v100
	s_delay_alu instid0(VALU_DEP_1) | instskip(SKIP_1) | instid1(VALU_DEP_2)
	v_sub_f32_e32 v103, v97, v98
	v_sub_f32_e32 v101, v98, v101
	;; [unrolled: 1-line block ×3, first 2 shown]
	s_delay_alu instid0(VALU_DEP_1) | instskip(NEXT) | instid1(VALU_DEP_3)
	v_sub_f32_e32 v97, v97, v98
	v_sub_f32_e32 v98, v101, v100
	s_delay_alu instid0(VALU_DEP_2) | instskip(SKIP_1) | instid1(VALU_DEP_2)
	v_add_f32_e32 v86, v86, v97
	v_add_f32_e32 v97, v102, v99
	;; [unrolled: 1-line block ×3, first 2 shown]
	s_delay_alu instid0(VALU_DEP_2) | instskip(NEXT) | instid1(VALU_DEP_2)
	v_sub_f32_e32 v98, v97, v102
	v_add_f32_e32 v86, v103, v86
	s_delay_alu instid0(VALU_DEP_2) | instskip(NEXT) | instid1(VALU_DEP_2)
	v_sub_f32_e32 v98, v99, v98
	v_mul_f32_e32 v86, v96, v86
	s_delay_alu instid0(VALU_DEP_1) | instskip(NEXT) | instid1(VALU_DEP_1)
	v_add_f32_e32 v86, v98, v86
	v_add_f32_e32 v96, v97, v86
	s_delay_alu instid0(VALU_DEP_1) | instskip(NEXT) | instid1(VALU_DEP_1)
	v_mul_f32_e32 v98, v96, v96
	v_fmaak_f32 v99, s4, v98, 0x3ecc95a3
	v_mul_f32_e32 v100, v96, v98
	v_cmp_gt_f32_e64 s4, 0x33800000, |v87|
	s_delay_alu instid0(VALU_DEP_3) | instskip(SKIP_2) | instid1(VALU_DEP_4)
	v_fmaak_f32 v98, v98, v99, 0x3f2aaada
	v_ldexp_f32 v99, v96, 1
	v_sub_f32_e32 v96, v96, v97
	s_or_b32 vcc_lo, vcc_lo, s4
	s_delay_alu instid0(VALU_DEP_3) | instskip(SKIP_1) | instid1(VALU_DEP_2)
	v_mul_f32_e32 v98, v100, v98
	v_mul_f32_e32 v100, 0x3f317218, v85
	v_dual_sub_f32 v86, v86, v96 :: v_dual_add_f32 v97, v99, v98
	s_delay_alu instid0(VALU_DEP_1) | instskip(NEXT) | instid1(VALU_DEP_2)
	v_ldexp_f32 v86, v86, 1
	v_sub_f32_e32 v96, v97, v99
	s_delay_alu instid0(VALU_DEP_4) | instskip(NEXT) | instid1(VALU_DEP_1)
	v_fma_f32 v99, 0x3f317218, v85, -v100
	v_dual_sub_f32 v96, v98, v96 :: v_dual_fmamk_f32 v85, v85, 0xb102e308, v99
	s_delay_alu instid0(VALU_DEP_1) | instskip(NEXT) | instid1(VALU_DEP_2)
	v_add_f32_e32 v86, v86, v96
	v_add_f32_e32 v96, v100, v85
	s_delay_alu instid0(VALU_DEP_2) | instskip(NEXT) | instid1(VALU_DEP_2)
	v_add_f32_e32 v98, v97, v86
	v_sub_f32_e32 v100, v96, v100
	s_delay_alu instid0(VALU_DEP_2) | instskip(SKIP_1) | instid1(VALU_DEP_3)
	v_add_f32_e32 v99, v96, v98
	v_sub_f32_e32 v97, v98, v97
	v_sub_f32_e32 v85, v85, v100
	s_delay_alu instid0(VALU_DEP_2) | instskip(NEXT) | instid1(VALU_DEP_1)
	v_dual_sub_f32 v101, v99, v96 :: v_dual_sub_f32 v86, v86, v97
	v_sub_f32_e32 v102, v99, v101
	s_delay_alu instid0(VALU_DEP_2) | instskip(NEXT) | instid1(VALU_DEP_2)
	v_dual_sub_f32 v97, v98, v101 :: v_dual_add_f32 v98, v85, v86
	v_sub_f32_e32 v96, v96, v102
	s_delay_alu instid0(VALU_DEP_1) | instskip(NEXT) | instid1(VALU_DEP_1)
	v_dual_add_f32 v96, v97, v96 :: v_dual_sub_f32 v97, v98, v85
	v_add_f32_e32 v96, v98, v96
	s_delay_alu instid0(VALU_DEP_2) | instskip(SKIP_1) | instid1(VALU_DEP_2)
	v_sub_f32_e32 v98, v98, v97
	v_sub_f32_e32 v86, v86, v97
	v_dual_add_f32 v100, v99, v96 :: v_dual_sub_f32 v85, v85, v98
	s_delay_alu instid0(VALU_DEP_1) | instskip(NEXT) | instid1(VALU_DEP_2)
	v_sub_f32_e32 v97, v100, v99
	v_add_f32_e32 v85, v86, v85
	s_delay_alu instid0(VALU_DEP_2) | instskip(NEXT) | instid1(VALU_DEP_1)
	v_sub_f32_e32 v86, v96, v97
	v_add_f32_e32 v85, v85, v86
	s_delay_alu instid0(VALU_DEP_1) | instskip(NEXT) | instid1(VALU_DEP_1)
	v_add_f32_e32 v85, v100, v85
	v_cndmask_b32_e32 v85, v85, v87, vcc_lo
	s_delay_alu instid0(VALU_DEP_1)
	v_add_f32_e32 v85, v84, v85
.LBB481_232:
	s_or_b32 exec_lo, exec_lo, s3
	s_delay_alu instid0(VALU_DEP_1) | instskip(SKIP_1) | instid1(VALU_DEP_2)
	v_bfe_u32 v84, v85, 16, 1
	v_cmp_o_f32_e32 vcc_lo, v85, v85
	v_add3_u32 v84, v85, v84, 0x7fff
	s_delay_alu instid0(VALU_DEP_1) | instskip(NEXT) | instid1(VALU_DEP_1)
	v_lshrrev_b32_e32 v84, 16, v84
	v_cndmask_b32_e32 v84, 0x7fc0, v84, vcc_lo
	s_delay_alu instid0(VALU_DEP_1) | instskip(NEXT) | instid1(VALU_DEP_1)
	v_lshlrev_b32_e32 v86, 16, v84
	v_max_f32_e32 v85, v86, v86
	s_delay_alu instid0(VALU_DEP_1) | instskip(SKIP_2) | instid1(VALU_DEP_3)
	v_min_f32_e32 v87, v85, v134
	v_max_f32_e32 v85, v85, v134
	v_cmp_u_f32_e32 vcc_lo, v86, v86
	v_cndmask_b32_e32 v87, v87, v86, vcc_lo
	s_delay_alu instid0(VALU_DEP_3) | instskip(NEXT) | instid1(VALU_DEP_2)
	v_cndmask_b32_e32 v85, v85, v86, vcc_lo
	v_cndmask_b32_e64 v87, v87, v129, s21
	s_delay_alu instid0(VALU_DEP_2) | instskip(NEXT) | instid1(VALU_DEP_2)
	v_cndmask_b32_e64 v85, v85, v129, s21
	v_cmp_class_f32_e64 s3, v87, 0x1f8
	s_delay_alu instid0(VALU_DEP_2) | instskip(NEXT) | instid1(VALU_DEP_2)
	v_cmp_neq_f32_e32 vcc_lo, v87, v85
	s_or_b32 s4, vcc_lo, s3
	s_delay_alu instid0(SALU_CYCLE_1)
	s_and_saveexec_b32 s3, s4
	s_cbranch_execz .LBB481_234
; %bb.233:
	v_sub_f32_e32 v86, v87, v85
	s_mov_b32 s4, 0x3e9b6dac
	s_delay_alu instid0(VALU_DEP_1) | instskip(SKIP_1) | instid1(VALU_DEP_2)
	v_mul_f32_e32 v87, 0x3fb8aa3b, v86
	v_cmp_ngt_f32_e32 vcc_lo, 0xc2ce8ed0, v86
	v_fma_f32 v96, 0x3fb8aa3b, v86, -v87
	v_rndne_f32_e32 v97, v87
	s_delay_alu instid0(VALU_DEP_1) | instskip(NEXT) | instid1(VALU_DEP_1)
	v_dual_fmamk_f32 v96, v86, 0x32a5705f, v96 :: v_dual_sub_f32 v87, v87, v97
	v_add_f32_e32 v87, v87, v96
	v_cvt_i32_f32_e32 v96, v97
	s_delay_alu instid0(VALU_DEP_2) | instskip(SKIP_2) | instid1(VALU_DEP_1)
	v_exp_f32_e32 v87, v87
	s_waitcnt_depctr 0xfff
	v_ldexp_f32 v87, v87, v96
	v_cndmask_b32_e32 v87, 0, v87, vcc_lo
	v_cmp_nlt_f32_e32 vcc_lo, 0x42b17218, v86
	s_delay_alu instid0(VALU_DEP_2) | instskip(NEXT) | instid1(VALU_DEP_1)
	v_cndmask_b32_e32 v96, 0x7f800000, v87, vcc_lo
	v_add_f32_e32 v97, 1.0, v96
	s_delay_alu instid0(VALU_DEP_1) | instskip(NEXT) | instid1(VALU_DEP_1)
	v_cvt_f64_f32_e32 v[86:87], v97
	v_frexp_exp_i32_f64_e32 v86, v[86:87]
	v_frexp_mant_f32_e32 v87, v97
	s_delay_alu instid0(VALU_DEP_1) | instskip(SKIP_1) | instid1(VALU_DEP_1)
	v_cmp_gt_f32_e32 vcc_lo, 0x3f2aaaab, v87
	v_add_f32_e32 v87, -1.0, v97
	v_sub_f32_e32 v99, v87, v97
	v_sub_f32_e32 v87, v96, v87
	v_subrev_co_ci_u32_e32 v86, vcc_lo, 0, v86, vcc_lo
	v_cmp_eq_f32_e32 vcc_lo, 0x7f800000, v96
	s_delay_alu instid0(VALU_DEP_2) | instskip(SKIP_1) | instid1(VALU_DEP_2)
	v_sub_nc_u32_e32 v98, 0, v86
	v_cvt_f32_i32_e32 v86, v86
	v_ldexp_f32 v97, v97, v98
	s_delay_alu instid0(VALU_DEP_1) | instskip(NEXT) | instid1(VALU_DEP_1)
	v_dual_add_f32 v100, 1.0, v97 :: v_dual_add_f32 v99, 1.0, v99
	v_add_f32_e32 v87, v87, v99
	s_delay_alu instid0(VALU_DEP_2) | instskip(NEXT) | instid1(VALU_DEP_2)
	v_add_f32_e32 v99, -1.0, v100
	v_ldexp_f32 v87, v87, v98
	s_delay_alu instid0(VALU_DEP_2) | instskip(NEXT) | instid1(VALU_DEP_1)
	v_dual_add_f32 v98, -1.0, v97 :: v_dual_sub_f32 v99, v97, v99
	v_add_f32_e32 v101, 1.0, v98
	s_delay_alu instid0(VALU_DEP_2) | instskip(NEXT) | instid1(VALU_DEP_2)
	v_add_f32_e32 v99, v87, v99
	v_sub_f32_e32 v97, v97, v101
	s_delay_alu instid0(VALU_DEP_2) | instskip(NEXT) | instid1(VALU_DEP_2)
	v_add_f32_e32 v101, v100, v99
	v_add_f32_e32 v87, v87, v97
	s_delay_alu instid0(VALU_DEP_2) | instskip(SKIP_1) | instid1(VALU_DEP_1)
	v_rcp_f32_e32 v97, v101
	v_sub_f32_e32 v100, v100, v101
	v_dual_add_f32 v102, v98, v87 :: v_dual_add_f32 v99, v99, v100
	s_delay_alu instid0(VALU_DEP_1) | instskip(SKIP_2) | instid1(VALU_DEP_1)
	v_sub_f32_e32 v98, v98, v102
	s_waitcnt_depctr 0xfff
	v_mul_f32_e32 v103, v102, v97
	v_dual_add_f32 v87, v87, v98 :: v_dual_mul_f32 v112, v101, v103
	s_delay_alu instid0(VALU_DEP_1) | instskip(NEXT) | instid1(VALU_DEP_1)
	v_fma_f32 v100, v103, v101, -v112
	v_fmac_f32_e32 v100, v103, v99
	s_delay_alu instid0(VALU_DEP_1) | instskip(NEXT) | instid1(VALU_DEP_1)
	v_add_f32_e32 v113, v112, v100
	v_sub_f32_e32 v114, v102, v113
	v_sub_f32_e32 v98, v113, v112
	s_delay_alu instid0(VALU_DEP_2) | instskip(NEXT) | instid1(VALU_DEP_2)
	v_sub_f32_e32 v102, v102, v114
	v_sub_f32_e32 v98, v98, v100
	s_delay_alu instid0(VALU_DEP_2) | instskip(NEXT) | instid1(VALU_DEP_1)
	v_sub_f32_e32 v102, v102, v113
	v_add_f32_e32 v87, v87, v102
	s_delay_alu instid0(VALU_DEP_1) | instskip(NEXT) | instid1(VALU_DEP_1)
	v_add_f32_e32 v87, v98, v87
	v_add_f32_e32 v98, v114, v87
	s_delay_alu instid0(VALU_DEP_1) | instskip(NEXT) | instid1(VALU_DEP_1)
	v_mul_f32_e32 v100, v97, v98
	v_dual_sub_f32 v113, v114, v98 :: v_dual_mul_f32 v102, v101, v100
	s_delay_alu instid0(VALU_DEP_1) | instskip(NEXT) | instid1(VALU_DEP_2)
	v_add_f32_e32 v87, v87, v113
	v_fma_f32 v101, v100, v101, -v102
	s_delay_alu instid0(VALU_DEP_1) | instskip(NEXT) | instid1(VALU_DEP_1)
	v_fmac_f32_e32 v101, v100, v99
	v_add_f32_e32 v99, v102, v101
	s_delay_alu instid0(VALU_DEP_1) | instskip(SKIP_1) | instid1(VALU_DEP_2)
	v_sub_f32_e32 v112, v98, v99
	v_sub_f32_e32 v102, v99, v102
	;; [unrolled: 1-line block ×3, first 2 shown]
	s_delay_alu instid0(VALU_DEP_1) | instskip(NEXT) | instid1(VALU_DEP_3)
	v_sub_f32_e32 v98, v98, v99
	v_sub_f32_e32 v99, v102, v101
	s_delay_alu instid0(VALU_DEP_2) | instskip(SKIP_1) | instid1(VALU_DEP_2)
	v_add_f32_e32 v87, v87, v98
	v_add_f32_e32 v98, v103, v100
	;; [unrolled: 1-line block ×3, first 2 shown]
	s_delay_alu instid0(VALU_DEP_2) | instskip(NEXT) | instid1(VALU_DEP_2)
	v_sub_f32_e32 v99, v98, v103
	v_add_f32_e32 v87, v112, v87
	s_delay_alu instid0(VALU_DEP_2) | instskip(NEXT) | instid1(VALU_DEP_2)
	v_sub_f32_e32 v99, v100, v99
	v_mul_f32_e32 v87, v97, v87
	s_delay_alu instid0(VALU_DEP_1) | instskip(NEXT) | instid1(VALU_DEP_1)
	v_add_f32_e32 v87, v99, v87
	v_add_f32_e32 v97, v98, v87
	s_delay_alu instid0(VALU_DEP_1) | instskip(NEXT) | instid1(VALU_DEP_1)
	v_mul_f32_e32 v99, v97, v97
	v_fmaak_f32 v100, s4, v99, 0x3ecc95a3
	v_mul_f32_e32 v101, v97, v99
	v_cmp_gt_f32_e64 s4, 0x33800000, |v96|
	s_delay_alu instid0(VALU_DEP_3) | instskip(SKIP_2) | instid1(VALU_DEP_4)
	v_fmaak_f32 v99, v99, v100, 0x3f2aaada
	v_ldexp_f32 v100, v97, 1
	v_sub_f32_e32 v97, v97, v98
	s_or_b32 vcc_lo, vcc_lo, s4
	s_delay_alu instid0(VALU_DEP_3) | instskip(SKIP_1) | instid1(VALU_DEP_2)
	v_mul_f32_e32 v99, v101, v99
	v_mul_f32_e32 v101, 0x3f317218, v86
	v_dual_sub_f32 v87, v87, v97 :: v_dual_add_f32 v98, v100, v99
	s_delay_alu instid0(VALU_DEP_1) | instskip(NEXT) | instid1(VALU_DEP_2)
	v_ldexp_f32 v87, v87, 1
	v_sub_f32_e32 v97, v98, v100
	s_delay_alu instid0(VALU_DEP_4) | instskip(NEXT) | instid1(VALU_DEP_1)
	v_fma_f32 v100, 0x3f317218, v86, -v101
	v_dual_sub_f32 v97, v99, v97 :: v_dual_fmamk_f32 v86, v86, 0xb102e308, v100
	s_delay_alu instid0(VALU_DEP_1) | instskip(NEXT) | instid1(VALU_DEP_2)
	v_add_f32_e32 v87, v87, v97
	v_add_f32_e32 v97, v101, v86
	s_delay_alu instid0(VALU_DEP_2) | instskip(NEXT) | instid1(VALU_DEP_2)
	v_add_f32_e32 v99, v98, v87
	v_sub_f32_e32 v101, v97, v101
	s_delay_alu instid0(VALU_DEP_2) | instskip(SKIP_1) | instid1(VALU_DEP_3)
	v_add_f32_e32 v100, v97, v99
	v_sub_f32_e32 v98, v99, v98
	v_sub_f32_e32 v86, v86, v101
	s_delay_alu instid0(VALU_DEP_2) | instskip(NEXT) | instid1(VALU_DEP_1)
	v_dual_sub_f32 v102, v100, v97 :: v_dual_sub_f32 v87, v87, v98
	v_sub_f32_e32 v103, v100, v102
	s_delay_alu instid0(VALU_DEP_2) | instskip(NEXT) | instid1(VALU_DEP_2)
	v_dual_sub_f32 v98, v99, v102 :: v_dual_add_f32 v99, v86, v87
	v_sub_f32_e32 v97, v97, v103
	s_delay_alu instid0(VALU_DEP_1) | instskip(NEXT) | instid1(VALU_DEP_1)
	v_dual_add_f32 v97, v98, v97 :: v_dual_sub_f32 v98, v99, v86
	v_add_f32_e32 v97, v99, v97
	s_delay_alu instid0(VALU_DEP_2) | instskip(SKIP_1) | instid1(VALU_DEP_2)
	v_sub_f32_e32 v99, v99, v98
	v_sub_f32_e32 v87, v87, v98
	v_dual_add_f32 v101, v100, v97 :: v_dual_sub_f32 v86, v86, v99
	s_delay_alu instid0(VALU_DEP_1) | instskip(NEXT) | instid1(VALU_DEP_2)
	v_sub_f32_e32 v98, v101, v100
	v_add_f32_e32 v86, v87, v86
	s_delay_alu instid0(VALU_DEP_2) | instskip(NEXT) | instid1(VALU_DEP_1)
	v_sub_f32_e32 v87, v97, v98
	v_add_f32_e32 v86, v86, v87
	s_delay_alu instid0(VALU_DEP_1) | instskip(NEXT) | instid1(VALU_DEP_1)
	v_add_f32_e32 v86, v101, v86
	v_cndmask_b32_e32 v86, v86, v96, vcc_lo
	s_delay_alu instid0(VALU_DEP_1)
	v_add_f32_e32 v86, v85, v86
.LBB481_234:
	s_or_b32 exec_lo, exec_lo, s3
	s_delay_alu instid0(VALU_DEP_1) | instskip(SKIP_1) | instid1(VALU_DEP_2)
	v_bfe_u32 v85, v86, 16, 1
	v_cmp_o_f32_e32 vcc_lo, v86, v86
	v_add3_u32 v85, v86, v85, 0x7fff
	s_delay_alu instid0(VALU_DEP_1) | instskip(NEXT) | instid1(VALU_DEP_1)
	v_lshrrev_b32_e32 v85, 16, v85
	v_cndmask_b32_e32 v85, 0x7fc0, v85, vcc_lo
	s_delay_alu instid0(VALU_DEP_1) | instskip(NEXT) | instid1(VALU_DEP_1)
	v_lshlrev_b32_e32 v87, 16, v85
	v_max_f32_e32 v86, v87, v87
	s_delay_alu instid0(VALU_DEP_1) | instskip(SKIP_2) | instid1(VALU_DEP_3)
	v_min_f32_e32 v96, v86, v135
	v_max_f32_e32 v86, v86, v135
	v_cmp_u_f32_e32 vcc_lo, v87, v87
	v_cndmask_b32_e32 v96, v96, v87, vcc_lo
	s_delay_alu instid0(VALU_DEP_3) | instskip(NEXT) | instid1(VALU_DEP_2)
	v_cndmask_b32_e32 v86, v86, v87, vcc_lo
	v_cndmask_b32_e64 v96, v96, v131, s22
	s_delay_alu instid0(VALU_DEP_2) | instskip(NEXT) | instid1(VALU_DEP_2)
	v_cndmask_b32_e64 v86, v86, v131, s22
	v_cmp_class_f32_e64 s3, v96, 0x1f8
	s_delay_alu instid0(VALU_DEP_2) | instskip(NEXT) | instid1(VALU_DEP_2)
	v_cmp_neq_f32_e32 vcc_lo, v96, v86
	s_or_b32 s4, vcc_lo, s3
	s_delay_alu instid0(SALU_CYCLE_1)
	s_and_saveexec_b32 s3, s4
	s_cbranch_execz .LBB481_236
; %bb.235:
	v_sub_f32_e32 v87, v96, v86
	s_mov_b32 s4, 0x3e9b6dac
	s_delay_alu instid0(VALU_DEP_1) | instskip(SKIP_1) | instid1(VALU_DEP_2)
	v_mul_f32_e32 v96, 0x3fb8aa3b, v87
	v_cmp_ngt_f32_e32 vcc_lo, 0xc2ce8ed0, v87
	v_fma_f32 v97, 0x3fb8aa3b, v87, -v96
	v_rndne_f32_e32 v98, v96
	s_delay_alu instid0(VALU_DEP_1) | instskip(NEXT) | instid1(VALU_DEP_1)
	v_dual_fmamk_f32 v97, v87, 0x32a5705f, v97 :: v_dual_sub_f32 v96, v96, v98
	v_add_f32_e32 v96, v96, v97
	v_cvt_i32_f32_e32 v97, v98
	s_delay_alu instid0(VALU_DEP_2) | instskip(SKIP_2) | instid1(VALU_DEP_1)
	v_exp_f32_e32 v96, v96
	s_waitcnt_depctr 0xfff
	v_ldexp_f32 v96, v96, v97
	v_cndmask_b32_e32 v96, 0, v96, vcc_lo
	v_cmp_nlt_f32_e32 vcc_lo, 0x42b17218, v87
	s_delay_alu instid0(VALU_DEP_2) | instskip(NEXT) | instid1(VALU_DEP_1)
	v_cndmask_b32_e32 v87, 0x7f800000, v96, vcc_lo
	v_add_f32_e32 v98, 1.0, v87
	s_delay_alu instid0(VALU_DEP_1) | instskip(NEXT) | instid1(VALU_DEP_1)
	v_cvt_f64_f32_e32 v[96:97], v98
	v_frexp_exp_i32_f64_e32 v96, v[96:97]
	v_frexp_mant_f32_e32 v97, v98
	s_delay_alu instid0(VALU_DEP_1) | instskip(SKIP_1) | instid1(VALU_DEP_1)
	v_cmp_gt_f32_e32 vcc_lo, 0x3f2aaaab, v97
	v_add_f32_e32 v97, -1.0, v98
	v_dual_sub_f32 v100, v97, v98 :: v_dual_sub_f32 v97, v87, v97
	v_subrev_co_ci_u32_e32 v96, vcc_lo, 0, v96, vcc_lo
	v_cmp_eq_f32_e32 vcc_lo, 0x7f800000, v87
	s_delay_alu instid0(VALU_DEP_2) | instskip(SKIP_1) | instid1(VALU_DEP_2)
	v_sub_nc_u32_e32 v99, 0, v96
	v_cvt_f32_i32_e32 v96, v96
	v_ldexp_f32 v98, v98, v99
	s_delay_alu instid0(VALU_DEP_1) | instskip(NEXT) | instid1(VALU_DEP_1)
	v_dual_add_f32 v100, 1.0, v100 :: v_dual_add_f32 v101, 1.0, v98
	v_dual_add_f32 v97, v97, v100 :: v_dual_add_f32 v100, -1.0, v101
	s_delay_alu instid0(VALU_DEP_1) | instskip(NEXT) | instid1(VALU_DEP_2)
	v_ldexp_f32 v97, v97, v99
	v_dual_add_f32 v99, -1.0, v98 :: v_dual_sub_f32 v100, v98, v100
	s_delay_alu instid0(VALU_DEP_1) | instskip(NEXT) | instid1(VALU_DEP_2)
	v_add_f32_e32 v102, 1.0, v99
	v_add_f32_e32 v100, v97, v100
	s_delay_alu instid0(VALU_DEP_2) | instskip(NEXT) | instid1(VALU_DEP_1)
	v_sub_f32_e32 v98, v98, v102
	v_add_f32_e32 v97, v97, v98
	s_delay_alu instid0(VALU_DEP_1) | instskip(NEXT) | instid1(VALU_DEP_1)
	v_dual_add_f32 v103, v99, v97 :: v_dual_add_f32 v102, v101, v100
	v_sub_f32_e32 v99, v99, v103
	s_delay_alu instid0(VALU_DEP_2) | instskip(SKIP_1) | instid1(VALU_DEP_1)
	v_rcp_f32_e32 v98, v102
	v_sub_f32_e32 v101, v101, v102
	v_dual_add_f32 v97, v97, v99 :: v_dual_add_f32 v100, v100, v101
	s_waitcnt_depctr 0xfff
	v_mul_f32_e32 v112, v103, v98
	s_delay_alu instid0(VALU_DEP_1) | instskip(NEXT) | instid1(VALU_DEP_1)
	v_mul_f32_e32 v113, v102, v112
	v_fma_f32 v101, v112, v102, -v113
	s_delay_alu instid0(VALU_DEP_1) | instskip(NEXT) | instid1(VALU_DEP_1)
	v_fmac_f32_e32 v101, v112, v100
	v_add_f32_e32 v114, v113, v101
	s_delay_alu instid0(VALU_DEP_1) | instskip(NEXT) | instid1(VALU_DEP_1)
	v_sub_f32_e32 v115, v103, v114
	v_sub_f32_e32 v103, v103, v115
	;; [unrolled: 1-line block ×3, first 2 shown]
	s_delay_alu instid0(VALU_DEP_2) | instskip(NEXT) | instid1(VALU_DEP_2)
	v_sub_f32_e32 v103, v103, v114
	v_sub_f32_e32 v99, v99, v101
	s_delay_alu instid0(VALU_DEP_2) | instskip(NEXT) | instid1(VALU_DEP_1)
	v_add_f32_e32 v97, v97, v103
	v_add_f32_e32 v97, v99, v97
	s_delay_alu instid0(VALU_DEP_1) | instskip(NEXT) | instid1(VALU_DEP_1)
	v_add_f32_e32 v99, v115, v97
	v_mul_f32_e32 v101, v98, v99
	s_delay_alu instid0(VALU_DEP_1) | instskip(NEXT) | instid1(VALU_DEP_1)
	v_dual_sub_f32 v114, v115, v99 :: v_dual_mul_f32 v103, v102, v101
	v_add_f32_e32 v97, v97, v114
	s_delay_alu instid0(VALU_DEP_2) | instskip(NEXT) | instid1(VALU_DEP_1)
	v_fma_f32 v102, v101, v102, -v103
	v_fmac_f32_e32 v102, v101, v100
	s_delay_alu instid0(VALU_DEP_1) | instskip(NEXT) | instid1(VALU_DEP_1)
	v_add_f32_e32 v100, v103, v102
	v_sub_f32_e32 v113, v99, v100
	v_sub_f32_e32 v103, v100, v103
	s_delay_alu instid0(VALU_DEP_2) | instskip(NEXT) | instid1(VALU_DEP_1)
	v_sub_f32_e32 v99, v99, v113
	v_sub_f32_e32 v99, v99, v100
	s_delay_alu instid0(VALU_DEP_1) | instskip(SKIP_1) | instid1(VALU_DEP_1)
	v_dual_sub_f32 v100, v103, v102 :: v_dual_add_f32 v97, v97, v99
	v_add_f32_e32 v99, v112, v101
	v_dual_add_f32 v97, v100, v97 :: v_dual_sub_f32 v100, v99, v112
	s_delay_alu instid0(VALU_DEP_1) | instskip(NEXT) | instid1(VALU_DEP_1)
	v_add_f32_e32 v97, v113, v97
	v_dual_sub_f32 v100, v101, v100 :: v_dual_mul_f32 v97, v98, v97
	s_delay_alu instid0(VALU_DEP_1) | instskip(NEXT) | instid1(VALU_DEP_1)
	v_add_f32_e32 v97, v100, v97
	v_add_f32_e32 v98, v99, v97
	s_delay_alu instid0(VALU_DEP_1) | instskip(NEXT) | instid1(VALU_DEP_1)
	v_mul_f32_e32 v100, v98, v98
	v_fmaak_f32 v101, s4, v100, 0x3ecc95a3
	v_mul_f32_e32 v102, v98, v100
	v_cmp_gt_f32_e64 s4, 0x33800000, |v87|
	s_delay_alu instid0(VALU_DEP_3) | instskip(SKIP_2) | instid1(VALU_DEP_4)
	v_fmaak_f32 v100, v100, v101, 0x3f2aaada
	v_ldexp_f32 v101, v98, 1
	v_sub_f32_e32 v98, v98, v99
	s_or_b32 vcc_lo, vcc_lo, s4
	s_delay_alu instid0(VALU_DEP_3) | instskip(NEXT) | instid1(VALU_DEP_2)
	v_mul_f32_e32 v100, v102, v100
	v_dual_mul_f32 v102, 0x3f317218, v96 :: v_dual_sub_f32 v97, v97, v98
	s_delay_alu instid0(VALU_DEP_2) | instskip(NEXT) | instid1(VALU_DEP_2)
	v_add_f32_e32 v99, v101, v100
	v_ldexp_f32 v97, v97, 1
	s_delay_alu instid0(VALU_DEP_2) | instskip(NEXT) | instid1(VALU_DEP_4)
	v_sub_f32_e32 v98, v99, v101
	v_fma_f32 v101, 0x3f317218, v96, -v102
	s_delay_alu instid0(VALU_DEP_2) | instskip(NEXT) | instid1(VALU_DEP_1)
	v_sub_f32_e32 v98, v100, v98
	v_dual_fmamk_f32 v96, v96, 0xb102e308, v101 :: v_dual_add_f32 v97, v97, v98
	s_delay_alu instid0(VALU_DEP_1) | instskip(NEXT) | instid1(VALU_DEP_1)
	v_add_f32_e32 v98, v102, v96
	v_sub_f32_e32 v102, v98, v102
	s_delay_alu instid0(VALU_DEP_1) | instskip(NEXT) | instid1(VALU_DEP_4)
	v_sub_f32_e32 v96, v96, v102
	v_add_f32_e32 v100, v99, v97
	s_delay_alu instid0(VALU_DEP_1) | instskip(NEXT) | instid1(VALU_DEP_1)
	v_sub_f32_e32 v99, v100, v99
	v_sub_f32_e32 v97, v97, v99
	v_add_f32_e32 v101, v98, v100
	s_delay_alu instid0(VALU_DEP_1) | instskip(NEXT) | instid1(VALU_DEP_1)
	v_sub_f32_e32 v103, v101, v98
	v_sub_f32_e32 v99, v100, v103
	s_delay_alu instid0(VALU_DEP_4) | instskip(SKIP_1) | instid1(VALU_DEP_1)
	v_add_f32_e32 v100, v96, v97
	v_sub_f32_e32 v112, v101, v103
	v_sub_f32_e32 v98, v98, v112
	s_delay_alu instid0(VALU_DEP_1) | instskip(NEXT) | instid1(VALU_DEP_1)
	v_dual_add_f32 v98, v99, v98 :: v_dual_sub_f32 v99, v100, v96
	v_dual_add_f32 v98, v100, v98 :: v_dual_sub_f32 v97, v97, v99
	v_sub_f32_e32 v100, v100, v99
	s_delay_alu instid0(VALU_DEP_2) | instskip(NEXT) | instid1(VALU_DEP_1)
	v_add_f32_e32 v102, v101, v98
	v_dual_sub_f32 v96, v96, v100 :: v_dual_sub_f32 v99, v102, v101
	s_delay_alu instid0(VALU_DEP_1) | instskip(NEXT) | instid1(VALU_DEP_1)
	v_dual_add_f32 v96, v97, v96 :: v_dual_sub_f32 v97, v98, v99
	v_add_f32_e32 v96, v96, v97
	s_delay_alu instid0(VALU_DEP_1) | instskip(NEXT) | instid1(VALU_DEP_1)
	v_add_f32_e32 v96, v102, v96
	v_cndmask_b32_e32 v87, v96, v87, vcc_lo
	s_delay_alu instid0(VALU_DEP_1)
	v_add_f32_e32 v87, v86, v87
.LBB481_236:
	s_or_b32 exec_lo, exec_lo, s3
	s_delay_alu instid0(VALU_DEP_1) | instskip(SKIP_1) | instid1(VALU_DEP_2)
	v_bfe_u32 v86, v87, 16, 1
	v_cmp_o_f32_e32 vcc_lo, v87, v87
	v_add3_u32 v86, v87, v86, 0x7fff
	s_delay_alu instid0(VALU_DEP_1) | instskip(NEXT) | instid1(VALU_DEP_1)
	v_lshrrev_b32_e32 v86, 16, v86
	v_cndmask_b32_e32 v86, 0x7fc0, v86, vcc_lo
	s_delay_alu instid0(VALU_DEP_1) | instskip(NEXT) | instid1(VALU_DEP_1)
	v_lshlrev_b32_e32 v96, 16, v86
	v_max_f32_e32 v87, v96, v96
	s_delay_alu instid0(VALU_DEP_1) | instskip(SKIP_2) | instid1(VALU_DEP_3)
	v_min_f32_e32 v97, v87, v144
	v_max_f32_e32 v87, v87, v144
	v_cmp_u_f32_e32 vcc_lo, v96, v96
	v_cndmask_b32_e32 v97, v97, v96, vcc_lo
	s_delay_alu instid0(VALU_DEP_3) | instskip(NEXT) | instid1(VALU_DEP_2)
	v_cndmask_b32_e32 v87, v87, v96, vcc_lo
	v_cndmask_b32_e64 v97, v97, v133, s23
	s_delay_alu instid0(VALU_DEP_2) | instskip(NEXT) | instid1(VALU_DEP_2)
	v_cndmask_b32_e64 v87, v87, v133, s23
	v_cmp_class_f32_e64 s3, v97, 0x1f8
	s_delay_alu instid0(VALU_DEP_2) | instskip(NEXT) | instid1(VALU_DEP_2)
	v_cmp_neq_f32_e32 vcc_lo, v97, v87
	s_or_b32 s4, vcc_lo, s3
	s_delay_alu instid0(SALU_CYCLE_1)
	s_and_saveexec_b32 s3, s4
	s_cbranch_execz .LBB481_238
; %bb.237:
	v_sub_f32_e32 v96, v97, v87
	s_mov_b32 s4, 0x3e9b6dac
	s_delay_alu instid0(VALU_DEP_1) | instskip(SKIP_1) | instid1(VALU_DEP_2)
	v_mul_f32_e32 v97, 0x3fb8aa3b, v96
	v_cmp_ngt_f32_e32 vcc_lo, 0xc2ce8ed0, v96
	v_fma_f32 v98, 0x3fb8aa3b, v96, -v97
	v_rndne_f32_e32 v99, v97
	s_delay_alu instid0(VALU_DEP_1) | instskip(NEXT) | instid1(VALU_DEP_1)
	v_dual_fmamk_f32 v98, v96, 0x32a5705f, v98 :: v_dual_sub_f32 v97, v97, v99
	v_add_f32_e32 v97, v97, v98
	v_cvt_i32_f32_e32 v98, v99
	s_delay_alu instid0(VALU_DEP_2) | instskip(SKIP_2) | instid1(VALU_DEP_1)
	v_exp_f32_e32 v97, v97
	s_waitcnt_depctr 0xfff
	v_ldexp_f32 v97, v97, v98
	v_cndmask_b32_e32 v97, 0, v97, vcc_lo
	v_cmp_nlt_f32_e32 vcc_lo, 0x42b17218, v96
	s_delay_alu instid0(VALU_DEP_2) | instskip(NEXT) | instid1(VALU_DEP_1)
	v_cndmask_b32_e32 v98, 0x7f800000, v97, vcc_lo
	v_add_f32_e32 v99, 1.0, v98
	s_delay_alu instid0(VALU_DEP_1) | instskip(NEXT) | instid1(VALU_DEP_1)
	v_cvt_f64_f32_e32 v[96:97], v99
	v_frexp_exp_i32_f64_e32 v96, v[96:97]
	v_frexp_mant_f32_e32 v97, v99
	s_delay_alu instid0(VALU_DEP_1) | instskip(SKIP_1) | instid1(VALU_DEP_1)
	v_cmp_gt_f32_e32 vcc_lo, 0x3f2aaaab, v97
	v_add_f32_e32 v97, -1.0, v99
	v_sub_f32_e32 v101, v97, v99
	v_sub_f32_e32 v97, v98, v97
	v_subrev_co_ci_u32_e32 v96, vcc_lo, 0, v96, vcc_lo
	v_cmp_eq_f32_e32 vcc_lo, 0x7f800000, v98
	s_delay_alu instid0(VALU_DEP_2) | instskip(SKIP_1) | instid1(VALU_DEP_2)
	v_sub_nc_u32_e32 v100, 0, v96
	v_cvt_f32_i32_e32 v96, v96
	v_ldexp_f32 v99, v99, v100
	s_delay_alu instid0(VALU_DEP_1) | instskip(NEXT) | instid1(VALU_DEP_1)
	v_dual_add_f32 v102, 1.0, v99 :: v_dual_add_f32 v101, 1.0, v101
	v_add_f32_e32 v97, v97, v101
	s_delay_alu instid0(VALU_DEP_2) | instskip(NEXT) | instid1(VALU_DEP_2)
	v_add_f32_e32 v101, -1.0, v102
	v_ldexp_f32 v97, v97, v100
	s_delay_alu instid0(VALU_DEP_2) | instskip(NEXT) | instid1(VALU_DEP_1)
	v_dual_add_f32 v100, -1.0, v99 :: v_dual_sub_f32 v101, v99, v101
	v_add_f32_e32 v103, 1.0, v100
	s_delay_alu instid0(VALU_DEP_2) | instskip(NEXT) | instid1(VALU_DEP_2)
	v_add_f32_e32 v101, v97, v101
	v_sub_f32_e32 v99, v99, v103
	s_delay_alu instid0(VALU_DEP_2) | instskip(NEXT) | instid1(VALU_DEP_2)
	v_add_f32_e32 v103, v102, v101
	v_add_f32_e32 v97, v97, v99
	s_delay_alu instid0(VALU_DEP_2) | instskip(SKIP_1) | instid1(VALU_DEP_1)
	v_rcp_f32_e32 v99, v103
	v_sub_f32_e32 v102, v102, v103
	v_dual_add_f32 v112, v100, v97 :: v_dual_add_f32 v101, v101, v102
	s_delay_alu instid0(VALU_DEP_1) | instskip(SKIP_2) | instid1(VALU_DEP_1)
	v_sub_f32_e32 v100, v100, v112
	s_waitcnt_depctr 0xfff
	v_mul_f32_e32 v113, v112, v99
	v_dual_add_f32 v97, v97, v100 :: v_dual_mul_f32 v114, v103, v113
	s_delay_alu instid0(VALU_DEP_1) | instskip(NEXT) | instid1(VALU_DEP_1)
	v_fma_f32 v102, v113, v103, -v114
	v_fmac_f32_e32 v102, v113, v101
	s_delay_alu instid0(VALU_DEP_1) | instskip(NEXT) | instid1(VALU_DEP_1)
	v_add_f32_e32 v115, v114, v102
	v_sub_f32_e32 v116, v112, v115
	v_sub_f32_e32 v100, v115, v114
	s_delay_alu instid0(VALU_DEP_2) | instskip(NEXT) | instid1(VALU_DEP_2)
	v_sub_f32_e32 v112, v112, v116
	v_sub_f32_e32 v100, v100, v102
	s_delay_alu instid0(VALU_DEP_2) | instskip(NEXT) | instid1(VALU_DEP_1)
	v_sub_f32_e32 v112, v112, v115
	v_add_f32_e32 v97, v97, v112
	s_delay_alu instid0(VALU_DEP_1) | instskip(NEXT) | instid1(VALU_DEP_1)
	v_add_f32_e32 v97, v100, v97
	v_add_f32_e32 v100, v116, v97
	s_delay_alu instid0(VALU_DEP_1) | instskip(NEXT) | instid1(VALU_DEP_1)
	v_mul_f32_e32 v102, v99, v100
	v_dual_sub_f32 v115, v116, v100 :: v_dual_mul_f32 v112, v103, v102
	s_delay_alu instid0(VALU_DEP_1) | instskip(NEXT) | instid1(VALU_DEP_2)
	v_add_f32_e32 v97, v97, v115
	v_fma_f32 v103, v102, v103, -v112
	s_delay_alu instid0(VALU_DEP_1) | instskip(NEXT) | instid1(VALU_DEP_1)
	v_fmac_f32_e32 v103, v102, v101
	v_add_f32_e32 v101, v112, v103
	s_delay_alu instid0(VALU_DEP_1) | instskip(SKIP_1) | instid1(VALU_DEP_2)
	v_sub_f32_e32 v114, v100, v101
	v_sub_f32_e32 v112, v101, v112
	;; [unrolled: 1-line block ×3, first 2 shown]
	s_delay_alu instid0(VALU_DEP_1) | instskip(NEXT) | instid1(VALU_DEP_3)
	v_sub_f32_e32 v100, v100, v101
	v_sub_f32_e32 v101, v112, v103
	s_delay_alu instid0(VALU_DEP_2) | instskip(SKIP_1) | instid1(VALU_DEP_2)
	v_add_f32_e32 v97, v97, v100
	v_add_f32_e32 v100, v113, v102
	;; [unrolled: 1-line block ×3, first 2 shown]
	s_delay_alu instid0(VALU_DEP_2) | instskip(NEXT) | instid1(VALU_DEP_2)
	v_sub_f32_e32 v101, v100, v113
	v_add_f32_e32 v97, v114, v97
	s_delay_alu instid0(VALU_DEP_2) | instskip(NEXT) | instid1(VALU_DEP_2)
	v_sub_f32_e32 v101, v102, v101
	v_mul_f32_e32 v97, v99, v97
	s_delay_alu instid0(VALU_DEP_1) | instskip(NEXT) | instid1(VALU_DEP_1)
	v_add_f32_e32 v97, v101, v97
	v_add_f32_e32 v99, v100, v97
	s_delay_alu instid0(VALU_DEP_1) | instskip(NEXT) | instid1(VALU_DEP_1)
	v_mul_f32_e32 v101, v99, v99
	v_fmaak_f32 v102, s4, v101, 0x3ecc95a3
	v_mul_f32_e32 v103, v99, v101
	v_cmp_gt_f32_e64 s4, 0x33800000, |v98|
	s_delay_alu instid0(VALU_DEP_3) | instskip(SKIP_2) | instid1(VALU_DEP_4)
	v_fmaak_f32 v101, v101, v102, 0x3f2aaada
	v_ldexp_f32 v102, v99, 1
	v_sub_f32_e32 v99, v99, v100
	s_or_b32 vcc_lo, vcc_lo, s4
	s_delay_alu instid0(VALU_DEP_3) | instskip(SKIP_1) | instid1(VALU_DEP_2)
	v_mul_f32_e32 v101, v103, v101
	v_mul_f32_e32 v103, 0x3f317218, v96
	v_dual_sub_f32 v97, v97, v99 :: v_dual_add_f32 v100, v102, v101
	s_delay_alu instid0(VALU_DEP_1) | instskip(NEXT) | instid1(VALU_DEP_2)
	v_ldexp_f32 v97, v97, 1
	v_sub_f32_e32 v99, v100, v102
	s_delay_alu instid0(VALU_DEP_4) | instskip(NEXT) | instid1(VALU_DEP_1)
	v_fma_f32 v102, 0x3f317218, v96, -v103
	v_dual_sub_f32 v99, v101, v99 :: v_dual_fmamk_f32 v96, v96, 0xb102e308, v102
	s_delay_alu instid0(VALU_DEP_1) | instskip(NEXT) | instid1(VALU_DEP_2)
	v_add_f32_e32 v97, v97, v99
	v_add_f32_e32 v99, v103, v96
	s_delay_alu instid0(VALU_DEP_2) | instskip(NEXT) | instid1(VALU_DEP_2)
	v_add_f32_e32 v101, v100, v97
	v_sub_f32_e32 v103, v99, v103
	s_delay_alu instid0(VALU_DEP_2) | instskip(SKIP_1) | instid1(VALU_DEP_3)
	v_add_f32_e32 v102, v99, v101
	v_sub_f32_e32 v100, v101, v100
	v_sub_f32_e32 v96, v96, v103
	s_delay_alu instid0(VALU_DEP_2) | instskip(NEXT) | instid1(VALU_DEP_1)
	v_dual_sub_f32 v112, v102, v99 :: v_dual_sub_f32 v97, v97, v100
	v_sub_f32_e32 v113, v102, v112
	s_delay_alu instid0(VALU_DEP_2) | instskip(NEXT) | instid1(VALU_DEP_2)
	v_dual_sub_f32 v100, v101, v112 :: v_dual_add_f32 v101, v96, v97
	v_sub_f32_e32 v99, v99, v113
	s_delay_alu instid0(VALU_DEP_1) | instskip(NEXT) | instid1(VALU_DEP_1)
	v_dual_add_f32 v99, v100, v99 :: v_dual_sub_f32 v100, v101, v96
	v_add_f32_e32 v99, v101, v99
	s_delay_alu instid0(VALU_DEP_2) | instskip(SKIP_1) | instid1(VALU_DEP_2)
	v_sub_f32_e32 v101, v101, v100
	v_sub_f32_e32 v97, v97, v100
	v_dual_add_f32 v103, v102, v99 :: v_dual_sub_f32 v96, v96, v101
	s_delay_alu instid0(VALU_DEP_1) | instskip(NEXT) | instid1(VALU_DEP_2)
	v_sub_f32_e32 v100, v103, v102
	v_add_f32_e32 v96, v97, v96
	s_delay_alu instid0(VALU_DEP_2) | instskip(NEXT) | instid1(VALU_DEP_1)
	v_sub_f32_e32 v97, v99, v100
	v_add_f32_e32 v96, v96, v97
	s_delay_alu instid0(VALU_DEP_1) | instskip(NEXT) | instid1(VALU_DEP_1)
	v_add_f32_e32 v96, v103, v96
	v_cndmask_b32_e32 v96, v96, v98, vcc_lo
	s_delay_alu instid0(VALU_DEP_1)
	v_add_f32_e32 v96, v87, v96
.LBB481_238:
	s_or_b32 exec_lo, exec_lo, s3
	s_delay_alu instid0(VALU_DEP_1) | instskip(SKIP_1) | instid1(VALU_DEP_2)
	v_bfe_u32 v87, v96, 16, 1
	v_cmp_o_f32_e32 vcc_lo, v96, v96
	v_add3_u32 v87, v96, v87, 0x7fff
	s_delay_alu instid0(VALU_DEP_1) | instskip(NEXT) | instid1(VALU_DEP_1)
	v_lshrrev_b32_e32 v87, 16, v87
	v_cndmask_b32_e32 v87, 0x7fc0, v87, vcc_lo
	s_branch .LBB481_365
.LBB481_239:
                                        ; implicit-def: $vgpr16
                                        ; implicit-def: $vgpr17
                                        ; implicit-def: $vgpr22
                                        ; implicit-def: $vgpr23
                                        ; implicit-def: $vgpr64
                                        ; implicit-def: $vgpr65
                                        ; implicit-def: $vgpr145
                                        ; implicit-def: $vgpr146
                                        ; implicit-def: $vgpr66
                                        ; implicit-def: $vgpr67
                                        ; implicit-def: $vgpr68
                                        ; implicit-def: $vgpr69
                                        ; implicit-def: $vgpr70
                                        ; implicit-def: $vgpr71
                                        ; implicit-def: $vgpr80
                                        ; implicit-def: $vgpr81
                                        ; implicit-def: $vgpr82
                                        ; implicit-def: $vgpr83
                                        ; implicit-def: $vgpr84
                                        ; implicit-def: $vgpr85
                                        ; implicit-def: $vgpr86
                                        ; implicit-def: $vgpr87
	s_cbranch_execz .LBB481_365
; %bb.240:
	v_cmp_ne_u64_e32 vcc_lo, 0, v[6:7]
	v_mov_b32_e32 v16, v12
	s_and_b32 s4, s2, vcc_lo
	s_delay_alu instid0(SALU_CYCLE_1)
	s_and_saveexec_b32 s3, s4
	s_cbranch_execz .LBB481_244
; %bb.241:
	flat_load_u16 v2, v[2:3]
	s_waitcnt vmcnt(0) lgkmcnt(0)
	v_lshlrev_b32_e32 v3, 16, v2
	s_delay_alu instid0(VALU_DEP_1) | instskip(NEXT) | instid1(VALU_DEP_1)
	v_dual_max_f32 v6, v3, v3 :: v_dual_lshlrev_b32 v7, 16, v12
	v_max_f32_e32 v2, v7, v7
	v_cmp_u_f32_e32 vcc_lo, v3, v3
	s_delay_alu instid0(VALU_DEP_2) | instskip(SKIP_1) | instid1(VALU_DEP_2)
	v_min_f32_e32 v12, v6, v2
	v_max_f32_e32 v2, v6, v2
	v_cndmask_b32_e32 v6, v12, v3, vcc_lo
	s_delay_alu instid0(VALU_DEP_2) | instskip(SKIP_1) | instid1(VALU_DEP_3)
	v_cndmask_b32_e32 v2, v2, v3, vcc_lo
	v_cmp_u_f32_e32 vcc_lo, v7, v7
	v_cndmask_b32_e32 v6, v6, v7, vcc_lo
	s_delay_alu instid0(VALU_DEP_3) | instskip(NEXT) | instid1(VALU_DEP_2)
	v_cndmask_b32_e32 v2, v2, v7, vcc_lo
	v_cmp_class_f32_e64 s4, v6, 0x1f8
	s_delay_alu instid0(VALU_DEP_2) | instskip(NEXT) | instid1(VALU_DEP_2)
	v_cmp_neq_f32_e32 vcc_lo, v6, v2
	s_or_b32 s5, vcc_lo, s4
	s_delay_alu instid0(SALU_CYCLE_1)
	s_and_saveexec_b32 s4, s5
	s_cbranch_execz .LBB481_243
; %bb.242:
	v_sub_f32_e32 v3, v6, v2
	s_mov_b32 s5, 0x3e9b6dac
	s_delay_alu instid0(VALU_DEP_1) | instskip(SKIP_1) | instid1(VALU_DEP_2)
	v_mul_f32_e32 v6, 0x3fb8aa3b, v3
	v_cmp_ngt_f32_e32 vcc_lo, 0xc2ce8ed0, v3
	v_fma_f32 v7, 0x3fb8aa3b, v3, -v6
	v_rndne_f32_e32 v12, v6
	s_delay_alu instid0(VALU_DEP_1) | instskip(NEXT) | instid1(VALU_DEP_1)
	v_dual_fmamk_f32 v7, v3, 0x32a5705f, v7 :: v_dual_sub_f32 v6, v6, v12
	v_add_f32_e32 v6, v6, v7
	v_cvt_i32_f32_e32 v7, v12
	s_delay_alu instid0(VALU_DEP_2) | instskip(SKIP_2) | instid1(VALU_DEP_1)
	v_exp_f32_e32 v6, v6
	s_waitcnt_depctr 0xfff
	v_ldexp_f32 v6, v6, v7
	v_cndmask_b32_e32 v6, 0, v6, vcc_lo
	v_cmp_nlt_f32_e32 vcc_lo, 0x42b17218, v3
	s_delay_alu instid0(VALU_DEP_2) | instskip(NEXT) | instid1(VALU_DEP_1)
	v_cndmask_b32_e32 v3, 0x7f800000, v6, vcc_lo
	v_add_f32_e32 v12, 1.0, v3
	s_delay_alu instid0(VALU_DEP_1) | instskip(NEXT) | instid1(VALU_DEP_1)
	v_cvt_f64_f32_e32 v[6:7], v12
	v_frexp_exp_i32_f64_e32 v6, v[6:7]
	v_frexp_mant_f32_e32 v7, v12
	s_delay_alu instid0(VALU_DEP_1) | instskip(SKIP_1) | instid1(VALU_DEP_1)
	v_cmp_gt_f32_e32 vcc_lo, 0x3f2aaaab, v7
	v_add_f32_e32 v7, -1.0, v12
	v_sub_f32_e32 v17, v7, v12
	v_sub_f32_e32 v7, v3, v7
	s_delay_alu instid0(VALU_DEP_2) | instskip(SKIP_1) | instid1(VALU_DEP_1)
	v_add_f32_e32 v17, 1.0, v17
	v_subrev_co_ci_u32_e32 v6, vcc_lo, 0, v6, vcc_lo
	v_sub_nc_u32_e32 v16, 0, v6
	v_cvt_f32_i32_e32 v6, v6
	s_delay_alu instid0(VALU_DEP_2) | instskip(NEXT) | instid1(VALU_DEP_1)
	v_ldexp_f32 v12, v12, v16
	v_dual_add_f32 v7, v7, v17 :: v_dual_add_f32 v22, 1.0, v12
	s_delay_alu instid0(VALU_DEP_1) | instskip(SKIP_2) | instid1(VALU_DEP_4)
	v_ldexp_f32 v7, v7, v16
	v_add_f32_e32 v16, -1.0, v12
	v_cmp_eq_f32_e32 vcc_lo, 0x7f800000, v3
	v_add_f32_e32 v17, -1.0, v22
	s_delay_alu instid0(VALU_DEP_3) | instskip(NEXT) | instid1(VALU_DEP_2)
	v_add_f32_e32 v23, 1.0, v16
	v_sub_f32_e32 v17, v12, v17
	s_delay_alu instid0(VALU_DEP_1) | instskip(NEXT) | instid1(VALU_DEP_1)
	v_dual_sub_f32 v12, v12, v23 :: v_dual_add_f32 v17, v7, v17
	v_add_f32_e32 v7, v7, v12
	s_delay_alu instid0(VALU_DEP_1) | instskip(NEXT) | instid1(VALU_DEP_1)
	v_dual_add_f32 v64, v16, v7 :: v_dual_add_f32 v23, v22, v17
	v_sub_f32_e32 v16, v16, v64
	s_delay_alu instid0(VALU_DEP_2) | instskip(SKIP_1) | instid1(VALU_DEP_1)
	v_rcp_f32_e32 v12, v23
	v_sub_f32_e32 v22, v22, v23
	v_add_f32_e32 v17, v17, v22
	s_waitcnt_depctr 0xfff
	v_mul_f32_e32 v65, v64, v12
	s_delay_alu instid0(VALU_DEP_1) | instskip(NEXT) | instid1(VALU_DEP_1)
	v_mul_f32_e32 v66, v23, v65
	v_fma_f32 v22, v65, v23, -v66
	s_delay_alu instid0(VALU_DEP_1) | instskip(NEXT) | instid1(VALU_DEP_1)
	v_fmac_f32_e32 v22, v65, v17
	v_add_f32_e32 v67, v66, v22
	s_delay_alu instid0(VALU_DEP_1) | instskip(NEXT) | instid1(VALU_DEP_1)
	v_sub_f32_e32 v68, v64, v67
	v_sub_f32_e32 v64, v64, v68
	s_delay_alu instid0(VALU_DEP_1) | instskip(SKIP_1) | instid1(VALU_DEP_1)
	v_dual_sub_f32 v64, v64, v67 :: v_dual_add_f32 v7, v7, v16
	v_sub_f32_e32 v16, v67, v66
	v_dual_sub_f32 v16, v16, v22 :: v_dual_add_f32 v7, v7, v64
	s_delay_alu instid0(VALU_DEP_1) | instskip(NEXT) | instid1(VALU_DEP_1)
	v_add_f32_e32 v7, v16, v7
	v_add_f32_e32 v16, v68, v7
	s_delay_alu instid0(VALU_DEP_1) | instskip(NEXT) | instid1(VALU_DEP_1)
	v_mul_f32_e32 v22, v12, v16
	v_mul_f32_e32 v64, v23, v22
	s_delay_alu instid0(VALU_DEP_1) | instskip(NEXT) | instid1(VALU_DEP_1)
	v_fma_f32 v23, v22, v23, -v64
	v_fmac_f32_e32 v23, v22, v17
	v_sub_f32_e32 v67, v68, v16
	s_delay_alu instid0(VALU_DEP_1) | instskip(NEXT) | instid1(VALU_DEP_3)
	v_add_f32_e32 v7, v7, v67
	v_add_f32_e32 v17, v64, v23
	s_delay_alu instid0(VALU_DEP_1) | instskip(NEXT) | instid1(VALU_DEP_1)
	v_sub_f32_e32 v66, v16, v17
	v_sub_f32_e32 v16, v16, v66
	s_delay_alu instid0(VALU_DEP_1) | instskip(NEXT) | instid1(VALU_DEP_1)
	v_sub_f32_e32 v16, v16, v17
	v_dual_add_f32 v7, v7, v16 :: v_dual_add_f32 v16, v65, v22
	v_sub_f32_e32 v64, v17, v64
	s_delay_alu instid0(VALU_DEP_1) | instskip(NEXT) | instid1(VALU_DEP_1)
	v_sub_f32_e32 v17, v64, v23
	v_add_f32_e32 v7, v17, v7
	s_delay_alu instid0(VALU_DEP_4) | instskip(NEXT) | instid1(VALU_DEP_2)
	v_sub_f32_e32 v17, v16, v65
	v_add_f32_e32 v7, v66, v7
	s_delay_alu instid0(VALU_DEP_2) | instskip(NEXT) | instid1(VALU_DEP_2)
	v_sub_f32_e32 v17, v22, v17
	v_mul_f32_e32 v7, v12, v7
	s_delay_alu instid0(VALU_DEP_1) | instskip(NEXT) | instid1(VALU_DEP_1)
	v_add_f32_e32 v7, v17, v7
	v_add_f32_e32 v12, v16, v7
	s_delay_alu instid0(VALU_DEP_1) | instskip(NEXT) | instid1(VALU_DEP_1)
	v_mul_f32_e32 v17, v12, v12
	v_fmaak_f32 v22, s5, v17, 0x3ecc95a3
	v_mul_f32_e32 v23, v12, v17
	v_cmp_gt_f32_e64 s5, 0x33800000, |v3|
	s_delay_alu instid0(VALU_DEP_3) | instskip(SKIP_2) | instid1(VALU_DEP_4)
	v_fmaak_f32 v17, v17, v22, 0x3f2aaada
	v_ldexp_f32 v22, v12, 1
	v_sub_f32_e32 v12, v12, v16
	s_or_b32 vcc_lo, vcc_lo, s5
	s_delay_alu instid0(VALU_DEP_3) | instskip(NEXT) | instid1(VALU_DEP_1)
	v_mul_f32_e32 v17, v23, v17
	v_dual_sub_f32 v7, v7, v12 :: v_dual_add_f32 v16, v22, v17
	s_delay_alu instid0(VALU_DEP_1) | instskip(NEXT) | instid1(VALU_DEP_2)
	v_ldexp_f32 v7, v7, 1
	v_sub_f32_e32 v12, v16, v22
	s_delay_alu instid0(VALU_DEP_1) | instskip(NEXT) | instid1(VALU_DEP_1)
	v_sub_f32_e32 v12, v17, v12
	v_add_f32_e32 v7, v7, v12
	s_delay_alu instid0(VALU_DEP_1) | instskip(NEXT) | instid1(VALU_DEP_1)
	v_add_f32_e32 v17, v16, v7
	v_dual_mul_f32 v23, 0x3f317218, v6 :: v_dual_sub_f32 v16, v17, v16
	s_delay_alu instid0(VALU_DEP_1) | instskip(NEXT) | instid1(VALU_DEP_1)
	v_fma_f32 v22, 0x3f317218, v6, -v23
	v_fmamk_f32 v6, v6, 0xb102e308, v22
	s_delay_alu instid0(VALU_DEP_1) | instskip(NEXT) | instid1(VALU_DEP_1)
	v_add_f32_e32 v12, v23, v6
	v_add_f32_e32 v22, v12, v17
	s_delay_alu instid0(VALU_DEP_1) | instskip(NEXT) | instid1(VALU_DEP_1)
	v_dual_sub_f32 v23, v12, v23 :: v_dual_sub_f32 v64, v22, v12
	v_dual_sub_f32 v6, v6, v23 :: v_dual_sub_f32 v7, v7, v16
	s_delay_alu instid0(VALU_DEP_2) | instskip(NEXT) | instid1(VALU_DEP_2)
	v_sub_f32_e32 v65, v22, v64
	v_dual_sub_f32 v16, v17, v64 :: v_dual_add_f32 v17, v6, v7
	s_delay_alu instid0(VALU_DEP_2) | instskip(NEXT) | instid1(VALU_DEP_1)
	v_sub_f32_e32 v12, v12, v65
	v_add_f32_e32 v12, v16, v12
	s_delay_alu instid0(VALU_DEP_3) | instskip(NEXT) | instid1(VALU_DEP_2)
	v_sub_f32_e32 v16, v17, v6
	v_add_f32_e32 v12, v17, v12
	s_delay_alu instid0(VALU_DEP_2) | instskip(NEXT) | instid1(VALU_DEP_2)
	v_sub_f32_e32 v17, v17, v16
	v_add_f32_e32 v23, v22, v12
	s_delay_alu instid0(VALU_DEP_2) | instskip(NEXT) | instid1(VALU_DEP_2)
	v_dual_sub_f32 v6, v6, v17 :: v_dual_sub_f32 v7, v7, v16
	v_sub_f32_e32 v16, v23, v22
	s_delay_alu instid0(VALU_DEP_1) | instskip(NEXT) | instid1(VALU_DEP_1)
	v_dual_add_f32 v6, v7, v6 :: v_dual_sub_f32 v7, v12, v16
	v_add_f32_e32 v6, v6, v7
	s_delay_alu instid0(VALU_DEP_1) | instskip(NEXT) | instid1(VALU_DEP_1)
	v_add_f32_e32 v6, v23, v6
	v_cndmask_b32_e32 v3, v6, v3, vcc_lo
	s_delay_alu instid0(VALU_DEP_1)
	v_add_f32_e32 v3, v2, v3
.LBB481_243:
	s_or_b32 exec_lo, exec_lo, s4
	s_delay_alu instid0(VALU_DEP_1) | instskip(SKIP_1) | instid1(VALU_DEP_2)
	v_bfe_u32 v2, v3, 16, 1
	v_cmp_o_f32_e32 vcc_lo, v3, v3
	v_add3_u32 v2, v3, v2, 0x7fff
	s_delay_alu instid0(VALU_DEP_1) | instskip(NEXT) | instid1(VALU_DEP_1)
	v_lshrrev_b32_e32 v2, 16, v2
	v_cndmask_b32_e32 v16, 0x7fc0, v2, vcc_lo
.LBB481_244:
	s_or_b32 exec_lo, exec_lo, s3
	s_delay_alu instid0(VALU_DEP_1) | instskip(SKIP_1) | instid1(VALU_DEP_2)
	v_dual_max_f32 v17, v13, v13 :: v_dual_lshlrev_b32 v22, 16, v16
	v_cmp_u_f32_e32 vcc_lo, v13, v13
	v_max_f32_e32 v96, v22, v22
	v_cmp_u_f32_e64 s23, v22, v22
	s_delay_alu instid0(VALU_DEP_2) | instskip(SKIP_1) | instid1(VALU_DEP_2)
	v_min_f32_e32 v64, v96, v17
	v_max_f32_e32 v65, v96, v17
	v_cndmask_b32_e64 v2, v64, v22, s23
	s_delay_alu instid0(VALU_DEP_2) | instskip(NEXT) | instid1(VALU_DEP_2)
	v_cndmask_b32_e64 v3, v65, v22, s23
	v_cndmask_b32_e32 v6, v2, v13, vcc_lo
	s_delay_alu instid0(VALU_DEP_2) | instskip(NEXT) | instid1(VALU_DEP_2)
	v_dual_cndmask_b32 v2, v3, v13 :: v_dual_mov_b32 v3, v22
	v_cmp_class_f32_e64 s4, v6, 0x1f8
	s_delay_alu instid0(VALU_DEP_2) | instskip(NEXT) | instid1(VALU_DEP_1)
	v_cmp_neq_f32_e64 s3, v6, v2
	s_or_b32 s3, s3, s4
	s_delay_alu instid0(SALU_CYCLE_1)
	s_and_saveexec_b32 s4, s3
	s_cbranch_execz .LBB481_246
; %bb.245:
	v_sub_f32_e32 v3, v6, v2
	s_delay_alu instid0(VALU_DEP_1) | instskip(SKIP_1) | instid1(VALU_DEP_2)
	v_mul_f32_e32 v6, 0x3fb8aa3b, v3
	v_cmp_ngt_f32_e64 s3, 0xc2ce8ed0, v3
	v_fma_f32 v7, 0x3fb8aa3b, v3, -v6
	v_rndne_f32_e32 v12, v6
	s_delay_alu instid0(VALU_DEP_1) | instskip(NEXT) | instid1(VALU_DEP_1)
	v_dual_fmamk_f32 v7, v3, 0x32a5705f, v7 :: v_dual_sub_f32 v6, v6, v12
	v_add_f32_e32 v6, v6, v7
	v_cvt_i32_f32_e32 v7, v12
	s_delay_alu instid0(VALU_DEP_2) | instskip(SKIP_2) | instid1(VALU_DEP_1)
	v_exp_f32_e32 v6, v6
	s_waitcnt_depctr 0xfff
	v_ldexp_f32 v6, v6, v7
	v_cndmask_b32_e64 v6, 0, v6, s3
	v_cmp_nlt_f32_e64 s3, 0x42b17218, v3
	s_delay_alu instid0(VALU_DEP_1) | instskip(NEXT) | instid1(VALU_DEP_1)
	v_cndmask_b32_e64 v3, 0x7f800000, v6, s3
	v_add_f32_e32 v12, 1.0, v3
	v_cmp_gt_f32_e64 s5, 0x33800000, |v3|
	s_delay_alu instid0(VALU_DEP_2) | instskip(NEXT) | instid1(VALU_DEP_1)
	v_cvt_f64_f32_e32 v[6:7], v12
	v_frexp_exp_i32_f64_e32 v6, v[6:7]
	v_frexp_mant_f32_e32 v7, v12
	s_delay_alu instid0(VALU_DEP_1) | instskip(SKIP_1) | instid1(VALU_DEP_1)
	v_cmp_gt_f32_e64 s3, 0x3f2aaaab, v7
	v_add_f32_e32 v7, -1.0, v12
	v_sub_f32_e32 v66, v7, v12
	s_delay_alu instid0(VALU_DEP_1) | instskip(NEXT) | instid1(VALU_DEP_1)
	v_dual_sub_f32 v7, v3, v7 :: v_dual_add_f32 v66, 1.0, v66
	v_add_f32_e32 v7, v7, v66
	v_subrev_co_ci_u32_e64 v6, s3, 0, v6, s3
	s_mov_b32 s3, 0x3e9b6dac
	s_delay_alu instid0(VALU_DEP_1) | instskip(SKIP_1) | instid1(VALU_DEP_2)
	v_sub_nc_u32_e32 v23, 0, v6
	v_cvt_f32_i32_e32 v6, v6
	v_ldexp_f32 v12, v12, v23
	v_ldexp_f32 v7, v7, v23
	s_delay_alu instid0(VALU_DEP_2) | instskip(NEXT) | instid1(VALU_DEP_1)
	v_add_f32_e32 v67, 1.0, v12
	v_dual_add_f32 v23, -1.0, v12 :: v_dual_add_f32 v66, -1.0, v67
	s_delay_alu instid0(VALU_DEP_1) | instskip(NEXT) | instid1(VALU_DEP_2)
	v_add_f32_e32 v68, 1.0, v23
	v_sub_f32_e32 v66, v12, v66
	s_delay_alu instid0(VALU_DEP_2) | instskip(NEXT) | instid1(VALU_DEP_2)
	v_sub_f32_e32 v12, v12, v68
	v_add_f32_e32 v66, v7, v66
	s_delay_alu instid0(VALU_DEP_2) | instskip(NEXT) | instid1(VALU_DEP_1)
	v_add_f32_e32 v7, v7, v12
	v_add_f32_e32 v69, v23, v7
	s_delay_alu instid0(VALU_DEP_3) | instskip(NEXT) | instid1(VALU_DEP_2)
	v_add_f32_e32 v68, v67, v66
	v_sub_f32_e32 v23, v23, v69
	s_delay_alu instid0(VALU_DEP_2) | instskip(SKIP_1) | instid1(VALU_DEP_2)
	v_rcp_f32_e32 v12, v68
	v_sub_f32_e32 v67, v67, v68
	v_add_f32_e32 v7, v7, v23
	s_delay_alu instid0(VALU_DEP_2) | instskip(SKIP_2) | instid1(VALU_DEP_1)
	v_add_f32_e32 v66, v66, v67
	s_waitcnt_depctr 0xfff
	v_mul_f32_e32 v70, v69, v12
	v_mul_f32_e32 v71, v68, v70
	s_delay_alu instid0(VALU_DEP_1) | instskip(NEXT) | instid1(VALU_DEP_1)
	v_fma_f32 v67, v70, v68, -v71
	v_fmac_f32_e32 v67, v70, v66
	s_delay_alu instid0(VALU_DEP_1) | instskip(NEXT) | instid1(VALU_DEP_1)
	v_add_f32_e32 v80, v71, v67
	v_sub_f32_e32 v81, v69, v80
	v_sub_f32_e32 v23, v80, v71
	s_delay_alu instid0(VALU_DEP_2) | instskip(NEXT) | instid1(VALU_DEP_2)
	v_sub_f32_e32 v69, v69, v81
	v_sub_f32_e32 v23, v23, v67
	s_delay_alu instid0(VALU_DEP_2) | instskip(NEXT) | instid1(VALU_DEP_1)
	v_sub_f32_e32 v69, v69, v80
	v_add_f32_e32 v7, v7, v69
	s_delay_alu instid0(VALU_DEP_1) | instskip(NEXT) | instid1(VALU_DEP_1)
	v_add_f32_e32 v7, v23, v7
	v_add_f32_e32 v23, v81, v7
	s_delay_alu instid0(VALU_DEP_1) | instskip(SKIP_1) | instid1(VALU_DEP_2)
	v_mul_f32_e32 v67, v12, v23
	v_sub_f32_e32 v80, v81, v23
	v_mul_f32_e32 v69, v68, v67
	s_delay_alu instid0(VALU_DEP_2) | instskip(NEXT) | instid1(VALU_DEP_2)
	v_add_f32_e32 v7, v7, v80
	v_fma_f32 v68, v67, v68, -v69
	s_delay_alu instid0(VALU_DEP_1) | instskip(NEXT) | instid1(VALU_DEP_1)
	v_fmac_f32_e32 v68, v67, v66
	v_add_f32_e32 v66, v69, v68
	s_delay_alu instid0(VALU_DEP_1) | instskip(SKIP_1) | instid1(VALU_DEP_2)
	v_sub_f32_e32 v71, v23, v66
	v_sub_f32_e32 v69, v66, v69
	;; [unrolled: 1-line block ×3, first 2 shown]
	s_delay_alu instid0(VALU_DEP_1) | instskip(NEXT) | instid1(VALU_DEP_1)
	v_dual_sub_f32 v23, v23, v66 :: v_dual_sub_f32 v66, v69, v68
	v_add_f32_e32 v7, v7, v23
	v_add_f32_e32 v23, v70, v67
	s_delay_alu instid0(VALU_DEP_1) | instskip(NEXT) | instid1(VALU_DEP_1)
	v_dual_add_f32 v7, v66, v7 :: v_dual_sub_f32 v66, v23, v70
	v_add_f32_e32 v7, v71, v7
	s_delay_alu instid0(VALU_DEP_1) | instskip(NEXT) | instid1(VALU_DEP_1)
	v_dual_sub_f32 v66, v67, v66 :: v_dual_mul_f32 v7, v12, v7
	v_add_f32_e32 v7, v66, v7
	s_delay_alu instid0(VALU_DEP_1) | instskip(NEXT) | instid1(VALU_DEP_1)
	v_add_f32_e32 v12, v23, v7
	v_mul_f32_e32 v66, v12, v12
	s_delay_alu instid0(VALU_DEP_1) | instskip(SKIP_2) | instid1(VALU_DEP_3)
	v_fmaak_f32 v67, s3, v66, 0x3ecc95a3
	v_mul_f32_e32 v68, v12, v66
	v_cmp_eq_f32_e64 s3, 0x7f800000, v3
	v_fmaak_f32 v66, v66, v67, 0x3f2aaada
	v_ldexp_f32 v67, v12, 1
	v_sub_f32_e32 v12, v12, v23
	s_delay_alu instid0(VALU_DEP_4) | instskip(NEXT) | instid1(VALU_DEP_3)
	s_or_b32 s3, s3, s5
	v_mul_f32_e32 v66, v68, v66
	s_delay_alu instid0(VALU_DEP_2) | instskip(NEXT) | instid1(VALU_DEP_2)
	v_dual_mul_f32 v68, 0x3f317218, v6 :: v_dual_sub_f32 v7, v7, v12
	v_add_f32_e32 v23, v67, v66
	s_delay_alu instid0(VALU_DEP_2) | instskip(NEXT) | instid1(VALU_DEP_2)
	v_ldexp_f32 v7, v7, 1
	v_sub_f32_e32 v12, v23, v67
	s_delay_alu instid0(VALU_DEP_4) | instskip(NEXT) | instid1(VALU_DEP_2)
	v_fma_f32 v67, 0x3f317218, v6, -v68
	v_sub_f32_e32 v12, v66, v12
	s_delay_alu instid0(VALU_DEP_1) | instskip(NEXT) | instid1(VALU_DEP_1)
	v_dual_fmamk_f32 v6, v6, 0xb102e308, v67 :: v_dual_add_f32 v7, v7, v12
	v_add_f32_e32 v12, v68, v6
	s_delay_alu instid0(VALU_DEP_2) | instskip(NEXT) | instid1(VALU_DEP_2)
	v_add_f32_e32 v66, v23, v7
	v_sub_f32_e32 v68, v12, v68
	s_delay_alu instid0(VALU_DEP_2) | instskip(SKIP_1) | instid1(VALU_DEP_3)
	v_add_f32_e32 v67, v12, v66
	v_sub_f32_e32 v23, v66, v23
	v_sub_f32_e32 v6, v6, v68
	s_delay_alu instid0(VALU_DEP_3) | instskip(NEXT) | instid1(VALU_DEP_3)
	v_sub_f32_e32 v69, v67, v12
	v_sub_f32_e32 v7, v7, v23
	s_delay_alu instid0(VALU_DEP_2) | instskip(SKIP_1) | instid1(VALU_DEP_3)
	v_sub_f32_e32 v70, v67, v69
	v_sub_f32_e32 v23, v66, v69
	v_add_f32_e32 v66, v6, v7
	s_delay_alu instid0(VALU_DEP_3) | instskip(NEXT) | instid1(VALU_DEP_1)
	v_sub_f32_e32 v12, v12, v70
	v_dual_add_f32 v12, v23, v12 :: v_dual_sub_f32 v23, v66, v6
	s_delay_alu instid0(VALU_DEP_1) | instskip(NEXT) | instid1(VALU_DEP_2)
	v_add_f32_e32 v12, v66, v12
	v_sub_f32_e32 v66, v66, v23
	v_sub_f32_e32 v7, v7, v23
	s_delay_alu instid0(VALU_DEP_3) | instskip(NEXT) | instid1(VALU_DEP_1)
	v_add_f32_e32 v68, v67, v12
	v_dual_sub_f32 v6, v6, v66 :: v_dual_sub_f32 v23, v68, v67
	s_delay_alu instid0(VALU_DEP_1) | instskip(NEXT) | instid1(VALU_DEP_1)
	v_dual_add_f32 v6, v7, v6 :: v_dual_sub_f32 v7, v12, v23
	v_add_f32_e32 v6, v6, v7
	s_delay_alu instid0(VALU_DEP_1) | instskip(NEXT) | instid1(VALU_DEP_1)
	v_add_f32_e32 v6, v68, v6
	v_cndmask_b32_e64 v3, v6, v3, s3
	s_delay_alu instid0(VALU_DEP_1)
	v_add_f32_e32 v3, v2, v3
.LBB481_246:
	s_or_b32 exec_lo, exec_lo, s4
	s_delay_alu instid0(VALU_DEP_1) | instskip(SKIP_1) | instid1(VALU_DEP_2)
	v_bfe_u32 v2, v3, 16, 1
	v_cmp_o_f32_e64 s3, v3, v3
	v_add3_u32 v2, v3, v2, 0x7fff
	s_delay_alu instid0(VALU_DEP_1) | instskip(NEXT) | instid1(VALU_DEP_1)
	v_and_b32_e32 v6, 0xffff0000, v2
	v_cndmask_b32_e64 v6, 0x7fc00000, v6, s3
	s_delay_alu instid0(VALU_DEP_1) | instskip(NEXT) | instid1(VALU_DEP_1)
	v_dual_max_f32 v3, v6, v6 :: v_dual_lshlrev_b32 v2, 16, v55
	v_max_f32_e32 v7, v2, v2
	v_cmp_u_f32_e64 s3, v6, v6
	s_delay_alu instid0(VALU_DEP_2) | instskip(SKIP_1) | instid1(VALU_DEP_2)
	v_min_f32_e32 v12, v3, v7
	v_max_f32_e32 v3, v3, v7
	v_cndmask_b32_e64 v12, v12, v6, s3
	s_delay_alu instid0(VALU_DEP_2) | instskip(SKIP_1) | instid1(VALU_DEP_1)
	v_cndmask_b32_e64 v3, v3, v6, s3
	v_cmp_u_f32_e64 s3, v2, v2
	v_cndmask_b32_e64 v12, v12, v2, s3
	s_delay_alu instid0(VALU_DEP_3) | instskip(NEXT) | instid1(VALU_DEP_2)
	v_cndmask_b32_e64 v3, v3, v2, s3
	v_cmp_class_f32_e64 s5, v12, 0x1f8
	s_delay_alu instid0(VALU_DEP_2) | instskip(NEXT) | instid1(VALU_DEP_1)
	v_cmp_neq_f32_e64 s4, v12, v3
	s_or_b32 s4, s4, s5
	s_delay_alu instid0(SALU_CYCLE_1)
	s_and_saveexec_b32 s5, s4
	s_cbranch_execz .LBB481_248
; %bb.247:
	v_sub_f32_e32 v6, v12, v3
	s_delay_alu instid0(VALU_DEP_1) | instskip(SKIP_1) | instid1(VALU_DEP_2)
	v_mul_f32_e32 v12, 0x3fb8aa3b, v6
	v_cmp_ngt_f32_e64 s4, 0xc2ce8ed0, v6
	v_fma_f32 v23, 0x3fb8aa3b, v6, -v12
	v_rndne_f32_e32 v55, v12
	s_delay_alu instid0(VALU_DEP_1) | instskip(NEXT) | instid1(VALU_DEP_1)
	v_dual_fmamk_f32 v23, v6, 0x32a5705f, v23 :: v_dual_sub_f32 v12, v12, v55
	v_add_f32_e32 v12, v12, v23
	v_cvt_i32_f32_e32 v23, v55
	s_delay_alu instid0(VALU_DEP_2) | instskip(SKIP_2) | instid1(VALU_DEP_1)
	v_exp_f32_e32 v12, v12
	s_waitcnt_depctr 0xfff
	v_ldexp_f32 v12, v12, v23
	v_cndmask_b32_e64 v12, 0, v12, s4
	v_cmp_nlt_f32_e64 s4, 0x42b17218, v6
	s_delay_alu instid0(VALU_DEP_1) | instskip(NEXT) | instid1(VALU_DEP_1)
	v_cndmask_b32_e64 v6, 0x7f800000, v12, s4
	v_add_f32_e32 v12, 1.0, v6
	v_cmp_gt_f32_e64 s6, 0x33800000, |v6|
	s_delay_alu instid0(VALU_DEP_2) | instskip(SKIP_1) | instid1(VALU_DEP_1)
	v_cvt_f64_f32_e32 v[66:67], v12
	v_frexp_mant_f32_e32 v55, v12
	v_cmp_gt_f32_e64 s4, 0x3f2aaaab, v55
	v_add_f32_e32 v55, -1.0, v12
	s_delay_alu instid0(VALU_DEP_4) | instskip(NEXT) | instid1(VALU_DEP_2)
	v_frexp_exp_i32_f64_e32 v23, v[66:67]
	v_sub_f32_e32 v67, v55, v12
	v_sub_f32_e32 v55, v6, v55
	s_delay_alu instid0(VALU_DEP_2) | instskip(NEXT) | instid1(VALU_DEP_1)
	v_add_f32_e32 v67, 1.0, v67
	v_add_f32_e32 v55, v55, v67
	v_subrev_co_ci_u32_e64 v23, s4, 0, v23, s4
	s_mov_b32 s4, 0x3e9b6dac
	s_delay_alu instid0(VALU_DEP_1) | instskip(SKIP_1) | instid1(VALU_DEP_2)
	v_sub_nc_u32_e32 v66, 0, v23
	v_cvt_f32_i32_e32 v23, v23
	v_ldexp_f32 v12, v12, v66
	v_ldexp_f32 v55, v55, v66
	s_delay_alu instid0(VALU_DEP_2) | instskip(NEXT) | instid1(VALU_DEP_1)
	v_add_f32_e32 v68, 1.0, v12
	v_add_f32_e32 v67, -1.0, v68
	s_delay_alu instid0(VALU_DEP_1) | instskip(NEXT) | instid1(VALU_DEP_1)
	v_dual_add_f32 v66, -1.0, v12 :: v_dual_sub_f32 v67, v12, v67
	v_add_f32_e32 v69, 1.0, v66
	s_delay_alu instid0(VALU_DEP_1) | instskip(NEXT) | instid1(VALU_DEP_1)
	v_sub_f32_e32 v12, v12, v69
	v_add_f32_e32 v12, v55, v12
	s_delay_alu instid0(VALU_DEP_1) | instskip(NEXT) | instid1(VALU_DEP_1)
	v_dual_add_f32 v67, v55, v67 :: v_dual_add_f32 v70, v66, v12
	v_dual_add_f32 v69, v68, v67 :: v_dual_sub_f32 v66, v66, v70
	s_delay_alu instid0(VALU_DEP_1) | instskip(SKIP_1) | instid1(VALU_DEP_1)
	v_rcp_f32_e32 v55, v69
	v_sub_f32_e32 v68, v68, v69
	v_dual_add_f32 v12, v12, v66 :: v_dual_add_f32 v67, v67, v68
	s_waitcnt_depctr 0xfff
	v_mul_f32_e32 v71, v70, v55
	s_delay_alu instid0(VALU_DEP_1) | instskip(NEXT) | instid1(VALU_DEP_1)
	v_mul_f32_e32 v80, v69, v71
	v_fma_f32 v68, v71, v69, -v80
	s_delay_alu instid0(VALU_DEP_1) | instskip(NEXT) | instid1(VALU_DEP_1)
	v_fmac_f32_e32 v68, v71, v67
	v_add_f32_e32 v81, v80, v68
	s_delay_alu instid0(VALU_DEP_1) | instskip(SKIP_1) | instid1(VALU_DEP_2)
	v_sub_f32_e32 v82, v70, v81
	v_sub_f32_e32 v66, v81, v80
	;; [unrolled: 1-line block ×3, first 2 shown]
	s_delay_alu instid0(VALU_DEP_2) | instskip(NEXT) | instid1(VALU_DEP_2)
	v_sub_f32_e32 v66, v66, v68
	v_sub_f32_e32 v70, v70, v81
	s_delay_alu instid0(VALU_DEP_1) | instskip(NEXT) | instid1(VALU_DEP_1)
	v_add_f32_e32 v12, v12, v70
	v_add_f32_e32 v12, v66, v12
	s_delay_alu instid0(VALU_DEP_1) | instskip(NEXT) | instid1(VALU_DEP_1)
	v_add_f32_e32 v66, v82, v12
	v_mul_f32_e32 v68, v55, v66
	s_delay_alu instid0(VALU_DEP_1) | instskip(NEXT) | instid1(VALU_DEP_1)
	v_dual_sub_f32 v81, v82, v66 :: v_dual_mul_f32 v70, v69, v68
	v_add_f32_e32 v12, v12, v81
	s_delay_alu instid0(VALU_DEP_2) | instskip(NEXT) | instid1(VALU_DEP_1)
	v_fma_f32 v69, v68, v69, -v70
	v_fmac_f32_e32 v69, v68, v67
	s_delay_alu instid0(VALU_DEP_1) | instskip(NEXT) | instid1(VALU_DEP_1)
	v_add_f32_e32 v67, v70, v69
	v_sub_f32_e32 v80, v66, v67
	v_sub_f32_e32 v70, v67, v70
	s_delay_alu instid0(VALU_DEP_2) | instskip(NEXT) | instid1(VALU_DEP_1)
	v_sub_f32_e32 v66, v66, v80
	v_sub_f32_e32 v66, v66, v67
	s_delay_alu instid0(VALU_DEP_1) | instskip(SKIP_1) | instid1(VALU_DEP_1)
	v_dual_sub_f32 v67, v70, v69 :: v_dual_add_f32 v12, v12, v66
	v_add_f32_e32 v66, v71, v68
	v_dual_add_f32 v12, v67, v12 :: v_dual_sub_f32 v67, v66, v71
	s_delay_alu instid0(VALU_DEP_1) | instskip(NEXT) | instid1(VALU_DEP_1)
	v_add_f32_e32 v12, v80, v12
	v_dual_sub_f32 v67, v68, v67 :: v_dual_mul_f32 v12, v55, v12
	s_delay_alu instid0(VALU_DEP_1) | instskip(NEXT) | instid1(VALU_DEP_1)
	v_add_f32_e32 v12, v67, v12
	v_add_f32_e32 v55, v66, v12
	s_delay_alu instid0(VALU_DEP_1) | instskip(NEXT) | instid1(VALU_DEP_1)
	v_mul_f32_e32 v67, v55, v55
	v_fmaak_f32 v68, s4, v67, 0x3ecc95a3
	v_mul_f32_e32 v69, v55, v67
	v_cmp_eq_f32_e64 s4, 0x7f800000, v6
	s_delay_alu instid0(VALU_DEP_3) | instskip(SKIP_2) | instid1(VALU_DEP_4)
	v_fmaak_f32 v67, v67, v68, 0x3f2aaada
	v_ldexp_f32 v68, v55, 1
	v_sub_f32_e32 v55, v55, v66
	s_or_b32 s4, s4, s6
	s_delay_alu instid0(VALU_DEP_3) | instskip(SKIP_1) | instid1(VALU_DEP_3)
	v_mul_f32_e32 v67, v69, v67
	v_mul_f32_e32 v69, 0x3f317218, v23
	v_sub_f32_e32 v12, v12, v55
	s_delay_alu instid0(VALU_DEP_3) | instskip(NEXT) | instid1(VALU_DEP_2)
	v_add_f32_e32 v66, v68, v67
	v_ldexp_f32 v12, v12, 1
	s_delay_alu instid0(VALU_DEP_2) | instskip(SKIP_1) | instid1(VALU_DEP_2)
	v_sub_f32_e32 v55, v66, v68
	v_fma_f32 v68, 0x3f317218, v23, -v69
	v_sub_f32_e32 v55, v67, v55
	s_delay_alu instid0(VALU_DEP_1) | instskip(NEXT) | instid1(VALU_DEP_1)
	v_dual_fmamk_f32 v23, v23, 0xb102e308, v68 :: v_dual_add_f32 v12, v12, v55
	v_add_f32_e32 v55, v69, v23
	s_delay_alu instid0(VALU_DEP_1) | instskip(NEXT) | instid1(VALU_DEP_1)
	v_sub_f32_e32 v69, v55, v69
	v_sub_f32_e32 v23, v23, v69
	s_delay_alu instid0(VALU_DEP_4) | instskip(NEXT) | instid1(VALU_DEP_1)
	v_add_f32_e32 v67, v66, v12
	v_add_f32_e32 v68, v55, v67
	v_sub_f32_e32 v66, v67, v66
	s_delay_alu instid0(VALU_DEP_1) | instskip(NEXT) | instid1(VALU_DEP_3)
	v_sub_f32_e32 v12, v12, v66
	v_sub_f32_e32 v70, v68, v55
	s_delay_alu instid0(VALU_DEP_1) | instskip(NEXT) | instid1(VALU_DEP_3)
	v_sub_f32_e32 v66, v67, v70
	v_add_f32_e32 v67, v23, v12
	v_sub_f32_e32 v71, v68, v70
	s_delay_alu instid0(VALU_DEP_1) | instskip(NEXT) | instid1(VALU_DEP_1)
	v_sub_f32_e32 v55, v55, v71
	v_add_f32_e32 v55, v66, v55
	s_delay_alu instid0(VALU_DEP_4) | instskip(NEXT) | instid1(VALU_DEP_1)
	v_sub_f32_e32 v66, v67, v23
	v_dual_add_f32 v55, v67, v55 :: v_dual_sub_f32 v12, v12, v66
	v_sub_f32_e32 v67, v67, v66
	s_delay_alu instid0(VALU_DEP_2) | instskip(NEXT) | instid1(VALU_DEP_1)
	v_add_f32_e32 v69, v68, v55
	v_dual_sub_f32 v23, v23, v67 :: v_dual_sub_f32 v66, v69, v68
	s_delay_alu instid0(VALU_DEP_1) | instskip(NEXT) | instid1(VALU_DEP_1)
	v_dual_add_f32 v12, v12, v23 :: v_dual_sub_f32 v23, v55, v66
	v_add_f32_e32 v12, v12, v23
	s_delay_alu instid0(VALU_DEP_1) | instskip(NEXT) | instid1(VALU_DEP_1)
	v_add_f32_e32 v12, v69, v12
	v_cndmask_b32_e64 v6, v12, v6, s4
	s_delay_alu instid0(VALU_DEP_1)
	v_add_f32_e32 v6, v3, v6
.LBB481_248:
	s_or_b32 exec_lo, exec_lo, s5
	s_delay_alu instid0(VALU_DEP_1) | instskip(SKIP_1) | instid1(VALU_DEP_2)
	v_bfe_u32 v3, v6, 16, 1
	v_cmp_o_f32_e64 s4, v6, v6
	v_add3_u32 v3, v6, v3, 0x7fff
	s_delay_alu instid0(VALU_DEP_1) | instskip(NEXT) | instid1(VALU_DEP_1)
	v_and_b32_e32 v12, 0xffff0000, v3
	v_cndmask_b32_e64 v12, 0x7fc00000, v12, s4
	s_delay_alu instid0(VALU_DEP_1) | instskip(NEXT) | instid1(VALU_DEP_1)
	v_dual_max_f32 v6, v12, v12 :: v_dual_lshlrev_b32 v3, 16, v54
	v_max_f32_e32 v23, v3, v3
	v_cmp_u_f32_e64 s4, v12, v12
	s_delay_alu instid0(VALU_DEP_2) | instskip(SKIP_1) | instid1(VALU_DEP_2)
	v_min_f32_e32 v54, v6, v23
	v_max_f32_e32 v6, v6, v23
	v_cndmask_b32_e64 v54, v54, v12, s4
	s_delay_alu instid0(VALU_DEP_2) | instskip(SKIP_1) | instid1(VALU_DEP_1)
	v_cndmask_b32_e64 v6, v6, v12, s4
	v_cmp_u_f32_e64 s4, v3, v3
	v_cndmask_b32_e64 v54, v54, v3, s4
	s_delay_alu instid0(VALU_DEP_3) | instskip(NEXT) | instid1(VALU_DEP_2)
	v_cndmask_b32_e64 v6, v6, v3, s4
	v_cmp_class_f32_e64 s6, v54, 0x1f8
	s_delay_alu instid0(VALU_DEP_2) | instskip(NEXT) | instid1(VALU_DEP_1)
	v_cmp_neq_f32_e64 s5, v54, v6
	s_or_b32 s5, s5, s6
	s_delay_alu instid0(SALU_CYCLE_1)
	s_and_saveexec_b32 s6, s5
	s_cbranch_execz .LBB481_250
; %bb.249:
	v_sub_f32_e32 v12, v54, v6
	s_delay_alu instid0(VALU_DEP_1) | instskip(SKIP_1) | instid1(VALU_DEP_2)
	v_mul_f32_e32 v54, 0x3fb8aa3b, v12
	v_cmp_ngt_f32_e64 s5, 0xc2ce8ed0, v12
	v_fma_f32 v55, 0x3fb8aa3b, v12, -v54
	v_rndne_f32_e32 v66, v54
	s_delay_alu instid0(VALU_DEP_1) | instskip(NEXT) | instid1(VALU_DEP_1)
	v_dual_fmamk_f32 v55, v12, 0x32a5705f, v55 :: v_dual_sub_f32 v54, v54, v66
	v_add_f32_e32 v54, v54, v55
	v_cvt_i32_f32_e32 v55, v66
	s_delay_alu instid0(VALU_DEP_2) | instskip(SKIP_2) | instid1(VALU_DEP_1)
	v_exp_f32_e32 v54, v54
	s_waitcnt_depctr 0xfff
	v_ldexp_f32 v54, v54, v55
	v_cndmask_b32_e64 v54, 0, v54, s5
	v_cmp_nlt_f32_e64 s5, 0x42b17218, v12
	s_delay_alu instid0(VALU_DEP_1) | instskip(NEXT) | instid1(VALU_DEP_1)
	v_cndmask_b32_e64 v12, 0x7f800000, v54, s5
	v_add_f32_e32 v66, 1.0, v12
	v_cmp_gt_f32_e64 s7, 0x33800000, |v12|
	s_delay_alu instid0(VALU_DEP_2) | instskip(NEXT) | instid1(VALU_DEP_1)
	v_cvt_f64_f32_e32 v[54:55], v66
	v_frexp_exp_i32_f64_e32 v54, v[54:55]
	v_frexp_mant_f32_e32 v55, v66
	s_delay_alu instid0(VALU_DEP_1) | instskip(SKIP_1) | instid1(VALU_DEP_1)
	v_cmp_gt_f32_e64 s5, 0x3f2aaaab, v55
	v_add_f32_e32 v55, -1.0, v66
	v_dual_sub_f32 v68, v55, v66 :: v_dual_sub_f32 v55, v12, v55
	s_delay_alu instid0(VALU_DEP_3) | instskip(SKIP_1) | instid1(VALU_DEP_1)
	v_subrev_co_ci_u32_e64 v54, s5, 0, v54, s5
	s_mov_b32 s5, 0x3e9b6dac
	v_sub_nc_u32_e32 v67, 0, v54
	v_cvt_f32_i32_e32 v54, v54
	s_delay_alu instid0(VALU_DEP_2) | instskip(NEXT) | instid1(VALU_DEP_1)
	v_ldexp_f32 v66, v66, v67
	v_dual_add_f32 v68, 1.0, v68 :: v_dual_add_f32 v69, 1.0, v66
	s_delay_alu instid0(VALU_DEP_1) | instskip(NEXT) | instid1(VALU_DEP_1)
	v_add_f32_e32 v55, v55, v68
	v_ldexp_f32 v55, v55, v67
	s_delay_alu instid0(VALU_DEP_3) | instskip(NEXT) | instid1(VALU_DEP_1)
	v_dual_add_f32 v67, -1.0, v66 :: v_dual_add_f32 v68, -1.0, v69
	v_add_f32_e32 v70, 1.0, v67
	s_delay_alu instid0(VALU_DEP_2) | instskip(NEXT) | instid1(VALU_DEP_2)
	v_sub_f32_e32 v68, v66, v68
	v_sub_f32_e32 v66, v66, v70
	s_delay_alu instid0(VALU_DEP_2) | instskip(NEXT) | instid1(VALU_DEP_2)
	v_add_f32_e32 v68, v55, v68
	v_add_f32_e32 v55, v55, v66
	s_delay_alu instid0(VALU_DEP_1) | instskip(NEXT) | instid1(VALU_DEP_1)
	v_dual_add_f32 v71, v67, v55 :: v_dual_add_f32 v70, v69, v68
	v_sub_f32_e32 v67, v67, v71
	s_delay_alu instid0(VALU_DEP_2) | instskip(SKIP_1) | instid1(VALU_DEP_1)
	v_rcp_f32_e32 v66, v70
	v_sub_f32_e32 v69, v69, v70
	v_dual_add_f32 v55, v55, v67 :: v_dual_add_f32 v68, v68, v69
	s_waitcnt_depctr 0xfff
	v_mul_f32_e32 v80, v71, v66
	s_delay_alu instid0(VALU_DEP_1) | instskip(NEXT) | instid1(VALU_DEP_1)
	v_mul_f32_e32 v81, v70, v80
	v_fma_f32 v69, v80, v70, -v81
	s_delay_alu instid0(VALU_DEP_1) | instskip(NEXT) | instid1(VALU_DEP_1)
	v_fmac_f32_e32 v69, v80, v68
	v_add_f32_e32 v82, v81, v69
	s_delay_alu instid0(VALU_DEP_1) | instskip(SKIP_1) | instid1(VALU_DEP_2)
	v_sub_f32_e32 v83, v71, v82
	v_sub_f32_e32 v67, v82, v81
	;; [unrolled: 1-line block ×3, first 2 shown]
	s_delay_alu instid0(VALU_DEP_2) | instskip(NEXT) | instid1(VALU_DEP_2)
	v_sub_f32_e32 v67, v67, v69
	v_sub_f32_e32 v71, v71, v82
	s_delay_alu instid0(VALU_DEP_1) | instskip(NEXT) | instid1(VALU_DEP_1)
	v_add_f32_e32 v55, v55, v71
	v_add_f32_e32 v55, v67, v55
	s_delay_alu instid0(VALU_DEP_1) | instskip(NEXT) | instid1(VALU_DEP_1)
	v_add_f32_e32 v67, v83, v55
	v_mul_f32_e32 v69, v66, v67
	s_delay_alu instid0(VALU_DEP_1) | instskip(NEXT) | instid1(VALU_DEP_1)
	v_dual_sub_f32 v82, v83, v67 :: v_dual_mul_f32 v71, v70, v69
	v_add_f32_e32 v55, v55, v82
	s_delay_alu instid0(VALU_DEP_2) | instskip(NEXT) | instid1(VALU_DEP_1)
	v_fma_f32 v70, v69, v70, -v71
	v_fmac_f32_e32 v70, v69, v68
	s_delay_alu instid0(VALU_DEP_1) | instskip(NEXT) | instid1(VALU_DEP_1)
	v_add_f32_e32 v68, v71, v70
	v_sub_f32_e32 v81, v67, v68
	s_delay_alu instid0(VALU_DEP_1) | instskip(NEXT) | instid1(VALU_DEP_1)
	v_sub_f32_e32 v67, v67, v81
	v_sub_f32_e32 v67, v67, v68
	s_delay_alu instid0(VALU_DEP_1) | instskip(SKIP_2) | instid1(VALU_DEP_1)
	v_add_f32_e32 v55, v55, v67
	v_add_f32_e32 v67, v80, v69
	v_sub_f32_e32 v71, v68, v71
	v_sub_f32_e32 v68, v71, v70
	s_delay_alu instid0(VALU_DEP_1) | instskip(NEXT) | instid1(VALU_DEP_1)
	v_dual_add_f32 v55, v68, v55 :: v_dual_sub_f32 v68, v67, v80
	v_add_f32_e32 v55, v81, v55
	s_delay_alu instid0(VALU_DEP_1) | instskip(NEXT) | instid1(VALU_DEP_1)
	v_dual_sub_f32 v68, v69, v68 :: v_dual_mul_f32 v55, v66, v55
	v_add_f32_e32 v55, v68, v55
	s_delay_alu instid0(VALU_DEP_1) | instskip(NEXT) | instid1(VALU_DEP_1)
	v_add_f32_e32 v66, v67, v55
	v_mul_f32_e32 v68, v66, v66
	s_delay_alu instid0(VALU_DEP_1) | instskip(SKIP_2) | instid1(VALU_DEP_3)
	v_fmaak_f32 v69, s5, v68, 0x3ecc95a3
	v_mul_f32_e32 v70, v66, v68
	v_cmp_eq_f32_e64 s5, 0x7f800000, v12
	v_fmaak_f32 v68, v68, v69, 0x3f2aaada
	v_ldexp_f32 v69, v66, 1
	v_sub_f32_e32 v66, v66, v67
	s_delay_alu instid0(VALU_DEP_4) | instskip(NEXT) | instid1(VALU_DEP_3)
	s_or_b32 s5, s5, s7
	v_mul_f32_e32 v68, v70, v68
	v_mul_f32_e32 v70, 0x3f317218, v54
	s_delay_alu instid0(VALU_DEP_3) | instskip(NEXT) | instid1(VALU_DEP_3)
	v_sub_f32_e32 v55, v55, v66
	v_add_f32_e32 v67, v69, v68
	s_delay_alu instid0(VALU_DEP_2) | instskip(NEXT) | instid1(VALU_DEP_2)
	v_ldexp_f32 v55, v55, 1
	v_sub_f32_e32 v66, v67, v69
	v_fma_f32 v69, 0x3f317218, v54, -v70
	s_delay_alu instid0(VALU_DEP_2) | instskip(NEXT) | instid1(VALU_DEP_1)
	v_sub_f32_e32 v66, v68, v66
	v_dual_fmamk_f32 v54, v54, 0xb102e308, v69 :: v_dual_add_f32 v55, v55, v66
	s_delay_alu instid0(VALU_DEP_1) | instskip(NEXT) | instid1(VALU_DEP_1)
	v_add_f32_e32 v66, v70, v54
	v_sub_f32_e32 v70, v66, v70
	s_delay_alu instid0(VALU_DEP_1) | instskip(NEXT) | instid1(VALU_DEP_4)
	v_sub_f32_e32 v54, v54, v70
	v_add_f32_e32 v68, v67, v55
	s_delay_alu instid0(VALU_DEP_1) | instskip(NEXT) | instid1(VALU_DEP_1)
	v_add_f32_e32 v69, v66, v68
	v_sub_f32_e32 v71, v69, v66
	v_sub_f32_e32 v67, v68, v67
	s_delay_alu instid0(VALU_DEP_2) | instskip(NEXT) | instid1(VALU_DEP_1)
	v_sub_f32_e32 v80, v69, v71
	v_dual_sub_f32 v66, v66, v80 :: v_dual_sub_f32 v55, v55, v67
	v_sub_f32_e32 v67, v68, v71
	s_delay_alu instid0(VALU_DEP_2) | instskip(NEXT) | instid1(VALU_DEP_2)
	v_add_f32_e32 v68, v54, v55
	v_add_f32_e32 v66, v67, v66
	s_delay_alu instid0(VALU_DEP_2) | instskip(NEXT) | instid1(VALU_DEP_2)
	v_sub_f32_e32 v67, v68, v54
	v_add_f32_e32 v66, v68, v66
	s_delay_alu instid0(VALU_DEP_1) | instskip(NEXT) | instid1(VALU_DEP_3)
	v_add_f32_e32 v70, v69, v66
	v_sub_f32_e32 v68, v68, v67
	s_delay_alu instid0(VALU_DEP_1) | instskip(NEXT) | instid1(VALU_DEP_1)
	v_dual_sub_f32 v54, v54, v68 :: v_dual_sub_f32 v55, v55, v67
	v_dual_sub_f32 v67, v70, v69 :: v_dual_add_f32 v54, v55, v54
	s_delay_alu instid0(VALU_DEP_1) | instskip(NEXT) | instid1(VALU_DEP_1)
	v_sub_f32_e32 v55, v66, v67
	v_add_f32_e32 v54, v54, v55
	s_delay_alu instid0(VALU_DEP_1) | instskip(NEXT) | instid1(VALU_DEP_1)
	v_add_f32_e32 v54, v70, v54
	v_cndmask_b32_e64 v12, v54, v12, s5
	s_delay_alu instid0(VALU_DEP_1)
	v_add_f32_e32 v12, v6, v12
.LBB481_250:
	s_or_b32 exec_lo, exec_lo, s6
	s_delay_alu instid0(VALU_DEP_1) | instskip(SKIP_1) | instid1(VALU_DEP_2)
	v_bfe_u32 v6, v12, 16, 1
	v_cmp_o_f32_e64 s5, v12, v12
	v_add3_u32 v6, v12, v6, 0x7fff
	s_delay_alu instid0(VALU_DEP_1) | instskip(SKIP_1) | instid1(VALU_DEP_2)
	v_and_b32_e32 v54, 0xffff0000, v6
	v_lshlrev_b32_e32 v6, 16, v53
	v_cndmask_b32_e64 v54, 0x7fc00000, v54, s5
	s_delay_alu instid0(VALU_DEP_2) | instskip(NEXT) | instid1(VALU_DEP_2)
	v_max_f32_e32 v53, v6, v6
	v_max_f32_e32 v12, v54, v54
	v_cmp_u_f32_e64 s5, v54, v54
	s_delay_alu instid0(VALU_DEP_2) | instskip(SKIP_1) | instid1(VALU_DEP_2)
	v_min_f32_e32 v55, v12, v53
	v_max_f32_e32 v12, v12, v53
	v_cndmask_b32_e64 v55, v55, v54, s5
	s_delay_alu instid0(VALU_DEP_2) | instskip(SKIP_1) | instid1(VALU_DEP_1)
	v_cndmask_b32_e64 v12, v12, v54, s5
	v_cmp_u_f32_e64 s5, v6, v6
	v_cndmask_b32_e64 v55, v55, v6, s5
	s_delay_alu instid0(VALU_DEP_3) | instskip(NEXT) | instid1(VALU_DEP_2)
	v_cndmask_b32_e64 v12, v12, v6, s5
	v_cmp_class_f32_e64 s7, v55, 0x1f8
	s_delay_alu instid0(VALU_DEP_2) | instskip(NEXT) | instid1(VALU_DEP_1)
	v_cmp_neq_f32_e64 s6, v55, v12
	s_or_b32 s6, s6, s7
	s_delay_alu instid0(SALU_CYCLE_1)
	s_and_saveexec_b32 s7, s6
	s_cbranch_execz .LBB481_252
; %bb.251:
	v_sub_f32_e32 v54, v55, v12
	s_delay_alu instid0(VALU_DEP_1) | instskip(SKIP_1) | instid1(VALU_DEP_2)
	v_mul_f32_e32 v55, 0x3fb8aa3b, v54
	v_cmp_ngt_f32_e64 s6, 0xc2ce8ed0, v54
	v_fma_f32 v66, 0x3fb8aa3b, v54, -v55
	v_rndne_f32_e32 v67, v55
	s_delay_alu instid0(VALU_DEP_1) | instskip(NEXT) | instid1(VALU_DEP_1)
	v_dual_fmamk_f32 v66, v54, 0x32a5705f, v66 :: v_dual_sub_f32 v55, v55, v67
	v_add_f32_e32 v55, v55, v66
	v_cvt_i32_f32_e32 v66, v67
	s_delay_alu instid0(VALU_DEP_2) | instskip(SKIP_2) | instid1(VALU_DEP_1)
	v_exp_f32_e32 v55, v55
	s_waitcnt_depctr 0xfff
	v_ldexp_f32 v55, v55, v66
	v_cndmask_b32_e64 v55, 0, v55, s6
	v_cmp_nlt_f32_e64 s6, 0x42b17218, v54
	s_delay_alu instid0(VALU_DEP_1) | instskip(NEXT) | instid1(VALU_DEP_1)
	v_cndmask_b32_e64 v66, 0x7f800000, v55, s6
	v_add_f32_e32 v67, 1.0, v66
	v_cmp_gt_f32_e64 s8, 0x33800000, |v66|
	s_delay_alu instid0(VALU_DEP_2) | instskip(NEXT) | instid1(VALU_DEP_1)
	v_cvt_f64_f32_e32 v[54:55], v67
	v_frexp_exp_i32_f64_e32 v54, v[54:55]
	v_frexp_mant_f32_e32 v55, v67
	s_delay_alu instid0(VALU_DEP_1) | instskip(SKIP_1) | instid1(VALU_DEP_1)
	v_cmp_gt_f32_e64 s6, 0x3f2aaaab, v55
	v_add_f32_e32 v55, -1.0, v67
	v_sub_f32_e32 v69, v55, v67
	v_sub_f32_e32 v55, v66, v55
	s_delay_alu instid0(VALU_DEP_2) | instskip(SKIP_2) | instid1(VALU_DEP_1)
	v_add_f32_e32 v69, 1.0, v69
	v_subrev_co_ci_u32_e64 v54, s6, 0, v54, s6
	s_mov_b32 s6, 0x3e9b6dac
	v_sub_nc_u32_e32 v68, 0, v54
	v_cvt_f32_i32_e32 v54, v54
	s_delay_alu instid0(VALU_DEP_2) | instskip(NEXT) | instid1(VALU_DEP_1)
	v_ldexp_f32 v67, v67, v68
	v_dual_add_f32 v70, 1.0, v67 :: v_dual_add_f32 v55, v55, v69
	s_delay_alu instid0(VALU_DEP_1) | instskip(NEXT) | instid1(VALU_DEP_2)
	v_add_f32_e32 v69, -1.0, v70
	v_ldexp_f32 v55, v55, v68
	s_delay_alu instid0(VALU_DEP_2) | instskip(NEXT) | instid1(VALU_DEP_1)
	v_dual_add_f32 v68, -1.0, v67 :: v_dual_sub_f32 v69, v67, v69
	v_add_f32_e32 v71, 1.0, v68
	s_delay_alu instid0(VALU_DEP_2) | instskip(NEXT) | instid1(VALU_DEP_2)
	v_add_f32_e32 v69, v55, v69
	v_sub_f32_e32 v67, v67, v71
	s_delay_alu instid0(VALU_DEP_2) | instskip(NEXT) | instid1(VALU_DEP_2)
	v_add_f32_e32 v71, v70, v69
	v_add_f32_e32 v55, v55, v67
	s_delay_alu instid0(VALU_DEP_2) | instskip(SKIP_1) | instid1(VALU_DEP_1)
	v_rcp_f32_e32 v67, v71
	v_sub_f32_e32 v70, v70, v71
	v_dual_add_f32 v80, v68, v55 :: v_dual_add_f32 v69, v69, v70
	s_delay_alu instid0(VALU_DEP_1) | instskip(SKIP_3) | instid1(VALU_DEP_2)
	v_sub_f32_e32 v68, v68, v80
	s_waitcnt_depctr 0xfff
	v_mul_f32_e32 v81, v80, v67
	v_add_f32_e32 v55, v55, v68
	v_mul_f32_e32 v82, v71, v81
	s_delay_alu instid0(VALU_DEP_1) | instskip(NEXT) | instid1(VALU_DEP_1)
	v_fma_f32 v70, v81, v71, -v82
	v_fmac_f32_e32 v70, v81, v69
	s_delay_alu instid0(VALU_DEP_1) | instskip(NEXT) | instid1(VALU_DEP_1)
	v_add_f32_e32 v83, v82, v70
	v_sub_f32_e32 v84, v80, v83
	v_sub_f32_e32 v68, v83, v82
	s_delay_alu instid0(VALU_DEP_2) | instskip(NEXT) | instid1(VALU_DEP_2)
	v_sub_f32_e32 v80, v80, v84
	v_sub_f32_e32 v68, v68, v70
	s_delay_alu instid0(VALU_DEP_2) | instskip(NEXT) | instid1(VALU_DEP_1)
	v_sub_f32_e32 v80, v80, v83
	v_add_f32_e32 v55, v55, v80
	s_delay_alu instid0(VALU_DEP_1) | instskip(NEXT) | instid1(VALU_DEP_1)
	v_add_f32_e32 v55, v68, v55
	v_add_f32_e32 v68, v84, v55
	s_delay_alu instid0(VALU_DEP_1) | instskip(NEXT) | instid1(VALU_DEP_1)
	v_mul_f32_e32 v70, v67, v68
	v_dual_sub_f32 v83, v84, v68 :: v_dual_mul_f32 v80, v71, v70
	s_delay_alu instid0(VALU_DEP_1) | instskip(NEXT) | instid1(VALU_DEP_2)
	v_add_f32_e32 v55, v55, v83
	v_fma_f32 v71, v70, v71, -v80
	s_delay_alu instid0(VALU_DEP_1) | instskip(NEXT) | instid1(VALU_DEP_1)
	v_fmac_f32_e32 v71, v70, v69
	v_add_f32_e32 v69, v80, v71
	s_delay_alu instid0(VALU_DEP_1) | instskip(SKIP_1) | instid1(VALU_DEP_2)
	v_sub_f32_e32 v82, v68, v69
	v_sub_f32_e32 v80, v69, v80
	;; [unrolled: 1-line block ×3, first 2 shown]
	s_delay_alu instid0(VALU_DEP_1) | instskip(NEXT) | instid1(VALU_DEP_1)
	v_sub_f32_e32 v68, v68, v69
	v_dual_add_f32 v55, v55, v68 :: v_dual_add_f32 v68, v81, v70
	s_delay_alu instid0(VALU_DEP_4) | instskip(NEXT) | instid1(VALU_DEP_1)
	v_sub_f32_e32 v69, v80, v71
	v_add_f32_e32 v55, v69, v55
	s_delay_alu instid0(VALU_DEP_3) | instskip(NEXT) | instid1(VALU_DEP_2)
	v_sub_f32_e32 v69, v68, v81
	v_add_f32_e32 v55, v82, v55
	s_delay_alu instid0(VALU_DEP_2) | instskip(NEXT) | instid1(VALU_DEP_2)
	v_sub_f32_e32 v69, v70, v69
	v_mul_f32_e32 v55, v67, v55
	s_delay_alu instid0(VALU_DEP_1) | instskip(NEXT) | instid1(VALU_DEP_1)
	v_add_f32_e32 v55, v69, v55
	v_add_f32_e32 v67, v68, v55
	s_delay_alu instid0(VALU_DEP_1) | instskip(NEXT) | instid1(VALU_DEP_1)
	v_mul_f32_e32 v69, v67, v67
	v_fmaak_f32 v70, s6, v69, 0x3ecc95a3
	v_mul_f32_e32 v71, v67, v69
	v_cmp_eq_f32_e64 s6, 0x7f800000, v66
	s_delay_alu instid0(VALU_DEP_3) | instskip(SKIP_2) | instid1(VALU_DEP_4)
	v_fmaak_f32 v69, v69, v70, 0x3f2aaada
	v_ldexp_f32 v70, v67, 1
	v_sub_f32_e32 v67, v67, v68
	s_or_b32 s6, s6, s8
	s_delay_alu instid0(VALU_DEP_3) | instskip(SKIP_1) | instid1(VALU_DEP_2)
	v_mul_f32_e32 v69, v71, v69
	v_mul_f32_e32 v71, 0x3f317218, v54
	v_dual_sub_f32 v55, v55, v67 :: v_dual_add_f32 v68, v70, v69
	s_delay_alu instid0(VALU_DEP_1) | instskip(NEXT) | instid1(VALU_DEP_2)
	v_ldexp_f32 v55, v55, 1
	v_sub_f32_e32 v67, v68, v70
	s_delay_alu instid0(VALU_DEP_4) | instskip(NEXT) | instid1(VALU_DEP_1)
	v_fma_f32 v70, 0x3f317218, v54, -v71
	v_dual_sub_f32 v67, v69, v67 :: v_dual_fmamk_f32 v54, v54, 0xb102e308, v70
	s_delay_alu instid0(VALU_DEP_1) | instskip(NEXT) | instid1(VALU_DEP_2)
	v_add_f32_e32 v55, v55, v67
	v_add_f32_e32 v67, v71, v54
	s_delay_alu instid0(VALU_DEP_2) | instskip(NEXT) | instid1(VALU_DEP_2)
	v_add_f32_e32 v69, v68, v55
	v_sub_f32_e32 v71, v67, v71
	s_delay_alu instid0(VALU_DEP_2) | instskip(SKIP_1) | instid1(VALU_DEP_3)
	v_add_f32_e32 v70, v67, v69
	v_sub_f32_e32 v68, v69, v68
	v_sub_f32_e32 v54, v54, v71
	s_delay_alu instid0(VALU_DEP_2) | instskip(NEXT) | instid1(VALU_DEP_1)
	v_dual_sub_f32 v80, v70, v67 :: v_dual_sub_f32 v55, v55, v68
	v_sub_f32_e32 v81, v70, v80
	s_delay_alu instid0(VALU_DEP_2) | instskip(NEXT) | instid1(VALU_DEP_2)
	v_dual_sub_f32 v68, v69, v80 :: v_dual_add_f32 v69, v54, v55
	v_sub_f32_e32 v67, v67, v81
	s_delay_alu instid0(VALU_DEP_1) | instskip(NEXT) | instid1(VALU_DEP_1)
	v_dual_add_f32 v67, v68, v67 :: v_dual_sub_f32 v68, v69, v54
	v_add_f32_e32 v67, v69, v67
	s_delay_alu instid0(VALU_DEP_2) | instskip(SKIP_1) | instid1(VALU_DEP_3)
	v_sub_f32_e32 v69, v69, v68
	v_sub_f32_e32 v55, v55, v68
	v_add_f32_e32 v71, v70, v67
	s_delay_alu instid0(VALU_DEP_3) | instskip(NEXT) | instid1(VALU_DEP_2)
	v_sub_f32_e32 v54, v54, v69
	v_sub_f32_e32 v68, v71, v70
	s_delay_alu instid0(VALU_DEP_2) | instskip(NEXT) | instid1(VALU_DEP_2)
	v_add_f32_e32 v54, v55, v54
	v_sub_f32_e32 v55, v67, v68
	s_delay_alu instid0(VALU_DEP_1) | instskip(NEXT) | instid1(VALU_DEP_1)
	v_add_f32_e32 v54, v54, v55
	v_add_f32_e32 v54, v71, v54
	s_delay_alu instid0(VALU_DEP_1) | instskip(NEXT) | instid1(VALU_DEP_1)
	v_cndmask_b32_e64 v54, v54, v66, s6
	v_add_f32_e32 v54, v12, v54
.LBB481_252:
	s_or_b32 exec_lo, exec_lo, s7
	s_delay_alu instid0(VALU_DEP_1) | instskip(SKIP_1) | instid1(VALU_DEP_2)
	v_bfe_u32 v12, v54, 16, 1
	v_cmp_o_f32_e64 s6, v54, v54
	v_add3_u32 v12, v54, v12, 0x7fff
	s_delay_alu instid0(VALU_DEP_1) | instskip(SKIP_1) | instid1(VALU_DEP_2)
	v_and_b32_e32 v55, 0xffff0000, v12
	v_lshlrev_b32_e32 v12, 16, v52
	v_cndmask_b32_e64 v55, 0x7fc00000, v55, s6
	s_delay_alu instid0(VALU_DEP_2) | instskip(NEXT) | instid1(VALU_DEP_2)
	v_max_f32_e32 v52, v12, v12
	v_max_f32_e32 v54, v55, v55
	v_cmp_u_f32_e64 s6, v55, v55
	s_delay_alu instid0(VALU_DEP_2) | instskip(SKIP_1) | instid1(VALU_DEP_2)
	v_min_f32_e32 v66, v54, v52
	v_max_f32_e32 v54, v54, v52
	v_cndmask_b32_e64 v66, v66, v55, s6
	s_delay_alu instid0(VALU_DEP_2) | instskip(SKIP_1) | instid1(VALU_DEP_1)
	v_cndmask_b32_e64 v54, v54, v55, s6
	v_cmp_u_f32_e64 s6, v12, v12
	v_cndmask_b32_e64 v66, v66, v12, s6
	s_delay_alu instid0(VALU_DEP_3) | instskip(NEXT) | instid1(VALU_DEP_2)
	v_cndmask_b32_e64 v54, v54, v12, s6
	v_cmp_class_f32_e64 s8, v66, 0x1f8
	s_delay_alu instid0(VALU_DEP_2) | instskip(NEXT) | instid1(VALU_DEP_1)
	v_cmp_neq_f32_e64 s7, v66, v54
	s_or_b32 s7, s7, s8
	s_delay_alu instid0(SALU_CYCLE_1)
	s_and_saveexec_b32 s8, s7
	s_cbranch_execz .LBB481_254
; %bb.253:
	v_sub_f32_e32 v55, v66, v54
	s_delay_alu instid0(VALU_DEP_1) | instskip(SKIP_1) | instid1(VALU_DEP_2)
	v_mul_f32_e32 v66, 0x3fb8aa3b, v55
	v_cmp_ngt_f32_e64 s7, 0xc2ce8ed0, v55
	v_fma_f32 v67, 0x3fb8aa3b, v55, -v66
	v_rndne_f32_e32 v68, v66
	s_delay_alu instid0(VALU_DEP_1) | instskip(NEXT) | instid1(VALU_DEP_1)
	v_dual_fmamk_f32 v67, v55, 0x32a5705f, v67 :: v_dual_sub_f32 v66, v66, v68
	v_add_f32_e32 v66, v66, v67
	v_cvt_i32_f32_e32 v67, v68
	s_delay_alu instid0(VALU_DEP_2) | instskip(SKIP_2) | instid1(VALU_DEP_1)
	v_exp_f32_e32 v66, v66
	s_waitcnt_depctr 0xfff
	v_ldexp_f32 v66, v66, v67
	v_cndmask_b32_e64 v66, 0, v66, s7
	v_cmp_nlt_f32_e64 s7, 0x42b17218, v55
	s_delay_alu instid0(VALU_DEP_1) | instskip(NEXT) | instid1(VALU_DEP_1)
	v_cndmask_b32_e64 v55, 0x7f800000, v66, s7
	v_add_f32_e32 v68, 1.0, v55
	v_cmp_gt_f32_e64 s9, 0x33800000, |v55|
	s_delay_alu instid0(VALU_DEP_2) | instskip(NEXT) | instid1(VALU_DEP_1)
	v_cvt_f64_f32_e32 v[66:67], v68
	v_frexp_exp_i32_f64_e32 v66, v[66:67]
	v_frexp_mant_f32_e32 v67, v68
	s_delay_alu instid0(VALU_DEP_1) | instskip(SKIP_1) | instid1(VALU_DEP_1)
	v_cmp_gt_f32_e64 s7, 0x3f2aaaab, v67
	v_add_f32_e32 v67, -1.0, v68
	v_sub_f32_e32 v70, v67, v68
	s_delay_alu instid0(VALU_DEP_1) | instskip(NEXT) | instid1(VALU_DEP_1)
	v_dual_sub_f32 v67, v55, v67 :: v_dual_add_f32 v70, 1.0, v70
	v_add_f32_e32 v67, v67, v70
	v_subrev_co_ci_u32_e64 v66, s7, 0, v66, s7
	s_mov_b32 s7, 0x3e9b6dac
	s_delay_alu instid0(VALU_DEP_1) | instskip(SKIP_1) | instid1(VALU_DEP_2)
	v_sub_nc_u32_e32 v69, 0, v66
	v_cvt_f32_i32_e32 v66, v66
	v_ldexp_f32 v68, v68, v69
	v_ldexp_f32 v67, v67, v69
	s_delay_alu instid0(VALU_DEP_2) | instskip(NEXT) | instid1(VALU_DEP_1)
	v_add_f32_e32 v71, 1.0, v68
	v_dual_add_f32 v69, -1.0, v68 :: v_dual_add_f32 v70, -1.0, v71
	s_delay_alu instid0(VALU_DEP_1) | instskip(NEXT) | instid1(VALU_DEP_2)
	v_add_f32_e32 v80, 1.0, v69
	v_sub_f32_e32 v70, v68, v70
	s_delay_alu instid0(VALU_DEP_2) | instskip(NEXT) | instid1(VALU_DEP_2)
	v_sub_f32_e32 v68, v68, v80
	v_add_f32_e32 v70, v67, v70
	s_delay_alu instid0(VALU_DEP_2) | instskip(NEXT) | instid1(VALU_DEP_1)
	v_add_f32_e32 v67, v67, v68
	v_dual_add_f32 v81, v69, v67 :: v_dual_add_f32 v80, v71, v70
	s_delay_alu instid0(VALU_DEP_1) | instskip(NEXT) | instid1(VALU_DEP_2)
	v_sub_f32_e32 v69, v69, v81
	v_rcp_f32_e32 v68, v80
	v_sub_f32_e32 v71, v71, v80
	s_delay_alu instid0(VALU_DEP_1) | instskip(SKIP_2) | instid1(VALU_DEP_1)
	v_dual_add_f32 v67, v67, v69 :: v_dual_add_f32 v70, v70, v71
	s_waitcnt_depctr 0xfff
	v_mul_f32_e32 v82, v81, v68
	v_mul_f32_e32 v83, v80, v82
	s_delay_alu instid0(VALU_DEP_1) | instskip(NEXT) | instid1(VALU_DEP_1)
	v_fma_f32 v71, v82, v80, -v83
	v_fmac_f32_e32 v71, v82, v70
	s_delay_alu instid0(VALU_DEP_1) | instskip(NEXT) | instid1(VALU_DEP_1)
	v_add_f32_e32 v84, v83, v71
	v_sub_f32_e32 v85, v81, v84
	s_delay_alu instid0(VALU_DEP_1) | instskip(SKIP_1) | instid1(VALU_DEP_2)
	v_sub_f32_e32 v81, v81, v85
	v_sub_f32_e32 v69, v84, v83
	;; [unrolled: 1-line block ×3, first 2 shown]
	s_delay_alu instid0(VALU_DEP_2) | instskip(NEXT) | instid1(VALU_DEP_2)
	v_sub_f32_e32 v69, v69, v71
	v_add_f32_e32 v67, v67, v81
	s_delay_alu instid0(VALU_DEP_1) | instskip(NEXT) | instid1(VALU_DEP_1)
	v_add_f32_e32 v67, v69, v67
	v_add_f32_e32 v69, v85, v67
	s_delay_alu instid0(VALU_DEP_1) | instskip(NEXT) | instid1(VALU_DEP_1)
	v_mul_f32_e32 v71, v68, v69
	v_dual_sub_f32 v84, v85, v69 :: v_dual_mul_f32 v81, v80, v71
	s_delay_alu instid0(VALU_DEP_1) | instskip(NEXT) | instid1(VALU_DEP_2)
	v_add_f32_e32 v67, v67, v84
	v_fma_f32 v80, v71, v80, -v81
	s_delay_alu instid0(VALU_DEP_1) | instskip(NEXT) | instid1(VALU_DEP_1)
	v_fmac_f32_e32 v80, v71, v70
	v_add_f32_e32 v70, v81, v80
	s_delay_alu instid0(VALU_DEP_1) | instskip(SKIP_1) | instid1(VALU_DEP_2)
	v_sub_f32_e32 v83, v69, v70
	v_sub_f32_e32 v81, v70, v81
	;; [unrolled: 1-line block ×3, first 2 shown]
	s_delay_alu instid0(VALU_DEP_1) | instskip(NEXT) | instid1(VALU_DEP_1)
	v_sub_f32_e32 v69, v69, v70
	v_dual_sub_f32 v70, v81, v80 :: v_dual_add_f32 v67, v67, v69
	v_add_f32_e32 v69, v82, v71
	s_delay_alu instid0(VALU_DEP_1) | instskip(NEXT) | instid1(VALU_DEP_1)
	v_dual_add_f32 v67, v70, v67 :: v_dual_sub_f32 v70, v69, v82
	v_add_f32_e32 v67, v83, v67
	s_delay_alu instid0(VALU_DEP_1) | instskip(NEXT) | instid1(VALU_DEP_1)
	v_dual_sub_f32 v70, v71, v70 :: v_dual_mul_f32 v67, v68, v67
	v_add_f32_e32 v67, v70, v67
	s_delay_alu instid0(VALU_DEP_1) | instskip(NEXT) | instid1(VALU_DEP_1)
	v_add_f32_e32 v68, v69, v67
	v_mul_f32_e32 v70, v68, v68
	s_delay_alu instid0(VALU_DEP_1) | instskip(SKIP_2) | instid1(VALU_DEP_3)
	v_fmaak_f32 v71, s7, v70, 0x3ecc95a3
	v_mul_f32_e32 v80, v68, v70
	v_cmp_eq_f32_e64 s7, 0x7f800000, v55
	v_fmaak_f32 v70, v70, v71, 0x3f2aaada
	v_ldexp_f32 v71, v68, 1
	v_sub_f32_e32 v68, v68, v69
	s_delay_alu instid0(VALU_DEP_4) | instskip(NEXT) | instid1(VALU_DEP_3)
	s_or_b32 s7, s7, s9
	v_mul_f32_e32 v70, v80, v70
	s_delay_alu instid0(VALU_DEP_2) | instskip(NEXT) | instid1(VALU_DEP_2)
	v_dual_mul_f32 v80, 0x3f317218, v66 :: v_dual_sub_f32 v67, v67, v68
	v_add_f32_e32 v69, v71, v70
	s_delay_alu instid0(VALU_DEP_2) | instskip(NEXT) | instid1(VALU_DEP_2)
	v_ldexp_f32 v67, v67, 1
	v_sub_f32_e32 v68, v69, v71
	s_delay_alu instid0(VALU_DEP_4) | instskip(NEXT) | instid1(VALU_DEP_2)
	v_fma_f32 v71, 0x3f317218, v66, -v80
	v_sub_f32_e32 v68, v70, v68
	s_delay_alu instid0(VALU_DEP_1) | instskip(NEXT) | instid1(VALU_DEP_1)
	v_dual_fmamk_f32 v66, v66, 0xb102e308, v71 :: v_dual_add_f32 v67, v67, v68
	v_add_f32_e32 v68, v80, v66
	s_delay_alu instid0(VALU_DEP_1) | instskip(NEXT) | instid1(VALU_DEP_1)
	v_sub_f32_e32 v80, v68, v80
	v_sub_f32_e32 v66, v66, v80
	s_delay_alu instid0(VALU_DEP_4) | instskip(NEXT) | instid1(VALU_DEP_1)
	v_add_f32_e32 v70, v69, v67
	v_sub_f32_e32 v69, v70, v69
	s_delay_alu instid0(VALU_DEP_1) | instskip(SKIP_1) | instid1(VALU_DEP_1)
	v_sub_f32_e32 v67, v67, v69
	v_add_f32_e32 v71, v68, v70
	v_sub_f32_e32 v81, v71, v68
	s_delay_alu instid0(VALU_DEP_1) | instskip(NEXT) | instid1(VALU_DEP_4)
	v_sub_f32_e32 v69, v70, v81
	v_add_f32_e32 v70, v66, v67
	v_sub_f32_e32 v82, v71, v81
	s_delay_alu instid0(VALU_DEP_1) | instskip(NEXT) | instid1(VALU_DEP_1)
	v_sub_f32_e32 v68, v68, v82
	v_dual_add_f32 v68, v69, v68 :: v_dual_sub_f32 v69, v70, v66
	s_delay_alu instid0(VALU_DEP_1) | instskip(SKIP_1) | instid1(VALU_DEP_2)
	v_dual_add_f32 v68, v70, v68 :: v_dual_sub_f32 v67, v67, v69
	v_sub_f32_e32 v70, v70, v69
	v_add_f32_e32 v80, v71, v68
	s_delay_alu instid0(VALU_DEP_1) | instskip(NEXT) | instid1(VALU_DEP_1)
	v_dual_sub_f32 v66, v66, v70 :: v_dual_sub_f32 v69, v80, v71
	v_dual_add_f32 v66, v67, v66 :: v_dual_sub_f32 v67, v68, v69
	s_delay_alu instid0(VALU_DEP_1) | instskip(NEXT) | instid1(VALU_DEP_1)
	v_add_f32_e32 v66, v66, v67
	v_add_f32_e32 v66, v80, v66
	s_delay_alu instid0(VALU_DEP_1) | instskip(NEXT) | instid1(VALU_DEP_1)
	v_cndmask_b32_e64 v55, v66, v55, s7
	v_add_f32_e32 v55, v54, v55
.LBB481_254:
	s_or_b32 exec_lo, exec_lo, s8
	s_delay_alu instid0(VALU_DEP_1) | instskip(SKIP_2) | instid1(VALU_DEP_3)
	v_bfe_u32 v54, v55, 16, 1
	v_cmp_o_f32_e64 s7, v55, v55
	v_lshlrev_b32_e32 v51, 16, v51
	v_add3_u32 v54, v55, v54, 0x7fff
	s_delay_alu instid0(VALU_DEP_1) | instskip(NEXT) | instid1(VALU_DEP_1)
	v_and_b32_e32 v54, 0xffff0000, v54
	v_cndmask_b32_e64 v66, 0x7fc00000, v54, s7
	s_delay_alu instid0(VALU_DEP_1) | instskip(SKIP_1) | instid1(VALU_DEP_2)
	v_dual_max_f32 v54, v51, v51 :: v_dual_max_f32 v55, v66, v66
	v_cmp_u_f32_e64 s7, v66, v66
	v_min_f32_e32 v67, v55, v54
	v_max_f32_e32 v55, v55, v54
	s_delay_alu instid0(VALU_DEP_2) | instskip(NEXT) | instid1(VALU_DEP_2)
	v_cndmask_b32_e64 v67, v67, v66, s7
	v_cndmask_b32_e64 v55, v55, v66, s7
	v_cmp_u_f32_e64 s7, v51, v51
	s_delay_alu instid0(VALU_DEP_1) | instskip(NEXT) | instid1(VALU_DEP_3)
	v_cndmask_b32_e64 v67, v67, v51, s7
	v_cndmask_b32_e64 v55, v55, v51, s7
	s_delay_alu instid0(VALU_DEP_2) | instskip(NEXT) | instid1(VALU_DEP_2)
	v_cmp_class_f32_e64 s9, v67, 0x1f8
	v_cmp_neq_f32_e64 s8, v67, v55
	s_delay_alu instid0(VALU_DEP_1) | instskip(NEXT) | instid1(SALU_CYCLE_1)
	s_or_b32 s8, s8, s9
	s_and_saveexec_b32 s9, s8
	s_cbranch_execz .LBB481_256
; %bb.255:
	v_sub_f32_e32 v66, v67, v55
	s_delay_alu instid0(VALU_DEP_1) | instskip(SKIP_1) | instid1(VALU_DEP_2)
	v_mul_f32_e32 v67, 0x3fb8aa3b, v66
	v_cmp_ngt_f32_e64 s8, 0xc2ce8ed0, v66
	v_fma_f32 v68, 0x3fb8aa3b, v66, -v67
	v_rndne_f32_e32 v69, v67
	s_delay_alu instid0(VALU_DEP_1) | instskip(NEXT) | instid1(VALU_DEP_1)
	v_dual_fmamk_f32 v68, v66, 0x32a5705f, v68 :: v_dual_sub_f32 v67, v67, v69
	v_add_f32_e32 v67, v67, v68
	v_cvt_i32_f32_e32 v68, v69
	s_delay_alu instid0(VALU_DEP_2) | instskip(SKIP_2) | instid1(VALU_DEP_1)
	v_exp_f32_e32 v67, v67
	s_waitcnt_depctr 0xfff
	v_ldexp_f32 v67, v67, v68
	v_cndmask_b32_e64 v67, 0, v67, s8
	v_cmp_nlt_f32_e64 s8, 0x42b17218, v66
	s_delay_alu instid0(VALU_DEP_1) | instskip(NEXT) | instid1(VALU_DEP_1)
	v_cndmask_b32_e64 v68, 0x7f800000, v67, s8
	v_add_f32_e32 v69, 1.0, v68
	v_cmp_gt_f32_e64 s10, 0x33800000, |v68|
	s_delay_alu instid0(VALU_DEP_2) | instskip(NEXT) | instid1(VALU_DEP_1)
	v_cvt_f64_f32_e32 v[66:67], v69
	v_frexp_exp_i32_f64_e32 v66, v[66:67]
	v_frexp_mant_f32_e32 v67, v69
	s_delay_alu instid0(VALU_DEP_1) | instskip(SKIP_1) | instid1(VALU_DEP_1)
	v_cmp_gt_f32_e64 s8, 0x3f2aaaab, v67
	v_add_f32_e32 v67, -1.0, v69
	v_sub_f32_e32 v71, v67, v69
	v_sub_f32_e32 v67, v68, v67
	s_delay_alu instid0(VALU_DEP_4) | instskip(SKIP_1) | instid1(VALU_DEP_1)
	v_subrev_co_ci_u32_e64 v66, s8, 0, v66, s8
	s_mov_b32 s8, 0x3e9b6dac
	v_sub_nc_u32_e32 v70, 0, v66
	v_cvt_f32_i32_e32 v66, v66
	s_delay_alu instid0(VALU_DEP_2) | instskip(NEXT) | instid1(VALU_DEP_1)
	v_ldexp_f32 v69, v69, v70
	v_dual_add_f32 v80, 1.0, v69 :: v_dual_add_f32 v71, 1.0, v71
	s_delay_alu instid0(VALU_DEP_1) | instskip(NEXT) | instid1(VALU_DEP_2)
	v_add_f32_e32 v67, v67, v71
	v_add_f32_e32 v71, -1.0, v80
	s_delay_alu instid0(VALU_DEP_2) | instskip(NEXT) | instid1(VALU_DEP_2)
	v_ldexp_f32 v67, v67, v70
	v_dual_add_f32 v70, -1.0, v69 :: v_dual_sub_f32 v71, v69, v71
	s_delay_alu instid0(VALU_DEP_1) | instskip(NEXT) | instid1(VALU_DEP_2)
	v_add_f32_e32 v81, 1.0, v70
	v_add_f32_e32 v71, v67, v71
	s_delay_alu instid0(VALU_DEP_2) | instskip(NEXT) | instid1(VALU_DEP_2)
	v_sub_f32_e32 v69, v69, v81
	v_add_f32_e32 v81, v80, v71
	s_delay_alu instid0(VALU_DEP_2) | instskip(NEXT) | instid1(VALU_DEP_2)
	v_add_f32_e32 v67, v67, v69
	v_rcp_f32_e32 v69, v81
	v_sub_f32_e32 v80, v80, v81
	s_delay_alu instid0(VALU_DEP_1) | instskip(NEXT) | instid1(VALU_DEP_1)
	v_dual_add_f32 v82, v70, v67 :: v_dual_add_f32 v71, v71, v80
	v_sub_f32_e32 v70, v70, v82
	s_waitcnt_depctr 0xfff
	v_mul_f32_e32 v83, v82, v69
	s_delay_alu instid0(VALU_DEP_1) | instskip(NEXT) | instid1(VALU_DEP_1)
	v_dual_add_f32 v67, v67, v70 :: v_dual_mul_f32 v84, v81, v83
	v_fma_f32 v80, v83, v81, -v84
	s_delay_alu instid0(VALU_DEP_1) | instskip(NEXT) | instid1(VALU_DEP_1)
	v_fmac_f32_e32 v80, v83, v71
	v_add_f32_e32 v85, v84, v80
	s_delay_alu instid0(VALU_DEP_1) | instskip(SKIP_1) | instid1(VALU_DEP_2)
	v_sub_f32_e32 v86, v82, v85
	v_sub_f32_e32 v70, v85, v84
	;; [unrolled: 1-line block ×3, first 2 shown]
	s_delay_alu instid0(VALU_DEP_2) | instskip(NEXT) | instid1(VALU_DEP_2)
	v_sub_f32_e32 v70, v70, v80
	v_sub_f32_e32 v82, v82, v85
	s_delay_alu instid0(VALU_DEP_1) | instskip(NEXT) | instid1(VALU_DEP_1)
	v_add_f32_e32 v67, v67, v82
	v_add_f32_e32 v67, v70, v67
	s_delay_alu instid0(VALU_DEP_1) | instskip(NEXT) | instid1(VALU_DEP_1)
	v_add_f32_e32 v70, v86, v67
	v_mul_f32_e32 v80, v69, v70
	s_delay_alu instid0(VALU_DEP_1) | instskip(NEXT) | instid1(VALU_DEP_1)
	v_dual_sub_f32 v85, v86, v70 :: v_dual_mul_f32 v82, v81, v80
	v_add_f32_e32 v67, v67, v85
	s_delay_alu instid0(VALU_DEP_2) | instskip(NEXT) | instid1(VALU_DEP_1)
	v_fma_f32 v81, v80, v81, -v82
	v_fmac_f32_e32 v81, v80, v71
	s_delay_alu instid0(VALU_DEP_1) | instskip(NEXT) | instid1(VALU_DEP_1)
	v_add_f32_e32 v71, v82, v81
	v_sub_f32_e32 v84, v70, v71
	v_sub_f32_e32 v82, v71, v82
	s_delay_alu instid0(VALU_DEP_2) | instskip(NEXT) | instid1(VALU_DEP_1)
	v_sub_f32_e32 v70, v70, v84
	v_sub_f32_e32 v70, v70, v71
	s_delay_alu instid0(VALU_DEP_3) | instskip(NEXT) | instid1(VALU_DEP_2)
	v_sub_f32_e32 v71, v82, v81
	v_add_f32_e32 v67, v67, v70
	v_add_f32_e32 v70, v83, v80
	s_delay_alu instid0(VALU_DEP_2) | instskip(NEXT) | instid1(VALU_DEP_2)
	v_add_f32_e32 v67, v71, v67
	v_sub_f32_e32 v71, v70, v83
	s_delay_alu instid0(VALU_DEP_2) | instskip(NEXT) | instid1(VALU_DEP_2)
	v_add_f32_e32 v67, v84, v67
	v_sub_f32_e32 v71, v80, v71
	s_delay_alu instid0(VALU_DEP_2) | instskip(NEXT) | instid1(VALU_DEP_1)
	v_mul_f32_e32 v67, v69, v67
	v_add_f32_e32 v67, v71, v67
	s_delay_alu instid0(VALU_DEP_1) | instskip(NEXT) | instid1(VALU_DEP_1)
	v_add_f32_e32 v69, v70, v67
	v_mul_f32_e32 v71, v69, v69
	s_delay_alu instid0(VALU_DEP_1) | instskip(SKIP_2) | instid1(VALU_DEP_3)
	v_fmaak_f32 v80, s8, v71, 0x3ecc95a3
	v_mul_f32_e32 v81, v69, v71
	v_cmp_eq_f32_e64 s8, 0x7f800000, v68
	v_fmaak_f32 v71, v71, v80, 0x3f2aaada
	v_ldexp_f32 v80, v69, 1
	v_sub_f32_e32 v69, v69, v70
	s_delay_alu instid0(VALU_DEP_4) | instskip(NEXT) | instid1(VALU_DEP_3)
	s_or_b32 s8, s8, s10
	v_mul_f32_e32 v71, v81, v71
	v_mul_f32_e32 v81, 0x3f317218, v66
	s_delay_alu instid0(VALU_DEP_2) | instskip(NEXT) | instid1(VALU_DEP_1)
	v_dual_sub_f32 v67, v67, v69 :: v_dual_add_f32 v70, v80, v71
	v_ldexp_f32 v67, v67, 1
	s_delay_alu instid0(VALU_DEP_2) | instskip(NEXT) | instid1(VALU_DEP_4)
	v_sub_f32_e32 v69, v70, v80
	v_fma_f32 v80, 0x3f317218, v66, -v81
	s_delay_alu instid0(VALU_DEP_1) | instskip(NEXT) | instid1(VALU_DEP_1)
	v_dual_sub_f32 v69, v71, v69 :: v_dual_fmamk_f32 v66, v66, 0xb102e308, v80
	v_add_f32_e32 v67, v67, v69
	s_delay_alu instid0(VALU_DEP_2) | instskip(NEXT) | instid1(VALU_DEP_2)
	v_add_f32_e32 v69, v81, v66
	v_add_f32_e32 v71, v70, v67
	s_delay_alu instid0(VALU_DEP_2) | instskip(NEXT) | instid1(VALU_DEP_2)
	v_sub_f32_e32 v81, v69, v81
	v_add_f32_e32 v80, v69, v71
	v_sub_f32_e32 v70, v71, v70
	s_delay_alu instid0(VALU_DEP_3) | instskip(NEXT) | instid1(VALU_DEP_2)
	v_sub_f32_e32 v66, v66, v81
	v_dual_sub_f32 v82, v80, v69 :: v_dual_sub_f32 v67, v67, v70
	s_delay_alu instid0(VALU_DEP_1) | instskip(NEXT) | instid1(VALU_DEP_2)
	v_sub_f32_e32 v83, v80, v82
	v_dual_sub_f32 v70, v71, v82 :: v_dual_add_f32 v71, v66, v67
	s_delay_alu instid0(VALU_DEP_2) | instskip(NEXT) | instid1(VALU_DEP_1)
	v_sub_f32_e32 v69, v69, v83
	v_dual_add_f32 v69, v70, v69 :: v_dual_sub_f32 v70, v71, v66
	s_delay_alu instid0(VALU_DEP_1) | instskip(NEXT) | instid1(VALU_DEP_2)
	v_add_f32_e32 v69, v71, v69
	v_sub_f32_e32 v71, v71, v70
	v_sub_f32_e32 v67, v67, v70
	s_delay_alu instid0(VALU_DEP_2) | instskip(NEXT) | instid1(VALU_DEP_1)
	v_dual_add_f32 v81, v80, v69 :: v_dual_sub_f32 v66, v66, v71
	v_sub_f32_e32 v70, v81, v80
	s_delay_alu instid0(VALU_DEP_2) | instskip(NEXT) | instid1(VALU_DEP_2)
	v_add_f32_e32 v66, v67, v66
	v_sub_f32_e32 v67, v69, v70
	s_delay_alu instid0(VALU_DEP_1) | instskip(NEXT) | instid1(VALU_DEP_1)
	v_add_f32_e32 v66, v66, v67
	v_add_f32_e32 v66, v81, v66
	s_delay_alu instid0(VALU_DEP_1) | instskip(NEXT) | instid1(VALU_DEP_1)
	v_cndmask_b32_e64 v66, v66, v68, s8
	v_add_f32_e32 v66, v55, v66
.LBB481_256:
	s_or_b32 exec_lo, exec_lo, s9
	s_delay_alu instid0(VALU_DEP_1) | instskip(SKIP_2) | instid1(VALU_DEP_3)
	v_bfe_u32 v55, v66, 16, 1
	v_cmp_o_f32_e64 s8, v66, v66
	v_lshlrev_b32_e32 v50, 16, v50
	v_add3_u32 v55, v66, v55, 0x7fff
	s_delay_alu instid0(VALU_DEP_1) | instskip(NEXT) | instid1(VALU_DEP_1)
	v_and_b32_e32 v55, 0xffff0000, v55
	v_cndmask_b32_e64 v67, 0x7fc00000, v55, s8
	s_delay_alu instid0(VALU_DEP_1) | instskip(SKIP_1) | instid1(VALU_DEP_2)
	v_dual_max_f32 v55, v50, v50 :: v_dual_max_f32 v66, v67, v67
	v_cmp_u_f32_e64 s8, v67, v67
	v_min_f32_e32 v68, v66, v55
	v_max_f32_e32 v66, v66, v55
	s_delay_alu instid0(VALU_DEP_2) | instskip(NEXT) | instid1(VALU_DEP_2)
	v_cndmask_b32_e64 v68, v68, v67, s8
	v_cndmask_b32_e64 v66, v66, v67, s8
	v_cmp_u_f32_e64 s8, v50, v50
	s_delay_alu instid0(VALU_DEP_1) | instskip(NEXT) | instid1(VALU_DEP_3)
	v_cndmask_b32_e64 v68, v68, v50, s8
	v_cndmask_b32_e64 v66, v66, v50, s8
	s_delay_alu instid0(VALU_DEP_2) | instskip(NEXT) | instid1(VALU_DEP_2)
	v_cmp_class_f32_e64 s10, v68, 0x1f8
	v_cmp_neq_f32_e64 s9, v68, v66
	s_delay_alu instid0(VALU_DEP_1) | instskip(NEXT) | instid1(SALU_CYCLE_1)
	s_or_b32 s9, s9, s10
	s_and_saveexec_b32 s10, s9
	s_cbranch_execz .LBB481_258
; %bb.257:
	v_sub_f32_e32 v67, v68, v66
	s_delay_alu instid0(VALU_DEP_1) | instskip(SKIP_1) | instid1(VALU_DEP_2)
	v_mul_f32_e32 v68, 0x3fb8aa3b, v67
	v_cmp_ngt_f32_e64 s9, 0xc2ce8ed0, v67
	v_fma_f32 v69, 0x3fb8aa3b, v67, -v68
	v_rndne_f32_e32 v70, v68
	s_delay_alu instid0(VALU_DEP_1) | instskip(NEXT) | instid1(VALU_DEP_1)
	v_dual_fmamk_f32 v69, v67, 0x32a5705f, v69 :: v_dual_sub_f32 v68, v68, v70
	v_add_f32_e32 v68, v68, v69
	v_cvt_i32_f32_e32 v69, v70
	s_delay_alu instid0(VALU_DEP_2) | instskip(SKIP_2) | instid1(VALU_DEP_1)
	v_exp_f32_e32 v68, v68
	s_waitcnt_depctr 0xfff
	v_ldexp_f32 v68, v68, v69
	v_cndmask_b32_e64 v68, 0, v68, s9
	v_cmp_nlt_f32_e64 s9, 0x42b17218, v67
	s_delay_alu instid0(VALU_DEP_1) | instskip(NEXT) | instid1(VALU_DEP_1)
	v_cndmask_b32_e64 v69, 0x7f800000, v68, s9
	v_add_f32_e32 v70, 1.0, v69
	v_cmp_gt_f32_e64 s11, 0x33800000, |v69|
	s_delay_alu instid0(VALU_DEP_2) | instskip(NEXT) | instid1(VALU_DEP_1)
	v_cvt_f64_f32_e32 v[67:68], v70
	v_frexp_exp_i32_f64_e32 v67, v[67:68]
	v_frexp_mant_f32_e32 v68, v70
	s_delay_alu instid0(VALU_DEP_1) | instskip(SKIP_1) | instid1(VALU_DEP_1)
	v_cmp_gt_f32_e64 s9, 0x3f2aaaab, v68
	v_add_f32_e32 v68, -1.0, v70
	v_sub_f32_e32 v80, v68, v70
	v_sub_f32_e32 v68, v69, v68
	s_delay_alu instid0(VALU_DEP_4) | instskip(SKIP_1) | instid1(VALU_DEP_1)
	v_subrev_co_ci_u32_e64 v67, s9, 0, v67, s9
	s_mov_b32 s9, 0x3e9b6dac
	v_sub_nc_u32_e32 v71, 0, v67
	v_cvt_f32_i32_e32 v67, v67
	s_delay_alu instid0(VALU_DEP_2) | instskip(NEXT) | instid1(VALU_DEP_1)
	v_ldexp_f32 v70, v70, v71
	v_dual_add_f32 v81, 1.0, v70 :: v_dual_add_f32 v80, 1.0, v80
	s_delay_alu instid0(VALU_DEP_1) | instskip(NEXT) | instid1(VALU_DEP_2)
	v_add_f32_e32 v68, v68, v80
	v_add_f32_e32 v80, -1.0, v81
	s_delay_alu instid0(VALU_DEP_2) | instskip(NEXT) | instid1(VALU_DEP_2)
	v_ldexp_f32 v68, v68, v71
	v_dual_add_f32 v71, -1.0, v70 :: v_dual_sub_f32 v80, v70, v80
	s_delay_alu instid0(VALU_DEP_1) | instskip(NEXT) | instid1(VALU_DEP_2)
	v_add_f32_e32 v82, 1.0, v71
	v_add_f32_e32 v80, v68, v80
	s_delay_alu instid0(VALU_DEP_2) | instskip(NEXT) | instid1(VALU_DEP_2)
	v_sub_f32_e32 v70, v70, v82
	v_add_f32_e32 v82, v81, v80
	s_delay_alu instid0(VALU_DEP_2) | instskip(NEXT) | instid1(VALU_DEP_2)
	v_add_f32_e32 v68, v68, v70
	v_rcp_f32_e32 v70, v82
	v_sub_f32_e32 v81, v81, v82
	s_delay_alu instid0(VALU_DEP_1) | instskip(NEXT) | instid1(VALU_DEP_1)
	v_dual_add_f32 v83, v71, v68 :: v_dual_add_f32 v80, v80, v81
	v_sub_f32_e32 v71, v71, v83
	s_waitcnt_depctr 0xfff
	v_mul_f32_e32 v84, v83, v70
	s_delay_alu instid0(VALU_DEP_1) | instskip(NEXT) | instid1(VALU_DEP_1)
	v_dual_add_f32 v68, v68, v71 :: v_dual_mul_f32 v85, v82, v84
	v_fma_f32 v81, v84, v82, -v85
	s_delay_alu instid0(VALU_DEP_1) | instskip(NEXT) | instid1(VALU_DEP_1)
	v_fmac_f32_e32 v81, v84, v80
	v_add_f32_e32 v86, v85, v81
	s_delay_alu instid0(VALU_DEP_1) | instskip(SKIP_1) | instid1(VALU_DEP_2)
	v_sub_f32_e32 v87, v83, v86
	v_sub_f32_e32 v71, v86, v85
	v_sub_f32_e32 v83, v83, v87
	s_delay_alu instid0(VALU_DEP_2) | instskip(NEXT) | instid1(VALU_DEP_2)
	v_sub_f32_e32 v71, v71, v81
	v_sub_f32_e32 v83, v83, v86
	s_delay_alu instid0(VALU_DEP_1) | instskip(NEXT) | instid1(VALU_DEP_1)
	v_add_f32_e32 v68, v68, v83
	v_add_f32_e32 v68, v71, v68
	s_delay_alu instid0(VALU_DEP_1) | instskip(NEXT) | instid1(VALU_DEP_1)
	v_add_f32_e32 v71, v87, v68
	v_mul_f32_e32 v81, v70, v71
	s_delay_alu instid0(VALU_DEP_1) | instskip(NEXT) | instid1(VALU_DEP_1)
	v_dual_sub_f32 v86, v87, v71 :: v_dual_mul_f32 v83, v82, v81
	v_add_f32_e32 v68, v68, v86
	s_delay_alu instid0(VALU_DEP_2) | instskip(NEXT) | instid1(VALU_DEP_1)
	v_fma_f32 v82, v81, v82, -v83
	v_fmac_f32_e32 v82, v81, v80
	s_delay_alu instid0(VALU_DEP_1) | instskip(NEXT) | instid1(VALU_DEP_1)
	v_add_f32_e32 v80, v83, v82
	v_sub_f32_e32 v85, v71, v80
	v_sub_f32_e32 v83, v80, v83
	s_delay_alu instid0(VALU_DEP_2) | instskip(NEXT) | instid1(VALU_DEP_1)
	v_sub_f32_e32 v71, v71, v85
	v_sub_f32_e32 v71, v71, v80
	s_delay_alu instid0(VALU_DEP_3) | instskip(NEXT) | instid1(VALU_DEP_2)
	v_sub_f32_e32 v80, v83, v82
	v_add_f32_e32 v68, v68, v71
	v_add_f32_e32 v71, v84, v81
	s_delay_alu instid0(VALU_DEP_2) | instskip(NEXT) | instid1(VALU_DEP_2)
	v_add_f32_e32 v68, v80, v68
	v_sub_f32_e32 v80, v71, v84
	s_delay_alu instid0(VALU_DEP_2) | instskip(NEXT) | instid1(VALU_DEP_2)
	v_add_f32_e32 v68, v85, v68
	v_sub_f32_e32 v80, v81, v80
	s_delay_alu instid0(VALU_DEP_2) | instskip(NEXT) | instid1(VALU_DEP_1)
	v_mul_f32_e32 v68, v70, v68
	v_add_f32_e32 v68, v80, v68
	s_delay_alu instid0(VALU_DEP_1) | instskip(NEXT) | instid1(VALU_DEP_1)
	v_add_f32_e32 v70, v71, v68
	v_mul_f32_e32 v80, v70, v70
	s_delay_alu instid0(VALU_DEP_1) | instskip(SKIP_2) | instid1(VALU_DEP_3)
	v_fmaak_f32 v81, s9, v80, 0x3ecc95a3
	v_mul_f32_e32 v82, v70, v80
	v_cmp_eq_f32_e64 s9, 0x7f800000, v69
	v_fmaak_f32 v80, v80, v81, 0x3f2aaada
	v_ldexp_f32 v81, v70, 1
	v_sub_f32_e32 v70, v70, v71
	s_delay_alu instid0(VALU_DEP_4) | instskip(NEXT) | instid1(VALU_DEP_3)
	s_or_b32 s9, s9, s11
	v_mul_f32_e32 v80, v82, v80
	v_mul_f32_e32 v82, 0x3f317218, v67
	s_delay_alu instid0(VALU_DEP_2) | instskip(NEXT) | instid1(VALU_DEP_1)
	v_dual_sub_f32 v68, v68, v70 :: v_dual_add_f32 v71, v81, v80
	v_ldexp_f32 v68, v68, 1
	s_delay_alu instid0(VALU_DEP_2) | instskip(NEXT) | instid1(VALU_DEP_4)
	v_sub_f32_e32 v70, v71, v81
	v_fma_f32 v81, 0x3f317218, v67, -v82
	s_delay_alu instid0(VALU_DEP_1) | instskip(NEXT) | instid1(VALU_DEP_1)
	v_dual_sub_f32 v70, v80, v70 :: v_dual_fmamk_f32 v67, v67, 0xb102e308, v81
	v_add_f32_e32 v68, v68, v70
	s_delay_alu instid0(VALU_DEP_2) | instskip(NEXT) | instid1(VALU_DEP_2)
	v_add_f32_e32 v70, v82, v67
	v_add_f32_e32 v80, v71, v68
	s_delay_alu instid0(VALU_DEP_2) | instskip(NEXT) | instid1(VALU_DEP_2)
	v_sub_f32_e32 v82, v70, v82
	v_add_f32_e32 v81, v70, v80
	v_sub_f32_e32 v71, v80, v71
	s_delay_alu instid0(VALU_DEP_3) | instskip(NEXT) | instid1(VALU_DEP_2)
	v_sub_f32_e32 v67, v67, v82
	v_dual_sub_f32 v83, v81, v70 :: v_dual_sub_f32 v68, v68, v71
	s_delay_alu instid0(VALU_DEP_1) | instskip(NEXT) | instid1(VALU_DEP_2)
	v_sub_f32_e32 v84, v81, v83
	v_dual_sub_f32 v71, v80, v83 :: v_dual_add_f32 v80, v67, v68
	s_delay_alu instid0(VALU_DEP_2) | instskip(NEXT) | instid1(VALU_DEP_1)
	v_sub_f32_e32 v70, v70, v84
	v_dual_add_f32 v70, v71, v70 :: v_dual_sub_f32 v71, v80, v67
	s_delay_alu instid0(VALU_DEP_1) | instskip(NEXT) | instid1(VALU_DEP_2)
	v_add_f32_e32 v70, v80, v70
	v_sub_f32_e32 v80, v80, v71
	v_sub_f32_e32 v68, v68, v71
	s_delay_alu instid0(VALU_DEP_2) | instskip(NEXT) | instid1(VALU_DEP_1)
	v_dual_add_f32 v82, v81, v70 :: v_dual_sub_f32 v67, v67, v80
	v_sub_f32_e32 v71, v82, v81
	s_delay_alu instid0(VALU_DEP_2) | instskip(NEXT) | instid1(VALU_DEP_2)
	v_add_f32_e32 v67, v68, v67
	v_sub_f32_e32 v68, v70, v71
	s_delay_alu instid0(VALU_DEP_1) | instskip(NEXT) | instid1(VALU_DEP_1)
	v_add_f32_e32 v67, v67, v68
	v_add_f32_e32 v67, v82, v67
	s_delay_alu instid0(VALU_DEP_1) | instskip(NEXT) | instid1(VALU_DEP_1)
	v_cndmask_b32_e64 v67, v67, v69, s9
	v_add_f32_e32 v67, v66, v67
.LBB481_258:
	s_or_b32 exec_lo, exec_lo, s10
	s_delay_alu instid0(VALU_DEP_1) | instskip(SKIP_2) | instid1(VALU_DEP_3)
	v_bfe_u32 v66, v67, 16, 1
	v_cmp_o_f32_e64 s9, v67, v67
	v_lshlrev_b32_e32 v49, 16, v49
	v_add3_u32 v66, v67, v66, 0x7fff
	s_delay_alu instid0(VALU_DEP_1) | instskip(NEXT) | instid1(VALU_DEP_1)
	v_and_b32_e32 v66, 0xffff0000, v66
	v_cndmask_b32_e64 v68, 0x7fc00000, v66, s9
	s_delay_alu instid0(VALU_DEP_1) | instskip(SKIP_1) | instid1(VALU_DEP_2)
	v_dual_max_f32 v66, v49, v49 :: v_dual_max_f32 v67, v68, v68
	v_cmp_u_f32_e64 s9, v68, v68
	v_min_f32_e32 v69, v67, v66
	v_max_f32_e32 v67, v67, v66
	s_delay_alu instid0(VALU_DEP_2) | instskip(NEXT) | instid1(VALU_DEP_2)
	v_cndmask_b32_e64 v69, v69, v68, s9
	v_cndmask_b32_e64 v67, v67, v68, s9
	v_cmp_u_f32_e64 s9, v49, v49
	s_delay_alu instid0(VALU_DEP_1) | instskip(NEXT) | instid1(VALU_DEP_3)
	v_cndmask_b32_e64 v69, v69, v49, s9
	v_cndmask_b32_e64 v67, v67, v49, s9
	s_delay_alu instid0(VALU_DEP_2) | instskip(NEXT) | instid1(VALU_DEP_2)
	v_cmp_class_f32_e64 s11, v69, 0x1f8
	v_cmp_neq_f32_e64 s10, v69, v67
	s_delay_alu instid0(VALU_DEP_1) | instskip(NEXT) | instid1(SALU_CYCLE_1)
	s_or_b32 s10, s10, s11
	s_and_saveexec_b32 s11, s10
	s_cbranch_execz .LBB481_260
; %bb.259:
	v_sub_f32_e32 v68, v69, v67
	s_delay_alu instid0(VALU_DEP_1) | instskip(SKIP_1) | instid1(VALU_DEP_2)
	v_mul_f32_e32 v69, 0x3fb8aa3b, v68
	v_cmp_ngt_f32_e64 s10, 0xc2ce8ed0, v68
	v_fma_f32 v70, 0x3fb8aa3b, v68, -v69
	v_rndne_f32_e32 v71, v69
	s_delay_alu instid0(VALU_DEP_1) | instskip(NEXT) | instid1(VALU_DEP_1)
	v_dual_fmamk_f32 v70, v68, 0x32a5705f, v70 :: v_dual_sub_f32 v69, v69, v71
	v_add_f32_e32 v69, v69, v70
	v_cvt_i32_f32_e32 v70, v71
	s_delay_alu instid0(VALU_DEP_2) | instskip(SKIP_2) | instid1(VALU_DEP_1)
	v_exp_f32_e32 v69, v69
	s_waitcnt_depctr 0xfff
	v_ldexp_f32 v69, v69, v70
	v_cndmask_b32_e64 v69, 0, v69, s10
	v_cmp_nlt_f32_e64 s10, 0x42b17218, v68
	s_delay_alu instid0(VALU_DEP_1) | instskip(NEXT) | instid1(VALU_DEP_1)
	v_cndmask_b32_e64 v70, 0x7f800000, v69, s10
	v_add_f32_e32 v71, 1.0, v70
	v_cmp_gt_f32_e64 s12, 0x33800000, |v70|
	s_delay_alu instid0(VALU_DEP_2) | instskip(NEXT) | instid1(VALU_DEP_1)
	v_cvt_f64_f32_e32 v[68:69], v71
	v_frexp_exp_i32_f64_e32 v68, v[68:69]
	v_frexp_mant_f32_e32 v69, v71
	s_delay_alu instid0(VALU_DEP_1) | instskip(SKIP_1) | instid1(VALU_DEP_1)
	v_cmp_gt_f32_e64 s10, 0x3f2aaaab, v69
	v_add_f32_e32 v69, -1.0, v71
	v_sub_f32_e32 v81, v69, v71
	v_sub_f32_e32 v69, v70, v69
	s_delay_alu instid0(VALU_DEP_4) | instskip(SKIP_1) | instid1(VALU_DEP_1)
	v_subrev_co_ci_u32_e64 v68, s10, 0, v68, s10
	s_mov_b32 s10, 0x3e9b6dac
	v_sub_nc_u32_e32 v80, 0, v68
	v_cvt_f32_i32_e32 v68, v68
	s_delay_alu instid0(VALU_DEP_2) | instskip(NEXT) | instid1(VALU_DEP_1)
	v_ldexp_f32 v71, v71, v80
	v_dual_add_f32 v82, 1.0, v71 :: v_dual_add_f32 v81, 1.0, v81
	s_delay_alu instid0(VALU_DEP_1) | instskip(NEXT) | instid1(VALU_DEP_2)
	v_add_f32_e32 v69, v69, v81
	v_add_f32_e32 v81, -1.0, v82
	s_delay_alu instid0(VALU_DEP_2) | instskip(NEXT) | instid1(VALU_DEP_2)
	v_ldexp_f32 v69, v69, v80
	v_dual_add_f32 v80, -1.0, v71 :: v_dual_sub_f32 v81, v71, v81
	s_delay_alu instid0(VALU_DEP_1) | instskip(NEXT) | instid1(VALU_DEP_2)
	v_add_f32_e32 v83, 1.0, v80
	v_add_f32_e32 v81, v69, v81
	s_delay_alu instid0(VALU_DEP_2) | instskip(NEXT) | instid1(VALU_DEP_2)
	v_sub_f32_e32 v71, v71, v83
	v_add_f32_e32 v83, v82, v81
	s_delay_alu instid0(VALU_DEP_2) | instskip(NEXT) | instid1(VALU_DEP_2)
	v_add_f32_e32 v69, v69, v71
	v_rcp_f32_e32 v71, v83
	v_sub_f32_e32 v82, v82, v83
	s_delay_alu instid0(VALU_DEP_1) | instskip(NEXT) | instid1(VALU_DEP_1)
	v_dual_add_f32 v84, v80, v69 :: v_dual_add_f32 v81, v81, v82
	v_sub_f32_e32 v80, v80, v84
	s_waitcnt_depctr 0xfff
	v_mul_f32_e32 v85, v84, v71
	s_delay_alu instid0(VALU_DEP_1) | instskip(NEXT) | instid1(VALU_DEP_1)
	v_dual_add_f32 v69, v69, v80 :: v_dual_mul_f32 v86, v83, v85
	v_fma_f32 v82, v85, v83, -v86
	s_delay_alu instid0(VALU_DEP_1) | instskip(NEXT) | instid1(VALU_DEP_1)
	v_fmac_f32_e32 v82, v85, v81
	v_add_f32_e32 v87, v86, v82
	s_delay_alu instid0(VALU_DEP_1) | instskip(NEXT) | instid1(VALU_DEP_1)
	v_dual_sub_f32 v97, v84, v87 :: v_dual_sub_f32 v80, v87, v86
	v_sub_f32_e32 v84, v84, v97
	s_delay_alu instid0(VALU_DEP_2) | instskip(NEXT) | instid1(VALU_DEP_2)
	v_sub_f32_e32 v80, v80, v82
	v_sub_f32_e32 v84, v84, v87
	s_delay_alu instid0(VALU_DEP_1) | instskip(NEXT) | instid1(VALU_DEP_1)
	v_add_f32_e32 v69, v69, v84
	v_add_f32_e32 v69, v80, v69
	s_delay_alu instid0(VALU_DEP_1) | instskip(NEXT) | instid1(VALU_DEP_1)
	v_add_f32_e32 v80, v97, v69
	v_mul_f32_e32 v82, v71, v80
	s_delay_alu instid0(VALU_DEP_1) | instskip(NEXT) | instid1(VALU_DEP_1)
	v_dual_sub_f32 v87, v97, v80 :: v_dual_mul_f32 v84, v83, v82
	v_add_f32_e32 v69, v69, v87
	s_delay_alu instid0(VALU_DEP_2) | instskip(NEXT) | instid1(VALU_DEP_1)
	v_fma_f32 v83, v82, v83, -v84
	v_fmac_f32_e32 v83, v82, v81
	s_delay_alu instid0(VALU_DEP_1) | instskip(NEXT) | instid1(VALU_DEP_1)
	v_add_f32_e32 v81, v84, v83
	v_sub_f32_e32 v86, v80, v81
	v_sub_f32_e32 v84, v81, v84
	s_delay_alu instid0(VALU_DEP_2) | instskip(NEXT) | instid1(VALU_DEP_1)
	v_sub_f32_e32 v80, v80, v86
	v_sub_f32_e32 v80, v80, v81
	s_delay_alu instid0(VALU_DEP_3) | instskip(NEXT) | instid1(VALU_DEP_2)
	v_sub_f32_e32 v81, v84, v83
	v_add_f32_e32 v69, v69, v80
	v_add_f32_e32 v80, v85, v82
	s_delay_alu instid0(VALU_DEP_2) | instskip(NEXT) | instid1(VALU_DEP_2)
	v_add_f32_e32 v69, v81, v69
	v_sub_f32_e32 v81, v80, v85
	s_delay_alu instid0(VALU_DEP_2) | instskip(NEXT) | instid1(VALU_DEP_2)
	v_add_f32_e32 v69, v86, v69
	v_sub_f32_e32 v81, v82, v81
	s_delay_alu instid0(VALU_DEP_2) | instskip(NEXT) | instid1(VALU_DEP_1)
	v_mul_f32_e32 v69, v71, v69
	v_add_f32_e32 v69, v81, v69
	s_delay_alu instid0(VALU_DEP_1) | instskip(NEXT) | instid1(VALU_DEP_1)
	v_add_f32_e32 v71, v80, v69
	v_mul_f32_e32 v81, v71, v71
	s_delay_alu instid0(VALU_DEP_1) | instskip(SKIP_2) | instid1(VALU_DEP_3)
	v_fmaak_f32 v82, s10, v81, 0x3ecc95a3
	v_mul_f32_e32 v83, v71, v81
	v_cmp_eq_f32_e64 s10, 0x7f800000, v70
	v_fmaak_f32 v81, v81, v82, 0x3f2aaada
	v_ldexp_f32 v82, v71, 1
	v_sub_f32_e32 v71, v71, v80
	s_delay_alu instid0(VALU_DEP_4) | instskip(NEXT) | instid1(VALU_DEP_3)
	s_or_b32 s10, s10, s12
	v_mul_f32_e32 v81, v83, v81
	v_mul_f32_e32 v83, 0x3f317218, v68
	s_delay_alu instid0(VALU_DEP_2) | instskip(NEXT) | instid1(VALU_DEP_1)
	v_dual_sub_f32 v69, v69, v71 :: v_dual_add_f32 v80, v82, v81
	v_ldexp_f32 v69, v69, 1
	s_delay_alu instid0(VALU_DEP_2) | instskip(NEXT) | instid1(VALU_DEP_4)
	v_sub_f32_e32 v71, v80, v82
	v_fma_f32 v82, 0x3f317218, v68, -v83
	s_delay_alu instid0(VALU_DEP_1) | instskip(NEXT) | instid1(VALU_DEP_1)
	v_dual_sub_f32 v71, v81, v71 :: v_dual_fmamk_f32 v68, v68, 0xb102e308, v82
	v_add_f32_e32 v69, v69, v71
	s_delay_alu instid0(VALU_DEP_2) | instskip(NEXT) | instid1(VALU_DEP_2)
	v_add_f32_e32 v71, v83, v68
	v_add_f32_e32 v81, v80, v69
	s_delay_alu instid0(VALU_DEP_2) | instskip(NEXT) | instid1(VALU_DEP_2)
	v_sub_f32_e32 v83, v71, v83
	v_add_f32_e32 v82, v71, v81
	v_sub_f32_e32 v80, v81, v80
	s_delay_alu instid0(VALU_DEP_3) | instskip(NEXT) | instid1(VALU_DEP_2)
	v_sub_f32_e32 v68, v68, v83
	v_dual_sub_f32 v84, v82, v71 :: v_dual_sub_f32 v69, v69, v80
	s_delay_alu instid0(VALU_DEP_1) | instskip(NEXT) | instid1(VALU_DEP_2)
	v_sub_f32_e32 v85, v82, v84
	v_dual_sub_f32 v80, v81, v84 :: v_dual_add_f32 v81, v68, v69
	s_delay_alu instid0(VALU_DEP_2) | instskip(NEXT) | instid1(VALU_DEP_1)
	v_sub_f32_e32 v71, v71, v85
	v_dual_add_f32 v71, v80, v71 :: v_dual_sub_f32 v80, v81, v68
	s_delay_alu instid0(VALU_DEP_1) | instskip(NEXT) | instid1(VALU_DEP_2)
	v_add_f32_e32 v71, v81, v71
	v_sub_f32_e32 v81, v81, v80
	v_sub_f32_e32 v69, v69, v80
	s_delay_alu instid0(VALU_DEP_2) | instskip(NEXT) | instid1(VALU_DEP_1)
	v_dual_add_f32 v83, v82, v71 :: v_dual_sub_f32 v68, v68, v81
	v_sub_f32_e32 v80, v83, v82
	s_delay_alu instid0(VALU_DEP_2) | instskip(NEXT) | instid1(VALU_DEP_2)
	v_add_f32_e32 v68, v69, v68
	v_sub_f32_e32 v69, v71, v80
	s_delay_alu instid0(VALU_DEP_1) | instskip(NEXT) | instid1(VALU_DEP_1)
	v_add_f32_e32 v68, v68, v69
	v_add_f32_e32 v68, v83, v68
	s_delay_alu instid0(VALU_DEP_1) | instskip(NEXT) | instid1(VALU_DEP_1)
	v_cndmask_b32_e64 v68, v68, v70, s10
	v_add_f32_e32 v68, v67, v68
.LBB481_260:
	s_or_b32 exec_lo, exec_lo, s11
	s_delay_alu instid0(VALU_DEP_1) | instskip(SKIP_2) | instid1(VALU_DEP_3)
	v_bfe_u32 v67, v68, 16, 1
	v_cmp_o_f32_e64 s10, v68, v68
	v_lshlrev_b32_e32 v48, 16, v48
	v_add3_u32 v67, v68, v67, 0x7fff
	s_delay_alu instid0(VALU_DEP_1) | instskip(NEXT) | instid1(VALU_DEP_1)
	v_and_b32_e32 v67, 0xffff0000, v67
	v_cndmask_b32_e64 v69, 0x7fc00000, v67, s10
	s_delay_alu instid0(VALU_DEP_1) | instskip(SKIP_1) | instid1(VALU_DEP_2)
	v_dual_max_f32 v67, v48, v48 :: v_dual_max_f32 v68, v69, v69
	v_cmp_u_f32_e64 s10, v69, v69
	v_min_f32_e32 v70, v68, v67
	v_max_f32_e32 v68, v68, v67
	s_delay_alu instid0(VALU_DEP_2) | instskip(NEXT) | instid1(VALU_DEP_2)
	v_cndmask_b32_e64 v70, v70, v69, s10
	v_cndmask_b32_e64 v68, v68, v69, s10
	v_cmp_u_f32_e64 s10, v48, v48
	s_delay_alu instid0(VALU_DEP_1) | instskip(NEXT) | instid1(VALU_DEP_3)
	v_cndmask_b32_e64 v70, v70, v48, s10
	v_cndmask_b32_e64 v68, v68, v48, s10
	s_delay_alu instid0(VALU_DEP_2) | instskip(NEXT) | instid1(VALU_DEP_2)
	v_cmp_class_f32_e64 s12, v70, 0x1f8
	v_cmp_neq_f32_e64 s11, v70, v68
	s_delay_alu instid0(VALU_DEP_1) | instskip(NEXT) | instid1(SALU_CYCLE_1)
	s_or_b32 s11, s11, s12
	s_and_saveexec_b32 s12, s11
	s_cbranch_execz .LBB481_262
; %bb.261:
	v_sub_f32_e32 v69, v70, v68
	s_delay_alu instid0(VALU_DEP_1) | instskip(SKIP_1) | instid1(VALU_DEP_2)
	v_mul_f32_e32 v70, 0x3fb8aa3b, v69
	v_cmp_ngt_f32_e64 s11, 0xc2ce8ed0, v69
	v_fma_f32 v71, 0x3fb8aa3b, v69, -v70
	v_rndne_f32_e32 v80, v70
	s_delay_alu instid0(VALU_DEP_1) | instskip(NEXT) | instid1(VALU_DEP_1)
	v_dual_fmamk_f32 v71, v69, 0x32a5705f, v71 :: v_dual_sub_f32 v70, v70, v80
	v_add_f32_e32 v70, v70, v71
	v_cvt_i32_f32_e32 v71, v80
	s_delay_alu instid0(VALU_DEP_2) | instskip(SKIP_2) | instid1(VALU_DEP_1)
	v_exp_f32_e32 v70, v70
	s_waitcnt_depctr 0xfff
	v_ldexp_f32 v70, v70, v71
	v_cndmask_b32_e64 v70, 0, v70, s11
	v_cmp_nlt_f32_e64 s11, 0x42b17218, v69
	s_delay_alu instid0(VALU_DEP_1) | instskip(NEXT) | instid1(VALU_DEP_1)
	v_cndmask_b32_e64 v71, 0x7f800000, v70, s11
	v_add_f32_e32 v80, 1.0, v71
	v_cmp_gt_f32_e64 s13, 0x33800000, |v71|
	s_delay_alu instid0(VALU_DEP_2) | instskip(NEXT) | instid1(VALU_DEP_1)
	v_cvt_f64_f32_e32 v[69:70], v80
	v_frexp_exp_i32_f64_e32 v69, v[69:70]
	v_frexp_mant_f32_e32 v70, v80
	s_delay_alu instid0(VALU_DEP_1) | instskip(SKIP_1) | instid1(VALU_DEP_1)
	v_cmp_gt_f32_e64 s11, 0x3f2aaaab, v70
	v_add_f32_e32 v70, -1.0, v80
	v_sub_f32_e32 v82, v70, v80
	v_sub_f32_e32 v70, v71, v70
	s_delay_alu instid0(VALU_DEP_4) | instskip(SKIP_1) | instid1(VALU_DEP_1)
	v_subrev_co_ci_u32_e64 v69, s11, 0, v69, s11
	s_mov_b32 s11, 0x3e9b6dac
	v_sub_nc_u32_e32 v81, 0, v69
	v_cvt_f32_i32_e32 v69, v69
	s_delay_alu instid0(VALU_DEP_2) | instskip(NEXT) | instid1(VALU_DEP_1)
	v_ldexp_f32 v80, v80, v81
	v_dual_add_f32 v83, 1.0, v80 :: v_dual_add_f32 v82, 1.0, v82
	s_delay_alu instid0(VALU_DEP_1) | instskip(NEXT) | instid1(VALU_DEP_2)
	v_add_f32_e32 v70, v70, v82
	v_add_f32_e32 v82, -1.0, v83
	s_delay_alu instid0(VALU_DEP_2) | instskip(NEXT) | instid1(VALU_DEP_2)
	v_ldexp_f32 v70, v70, v81
	v_dual_add_f32 v81, -1.0, v80 :: v_dual_sub_f32 v82, v80, v82
	s_delay_alu instid0(VALU_DEP_1) | instskip(NEXT) | instid1(VALU_DEP_2)
	v_add_f32_e32 v84, 1.0, v81
	v_add_f32_e32 v82, v70, v82
	s_delay_alu instid0(VALU_DEP_2) | instskip(NEXT) | instid1(VALU_DEP_2)
	v_sub_f32_e32 v80, v80, v84
	v_add_f32_e32 v84, v83, v82
	s_delay_alu instid0(VALU_DEP_2) | instskip(NEXT) | instid1(VALU_DEP_2)
	v_add_f32_e32 v70, v70, v80
	v_rcp_f32_e32 v80, v84
	v_sub_f32_e32 v83, v83, v84
	s_delay_alu instid0(VALU_DEP_1) | instskip(NEXT) | instid1(VALU_DEP_1)
	v_dual_add_f32 v85, v81, v70 :: v_dual_add_f32 v82, v82, v83
	v_sub_f32_e32 v81, v81, v85
	s_waitcnt_depctr 0xfff
	v_mul_f32_e32 v86, v85, v80
	s_delay_alu instid0(VALU_DEP_1) | instskip(NEXT) | instid1(VALU_DEP_1)
	v_dual_add_f32 v70, v70, v81 :: v_dual_mul_f32 v87, v84, v86
	v_fma_f32 v83, v86, v84, -v87
	s_delay_alu instid0(VALU_DEP_1) | instskip(NEXT) | instid1(VALU_DEP_1)
	v_fmac_f32_e32 v83, v86, v82
	v_add_f32_e32 v97, v87, v83
	s_delay_alu instid0(VALU_DEP_1) | instskip(SKIP_1) | instid1(VALU_DEP_2)
	v_sub_f32_e32 v98, v85, v97
	v_sub_f32_e32 v81, v97, v87
	;; [unrolled: 1-line block ×3, first 2 shown]
	s_delay_alu instid0(VALU_DEP_2) | instskip(NEXT) | instid1(VALU_DEP_2)
	v_sub_f32_e32 v81, v81, v83
	v_sub_f32_e32 v85, v85, v97
	s_delay_alu instid0(VALU_DEP_1) | instskip(NEXT) | instid1(VALU_DEP_1)
	v_add_f32_e32 v70, v70, v85
	v_add_f32_e32 v70, v81, v70
	s_delay_alu instid0(VALU_DEP_1) | instskip(NEXT) | instid1(VALU_DEP_1)
	v_add_f32_e32 v81, v98, v70
	v_sub_f32_e32 v97, v98, v81
	v_mul_f32_e32 v83, v80, v81
	s_delay_alu instid0(VALU_DEP_1) | instskip(NEXT) | instid1(VALU_DEP_1)
	v_mul_f32_e32 v85, v84, v83
	v_fma_f32 v84, v83, v84, -v85
	s_delay_alu instid0(VALU_DEP_1) | instskip(NEXT) | instid1(VALU_DEP_1)
	v_fmac_f32_e32 v84, v83, v82
	v_add_f32_e32 v82, v85, v84
	s_delay_alu instid0(VALU_DEP_1) | instskip(SKIP_1) | instid1(VALU_DEP_2)
	v_sub_f32_e32 v87, v81, v82
	v_sub_f32_e32 v85, v82, v85
	v_dual_sub_f32 v81, v81, v87 :: v_dual_add_f32 v70, v70, v97
	s_delay_alu instid0(VALU_DEP_1) | instskip(NEXT) | instid1(VALU_DEP_3)
	v_sub_f32_e32 v81, v81, v82
	v_sub_f32_e32 v82, v85, v84
	s_delay_alu instid0(VALU_DEP_2) | instskip(SKIP_1) | instid1(VALU_DEP_2)
	v_add_f32_e32 v70, v70, v81
	v_add_f32_e32 v81, v86, v83
	;; [unrolled: 1-line block ×3, first 2 shown]
	s_delay_alu instid0(VALU_DEP_2) | instskip(NEXT) | instid1(VALU_DEP_2)
	v_sub_f32_e32 v82, v81, v86
	v_add_f32_e32 v70, v87, v70
	s_delay_alu instid0(VALU_DEP_2) | instskip(NEXT) | instid1(VALU_DEP_2)
	v_sub_f32_e32 v82, v83, v82
	v_mul_f32_e32 v70, v80, v70
	s_delay_alu instid0(VALU_DEP_1) | instskip(NEXT) | instid1(VALU_DEP_1)
	v_add_f32_e32 v70, v82, v70
	v_add_f32_e32 v80, v81, v70
	s_delay_alu instid0(VALU_DEP_1) | instskip(NEXT) | instid1(VALU_DEP_1)
	v_mul_f32_e32 v82, v80, v80
	v_fmaak_f32 v83, s11, v82, 0x3ecc95a3
	v_mul_f32_e32 v84, v80, v82
	v_cmp_eq_f32_e64 s11, 0x7f800000, v71
	s_delay_alu instid0(VALU_DEP_3) | instskip(SKIP_1) | instid1(VALU_DEP_3)
	v_fmaak_f32 v82, v82, v83, 0x3f2aaada
	v_ldexp_f32 v83, v80, 1
	s_or_b32 s11, s11, s13
	s_delay_alu instid0(VALU_DEP_2) | instskip(NEXT) | instid1(VALU_DEP_1)
	v_mul_f32_e32 v82, v84, v82
	v_dual_sub_f32 v80, v80, v81 :: v_dual_add_f32 v81, v83, v82
	s_delay_alu instid0(VALU_DEP_1) | instskip(NEXT) | instid1(VALU_DEP_2)
	v_sub_f32_e32 v70, v70, v80
	v_sub_f32_e32 v80, v81, v83
	s_delay_alu instid0(VALU_DEP_2) | instskip(NEXT) | instid1(VALU_DEP_2)
	v_ldexp_f32 v70, v70, 1
	v_sub_f32_e32 v80, v82, v80
	s_delay_alu instid0(VALU_DEP_1) | instskip(NEXT) | instid1(VALU_DEP_1)
	v_add_f32_e32 v70, v70, v80
	v_add_f32_e32 v82, v81, v70
	v_mul_f32_e32 v84, 0x3f317218, v69
	s_delay_alu instid0(VALU_DEP_2) | instskip(NEXT) | instid1(VALU_DEP_2)
	v_sub_f32_e32 v81, v82, v81
	v_fma_f32 v83, 0x3f317218, v69, -v84
	s_delay_alu instid0(VALU_DEP_1) | instskip(NEXT) | instid1(VALU_DEP_1)
	v_dual_sub_f32 v70, v70, v81 :: v_dual_fmamk_f32 v69, v69, 0xb102e308, v83
	v_add_f32_e32 v80, v84, v69
	s_delay_alu instid0(VALU_DEP_1) | instskip(SKIP_1) | instid1(VALU_DEP_2)
	v_add_f32_e32 v83, v80, v82
	v_sub_f32_e32 v84, v80, v84
	v_sub_f32_e32 v85, v83, v80
	s_delay_alu instid0(VALU_DEP_1) | instskip(NEXT) | instid1(VALU_DEP_1)
	v_dual_sub_f32 v69, v69, v84 :: v_dual_sub_f32 v86, v83, v85
	v_dual_sub_f32 v81, v82, v85 :: v_dual_add_f32 v82, v69, v70
	s_delay_alu instid0(VALU_DEP_2) | instskip(NEXT) | instid1(VALU_DEP_1)
	v_sub_f32_e32 v80, v80, v86
	v_dual_add_f32 v80, v81, v80 :: v_dual_sub_f32 v81, v82, v69
	s_delay_alu instid0(VALU_DEP_1) | instskip(NEXT) | instid1(VALU_DEP_2)
	v_add_f32_e32 v80, v82, v80
	v_sub_f32_e32 v82, v82, v81
	v_sub_f32_e32 v70, v70, v81
	s_delay_alu instid0(VALU_DEP_2) | instskip(NEXT) | instid1(VALU_DEP_1)
	v_dual_add_f32 v84, v83, v80 :: v_dual_sub_f32 v69, v69, v82
	v_sub_f32_e32 v81, v84, v83
	s_delay_alu instid0(VALU_DEP_2) | instskip(NEXT) | instid1(VALU_DEP_2)
	v_add_f32_e32 v69, v70, v69
	v_sub_f32_e32 v70, v80, v81
	s_delay_alu instid0(VALU_DEP_1) | instskip(NEXT) | instid1(VALU_DEP_1)
	v_add_f32_e32 v69, v69, v70
	v_add_f32_e32 v69, v84, v69
	s_delay_alu instid0(VALU_DEP_1) | instskip(NEXT) | instid1(VALU_DEP_1)
	v_cndmask_b32_e64 v69, v69, v71, s11
	v_add_f32_e32 v69, v68, v69
.LBB481_262:
	s_or_b32 exec_lo, exec_lo, s12
	s_delay_alu instid0(VALU_DEP_1) | instskip(SKIP_2) | instid1(VALU_DEP_3)
	v_bfe_u32 v68, v69, 16, 1
	v_cmp_o_f32_e64 s11, v69, v69
	v_lshlrev_b32_e32 v39, 16, v39
	v_add3_u32 v68, v69, v68, 0x7fff
	s_delay_alu instid0(VALU_DEP_1) | instskip(NEXT) | instid1(VALU_DEP_1)
	v_and_b32_e32 v68, 0xffff0000, v68
	v_cndmask_b32_e64 v70, 0x7fc00000, v68, s11
	s_delay_alu instid0(VALU_DEP_1) | instskip(SKIP_1) | instid1(VALU_DEP_2)
	v_dual_max_f32 v68, v39, v39 :: v_dual_max_f32 v69, v70, v70
	v_cmp_u_f32_e64 s11, v70, v70
	v_min_f32_e32 v71, v69, v68
	v_max_f32_e32 v69, v69, v68
	s_delay_alu instid0(VALU_DEP_2) | instskip(NEXT) | instid1(VALU_DEP_2)
	v_cndmask_b32_e64 v71, v71, v70, s11
	v_cndmask_b32_e64 v69, v69, v70, s11
	v_cmp_u_f32_e64 s11, v39, v39
	s_delay_alu instid0(VALU_DEP_1) | instskip(NEXT) | instid1(VALU_DEP_3)
	v_cndmask_b32_e64 v71, v71, v39, s11
	v_cndmask_b32_e64 v69, v69, v39, s11
	s_delay_alu instid0(VALU_DEP_2) | instskip(NEXT) | instid1(VALU_DEP_2)
	v_cmp_class_f32_e64 s13, v71, 0x1f8
	v_cmp_neq_f32_e64 s12, v71, v69
	s_delay_alu instid0(VALU_DEP_1) | instskip(NEXT) | instid1(SALU_CYCLE_1)
	s_or_b32 s12, s12, s13
	s_and_saveexec_b32 s13, s12
	s_cbranch_execz .LBB481_264
; %bb.263:
	v_sub_f32_e32 v70, v71, v69
	s_delay_alu instid0(VALU_DEP_1) | instskip(SKIP_1) | instid1(VALU_DEP_2)
	v_mul_f32_e32 v71, 0x3fb8aa3b, v70
	v_cmp_ngt_f32_e64 s12, 0xc2ce8ed0, v70
	v_fma_f32 v80, 0x3fb8aa3b, v70, -v71
	v_rndne_f32_e32 v81, v71
	s_delay_alu instid0(VALU_DEP_1) | instskip(NEXT) | instid1(VALU_DEP_1)
	v_dual_fmamk_f32 v80, v70, 0x32a5705f, v80 :: v_dual_sub_f32 v71, v71, v81
	v_add_f32_e32 v71, v71, v80
	v_cvt_i32_f32_e32 v80, v81
	s_delay_alu instid0(VALU_DEP_2) | instskip(SKIP_2) | instid1(VALU_DEP_1)
	v_exp_f32_e32 v71, v71
	s_waitcnt_depctr 0xfff
	v_ldexp_f32 v71, v71, v80
	v_cndmask_b32_e64 v71, 0, v71, s12
	v_cmp_nlt_f32_e64 s12, 0x42b17218, v70
	s_delay_alu instid0(VALU_DEP_1) | instskip(NEXT) | instid1(VALU_DEP_1)
	v_cndmask_b32_e64 v80, 0x7f800000, v71, s12
	v_add_f32_e32 v81, 1.0, v80
	v_cmp_gt_f32_e64 s14, 0x33800000, |v80|
	s_delay_alu instid0(VALU_DEP_2) | instskip(NEXT) | instid1(VALU_DEP_1)
	v_cvt_f64_f32_e32 v[70:71], v81
	v_frexp_exp_i32_f64_e32 v70, v[70:71]
	v_frexp_mant_f32_e32 v71, v81
	s_delay_alu instid0(VALU_DEP_1) | instskip(SKIP_1) | instid1(VALU_DEP_1)
	v_cmp_gt_f32_e64 s12, 0x3f2aaaab, v71
	v_add_f32_e32 v71, -1.0, v81
	v_sub_f32_e32 v83, v71, v81
	v_sub_f32_e32 v71, v80, v71
	s_delay_alu instid0(VALU_DEP_4) | instskip(SKIP_1) | instid1(VALU_DEP_1)
	v_subrev_co_ci_u32_e64 v70, s12, 0, v70, s12
	s_mov_b32 s12, 0x3e9b6dac
	v_sub_nc_u32_e32 v82, 0, v70
	v_cvt_f32_i32_e32 v70, v70
	s_delay_alu instid0(VALU_DEP_2) | instskip(NEXT) | instid1(VALU_DEP_1)
	v_ldexp_f32 v81, v81, v82
	v_dual_add_f32 v84, 1.0, v81 :: v_dual_add_f32 v83, 1.0, v83
	s_delay_alu instid0(VALU_DEP_1) | instskip(NEXT) | instid1(VALU_DEP_2)
	v_add_f32_e32 v71, v71, v83
	v_add_f32_e32 v83, -1.0, v84
	s_delay_alu instid0(VALU_DEP_2) | instskip(NEXT) | instid1(VALU_DEP_2)
	v_ldexp_f32 v71, v71, v82
	v_dual_add_f32 v82, -1.0, v81 :: v_dual_sub_f32 v83, v81, v83
	s_delay_alu instid0(VALU_DEP_1) | instskip(NEXT) | instid1(VALU_DEP_2)
	v_add_f32_e32 v85, 1.0, v82
	v_add_f32_e32 v83, v71, v83
	s_delay_alu instid0(VALU_DEP_2) | instskip(NEXT) | instid1(VALU_DEP_2)
	v_sub_f32_e32 v81, v81, v85
	v_add_f32_e32 v85, v84, v83
	s_delay_alu instid0(VALU_DEP_2) | instskip(NEXT) | instid1(VALU_DEP_2)
	v_add_f32_e32 v71, v71, v81
	v_rcp_f32_e32 v81, v85
	v_sub_f32_e32 v84, v84, v85
	s_delay_alu instid0(VALU_DEP_1) | instskip(NEXT) | instid1(VALU_DEP_1)
	v_dual_add_f32 v86, v82, v71 :: v_dual_add_f32 v83, v83, v84
	v_sub_f32_e32 v82, v82, v86
	s_waitcnt_depctr 0xfff
	v_mul_f32_e32 v87, v86, v81
	v_add_f32_e32 v71, v71, v82
	s_delay_alu instid0(VALU_DEP_2) | instskip(NEXT) | instid1(VALU_DEP_1)
	v_mul_f32_e32 v97, v85, v87
	v_fma_f32 v84, v87, v85, -v97
	s_delay_alu instid0(VALU_DEP_1) | instskip(NEXT) | instid1(VALU_DEP_1)
	v_fmac_f32_e32 v84, v87, v83
	v_add_f32_e32 v98, v97, v84
	s_delay_alu instid0(VALU_DEP_1) | instskip(SKIP_1) | instid1(VALU_DEP_2)
	v_sub_f32_e32 v99, v86, v98
	v_sub_f32_e32 v82, v98, v97
	;; [unrolled: 1-line block ×3, first 2 shown]
	s_delay_alu instid0(VALU_DEP_2) | instskip(NEXT) | instid1(VALU_DEP_2)
	v_sub_f32_e32 v82, v82, v84
	v_sub_f32_e32 v86, v86, v98
	s_delay_alu instid0(VALU_DEP_1) | instskip(NEXT) | instid1(VALU_DEP_1)
	v_add_f32_e32 v71, v71, v86
	v_add_f32_e32 v71, v82, v71
	s_delay_alu instid0(VALU_DEP_1) | instskip(NEXT) | instid1(VALU_DEP_1)
	v_add_f32_e32 v82, v99, v71
	v_mul_f32_e32 v84, v81, v82
	v_sub_f32_e32 v98, v99, v82
	s_delay_alu instid0(VALU_DEP_1) | instskip(NEXT) | instid1(VALU_DEP_1)
	v_dual_mul_f32 v86, v85, v84 :: v_dual_add_f32 v71, v71, v98
	v_fma_f32 v85, v84, v85, -v86
	s_delay_alu instid0(VALU_DEP_1) | instskip(NEXT) | instid1(VALU_DEP_1)
	v_fmac_f32_e32 v85, v84, v83
	v_add_f32_e32 v83, v86, v85
	s_delay_alu instid0(VALU_DEP_1) | instskip(NEXT) | instid1(VALU_DEP_1)
	v_dual_sub_f32 v97, v82, v83 :: v_dual_sub_f32 v86, v83, v86
	v_sub_f32_e32 v82, v82, v97
	s_delay_alu instid0(VALU_DEP_1) | instskip(NEXT) | instid1(VALU_DEP_3)
	v_sub_f32_e32 v82, v82, v83
	v_sub_f32_e32 v83, v86, v85
	s_delay_alu instid0(VALU_DEP_2) | instskip(SKIP_1) | instid1(VALU_DEP_2)
	v_add_f32_e32 v71, v71, v82
	v_add_f32_e32 v82, v87, v84
	v_add_f32_e32 v71, v83, v71
	s_delay_alu instid0(VALU_DEP_2) | instskip(NEXT) | instid1(VALU_DEP_2)
	v_sub_f32_e32 v83, v82, v87
	v_add_f32_e32 v71, v97, v71
	s_delay_alu instid0(VALU_DEP_2) | instskip(NEXT) | instid1(VALU_DEP_2)
	v_sub_f32_e32 v83, v84, v83
	v_mul_f32_e32 v71, v81, v71
	s_delay_alu instid0(VALU_DEP_1) | instskip(NEXT) | instid1(VALU_DEP_1)
	v_add_f32_e32 v71, v83, v71
	v_add_f32_e32 v81, v82, v71
	s_delay_alu instid0(VALU_DEP_1) | instskip(NEXT) | instid1(VALU_DEP_1)
	v_mul_f32_e32 v83, v81, v81
	v_fmaak_f32 v84, s12, v83, 0x3ecc95a3
	v_mul_f32_e32 v85, v81, v83
	v_cmp_eq_f32_e64 s12, 0x7f800000, v80
	s_delay_alu instid0(VALU_DEP_3) | instskip(SKIP_2) | instid1(VALU_DEP_4)
	v_fmaak_f32 v83, v83, v84, 0x3f2aaada
	v_ldexp_f32 v84, v81, 1
	v_sub_f32_e32 v81, v81, v82
	s_or_b32 s12, s12, s14
	s_delay_alu instid0(VALU_DEP_3) | instskip(SKIP_1) | instid1(VALU_DEP_2)
	v_mul_f32_e32 v83, v85, v83
	v_mul_f32_e32 v85, 0x3f317218, v70
	v_dual_sub_f32 v71, v71, v81 :: v_dual_add_f32 v82, v84, v83
	s_delay_alu instid0(VALU_DEP_1) | instskip(NEXT) | instid1(VALU_DEP_2)
	v_ldexp_f32 v71, v71, 1
	v_sub_f32_e32 v81, v82, v84
	s_delay_alu instid0(VALU_DEP_4) | instskip(NEXT) | instid1(VALU_DEP_1)
	v_fma_f32 v84, 0x3f317218, v70, -v85
	v_dual_sub_f32 v81, v83, v81 :: v_dual_fmamk_f32 v70, v70, 0xb102e308, v84
	s_delay_alu instid0(VALU_DEP_1) | instskip(NEXT) | instid1(VALU_DEP_2)
	v_add_f32_e32 v71, v71, v81
	v_add_f32_e32 v81, v85, v70
	s_delay_alu instid0(VALU_DEP_2) | instskip(NEXT) | instid1(VALU_DEP_2)
	v_add_f32_e32 v83, v82, v71
	v_sub_f32_e32 v85, v81, v85
	s_delay_alu instid0(VALU_DEP_2) | instskip(SKIP_1) | instid1(VALU_DEP_3)
	v_add_f32_e32 v84, v81, v83
	v_sub_f32_e32 v82, v83, v82
	v_sub_f32_e32 v70, v70, v85
	s_delay_alu instid0(VALU_DEP_2) | instskip(NEXT) | instid1(VALU_DEP_1)
	v_dual_sub_f32 v86, v84, v81 :: v_dual_sub_f32 v71, v71, v82
	v_sub_f32_e32 v87, v84, v86
	s_delay_alu instid0(VALU_DEP_2) | instskip(NEXT) | instid1(VALU_DEP_2)
	v_dual_sub_f32 v82, v83, v86 :: v_dual_add_f32 v83, v70, v71
	v_sub_f32_e32 v81, v81, v87
	s_delay_alu instid0(VALU_DEP_1) | instskip(NEXT) | instid1(VALU_DEP_1)
	v_dual_add_f32 v81, v82, v81 :: v_dual_sub_f32 v82, v83, v70
	v_add_f32_e32 v81, v83, v81
	s_delay_alu instid0(VALU_DEP_2) | instskip(SKIP_1) | instid1(VALU_DEP_2)
	v_sub_f32_e32 v83, v83, v82
	v_sub_f32_e32 v71, v71, v82
	v_dual_add_f32 v85, v84, v81 :: v_dual_sub_f32 v70, v70, v83
	s_delay_alu instid0(VALU_DEP_1) | instskip(NEXT) | instid1(VALU_DEP_2)
	v_sub_f32_e32 v82, v85, v84
	v_add_f32_e32 v70, v71, v70
	s_delay_alu instid0(VALU_DEP_2) | instskip(NEXT) | instid1(VALU_DEP_1)
	v_sub_f32_e32 v71, v81, v82
	v_add_f32_e32 v70, v70, v71
	s_delay_alu instid0(VALU_DEP_1) | instskip(NEXT) | instid1(VALU_DEP_1)
	v_add_f32_e32 v70, v85, v70
	v_cndmask_b32_e64 v70, v70, v80, s12
	s_delay_alu instid0(VALU_DEP_1)
	v_add_f32_e32 v70, v69, v70
.LBB481_264:
	s_or_b32 exec_lo, exec_lo, s13
	s_delay_alu instid0(VALU_DEP_1) | instskip(SKIP_2) | instid1(VALU_DEP_3)
	v_bfe_u32 v69, v70, 16, 1
	v_cmp_o_f32_e64 s12, v70, v70
	v_lshlrev_b32_e32 v38, 16, v38
	v_add3_u32 v69, v70, v69, 0x7fff
	s_delay_alu instid0(VALU_DEP_1) | instskip(NEXT) | instid1(VALU_DEP_1)
	v_and_b32_e32 v69, 0xffff0000, v69
	v_cndmask_b32_e64 v71, 0x7fc00000, v69, s12
	s_delay_alu instid0(VALU_DEP_1) | instskip(SKIP_1) | instid1(VALU_DEP_2)
	v_dual_max_f32 v69, v38, v38 :: v_dual_max_f32 v70, v71, v71
	v_cmp_u_f32_e64 s12, v71, v71
	v_min_f32_e32 v80, v70, v69
	v_max_f32_e32 v70, v70, v69
	s_delay_alu instid0(VALU_DEP_2) | instskip(NEXT) | instid1(VALU_DEP_2)
	v_cndmask_b32_e64 v80, v80, v71, s12
	v_cndmask_b32_e64 v70, v70, v71, s12
	v_cmp_u_f32_e64 s12, v38, v38
	s_delay_alu instid0(VALU_DEP_1) | instskip(NEXT) | instid1(VALU_DEP_3)
	v_cndmask_b32_e64 v80, v80, v38, s12
	v_cndmask_b32_e64 v70, v70, v38, s12
	s_delay_alu instid0(VALU_DEP_2) | instskip(NEXT) | instid1(VALU_DEP_2)
	v_cmp_class_f32_e64 s14, v80, 0x1f8
	v_cmp_neq_f32_e64 s13, v80, v70
	s_delay_alu instid0(VALU_DEP_1) | instskip(NEXT) | instid1(SALU_CYCLE_1)
	s_or_b32 s13, s13, s14
	s_and_saveexec_b32 s14, s13
	s_cbranch_execz .LBB481_266
; %bb.265:
	v_sub_f32_e32 v71, v80, v70
	s_delay_alu instid0(VALU_DEP_1) | instskip(SKIP_1) | instid1(VALU_DEP_2)
	v_mul_f32_e32 v80, 0x3fb8aa3b, v71
	v_cmp_ngt_f32_e64 s13, 0xc2ce8ed0, v71
	v_fma_f32 v81, 0x3fb8aa3b, v71, -v80
	v_rndne_f32_e32 v82, v80
	s_delay_alu instid0(VALU_DEP_1) | instskip(NEXT) | instid1(VALU_DEP_1)
	v_dual_fmamk_f32 v81, v71, 0x32a5705f, v81 :: v_dual_sub_f32 v80, v80, v82
	v_add_f32_e32 v80, v80, v81
	v_cvt_i32_f32_e32 v81, v82
	s_delay_alu instid0(VALU_DEP_2) | instskip(SKIP_2) | instid1(VALU_DEP_1)
	v_exp_f32_e32 v80, v80
	s_waitcnt_depctr 0xfff
	v_ldexp_f32 v80, v80, v81
	v_cndmask_b32_e64 v80, 0, v80, s13
	v_cmp_nlt_f32_e64 s13, 0x42b17218, v71
	s_delay_alu instid0(VALU_DEP_1) | instskip(NEXT) | instid1(VALU_DEP_1)
	v_cndmask_b32_e64 v71, 0x7f800000, v80, s13
	v_add_f32_e32 v82, 1.0, v71
	v_cmp_gt_f32_e64 s15, 0x33800000, |v71|
	s_delay_alu instid0(VALU_DEP_2) | instskip(NEXT) | instid1(VALU_DEP_1)
	v_cvt_f64_f32_e32 v[80:81], v82
	v_frexp_exp_i32_f64_e32 v80, v[80:81]
	v_frexp_mant_f32_e32 v81, v82
	s_delay_alu instid0(VALU_DEP_1) | instskip(SKIP_1) | instid1(VALU_DEP_1)
	v_cmp_gt_f32_e64 s13, 0x3f2aaaab, v81
	v_add_f32_e32 v81, -1.0, v82
	v_dual_sub_f32 v84, v81, v82 :: v_dual_sub_f32 v81, v71, v81
	s_delay_alu instid0(VALU_DEP_1) | instskip(NEXT) | instid1(VALU_DEP_4)
	v_add_f32_e32 v84, 1.0, v84
	v_subrev_co_ci_u32_e64 v80, s13, 0, v80, s13
	s_mov_b32 s13, 0x3e9b6dac
	s_delay_alu instid0(VALU_DEP_1) | instskip(SKIP_1) | instid1(VALU_DEP_2)
	v_sub_nc_u32_e32 v83, 0, v80
	v_cvt_f32_i32_e32 v80, v80
	v_ldexp_f32 v82, v82, v83
	s_delay_alu instid0(VALU_DEP_1) | instskip(NEXT) | instid1(VALU_DEP_1)
	v_add_f32_e32 v85, 1.0, v82
	v_dual_add_f32 v81, v81, v84 :: v_dual_add_f32 v84, -1.0, v85
	s_delay_alu instid0(VALU_DEP_1) | instskip(NEXT) | instid1(VALU_DEP_2)
	v_ldexp_f32 v81, v81, v83
	v_dual_add_f32 v83, -1.0, v82 :: v_dual_sub_f32 v84, v82, v84
	s_delay_alu instid0(VALU_DEP_1) | instskip(NEXT) | instid1(VALU_DEP_2)
	v_add_f32_e32 v86, 1.0, v83
	v_add_f32_e32 v84, v81, v84
	s_delay_alu instid0(VALU_DEP_2) | instskip(NEXT) | instid1(VALU_DEP_2)
	v_sub_f32_e32 v82, v82, v86
	v_add_f32_e32 v86, v85, v84
	s_delay_alu instid0(VALU_DEP_2) | instskip(NEXT) | instid1(VALU_DEP_2)
	v_add_f32_e32 v81, v81, v82
	v_rcp_f32_e32 v82, v86
	s_delay_alu instid0(VALU_DEP_1) | instskip(NEXT) | instid1(VALU_DEP_1)
	v_add_f32_e32 v87, v83, v81
	v_sub_f32_e32 v83, v83, v87
	s_waitcnt_depctr 0xfff
	v_mul_f32_e32 v97, v87, v82
	v_sub_f32_e32 v85, v85, v86
	s_delay_alu instid0(VALU_DEP_2) | instskip(NEXT) | instid1(VALU_DEP_2)
	v_dual_add_f32 v81, v81, v83 :: v_dual_mul_f32 v98, v86, v97
	v_add_f32_e32 v84, v84, v85
	s_delay_alu instid0(VALU_DEP_2) | instskip(NEXT) | instid1(VALU_DEP_1)
	v_fma_f32 v85, v97, v86, -v98
	v_fmac_f32_e32 v85, v97, v84
	s_delay_alu instid0(VALU_DEP_1) | instskip(NEXT) | instid1(VALU_DEP_1)
	v_add_f32_e32 v99, v98, v85
	v_sub_f32_e32 v100, v87, v99
	v_sub_f32_e32 v83, v99, v98
	s_delay_alu instid0(VALU_DEP_2) | instskip(NEXT) | instid1(VALU_DEP_2)
	v_sub_f32_e32 v87, v87, v100
	v_sub_f32_e32 v83, v83, v85
	s_delay_alu instid0(VALU_DEP_2) | instskip(NEXT) | instid1(VALU_DEP_1)
	v_sub_f32_e32 v87, v87, v99
	v_add_f32_e32 v81, v81, v87
	s_delay_alu instid0(VALU_DEP_1) | instskip(NEXT) | instid1(VALU_DEP_1)
	v_add_f32_e32 v81, v83, v81
	v_add_f32_e32 v83, v100, v81
	s_delay_alu instid0(VALU_DEP_1) | instskip(NEXT) | instid1(VALU_DEP_1)
	v_mul_f32_e32 v85, v82, v83
	v_mul_f32_e32 v87, v86, v85
	v_sub_f32_e32 v99, v100, v83
	s_delay_alu instid0(VALU_DEP_2) | instskip(NEXT) | instid1(VALU_DEP_2)
	v_fma_f32 v86, v85, v86, -v87
	v_add_f32_e32 v81, v81, v99
	s_delay_alu instid0(VALU_DEP_2) | instskip(NEXT) | instid1(VALU_DEP_1)
	v_fmac_f32_e32 v86, v85, v84
	v_add_f32_e32 v84, v87, v86
	s_delay_alu instid0(VALU_DEP_1) | instskip(NEXT) | instid1(VALU_DEP_1)
	v_dual_sub_f32 v98, v83, v84 :: v_dual_sub_f32 v87, v84, v87
	v_sub_f32_e32 v83, v83, v98
	s_delay_alu instid0(VALU_DEP_1) | instskip(NEXT) | instid1(VALU_DEP_1)
	v_sub_f32_e32 v83, v83, v84
	v_dual_sub_f32 v84, v87, v86 :: v_dual_add_f32 v81, v81, v83
	v_add_f32_e32 v83, v97, v85
	s_delay_alu instid0(VALU_DEP_2) | instskip(NEXT) | instid1(VALU_DEP_2)
	v_add_f32_e32 v81, v84, v81
	v_sub_f32_e32 v84, v83, v97
	s_delay_alu instid0(VALU_DEP_1) | instskip(NEXT) | instid1(VALU_DEP_1)
	v_dual_add_f32 v81, v98, v81 :: v_dual_sub_f32 v84, v85, v84
	v_mul_f32_e32 v81, v82, v81
	s_delay_alu instid0(VALU_DEP_1) | instskip(NEXT) | instid1(VALU_DEP_1)
	v_add_f32_e32 v81, v84, v81
	v_add_f32_e32 v82, v83, v81
	s_delay_alu instid0(VALU_DEP_1) | instskip(NEXT) | instid1(VALU_DEP_1)
	v_mul_f32_e32 v84, v82, v82
	v_fmaak_f32 v85, s13, v84, 0x3ecc95a3
	v_mul_f32_e32 v86, v82, v84
	v_cmp_eq_f32_e64 s13, 0x7f800000, v71
	s_delay_alu instid0(VALU_DEP_3) | instskip(SKIP_2) | instid1(VALU_DEP_4)
	v_fmaak_f32 v84, v84, v85, 0x3f2aaada
	v_ldexp_f32 v85, v82, 1
	v_sub_f32_e32 v82, v82, v83
	s_or_b32 s13, s13, s15
	s_delay_alu instid0(VALU_DEP_3) | instskip(NEXT) | instid1(VALU_DEP_2)
	v_mul_f32_e32 v84, v86, v84
	v_dual_mul_f32 v86, 0x3f317218, v80 :: v_dual_sub_f32 v81, v81, v82
	s_delay_alu instid0(VALU_DEP_2) | instskip(NEXT) | instid1(VALU_DEP_2)
	v_add_f32_e32 v83, v85, v84
	v_ldexp_f32 v81, v81, 1
	s_delay_alu instid0(VALU_DEP_2) | instskip(NEXT) | instid1(VALU_DEP_4)
	v_sub_f32_e32 v82, v83, v85
	v_fma_f32 v85, 0x3f317218, v80, -v86
	s_delay_alu instid0(VALU_DEP_2) | instskip(NEXT) | instid1(VALU_DEP_1)
	v_sub_f32_e32 v82, v84, v82
	v_dual_fmamk_f32 v80, v80, 0xb102e308, v85 :: v_dual_add_f32 v81, v81, v82
	s_delay_alu instid0(VALU_DEP_1) | instskip(NEXT) | instid1(VALU_DEP_2)
	v_add_f32_e32 v82, v86, v80
	v_add_f32_e32 v84, v83, v81
	s_delay_alu instid0(VALU_DEP_2) | instskip(NEXT) | instid1(VALU_DEP_1)
	v_sub_f32_e32 v86, v82, v86
	v_dual_sub_f32 v80, v80, v86 :: v_dual_add_f32 v85, v82, v84
	s_delay_alu instid0(VALU_DEP_1) | instskip(NEXT) | instid1(VALU_DEP_1)
	v_sub_f32_e32 v87, v85, v82
	v_sub_f32_e32 v97, v85, v87
	s_delay_alu instid0(VALU_DEP_1) | instskip(NEXT) | instid1(VALU_DEP_1)
	v_dual_sub_f32 v82, v82, v97 :: v_dual_sub_f32 v83, v84, v83
	v_sub_f32_e32 v81, v81, v83
	v_sub_f32_e32 v83, v84, v87
	s_delay_alu instid0(VALU_DEP_2) | instskip(NEXT) | instid1(VALU_DEP_1)
	v_add_f32_e32 v84, v80, v81
	v_dual_add_f32 v82, v83, v82 :: v_dual_sub_f32 v83, v84, v80
	s_delay_alu instid0(VALU_DEP_1) | instskip(NEXT) | instid1(VALU_DEP_2)
	v_add_f32_e32 v82, v84, v82
	v_sub_f32_e32 v84, v84, v83
	s_delay_alu instid0(VALU_DEP_2) | instskip(NEXT) | instid1(VALU_DEP_2)
	v_add_f32_e32 v86, v85, v82
	v_dual_sub_f32 v81, v81, v83 :: v_dual_sub_f32 v80, v80, v84
	s_delay_alu instid0(VALU_DEP_1) | instskip(NEXT) | instid1(VALU_DEP_1)
	v_dual_sub_f32 v83, v86, v85 :: v_dual_add_f32 v80, v81, v80
	v_sub_f32_e32 v81, v82, v83
	s_delay_alu instid0(VALU_DEP_1) | instskip(NEXT) | instid1(VALU_DEP_1)
	v_add_f32_e32 v80, v80, v81
	v_add_f32_e32 v80, v86, v80
	s_delay_alu instid0(VALU_DEP_1) | instskip(NEXT) | instid1(VALU_DEP_1)
	v_cndmask_b32_e64 v71, v80, v71, s13
	v_add_f32_e32 v71, v70, v71
.LBB481_266:
	s_or_b32 exec_lo, exec_lo, s14
	s_delay_alu instid0(VALU_DEP_1) | instskip(SKIP_2) | instid1(VALU_DEP_3)
	v_bfe_u32 v70, v71, 16, 1
	v_cmp_o_f32_e64 s13, v71, v71
	v_lshlrev_b32_e32 v37, 16, v37
	v_add3_u32 v70, v71, v70, 0x7fff
	s_delay_alu instid0(VALU_DEP_1) | instskip(NEXT) | instid1(VALU_DEP_1)
	v_and_b32_e32 v70, 0xffff0000, v70
	v_cndmask_b32_e64 v80, 0x7fc00000, v70, s13
	s_delay_alu instid0(VALU_DEP_1) | instskip(SKIP_1) | instid1(VALU_DEP_2)
	v_dual_max_f32 v70, v37, v37 :: v_dual_max_f32 v71, v80, v80
	v_cmp_u_f32_e64 s13, v80, v80
	v_min_f32_e32 v81, v71, v70
	v_max_f32_e32 v71, v71, v70
	s_delay_alu instid0(VALU_DEP_2) | instskip(NEXT) | instid1(VALU_DEP_2)
	v_cndmask_b32_e64 v81, v81, v80, s13
	v_cndmask_b32_e64 v71, v71, v80, s13
	v_cmp_u_f32_e64 s13, v37, v37
	s_delay_alu instid0(VALU_DEP_1) | instskip(NEXT) | instid1(VALU_DEP_3)
	v_cndmask_b32_e64 v81, v81, v37, s13
	v_cndmask_b32_e64 v71, v71, v37, s13
	s_delay_alu instid0(VALU_DEP_2) | instskip(NEXT) | instid1(VALU_DEP_2)
	v_cmp_class_f32_e64 s15, v81, 0x1f8
	v_cmp_neq_f32_e64 s14, v81, v71
	s_delay_alu instid0(VALU_DEP_1) | instskip(NEXT) | instid1(SALU_CYCLE_1)
	s_or_b32 s14, s14, s15
	s_and_saveexec_b32 s15, s14
	s_cbranch_execz .LBB481_268
; %bb.267:
	v_sub_f32_e32 v80, v81, v71
	s_delay_alu instid0(VALU_DEP_1) | instskip(SKIP_1) | instid1(VALU_DEP_2)
	v_mul_f32_e32 v81, 0x3fb8aa3b, v80
	v_cmp_ngt_f32_e64 s14, 0xc2ce8ed0, v80
	v_fma_f32 v82, 0x3fb8aa3b, v80, -v81
	v_rndne_f32_e32 v83, v81
	s_delay_alu instid0(VALU_DEP_1) | instskip(NEXT) | instid1(VALU_DEP_1)
	v_dual_fmamk_f32 v82, v80, 0x32a5705f, v82 :: v_dual_sub_f32 v81, v81, v83
	v_add_f32_e32 v81, v81, v82
	v_cvt_i32_f32_e32 v82, v83
	s_delay_alu instid0(VALU_DEP_2) | instskip(SKIP_2) | instid1(VALU_DEP_1)
	v_exp_f32_e32 v81, v81
	s_waitcnt_depctr 0xfff
	v_ldexp_f32 v81, v81, v82
	v_cndmask_b32_e64 v81, 0, v81, s14
	v_cmp_nlt_f32_e64 s14, 0x42b17218, v80
	s_delay_alu instid0(VALU_DEP_1) | instskip(NEXT) | instid1(VALU_DEP_1)
	v_cndmask_b32_e64 v82, 0x7f800000, v81, s14
	v_add_f32_e32 v83, 1.0, v82
	v_cmp_gt_f32_e64 s16, 0x33800000, |v82|
	s_delay_alu instid0(VALU_DEP_2) | instskip(NEXT) | instid1(VALU_DEP_1)
	v_cvt_f64_f32_e32 v[80:81], v83
	v_frexp_exp_i32_f64_e32 v80, v[80:81]
	v_frexp_mant_f32_e32 v81, v83
	s_delay_alu instid0(VALU_DEP_1) | instskip(SKIP_1) | instid1(VALU_DEP_1)
	v_cmp_gt_f32_e64 s14, 0x3f2aaaab, v81
	v_add_f32_e32 v81, -1.0, v83
	v_sub_f32_e32 v85, v81, v83
	v_sub_f32_e32 v81, v82, v81
	s_delay_alu instid0(VALU_DEP_4) | instskip(SKIP_1) | instid1(VALU_DEP_1)
	v_subrev_co_ci_u32_e64 v80, s14, 0, v80, s14
	s_mov_b32 s14, 0x3e9b6dac
	v_sub_nc_u32_e32 v84, 0, v80
	v_cvt_f32_i32_e32 v80, v80
	s_delay_alu instid0(VALU_DEP_2) | instskip(NEXT) | instid1(VALU_DEP_1)
	v_ldexp_f32 v83, v83, v84
	v_dual_add_f32 v86, 1.0, v83 :: v_dual_add_f32 v85, 1.0, v85
	s_delay_alu instid0(VALU_DEP_1) | instskip(NEXT) | instid1(VALU_DEP_1)
	v_add_f32_e32 v81, v81, v85
	v_ldexp_f32 v81, v81, v84
	s_delay_alu instid0(VALU_DEP_3) | instskip(NEXT) | instid1(VALU_DEP_1)
	v_dual_add_f32 v84, -1.0, v83 :: v_dual_add_f32 v85, -1.0, v86
	v_add_f32_e32 v87, 1.0, v84
	s_delay_alu instid0(VALU_DEP_2) | instskip(NEXT) | instid1(VALU_DEP_2)
	v_sub_f32_e32 v85, v83, v85
	v_sub_f32_e32 v83, v83, v87
	s_delay_alu instid0(VALU_DEP_2) | instskip(NEXT) | instid1(VALU_DEP_2)
	v_add_f32_e32 v85, v81, v85
	v_add_f32_e32 v81, v81, v83
	s_delay_alu instid0(VALU_DEP_2) | instskip(NEXT) | instid1(VALU_DEP_2)
	v_add_f32_e32 v87, v86, v85
	v_add_f32_e32 v97, v84, v81
	s_delay_alu instid0(VALU_DEP_2) | instskip(SKIP_1) | instid1(VALU_DEP_1)
	v_rcp_f32_e32 v83, v87
	v_sub_f32_e32 v86, v86, v87
	v_dual_sub_f32 v84, v84, v97 :: v_dual_add_f32 v85, v85, v86
	s_delay_alu instid0(VALU_DEP_1) | instskip(SKIP_2) | instid1(VALU_DEP_1)
	v_add_f32_e32 v81, v81, v84
	s_waitcnt_depctr 0xfff
	v_mul_f32_e32 v98, v97, v83
	v_mul_f32_e32 v99, v87, v98
	s_delay_alu instid0(VALU_DEP_1) | instskip(NEXT) | instid1(VALU_DEP_1)
	v_fma_f32 v86, v98, v87, -v99
	v_fmac_f32_e32 v86, v98, v85
	s_delay_alu instid0(VALU_DEP_1) | instskip(NEXT) | instid1(VALU_DEP_1)
	v_add_f32_e32 v100, v99, v86
	v_dual_sub_f32 v101, v97, v100 :: v_dual_sub_f32 v84, v100, v99
	s_delay_alu instid0(VALU_DEP_1) | instskip(NEXT) | instid1(VALU_DEP_1)
	v_dual_sub_f32 v97, v97, v101 :: v_dual_sub_f32 v84, v84, v86
	v_sub_f32_e32 v97, v97, v100
	s_delay_alu instid0(VALU_DEP_1) | instskip(NEXT) | instid1(VALU_DEP_1)
	v_add_f32_e32 v81, v81, v97
	v_add_f32_e32 v81, v84, v81
	s_delay_alu instid0(VALU_DEP_1) | instskip(NEXT) | instid1(VALU_DEP_1)
	v_add_f32_e32 v84, v101, v81
	v_mul_f32_e32 v86, v83, v84
	s_delay_alu instid0(VALU_DEP_1) | instskip(NEXT) | instid1(VALU_DEP_1)
	v_dual_sub_f32 v100, v101, v84 :: v_dual_mul_f32 v97, v87, v86
	v_add_f32_e32 v81, v81, v100
	s_delay_alu instid0(VALU_DEP_2) | instskip(NEXT) | instid1(VALU_DEP_1)
	v_fma_f32 v87, v86, v87, -v97
	v_fmac_f32_e32 v87, v86, v85
	s_delay_alu instid0(VALU_DEP_1) | instskip(NEXT) | instid1(VALU_DEP_1)
	v_add_f32_e32 v85, v97, v87
	v_sub_f32_e32 v99, v84, v85
	s_delay_alu instid0(VALU_DEP_1) | instskip(NEXT) | instid1(VALU_DEP_1)
	v_dual_sub_f32 v97, v85, v97 :: v_dual_sub_f32 v84, v84, v99
	v_dual_sub_f32 v84, v84, v85 :: v_dual_sub_f32 v85, v97, v87
	s_delay_alu instid0(VALU_DEP_1) | instskip(NEXT) | instid1(VALU_DEP_1)
	v_dual_add_f32 v81, v81, v84 :: v_dual_add_f32 v84, v98, v86
	v_add_f32_e32 v81, v85, v81
	s_delay_alu instid0(VALU_DEP_2) | instskip(NEXT) | instid1(VALU_DEP_2)
	v_sub_f32_e32 v85, v84, v98
	v_add_f32_e32 v81, v99, v81
	s_delay_alu instid0(VALU_DEP_2) | instskip(NEXT) | instid1(VALU_DEP_2)
	v_sub_f32_e32 v85, v86, v85
	v_mul_f32_e32 v81, v83, v81
	s_delay_alu instid0(VALU_DEP_1) | instskip(NEXT) | instid1(VALU_DEP_1)
	v_add_f32_e32 v81, v85, v81
	v_add_f32_e32 v83, v84, v81
	s_delay_alu instid0(VALU_DEP_1) | instskip(NEXT) | instid1(VALU_DEP_1)
	v_mul_f32_e32 v85, v83, v83
	v_fmaak_f32 v86, s14, v85, 0x3ecc95a3
	v_mul_f32_e32 v87, v83, v85
	v_cmp_eq_f32_e64 s14, 0x7f800000, v82
	s_delay_alu instid0(VALU_DEP_3) | instskip(SKIP_2) | instid1(VALU_DEP_4)
	v_fmaak_f32 v85, v85, v86, 0x3f2aaada
	v_ldexp_f32 v86, v83, 1
	v_sub_f32_e32 v83, v83, v84
	s_or_b32 s14, s14, s16
	s_delay_alu instid0(VALU_DEP_3) | instskip(SKIP_1) | instid1(VALU_DEP_2)
	v_mul_f32_e32 v85, v87, v85
	v_mul_f32_e32 v87, 0x3f317218, v80
	v_dual_sub_f32 v81, v81, v83 :: v_dual_add_f32 v84, v86, v85
	s_delay_alu instid0(VALU_DEP_1) | instskip(NEXT) | instid1(VALU_DEP_2)
	v_ldexp_f32 v81, v81, 1
	v_sub_f32_e32 v83, v84, v86
	s_delay_alu instid0(VALU_DEP_4) | instskip(NEXT) | instid1(VALU_DEP_1)
	v_fma_f32 v86, 0x3f317218, v80, -v87
	v_dual_sub_f32 v83, v85, v83 :: v_dual_fmamk_f32 v80, v80, 0xb102e308, v86
	s_delay_alu instid0(VALU_DEP_1) | instskip(NEXT) | instid1(VALU_DEP_2)
	v_add_f32_e32 v81, v81, v83
	v_add_f32_e32 v83, v87, v80
	s_delay_alu instid0(VALU_DEP_2) | instskip(NEXT) | instid1(VALU_DEP_2)
	v_add_f32_e32 v85, v84, v81
	v_sub_f32_e32 v87, v83, v87
	s_delay_alu instid0(VALU_DEP_2) | instskip(SKIP_1) | instid1(VALU_DEP_3)
	v_add_f32_e32 v86, v83, v85
	v_sub_f32_e32 v84, v85, v84
	v_sub_f32_e32 v80, v80, v87
	s_delay_alu instid0(VALU_DEP_3) | instskip(NEXT) | instid1(VALU_DEP_3)
	v_sub_f32_e32 v97, v86, v83
	v_sub_f32_e32 v81, v81, v84
	s_delay_alu instid0(VALU_DEP_2) | instskip(SKIP_1) | instid1(VALU_DEP_3)
	v_sub_f32_e32 v84, v85, v97
	v_sub_f32_e32 v98, v86, v97
	v_add_f32_e32 v85, v80, v81
	s_delay_alu instid0(VALU_DEP_2) | instskip(NEXT) | instid1(VALU_DEP_1)
	v_sub_f32_e32 v83, v83, v98
	v_dual_add_f32 v83, v84, v83 :: v_dual_sub_f32 v84, v85, v80
	s_delay_alu instid0(VALU_DEP_1) | instskip(NEXT) | instid1(VALU_DEP_2)
	v_add_f32_e32 v83, v85, v83
	v_sub_f32_e32 v85, v85, v84
	v_sub_f32_e32 v81, v81, v84
	s_delay_alu instid0(VALU_DEP_2) | instskip(NEXT) | instid1(VALU_DEP_1)
	v_dual_add_f32 v87, v86, v83 :: v_dual_sub_f32 v80, v80, v85
	v_sub_f32_e32 v84, v87, v86
	s_delay_alu instid0(VALU_DEP_2) | instskip(NEXT) | instid1(VALU_DEP_2)
	v_add_f32_e32 v80, v81, v80
	v_sub_f32_e32 v81, v83, v84
	s_delay_alu instid0(VALU_DEP_1) | instskip(NEXT) | instid1(VALU_DEP_1)
	v_add_f32_e32 v80, v80, v81
	v_add_f32_e32 v80, v87, v80
	s_delay_alu instid0(VALU_DEP_1) | instskip(NEXT) | instid1(VALU_DEP_1)
	v_cndmask_b32_e64 v80, v80, v82, s14
	v_add_f32_e32 v80, v71, v80
.LBB481_268:
	s_or_b32 exec_lo, exec_lo, s15
	s_delay_alu instid0(VALU_DEP_1) | instskip(SKIP_2) | instid1(VALU_DEP_3)
	v_bfe_u32 v71, v80, 16, 1
	v_cmp_o_f32_e64 s14, v80, v80
	v_lshlrev_b32_e32 v36, 16, v36
	v_add3_u32 v71, v80, v71, 0x7fff
	s_delay_alu instid0(VALU_DEP_1) | instskip(NEXT) | instid1(VALU_DEP_1)
	v_and_b32_e32 v71, 0xffff0000, v71
	v_cndmask_b32_e64 v81, 0x7fc00000, v71, s14
	s_delay_alu instid0(VALU_DEP_1) | instskip(SKIP_1) | instid1(VALU_DEP_2)
	v_dual_max_f32 v71, v36, v36 :: v_dual_max_f32 v80, v81, v81
	v_cmp_u_f32_e64 s14, v81, v81
	v_min_f32_e32 v82, v80, v71
	v_max_f32_e32 v80, v80, v71
	s_delay_alu instid0(VALU_DEP_2) | instskip(NEXT) | instid1(VALU_DEP_2)
	v_cndmask_b32_e64 v82, v82, v81, s14
	v_cndmask_b32_e64 v80, v80, v81, s14
	v_cmp_u_f32_e64 s14, v36, v36
	s_delay_alu instid0(VALU_DEP_1) | instskip(NEXT) | instid1(VALU_DEP_3)
	v_cndmask_b32_e64 v82, v82, v36, s14
	v_cndmask_b32_e64 v80, v80, v36, s14
	s_delay_alu instid0(VALU_DEP_2) | instskip(NEXT) | instid1(VALU_DEP_2)
	v_cmp_class_f32_e64 s16, v82, 0x1f8
	v_cmp_neq_f32_e64 s15, v82, v80
	s_delay_alu instid0(VALU_DEP_1) | instskip(NEXT) | instid1(SALU_CYCLE_1)
	s_or_b32 s15, s15, s16
	s_and_saveexec_b32 s16, s15
	s_cbranch_execz .LBB481_270
; %bb.269:
	v_sub_f32_e32 v81, v82, v80
	s_delay_alu instid0(VALU_DEP_1) | instskip(SKIP_1) | instid1(VALU_DEP_2)
	v_mul_f32_e32 v82, 0x3fb8aa3b, v81
	v_cmp_ngt_f32_e64 s15, 0xc2ce8ed0, v81
	v_fma_f32 v83, 0x3fb8aa3b, v81, -v82
	v_rndne_f32_e32 v84, v82
	s_delay_alu instid0(VALU_DEP_1) | instskip(NEXT) | instid1(VALU_DEP_1)
	v_dual_fmamk_f32 v83, v81, 0x32a5705f, v83 :: v_dual_sub_f32 v82, v82, v84
	v_add_f32_e32 v82, v82, v83
	v_cvt_i32_f32_e32 v83, v84
	s_delay_alu instid0(VALU_DEP_2) | instskip(SKIP_2) | instid1(VALU_DEP_1)
	v_exp_f32_e32 v82, v82
	s_waitcnt_depctr 0xfff
	v_ldexp_f32 v82, v82, v83
	v_cndmask_b32_e64 v82, 0, v82, s15
	v_cmp_nlt_f32_e64 s15, 0x42b17218, v81
	s_delay_alu instid0(VALU_DEP_1) | instskip(NEXT) | instid1(VALU_DEP_1)
	v_cndmask_b32_e64 v83, 0x7f800000, v82, s15
	v_add_f32_e32 v84, 1.0, v83
	v_cmp_gt_f32_e64 s17, 0x33800000, |v83|
	s_delay_alu instid0(VALU_DEP_2) | instskip(NEXT) | instid1(VALU_DEP_1)
	v_cvt_f64_f32_e32 v[81:82], v84
	v_frexp_exp_i32_f64_e32 v81, v[81:82]
	v_frexp_mant_f32_e32 v82, v84
	s_delay_alu instid0(VALU_DEP_1) | instskip(SKIP_1) | instid1(VALU_DEP_1)
	v_cmp_gt_f32_e64 s15, 0x3f2aaaab, v82
	v_add_f32_e32 v82, -1.0, v84
	v_sub_f32_e32 v86, v82, v84
	v_sub_f32_e32 v82, v83, v82
	s_delay_alu instid0(VALU_DEP_2) | instskip(NEXT) | instid1(VALU_DEP_1)
	v_add_f32_e32 v86, 1.0, v86
	v_add_f32_e32 v82, v82, v86
	v_subrev_co_ci_u32_e64 v81, s15, 0, v81, s15
	s_mov_b32 s15, 0x3e9b6dac
	s_delay_alu instid0(VALU_DEP_1) | instskip(SKIP_1) | instid1(VALU_DEP_2)
	v_sub_nc_u32_e32 v85, 0, v81
	v_cvt_f32_i32_e32 v81, v81
	v_ldexp_f32 v84, v84, v85
	v_ldexp_f32 v82, v82, v85
	s_delay_alu instid0(VALU_DEP_2) | instskip(NEXT) | instid1(VALU_DEP_1)
	v_add_f32_e32 v87, 1.0, v84
	v_dual_add_f32 v85, -1.0, v84 :: v_dual_add_f32 v86, -1.0, v87
	s_delay_alu instid0(VALU_DEP_1) | instskip(NEXT) | instid1(VALU_DEP_1)
	v_dual_add_f32 v97, 1.0, v85 :: v_dual_sub_f32 v86, v84, v86
	v_add_f32_e32 v86, v82, v86
	s_delay_alu instid0(VALU_DEP_1) | instskip(NEXT) | instid1(VALU_DEP_1)
	v_dual_sub_f32 v84, v84, v97 :: v_dual_add_f32 v97, v87, v86
	v_sub_f32_e32 v87, v87, v97
	s_delay_alu instid0(VALU_DEP_1) | instskip(NEXT) | instid1(VALU_DEP_3)
	v_add_f32_e32 v86, v86, v87
	v_add_f32_e32 v82, v82, v84
	v_rcp_f32_e32 v84, v97
	s_delay_alu instid0(VALU_DEP_1) | instskip(NEXT) | instid1(VALU_DEP_1)
	v_add_f32_e32 v98, v85, v82
	v_sub_f32_e32 v85, v85, v98
	s_waitcnt_depctr 0xfff
	v_mul_f32_e32 v99, v98, v84
	s_delay_alu instid0(VALU_DEP_1) | instskip(NEXT) | instid1(VALU_DEP_1)
	v_mul_f32_e32 v100, v97, v99
	v_fma_f32 v87, v99, v97, -v100
	s_delay_alu instid0(VALU_DEP_1) | instskip(NEXT) | instid1(VALU_DEP_1)
	v_dual_fmac_f32 v87, v99, v86 :: v_dual_add_f32 v82, v82, v85
	v_add_f32_e32 v101, v100, v87
	s_delay_alu instid0(VALU_DEP_1) | instskip(NEXT) | instid1(VALU_DEP_1)
	v_dual_sub_f32 v102, v98, v101 :: v_dual_sub_f32 v85, v101, v100
	v_dual_sub_f32 v98, v98, v102 :: v_dual_sub_f32 v85, v85, v87
	s_delay_alu instid0(VALU_DEP_1) | instskip(NEXT) | instid1(VALU_DEP_1)
	v_sub_f32_e32 v98, v98, v101
	v_add_f32_e32 v82, v82, v98
	s_delay_alu instid0(VALU_DEP_1) | instskip(NEXT) | instid1(VALU_DEP_1)
	v_add_f32_e32 v82, v85, v82
	v_add_f32_e32 v85, v102, v82
	s_delay_alu instid0(VALU_DEP_1) | instskip(NEXT) | instid1(VALU_DEP_1)
	v_mul_f32_e32 v87, v84, v85
	v_mul_f32_e32 v98, v97, v87
	s_delay_alu instid0(VALU_DEP_1) | instskip(NEXT) | instid1(VALU_DEP_1)
	v_fma_f32 v97, v87, v97, -v98
	v_fmac_f32_e32 v97, v87, v86
	v_sub_f32_e32 v101, v102, v85
	s_delay_alu instid0(VALU_DEP_2) | instskip(NEXT) | instid1(VALU_DEP_2)
	v_add_f32_e32 v86, v98, v97
	v_add_f32_e32 v82, v82, v101
	s_delay_alu instid0(VALU_DEP_2) | instskip(NEXT) | instid1(VALU_DEP_1)
	v_sub_f32_e32 v100, v85, v86
	v_dual_sub_f32 v98, v86, v98 :: v_dual_sub_f32 v85, v85, v100
	s_delay_alu instid0(VALU_DEP_1) | instskip(NEXT) | instid1(VALU_DEP_1)
	v_dual_sub_f32 v85, v85, v86 :: v_dual_sub_f32 v86, v98, v97
	v_dual_add_f32 v82, v82, v85 :: v_dual_add_f32 v85, v99, v87
	s_delay_alu instid0(VALU_DEP_1) | instskip(NEXT) | instid1(VALU_DEP_2)
	v_add_f32_e32 v82, v86, v82
	v_sub_f32_e32 v86, v85, v99
	s_delay_alu instid0(VALU_DEP_2) | instskip(NEXT) | instid1(VALU_DEP_2)
	v_add_f32_e32 v82, v100, v82
	v_sub_f32_e32 v86, v87, v86
	s_delay_alu instid0(VALU_DEP_2) | instskip(NEXT) | instid1(VALU_DEP_1)
	v_mul_f32_e32 v82, v84, v82
	v_add_f32_e32 v82, v86, v82
	s_delay_alu instid0(VALU_DEP_1) | instskip(NEXT) | instid1(VALU_DEP_1)
	v_add_f32_e32 v84, v85, v82
	v_mul_f32_e32 v86, v84, v84
	s_delay_alu instid0(VALU_DEP_1) | instskip(SKIP_2) | instid1(VALU_DEP_3)
	v_fmaak_f32 v87, s15, v86, 0x3ecc95a3
	v_mul_f32_e32 v97, v84, v86
	v_cmp_eq_f32_e64 s15, 0x7f800000, v83
	v_fmaak_f32 v86, v86, v87, 0x3f2aaada
	v_ldexp_f32 v87, v84, 1
	v_sub_f32_e32 v84, v84, v85
	s_delay_alu instid0(VALU_DEP_4) | instskip(NEXT) | instid1(VALU_DEP_3)
	s_or_b32 s15, s15, s17
	v_dual_mul_f32 v86, v97, v86 :: v_dual_mul_f32 v97, 0x3f317218, v81
	s_delay_alu instid0(VALU_DEP_1) | instskip(NEXT) | instid1(VALU_DEP_1)
	v_dual_sub_f32 v82, v82, v84 :: v_dual_add_f32 v85, v87, v86
	v_ldexp_f32 v82, v82, 1
	s_delay_alu instid0(VALU_DEP_2) | instskip(NEXT) | instid1(VALU_DEP_4)
	v_sub_f32_e32 v84, v85, v87
	v_fma_f32 v87, 0x3f317218, v81, -v97
	s_delay_alu instid0(VALU_DEP_1) | instskip(NEXT) | instid1(VALU_DEP_1)
	v_dual_sub_f32 v84, v86, v84 :: v_dual_fmamk_f32 v81, v81, 0xb102e308, v87
	v_add_f32_e32 v82, v82, v84
	s_delay_alu instid0(VALU_DEP_2) | instskip(NEXT) | instid1(VALU_DEP_1)
	v_add_f32_e32 v84, v97, v81
	v_dual_add_f32 v86, v85, v82 :: v_dual_sub_f32 v97, v84, v97
	s_delay_alu instid0(VALU_DEP_1) | instskip(SKIP_1) | instid1(VALU_DEP_2)
	v_add_f32_e32 v87, v84, v86
	v_sub_f32_e32 v85, v86, v85
	v_dual_sub_f32 v81, v81, v97 :: v_dual_sub_f32 v98, v87, v84
	s_delay_alu instid0(VALU_DEP_1) | instskip(SKIP_1) | instid1(VALU_DEP_2)
	v_dual_sub_f32 v82, v82, v85 :: v_dual_sub_f32 v99, v87, v98
	v_sub_f32_e32 v85, v86, v98
	v_add_f32_e32 v86, v81, v82
	s_delay_alu instid0(VALU_DEP_3) | instskip(NEXT) | instid1(VALU_DEP_1)
	v_sub_f32_e32 v84, v84, v99
	v_dual_add_f32 v84, v85, v84 :: v_dual_sub_f32 v85, v86, v81
	s_delay_alu instid0(VALU_DEP_1) | instskip(NEXT) | instid1(VALU_DEP_2)
	v_add_f32_e32 v84, v86, v84
	v_sub_f32_e32 v86, v86, v85
	s_delay_alu instid0(VALU_DEP_2) | instskip(NEXT) | instid1(VALU_DEP_2)
	v_dual_sub_f32 v82, v82, v85 :: v_dual_add_f32 v97, v87, v84
	v_sub_f32_e32 v81, v81, v86
	s_delay_alu instid0(VALU_DEP_2) | instskip(NEXT) | instid1(VALU_DEP_2)
	v_sub_f32_e32 v85, v97, v87
	v_add_f32_e32 v81, v82, v81
	s_delay_alu instid0(VALU_DEP_2) | instskip(NEXT) | instid1(VALU_DEP_1)
	v_sub_f32_e32 v82, v84, v85
	v_add_f32_e32 v81, v81, v82
	s_delay_alu instid0(VALU_DEP_1) | instskip(NEXT) | instid1(VALU_DEP_1)
	v_add_f32_e32 v81, v97, v81
	v_cndmask_b32_e64 v81, v81, v83, s15
	s_delay_alu instid0(VALU_DEP_1)
	v_add_f32_e32 v81, v80, v81
.LBB481_270:
	s_or_b32 exec_lo, exec_lo, s16
	s_delay_alu instid0(VALU_DEP_1) | instskip(SKIP_2) | instid1(VALU_DEP_3)
	v_bfe_u32 v80, v81, 16, 1
	v_cmp_o_f32_e64 s15, v81, v81
	v_lshlrev_b32_e32 v35, 16, v35
	v_add3_u32 v80, v81, v80, 0x7fff
	s_delay_alu instid0(VALU_DEP_1) | instskip(NEXT) | instid1(VALU_DEP_1)
	v_and_b32_e32 v80, 0xffff0000, v80
	v_cndmask_b32_e64 v82, 0x7fc00000, v80, s15
	s_delay_alu instid0(VALU_DEP_1) | instskip(SKIP_1) | instid1(VALU_DEP_2)
	v_dual_max_f32 v80, v35, v35 :: v_dual_max_f32 v81, v82, v82
	v_cmp_u_f32_e64 s15, v82, v82
	v_min_f32_e32 v83, v81, v80
	v_max_f32_e32 v81, v81, v80
	s_delay_alu instid0(VALU_DEP_2) | instskip(NEXT) | instid1(VALU_DEP_2)
	v_cndmask_b32_e64 v83, v83, v82, s15
	v_cndmask_b32_e64 v81, v81, v82, s15
	v_cmp_u_f32_e64 s15, v35, v35
	s_delay_alu instid0(VALU_DEP_1) | instskip(NEXT) | instid1(VALU_DEP_3)
	v_cndmask_b32_e64 v83, v83, v35, s15
	v_cndmask_b32_e64 v81, v81, v35, s15
	s_delay_alu instid0(VALU_DEP_2) | instskip(NEXT) | instid1(VALU_DEP_2)
	v_cmp_class_f32_e64 s17, v83, 0x1f8
	v_cmp_neq_f32_e64 s16, v83, v81
	s_delay_alu instid0(VALU_DEP_1) | instskip(NEXT) | instid1(SALU_CYCLE_1)
	s_or_b32 s16, s16, s17
	s_and_saveexec_b32 s17, s16
	s_cbranch_execz .LBB481_272
; %bb.271:
	v_sub_f32_e32 v82, v83, v81
	s_delay_alu instid0(VALU_DEP_1) | instskip(SKIP_1) | instid1(VALU_DEP_2)
	v_mul_f32_e32 v83, 0x3fb8aa3b, v82
	v_cmp_ngt_f32_e64 s16, 0xc2ce8ed0, v82
	v_fma_f32 v84, 0x3fb8aa3b, v82, -v83
	v_rndne_f32_e32 v85, v83
	s_delay_alu instid0(VALU_DEP_1) | instskip(NEXT) | instid1(VALU_DEP_1)
	v_dual_fmamk_f32 v84, v82, 0x32a5705f, v84 :: v_dual_sub_f32 v83, v83, v85
	v_add_f32_e32 v83, v83, v84
	v_cvt_i32_f32_e32 v84, v85
	s_delay_alu instid0(VALU_DEP_2) | instskip(SKIP_2) | instid1(VALU_DEP_1)
	v_exp_f32_e32 v83, v83
	s_waitcnt_depctr 0xfff
	v_ldexp_f32 v83, v83, v84
	v_cndmask_b32_e64 v83, 0, v83, s16
	v_cmp_nlt_f32_e64 s16, 0x42b17218, v82
	s_delay_alu instid0(VALU_DEP_1) | instskip(NEXT) | instid1(VALU_DEP_1)
	v_cndmask_b32_e64 v84, 0x7f800000, v83, s16
	v_add_f32_e32 v85, 1.0, v84
	v_cmp_gt_f32_e64 s18, 0x33800000, |v84|
	s_delay_alu instid0(VALU_DEP_2) | instskip(NEXT) | instid1(VALU_DEP_1)
	v_cvt_f64_f32_e32 v[82:83], v85
	v_frexp_exp_i32_f64_e32 v82, v[82:83]
	v_frexp_mant_f32_e32 v83, v85
	s_delay_alu instid0(VALU_DEP_1) | instskip(SKIP_1) | instid1(VALU_DEP_1)
	v_cmp_gt_f32_e64 s16, 0x3f2aaaab, v83
	v_add_f32_e32 v83, -1.0, v85
	v_sub_f32_e32 v87, v83, v85
	v_sub_f32_e32 v83, v84, v83
	s_delay_alu instid0(VALU_DEP_2) | instskip(NEXT) | instid1(VALU_DEP_1)
	v_add_f32_e32 v87, 1.0, v87
	v_add_f32_e32 v83, v83, v87
	v_subrev_co_ci_u32_e64 v82, s16, 0, v82, s16
	s_mov_b32 s16, 0x3e9b6dac
	s_delay_alu instid0(VALU_DEP_1) | instskip(SKIP_1) | instid1(VALU_DEP_2)
	v_sub_nc_u32_e32 v86, 0, v82
	v_cvt_f32_i32_e32 v82, v82
	v_ldexp_f32 v85, v85, v86
	v_ldexp_f32 v83, v83, v86
	s_delay_alu instid0(VALU_DEP_2) | instskip(SKIP_1) | instid1(VALU_DEP_1)
	v_add_f32_e32 v97, 1.0, v85
	v_add_f32_e32 v86, -1.0, v85
	v_dual_add_f32 v87, -1.0, v97 :: v_dual_add_f32 v98, 1.0, v86
	s_delay_alu instid0(VALU_DEP_1) | instskip(NEXT) | instid1(VALU_DEP_2)
	v_sub_f32_e32 v87, v85, v87
	v_sub_f32_e32 v85, v85, v98
	s_delay_alu instid0(VALU_DEP_2) | instskip(NEXT) | instid1(VALU_DEP_1)
	v_add_f32_e32 v87, v83, v87
	v_add_f32_e32 v98, v97, v87
	s_delay_alu instid0(VALU_DEP_1) | instskip(NEXT) | instid1(VALU_DEP_1)
	v_sub_f32_e32 v97, v97, v98
	v_add_f32_e32 v87, v87, v97
	v_add_f32_e32 v83, v83, v85
	v_rcp_f32_e32 v85, v98
	s_delay_alu instid0(VALU_DEP_1) | instskip(NEXT) | instid1(VALU_DEP_1)
	v_add_f32_e32 v99, v86, v83
	v_sub_f32_e32 v86, v86, v99
	s_waitcnt_depctr 0xfff
	v_mul_f32_e32 v100, v99, v85
	v_add_f32_e32 v83, v83, v86
	s_delay_alu instid0(VALU_DEP_2) | instskip(NEXT) | instid1(VALU_DEP_1)
	v_mul_f32_e32 v101, v98, v100
	v_fma_f32 v97, v100, v98, -v101
	s_delay_alu instid0(VALU_DEP_1) | instskip(NEXT) | instid1(VALU_DEP_1)
	v_fmac_f32_e32 v97, v100, v87
	v_add_f32_e32 v102, v101, v97
	s_delay_alu instid0(VALU_DEP_1) | instskip(NEXT) | instid1(VALU_DEP_1)
	v_dual_sub_f32 v103, v99, v102 :: v_dual_sub_f32 v86, v102, v101
	v_dual_sub_f32 v99, v99, v103 :: v_dual_sub_f32 v86, v86, v97
	s_delay_alu instid0(VALU_DEP_1) | instskip(NEXT) | instid1(VALU_DEP_1)
	v_sub_f32_e32 v99, v99, v102
	v_add_f32_e32 v83, v83, v99
	s_delay_alu instid0(VALU_DEP_1) | instskip(NEXT) | instid1(VALU_DEP_1)
	v_add_f32_e32 v83, v86, v83
	v_add_f32_e32 v86, v103, v83
	s_delay_alu instid0(VALU_DEP_1) | instskip(NEXT) | instid1(VALU_DEP_1)
	v_mul_f32_e32 v97, v85, v86
	v_dual_sub_f32 v102, v103, v86 :: v_dual_mul_f32 v99, v98, v97
	s_delay_alu instid0(VALU_DEP_1) | instskip(NEXT) | instid1(VALU_DEP_2)
	v_add_f32_e32 v83, v83, v102
	v_fma_f32 v98, v97, v98, -v99
	s_delay_alu instid0(VALU_DEP_1) | instskip(NEXT) | instid1(VALU_DEP_1)
	v_fmac_f32_e32 v98, v97, v87
	v_add_f32_e32 v87, v99, v98
	s_delay_alu instid0(VALU_DEP_1) | instskip(NEXT) | instid1(VALU_DEP_1)
	v_sub_f32_e32 v101, v86, v87
	v_dual_sub_f32 v99, v87, v99 :: v_dual_sub_f32 v86, v86, v101
	s_delay_alu instid0(VALU_DEP_1) | instskip(NEXT) | instid1(VALU_DEP_1)
	v_dual_sub_f32 v86, v86, v87 :: v_dual_sub_f32 v87, v99, v98
	v_dual_add_f32 v83, v83, v86 :: v_dual_add_f32 v86, v100, v97
	s_delay_alu instid0(VALU_DEP_1) | instskip(NEXT) | instid1(VALU_DEP_2)
	v_add_f32_e32 v83, v87, v83
	v_sub_f32_e32 v87, v86, v100
	s_delay_alu instid0(VALU_DEP_2) | instskip(NEXT) | instid1(VALU_DEP_2)
	v_add_f32_e32 v83, v101, v83
	v_sub_f32_e32 v87, v97, v87
	s_delay_alu instid0(VALU_DEP_2) | instskip(NEXT) | instid1(VALU_DEP_1)
	v_mul_f32_e32 v83, v85, v83
	v_add_f32_e32 v83, v87, v83
	s_delay_alu instid0(VALU_DEP_1) | instskip(NEXT) | instid1(VALU_DEP_1)
	v_add_f32_e32 v85, v86, v83
	v_mul_f32_e32 v87, v85, v85
	s_delay_alu instid0(VALU_DEP_1) | instskip(SKIP_2) | instid1(VALU_DEP_3)
	v_fmaak_f32 v97, s16, v87, 0x3ecc95a3
	v_mul_f32_e32 v98, v85, v87
	v_cmp_eq_f32_e64 s16, 0x7f800000, v84
	v_fmaak_f32 v87, v87, v97, 0x3f2aaada
	v_ldexp_f32 v97, v85, 1
	v_sub_f32_e32 v85, v85, v86
	s_delay_alu instid0(VALU_DEP_4) | instskip(NEXT) | instid1(VALU_DEP_3)
	s_or_b32 s16, s16, s18
	v_dual_mul_f32 v87, v98, v87 :: v_dual_mul_f32 v98, 0x3f317218, v82
	s_delay_alu instid0(VALU_DEP_1) | instskip(NEXT) | instid1(VALU_DEP_1)
	v_dual_sub_f32 v83, v83, v85 :: v_dual_add_f32 v86, v97, v87
	v_ldexp_f32 v83, v83, 1
	s_delay_alu instid0(VALU_DEP_2) | instskip(NEXT) | instid1(VALU_DEP_4)
	v_sub_f32_e32 v85, v86, v97
	v_fma_f32 v97, 0x3f317218, v82, -v98
	s_delay_alu instid0(VALU_DEP_1) | instskip(NEXT) | instid1(VALU_DEP_1)
	v_dual_sub_f32 v85, v87, v85 :: v_dual_fmamk_f32 v82, v82, 0xb102e308, v97
	v_add_f32_e32 v83, v83, v85
	s_delay_alu instid0(VALU_DEP_2) | instskip(NEXT) | instid1(VALU_DEP_1)
	v_add_f32_e32 v85, v98, v82
	v_dual_add_f32 v87, v86, v83 :: v_dual_sub_f32 v98, v85, v98
	s_delay_alu instid0(VALU_DEP_1) | instskip(NEXT) | instid1(VALU_DEP_1)
	v_dual_add_f32 v97, v85, v87 :: v_dual_sub_f32 v86, v87, v86
	v_dual_sub_f32 v82, v82, v98 :: v_dual_sub_f32 v99, v97, v85
	s_delay_alu instid0(VALU_DEP_1) | instskip(SKIP_1) | instid1(VALU_DEP_2)
	v_dual_sub_f32 v83, v83, v86 :: v_dual_sub_f32 v100, v97, v99
	v_sub_f32_e32 v86, v87, v99
	v_add_f32_e32 v87, v82, v83
	s_delay_alu instid0(VALU_DEP_3) | instskip(NEXT) | instid1(VALU_DEP_1)
	v_sub_f32_e32 v85, v85, v100
	v_dual_add_f32 v85, v86, v85 :: v_dual_sub_f32 v86, v87, v82
	s_delay_alu instid0(VALU_DEP_1) | instskip(NEXT) | instid1(VALU_DEP_2)
	v_add_f32_e32 v85, v87, v85
	v_sub_f32_e32 v87, v87, v86
	s_delay_alu instid0(VALU_DEP_2) | instskip(NEXT) | instid1(VALU_DEP_2)
	v_dual_sub_f32 v83, v83, v86 :: v_dual_add_f32 v98, v97, v85
	v_sub_f32_e32 v82, v82, v87
	s_delay_alu instid0(VALU_DEP_2) | instskip(NEXT) | instid1(VALU_DEP_2)
	v_sub_f32_e32 v86, v98, v97
	v_add_f32_e32 v82, v83, v82
	s_delay_alu instid0(VALU_DEP_2) | instskip(NEXT) | instid1(VALU_DEP_1)
	v_sub_f32_e32 v83, v85, v86
	v_add_f32_e32 v82, v82, v83
	s_delay_alu instid0(VALU_DEP_1) | instskip(NEXT) | instid1(VALU_DEP_1)
	v_add_f32_e32 v82, v98, v82
	v_cndmask_b32_e64 v82, v82, v84, s16
	s_delay_alu instid0(VALU_DEP_1)
	v_add_f32_e32 v82, v81, v82
.LBB481_272:
	s_or_b32 exec_lo, exec_lo, s17
	s_delay_alu instid0(VALU_DEP_1) | instskip(SKIP_2) | instid1(VALU_DEP_3)
	v_bfe_u32 v81, v82, 16, 1
	v_cmp_o_f32_e64 s16, v82, v82
	v_lshlrev_b32_e32 v34, 16, v34
	v_add3_u32 v81, v82, v81, 0x7fff
	s_delay_alu instid0(VALU_DEP_1) | instskip(NEXT) | instid1(VALU_DEP_1)
	v_and_b32_e32 v81, 0xffff0000, v81
	v_cndmask_b32_e64 v83, 0x7fc00000, v81, s16
	s_delay_alu instid0(VALU_DEP_1) | instskip(SKIP_1) | instid1(VALU_DEP_2)
	v_dual_max_f32 v81, v34, v34 :: v_dual_max_f32 v82, v83, v83
	v_cmp_u_f32_e64 s16, v83, v83
	v_min_f32_e32 v84, v82, v81
	v_max_f32_e32 v82, v82, v81
	s_delay_alu instid0(VALU_DEP_2) | instskip(NEXT) | instid1(VALU_DEP_2)
	v_cndmask_b32_e64 v84, v84, v83, s16
	v_cndmask_b32_e64 v82, v82, v83, s16
	v_cmp_u_f32_e64 s16, v34, v34
	s_delay_alu instid0(VALU_DEP_1) | instskip(NEXT) | instid1(VALU_DEP_3)
	v_cndmask_b32_e64 v84, v84, v34, s16
	v_cndmask_b32_e64 v82, v82, v34, s16
	s_delay_alu instid0(VALU_DEP_2) | instskip(NEXT) | instid1(VALU_DEP_2)
	v_cmp_class_f32_e64 s18, v84, 0x1f8
	v_cmp_neq_f32_e64 s17, v84, v82
	s_delay_alu instid0(VALU_DEP_1) | instskip(NEXT) | instid1(SALU_CYCLE_1)
	s_or_b32 s17, s17, s18
	s_and_saveexec_b32 s18, s17
	s_cbranch_execz .LBB481_274
; %bb.273:
	v_sub_f32_e32 v83, v84, v82
	s_delay_alu instid0(VALU_DEP_1) | instskip(SKIP_1) | instid1(VALU_DEP_2)
	v_mul_f32_e32 v84, 0x3fb8aa3b, v83
	v_cmp_ngt_f32_e64 s17, 0xc2ce8ed0, v83
	v_fma_f32 v85, 0x3fb8aa3b, v83, -v84
	v_rndne_f32_e32 v86, v84
	s_delay_alu instid0(VALU_DEP_1) | instskip(NEXT) | instid1(VALU_DEP_1)
	v_dual_fmamk_f32 v85, v83, 0x32a5705f, v85 :: v_dual_sub_f32 v84, v84, v86
	v_add_f32_e32 v84, v84, v85
	v_cvt_i32_f32_e32 v85, v86
	s_delay_alu instid0(VALU_DEP_2) | instskip(SKIP_2) | instid1(VALU_DEP_1)
	v_exp_f32_e32 v84, v84
	s_waitcnt_depctr 0xfff
	v_ldexp_f32 v84, v84, v85
	v_cndmask_b32_e64 v84, 0, v84, s17
	v_cmp_nlt_f32_e64 s17, 0x42b17218, v83
	s_delay_alu instid0(VALU_DEP_1) | instskip(NEXT) | instid1(VALU_DEP_1)
	v_cndmask_b32_e64 v85, 0x7f800000, v84, s17
	v_add_f32_e32 v86, 1.0, v85
	v_cmp_gt_f32_e64 s19, 0x33800000, |v85|
	s_delay_alu instid0(VALU_DEP_2) | instskip(NEXT) | instid1(VALU_DEP_1)
	v_cvt_f64_f32_e32 v[83:84], v86
	v_frexp_exp_i32_f64_e32 v83, v[83:84]
	v_frexp_mant_f32_e32 v84, v86
	s_delay_alu instid0(VALU_DEP_1) | instskip(SKIP_1) | instid1(VALU_DEP_1)
	v_cmp_gt_f32_e64 s17, 0x3f2aaaab, v84
	v_add_f32_e32 v84, -1.0, v86
	v_dual_sub_f32 v97, v84, v86 :: v_dual_sub_f32 v84, v85, v84
	s_delay_alu instid0(VALU_DEP_1) | instskip(NEXT) | instid1(VALU_DEP_4)
	v_add_f32_e32 v97, 1.0, v97
	v_subrev_co_ci_u32_e64 v83, s17, 0, v83, s17
	s_mov_b32 s17, 0x3e9b6dac
	s_delay_alu instid0(VALU_DEP_1) | instskip(SKIP_1) | instid1(VALU_DEP_2)
	v_sub_nc_u32_e32 v87, 0, v83
	v_cvt_f32_i32_e32 v83, v83
	v_ldexp_f32 v86, v86, v87
	v_add_f32_e32 v84, v84, v97
	s_delay_alu instid0(VALU_DEP_1) | instskip(NEXT) | instid1(VALU_DEP_3)
	v_ldexp_f32 v84, v84, v87
	v_add_f32_e32 v87, -1.0, v86
	s_delay_alu instid0(VALU_DEP_1) | instskip(NEXT) | instid1(VALU_DEP_1)
	v_dual_add_f32 v98, 1.0, v86 :: v_dual_add_f32 v99, 1.0, v87
	v_add_f32_e32 v97, -1.0, v98
	s_delay_alu instid0(VALU_DEP_1) | instskip(NEXT) | instid1(VALU_DEP_1)
	v_sub_f32_e32 v97, v86, v97
	v_dual_sub_f32 v86, v86, v99 :: v_dual_add_f32 v97, v84, v97
	s_delay_alu instid0(VALU_DEP_1) | instskip(NEXT) | instid1(VALU_DEP_1)
	v_dual_add_f32 v84, v84, v86 :: v_dual_add_f32 v99, v98, v97
	v_rcp_f32_e32 v86, v99
	v_sub_f32_e32 v98, v98, v99
	s_delay_alu instid0(VALU_DEP_1) | instskip(NEXT) | instid1(VALU_DEP_1)
	v_dual_add_f32 v100, v87, v84 :: v_dual_add_f32 v97, v97, v98
	v_sub_f32_e32 v87, v87, v100
	s_waitcnt_depctr 0xfff
	v_mul_f32_e32 v101, v100, v86
	v_add_f32_e32 v84, v84, v87
	s_delay_alu instid0(VALU_DEP_2) | instskip(NEXT) | instid1(VALU_DEP_1)
	v_mul_f32_e32 v102, v99, v101
	v_fma_f32 v98, v101, v99, -v102
	s_delay_alu instid0(VALU_DEP_1) | instskip(NEXT) | instid1(VALU_DEP_1)
	v_fmac_f32_e32 v98, v101, v97
	v_add_f32_e32 v103, v102, v98
	s_delay_alu instid0(VALU_DEP_1) | instskip(NEXT) | instid1(VALU_DEP_1)
	v_sub_f32_e32 v112, v100, v103
	v_dual_sub_f32 v100, v100, v112 :: v_dual_sub_f32 v87, v103, v102
	s_delay_alu instid0(VALU_DEP_1) | instskip(NEXT) | instid1(VALU_DEP_1)
	v_dual_sub_f32 v100, v100, v103 :: v_dual_sub_f32 v87, v87, v98
	v_add_f32_e32 v84, v84, v100
	s_delay_alu instid0(VALU_DEP_1) | instskip(NEXT) | instid1(VALU_DEP_1)
	v_add_f32_e32 v84, v87, v84
	v_add_f32_e32 v87, v112, v84
	s_delay_alu instid0(VALU_DEP_1) | instskip(NEXT) | instid1(VALU_DEP_1)
	v_mul_f32_e32 v98, v86, v87
	v_dual_sub_f32 v103, v112, v87 :: v_dual_mul_f32 v100, v99, v98
	s_delay_alu instid0(VALU_DEP_1) | instskip(NEXT) | instid1(VALU_DEP_2)
	v_add_f32_e32 v84, v84, v103
	v_fma_f32 v99, v98, v99, -v100
	s_delay_alu instid0(VALU_DEP_1) | instskip(NEXT) | instid1(VALU_DEP_1)
	v_fmac_f32_e32 v99, v98, v97
	v_add_f32_e32 v97, v100, v99
	s_delay_alu instid0(VALU_DEP_1) | instskip(SKIP_1) | instid1(VALU_DEP_1)
	v_sub_f32_e32 v100, v97, v100
	v_sub_f32_e32 v102, v87, v97
	;; [unrolled: 1-line block ×3, first 2 shown]
	s_delay_alu instid0(VALU_DEP_1) | instskip(NEXT) | instid1(VALU_DEP_4)
	v_sub_f32_e32 v87, v87, v97
	v_sub_f32_e32 v97, v100, v99
	s_delay_alu instid0(VALU_DEP_2) | instskip(NEXT) | instid1(VALU_DEP_1)
	v_dual_add_f32 v84, v84, v87 :: v_dual_add_f32 v87, v101, v98
	v_dual_add_f32 v84, v97, v84 :: v_dual_sub_f32 v97, v87, v101
	s_delay_alu instid0(VALU_DEP_1) | instskip(NEXT) | instid1(VALU_DEP_2)
	v_add_f32_e32 v84, v102, v84
	v_sub_f32_e32 v97, v98, v97
	s_delay_alu instid0(VALU_DEP_2) | instskip(NEXT) | instid1(VALU_DEP_1)
	v_mul_f32_e32 v84, v86, v84
	v_add_f32_e32 v84, v97, v84
	s_delay_alu instid0(VALU_DEP_1) | instskip(NEXT) | instid1(VALU_DEP_1)
	v_add_f32_e32 v86, v87, v84
	v_mul_f32_e32 v97, v86, v86
	s_delay_alu instid0(VALU_DEP_1) | instskip(SKIP_2) | instid1(VALU_DEP_3)
	v_fmaak_f32 v98, s17, v97, 0x3ecc95a3
	v_mul_f32_e32 v99, v86, v97
	v_cmp_eq_f32_e64 s17, 0x7f800000, v85
	v_fmaak_f32 v97, v97, v98, 0x3f2aaada
	v_ldexp_f32 v98, v86, 1
	v_sub_f32_e32 v86, v86, v87
	s_delay_alu instid0(VALU_DEP_4) | instskip(NEXT) | instid1(VALU_DEP_3)
	s_or_b32 s17, s17, s19
	v_mul_f32_e32 v97, v99, v97
	s_delay_alu instid0(VALU_DEP_2) | instskip(NEXT) | instid1(VALU_DEP_2)
	v_dual_mul_f32 v99, 0x3f317218, v83 :: v_dual_sub_f32 v84, v84, v86
	v_add_f32_e32 v87, v98, v97
	s_delay_alu instid0(VALU_DEP_2) | instskip(NEXT) | instid1(VALU_DEP_2)
	v_ldexp_f32 v84, v84, 1
	v_sub_f32_e32 v86, v87, v98
	s_delay_alu instid0(VALU_DEP_4) | instskip(NEXT) | instid1(VALU_DEP_1)
	v_fma_f32 v98, 0x3f317218, v83, -v99
	v_dual_sub_f32 v86, v97, v86 :: v_dual_fmamk_f32 v83, v83, 0xb102e308, v98
	s_delay_alu instid0(VALU_DEP_1) | instskip(NEXT) | instid1(VALU_DEP_2)
	v_add_f32_e32 v84, v84, v86
	v_add_f32_e32 v86, v99, v83
	s_delay_alu instid0(VALU_DEP_1) | instskip(NEXT) | instid1(VALU_DEP_3)
	v_sub_f32_e32 v99, v86, v99
	v_add_f32_e32 v97, v87, v84
	s_delay_alu instid0(VALU_DEP_1) | instskip(SKIP_1) | instid1(VALU_DEP_1)
	v_dual_sub_f32 v83, v83, v99 :: v_dual_add_f32 v98, v86, v97
	v_sub_f32_e32 v87, v97, v87
	v_sub_f32_e32 v84, v84, v87
	s_delay_alu instid0(VALU_DEP_3) | instskip(NEXT) | instid1(VALU_DEP_1)
	v_sub_f32_e32 v100, v98, v86
	v_sub_f32_e32 v87, v97, v100
	s_delay_alu instid0(VALU_DEP_3) | instskip(SKIP_1) | instid1(VALU_DEP_1)
	v_add_f32_e32 v97, v83, v84
	v_sub_f32_e32 v101, v98, v100
	v_sub_f32_e32 v86, v86, v101
	s_delay_alu instid0(VALU_DEP_1) | instskip(NEXT) | instid1(VALU_DEP_1)
	v_dual_add_f32 v86, v87, v86 :: v_dual_sub_f32 v87, v97, v83
	v_add_f32_e32 v86, v97, v86
	s_delay_alu instid0(VALU_DEP_2) | instskip(NEXT) | instid1(VALU_DEP_1)
	v_sub_f32_e32 v97, v97, v87
	v_sub_f32_e32 v83, v83, v97
	s_delay_alu instid0(VALU_DEP_3) | instskip(NEXT) | instid1(VALU_DEP_1)
	v_dual_add_f32 v99, v98, v86 :: v_dual_sub_f32 v84, v84, v87
	v_sub_f32_e32 v87, v99, v98
	s_delay_alu instid0(VALU_DEP_2) | instskip(NEXT) | instid1(VALU_DEP_2)
	v_add_f32_e32 v83, v84, v83
	v_sub_f32_e32 v84, v86, v87
	s_delay_alu instid0(VALU_DEP_1) | instskip(NEXT) | instid1(VALU_DEP_1)
	v_add_f32_e32 v83, v83, v84
	v_add_f32_e32 v83, v99, v83
	s_delay_alu instid0(VALU_DEP_1) | instskip(NEXT) | instid1(VALU_DEP_1)
	v_cndmask_b32_e64 v83, v83, v85, s17
	v_add_f32_e32 v83, v82, v83
.LBB481_274:
	s_or_b32 exec_lo, exec_lo, s18
	s_delay_alu instid0(VALU_DEP_1) | instskip(SKIP_2) | instid1(VALU_DEP_3)
	v_bfe_u32 v82, v83, 16, 1
	v_cmp_o_f32_e64 s17, v83, v83
	v_lshlrev_b32_e32 v33, 16, v33
	v_add3_u32 v82, v83, v82, 0x7fff
	s_delay_alu instid0(VALU_DEP_1) | instskip(NEXT) | instid1(VALU_DEP_1)
	v_and_b32_e32 v82, 0xffff0000, v82
	v_cndmask_b32_e64 v84, 0x7fc00000, v82, s17
	s_delay_alu instid0(VALU_DEP_1) | instskip(SKIP_1) | instid1(VALU_DEP_2)
	v_dual_max_f32 v82, v33, v33 :: v_dual_max_f32 v83, v84, v84
	v_cmp_u_f32_e64 s17, v84, v84
	v_min_f32_e32 v85, v83, v82
	v_max_f32_e32 v83, v83, v82
	s_delay_alu instid0(VALU_DEP_2) | instskip(NEXT) | instid1(VALU_DEP_2)
	v_cndmask_b32_e64 v85, v85, v84, s17
	v_cndmask_b32_e64 v83, v83, v84, s17
	v_cmp_u_f32_e64 s17, v33, v33
	s_delay_alu instid0(VALU_DEP_1) | instskip(NEXT) | instid1(VALU_DEP_3)
	v_cndmask_b32_e64 v85, v85, v33, s17
	v_cndmask_b32_e64 v83, v83, v33, s17
	s_delay_alu instid0(VALU_DEP_2) | instskip(NEXT) | instid1(VALU_DEP_2)
	v_cmp_class_f32_e64 s19, v85, 0x1f8
	v_cmp_neq_f32_e64 s18, v85, v83
	s_delay_alu instid0(VALU_DEP_1) | instskip(NEXT) | instid1(SALU_CYCLE_1)
	s_or_b32 s18, s18, s19
	s_and_saveexec_b32 s19, s18
	s_cbranch_execz .LBB481_276
; %bb.275:
	v_sub_f32_e32 v84, v85, v83
	s_delay_alu instid0(VALU_DEP_1) | instskip(SKIP_1) | instid1(VALU_DEP_2)
	v_mul_f32_e32 v85, 0x3fb8aa3b, v84
	v_cmp_ngt_f32_e64 s18, 0xc2ce8ed0, v84
	v_fma_f32 v86, 0x3fb8aa3b, v84, -v85
	v_rndne_f32_e32 v87, v85
	s_delay_alu instid0(VALU_DEP_1) | instskip(NEXT) | instid1(VALU_DEP_1)
	v_dual_fmamk_f32 v86, v84, 0x32a5705f, v86 :: v_dual_sub_f32 v85, v85, v87
	v_add_f32_e32 v85, v85, v86
	v_cvt_i32_f32_e32 v86, v87
	s_delay_alu instid0(VALU_DEP_2) | instskip(SKIP_2) | instid1(VALU_DEP_1)
	v_exp_f32_e32 v85, v85
	s_waitcnt_depctr 0xfff
	v_ldexp_f32 v85, v85, v86
	v_cndmask_b32_e64 v85, 0, v85, s18
	v_cmp_nlt_f32_e64 s18, 0x42b17218, v84
	s_delay_alu instid0(VALU_DEP_1) | instskip(NEXT) | instid1(VALU_DEP_1)
	v_cndmask_b32_e64 v86, 0x7f800000, v85, s18
	v_add_f32_e32 v87, 1.0, v86
	v_cmp_gt_f32_e64 s20, 0x33800000, |v86|
	s_delay_alu instid0(VALU_DEP_2) | instskip(NEXT) | instid1(VALU_DEP_1)
	v_cvt_f64_f32_e32 v[84:85], v87
	v_frexp_exp_i32_f64_e32 v84, v[84:85]
	v_frexp_mant_f32_e32 v85, v87
	s_delay_alu instid0(VALU_DEP_1) | instskip(SKIP_1) | instid1(VALU_DEP_1)
	v_cmp_gt_f32_e64 s18, 0x3f2aaaab, v85
	v_add_f32_e32 v85, -1.0, v87
	v_dual_sub_f32 v98, v85, v87 :: v_dual_sub_f32 v85, v86, v85
	s_delay_alu instid0(VALU_DEP_1) | instskip(NEXT) | instid1(VALU_DEP_1)
	v_add_f32_e32 v98, 1.0, v98
	v_add_f32_e32 v85, v85, v98
	v_subrev_co_ci_u32_e64 v84, s18, 0, v84, s18
	s_mov_b32 s18, 0x3e9b6dac
	s_delay_alu instid0(VALU_DEP_1) | instskip(SKIP_1) | instid1(VALU_DEP_2)
	v_sub_nc_u32_e32 v97, 0, v84
	v_cvt_f32_i32_e32 v84, v84
	v_ldexp_f32 v87, v87, v97
	v_ldexp_f32 v85, v85, v97
	s_delay_alu instid0(VALU_DEP_2) | instskip(NEXT) | instid1(VALU_DEP_1)
	v_add_f32_e32 v97, -1.0, v87
	v_dual_add_f32 v99, 1.0, v87 :: v_dual_add_f32 v100, 1.0, v97
	s_delay_alu instid0(VALU_DEP_1) | instskip(NEXT) | instid1(VALU_DEP_1)
	v_add_f32_e32 v98, -1.0, v99
	v_sub_f32_e32 v98, v87, v98
	s_delay_alu instid0(VALU_DEP_1) | instskip(NEXT) | instid1(VALU_DEP_1)
	v_dual_sub_f32 v87, v87, v100 :: v_dual_add_f32 v98, v85, v98
	v_dual_add_f32 v85, v85, v87 :: v_dual_add_f32 v100, v99, v98
	s_delay_alu instid0(VALU_DEP_1) | instskip(NEXT) | instid1(VALU_DEP_2)
	v_add_f32_e32 v101, v97, v85
	v_rcp_f32_e32 v87, v100
	v_sub_f32_e32 v99, v99, v100
	s_delay_alu instid0(VALU_DEP_1) | instskip(SKIP_2) | instid1(VALU_DEP_1)
	v_add_f32_e32 v98, v98, v99
	s_waitcnt_depctr 0xfff
	v_mul_f32_e32 v102, v101, v87
	v_mul_f32_e32 v103, v100, v102
	s_delay_alu instid0(VALU_DEP_1) | instskip(NEXT) | instid1(VALU_DEP_1)
	v_fma_f32 v99, v102, v100, -v103
	v_fmac_f32_e32 v99, v102, v98
	s_delay_alu instid0(VALU_DEP_1) | instskip(NEXT) | instid1(VALU_DEP_1)
	v_dual_add_f32 v112, v103, v99 :: v_dual_sub_f32 v97, v97, v101
	v_sub_f32_e32 v113, v101, v112
	s_delay_alu instid0(VALU_DEP_2) | instskip(SKIP_1) | instid1(VALU_DEP_3)
	v_add_f32_e32 v85, v85, v97
	v_sub_f32_e32 v97, v112, v103
	v_sub_f32_e32 v101, v101, v113
	s_delay_alu instid0(VALU_DEP_2) | instskip(NEXT) | instid1(VALU_DEP_2)
	v_sub_f32_e32 v97, v97, v99
	v_sub_f32_e32 v101, v101, v112
	s_delay_alu instid0(VALU_DEP_1) | instskip(NEXT) | instid1(VALU_DEP_1)
	v_add_f32_e32 v85, v85, v101
	v_add_f32_e32 v85, v97, v85
	s_delay_alu instid0(VALU_DEP_1) | instskip(NEXT) | instid1(VALU_DEP_1)
	v_add_f32_e32 v97, v113, v85
	v_mul_f32_e32 v99, v87, v97
	s_delay_alu instid0(VALU_DEP_1) | instskip(NEXT) | instid1(VALU_DEP_1)
	v_mul_f32_e32 v101, v100, v99
	v_fma_f32 v100, v99, v100, -v101
	s_delay_alu instid0(VALU_DEP_1) | instskip(SKIP_1) | instid1(VALU_DEP_2)
	v_fmac_f32_e32 v100, v99, v98
	v_sub_f32_e32 v112, v113, v97
	v_add_f32_e32 v98, v101, v100
	s_delay_alu instid0(VALU_DEP_2) | instskip(NEXT) | instid1(VALU_DEP_2)
	v_add_f32_e32 v85, v85, v112
	v_sub_f32_e32 v103, v97, v98
	v_sub_f32_e32 v101, v98, v101
	s_delay_alu instid0(VALU_DEP_2) | instskip(NEXT) | instid1(VALU_DEP_1)
	v_sub_f32_e32 v97, v97, v103
	v_sub_f32_e32 v97, v97, v98
	s_delay_alu instid0(VALU_DEP_3) | instskip(NEXT) | instid1(VALU_DEP_2)
	v_sub_f32_e32 v98, v101, v100
	v_add_f32_e32 v85, v85, v97
	v_add_f32_e32 v97, v102, v99
	s_delay_alu instid0(VALU_DEP_1) | instskip(NEXT) | instid1(VALU_DEP_1)
	v_dual_add_f32 v85, v98, v85 :: v_dual_sub_f32 v98, v97, v102
	v_add_f32_e32 v85, v103, v85
	s_delay_alu instid0(VALU_DEP_2) | instskip(NEXT) | instid1(VALU_DEP_2)
	v_sub_f32_e32 v98, v99, v98
	v_mul_f32_e32 v85, v87, v85
	s_delay_alu instid0(VALU_DEP_1) | instskip(NEXT) | instid1(VALU_DEP_1)
	v_add_f32_e32 v85, v98, v85
	v_add_f32_e32 v87, v97, v85
	s_delay_alu instid0(VALU_DEP_1) | instskip(NEXT) | instid1(VALU_DEP_1)
	v_mul_f32_e32 v98, v87, v87
	v_fmaak_f32 v99, s18, v98, 0x3ecc95a3
	v_mul_f32_e32 v100, v87, v98
	v_cmp_eq_f32_e64 s18, 0x7f800000, v86
	s_delay_alu instid0(VALU_DEP_3) | instskip(SKIP_2) | instid1(VALU_DEP_4)
	v_fmaak_f32 v98, v98, v99, 0x3f2aaada
	v_ldexp_f32 v99, v87, 1
	v_sub_f32_e32 v87, v87, v97
	s_or_b32 s18, s18, s20
	s_delay_alu instid0(VALU_DEP_3) | instskip(NEXT) | instid1(VALU_DEP_2)
	v_mul_f32_e32 v98, v100, v98
	v_dual_mul_f32 v100, 0x3f317218, v84 :: v_dual_sub_f32 v85, v85, v87
	s_delay_alu instid0(VALU_DEP_2) | instskip(NEXT) | instid1(VALU_DEP_2)
	v_add_f32_e32 v97, v99, v98
	v_ldexp_f32 v85, v85, 1
	s_delay_alu instid0(VALU_DEP_2) | instskip(NEXT) | instid1(VALU_DEP_4)
	v_sub_f32_e32 v87, v97, v99
	v_fma_f32 v99, 0x3f317218, v84, -v100
	s_delay_alu instid0(VALU_DEP_1) | instskip(NEXT) | instid1(VALU_DEP_1)
	v_dual_sub_f32 v87, v98, v87 :: v_dual_fmamk_f32 v84, v84, 0xb102e308, v99
	v_add_f32_e32 v85, v85, v87
	s_delay_alu instid0(VALU_DEP_1) | instskip(NEXT) | instid1(VALU_DEP_1)
	v_dual_add_f32 v87, v100, v84 :: v_dual_add_f32 v98, v97, v85
	v_sub_f32_e32 v100, v87, v100
	s_delay_alu instid0(VALU_DEP_2) | instskip(NEXT) | instid1(VALU_DEP_2)
	v_add_f32_e32 v99, v87, v98
	v_dual_sub_f32 v97, v98, v97 :: v_dual_sub_f32 v84, v84, v100
	s_delay_alu instid0(VALU_DEP_2) | instskip(NEXT) | instid1(VALU_DEP_2)
	v_sub_f32_e32 v101, v99, v87
	v_sub_f32_e32 v85, v85, v97
	s_delay_alu instid0(VALU_DEP_2) | instskip(SKIP_1) | instid1(VALU_DEP_2)
	v_sub_f32_e32 v102, v99, v101
	v_sub_f32_e32 v97, v98, v101
	v_dual_add_f32 v98, v84, v85 :: v_dual_sub_f32 v87, v87, v102
	s_delay_alu instid0(VALU_DEP_1) | instskip(NEXT) | instid1(VALU_DEP_2)
	v_add_f32_e32 v87, v97, v87
	v_sub_f32_e32 v97, v98, v84
	s_delay_alu instid0(VALU_DEP_2) | instskip(NEXT) | instid1(VALU_DEP_2)
	v_add_f32_e32 v87, v98, v87
	v_sub_f32_e32 v98, v98, v97
	s_delay_alu instid0(VALU_DEP_2) | instskip(NEXT) | instid1(VALU_DEP_2)
	v_dual_sub_f32 v85, v85, v97 :: v_dual_add_f32 v100, v99, v87
	v_sub_f32_e32 v84, v84, v98
	s_delay_alu instid0(VALU_DEP_1) | instskip(NEXT) | instid1(VALU_DEP_1)
	v_dual_sub_f32 v97, v100, v99 :: v_dual_add_f32 v84, v85, v84
	v_sub_f32_e32 v85, v87, v97
	s_delay_alu instid0(VALU_DEP_1) | instskip(NEXT) | instid1(VALU_DEP_1)
	v_add_f32_e32 v84, v84, v85
	v_add_f32_e32 v84, v100, v84
	s_delay_alu instid0(VALU_DEP_1) | instskip(NEXT) | instid1(VALU_DEP_1)
	v_cndmask_b32_e64 v84, v84, v86, s18
	v_add_f32_e32 v84, v83, v84
.LBB481_276:
	s_or_b32 exec_lo, exec_lo, s19
	s_delay_alu instid0(VALU_DEP_1) | instskip(SKIP_2) | instid1(VALU_DEP_3)
	v_bfe_u32 v83, v84, 16, 1
	v_cmp_o_f32_e64 s18, v84, v84
	v_lshlrev_b32_e32 v32, 16, v32
	v_add3_u32 v83, v84, v83, 0x7fff
	s_delay_alu instid0(VALU_DEP_1) | instskip(NEXT) | instid1(VALU_DEP_1)
	v_and_b32_e32 v83, 0xffff0000, v83
	v_cndmask_b32_e64 v85, 0x7fc00000, v83, s18
	s_delay_alu instid0(VALU_DEP_1) | instskip(SKIP_1) | instid1(VALU_DEP_2)
	v_dual_max_f32 v83, v32, v32 :: v_dual_max_f32 v84, v85, v85
	v_cmp_u_f32_e64 s18, v85, v85
	v_min_f32_e32 v86, v84, v83
	v_max_f32_e32 v84, v84, v83
	s_delay_alu instid0(VALU_DEP_2) | instskip(NEXT) | instid1(VALU_DEP_2)
	v_cndmask_b32_e64 v86, v86, v85, s18
	v_cndmask_b32_e64 v84, v84, v85, s18
	v_cmp_u_f32_e64 s18, v32, v32
	s_delay_alu instid0(VALU_DEP_1) | instskip(NEXT) | instid1(VALU_DEP_3)
	v_cndmask_b32_e64 v86, v86, v32, s18
	v_cndmask_b32_e64 v84, v84, v32, s18
	s_delay_alu instid0(VALU_DEP_2) | instskip(NEXT) | instid1(VALU_DEP_2)
	v_cmp_class_f32_e64 s20, v86, 0x1f8
	v_cmp_neq_f32_e64 s19, v86, v84
	s_delay_alu instid0(VALU_DEP_1) | instskip(NEXT) | instid1(SALU_CYCLE_1)
	s_or_b32 s19, s19, s20
	s_and_saveexec_b32 s20, s19
	s_cbranch_execz .LBB481_278
; %bb.277:
	v_sub_f32_e32 v85, v86, v84
	s_delay_alu instid0(VALU_DEP_1) | instskip(SKIP_1) | instid1(VALU_DEP_2)
	v_mul_f32_e32 v86, 0x3fb8aa3b, v85
	v_cmp_ngt_f32_e64 s19, 0xc2ce8ed0, v85
	v_fma_f32 v87, 0x3fb8aa3b, v85, -v86
	v_rndne_f32_e32 v97, v86
	s_delay_alu instid0(VALU_DEP_1) | instskip(NEXT) | instid1(VALU_DEP_1)
	v_dual_fmamk_f32 v87, v85, 0x32a5705f, v87 :: v_dual_sub_f32 v86, v86, v97
	v_add_f32_e32 v86, v86, v87
	v_cvt_i32_f32_e32 v87, v97
	s_delay_alu instid0(VALU_DEP_2) | instskip(SKIP_2) | instid1(VALU_DEP_1)
	v_exp_f32_e32 v86, v86
	s_waitcnt_depctr 0xfff
	v_ldexp_f32 v86, v86, v87
	v_cndmask_b32_e64 v86, 0, v86, s19
	v_cmp_nlt_f32_e64 s19, 0x42b17218, v85
	s_delay_alu instid0(VALU_DEP_1) | instskip(NEXT) | instid1(VALU_DEP_1)
	v_cndmask_b32_e64 v87, 0x7f800000, v86, s19
	v_add_f32_e32 v97, 1.0, v87
	v_cmp_gt_f32_e64 s21, 0x33800000, |v87|
	s_delay_alu instid0(VALU_DEP_2) | instskip(NEXT) | instid1(VALU_DEP_1)
	v_cvt_f64_f32_e32 v[85:86], v97
	v_frexp_exp_i32_f64_e32 v85, v[85:86]
	v_frexp_mant_f32_e32 v86, v97
	s_delay_alu instid0(VALU_DEP_1) | instskip(SKIP_1) | instid1(VALU_DEP_1)
	v_cmp_gt_f32_e64 s19, 0x3f2aaaab, v86
	v_add_f32_e32 v86, -1.0, v97
	v_dual_sub_f32 v99, v86, v97 :: v_dual_sub_f32 v86, v87, v86
	s_delay_alu instid0(VALU_DEP_3) | instskip(SKIP_1) | instid1(VALU_DEP_1)
	v_subrev_co_ci_u32_e64 v85, s19, 0, v85, s19
	s_mov_b32 s19, 0x3e9b6dac
	v_sub_nc_u32_e32 v98, 0, v85
	v_cvt_f32_i32_e32 v85, v85
	s_delay_alu instid0(VALU_DEP_2) | instskip(NEXT) | instid1(VALU_DEP_1)
	v_ldexp_f32 v97, v97, v98
	v_dual_add_f32 v99, 1.0, v99 :: v_dual_add_f32 v100, 1.0, v97
	s_delay_alu instid0(VALU_DEP_1) | instskip(NEXT) | instid1(VALU_DEP_1)
	v_dual_add_f32 v86, v86, v99 :: v_dual_add_f32 v99, -1.0, v100
	v_ldexp_f32 v86, v86, v98
	s_delay_alu instid0(VALU_DEP_2) | instskip(NEXT) | instid1(VALU_DEP_1)
	v_dual_add_f32 v98, -1.0, v97 :: v_dual_sub_f32 v99, v97, v99
	v_add_f32_e32 v101, 1.0, v98
	s_delay_alu instid0(VALU_DEP_2) | instskip(NEXT) | instid1(VALU_DEP_2)
	v_add_f32_e32 v99, v86, v99
	v_sub_f32_e32 v97, v97, v101
	s_delay_alu instid0(VALU_DEP_1) | instskip(NEXT) | instid1(VALU_DEP_1)
	v_dual_add_f32 v101, v100, v99 :: v_dual_add_f32 v86, v86, v97
	v_rcp_f32_e32 v97, v101
	v_sub_f32_e32 v100, v100, v101
	s_delay_alu instid0(VALU_DEP_1) | instskip(NEXT) | instid1(VALU_DEP_1)
	v_dual_add_f32 v102, v98, v86 :: v_dual_add_f32 v99, v99, v100
	v_sub_f32_e32 v98, v98, v102
	s_waitcnt_depctr 0xfff
	v_mul_f32_e32 v103, v102, v97
	v_add_f32_e32 v86, v86, v98
	s_delay_alu instid0(VALU_DEP_2) | instskip(NEXT) | instid1(VALU_DEP_1)
	v_mul_f32_e32 v112, v101, v103
	v_fma_f32 v100, v103, v101, -v112
	s_delay_alu instid0(VALU_DEP_1) | instskip(NEXT) | instid1(VALU_DEP_1)
	v_fmac_f32_e32 v100, v103, v99
	v_add_f32_e32 v113, v112, v100
	s_delay_alu instid0(VALU_DEP_1) | instskip(SKIP_1) | instid1(VALU_DEP_2)
	v_sub_f32_e32 v114, v102, v113
	v_sub_f32_e32 v98, v113, v112
	v_sub_f32_e32 v102, v102, v114
	s_delay_alu instid0(VALU_DEP_2) | instskip(NEXT) | instid1(VALU_DEP_2)
	v_sub_f32_e32 v98, v98, v100
	v_sub_f32_e32 v102, v102, v113
	s_delay_alu instid0(VALU_DEP_1) | instskip(NEXT) | instid1(VALU_DEP_1)
	v_add_f32_e32 v86, v86, v102
	v_add_f32_e32 v86, v98, v86
	s_delay_alu instid0(VALU_DEP_1) | instskip(NEXT) | instid1(VALU_DEP_1)
	v_add_f32_e32 v98, v114, v86
	v_mul_f32_e32 v100, v97, v98
	s_delay_alu instid0(VALU_DEP_1) | instskip(NEXT) | instid1(VALU_DEP_1)
	v_mul_f32_e32 v102, v101, v100
	v_fma_f32 v101, v100, v101, -v102
	s_delay_alu instid0(VALU_DEP_1) | instskip(SKIP_1) | instid1(VALU_DEP_2)
	v_fmac_f32_e32 v101, v100, v99
	v_sub_f32_e32 v113, v114, v98
	v_add_f32_e32 v99, v102, v101
	s_delay_alu instid0(VALU_DEP_2) | instskip(NEXT) | instid1(VALU_DEP_2)
	v_add_f32_e32 v86, v86, v113
	v_sub_f32_e32 v112, v98, v99
	v_sub_f32_e32 v102, v99, v102
	s_delay_alu instid0(VALU_DEP_2) | instskip(NEXT) | instid1(VALU_DEP_1)
	v_sub_f32_e32 v98, v98, v112
	v_sub_f32_e32 v98, v98, v99
	s_delay_alu instid0(VALU_DEP_3) | instskip(NEXT) | instid1(VALU_DEP_2)
	v_sub_f32_e32 v99, v102, v101
	v_add_f32_e32 v86, v86, v98
	v_add_f32_e32 v98, v103, v100
	s_delay_alu instid0(VALU_DEP_1) | instskip(NEXT) | instid1(VALU_DEP_1)
	v_dual_add_f32 v86, v99, v86 :: v_dual_sub_f32 v99, v98, v103
	v_add_f32_e32 v86, v112, v86
	s_delay_alu instid0(VALU_DEP_1) | instskip(NEXT) | instid1(VALU_DEP_1)
	v_dual_sub_f32 v99, v100, v99 :: v_dual_mul_f32 v86, v97, v86
	v_add_f32_e32 v86, v99, v86
	s_delay_alu instid0(VALU_DEP_1) | instskip(NEXT) | instid1(VALU_DEP_1)
	v_add_f32_e32 v97, v98, v86
	v_mul_f32_e32 v99, v97, v97
	s_delay_alu instid0(VALU_DEP_1) | instskip(SKIP_2) | instid1(VALU_DEP_3)
	v_fmaak_f32 v100, s19, v99, 0x3ecc95a3
	v_mul_f32_e32 v101, v97, v99
	v_cmp_eq_f32_e64 s19, 0x7f800000, v87
	v_fmaak_f32 v99, v99, v100, 0x3f2aaada
	v_ldexp_f32 v100, v97, 1
	v_sub_f32_e32 v97, v97, v98
	s_delay_alu instid0(VALU_DEP_4) | instskip(NEXT) | instid1(VALU_DEP_3)
	s_or_b32 s19, s19, s21
	v_mul_f32_e32 v99, v101, v99
	v_mul_f32_e32 v101, 0x3f317218, v85
	s_delay_alu instid0(VALU_DEP_3) | instskip(NEXT) | instid1(VALU_DEP_3)
	v_sub_f32_e32 v86, v86, v97
	v_add_f32_e32 v98, v100, v99
	s_delay_alu instid0(VALU_DEP_2) | instskip(NEXT) | instid1(VALU_DEP_2)
	v_ldexp_f32 v86, v86, 1
	v_sub_f32_e32 v97, v98, v100
	v_fma_f32 v100, 0x3f317218, v85, -v101
	s_delay_alu instid0(VALU_DEP_2) | instskip(NEXT) | instid1(VALU_DEP_1)
	v_sub_f32_e32 v97, v99, v97
	v_dual_fmamk_f32 v85, v85, 0xb102e308, v100 :: v_dual_add_f32 v86, v86, v97
	s_delay_alu instid0(VALU_DEP_1) | instskip(NEXT) | instid1(VALU_DEP_2)
	v_add_f32_e32 v97, v101, v85
	v_add_f32_e32 v99, v98, v86
	s_delay_alu instid0(VALU_DEP_2) | instskip(NEXT) | instid1(VALU_DEP_2)
	v_sub_f32_e32 v101, v97, v101
	v_add_f32_e32 v100, v97, v99
	s_delay_alu instid0(VALU_DEP_2) | instskip(NEXT) | instid1(VALU_DEP_2)
	v_sub_f32_e32 v85, v85, v101
	v_sub_f32_e32 v102, v100, v97
	;; [unrolled: 1-line block ×3, first 2 shown]
	s_delay_alu instid0(VALU_DEP_2) | instskip(NEXT) | instid1(VALU_DEP_2)
	v_sub_f32_e32 v103, v100, v102
	v_sub_f32_e32 v86, v86, v98
	s_delay_alu instid0(VALU_DEP_2) | instskip(NEXT) | instid1(VALU_DEP_2)
	v_dual_sub_f32 v98, v99, v102 :: v_dual_sub_f32 v97, v97, v103
	v_add_f32_e32 v99, v85, v86
	s_delay_alu instid0(VALU_DEP_2) | instskip(NEXT) | instid1(VALU_DEP_2)
	v_add_f32_e32 v97, v98, v97
	v_sub_f32_e32 v98, v99, v85
	s_delay_alu instid0(VALU_DEP_2) | instskip(NEXT) | instid1(VALU_DEP_2)
	v_add_f32_e32 v97, v99, v97
	v_sub_f32_e32 v99, v99, v98
	s_delay_alu instid0(VALU_DEP_2) | instskip(NEXT) | instid1(VALU_DEP_2)
	v_dual_sub_f32 v86, v86, v98 :: v_dual_add_f32 v101, v100, v97
	v_sub_f32_e32 v85, v85, v99
	s_delay_alu instid0(VALU_DEP_1) | instskip(NEXT) | instid1(VALU_DEP_1)
	v_dual_sub_f32 v98, v101, v100 :: v_dual_add_f32 v85, v86, v85
	v_sub_f32_e32 v86, v97, v98
	s_delay_alu instid0(VALU_DEP_1) | instskip(NEXT) | instid1(VALU_DEP_1)
	v_add_f32_e32 v85, v85, v86
	v_add_f32_e32 v85, v101, v85
	s_delay_alu instid0(VALU_DEP_1) | instskip(NEXT) | instid1(VALU_DEP_1)
	v_cndmask_b32_e64 v85, v85, v87, s19
	v_add_f32_e32 v85, v84, v85
.LBB481_278:
	s_or_b32 exec_lo, exec_lo, s20
	s_delay_alu instid0(VALU_DEP_1) | instskip(SKIP_2) | instid1(VALU_DEP_3)
	v_bfe_u32 v84, v85, 16, 1
	v_cmp_o_f32_e64 s19, v85, v85
	v_lshlrev_b32_e32 v31, 16, v31
	v_add3_u32 v84, v85, v84, 0x7fff
	s_delay_alu instid0(VALU_DEP_1) | instskip(NEXT) | instid1(VALU_DEP_1)
	v_and_b32_e32 v84, 0xffff0000, v84
	v_cndmask_b32_e64 v86, 0x7fc00000, v84, s19
	s_delay_alu instid0(VALU_DEP_1) | instskip(SKIP_1) | instid1(VALU_DEP_2)
	v_dual_max_f32 v84, v31, v31 :: v_dual_max_f32 v85, v86, v86
	v_cmp_u_f32_e64 s19, v86, v86
	v_min_f32_e32 v87, v85, v84
	v_max_f32_e32 v85, v85, v84
	s_delay_alu instid0(VALU_DEP_2) | instskip(NEXT) | instid1(VALU_DEP_2)
	v_cndmask_b32_e64 v87, v87, v86, s19
	v_cndmask_b32_e64 v85, v85, v86, s19
	v_cmp_u_f32_e64 s19, v31, v31
	s_delay_alu instid0(VALU_DEP_1) | instskip(NEXT) | instid1(VALU_DEP_3)
	v_cndmask_b32_e64 v87, v87, v31, s19
	v_cndmask_b32_e64 v85, v85, v31, s19
	s_delay_alu instid0(VALU_DEP_2) | instskip(NEXT) | instid1(VALU_DEP_2)
	v_cmp_class_f32_e64 s21, v87, 0x1f8
	v_cmp_neq_f32_e64 s20, v87, v85
	s_delay_alu instid0(VALU_DEP_1) | instskip(NEXT) | instid1(SALU_CYCLE_1)
	s_or_b32 s20, s20, s21
	s_and_saveexec_b32 s21, s20
	s_cbranch_execz .LBB481_280
; %bb.279:
	v_sub_f32_e32 v86, v87, v85
	s_delay_alu instid0(VALU_DEP_1) | instskip(SKIP_1) | instid1(VALU_DEP_2)
	v_mul_f32_e32 v87, 0x3fb8aa3b, v86
	v_cmp_ngt_f32_e64 s20, 0xc2ce8ed0, v86
	v_fma_f32 v97, 0x3fb8aa3b, v86, -v87
	v_rndne_f32_e32 v98, v87
	s_delay_alu instid0(VALU_DEP_2) | instskip(NEXT) | instid1(VALU_DEP_2)
	v_fmamk_f32 v97, v86, 0x32a5705f, v97
	v_sub_f32_e32 v87, v87, v98
	s_delay_alu instid0(VALU_DEP_1) | instskip(SKIP_1) | instid1(VALU_DEP_2)
	v_add_f32_e32 v87, v87, v97
	v_cvt_i32_f32_e32 v97, v98
	v_exp_f32_e32 v87, v87
	s_waitcnt_depctr 0xfff
	v_ldexp_f32 v87, v87, v97
	s_delay_alu instid0(VALU_DEP_1) | instskip(SKIP_1) | instid1(VALU_DEP_1)
	v_cndmask_b32_e64 v87, 0, v87, s20
	v_cmp_nlt_f32_e64 s20, 0x42b17218, v86
	v_cndmask_b32_e64 v97, 0x7f800000, v87, s20
	s_delay_alu instid0(VALU_DEP_1) | instskip(SKIP_1) | instid1(VALU_DEP_2)
	v_add_f32_e32 v98, 1.0, v97
	v_cmp_gt_f32_e64 s22, 0x33800000, |v97|
	v_cvt_f64_f32_e32 v[86:87], v98
	s_delay_alu instid0(VALU_DEP_1) | instskip(SKIP_1) | instid1(VALU_DEP_1)
	v_frexp_exp_i32_f64_e32 v86, v[86:87]
	v_frexp_mant_f32_e32 v87, v98
	v_cmp_gt_f32_e64 s20, 0x3f2aaaab, v87
	v_add_f32_e32 v87, -1.0, v98
	s_delay_alu instid0(VALU_DEP_1) | instskip(NEXT) | instid1(VALU_DEP_1)
	v_sub_f32_e32 v100, v87, v98
	v_add_f32_e32 v100, 1.0, v100
	s_delay_alu instid0(VALU_DEP_4) | instskip(SKIP_1) | instid1(VALU_DEP_1)
	v_subrev_co_ci_u32_e64 v86, s20, 0, v86, s20
	s_mov_b32 s20, 0x3e9b6dac
	v_sub_nc_u32_e32 v99, 0, v86
	v_cvt_f32_i32_e32 v86, v86
	s_delay_alu instid0(VALU_DEP_2) | instskip(NEXT) | instid1(VALU_DEP_1)
	v_ldexp_f32 v98, v98, v99
	v_add_f32_e32 v101, 1.0, v98
	v_sub_f32_e32 v87, v97, v87
	s_delay_alu instid0(VALU_DEP_1) | instskip(NEXT) | instid1(VALU_DEP_1)
	v_add_f32_e32 v87, v87, v100
	v_ldexp_f32 v87, v87, v99
	v_add_f32_e32 v99, -1.0, v98
	s_delay_alu instid0(VALU_DEP_1) | instskip(SKIP_1) | instid1(VALU_DEP_1)
	v_add_f32_e32 v102, 1.0, v99
	v_add_f32_e32 v100, -1.0, v101
	v_sub_f32_e32 v100, v98, v100
	s_delay_alu instid0(VALU_DEP_3) | instskip(NEXT) | instid1(VALU_DEP_2)
	v_sub_f32_e32 v98, v98, v102
	v_add_f32_e32 v100, v87, v100
	s_delay_alu instid0(VALU_DEP_1) | instskip(NEXT) | instid1(VALU_DEP_1)
	v_dual_add_f32 v87, v87, v98 :: v_dual_add_f32 v102, v101, v100
	v_rcp_f32_e32 v98, v102
	v_sub_f32_e32 v101, v101, v102
	s_delay_alu instid0(VALU_DEP_1) | instskip(NEXT) | instid1(VALU_DEP_1)
	v_dual_add_f32 v103, v99, v87 :: v_dual_add_f32 v100, v100, v101
	v_sub_f32_e32 v99, v99, v103
	s_waitcnt_depctr 0xfff
	v_mul_f32_e32 v112, v103, v98
	v_add_f32_e32 v87, v87, v99
	s_delay_alu instid0(VALU_DEP_2) | instskip(NEXT) | instid1(VALU_DEP_1)
	v_mul_f32_e32 v113, v102, v112
	v_fma_f32 v101, v112, v102, -v113
	s_delay_alu instid0(VALU_DEP_1) | instskip(NEXT) | instid1(VALU_DEP_1)
	v_fmac_f32_e32 v101, v112, v100
	v_add_f32_e32 v114, v113, v101
	s_delay_alu instid0(VALU_DEP_1) | instskip(SKIP_1) | instid1(VALU_DEP_2)
	v_sub_f32_e32 v115, v103, v114
	v_sub_f32_e32 v99, v114, v113
	;; [unrolled: 1-line block ×3, first 2 shown]
	s_delay_alu instid0(VALU_DEP_2) | instskip(NEXT) | instid1(VALU_DEP_2)
	v_sub_f32_e32 v99, v99, v101
	v_sub_f32_e32 v103, v103, v114
	s_delay_alu instid0(VALU_DEP_1) | instskip(NEXT) | instid1(VALU_DEP_1)
	v_add_f32_e32 v87, v87, v103
	v_add_f32_e32 v87, v99, v87
	s_delay_alu instid0(VALU_DEP_1) | instskip(NEXT) | instid1(VALU_DEP_1)
	v_add_f32_e32 v99, v115, v87
	v_mul_f32_e32 v101, v98, v99
	s_delay_alu instid0(VALU_DEP_1) | instskip(NEXT) | instid1(VALU_DEP_1)
	v_mul_f32_e32 v103, v102, v101
	v_fma_f32 v102, v101, v102, -v103
	s_delay_alu instid0(VALU_DEP_1) | instskip(SKIP_1) | instid1(VALU_DEP_2)
	v_fmac_f32_e32 v102, v101, v100
	v_sub_f32_e32 v114, v115, v99
	v_add_f32_e32 v100, v103, v102
	s_delay_alu instid0(VALU_DEP_2) | instskip(NEXT) | instid1(VALU_DEP_2)
	v_add_f32_e32 v87, v87, v114
	v_sub_f32_e32 v113, v99, v100
	v_sub_f32_e32 v103, v100, v103
	s_delay_alu instid0(VALU_DEP_2) | instskip(NEXT) | instid1(VALU_DEP_1)
	v_sub_f32_e32 v99, v99, v113
	v_sub_f32_e32 v99, v99, v100
	s_delay_alu instid0(VALU_DEP_3) | instskip(NEXT) | instid1(VALU_DEP_2)
	v_sub_f32_e32 v100, v103, v102
	v_add_f32_e32 v87, v87, v99
	v_add_f32_e32 v99, v112, v101
	s_delay_alu instid0(VALU_DEP_1) | instskip(NEXT) | instid1(VALU_DEP_1)
	v_dual_add_f32 v87, v100, v87 :: v_dual_sub_f32 v100, v99, v112
	v_add_f32_e32 v87, v113, v87
	s_delay_alu instid0(VALU_DEP_1) | instskip(NEXT) | instid1(VALU_DEP_1)
	v_dual_sub_f32 v100, v101, v100 :: v_dual_mul_f32 v87, v98, v87
	v_add_f32_e32 v87, v100, v87
	s_delay_alu instid0(VALU_DEP_1) | instskip(NEXT) | instid1(VALU_DEP_1)
	v_add_f32_e32 v98, v99, v87
	v_mul_f32_e32 v100, v98, v98
	s_delay_alu instid0(VALU_DEP_1) | instskip(SKIP_2) | instid1(VALU_DEP_3)
	v_fmaak_f32 v101, s20, v100, 0x3ecc95a3
	v_mul_f32_e32 v102, v98, v100
	v_cmp_eq_f32_e64 s20, 0x7f800000, v97
	v_fmaak_f32 v100, v100, v101, 0x3f2aaada
	v_ldexp_f32 v101, v98, 1
	v_sub_f32_e32 v98, v98, v99
	s_delay_alu instid0(VALU_DEP_4) | instskip(NEXT) | instid1(VALU_DEP_3)
	s_or_b32 s20, s20, s22
	v_mul_f32_e32 v100, v102, v100
	v_mul_f32_e32 v102, 0x3f317218, v86
	s_delay_alu instid0(VALU_DEP_3) | instskip(NEXT) | instid1(VALU_DEP_3)
	v_sub_f32_e32 v87, v87, v98
	v_add_f32_e32 v99, v101, v100
	s_delay_alu instid0(VALU_DEP_2) | instskip(NEXT) | instid1(VALU_DEP_2)
	v_ldexp_f32 v87, v87, 1
	v_sub_f32_e32 v98, v99, v101
	v_fma_f32 v101, 0x3f317218, v86, -v102
	s_delay_alu instid0(VALU_DEP_2) | instskip(NEXT) | instid1(VALU_DEP_1)
	v_sub_f32_e32 v98, v100, v98
	v_dual_fmamk_f32 v86, v86, 0xb102e308, v101 :: v_dual_add_f32 v87, v87, v98
	s_delay_alu instid0(VALU_DEP_1) | instskip(NEXT) | instid1(VALU_DEP_2)
	v_add_f32_e32 v98, v102, v86
	v_add_f32_e32 v100, v99, v87
	s_delay_alu instid0(VALU_DEP_2) | instskip(NEXT) | instid1(VALU_DEP_2)
	v_sub_f32_e32 v102, v98, v102
	v_add_f32_e32 v101, v98, v100
	s_delay_alu instid0(VALU_DEP_2) | instskip(NEXT) | instid1(VALU_DEP_2)
	v_dual_sub_f32 v99, v100, v99 :: v_dual_sub_f32 v86, v86, v102
	v_sub_f32_e32 v103, v101, v98
	s_delay_alu instid0(VALU_DEP_2) | instskip(NEXT) | instid1(VALU_DEP_2)
	v_sub_f32_e32 v87, v87, v99
	v_sub_f32_e32 v112, v101, v103
	;; [unrolled: 1-line block ×3, first 2 shown]
	s_delay_alu instid0(VALU_DEP_3) | instskip(NEXT) | instid1(VALU_DEP_3)
	v_add_f32_e32 v100, v86, v87
	v_sub_f32_e32 v98, v98, v112
	s_delay_alu instid0(VALU_DEP_1) | instskip(NEXT) | instid1(VALU_DEP_3)
	v_add_f32_e32 v98, v99, v98
	v_sub_f32_e32 v99, v100, v86
	s_delay_alu instid0(VALU_DEP_2) | instskip(NEXT) | instid1(VALU_DEP_2)
	v_add_f32_e32 v98, v100, v98
	v_sub_f32_e32 v100, v100, v99
	s_delay_alu instid0(VALU_DEP_1) | instskip(NEXT) | instid1(VALU_DEP_1)
	v_dual_sub_f32 v87, v87, v99 :: v_dual_sub_f32 v86, v86, v100
	v_add_f32_e32 v86, v87, v86
	s_delay_alu instid0(VALU_DEP_4) | instskip(NEXT) | instid1(VALU_DEP_1)
	v_add_f32_e32 v102, v101, v98
	v_sub_f32_e32 v99, v102, v101
	s_delay_alu instid0(VALU_DEP_1) | instskip(NEXT) | instid1(VALU_DEP_1)
	v_sub_f32_e32 v87, v98, v99
	v_add_f32_e32 v86, v86, v87
	s_delay_alu instid0(VALU_DEP_1) | instskip(NEXT) | instid1(VALU_DEP_1)
	v_add_f32_e32 v86, v102, v86
	v_cndmask_b32_e64 v86, v86, v97, s20
	s_delay_alu instid0(VALU_DEP_1)
	v_add_f32_e32 v86, v85, v86
.LBB481_280:
	s_or_b32 exec_lo, exec_lo, s21
	s_delay_alu instid0(VALU_DEP_1) | instskip(SKIP_1) | instid1(VALU_DEP_2)
	v_bfe_u32 v85, v86, 16, 1
	v_cmp_o_f32_e64 s20, v86, v86
	v_add3_u32 v85, v86, v85, 0x7fff
	s_delay_alu instid0(VALU_DEP_1) | instskip(NEXT) | instid1(VALU_DEP_1)
	v_and_b32_e32 v85, 0xffff0000, v85
	v_cndmask_b32_e64 v87, 0x7fc00000, v85, s20
	s_delay_alu instid0(VALU_DEP_1) | instskip(SKIP_2) | instid1(VALU_DEP_2)
	v_max_f32_e32 v86, v87, v87
	v_lshlrev_b32_e32 v30, 16, v30
	v_cmp_u_f32_e64 s20, v87, v87
	v_max_f32_e32 v85, v30, v30
	s_delay_alu instid0(VALU_DEP_1) | instskip(SKIP_1) | instid1(VALU_DEP_2)
	v_min_f32_e32 v97, v86, v85
	v_max_f32_e32 v86, v86, v85
	v_cndmask_b32_e64 v97, v97, v87, s20
	s_delay_alu instid0(VALU_DEP_2) | instskip(SKIP_1) | instid1(VALU_DEP_1)
	v_cndmask_b32_e64 v86, v86, v87, s20
	v_cmp_u_f32_e64 s20, v30, v30
	v_cndmask_b32_e64 v97, v97, v30, s20
	s_delay_alu instid0(VALU_DEP_3) | instskip(NEXT) | instid1(VALU_DEP_2)
	v_cndmask_b32_e64 v86, v86, v30, s20
	v_cmp_class_f32_e64 s22, v97, 0x1f8
	s_delay_alu instid0(VALU_DEP_2) | instskip(NEXT) | instid1(VALU_DEP_1)
	v_cmp_neq_f32_e64 s21, v97, v86
	s_or_b32 s21, s21, s22
	s_delay_alu instid0(SALU_CYCLE_1)
	s_and_saveexec_b32 s22, s21
	s_cbranch_execz .LBB481_282
; %bb.281:
	v_sub_f32_e32 v87, v97, v86
	s_delay_alu instid0(VALU_DEP_1) | instskip(SKIP_1) | instid1(VALU_DEP_2)
	v_mul_f32_e32 v97, 0x3fb8aa3b, v87
	v_cmp_ngt_f32_e64 s21, 0xc2ce8ed0, v87
	v_fma_f32 v98, 0x3fb8aa3b, v87, -v97
	v_rndne_f32_e32 v99, v97
	s_delay_alu instid0(VALU_DEP_1) | instskip(NEXT) | instid1(VALU_DEP_1)
	v_dual_fmamk_f32 v98, v87, 0x32a5705f, v98 :: v_dual_sub_f32 v97, v97, v99
	v_add_f32_e32 v97, v97, v98
	v_cvt_i32_f32_e32 v98, v99
	s_delay_alu instid0(VALU_DEP_2) | instskip(SKIP_2) | instid1(VALU_DEP_1)
	v_exp_f32_e32 v97, v97
	s_waitcnt_depctr 0xfff
	v_ldexp_f32 v97, v97, v98
	v_cndmask_b32_e64 v97, 0, v97, s21
	v_cmp_nlt_f32_e64 s21, 0x42b17218, v87
	s_delay_alu instid0(VALU_DEP_1) | instskip(NEXT) | instid1(VALU_DEP_1)
	v_cndmask_b32_e64 v87, 0x7f800000, v97, s21
	v_add_f32_e32 v99, 1.0, v87
	v_cmp_gt_f32_e64 s24, 0x33800000, |v87|
	s_delay_alu instid0(VALU_DEP_2) | instskip(NEXT) | instid1(VALU_DEP_1)
	v_cvt_f64_f32_e32 v[97:98], v99
	v_frexp_exp_i32_f64_e32 v97, v[97:98]
	v_frexp_mant_f32_e32 v98, v99
	s_delay_alu instid0(VALU_DEP_1) | instskip(SKIP_1) | instid1(VALU_DEP_1)
	v_cmp_gt_f32_e64 s21, 0x3f2aaaab, v98
	v_add_f32_e32 v98, -1.0, v99
	v_dual_sub_f32 v101, v98, v99 :: v_dual_sub_f32 v98, v87, v98
	s_delay_alu instid0(VALU_DEP_1) | instskip(NEXT) | instid1(VALU_DEP_1)
	v_add_f32_e32 v101, 1.0, v101
	v_add_f32_e32 v98, v98, v101
	v_subrev_co_ci_u32_e64 v97, s21, 0, v97, s21
	s_mov_b32 s21, 0x3e9b6dac
	s_delay_alu instid0(VALU_DEP_1) | instskip(SKIP_1) | instid1(VALU_DEP_2)
	v_sub_nc_u32_e32 v100, 0, v97
	v_cvt_f32_i32_e32 v97, v97
	v_ldexp_f32 v99, v99, v100
	v_ldexp_f32 v98, v98, v100
	s_delay_alu instid0(VALU_DEP_2) | instskip(NEXT) | instid1(VALU_DEP_1)
	v_add_f32_e32 v100, -1.0, v99
	v_dual_add_f32 v102, 1.0, v99 :: v_dual_add_f32 v103, 1.0, v100
	s_delay_alu instid0(VALU_DEP_1) | instskip(NEXT) | instid1(VALU_DEP_1)
	v_add_f32_e32 v101, -1.0, v102
	v_sub_f32_e32 v101, v99, v101
	s_delay_alu instid0(VALU_DEP_3) | instskip(NEXT) | instid1(VALU_DEP_2)
	v_sub_f32_e32 v99, v99, v103
	v_add_f32_e32 v101, v98, v101
	s_delay_alu instid0(VALU_DEP_2) | instskip(NEXT) | instid1(VALU_DEP_1)
	v_add_f32_e32 v98, v98, v99
	v_dual_add_f32 v112, v100, v98 :: v_dual_add_f32 v103, v102, v101
	s_delay_alu instid0(VALU_DEP_1) | instskip(NEXT) | instid1(VALU_DEP_2)
	v_sub_f32_e32 v100, v100, v112
	v_rcp_f32_e32 v99, v103
	v_sub_f32_e32 v102, v102, v103
	s_delay_alu instid0(VALU_DEP_1) | instskip(SKIP_2) | instid1(VALU_DEP_1)
	v_dual_add_f32 v98, v98, v100 :: v_dual_add_f32 v101, v101, v102
	s_waitcnt_depctr 0xfff
	v_mul_f32_e32 v113, v112, v99
	v_mul_f32_e32 v114, v103, v113
	s_delay_alu instid0(VALU_DEP_1) | instskip(NEXT) | instid1(VALU_DEP_1)
	v_fma_f32 v102, v113, v103, -v114
	v_fmac_f32_e32 v102, v113, v101
	s_delay_alu instid0(VALU_DEP_1) | instskip(NEXT) | instid1(VALU_DEP_1)
	v_add_f32_e32 v115, v114, v102
	v_sub_f32_e32 v116, v112, v115
	v_sub_f32_e32 v100, v115, v114
	s_delay_alu instid0(VALU_DEP_2) | instskip(NEXT) | instid1(VALU_DEP_2)
	v_sub_f32_e32 v112, v112, v116
	v_sub_f32_e32 v100, v100, v102
	s_delay_alu instid0(VALU_DEP_2) | instskip(NEXT) | instid1(VALU_DEP_1)
	v_sub_f32_e32 v112, v112, v115
	v_add_f32_e32 v98, v98, v112
	s_delay_alu instid0(VALU_DEP_1) | instskip(NEXT) | instid1(VALU_DEP_1)
	v_add_f32_e32 v98, v100, v98
	v_add_f32_e32 v100, v116, v98
	s_delay_alu instid0(VALU_DEP_1) | instskip(NEXT) | instid1(VALU_DEP_1)
	v_mul_f32_e32 v102, v99, v100
	v_dual_sub_f32 v115, v116, v100 :: v_dual_mul_f32 v112, v103, v102
	s_delay_alu instid0(VALU_DEP_1) | instskip(NEXT) | instid1(VALU_DEP_2)
	v_add_f32_e32 v98, v98, v115
	v_fma_f32 v103, v102, v103, -v112
	s_delay_alu instid0(VALU_DEP_1) | instskip(NEXT) | instid1(VALU_DEP_1)
	v_fmac_f32_e32 v103, v102, v101
	v_add_f32_e32 v101, v112, v103
	s_delay_alu instid0(VALU_DEP_1) | instskip(NEXT) | instid1(VALU_DEP_1)
	v_sub_f32_e32 v114, v100, v101
	v_sub_f32_e32 v100, v100, v114
	s_delay_alu instid0(VALU_DEP_1) | instskip(NEXT) | instid1(VALU_DEP_1)
	v_sub_f32_e32 v100, v100, v101
	v_add_f32_e32 v98, v98, v100
	v_add_f32_e32 v100, v113, v102
	v_sub_f32_e32 v112, v101, v112
	s_delay_alu instid0(VALU_DEP_1) | instskip(NEXT) | instid1(VALU_DEP_1)
	v_sub_f32_e32 v101, v112, v103
	v_dual_add_f32 v98, v101, v98 :: v_dual_sub_f32 v101, v100, v113
	s_delay_alu instid0(VALU_DEP_1) | instskip(NEXT) | instid1(VALU_DEP_1)
	v_add_f32_e32 v98, v114, v98
	v_dual_sub_f32 v101, v102, v101 :: v_dual_mul_f32 v98, v99, v98
	s_delay_alu instid0(VALU_DEP_1) | instskip(NEXT) | instid1(VALU_DEP_1)
	v_add_f32_e32 v98, v101, v98
	v_add_f32_e32 v99, v100, v98
	s_delay_alu instid0(VALU_DEP_1) | instskip(NEXT) | instid1(VALU_DEP_1)
	v_mul_f32_e32 v101, v99, v99
	v_fmaak_f32 v102, s21, v101, 0x3ecc95a3
	v_mul_f32_e32 v103, v99, v101
	v_cmp_eq_f32_e64 s21, 0x7f800000, v87
	s_delay_alu instid0(VALU_DEP_3) | instskip(SKIP_2) | instid1(VALU_DEP_4)
	v_fmaak_f32 v101, v101, v102, 0x3f2aaada
	v_ldexp_f32 v102, v99, 1
	v_sub_f32_e32 v99, v99, v100
	s_or_b32 s21, s21, s24
	s_delay_alu instid0(VALU_DEP_3) | instskip(NEXT) | instid1(VALU_DEP_2)
	v_mul_f32_e32 v101, v103, v101
	v_dual_mul_f32 v103, 0x3f317218, v97 :: v_dual_sub_f32 v98, v98, v99
	s_delay_alu instid0(VALU_DEP_2) | instskip(NEXT) | instid1(VALU_DEP_2)
	v_add_f32_e32 v100, v102, v101
	v_ldexp_f32 v98, v98, 1
	s_delay_alu instid0(VALU_DEP_2) | instskip(NEXT) | instid1(VALU_DEP_4)
	v_sub_f32_e32 v99, v100, v102
	v_fma_f32 v102, 0x3f317218, v97, -v103
	s_delay_alu instid0(VALU_DEP_2) | instskip(NEXT) | instid1(VALU_DEP_1)
	v_sub_f32_e32 v99, v101, v99
	v_dual_fmamk_f32 v97, v97, 0xb102e308, v102 :: v_dual_add_f32 v98, v98, v99
	s_delay_alu instid0(VALU_DEP_1) | instskip(NEXT) | instid1(VALU_DEP_1)
	v_add_f32_e32 v99, v103, v97
	v_sub_f32_e32 v103, v99, v103
	s_delay_alu instid0(VALU_DEP_1) | instskip(NEXT) | instid1(VALU_DEP_4)
	v_sub_f32_e32 v97, v97, v103
	v_add_f32_e32 v101, v100, v98
	s_delay_alu instid0(VALU_DEP_1) | instskip(NEXT) | instid1(VALU_DEP_1)
	v_sub_f32_e32 v100, v101, v100
	v_sub_f32_e32 v98, v98, v100
	v_add_f32_e32 v102, v99, v101
	s_delay_alu instid0(VALU_DEP_1) | instskip(NEXT) | instid1(VALU_DEP_1)
	v_sub_f32_e32 v112, v102, v99
	v_sub_f32_e32 v100, v101, v112
	s_delay_alu instid0(VALU_DEP_4) | instskip(SKIP_1) | instid1(VALU_DEP_1)
	v_add_f32_e32 v101, v97, v98
	v_sub_f32_e32 v113, v102, v112
	v_sub_f32_e32 v99, v99, v113
	s_delay_alu instid0(VALU_DEP_1) | instskip(NEXT) | instid1(VALU_DEP_1)
	v_dual_add_f32 v99, v100, v99 :: v_dual_sub_f32 v100, v101, v97
	v_dual_add_f32 v99, v101, v99 :: v_dual_sub_f32 v98, v98, v100
	v_sub_f32_e32 v101, v101, v100
	s_delay_alu instid0(VALU_DEP_2) | instskip(NEXT) | instid1(VALU_DEP_1)
	v_add_f32_e32 v103, v102, v99
	v_dual_sub_f32 v97, v97, v101 :: v_dual_sub_f32 v100, v103, v102
	s_delay_alu instid0(VALU_DEP_1) | instskip(NEXT) | instid1(VALU_DEP_1)
	v_dual_add_f32 v97, v98, v97 :: v_dual_sub_f32 v98, v99, v100
	v_add_f32_e32 v97, v97, v98
	s_delay_alu instid0(VALU_DEP_1) | instskip(NEXT) | instid1(VALU_DEP_1)
	v_add_f32_e32 v97, v103, v97
	v_cndmask_b32_e64 v87, v97, v87, s21
	s_delay_alu instid0(VALU_DEP_1)
	v_add_f32_e32 v87, v86, v87
.LBB481_282:
	s_or_b32 exec_lo, exec_lo, s22
	s_delay_alu instid0(VALU_DEP_1) | instskip(SKIP_1) | instid1(VALU_DEP_2)
	v_bfe_u32 v86, v87, 16, 1
	v_cmp_o_f32_e64 s21, v87, v87
	v_add3_u32 v86, v87, v86, 0x7fff
	s_delay_alu instid0(VALU_DEP_1) | instskip(NEXT) | instid1(VALU_DEP_1)
	v_and_b32_e32 v86, 0xffff0000, v86
	v_cndmask_b32_e64 v97, 0x7fc00000, v86, s21
	s_delay_alu instid0(VALU_DEP_1) | instskip(SKIP_2) | instid1(VALU_DEP_2)
	v_max_f32_e32 v87, v97, v97
	v_lshlrev_b32_e32 v29, 16, v29
	v_cmp_u_f32_e64 s21, v97, v97
	v_max_f32_e32 v86, v29, v29
	s_delay_alu instid0(VALU_DEP_1) | instskip(SKIP_1) | instid1(VALU_DEP_2)
	v_min_f32_e32 v98, v87, v86
	v_max_f32_e32 v87, v87, v86
	v_cndmask_b32_e64 v98, v98, v97, s21
	s_delay_alu instid0(VALU_DEP_2) | instskip(SKIP_1) | instid1(VALU_DEP_1)
	v_cndmask_b32_e64 v87, v87, v97, s21
	v_cmp_u_f32_e64 s21, v29, v29
	v_cndmask_b32_e64 v98, v98, v29, s21
	s_delay_alu instid0(VALU_DEP_3) | instskip(NEXT) | instid1(VALU_DEP_2)
	v_cndmask_b32_e64 v87, v87, v29, s21
	v_cmp_class_f32_e64 s24, v98, 0x1f8
	s_delay_alu instid0(VALU_DEP_2) | instskip(NEXT) | instid1(VALU_DEP_1)
	v_cmp_neq_f32_e64 s22, v98, v87
	s_or_b32 s22, s22, s24
	s_delay_alu instid0(SALU_CYCLE_1)
	s_and_saveexec_b32 s24, s22
	s_cbranch_execz .LBB481_284
; %bb.283:
	v_sub_f32_e32 v97, v98, v87
	s_delay_alu instid0(VALU_DEP_1) | instskip(SKIP_1) | instid1(VALU_DEP_2)
	v_mul_f32_e32 v98, 0x3fb8aa3b, v97
	v_cmp_ngt_f32_e64 s22, 0xc2ce8ed0, v97
	v_fma_f32 v99, 0x3fb8aa3b, v97, -v98
	v_rndne_f32_e32 v100, v98
	s_delay_alu instid0(VALU_DEP_1) | instskip(NEXT) | instid1(VALU_DEP_1)
	v_dual_fmamk_f32 v99, v97, 0x32a5705f, v99 :: v_dual_sub_f32 v98, v98, v100
	v_add_f32_e32 v98, v98, v99
	v_cvt_i32_f32_e32 v99, v100
	s_delay_alu instid0(VALU_DEP_2) | instskip(SKIP_2) | instid1(VALU_DEP_1)
	v_exp_f32_e32 v98, v98
	s_waitcnt_depctr 0xfff
	v_ldexp_f32 v98, v98, v99
	v_cndmask_b32_e64 v98, 0, v98, s22
	v_cmp_nlt_f32_e64 s22, 0x42b17218, v97
	s_delay_alu instid0(VALU_DEP_1) | instskip(NEXT) | instid1(VALU_DEP_1)
	v_cndmask_b32_e64 v99, 0x7f800000, v98, s22
	v_add_f32_e32 v100, 1.0, v99
	v_cmp_gt_f32_e64 s25, 0x33800000, |v99|
	s_delay_alu instid0(VALU_DEP_2) | instskip(NEXT) | instid1(VALU_DEP_1)
	v_cvt_f64_f32_e32 v[97:98], v100
	v_frexp_exp_i32_f64_e32 v97, v[97:98]
	v_frexp_mant_f32_e32 v98, v100
	s_delay_alu instid0(VALU_DEP_1) | instskip(SKIP_1) | instid1(VALU_DEP_1)
	v_cmp_gt_f32_e64 s22, 0x3f2aaaab, v98
	v_add_f32_e32 v98, -1.0, v100
	v_sub_f32_e32 v102, v98, v100
	v_sub_f32_e32 v98, v99, v98
	s_delay_alu instid0(VALU_DEP_4) | instskip(SKIP_1) | instid1(VALU_DEP_1)
	v_subrev_co_ci_u32_e64 v97, s22, 0, v97, s22
	s_mov_b32 s22, 0x3e9b6dac
	v_sub_nc_u32_e32 v101, 0, v97
	v_cvt_f32_i32_e32 v97, v97
	s_delay_alu instid0(VALU_DEP_2) | instskip(NEXT) | instid1(VALU_DEP_1)
	v_ldexp_f32 v100, v100, v101
	v_dual_add_f32 v103, 1.0, v100 :: v_dual_add_f32 v102, 1.0, v102
	s_delay_alu instid0(VALU_DEP_1) | instskip(NEXT) | instid1(VALU_DEP_2)
	v_add_f32_e32 v98, v98, v102
	v_add_f32_e32 v102, -1.0, v103
	s_delay_alu instid0(VALU_DEP_2) | instskip(NEXT) | instid1(VALU_DEP_2)
	v_ldexp_f32 v98, v98, v101
	v_dual_add_f32 v101, -1.0, v100 :: v_dual_sub_f32 v102, v100, v102
	s_delay_alu instid0(VALU_DEP_1) | instskip(NEXT) | instid1(VALU_DEP_2)
	v_add_f32_e32 v112, 1.0, v101
	v_add_f32_e32 v102, v98, v102
	s_delay_alu instid0(VALU_DEP_2) | instskip(NEXT) | instid1(VALU_DEP_2)
	v_sub_f32_e32 v100, v100, v112
	v_add_f32_e32 v112, v103, v102
	s_delay_alu instid0(VALU_DEP_2) | instskip(NEXT) | instid1(VALU_DEP_2)
	v_add_f32_e32 v98, v98, v100
	v_rcp_f32_e32 v100, v112
	v_sub_f32_e32 v103, v103, v112
	s_delay_alu instid0(VALU_DEP_1) | instskip(NEXT) | instid1(VALU_DEP_1)
	v_dual_add_f32 v113, v101, v98 :: v_dual_add_f32 v102, v102, v103
	v_sub_f32_e32 v101, v101, v113
	s_waitcnt_depctr 0xfff
	v_mul_f32_e32 v114, v113, v100
	s_delay_alu instid0(VALU_DEP_1) | instskip(NEXT) | instid1(VALU_DEP_1)
	v_dual_add_f32 v98, v98, v101 :: v_dual_mul_f32 v115, v112, v114
	v_fma_f32 v103, v114, v112, -v115
	s_delay_alu instid0(VALU_DEP_1) | instskip(NEXT) | instid1(VALU_DEP_1)
	v_fmac_f32_e32 v103, v114, v102
	v_add_f32_e32 v116, v115, v103
	s_delay_alu instid0(VALU_DEP_1) | instskip(SKIP_1) | instid1(VALU_DEP_2)
	v_sub_f32_e32 v117, v113, v116
	v_sub_f32_e32 v101, v116, v115
	;; [unrolled: 1-line block ×3, first 2 shown]
	s_delay_alu instid0(VALU_DEP_2) | instskip(NEXT) | instid1(VALU_DEP_2)
	v_sub_f32_e32 v101, v101, v103
	v_sub_f32_e32 v113, v113, v116
	s_delay_alu instid0(VALU_DEP_1) | instskip(NEXT) | instid1(VALU_DEP_1)
	v_add_f32_e32 v98, v98, v113
	v_add_f32_e32 v98, v101, v98
	s_delay_alu instid0(VALU_DEP_1) | instskip(NEXT) | instid1(VALU_DEP_1)
	v_add_f32_e32 v101, v117, v98
	v_mul_f32_e32 v103, v100, v101
	s_delay_alu instid0(VALU_DEP_1) | instskip(NEXT) | instid1(VALU_DEP_1)
	v_dual_sub_f32 v116, v117, v101 :: v_dual_mul_f32 v113, v112, v103
	v_add_f32_e32 v98, v98, v116
	s_delay_alu instid0(VALU_DEP_2) | instskip(NEXT) | instid1(VALU_DEP_1)
	v_fma_f32 v112, v103, v112, -v113
	v_fmac_f32_e32 v112, v103, v102
	s_delay_alu instid0(VALU_DEP_1) | instskip(NEXT) | instid1(VALU_DEP_1)
	v_add_f32_e32 v102, v113, v112
	v_sub_f32_e32 v115, v101, v102
	v_sub_f32_e32 v113, v102, v113
	s_delay_alu instid0(VALU_DEP_2) | instskip(NEXT) | instid1(VALU_DEP_1)
	v_sub_f32_e32 v101, v101, v115
	v_sub_f32_e32 v101, v101, v102
	s_delay_alu instid0(VALU_DEP_3) | instskip(NEXT) | instid1(VALU_DEP_2)
	v_sub_f32_e32 v102, v113, v112
	v_add_f32_e32 v98, v98, v101
	v_add_f32_e32 v101, v114, v103
	s_delay_alu instid0(VALU_DEP_2) | instskip(NEXT) | instid1(VALU_DEP_2)
	v_add_f32_e32 v98, v102, v98
	v_sub_f32_e32 v102, v101, v114
	s_delay_alu instid0(VALU_DEP_2) | instskip(NEXT) | instid1(VALU_DEP_2)
	v_add_f32_e32 v98, v115, v98
	v_sub_f32_e32 v102, v103, v102
	s_delay_alu instid0(VALU_DEP_2) | instskip(NEXT) | instid1(VALU_DEP_1)
	v_mul_f32_e32 v98, v100, v98
	v_add_f32_e32 v98, v102, v98
	s_delay_alu instid0(VALU_DEP_1) | instskip(NEXT) | instid1(VALU_DEP_1)
	v_add_f32_e32 v100, v101, v98
	v_mul_f32_e32 v102, v100, v100
	s_delay_alu instid0(VALU_DEP_1) | instskip(SKIP_2) | instid1(VALU_DEP_3)
	v_fmaak_f32 v103, s22, v102, 0x3ecc95a3
	v_mul_f32_e32 v112, v100, v102
	v_cmp_eq_f32_e64 s22, 0x7f800000, v99
	v_fmaak_f32 v102, v102, v103, 0x3f2aaada
	v_ldexp_f32 v103, v100, 1
	v_sub_f32_e32 v100, v100, v101
	s_delay_alu instid0(VALU_DEP_4) | instskip(NEXT) | instid1(VALU_DEP_3)
	s_or_b32 s22, s22, s25
	v_mul_f32_e32 v102, v112, v102
	v_mul_f32_e32 v112, 0x3f317218, v97
	s_delay_alu instid0(VALU_DEP_2) | instskip(NEXT) | instid1(VALU_DEP_1)
	v_dual_sub_f32 v98, v98, v100 :: v_dual_add_f32 v101, v103, v102
	v_ldexp_f32 v98, v98, 1
	s_delay_alu instid0(VALU_DEP_2) | instskip(NEXT) | instid1(VALU_DEP_4)
	v_sub_f32_e32 v100, v101, v103
	v_fma_f32 v103, 0x3f317218, v97, -v112
	s_delay_alu instid0(VALU_DEP_1) | instskip(NEXT) | instid1(VALU_DEP_1)
	v_dual_sub_f32 v100, v102, v100 :: v_dual_fmamk_f32 v97, v97, 0xb102e308, v103
	v_add_f32_e32 v98, v98, v100
	s_delay_alu instid0(VALU_DEP_2) | instskip(NEXT) | instid1(VALU_DEP_2)
	v_add_f32_e32 v100, v112, v97
	v_add_f32_e32 v102, v101, v98
	s_delay_alu instid0(VALU_DEP_2) | instskip(NEXT) | instid1(VALU_DEP_2)
	v_sub_f32_e32 v112, v100, v112
	v_add_f32_e32 v103, v100, v102
	v_sub_f32_e32 v101, v102, v101
	s_delay_alu instid0(VALU_DEP_3) | instskip(NEXT) | instid1(VALU_DEP_2)
	v_sub_f32_e32 v97, v97, v112
	v_dual_sub_f32 v113, v103, v100 :: v_dual_sub_f32 v98, v98, v101
	s_delay_alu instid0(VALU_DEP_1) | instskip(NEXT) | instid1(VALU_DEP_2)
	v_sub_f32_e32 v114, v103, v113
	v_dual_sub_f32 v101, v102, v113 :: v_dual_add_f32 v102, v97, v98
	s_delay_alu instid0(VALU_DEP_2) | instskip(NEXT) | instid1(VALU_DEP_1)
	v_sub_f32_e32 v100, v100, v114
	v_dual_add_f32 v100, v101, v100 :: v_dual_sub_f32 v101, v102, v97
	s_delay_alu instid0(VALU_DEP_1) | instskip(NEXT) | instid1(VALU_DEP_2)
	v_add_f32_e32 v100, v102, v100
	v_sub_f32_e32 v102, v102, v101
	v_sub_f32_e32 v98, v98, v101
	s_delay_alu instid0(VALU_DEP_2) | instskip(NEXT) | instid1(VALU_DEP_1)
	v_dual_add_f32 v112, v103, v100 :: v_dual_sub_f32 v97, v97, v102
	v_sub_f32_e32 v101, v112, v103
	s_delay_alu instid0(VALU_DEP_2) | instskip(NEXT) | instid1(VALU_DEP_2)
	v_add_f32_e32 v97, v98, v97
	v_sub_f32_e32 v98, v100, v101
	s_delay_alu instid0(VALU_DEP_1) | instskip(NEXT) | instid1(VALU_DEP_1)
	v_add_f32_e32 v97, v97, v98
	v_add_f32_e32 v97, v112, v97
	s_delay_alu instid0(VALU_DEP_1) | instskip(NEXT) | instid1(VALU_DEP_1)
	v_cndmask_b32_e64 v97, v97, v99, s22
	v_add_f32_e32 v97, v87, v97
.LBB481_284:
	s_or_b32 exec_lo, exec_lo, s24
	s_delay_alu instid0(VALU_DEP_1) | instskip(SKIP_1) | instid1(VALU_DEP_2)
	v_bfe_u32 v87, v97, 16, 1
	v_cmp_o_f32_e64 s22, v97, v97
	v_add3_u32 v87, v97, v87, 0x7fff
	s_delay_alu instid0(VALU_DEP_1) | instskip(NEXT) | instid1(VALU_DEP_1)
	v_and_b32_e32 v87, 0xffff0000, v87
	v_cndmask_b32_e64 v98, 0x7fc00000, v87, s22
	s_delay_alu instid0(VALU_DEP_1) | instskip(NEXT) | instid1(VALU_DEP_1)
	v_dual_max_f32 v97, v98, v98 :: v_dual_lshlrev_b32 v28, 16, v28
	v_max_f32_e32 v87, v28, v28
	v_cmp_u_f32_e64 s22, v98, v98
	s_delay_alu instid0(VALU_DEP_2) | instskip(SKIP_1) | instid1(VALU_DEP_2)
	v_min_f32_e32 v99, v97, v87
	v_max_f32_e32 v97, v97, v87
	v_cndmask_b32_e64 v99, v99, v98, s22
	s_delay_alu instid0(VALU_DEP_2) | instskip(SKIP_1) | instid1(VALU_DEP_1)
	v_cndmask_b32_e64 v97, v97, v98, s22
	v_cmp_u_f32_e64 s22, v28, v28
	v_cndmask_b32_e64 v99, v99, v28, s22
	s_delay_alu instid0(VALU_DEP_3) | instskip(NEXT) | instid1(VALU_DEP_2)
	v_cndmask_b32_e64 v97, v97, v28, s22
	v_cmp_class_f32_e64 s25, v99, 0x1f8
	s_delay_alu instid0(VALU_DEP_2) | instskip(NEXT) | instid1(VALU_DEP_1)
	v_cmp_neq_f32_e64 s24, v99, v97
	s_or_b32 s24, s24, s25
	s_delay_alu instid0(SALU_CYCLE_1)
	s_and_saveexec_b32 s25, s24
	s_cbranch_execz .LBB481_286
; %bb.285:
	v_sub_f32_e32 v98, v99, v97
	s_delay_alu instid0(VALU_DEP_1) | instskip(SKIP_1) | instid1(VALU_DEP_2)
	v_mul_f32_e32 v99, 0x3fb8aa3b, v98
	v_cmp_ngt_f32_e64 s24, 0xc2ce8ed0, v98
	v_fma_f32 v100, 0x3fb8aa3b, v98, -v99
	v_rndne_f32_e32 v101, v99
	s_delay_alu instid0(VALU_DEP_1) | instskip(NEXT) | instid1(VALU_DEP_1)
	v_dual_fmamk_f32 v100, v98, 0x32a5705f, v100 :: v_dual_sub_f32 v99, v99, v101
	v_add_f32_e32 v99, v99, v100
	v_cvt_i32_f32_e32 v100, v101
	s_delay_alu instid0(VALU_DEP_2) | instskip(SKIP_2) | instid1(VALU_DEP_1)
	v_exp_f32_e32 v99, v99
	s_waitcnt_depctr 0xfff
	v_ldexp_f32 v99, v99, v100
	v_cndmask_b32_e64 v99, 0, v99, s24
	v_cmp_nlt_f32_e64 s24, 0x42b17218, v98
	s_delay_alu instid0(VALU_DEP_1) | instskip(NEXT) | instid1(VALU_DEP_1)
	v_cndmask_b32_e64 v100, 0x7f800000, v99, s24
	v_add_f32_e32 v101, 1.0, v100
	v_cmp_gt_f32_e64 s26, 0x33800000, |v100|
	s_delay_alu instid0(VALU_DEP_2) | instskip(NEXT) | instid1(VALU_DEP_1)
	v_cvt_f64_f32_e32 v[98:99], v101
	v_frexp_exp_i32_f64_e32 v98, v[98:99]
	v_frexp_mant_f32_e32 v99, v101
	s_delay_alu instid0(VALU_DEP_1) | instskip(SKIP_1) | instid1(VALU_DEP_1)
	v_cmp_gt_f32_e64 s24, 0x3f2aaaab, v99
	v_add_f32_e32 v99, -1.0, v101
	v_sub_f32_e32 v103, v99, v101
	v_sub_f32_e32 v99, v100, v99
	s_delay_alu instid0(VALU_DEP_4) | instskip(SKIP_1) | instid1(VALU_DEP_1)
	v_subrev_co_ci_u32_e64 v98, s24, 0, v98, s24
	s_mov_b32 s24, 0x3e9b6dac
	v_sub_nc_u32_e32 v102, 0, v98
	v_cvt_f32_i32_e32 v98, v98
	s_delay_alu instid0(VALU_DEP_2) | instskip(NEXT) | instid1(VALU_DEP_1)
	v_ldexp_f32 v101, v101, v102
	v_dual_add_f32 v112, 1.0, v101 :: v_dual_add_f32 v103, 1.0, v103
	s_delay_alu instid0(VALU_DEP_1) | instskip(NEXT) | instid1(VALU_DEP_2)
	v_add_f32_e32 v99, v99, v103
	v_add_f32_e32 v103, -1.0, v112
	s_delay_alu instid0(VALU_DEP_2) | instskip(NEXT) | instid1(VALU_DEP_2)
	v_ldexp_f32 v99, v99, v102
	v_dual_add_f32 v102, -1.0, v101 :: v_dual_sub_f32 v103, v101, v103
	s_delay_alu instid0(VALU_DEP_1) | instskip(NEXT) | instid1(VALU_DEP_2)
	v_add_f32_e32 v113, 1.0, v102
	v_add_f32_e32 v103, v99, v103
	s_delay_alu instid0(VALU_DEP_2) | instskip(NEXT) | instid1(VALU_DEP_2)
	v_sub_f32_e32 v101, v101, v113
	v_add_f32_e32 v113, v112, v103
	s_delay_alu instid0(VALU_DEP_2) | instskip(NEXT) | instid1(VALU_DEP_2)
	v_add_f32_e32 v99, v99, v101
	v_rcp_f32_e32 v101, v113
	v_sub_f32_e32 v112, v112, v113
	s_delay_alu instid0(VALU_DEP_1) | instskip(NEXT) | instid1(VALU_DEP_1)
	v_dual_add_f32 v114, v102, v99 :: v_dual_add_f32 v103, v103, v112
	v_sub_f32_e32 v102, v102, v114
	s_waitcnt_depctr 0xfff
	v_mul_f32_e32 v115, v114, v101
	s_delay_alu instid0(VALU_DEP_1) | instskip(NEXT) | instid1(VALU_DEP_1)
	v_dual_add_f32 v99, v99, v102 :: v_dual_mul_f32 v116, v113, v115
	v_fma_f32 v112, v115, v113, -v116
	s_delay_alu instid0(VALU_DEP_1) | instskip(NEXT) | instid1(VALU_DEP_1)
	v_fmac_f32_e32 v112, v115, v103
	v_add_f32_e32 v117, v116, v112
	s_delay_alu instid0(VALU_DEP_1) | instskip(SKIP_1) | instid1(VALU_DEP_2)
	v_sub_f32_e32 v118, v114, v117
	v_sub_f32_e32 v102, v117, v116
	;; [unrolled: 1-line block ×3, first 2 shown]
	s_delay_alu instid0(VALU_DEP_2) | instskip(NEXT) | instid1(VALU_DEP_2)
	v_sub_f32_e32 v102, v102, v112
	v_sub_f32_e32 v114, v114, v117
	s_delay_alu instid0(VALU_DEP_1) | instskip(NEXT) | instid1(VALU_DEP_1)
	v_add_f32_e32 v99, v99, v114
	v_add_f32_e32 v99, v102, v99
	s_delay_alu instid0(VALU_DEP_1) | instskip(NEXT) | instid1(VALU_DEP_1)
	v_add_f32_e32 v102, v118, v99
	v_mul_f32_e32 v112, v101, v102
	s_delay_alu instid0(VALU_DEP_1) | instskip(NEXT) | instid1(VALU_DEP_1)
	v_dual_sub_f32 v117, v118, v102 :: v_dual_mul_f32 v114, v113, v112
	v_add_f32_e32 v99, v99, v117
	s_delay_alu instid0(VALU_DEP_2) | instskip(NEXT) | instid1(VALU_DEP_1)
	v_fma_f32 v113, v112, v113, -v114
	v_fmac_f32_e32 v113, v112, v103
	s_delay_alu instid0(VALU_DEP_1) | instskip(NEXT) | instid1(VALU_DEP_1)
	v_add_f32_e32 v103, v114, v113
	v_sub_f32_e32 v116, v102, v103
	v_sub_f32_e32 v114, v103, v114
	s_delay_alu instid0(VALU_DEP_2) | instskip(NEXT) | instid1(VALU_DEP_1)
	v_sub_f32_e32 v102, v102, v116
	v_sub_f32_e32 v102, v102, v103
	s_delay_alu instid0(VALU_DEP_3) | instskip(NEXT) | instid1(VALU_DEP_2)
	v_sub_f32_e32 v103, v114, v113
	v_add_f32_e32 v99, v99, v102
	v_add_f32_e32 v102, v115, v112
	s_delay_alu instid0(VALU_DEP_2) | instskip(NEXT) | instid1(VALU_DEP_2)
	v_add_f32_e32 v99, v103, v99
	v_sub_f32_e32 v103, v102, v115
	s_delay_alu instid0(VALU_DEP_2) | instskip(NEXT) | instid1(VALU_DEP_2)
	v_add_f32_e32 v99, v116, v99
	v_sub_f32_e32 v103, v112, v103
	s_delay_alu instid0(VALU_DEP_2) | instskip(NEXT) | instid1(VALU_DEP_1)
	v_mul_f32_e32 v99, v101, v99
	v_add_f32_e32 v99, v103, v99
	s_delay_alu instid0(VALU_DEP_1) | instskip(NEXT) | instid1(VALU_DEP_1)
	v_add_f32_e32 v101, v102, v99
	v_mul_f32_e32 v103, v101, v101
	s_delay_alu instid0(VALU_DEP_1) | instskip(SKIP_2) | instid1(VALU_DEP_3)
	v_fmaak_f32 v112, s24, v103, 0x3ecc95a3
	v_mul_f32_e32 v113, v101, v103
	v_cmp_eq_f32_e64 s24, 0x7f800000, v100
	v_fmaak_f32 v103, v103, v112, 0x3f2aaada
	v_ldexp_f32 v112, v101, 1
	v_sub_f32_e32 v101, v101, v102
	s_delay_alu instid0(VALU_DEP_4) | instskip(NEXT) | instid1(VALU_DEP_3)
	s_or_b32 s24, s24, s26
	v_mul_f32_e32 v103, v113, v103
	v_mul_f32_e32 v113, 0x3f317218, v98
	s_delay_alu instid0(VALU_DEP_2) | instskip(NEXT) | instid1(VALU_DEP_1)
	v_dual_sub_f32 v99, v99, v101 :: v_dual_add_f32 v102, v112, v103
	v_ldexp_f32 v99, v99, 1
	s_delay_alu instid0(VALU_DEP_2) | instskip(NEXT) | instid1(VALU_DEP_4)
	v_sub_f32_e32 v101, v102, v112
	v_fma_f32 v112, 0x3f317218, v98, -v113
	s_delay_alu instid0(VALU_DEP_1) | instskip(NEXT) | instid1(VALU_DEP_1)
	v_dual_sub_f32 v101, v103, v101 :: v_dual_fmamk_f32 v98, v98, 0xb102e308, v112
	v_add_f32_e32 v99, v99, v101
	s_delay_alu instid0(VALU_DEP_2) | instskip(NEXT) | instid1(VALU_DEP_2)
	v_add_f32_e32 v101, v113, v98
	v_add_f32_e32 v103, v102, v99
	s_delay_alu instid0(VALU_DEP_2) | instskip(NEXT) | instid1(VALU_DEP_2)
	v_sub_f32_e32 v113, v101, v113
	v_add_f32_e32 v112, v101, v103
	v_sub_f32_e32 v102, v103, v102
	s_delay_alu instid0(VALU_DEP_3) | instskip(NEXT) | instid1(VALU_DEP_2)
	v_sub_f32_e32 v98, v98, v113
	v_dual_sub_f32 v114, v112, v101 :: v_dual_sub_f32 v99, v99, v102
	s_delay_alu instid0(VALU_DEP_1) | instskip(NEXT) | instid1(VALU_DEP_2)
	v_sub_f32_e32 v115, v112, v114
	v_dual_sub_f32 v102, v103, v114 :: v_dual_add_f32 v103, v98, v99
	s_delay_alu instid0(VALU_DEP_2) | instskip(NEXT) | instid1(VALU_DEP_1)
	v_sub_f32_e32 v101, v101, v115
	v_dual_add_f32 v101, v102, v101 :: v_dual_sub_f32 v102, v103, v98
	s_delay_alu instid0(VALU_DEP_1) | instskip(NEXT) | instid1(VALU_DEP_2)
	v_add_f32_e32 v101, v103, v101
	v_sub_f32_e32 v103, v103, v102
	v_sub_f32_e32 v99, v99, v102
	s_delay_alu instid0(VALU_DEP_2) | instskip(NEXT) | instid1(VALU_DEP_1)
	v_dual_add_f32 v113, v112, v101 :: v_dual_sub_f32 v98, v98, v103
	v_sub_f32_e32 v102, v113, v112
	s_delay_alu instid0(VALU_DEP_2) | instskip(NEXT) | instid1(VALU_DEP_2)
	v_add_f32_e32 v98, v99, v98
	v_sub_f32_e32 v99, v101, v102
	s_delay_alu instid0(VALU_DEP_1) | instskip(NEXT) | instid1(VALU_DEP_1)
	v_add_f32_e32 v98, v98, v99
	v_add_f32_e32 v98, v113, v98
	s_delay_alu instid0(VALU_DEP_1) | instskip(NEXT) | instid1(VALU_DEP_1)
	v_cndmask_b32_e64 v98, v98, v100, s24
	v_add_f32_e32 v98, v97, v98
.LBB481_286:
	s_or_b32 exec_lo, exec_lo, s25
	s_delay_alu instid0(VALU_DEP_1) | instskip(SKIP_3) | instid1(VALU_DEP_3)
	v_bfe_u32 v97, v98, 16, 1
	v_lshrrev_b32_e32 v99, 5, v21
	v_cmp_o_f32_e64 s24, v98, v98
	s_mov_b32 s26, exec_lo
	v_add3_u32 v97, v98, v97, 0x7fff
	s_delay_alu instid0(VALU_DEP_3) | instskip(NEXT) | instid1(VALU_DEP_2)
	v_add_lshl_u32 v99, v99, v21, 1
	v_lshrrev_b32_e32 v97, 16, v97
	s_delay_alu instid0(VALU_DEP_1)
	v_cndmask_b32_e64 v97, 0x7fc0, v97, s24
	ds_store_b16 v99, v97
	s_waitcnt lgkmcnt(0)
	s_barrier
	buffer_gl0_inv
	v_cmpx_gt_u32_e32 32, v21
	s_cbranch_execz .LBB481_314
; %bb.287:
	v_lshrrev_b32_e32 v98, 3, v21
	s_delay_alu instid0(VALU_DEP_1) | instskip(NEXT) | instid1(VALU_DEP_1)
	v_and_b32_e32 v98, 0x7e, v98
	v_lshl_or_b32 v98, v21, 2, v98
	ds_load_u16 v99, v98 offset:2
	ds_load_u16 v100, v98
	s_waitcnt lgkmcnt(1)
	v_lshlrev_b32_e32 v101, 16, v99
	s_waitcnt lgkmcnt(0)
	s_delay_alu instid0(VALU_DEP_1) | instskip(NEXT) | instid1(VALU_DEP_1)
	v_dual_max_f32 v102, v101, v101 :: v_dual_lshlrev_b32 v99, 16, v100
	v_max_f32_e32 v100, v99, v99
	v_cmp_u_f32_e64 s24, v99, v99
	s_delay_alu instid0(VALU_DEP_2) | instskip(SKIP_2) | instid1(VALU_DEP_3)
	v_min_f32_e32 v103, v100, v102
	v_max_f32_e32 v102, v100, v102
	v_cmp_u_f32_e64 s25, v101, v101
	v_cndmask_b32_e64 v103, v103, v99, s24
	s_delay_alu instid0(VALU_DEP_3) | instskip(NEXT) | instid1(VALU_DEP_2)
	v_cndmask_b32_e64 v102, v102, v99, s24
	v_cndmask_b32_e64 v103, v103, v101, s25
	s_delay_alu instid0(VALU_DEP_2) | instskip(SKIP_1) | instid1(VALU_DEP_3)
	v_cndmask_b32_e64 v101, v102, v101, s25
	v_mov_b32_e32 v102, v99
	v_cmp_class_f32_e64 s27, v103, 0x1f8
	s_delay_alu instid0(VALU_DEP_3) | instskip(NEXT) | instid1(VALU_DEP_1)
	v_cmp_neq_f32_e64 s25, v103, v101
	s_or_b32 s25, s25, s27
	s_delay_alu instid0(SALU_CYCLE_1)
	s_and_saveexec_b32 s27, s25
	s_cbranch_execz .LBB481_289
; %bb.288:
	v_sub_f32_e32 v102, v103, v101
	s_delay_alu instid0(VALU_DEP_1) | instskip(SKIP_1) | instid1(VALU_DEP_2)
	v_mul_f32_e32 v103, 0x3fb8aa3b, v102
	v_cmp_ngt_f32_e64 s25, 0xc2ce8ed0, v102
	v_fma_f32 v112, 0x3fb8aa3b, v102, -v103
	v_rndne_f32_e32 v113, v103
	s_delay_alu instid0(VALU_DEP_1) | instskip(NEXT) | instid1(VALU_DEP_1)
	v_dual_fmamk_f32 v112, v102, 0x32a5705f, v112 :: v_dual_sub_f32 v103, v103, v113
	v_add_f32_e32 v103, v103, v112
	v_cvt_i32_f32_e32 v112, v113
	s_delay_alu instid0(VALU_DEP_2) | instskip(SKIP_2) | instid1(VALU_DEP_1)
	v_exp_f32_e32 v103, v103
	s_waitcnt_depctr 0xfff
	v_ldexp_f32 v103, v103, v112
	v_cndmask_b32_e64 v103, 0, v103, s25
	v_cmp_nlt_f32_e64 s25, 0x42b17218, v102
	s_delay_alu instid0(VALU_DEP_1) | instskip(NEXT) | instid1(VALU_DEP_1)
	v_cndmask_b32_e64 v112, 0x7f800000, v103, s25
	v_add_f32_e32 v113, 1.0, v112
	v_cmp_gt_f32_e64 s28, 0x33800000, |v112|
	s_delay_alu instid0(VALU_DEP_2) | instskip(NEXT) | instid1(VALU_DEP_1)
	v_cvt_f64_f32_e32 v[102:103], v113
	v_frexp_exp_i32_f64_e32 v102, v[102:103]
	v_frexp_mant_f32_e32 v103, v113
	s_delay_alu instid0(VALU_DEP_1) | instskip(SKIP_1) | instid1(VALU_DEP_1)
	v_cmp_gt_f32_e64 s25, 0x3f2aaaab, v103
	v_add_f32_e32 v103, -1.0, v113
	v_sub_f32_e32 v115, v103, v113
	v_sub_f32_e32 v103, v112, v103
	s_delay_alu instid0(VALU_DEP_4) | instskip(SKIP_1) | instid1(VALU_DEP_1)
	v_subrev_co_ci_u32_e64 v102, s25, 0, v102, s25
	s_mov_b32 s25, 0x3e9b6dac
	v_sub_nc_u32_e32 v114, 0, v102
	v_cvt_f32_i32_e32 v102, v102
	s_delay_alu instid0(VALU_DEP_2) | instskip(NEXT) | instid1(VALU_DEP_1)
	v_ldexp_f32 v113, v113, v114
	v_dual_add_f32 v116, 1.0, v113 :: v_dual_add_f32 v115, 1.0, v115
	s_delay_alu instid0(VALU_DEP_1) | instskip(NEXT) | instid1(VALU_DEP_2)
	v_add_f32_e32 v103, v103, v115
	v_add_f32_e32 v115, -1.0, v116
	s_delay_alu instid0(VALU_DEP_2) | instskip(NEXT) | instid1(VALU_DEP_2)
	v_ldexp_f32 v103, v103, v114
	v_dual_add_f32 v114, -1.0, v113 :: v_dual_sub_f32 v115, v113, v115
	s_delay_alu instid0(VALU_DEP_1) | instskip(NEXT) | instid1(VALU_DEP_2)
	v_add_f32_e32 v117, 1.0, v114
	v_add_f32_e32 v115, v103, v115
	s_delay_alu instid0(VALU_DEP_2) | instskip(NEXT) | instid1(VALU_DEP_2)
	v_sub_f32_e32 v113, v113, v117
	v_add_f32_e32 v117, v116, v115
	s_delay_alu instid0(VALU_DEP_2) | instskip(NEXT) | instid1(VALU_DEP_2)
	v_add_f32_e32 v103, v103, v113
	v_rcp_f32_e32 v113, v117
	v_sub_f32_e32 v116, v116, v117
	s_delay_alu instid0(VALU_DEP_1) | instskip(NEXT) | instid1(VALU_DEP_1)
	v_dual_add_f32 v118, v114, v103 :: v_dual_add_f32 v115, v115, v116
	v_sub_f32_e32 v114, v114, v118
	s_waitcnt_depctr 0xfff
	v_mul_f32_e32 v119, v118, v113
	s_delay_alu instid0(VALU_DEP_1) | instskip(NEXT) | instid1(VALU_DEP_1)
	v_dual_add_f32 v103, v103, v114 :: v_dual_mul_f32 v128, v117, v119
	v_fma_f32 v116, v119, v117, -v128
	s_delay_alu instid0(VALU_DEP_1) | instskip(NEXT) | instid1(VALU_DEP_1)
	v_fmac_f32_e32 v116, v119, v115
	v_add_f32_e32 v129, v128, v116
	s_delay_alu instid0(VALU_DEP_1) | instskip(SKIP_1) | instid1(VALU_DEP_2)
	v_sub_f32_e32 v130, v118, v129
	v_sub_f32_e32 v114, v129, v128
	;; [unrolled: 1-line block ×3, first 2 shown]
	s_delay_alu instid0(VALU_DEP_2) | instskip(NEXT) | instid1(VALU_DEP_2)
	v_sub_f32_e32 v114, v114, v116
	v_sub_f32_e32 v118, v118, v129
	s_delay_alu instid0(VALU_DEP_1) | instskip(NEXT) | instid1(VALU_DEP_1)
	v_add_f32_e32 v103, v103, v118
	v_add_f32_e32 v103, v114, v103
	s_delay_alu instid0(VALU_DEP_1) | instskip(NEXT) | instid1(VALU_DEP_1)
	v_add_f32_e32 v114, v130, v103
	v_mul_f32_e32 v116, v113, v114
	s_delay_alu instid0(VALU_DEP_1) | instskip(NEXT) | instid1(VALU_DEP_1)
	v_dual_sub_f32 v129, v130, v114 :: v_dual_mul_f32 v118, v117, v116
	v_add_f32_e32 v103, v103, v129
	s_delay_alu instid0(VALU_DEP_2) | instskip(NEXT) | instid1(VALU_DEP_1)
	v_fma_f32 v117, v116, v117, -v118
	v_fmac_f32_e32 v117, v116, v115
	s_delay_alu instid0(VALU_DEP_1) | instskip(NEXT) | instid1(VALU_DEP_1)
	v_add_f32_e32 v115, v118, v117
	v_sub_f32_e32 v128, v114, v115
	v_sub_f32_e32 v118, v115, v118
	s_delay_alu instid0(VALU_DEP_2) | instskip(NEXT) | instid1(VALU_DEP_1)
	v_sub_f32_e32 v114, v114, v128
	v_sub_f32_e32 v114, v114, v115
	s_delay_alu instid0(VALU_DEP_3) | instskip(NEXT) | instid1(VALU_DEP_2)
	v_sub_f32_e32 v115, v118, v117
	v_add_f32_e32 v103, v103, v114
	v_add_f32_e32 v114, v119, v116
	s_delay_alu instid0(VALU_DEP_2) | instskip(NEXT) | instid1(VALU_DEP_2)
	v_add_f32_e32 v103, v115, v103
	v_sub_f32_e32 v115, v114, v119
	s_delay_alu instid0(VALU_DEP_2) | instskip(NEXT) | instid1(VALU_DEP_2)
	v_add_f32_e32 v103, v128, v103
	v_sub_f32_e32 v115, v116, v115
	s_delay_alu instid0(VALU_DEP_2) | instskip(NEXT) | instid1(VALU_DEP_1)
	v_mul_f32_e32 v103, v113, v103
	v_add_f32_e32 v103, v115, v103
	s_delay_alu instid0(VALU_DEP_1) | instskip(NEXT) | instid1(VALU_DEP_1)
	v_add_f32_e32 v113, v114, v103
	v_mul_f32_e32 v115, v113, v113
	s_delay_alu instid0(VALU_DEP_1) | instskip(SKIP_2) | instid1(VALU_DEP_3)
	v_fmaak_f32 v116, s25, v115, 0x3ecc95a3
	v_mul_f32_e32 v117, v113, v115
	v_cmp_eq_f32_e64 s25, 0x7f800000, v112
	v_fmaak_f32 v115, v115, v116, 0x3f2aaada
	v_ldexp_f32 v116, v113, 1
	v_sub_f32_e32 v113, v113, v114
	s_delay_alu instid0(VALU_DEP_4) | instskip(NEXT) | instid1(VALU_DEP_3)
	s_or_b32 s25, s25, s28
	v_mul_f32_e32 v115, v117, v115
	v_mul_f32_e32 v117, 0x3f317218, v102
	s_delay_alu instid0(VALU_DEP_2) | instskip(NEXT) | instid1(VALU_DEP_1)
	v_dual_sub_f32 v103, v103, v113 :: v_dual_add_f32 v114, v116, v115
	v_ldexp_f32 v103, v103, 1
	s_delay_alu instid0(VALU_DEP_2) | instskip(NEXT) | instid1(VALU_DEP_4)
	v_sub_f32_e32 v113, v114, v116
	v_fma_f32 v116, 0x3f317218, v102, -v117
	s_delay_alu instid0(VALU_DEP_1) | instskip(NEXT) | instid1(VALU_DEP_1)
	v_dual_sub_f32 v113, v115, v113 :: v_dual_fmamk_f32 v102, v102, 0xb102e308, v116
	v_add_f32_e32 v103, v103, v113
	s_delay_alu instid0(VALU_DEP_2) | instskip(NEXT) | instid1(VALU_DEP_2)
	v_add_f32_e32 v113, v117, v102
	v_add_f32_e32 v115, v114, v103
	s_delay_alu instid0(VALU_DEP_2) | instskip(NEXT) | instid1(VALU_DEP_2)
	v_sub_f32_e32 v117, v113, v117
	v_add_f32_e32 v116, v113, v115
	v_sub_f32_e32 v114, v115, v114
	s_delay_alu instid0(VALU_DEP_3) | instskip(NEXT) | instid1(VALU_DEP_2)
	v_sub_f32_e32 v102, v102, v117
	v_dual_sub_f32 v118, v116, v113 :: v_dual_sub_f32 v103, v103, v114
	s_delay_alu instid0(VALU_DEP_1) | instskip(NEXT) | instid1(VALU_DEP_2)
	v_sub_f32_e32 v119, v116, v118
	v_dual_sub_f32 v114, v115, v118 :: v_dual_add_f32 v115, v102, v103
	s_delay_alu instid0(VALU_DEP_2) | instskip(NEXT) | instid1(VALU_DEP_1)
	v_sub_f32_e32 v113, v113, v119
	v_dual_add_f32 v113, v114, v113 :: v_dual_sub_f32 v114, v115, v102
	s_delay_alu instid0(VALU_DEP_1) | instskip(NEXT) | instid1(VALU_DEP_2)
	v_add_f32_e32 v113, v115, v113
	v_sub_f32_e32 v115, v115, v114
	v_sub_f32_e32 v103, v103, v114
	s_delay_alu instid0(VALU_DEP_2) | instskip(NEXT) | instid1(VALU_DEP_1)
	v_dual_add_f32 v117, v116, v113 :: v_dual_sub_f32 v102, v102, v115
	v_sub_f32_e32 v114, v117, v116
	s_delay_alu instid0(VALU_DEP_2) | instskip(NEXT) | instid1(VALU_DEP_2)
	v_add_f32_e32 v102, v103, v102
	v_sub_f32_e32 v103, v113, v114
	s_delay_alu instid0(VALU_DEP_1) | instskip(NEXT) | instid1(VALU_DEP_1)
	v_add_f32_e32 v102, v102, v103
	v_add_f32_e32 v102, v117, v102
	s_delay_alu instid0(VALU_DEP_1) | instskip(NEXT) | instid1(VALU_DEP_1)
	v_cndmask_b32_e64 v102, v102, v112, s25
	v_add_f32_e32 v102, v101, v102
.LBB481_289:
	s_or_b32 exec_lo, exec_lo, s27
	s_delay_alu instid0(VALU_DEP_1) | instskip(SKIP_2) | instid1(VALU_DEP_2)
	v_bfe_u32 v101, v102, 16, 1
	v_cmp_o_f32_e64 s25, v102, v102
	s_mov_b32 s27, exec_lo
	v_add3_u32 v101, v102, v101, 0x7fff
	s_delay_alu instid0(VALU_DEP_1) | instskip(NEXT) | instid1(VALU_DEP_1)
	v_lshrrev_b32_e32 v101, 16, v101
	v_cndmask_b32_e64 v103, 0x7fc0, v101, s25
	v_mbcnt_lo_u32_b32 v101, -1, 0
	s_delay_alu instid0(VALU_DEP_2) | instskip(NEXT) | instid1(VALU_DEP_2)
	v_and_b32_e32 v112, 0xffff, v103
	v_and_b32_e32 v102, 15, v101
	s_delay_alu instid0(VALU_DEP_2) | instskip(NEXT) | instid1(VALU_DEP_2)
	v_mov_b32_dpp v113, v112 row_shr:1 row_mask:0xf bank_mask:0xf
	v_cmpx_ne_u32_e32 0, v102
	s_cbranch_execz .LBB481_293
; %bb.290:
	v_lshlrev_b32_e32 v103, 16, v112
	s_delay_alu instid0(VALU_DEP_1) | instskip(NEXT) | instid1(VALU_DEP_1)
	v_dual_max_f32 v113, v103, v103 :: v_dual_lshlrev_b32 v112, 16, v113
	v_max_f32_e32 v114, v112, v112
	v_cmp_u_f32_e64 s25, v112, v112
	s_delay_alu instid0(VALU_DEP_2) | instskip(SKIP_1) | instid1(VALU_DEP_2)
	v_min_f32_e32 v115, v114, v113
	v_max_f32_e32 v113, v114, v113
	v_cndmask_b32_e64 v114, v115, v112, s25
	s_delay_alu instid0(VALU_DEP_2) | instskip(SKIP_1) | instid1(VALU_DEP_1)
	v_cndmask_b32_e64 v115, v113, v112, s25
	v_cmp_u_f32_e64 s25, v103, v103
	v_cndmask_b32_e64 v113, v114, v103, s25
	s_delay_alu instid0(VALU_DEP_3) | instskip(NEXT) | instid1(VALU_DEP_2)
	v_cndmask_b32_e64 v103, v115, v103, s25
	v_cmp_class_f32_e64 s28, v113, 0x1f8
	s_delay_alu instid0(VALU_DEP_2) | instskip(NEXT) | instid1(VALU_DEP_1)
	v_cmp_neq_f32_e64 s25, v113, v103
	s_or_b32 s25, s25, s28
	s_delay_alu instid0(SALU_CYCLE_1)
	s_and_saveexec_b32 s28, s25
	s_cbranch_execz .LBB481_292
; %bb.291:
	v_sub_f32_e32 v112, v113, v103
	s_delay_alu instid0(VALU_DEP_1) | instskip(SKIP_1) | instid1(VALU_DEP_2)
	v_mul_f32_e32 v113, 0x3fb8aa3b, v112
	v_cmp_ngt_f32_e64 s25, 0xc2ce8ed0, v112
	v_fma_f32 v114, 0x3fb8aa3b, v112, -v113
	v_rndne_f32_e32 v115, v113
	s_delay_alu instid0(VALU_DEP_1) | instskip(NEXT) | instid1(VALU_DEP_1)
	v_dual_fmamk_f32 v114, v112, 0x32a5705f, v114 :: v_dual_sub_f32 v113, v113, v115
	v_add_f32_e32 v113, v113, v114
	v_cvt_i32_f32_e32 v114, v115
	s_delay_alu instid0(VALU_DEP_2) | instskip(SKIP_2) | instid1(VALU_DEP_1)
	v_exp_f32_e32 v113, v113
	s_waitcnt_depctr 0xfff
	v_ldexp_f32 v113, v113, v114
	v_cndmask_b32_e64 v113, 0, v113, s25
	v_cmp_nlt_f32_e64 s25, 0x42b17218, v112
	s_delay_alu instid0(VALU_DEP_1) | instskip(NEXT) | instid1(VALU_DEP_1)
	v_cndmask_b32_e64 v114, 0x7f800000, v113, s25
	v_add_f32_e32 v115, 1.0, v114
	v_cmp_gt_f32_e64 s29, 0x33800000, |v114|
	s_delay_alu instid0(VALU_DEP_2) | instskip(NEXT) | instid1(VALU_DEP_1)
	v_cvt_f64_f32_e32 v[112:113], v115
	v_frexp_exp_i32_f64_e32 v112, v[112:113]
	v_frexp_mant_f32_e32 v113, v115
	s_delay_alu instid0(VALU_DEP_1) | instskip(SKIP_1) | instid1(VALU_DEP_1)
	v_cmp_gt_f32_e64 s25, 0x3f2aaaab, v113
	v_add_f32_e32 v113, -1.0, v115
	v_sub_f32_e32 v117, v113, v115
	v_sub_f32_e32 v113, v114, v113
	s_delay_alu instid0(VALU_DEP_4) | instskip(SKIP_1) | instid1(VALU_DEP_1)
	v_subrev_co_ci_u32_e64 v112, s25, 0, v112, s25
	s_mov_b32 s25, 0x3e9b6dac
	v_sub_nc_u32_e32 v116, 0, v112
	v_cvt_f32_i32_e32 v112, v112
	s_delay_alu instid0(VALU_DEP_2) | instskip(NEXT) | instid1(VALU_DEP_1)
	v_ldexp_f32 v115, v115, v116
	v_dual_add_f32 v118, 1.0, v115 :: v_dual_add_f32 v117, 1.0, v117
	s_delay_alu instid0(VALU_DEP_1) | instskip(NEXT) | instid1(VALU_DEP_2)
	v_add_f32_e32 v113, v113, v117
	v_add_f32_e32 v117, -1.0, v118
	s_delay_alu instid0(VALU_DEP_2) | instskip(NEXT) | instid1(VALU_DEP_2)
	v_ldexp_f32 v113, v113, v116
	v_dual_add_f32 v116, -1.0, v115 :: v_dual_sub_f32 v117, v115, v117
	s_delay_alu instid0(VALU_DEP_1) | instskip(NEXT) | instid1(VALU_DEP_2)
	v_add_f32_e32 v119, 1.0, v116
	v_add_f32_e32 v117, v113, v117
	s_delay_alu instid0(VALU_DEP_2) | instskip(NEXT) | instid1(VALU_DEP_2)
	v_sub_f32_e32 v115, v115, v119
	v_add_f32_e32 v119, v118, v117
	s_delay_alu instid0(VALU_DEP_2) | instskip(NEXT) | instid1(VALU_DEP_2)
	v_add_f32_e32 v113, v113, v115
	v_rcp_f32_e32 v115, v119
	v_sub_f32_e32 v118, v118, v119
	s_delay_alu instid0(VALU_DEP_1) | instskip(NEXT) | instid1(VALU_DEP_1)
	v_dual_add_f32 v128, v116, v113 :: v_dual_add_f32 v117, v117, v118
	v_sub_f32_e32 v116, v116, v128
	s_waitcnt_depctr 0xfff
	v_mul_f32_e32 v129, v128, v115
	s_delay_alu instid0(VALU_DEP_1) | instskip(NEXT) | instid1(VALU_DEP_1)
	v_dual_add_f32 v113, v113, v116 :: v_dual_mul_f32 v130, v119, v129
	v_fma_f32 v118, v129, v119, -v130
	s_delay_alu instid0(VALU_DEP_1) | instskip(NEXT) | instid1(VALU_DEP_1)
	v_fmac_f32_e32 v118, v129, v117
	v_add_f32_e32 v131, v130, v118
	s_delay_alu instid0(VALU_DEP_1) | instskip(SKIP_1) | instid1(VALU_DEP_2)
	v_sub_f32_e32 v132, v128, v131
	v_sub_f32_e32 v116, v131, v130
	;; [unrolled: 1-line block ×3, first 2 shown]
	s_delay_alu instid0(VALU_DEP_2) | instskip(NEXT) | instid1(VALU_DEP_2)
	v_sub_f32_e32 v116, v116, v118
	v_sub_f32_e32 v128, v128, v131
	s_delay_alu instid0(VALU_DEP_1) | instskip(NEXT) | instid1(VALU_DEP_1)
	v_add_f32_e32 v113, v113, v128
	v_add_f32_e32 v113, v116, v113
	s_delay_alu instid0(VALU_DEP_1) | instskip(NEXT) | instid1(VALU_DEP_1)
	v_add_f32_e32 v116, v132, v113
	v_mul_f32_e32 v118, v115, v116
	s_delay_alu instid0(VALU_DEP_1) | instskip(NEXT) | instid1(VALU_DEP_1)
	v_dual_sub_f32 v131, v132, v116 :: v_dual_mul_f32 v128, v119, v118
	v_add_f32_e32 v113, v113, v131
	s_delay_alu instid0(VALU_DEP_2) | instskip(NEXT) | instid1(VALU_DEP_1)
	v_fma_f32 v119, v118, v119, -v128
	v_fmac_f32_e32 v119, v118, v117
	s_delay_alu instid0(VALU_DEP_1) | instskip(NEXT) | instid1(VALU_DEP_1)
	v_add_f32_e32 v117, v128, v119
	v_sub_f32_e32 v130, v116, v117
	v_sub_f32_e32 v128, v117, v128
	s_delay_alu instid0(VALU_DEP_2) | instskip(NEXT) | instid1(VALU_DEP_1)
	v_sub_f32_e32 v116, v116, v130
	v_sub_f32_e32 v116, v116, v117
	s_delay_alu instid0(VALU_DEP_3) | instskip(NEXT) | instid1(VALU_DEP_2)
	v_sub_f32_e32 v117, v128, v119
	v_add_f32_e32 v113, v113, v116
	v_add_f32_e32 v116, v129, v118
	s_delay_alu instid0(VALU_DEP_2) | instskip(NEXT) | instid1(VALU_DEP_2)
	v_add_f32_e32 v113, v117, v113
	v_sub_f32_e32 v117, v116, v129
	s_delay_alu instid0(VALU_DEP_2) | instskip(NEXT) | instid1(VALU_DEP_2)
	v_add_f32_e32 v113, v130, v113
	v_sub_f32_e32 v117, v118, v117
	s_delay_alu instid0(VALU_DEP_2) | instskip(NEXT) | instid1(VALU_DEP_1)
	v_mul_f32_e32 v113, v115, v113
	v_add_f32_e32 v113, v117, v113
	s_delay_alu instid0(VALU_DEP_1) | instskip(NEXT) | instid1(VALU_DEP_1)
	v_add_f32_e32 v115, v116, v113
	v_mul_f32_e32 v117, v115, v115
	s_delay_alu instid0(VALU_DEP_1) | instskip(SKIP_2) | instid1(VALU_DEP_3)
	v_fmaak_f32 v118, s25, v117, 0x3ecc95a3
	v_mul_f32_e32 v119, v115, v117
	v_cmp_eq_f32_e64 s25, 0x7f800000, v114
	v_fmaak_f32 v117, v117, v118, 0x3f2aaada
	v_ldexp_f32 v118, v115, 1
	v_sub_f32_e32 v115, v115, v116
	s_delay_alu instid0(VALU_DEP_4) | instskip(NEXT) | instid1(VALU_DEP_3)
	s_or_b32 s25, s25, s29
	v_mul_f32_e32 v117, v119, v117
	v_mul_f32_e32 v119, 0x3f317218, v112
	s_delay_alu instid0(VALU_DEP_2) | instskip(NEXT) | instid1(VALU_DEP_1)
	v_dual_sub_f32 v113, v113, v115 :: v_dual_add_f32 v116, v118, v117
	v_ldexp_f32 v113, v113, 1
	s_delay_alu instid0(VALU_DEP_2) | instskip(NEXT) | instid1(VALU_DEP_4)
	v_sub_f32_e32 v115, v116, v118
	v_fma_f32 v118, 0x3f317218, v112, -v119
	s_delay_alu instid0(VALU_DEP_1) | instskip(NEXT) | instid1(VALU_DEP_1)
	v_dual_sub_f32 v115, v117, v115 :: v_dual_fmamk_f32 v112, v112, 0xb102e308, v118
	v_add_f32_e32 v113, v113, v115
	s_delay_alu instid0(VALU_DEP_2) | instskip(NEXT) | instid1(VALU_DEP_2)
	v_add_f32_e32 v115, v119, v112
	v_add_f32_e32 v117, v116, v113
	s_delay_alu instid0(VALU_DEP_2) | instskip(NEXT) | instid1(VALU_DEP_2)
	v_sub_f32_e32 v119, v115, v119
	v_add_f32_e32 v118, v115, v117
	v_sub_f32_e32 v116, v117, v116
	s_delay_alu instid0(VALU_DEP_3) | instskip(NEXT) | instid1(VALU_DEP_2)
	v_sub_f32_e32 v112, v112, v119
	v_dual_sub_f32 v128, v118, v115 :: v_dual_sub_f32 v113, v113, v116
	s_delay_alu instid0(VALU_DEP_1) | instskip(NEXT) | instid1(VALU_DEP_2)
	v_sub_f32_e32 v129, v118, v128
	v_dual_sub_f32 v116, v117, v128 :: v_dual_add_f32 v117, v112, v113
	s_delay_alu instid0(VALU_DEP_2) | instskip(NEXT) | instid1(VALU_DEP_1)
	v_sub_f32_e32 v115, v115, v129
	v_dual_add_f32 v115, v116, v115 :: v_dual_sub_f32 v116, v117, v112
	s_delay_alu instid0(VALU_DEP_1) | instskip(NEXT) | instid1(VALU_DEP_2)
	v_add_f32_e32 v115, v117, v115
	v_sub_f32_e32 v117, v117, v116
	v_sub_f32_e32 v113, v113, v116
	s_delay_alu instid0(VALU_DEP_2) | instskip(NEXT) | instid1(VALU_DEP_1)
	v_dual_add_f32 v119, v118, v115 :: v_dual_sub_f32 v112, v112, v117
	v_sub_f32_e32 v116, v119, v118
	s_delay_alu instid0(VALU_DEP_2) | instskip(NEXT) | instid1(VALU_DEP_2)
	v_add_f32_e32 v112, v113, v112
	v_sub_f32_e32 v113, v115, v116
	s_delay_alu instid0(VALU_DEP_1) | instskip(NEXT) | instid1(VALU_DEP_1)
	v_add_f32_e32 v112, v112, v113
	v_add_f32_e32 v112, v119, v112
	s_delay_alu instid0(VALU_DEP_1) | instskip(NEXT) | instid1(VALU_DEP_1)
	v_cndmask_b32_e64 v112, v112, v114, s25
	v_add_f32_e32 v112, v103, v112
.LBB481_292:
	s_or_b32 exec_lo, exec_lo, s28
	s_delay_alu instid0(VALU_DEP_1) | instskip(SKIP_1) | instid1(VALU_DEP_2)
	v_bfe_u32 v103, v112, 16, 1
	v_cmp_o_f32_e64 s25, v112, v112
	v_add3_u32 v103, v112, v103, 0x7fff
	s_delay_alu instid0(VALU_DEP_1) | instskip(NEXT) | instid1(VALU_DEP_1)
	v_lshrrev_b32_e32 v103, 16, v103
	v_cndmask_b32_e64 v103, 0x7fc0, v103, s25
	s_delay_alu instid0(VALU_DEP_1)
	v_and_b32_e32 v112, 0xffff, v103
.LBB481_293:
	s_or_b32 exec_lo, exec_lo, s27
	s_delay_alu instid0(VALU_DEP_1)
	v_mov_b32_dpp v113, v112 row_shr:2 row_mask:0xf bank_mask:0xf
	s_mov_b32 s27, exec_lo
	v_cmpx_lt_u32_e32 1, v102
	s_cbranch_execz .LBB481_297
; %bb.294:
	v_lshlrev_b32_e32 v103, 16, v112
	s_delay_alu instid0(VALU_DEP_1) | instskip(NEXT) | instid1(VALU_DEP_1)
	v_dual_max_f32 v113, v103, v103 :: v_dual_lshlrev_b32 v112, 16, v113
	v_max_f32_e32 v114, v112, v112
	v_cmp_u_f32_e64 s25, v112, v112
	s_delay_alu instid0(VALU_DEP_2) | instskip(SKIP_1) | instid1(VALU_DEP_2)
	v_min_f32_e32 v115, v114, v113
	v_max_f32_e32 v113, v114, v113
	v_cndmask_b32_e64 v114, v115, v112, s25
	s_delay_alu instid0(VALU_DEP_2) | instskip(SKIP_1) | instid1(VALU_DEP_1)
	v_cndmask_b32_e64 v115, v113, v112, s25
	v_cmp_u_f32_e64 s25, v103, v103
	v_cndmask_b32_e64 v113, v114, v103, s25
	s_delay_alu instid0(VALU_DEP_3) | instskip(NEXT) | instid1(VALU_DEP_2)
	v_cndmask_b32_e64 v103, v115, v103, s25
	v_cmp_class_f32_e64 s28, v113, 0x1f8
	s_delay_alu instid0(VALU_DEP_2) | instskip(NEXT) | instid1(VALU_DEP_1)
	v_cmp_neq_f32_e64 s25, v113, v103
	s_or_b32 s25, s25, s28
	s_delay_alu instid0(SALU_CYCLE_1)
	s_and_saveexec_b32 s28, s25
	s_cbranch_execz .LBB481_296
; %bb.295:
	v_sub_f32_e32 v112, v113, v103
	s_delay_alu instid0(VALU_DEP_1) | instskip(SKIP_1) | instid1(VALU_DEP_2)
	v_mul_f32_e32 v113, 0x3fb8aa3b, v112
	v_cmp_ngt_f32_e64 s25, 0xc2ce8ed0, v112
	v_fma_f32 v114, 0x3fb8aa3b, v112, -v113
	v_rndne_f32_e32 v115, v113
	s_delay_alu instid0(VALU_DEP_1) | instskip(NEXT) | instid1(VALU_DEP_1)
	v_dual_fmamk_f32 v114, v112, 0x32a5705f, v114 :: v_dual_sub_f32 v113, v113, v115
	v_add_f32_e32 v113, v113, v114
	v_cvt_i32_f32_e32 v114, v115
	s_delay_alu instid0(VALU_DEP_2) | instskip(SKIP_2) | instid1(VALU_DEP_1)
	v_exp_f32_e32 v113, v113
	s_waitcnt_depctr 0xfff
	v_ldexp_f32 v113, v113, v114
	v_cndmask_b32_e64 v113, 0, v113, s25
	v_cmp_nlt_f32_e64 s25, 0x42b17218, v112
	s_delay_alu instid0(VALU_DEP_1) | instskip(NEXT) | instid1(VALU_DEP_1)
	v_cndmask_b32_e64 v114, 0x7f800000, v113, s25
	v_add_f32_e32 v115, 1.0, v114
	v_cmp_gt_f32_e64 s29, 0x33800000, |v114|
	s_delay_alu instid0(VALU_DEP_2) | instskip(NEXT) | instid1(VALU_DEP_1)
	v_cvt_f64_f32_e32 v[112:113], v115
	v_frexp_exp_i32_f64_e32 v112, v[112:113]
	v_frexp_mant_f32_e32 v113, v115
	s_delay_alu instid0(VALU_DEP_1) | instskip(SKIP_1) | instid1(VALU_DEP_1)
	v_cmp_gt_f32_e64 s25, 0x3f2aaaab, v113
	v_add_f32_e32 v113, -1.0, v115
	v_sub_f32_e32 v117, v113, v115
	v_sub_f32_e32 v113, v114, v113
	s_delay_alu instid0(VALU_DEP_4) | instskip(SKIP_1) | instid1(VALU_DEP_1)
	v_subrev_co_ci_u32_e64 v112, s25, 0, v112, s25
	s_mov_b32 s25, 0x3e9b6dac
	v_sub_nc_u32_e32 v116, 0, v112
	v_cvt_f32_i32_e32 v112, v112
	s_delay_alu instid0(VALU_DEP_2) | instskip(NEXT) | instid1(VALU_DEP_1)
	v_ldexp_f32 v115, v115, v116
	v_dual_add_f32 v118, 1.0, v115 :: v_dual_add_f32 v117, 1.0, v117
	s_delay_alu instid0(VALU_DEP_1) | instskip(NEXT) | instid1(VALU_DEP_2)
	v_add_f32_e32 v113, v113, v117
	v_add_f32_e32 v117, -1.0, v118
	s_delay_alu instid0(VALU_DEP_2) | instskip(NEXT) | instid1(VALU_DEP_2)
	v_ldexp_f32 v113, v113, v116
	v_dual_add_f32 v116, -1.0, v115 :: v_dual_sub_f32 v117, v115, v117
	s_delay_alu instid0(VALU_DEP_1) | instskip(NEXT) | instid1(VALU_DEP_2)
	v_add_f32_e32 v119, 1.0, v116
	v_add_f32_e32 v117, v113, v117
	s_delay_alu instid0(VALU_DEP_2) | instskip(NEXT) | instid1(VALU_DEP_2)
	v_sub_f32_e32 v115, v115, v119
	v_add_f32_e32 v119, v118, v117
	s_delay_alu instid0(VALU_DEP_2) | instskip(NEXT) | instid1(VALU_DEP_2)
	v_add_f32_e32 v113, v113, v115
	v_rcp_f32_e32 v115, v119
	v_sub_f32_e32 v118, v118, v119
	s_delay_alu instid0(VALU_DEP_1) | instskip(NEXT) | instid1(VALU_DEP_1)
	v_dual_add_f32 v128, v116, v113 :: v_dual_add_f32 v117, v117, v118
	v_sub_f32_e32 v116, v116, v128
	s_waitcnt_depctr 0xfff
	v_mul_f32_e32 v129, v128, v115
	s_delay_alu instid0(VALU_DEP_1) | instskip(NEXT) | instid1(VALU_DEP_1)
	v_dual_add_f32 v113, v113, v116 :: v_dual_mul_f32 v130, v119, v129
	v_fma_f32 v118, v129, v119, -v130
	s_delay_alu instid0(VALU_DEP_1) | instskip(NEXT) | instid1(VALU_DEP_1)
	v_fmac_f32_e32 v118, v129, v117
	v_add_f32_e32 v131, v130, v118
	s_delay_alu instid0(VALU_DEP_1) | instskip(SKIP_1) | instid1(VALU_DEP_2)
	v_sub_f32_e32 v132, v128, v131
	v_sub_f32_e32 v116, v131, v130
	;; [unrolled: 1-line block ×3, first 2 shown]
	s_delay_alu instid0(VALU_DEP_2) | instskip(NEXT) | instid1(VALU_DEP_2)
	v_sub_f32_e32 v116, v116, v118
	v_sub_f32_e32 v128, v128, v131
	s_delay_alu instid0(VALU_DEP_1) | instskip(NEXT) | instid1(VALU_DEP_1)
	v_add_f32_e32 v113, v113, v128
	v_add_f32_e32 v113, v116, v113
	s_delay_alu instid0(VALU_DEP_1) | instskip(NEXT) | instid1(VALU_DEP_1)
	v_add_f32_e32 v116, v132, v113
	v_mul_f32_e32 v118, v115, v116
	s_delay_alu instid0(VALU_DEP_1) | instskip(NEXT) | instid1(VALU_DEP_1)
	v_dual_sub_f32 v131, v132, v116 :: v_dual_mul_f32 v128, v119, v118
	v_add_f32_e32 v113, v113, v131
	s_delay_alu instid0(VALU_DEP_2) | instskip(NEXT) | instid1(VALU_DEP_1)
	v_fma_f32 v119, v118, v119, -v128
	v_fmac_f32_e32 v119, v118, v117
	s_delay_alu instid0(VALU_DEP_1) | instskip(NEXT) | instid1(VALU_DEP_1)
	v_add_f32_e32 v117, v128, v119
	v_sub_f32_e32 v130, v116, v117
	v_sub_f32_e32 v128, v117, v128
	s_delay_alu instid0(VALU_DEP_2) | instskip(NEXT) | instid1(VALU_DEP_1)
	v_sub_f32_e32 v116, v116, v130
	v_sub_f32_e32 v116, v116, v117
	s_delay_alu instid0(VALU_DEP_3) | instskip(NEXT) | instid1(VALU_DEP_2)
	v_sub_f32_e32 v117, v128, v119
	v_add_f32_e32 v113, v113, v116
	v_add_f32_e32 v116, v129, v118
	s_delay_alu instid0(VALU_DEP_2) | instskip(NEXT) | instid1(VALU_DEP_2)
	v_add_f32_e32 v113, v117, v113
	v_sub_f32_e32 v117, v116, v129
	s_delay_alu instid0(VALU_DEP_2) | instskip(NEXT) | instid1(VALU_DEP_2)
	v_add_f32_e32 v113, v130, v113
	v_sub_f32_e32 v117, v118, v117
	s_delay_alu instid0(VALU_DEP_2) | instskip(NEXT) | instid1(VALU_DEP_1)
	v_mul_f32_e32 v113, v115, v113
	v_add_f32_e32 v113, v117, v113
	s_delay_alu instid0(VALU_DEP_1) | instskip(NEXT) | instid1(VALU_DEP_1)
	v_add_f32_e32 v115, v116, v113
	v_mul_f32_e32 v117, v115, v115
	s_delay_alu instid0(VALU_DEP_1) | instskip(SKIP_2) | instid1(VALU_DEP_3)
	v_fmaak_f32 v118, s25, v117, 0x3ecc95a3
	v_mul_f32_e32 v119, v115, v117
	v_cmp_eq_f32_e64 s25, 0x7f800000, v114
	v_fmaak_f32 v117, v117, v118, 0x3f2aaada
	v_ldexp_f32 v118, v115, 1
	v_sub_f32_e32 v115, v115, v116
	s_delay_alu instid0(VALU_DEP_4) | instskip(NEXT) | instid1(VALU_DEP_3)
	s_or_b32 s25, s25, s29
	v_mul_f32_e32 v117, v119, v117
	v_mul_f32_e32 v119, 0x3f317218, v112
	s_delay_alu instid0(VALU_DEP_2) | instskip(NEXT) | instid1(VALU_DEP_1)
	v_dual_sub_f32 v113, v113, v115 :: v_dual_add_f32 v116, v118, v117
	v_ldexp_f32 v113, v113, 1
	s_delay_alu instid0(VALU_DEP_2) | instskip(NEXT) | instid1(VALU_DEP_4)
	v_sub_f32_e32 v115, v116, v118
	v_fma_f32 v118, 0x3f317218, v112, -v119
	s_delay_alu instid0(VALU_DEP_1) | instskip(NEXT) | instid1(VALU_DEP_1)
	v_dual_sub_f32 v115, v117, v115 :: v_dual_fmamk_f32 v112, v112, 0xb102e308, v118
	v_add_f32_e32 v113, v113, v115
	s_delay_alu instid0(VALU_DEP_2) | instskip(NEXT) | instid1(VALU_DEP_2)
	v_add_f32_e32 v115, v119, v112
	v_add_f32_e32 v117, v116, v113
	s_delay_alu instid0(VALU_DEP_2) | instskip(NEXT) | instid1(VALU_DEP_2)
	v_sub_f32_e32 v119, v115, v119
	v_add_f32_e32 v118, v115, v117
	v_sub_f32_e32 v116, v117, v116
	s_delay_alu instid0(VALU_DEP_3) | instskip(NEXT) | instid1(VALU_DEP_2)
	v_sub_f32_e32 v112, v112, v119
	v_dual_sub_f32 v128, v118, v115 :: v_dual_sub_f32 v113, v113, v116
	s_delay_alu instid0(VALU_DEP_1) | instskip(NEXT) | instid1(VALU_DEP_2)
	v_sub_f32_e32 v129, v118, v128
	v_dual_sub_f32 v116, v117, v128 :: v_dual_add_f32 v117, v112, v113
	s_delay_alu instid0(VALU_DEP_2) | instskip(NEXT) | instid1(VALU_DEP_1)
	v_sub_f32_e32 v115, v115, v129
	v_dual_add_f32 v115, v116, v115 :: v_dual_sub_f32 v116, v117, v112
	s_delay_alu instid0(VALU_DEP_1) | instskip(NEXT) | instid1(VALU_DEP_2)
	v_add_f32_e32 v115, v117, v115
	v_sub_f32_e32 v117, v117, v116
	v_sub_f32_e32 v113, v113, v116
	s_delay_alu instid0(VALU_DEP_2) | instskip(NEXT) | instid1(VALU_DEP_1)
	v_dual_add_f32 v119, v118, v115 :: v_dual_sub_f32 v112, v112, v117
	v_sub_f32_e32 v116, v119, v118
	s_delay_alu instid0(VALU_DEP_2) | instskip(NEXT) | instid1(VALU_DEP_2)
	v_add_f32_e32 v112, v113, v112
	v_sub_f32_e32 v113, v115, v116
	s_delay_alu instid0(VALU_DEP_1) | instskip(NEXT) | instid1(VALU_DEP_1)
	v_add_f32_e32 v112, v112, v113
	v_add_f32_e32 v112, v119, v112
	s_delay_alu instid0(VALU_DEP_1) | instskip(NEXT) | instid1(VALU_DEP_1)
	v_cndmask_b32_e64 v112, v112, v114, s25
	v_add_f32_e32 v112, v103, v112
.LBB481_296:
	s_or_b32 exec_lo, exec_lo, s28
	s_delay_alu instid0(VALU_DEP_1) | instskip(SKIP_1) | instid1(VALU_DEP_2)
	v_bfe_u32 v103, v112, 16, 1
	v_cmp_o_f32_e64 s25, v112, v112
	v_add3_u32 v103, v112, v103, 0x7fff
	s_delay_alu instid0(VALU_DEP_1) | instskip(NEXT) | instid1(VALU_DEP_1)
	v_lshrrev_b32_e32 v103, 16, v103
	v_cndmask_b32_e64 v103, 0x7fc0, v103, s25
	s_delay_alu instid0(VALU_DEP_1)
	v_and_b32_e32 v112, 0xffff, v103
.LBB481_297:
	s_or_b32 exec_lo, exec_lo, s27
	s_delay_alu instid0(VALU_DEP_1)
	v_mov_b32_dpp v113, v112 row_shr:4 row_mask:0xf bank_mask:0xf
	s_mov_b32 s27, exec_lo
	v_cmpx_lt_u32_e32 3, v102
	s_cbranch_execz .LBB481_301
; %bb.298:
	v_lshlrev_b32_e32 v103, 16, v112
	s_delay_alu instid0(VALU_DEP_1) | instskip(NEXT) | instid1(VALU_DEP_1)
	v_dual_max_f32 v113, v103, v103 :: v_dual_lshlrev_b32 v112, 16, v113
	v_max_f32_e32 v114, v112, v112
	v_cmp_u_f32_e64 s25, v112, v112
	s_delay_alu instid0(VALU_DEP_2) | instskip(SKIP_1) | instid1(VALU_DEP_2)
	v_min_f32_e32 v115, v114, v113
	v_max_f32_e32 v113, v114, v113
	v_cndmask_b32_e64 v114, v115, v112, s25
	s_delay_alu instid0(VALU_DEP_2) | instskip(SKIP_1) | instid1(VALU_DEP_1)
	v_cndmask_b32_e64 v115, v113, v112, s25
	v_cmp_u_f32_e64 s25, v103, v103
	v_cndmask_b32_e64 v113, v114, v103, s25
	s_delay_alu instid0(VALU_DEP_3) | instskip(NEXT) | instid1(VALU_DEP_2)
	v_cndmask_b32_e64 v103, v115, v103, s25
	v_cmp_class_f32_e64 s28, v113, 0x1f8
	s_delay_alu instid0(VALU_DEP_2) | instskip(NEXT) | instid1(VALU_DEP_1)
	v_cmp_neq_f32_e64 s25, v113, v103
	s_or_b32 s25, s25, s28
	s_delay_alu instid0(SALU_CYCLE_1)
	s_and_saveexec_b32 s28, s25
	s_cbranch_execz .LBB481_300
; %bb.299:
	v_sub_f32_e32 v112, v113, v103
	s_delay_alu instid0(VALU_DEP_1) | instskip(SKIP_1) | instid1(VALU_DEP_2)
	v_mul_f32_e32 v113, 0x3fb8aa3b, v112
	v_cmp_ngt_f32_e64 s25, 0xc2ce8ed0, v112
	v_fma_f32 v114, 0x3fb8aa3b, v112, -v113
	v_rndne_f32_e32 v115, v113
	s_delay_alu instid0(VALU_DEP_1) | instskip(NEXT) | instid1(VALU_DEP_1)
	v_dual_fmamk_f32 v114, v112, 0x32a5705f, v114 :: v_dual_sub_f32 v113, v113, v115
	v_add_f32_e32 v113, v113, v114
	v_cvt_i32_f32_e32 v114, v115
	s_delay_alu instid0(VALU_DEP_2) | instskip(SKIP_2) | instid1(VALU_DEP_1)
	v_exp_f32_e32 v113, v113
	s_waitcnt_depctr 0xfff
	v_ldexp_f32 v113, v113, v114
	v_cndmask_b32_e64 v113, 0, v113, s25
	v_cmp_nlt_f32_e64 s25, 0x42b17218, v112
	s_delay_alu instid0(VALU_DEP_1) | instskip(NEXT) | instid1(VALU_DEP_1)
	v_cndmask_b32_e64 v114, 0x7f800000, v113, s25
	v_add_f32_e32 v115, 1.0, v114
	v_cmp_gt_f32_e64 s29, 0x33800000, |v114|
	s_delay_alu instid0(VALU_DEP_2) | instskip(NEXT) | instid1(VALU_DEP_1)
	v_cvt_f64_f32_e32 v[112:113], v115
	v_frexp_exp_i32_f64_e32 v112, v[112:113]
	v_frexp_mant_f32_e32 v113, v115
	s_delay_alu instid0(VALU_DEP_1) | instskip(SKIP_1) | instid1(VALU_DEP_1)
	v_cmp_gt_f32_e64 s25, 0x3f2aaaab, v113
	v_add_f32_e32 v113, -1.0, v115
	v_sub_f32_e32 v117, v113, v115
	v_sub_f32_e32 v113, v114, v113
	s_delay_alu instid0(VALU_DEP_4) | instskip(SKIP_1) | instid1(VALU_DEP_1)
	v_subrev_co_ci_u32_e64 v112, s25, 0, v112, s25
	s_mov_b32 s25, 0x3e9b6dac
	v_sub_nc_u32_e32 v116, 0, v112
	v_cvt_f32_i32_e32 v112, v112
	s_delay_alu instid0(VALU_DEP_2) | instskip(NEXT) | instid1(VALU_DEP_1)
	v_ldexp_f32 v115, v115, v116
	v_dual_add_f32 v118, 1.0, v115 :: v_dual_add_f32 v117, 1.0, v117
	s_delay_alu instid0(VALU_DEP_1) | instskip(NEXT) | instid1(VALU_DEP_2)
	v_add_f32_e32 v113, v113, v117
	v_add_f32_e32 v117, -1.0, v118
	s_delay_alu instid0(VALU_DEP_2) | instskip(NEXT) | instid1(VALU_DEP_2)
	v_ldexp_f32 v113, v113, v116
	v_dual_add_f32 v116, -1.0, v115 :: v_dual_sub_f32 v117, v115, v117
	s_delay_alu instid0(VALU_DEP_1) | instskip(NEXT) | instid1(VALU_DEP_2)
	v_add_f32_e32 v119, 1.0, v116
	v_add_f32_e32 v117, v113, v117
	s_delay_alu instid0(VALU_DEP_2) | instskip(NEXT) | instid1(VALU_DEP_2)
	v_sub_f32_e32 v115, v115, v119
	v_add_f32_e32 v119, v118, v117
	s_delay_alu instid0(VALU_DEP_2) | instskip(NEXT) | instid1(VALU_DEP_2)
	v_add_f32_e32 v113, v113, v115
	v_rcp_f32_e32 v115, v119
	v_sub_f32_e32 v118, v118, v119
	s_delay_alu instid0(VALU_DEP_1) | instskip(NEXT) | instid1(VALU_DEP_1)
	v_dual_add_f32 v128, v116, v113 :: v_dual_add_f32 v117, v117, v118
	v_sub_f32_e32 v116, v116, v128
	s_waitcnt_depctr 0xfff
	v_mul_f32_e32 v129, v128, v115
	s_delay_alu instid0(VALU_DEP_1) | instskip(NEXT) | instid1(VALU_DEP_1)
	v_dual_add_f32 v113, v113, v116 :: v_dual_mul_f32 v130, v119, v129
	v_fma_f32 v118, v129, v119, -v130
	s_delay_alu instid0(VALU_DEP_1) | instskip(NEXT) | instid1(VALU_DEP_1)
	v_fmac_f32_e32 v118, v129, v117
	v_add_f32_e32 v131, v130, v118
	s_delay_alu instid0(VALU_DEP_1) | instskip(SKIP_1) | instid1(VALU_DEP_2)
	v_sub_f32_e32 v132, v128, v131
	v_sub_f32_e32 v116, v131, v130
	;; [unrolled: 1-line block ×3, first 2 shown]
	s_delay_alu instid0(VALU_DEP_2) | instskip(NEXT) | instid1(VALU_DEP_2)
	v_sub_f32_e32 v116, v116, v118
	v_sub_f32_e32 v128, v128, v131
	s_delay_alu instid0(VALU_DEP_1) | instskip(NEXT) | instid1(VALU_DEP_1)
	v_add_f32_e32 v113, v113, v128
	v_add_f32_e32 v113, v116, v113
	s_delay_alu instid0(VALU_DEP_1) | instskip(NEXT) | instid1(VALU_DEP_1)
	v_add_f32_e32 v116, v132, v113
	v_mul_f32_e32 v118, v115, v116
	s_delay_alu instid0(VALU_DEP_1) | instskip(NEXT) | instid1(VALU_DEP_1)
	v_dual_sub_f32 v131, v132, v116 :: v_dual_mul_f32 v128, v119, v118
	v_add_f32_e32 v113, v113, v131
	s_delay_alu instid0(VALU_DEP_2) | instskip(NEXT) | instid1(VALU_DEP_1)
	v_fma_f32 v119, v118, v119, -v128
	v_fmac_f32_e32 v119, v118, v117
	s_delay_alu instid0(VALU_DEP_1) | instskip(NEXT) | instid1(VALU_DEP_1)
	v_add_f32_e32 v117, v128, v119
	v_sub_f32_e32 v130, v116, v117
	v_sub_f32_e32 v128, v117, v128
	s_delay_alu instid0(VALU_DEP_2) | instskip(NEXT) | instid1(VALU_DEP_1)
	v_sub_f32_e32 v116, v116, v130
	v_sub_f32_e32 v116, v116, v117
	s_delay_alu instid0(VALU_DEP_3) | instskip(NEXT) | instid1(VALU_DEP_2)
	v_sub_f32_e32 v117, v128, v119
	v_add_f32_e32 v113, v113, v116
	v_add_f32_e32 v116, v129, v118
	s_delay_alu instid0(VALU_DEP_2) | instskip(NEXT) | instid1(VALU_DEP_2)
	v_add_f32_e32 v113, v117, v113
	v_sub_f32_e32 v117, v116, v129
	s_delay_alu instid0(VALU_DEP_2) | instskip(NEXT) | instid1(VALU_DEP_2)
	v_add_f32_e32 v113, v130, v113
	v_sub_f32_e32 v117, v118, v117
	s_delay_alu instid0(VALU_DEP_2) | instskip(NEXT) | instid1(VALU_DEP_1)
	v_mul_f32_e32 v113, v115, v113
	v_add_f32_e32 v113, v117, v113
	s_delay_alu instid0(VALU_DEP_1) | instskip(NEXT) | instid1(VALU_DEP_1)
	v_add_f32_e32 v115, v116, v113
	v_mul_f32_e32 v117, v115, v115
	s_delay_alu instid0(VALU_DEP_1) | instskip(SKIP_2) | instid1(VALU_DEP_3)
	v_fmaak_f32 v118, s25, v117, 0x3ecc95a3
	v_mul_f32_e32 v119, v115, v117
	v_cmp_eq_f32_e64 s25, 0x7f800000, v114
	v_fmaak_f32 v117, v117, v118, 0x3f2aaada
	v_ldexp_f32 v118, v115, 1
	v_sub_f32_e32 v115, v115, v116
	s_delay_alu instid0(VALU_DEP_4) | instskip(NEXT) | instid1(VALU_DEP_3)
	s_or_b32 s25, s25, s29
	v_mul_f32_e32 v117, v119, v117
	v_mul_f32_e32 v119, 0x3f317218, v112
	s_delay_alu instid0(VALU_DEP_2) | instskip(NEXT) | instid1(VALU_DEP_1)
	v_dual_sub_f32 v113, v113, v115 :: v_dual_add_f32 v116, v118, v117
	v_ldexp_f32 v113, v113, 1
	s_delay_alu instid0(VALU_DEP_2) | instskip(NEXT) | instid1(VALU_DEP_4)
	v_sub_f32_e32 v115, v116, v118
	v_fma_f32 v118, 0x3f317218, v112, -v119
	s_delay_alu instid0(VALU_DEP_1) | instskip(NEXT) | instid1(VALU_DEP_1)
	v_dual_sub_f32 v115, v117, v115 :: v_dual_fmamk_f32 v112, v112, 0xb102e308, v118
	v_add_f32_e32 v113, v113, v115
	s_delay_alu instid0(VALU_DEP_2) | instskip(NEXT) | instid1(VALU_DEP_2)
	v_add_f32_e32 v115, v119, v112
	v_add_f32_e32 v117, v116, v113
	s_delay_alu instid0(VALU_DEP_2) | instskip(NEXT) | instid1(VALU_DEP_2)
	v_sub_f32_e32 v119, v115, v119
	v_add_f32_e32 v118, v115, v117
	v_sub_f32_e32 v116, v117, v116
	s_delay_alu instid0(VALU_DEP_3) | instskip(NEXT) | instid1(VALU_DEP_2)
	v_sub_f32_e32 v112, v112, v119
	v_dual_sub_f32 v128, v118, v115 :: v_dual_sub_f32 v113, v113, v116
	s_delay_alu instid0(VALU_DEP_1) | instskip(NEXT) | instid1(VALU_DEP_2)
	v_sub_f32_e32 v129, v118, v128
	v_dual_sub_f32 v116, v117, v128 :: v_dual_add_f32 v117, v112, v113
	s_delay_alu instid0(VALU_DEP_2) | instskip(NEXT) | instid1(VALU_DEP_1)
	v_sub_f32_e32 v115, v115, v129
	v_dual_add_f32 v115, v116, v115 :: v_dual_sub_f32 v116, v117, v112
	s_delay_alu instid0(VALU_DEP_1) | instskip(NEXT) | instid1(VALU_DEP_2)
	v_add_f32_e32 v115, v117, v115
	v_sub_f32_e32 v117, v117, v116
	v_sub_f32_e32 v113, v113, v116
	s_delay_alu instid0(VALU_DEP_2) | instskip(NEXT) | instid1(VALU_DEP_1)
	v_dual_add_f32 v119, v118, v115 :: v_dual_sub_f32 v112, v112, v117
	v_sub_f32_e32 v116, v119, v118
	s_delay_alu instid0(VALU_DEP_2) | instskip(NEXT) | instid1(VALU_DEP_2)
	v_add_f32_e32 v112, v113, v112
	v_sub_f32_e32 v113, v115, v116
	s_delay_alu instid0(VALU_DEP_1) | instskip(NEXT) | instid1(VALU_DEP_1)
	v_add_f32_e32 v112, v112, v113
	v_add_f32_e32 v112, v119, v112
	s_delay_alu instid0(VALU_DEP_1) | instskip(NEXT) | instid1(VALU_DEP_1)
	v_cndmask_b32_e64 v112, v112, v114, s25
	v_add_f32_e32 v112, v103, v112
.LBB481_300:
	s_or_b32 exec_lo, exec_lo, s28
	s_delay_alu instid0(VALU_DEP_1) | instskip(SKIP_1) | instid1(VALU_DEP_2)
	v_bfe_u32 v103, v112, 16, 1
	v_cmp_o_f32_e64 s25, v112, v112
	v_add3_u32 v103, v112, v103, 0x7fff
	s_delay_alu instid0(VALU_DEP_1) | instskip(NEXT) | instid1(VALU_DEP_1)
	v_lshrrev_b32_e32 v103, 16, v103
	v_cndmask_b32_e64 v103, 0x7fc0, v103, s25
	s_delay_alu instid0(VALU_DEP_1)
	v_and_b32_e32 v112, 0xffff, v103
.LBB481_301:
	s_or_b32 exec_lo, exec_lo, s27
	s_delay_alu instid0(VALU_DEP_1)
	v_mov_b32_dpp v113, v112 row_shr:8 row_mask:0xf bank_mask:0xf
	s_mov_b32 s27, exec_lo
	v_cmpx_lt_u32_e32 7, v102
	s_cbranch_execz .LBB481_305
; %bb.302:
	s_delay_alu instid0(VALU_DEP_2) | instskip(NEXT) | instid1(VALU_DEP_1)
	v_lshlrev_b32_e32 v103, 16, v113
	v_dual_max_f32 v113, v103, v103 :: v_dual_lshlrev_b32 v102, 16, v112
	s_delay_alu instid0(VALU_DEP_1) | instskip(SKIP_1) | instid1(VALU_DEP_2)
	v_max_f32_e32 v112, v102, v102
	v_cmp_u_f32_e64 s25, v103, v103
	v_min_f32_e32 v114, v113, v112
	v_max_f32_e32 v112, v113, v112
	s_delay_alu instid0(VALU_DEP_2) | instskip(NEXT) | instid1(VALU_DEP_2)
	v_cndmask_b32_e64 v113, v114, v103, s25
	v_cndmask_b32_e64 v114, v112, v103, s25
	v_cmp_u_f32_e64 s25, v102, v102
	s_delay_alu instid0(VALU_DEP_1) | instskip(NEXT) | instid1(VALU_DEP_3)
	v_cndmask_b32_e64 v112, v113, v102, s25
	v_cndmask_b32_e64 v102, v114, v102, s25
	s_delay_alu instid0(VALU_DEP_2) | instskip(NEXT) | instid1(VALU_DEP_2)
	v_cmp_class_f32_e64 s28, v112, 0x1f8
	v_cmp_neq_f32_e64 s25, v112, v102
	s_delay_alu instid0(VALU_DEP_1) | instskip(NEXT) | instid1(SALU_CYCLE_1)
	s_or_b32 s25, s25, s28
	s_and_saveexec_b32 s28, s25
	s_cbranch_execz .LBB481_304
; %bb.303:
	v_sub_f32_e32 v103, v112, v102
	s_delay_alu instid0(VALU_DEP_1) | instskip(SKIP_1) | instid1(VALU_DEP_2)
	v_mul_f32_e32 v112, 0x3fb8aa3b, v103
	v_cmp_ngt_f32_e64 s25, 0xc2ce8ed0, v103
	v_fma_f32 v113, 0x3fb8aa3b, v103, -v112
	v_rndne_f32_e32 v114, v112
	s_delay_alu instid0(VALU_DEP_1) | instskip(NEXT) | instid1(VALU_DEP_1)
	v_dual_fmamk_f32 v113, v103, 0x32a5705f, v113 :: v_dual_sub_f32 v112, v112, v114
	v_add_f32_e32 v112, v112, v113
	v_cvt_i32_f32_e32 v113, v114
	s_delay_alu instid0(VALU_DEP_2) | instskip(SKIP_2) | instid1(VALU_DEP_1)
	v_exp_f32_e32 v112, v112
	s_waitcnt_depctr 0xfff
	v_ldexp_f32 v112, v112, v113
	v_cndmask_b32_e64 v112, 0, v112, s25
	v_cmp_nlt_f32_e64 s25, 0x42b17218, v103
	s_delay_alu instid0(VALU_DEP_1) | instskip(NEXT) | instid1(VALU_DEP_1)
	v_cndmask_b32_e64 v103, 0x7f800000, v112, s25
	v_add_f32_e32 v114, 1.0, v103
	v_cmp_gt_f32_e64 s29, 0x33800000, |v103|
	s_delay_alu instid0(VALU_DEP_2) | instskip(NEXT) | instid1(VALU_DEP_1)
	v_cvt_f64_f32_e32 v[112:113], v114
	v_frexp_exp_i32_f64_e32 v112, v[112:113]
	v_frexp_mant_f32_e32 v113, v114
	s_delay_alu instid0(VALU_DEP_1) | instskip(SKIP_1) | instid1(VALU_DEP_1)
	v_cmp_gt_f32_e64 s25, 0x3f2aaaab, v113
	v_add_f32_e32 v113, -1.0, v114
	v_dual_sub_f32 v116, v113, v114 :: v_dual_sub_f32 v113, v103, v113
	s_delay_alu instid0(VALU_DEP_1) | instskip(NEXT) | instid1(VALU_DEP_4)
	v_add_f32_e32 v116, 1.0, v116
	v_subrev_co_ci_u32_e64 v112, s25, 0, v112, s25
	s_mov_b32 s25, 0x3e9b6dac
	s_delay_alu instid0(VALU_DEP_1) | instskip(SKIP_1) | instid1(VALU_DEP_2)
	v_sub_nc_u32_e32 v115, 0, v112
	v_cvt_f32_i32_e32 v112, v112
	v_ldexp_f32 v114, v114, v115
	s_delay_alu instid0(VALU_DEP_1) | instskip(NEXT) | instid1(VALU_DEP_1)
	v_add_f32_e32 v117, 1.0, v114
	v_dual_add_f32 v113, v113, v116 :: v_dual_add_f32 v116, -1.0, v117
	s_delay_alu instid0(VALU_DEP_1) | instskip(NEXT) | instid1(VALU_DEP_2)
	v_ldexp_f32 v113, v113, v115
	v_dual_add_f32 v115, -1.0, v114 :: v_dual_sub_f32 v116, v114, v116
	s_delay_alu instid0(VALU_DEP_1) | instskip(NEXT) | instid1(VALU_DEP_2)
	v_add_f32_e32 v118, 1.0, v115
	v_add_f32_e32 v116, v113, v116
	s_delay_alu instid0(VALU_DEP_2) | instskip(NEXT) | instid1(VALU_DEP_1)
	v_sub_f32_e32 v114, v114, v118
	v_add_f32_e32 v113, v113, v114
	s_delay_alu instid0(VALU_DEP_1) | instskip(NEXT) | instid1(VALU_DEP_1)
	v_dual_add_f32 v119, v115, v113 :: v_dual_add_f32 v118, v117, v116
	v_sub_f32_e32 v115, v115, v119
	s_delay_alu instid0(VALU_DEP_2) | instskip(SKIP_1) | instid1(VALU_DEP_1)
	v_rcp_f32_e32 v114, v118
	v_sub_f32_e32 v117, v117, v118
	v_dual_add_f32 v113, v113, v115 :: v_dual_add_f32 v116, v116, v117
	s_waitcnt_depctr 0xfff
	v_mul_f32_e32 v128, v119, v114
	s_delay_alu instid0(VALU_DEP_1) | instskip(NEXT) | instid1(VALU_DEP_1)
	v_mul_f32_e32 v129, v118, v128
	v_fma_f32 v117, v128, v118, -v129
	s_delay_alu instid0(VALU_DEP_1) | instskip(NEXT) | instid1(VALU_DEP_1)
	v_fmac_f32_e32 v117, v128, v116
	v_add_f32_e32 v130, v129, v117
	s_delay_alu instid0(VALU_DEP_1) | instskip(NEXT) | instid1(VALU_DEP_1)
	v_sub_f32_e32 v131, v119, v130
	v_sub_f32_e32 v119, v119, v131
	;; [unrolled: 1-line block ×3, first 2 shown]
	s_delay_alu instid0(VALU_DEP_2) | instskip(NEXT) | instid1(VALU_DEP_2)
	v_sub_f32_e32 v119, v119, v130
	v_sub_f32_e32 v115, v115, v117
	s_delay_alu instid0(VALU_DEP_2) | instskip(NEXT) | instid1(VALU_DEP_1)
	v_add_f32_e32 v113, v113, v119
	v_add_f32_e32 v113, v115, v113
	s_delay_alu instid0(VALU_DEP_1) | instskip(NEXT) | instid1(VALU_DEP_1)
	v_add_f32_e32 v115, v131, v113
	v_mul_f32_e32 v117, v114, v115
	s_delay_alu instid0(VALU_DEP_1) | instskip(NEXT) | instid1(VALU_DEP_1)
	v_dual_sub_f32 v130, v131, v115 :: v_dual_mul_f32 v119, v118, v117
	v_add_f32_e32 v113, v113, v130
	s_delay_alu instid0(VALU_DEP_2) | instskip(NEXT) | instid1(VALU_DEP_1)
	v_fma_f32 v118, v117, v118, -v119
	v_fmac_f32_e32 v118, v117, v116
	s_delay_alu instid0(VALU_DEP_1) | instskip(NEXT) | instid1(VALU_DEP_1)
	v_add_f32_e32 v116, v119, v118
	v_sub_f32_e32 v129, v115, v116
	v_sub_f32_e32 v119, v116, v119
	s_delay_alu instid0(VALU_DEP_2) | instskip(NEXT) | instid1(VALU_DEP_1)
	v_sub_f32_e32 v115, v115, v129
	v_sub_f32_e32 v115, v115, v116
	s_delay_alu instid0(VALU_DEP_1) | instskip(SKIP_1) | instid1(VALU_DEP_1)
	v_dual_sub_f32 v116, v119, v118 :: v_dual_add_f32 v113, v113, v115
	v_add_f32_e32 v115, v128, v117
	v_dual_add_f32 v113, v116, v113 :: v_dual_sub_f32 v116, v115, v128
	s_delay_alu instid0(VALU_DEP_1) | instskip(NEXT) | instid1(VALU_DEP_1)
	v_add_f32_e32 v113, v129, v113
	v_dual_sub_f32 v116, v117, v116 :: v_dual_mul_f32 v113, v114, v113
	s_delay_alu instid0(VALU_DEP_1) | instskip(NEXT) | instid1(VALU_DEP_1)
	v_add_f32_e32 v113, v116, v113
	v_add_f32_e32 v114, v115, v113
	s_delay_alu instid0(VALU_DEP_1) | instskip(NEXT) | instid1(VALU_DEP_1)
	v_mul_f32_e32 v116, v114, v114
	v_fmaak_f32 v117, s25, v116, 0x3ecc95a3
	v_mul_f32_e32 v118, v114, v116
	v_cmp_eq_f32_e64 s25, 0x7f800000, v103
	s_delay_alu instid0(VALU_DEP_3) | instskip(SKIP_2) | instid1(VALU_DEP_4)
	v_fmaak_f32 v116, v116, v117, 0x3f2aaada
	v_ldexp_f32 v117, v114, 1
	v_sub_f32_e32 v114, v114, v115
	s_or_b32 s25, s25, s29
	s_delay_alu instid0(VALU_DEP_3) | instskip(NEXT) | instid1(VALU_DEP_2)
	v_mul_f32_e32 v116, v118, v116
	v_dual_mul_f32 v118, 0x3f317218, v112 :: v_dual_sub_f32 v113, v113, v114
	s_delay_alu instid0(VALU_DEP_2) | instskip(NEXT) | instid1(VALU_DEP_2)
	v_add_f32_e32 v115, v117, v116
	v_ldexp_f32 v113, v113, 1
	s_delay_alu instid0(VALU_DEP_2) | instskip(NEXT) | instid1(VALU_DEP_4)
	v_sub_f32_e32 v114, v115, v117
	v_fma_f32 v117, 0x3f317218, v112, -v118
	s_delay_alu instid0(VALU_DEP_2) | instskip(NEXT) | instid1(VALU_DEP_1)
	v_sub_f32_e32 v114, v116, v114
	v_dual_fmamk_f32 v112, v112, 0xb102e308, v117 :: v_dual_add_f32 v113, v113, v114
	s_delay_alu instid0(VALU_DEP_1) | instskip(NEXT) | instid1(VALU_DEP_1)
	v_add_f32_e32 v114, v118, v112
	v_sub_f32_e32 v118, v114, v118
	s_delay_alu instid0(VALU_DEP_1) | instskip(NEXT) | instid1(VALU_DEP_4)
	v_sub_f32_e32 v112, v112, v118
	v_add_f32_e32 v116, v115, v113
	s_delay_alu instid0(VALU_DEP_1) | instskip(NEXT) | instid1(VALU_DEP_1)
	v_sub_f32_e32 v115, v116, v115
	v_sub_f32_e32 v113, v113, v115
	v_add_f32_e32 v117, v114, v116
	s_delay_alu instid0(VALU_DEP_1) | instskip(NEXT) | instid1(VALU_DEP_1)
	v_sub_f32_e32 v119, v117, v114
	v_sub_f32_e32 v115, v116, v119
	s_delay_alu instid0(VALU_DEP_4) | instskip(SKIP_1) | instid1(VALU_DEP_1)
	v_add_f32_e32 v116, v112, v113
	v_sub_f32_e32 v128, v117, v119
	v_sub_f32_e32 v114, v114, v128
	s_delay_alu instid0(VALU_DEP_1) | instskip(NEXT) | instid1(VALU_DEP_1)
	v_dual_add_f32 v114, v115, v114 :: v_dual_sub_f32 v115, v116, v112
	v_dual_add_f32 v114, v116, v114 :: v_dual_sub_f32 v113, v113, v115
	v_sub_f32_e32 v116, v116, v115
	s_delay_alu instid0(VALU_DEP_2) | instskip(NEXT) | instid1(VALU_DEP_1)
	v_add_f32_e32 v118, v117, v114
	v_dual_sub_f32 v112, v112, v116 :: v_dual_sub_f32 v115, v118, v117
	s_delay_alu instid0(VALU_DEP_1) | instskip(NEXT) | instid1(VALU_DEP_1)
	v_dual_add_f32 v112, v113, v112 :: v_dual_sub_f32 v113, v114, v115
	v_add_f32_e32 v112, v112, v113
	s_delay_alu instid0(VALU_DEP_1) | instskip(NEXT) | instid1(VALU_DEP_1)
	v_add_f32_e32 v112, v118, v112
	v_cndmask_b32_e64 v103, v112, v103, s25
	s_delay_alu instid0(VALU_DEP_1)
	v_add_f32_e32 v103, v102, v103
.LBB481_304:
	s_or_b32 exec_lo, exec_lo, s28
	s_delay_alu instid0(VALU_DEP_1) | instskip(SKIP_1) | instid1(VALU_DEP_2)
	v_bfe_u32 v102, v103, 16, 1
	v_cmp_o_f32_e64 s25, v103, v103
	v_add3_u32 v102, v103, v102, 0x7fff
	s_delay_alu instid0(VALU_DEP_1) | instskip(NEXT) | instid1(VALU_DEP_1)
	v_lshrrev_b32_e32 v102, 16, v102
	v_cndmask_b32_e64 v103, 0x7fc0, v102, s25
	s_delay_alu instid0(VALU_DEP_1)
	v_and_b32_e32 v112, 0xffff, v103
.LBB481_305:
	s_or_b32 exec_lo, exec_lo, s27
	ds_swizzle_b32 v102, v112 offset:swizzle(BROADCAST,32,15)
	v_and_b32_e32 v113, 16, v101
	s_mov_b32 s27, exec_lo
	s_delay_alu instid0(VALU_DEP_1)
	v_cmpx_ne_u32_e32 0, v113
	s_cbranch_execz .LBB481_309
; %bb.306:
	s_waitcnt lgkmcnt(0)
	v_lshlrev_b32_e32 v103, 16, v102
	s_delay_alu instid0(VALU_DEP_1) | instskip(NEXT) | instid1(VALU_DEP_1)
	v_dual_max_f32 v112, v103, v103 :: v_dual_lshlrev_b32 v113, 16, v112
	v_max_f32_e32 v102, v113, v113
	v_cmp_u_f32_e64 s25, v103, v103
	s_delay_alu instid0(VALU_DEP_2) | instskip(SKIP_1) | instid1(VALU_DEP_2)
	v_min_f32_e32 v114, v112, v102
	v_max_f32_e32 v102, v112, v102
	v_cndmask_b32_e64 v112, v114, v103, s25
	s_delay_alu instid0(VALU_DEP_2) | instskip(SKIP_1) | instid1(VALU_DEP_1)
	v_cndmask_b32_e64 v102, v102, v103, s25
	v_cmp_u_f32_e64 s25, v113, v113
	v_cndmask_b32_e64 v112, v112, v113, s25
	s_delay_alu instid0(VALU_DEP_3) | instskip(NEXT) | instid1(VALU_DEP_2)
	v_cndmask_b32_e64 v102, v102, v113, s25
	v_cmp_class_f32_e64 s28, v112, 0x1f8
	s_delay_alu instid0(VALU_DEP_2) | instskip(NEXT) | instid1(VALU_DEP_1)
	v_cmp_neq_f32_e64 s25, v112, v102
	s_or_b32 s25, s25, s28
	s_delay_alu instid0(SALU_CYCLE_1)
	s_and_saveexec_b32 s28, s25
	s_cbranch_execz .LBB481_308
; %bb.307:
	v_sub_f32_e32 v103, v112, v102
	s_delay_alu instid0(VALU_DEP_1) | instskip(SKIP_1) | instid1(VALU_DEP_2)
	v_mul_f32_e32 v112, 0x3fb8aa3b, v103
	v_cmp_ngt_f32_e64 s25, 0xc2ce8ed0, v103
	v_fma_f32 v113, 0x3fb8aa3b, v103, -v112
	v_rndne_f32_e32 v114, v112
	s_delay_alu instid0(VALU_DEP_1) | instskip(NEXT) | instid1(VALU_DEP_1)
	v_dual_fmamk_f32 v113, v103, 0x32a5705f, v113 :: v_dual_sub_f32 v112, v112, v114
	v_add_f32_e32 v112, v112, v113
	v_cvt_i32_f32_e32 v113, v114
	s_delay_alu instid0(VALU_DEP_2) | instskip(SKIP_2) | instid1(VALU_DEP_1)
	v_exp_f32_e32 v112, v112
	s_waitcnt_depctr 0xfff
	v_ldexp_f32 v112, v112, v113
	v_cndmask_b32_e64 v112, 0, v112, s25
	v_cmp_nlt_f32_e64 s25, 0x42b17218, v103
	s_delay_alu instid0(VALU_DEP_1) | instskip(NEXT) | instid1(VALU_DEP_1)
	v_cndmask_b32_e64 v103, 0x7f800000, v112, s25
	v_add_f32_e32 v114, 1.0, v103
	v_cmp_gt_f32_e64 s29, 0x33800000, |v103|
	s_delay_alu instid0(VALU_DEP_2) | instskip(NEXT) | instid1(VALU_DEP_1)
	v_cvt_f64_f32_e32 v[112:113], v114
	v_frexp_exp_i32_f64_e32 v112, v[112:113]
	v_frexp_mant_f32_e32 v113, v114
	s_delay_alu instid0(VALU_DEP_1) | instskip(SKIP_1) | instid1(VALU_DEP_1)
	v_cmp_gt_f32_e64 s25, 0x3f2aaaab, v113
	v_add_f32_e32 v113, -1.0, v114
	v_dual_sub_f32 v116, v113, v114 :: v_dual_sub_f32 v113, v103, v113
	s_delay_alu instid0(VALU_DEP_1) | instskip(NEXT) | instid1(VALU_DEP_4)
	v_add_f32_e32 v116, 1.0, v116
	v_subrev_co_ci_u32_e64 v112, s25, 0, v112, s25
	s_mov_b32 s25, 0x3e9b6dac
	s_delay_alu instid0(VALU_DEP_1) | instskip(SKIP_1) | instid1(VALU_DEP_2)
	v_sub_nc_u32_e32 v115, 0, v112
	v_cvt_f32_i32_e32 v112, v112
	v_ldexp_f32 v114, v114, v115
	s_delay_alu instid0(VALU_DEP_1) | instskip(NEXT) | instid1(VALU_DEP_1)
	v_add_f32_e32 v117, 1.0, v114
	v_dual_add_f32 v113, v113, v116 :: v_dual_add_f32 v116, -1.0, v117
	s_delay_alu instid0(VALU_DEP_1) | instskip(NEXT) | instid1(VALU_DEP_2)
	v_ldexp_f32 v113, v113, v115
	v_dual_add_f32 v115, -1.0, v114 :: v_dual_sub_f32 v116, v114, v116
	s_delay_alu instid0(VALU_DEP_1) | instskip(NEXT) | instid1(VALU_DEP_2)
	v_add_f32_e32 v118, 1.0, v115
	v_add_f32_e32 v116, v113, v116
	s_delay_alu instid0(VALU_DEP_2) | instskip(NEXT) | instid1(VALU_DEP_1)
	v_sub_f32_e32 v114, v114, v118
	v_add_f32_e32 v113, v113, v114
	s_delay_alu instid0(VALU_DEP_1) | instskip(NEXT) | instid1(VALU_DEP_1)
	v_dual_add_f32 v119, v115, v113 :: v_dual_add_f32 v118, v117, v116
	v_sub_f32_e32 v115, v115, v119
	s_delay_alu instid0(VALU_DEP_2) | instskip(SKIP_1) | instid1(VALU_DEP_1)
	v_rcp_f32_e32 v114, v118
	v_sub_f32_e32 v117, v117, v118
	v_dual_add_f32 v113, v113, v115 :: v_dual_add_f32 v116, v116, v117
	s_waitcnt_depctr 0xfff
	v_mul_f32_e32 v128, v119, v114
	s_delay_alu instid0(VALU_DEP_1) | instskip(NEXT) | instid1(VALU_DEP_1)
	v_mul_f32_e32 v129, v118, v128
	v_fma_f32 v117, v128, v118, -v129
	s_delay_alu instid0(VALU_DEP_1) | instskip(NEXT) | instid1(VALU_DEP_1)
	v_fmac_f32_e32 v117, v128, v116
	v_add_f32_e32 v130, v129, v117
	s_delay_alu instid0(VALU_DEP_1) | instskip(NEXT) | instid1(VALU_DEP_1)
	v_sub_f32_e32 v131, v119, v130
	v_sub_f32_e32 v119, v119, v131
	;; [unrolled: 1-line block ×3, first 2 shown]
	s_delay_alu instid0(VALU_DEP_2) | instskip(NEXT) | instid1(VALU_DEP_2)
	v_sub_f32_e32 v119, v119, v130
	v_sub_f32_e32 v115, v115, v117
	s_delay_alu instid0(VALU_DEP_2) | instskip(NEXT) | instid1(VALU_DEP_1)
	v_add_f32_e32 v113, v113, v119
	v_add_f32_e32 v113, v115, v113
	s_delay_alu instid0(VALU_DEP_1) | instskip(NEXT) | instid1(VALU_DEP_1)
	v_add_f32_e32 v115, v131, v113
	v_mul_f32_e32 v117, v114, v115
	s_delay_alu instid0(VALU_DEP_1) | instskip(NEXT) | instid1(VALU_DEP_1)
	v_dual_sub_f32 v130, v131, v115 :: v_dual_mul_f32 v119, v118, v117
	v_add_f32_e32 v113, v113, v130
	s_delay_alu instid0(VALU_DEP_2) | instskip(NEXT) | instid1(VALU_DEP_1)
	v_fma_f32 v118, v117, v118, -v119
	v_fmac_f32_e32 v118, v117, v116
	s_delay_alu instid0(VALU_DEP_1) | instskip(NEXT) | instid1(VALU_DEP_1)
	v_add_f32_e32 v116, v119, v118
	v_sub_f32_e32 v129, v115, v116
	v_sub_f32_e32 v119, v116, v119
	s_delay_alu instid0(VALU_DEP_2) | instskip(NEXT) | instid1(VALU_DEP_1)
	v_sub_f32_e32 v115, v115, v129
	v_sub_f32_e32 v115, v115, v116
	s_delay_alu instid0(VALU_DEP_1) | instskip(SKIP_1) | instid1(VALU_DEP_1)
	v_dual_sub_f32 v116, v119, v118 :: v_dual_add_f32 v113, v113, v115
	v_add_f32_e32 v115, v128, v117
	v_dual_add_f32 v113, v116, v113 :: v_dual_sub_f32 v116, v115, v128
	s_delay_alu instid0(VALU_DEP_1) | instskip(NEXT) | instid1(VALU_DEP_1)
	v_add_f32_e32 v113, v129, v113
	v_dual_sub_f32 v116, v117, v116 :: v_dual_mul_f32 v113, v114, v113
	s_delay_alu instid0(VALU_DEP_1) | instskip(NEXT) | instid1(VALU_DEP_1)
	v_add_f32_e32 v113, v116, v113
	v_add_f32_e32 v114, v115, v113
	s_delay_alu instid0(VALU_DEP_1) | instskip(NEXT) | instid1(VALU_DEP_1)
	v_mul_f32_e32 v116, v114, v114
	v_fmaak_f32 v117, s25, v116, 0x3ecc95a3
	v_mul_f32_e32 v118, v114, v116
	v_cmp_eq_f32_e64 s25, 0x7f800000, v103
	s_delay_alu instid0(VALU_DEP_3) | instskip(SKIP_2) | instid1(VALU_DEP_4)
	v_fmaak_f32 v116, v116, v117, 0x3f2aaada
	v_ldexp_f32 v117, v114, 1
	v_sub_f32_e32 v114, v114, v115
	s_or_b32 s25, s25, s29
	s_delay_alu instid0(VALU_DEP_3) | instskip(NEXT) | instid1(VALU_DEP_2)
	v_mul_f32_e32 v116, v118, v116
	v_dual_mul_f32 v118, 0x3f317218, v112 :: v_dual_sub_f32 v113, v113, v114
	s_delay_alu instid0(VALU_DEP_2) | instskip(NEXT) | instid1(VALU_DEP_2)
	v_add_f32_e32 v115, v117, v116
	v_ldexp_f32 v113, v113, 1
	s_delay_alu instid0(VALU_DEP_2) | instskip(NEXT) | instid1(VALU_DEP_4)
	v_sub_f32_e32 v114, v115, v117
	v_fma_f32 v117, 0x3f317218, v112, -v118
	s_delay_alu instid0(VALU_DEP_2) | instskip(NEXT) | instid1(VALU_DEP_1)
	v_sub_f32_e32 v114, v116, v114
	v_dual_fmamk_f32 v112, v112, 0xb102e308, v117 :: v_dual_add_f32 v113, v113, v114
	s_delay_alu instid0(VALU_DEP_1) | instskip(NEXT) | instid1(VALU_DEP_1)
	v_add_f32_e32 v114, v118, v112
	v_sub_f32_e32 v118, v114, v118
	s_delay_alu instid0(VALU_DEP_1) | instskip(NEXT) | instid1(VALU_DEP_4)
	v_sub_f32_e32 v112, v112, v118
	v_add_f32_e32 v116, v115, v113
	s_delay_alu instid0(VALU_DEP_1) | instskip(NEXT) | instid1(VALU_DEP_1)
	v_sub_f32_e32 v115, v116, v115
	v_sub_f32_e32 v113, v113, v115
	v_add_f32_e32 v117, v114, v116
	s_delay_alu instid0(VALU_DEP_1) | instskip(NEXT) | instid1(VALU_DEP_1)
	v_sub_f32_e32 v119, v117, v114
	v_sub_f32_e32 v115, v116, v119
	s_delay_alu instid0(VALU_DEP_4) | instskip(SKIP_1) | instid1(VALU_DEP_1)
	v_add_f32_e32 v116, v112, v113
	v_sub_f32_e32 v128, v117, v119
	v_sub_f32_e32 v114, v114, v128
	s_delay_alu instid0(VALU_DEP_1) | instskip(NEXT) | instid1(VALU_DEP_1)
	v_dual_add_f32 v114, v115, v114 :: v_dual_sub_f32 v115, v116, v112
	v_dual_add_f32 v114, v116, v114 :: v_dual_sub_f32 v113, v113, v115
	v_sub_f32_e32 v116, v116, v115
	s_delay_alu instid0(VALU_DEP_2) | instskip(NEXT) | instid1(VALU_DEP_1)
	v_add_f32_e32 v118, v117, v114
	v_dual_sub_f32 v112, v112, v116 :: v_dual_sub_f32 v115, v118, v117
	s_delay_alu instid0(VALU_DEP_1) | instskip(NEXT) | instid1(VALU_DEP_1)
	v_dual_add_f32 v112, v113, v112 :: v_dual_sub_f32 v113, v114, v115
	v_add_f32_e32 v112, v112, v113
	s_delay_alu instid0(VALU_DEP_1) | instskip(NEXT) | instid1(VALU_DEP_1)
	v_add_f32_e32 v112, v118, v112
	v_cndmask_b32_e64 v103, v112, v103, s25
	s_delay_alu instid0(VALU_DEP_1)
	v_add_f32_e32 v103, v102, v103
.LBB481_308:
	s_or_b32 exec_lo, exec_lo, s28
	s_delay_alu instid0(VALU_DEP_1) | instskip(SKIP_1) | instid1(VALU_DEP_2)
	v_bfe_u32 v102, v103, 16, 1
	v_cmp_o_f32_e64 s25, v103, v103
	v_add3_u32 v102, v103, v102, 0x7fff
	s_delay_alu instid0(VALU_DEP_1) | instskip(NEXT) | instid1(VALU_DEP_1)
	v_lshrrev_b32_e32 v102, 16, v102
	v_cndmask_b32_e64 v103, 0x7fc0, v102, s25
.LBB481_309:
	s_or_b32 exec_lo, exec_lo, s27
	s_waitcnt lgkmcnt(0)
	v_add_nc_u32_e32 v102, -1, v101
	s_delay_alu instid0(VALU_DEP_1) | instskip(NEXT) | instid1(VALU_DEP_1)
	v_cmp_gt_i32_e64 s25, 0, v102
	v_cndmask_b32_e64 v101, v102, v101, s25
	v_and_b32_e32 v102, 0xffff, v103
	s_delay_alu instid0(VALU_DEP_2) | instskip(SKIP_3) | instid1(VALU_DEP_1)
	v_lshlrev_b32_e32 v101, 2, v101
	ds_bpermute_b32 v101, v101, v102
	s_waitcnt lgkmcnt(0)
	v_lshlrev_b32_e32 v101, 16, v101
	v_max_f32_e32 v102, v101, v101
	v_cmp_u_f32_e64 s25, v101, v101
	s_delay_alu instid0(VALU_DEP_2) | instskip(SKIP_1) | instid1(VALU_DEP_2)
	v_min_f32_e32 v103, v102, v100
	v_max_f32_e32 v100, v102, v100
	v_cndmask_b32_e64 v102, v103, v101, s25
	s_delay_alu instid0(VALU_DEP_2) | instskip(NEXT) | instid1(VALU_DEP_2)
	v_cndmask_b32_e64 v103, v100, v101, s25
	v_cndmask_b32_e64 v100, v102, v99, s24
	s_delay_alu instid0(VALU_DEP_2) | instskip(NEXT) | instid1(VALU_DEP_2)
	v_cndmask_b32_e64 v99, v103, v99, s24
	v_cmp_class_f32_e64 s25, v100, 0x1f8
	s_delay_alu instid0(VALU_DEP_2) | instskip(NEXT) | instid1(VALU_DEP_1)
	v_cmp_neq_f32_e64 s24, v100, v99
	s_or_b32 s24, s24, s25
	s_delay_alu instid0(SALU_CYCLE_1)
	s_and_saveexec_b32 s25, s24
	s_cbranch_execz .LBB481_311
; %bb.310:
	v_sub_f32_e32 v100, v100, v99
	s_delay_alu instid0(VALU_DEP_1) | instskip(NEXT) | instid1(VALU_DEP_1)
	v_mul_f32_e32 v101, 0x3fb8aa3b, v100
	v_fma_f32 v102, 0x3fb8aa3b, v100, -v101
	v_rndne_f32_e32 v103, v101
	s_delay_alu instid0(VALU_DEP_1) | instskip(NEXT) | instid1(VALU_DEP_1)
	v_dual_fmamk_f32 v102, v100, 0x32a5705f, v102 :: v_dual_sub_f32 v101, v101, v103
	v_add_f32_e32 v101, v101, v102
	v_cvt_i32_f32_e32 v102, v103
	v_cmp_ngt_f32_e64 s24, 0xc2ce8ed0, v100
	s_delay_alu instid0(VALU_DEP_3) | instskip(SKIP_2) | instid1(VALU_DEP_1)
	v_exp_f32_e32 v101, v101
	s_waitcnt_depctr 0xfff
	v_ldexp_f32 v101, v101, v102
	v_cndmask_b32_e64 v101, 0, v101, s24
	v_cmp_nlt_f32_e64 s24, 0x42b17218, v100
	s_delay_alu instid0(VALU_DEP_1) | instskip(NEXT) | instid1(VALU_DEP_1)
	v_cndmask_b32_e64 v102, 0x7f800000, v101, s24
	v_add_f32_e32 v103, 1.0, v102
	v_cmp_gt_f32_e64 s27, 0x33800000, |v102|
	s_delay_alu instid0(VALU_DEP_2) | instskip(NEXT) | instid1(VALU_DEP_1)
	v_cvt_f64_f32_e32 v[100:101], v103
	v_frexp_exp_i32_f64_e32 v100, v[100:101]
	v_frexp_mant_f32_e32 v101, v103
	s_delay_alu instid0(VALU_DEP_1) | instskip(SKIP_1) | instid1(VALU_DEP_1)
	v_cmp_gt_f32_e64 s24, 0x3f2aaaab, v101
	v_add_f32_e32 v101, -1.0, v103
	v_sub_f32_e32 v113, v101, v103
	s_delay_alu instid0(VALU_DEP_3) | instskip(SKIP_1) | instid1(VALU_DEP_1)
	v_subrev_co_ci_u32_e64 v100, s24, 0, v100, s24
	s_mov_b32 s24, 0x3e9b6dac
	v_sub_nc_u32_e32 v112, 0, v100
	v_cvt_f32_i32_e32 v100, v100
	s_delay_alu instid0(VALU_DEP_2) | instskip(NEXT) | instid1(VALU_DEP_1)
	v_ldexp_f32 v103, v103, v112
	v_dual_sub_f32 v101, v102, v101 :: v_dual_add_f32 v114, 1.0, v103
	v_add_f32_e32 v113, 1.0, v113
	s_delay_alu instid0(VALU_DEP_1) | instskip(NEXT) | instid1(VALU_DEP_3)
	v_add_f32_e32 v101, v101, v113
	v_add_f32_e32 v113, -1.0, v114
	s_delay_alu instid0(VALU_DEP_2) | instskip(NEXT) | instid1(VALU_DEP_2)
	v_ldexp_f32 v101, v101, v112
	v_dual_add_f32 v112, -1.0, v103 :: v_dual_sub_f32 v113, v103, v113
	s_delay_alu instid0(VALU_DEP_1) | instskip(NEXT) | instid1(VALU_DEP_2)
	v_add_f32_e32 v115, 1.0, v112
	v_add_f32_e32 v113, v101, v113
	s_delay_alu instid0(VALU_DEP_2) | instskip(NEXT) | instid1(VALU_DEP_2)
	v_sub_f32_e32 v103, v103, v115
	v_add_f32_e32 v115, v114, v113
	s_delay_alu instid0(VALU_DEP_2) | instskip(NEXT) | instid1(VALU_DEP_2)
	v_add_f32_e32 v101, v101, v103
	v_rcp_f32_e32 v103, v115
	v_sub_f32_e32 v114, v114, v115
	s_delay_alu instid0(VALU_DEP_1) | instskip(NEXT) | instid1(VALU_DEP_1)
	v_dual_add_f32 v116, v112, v101 :: v_dual_add_f32 v113, v113, v114
	v_sub_f32_e32 v112, v112, v116
	s_waitcnt_depctr 0xfff
	v_mul_f32_e32 v117, v116, v103
	s_delay_alu instid0(VALU_DEP_1) | instskip(NEXT) | instid1(VALU_DEP_1)
	v_dual_add_f32 v101, v101, v112 :: v_dual_mul_f32 v118, v115, v117
	v_fma_f32 v114, v117, v115, -v118
	s_delay_alu instid0(VALU_DEP_1) | instskip(NEXT) | instid1(VALU_DEP_1)
	v_fmac_f32_e32 v114, v117, v113
	v_add_f32_e32 v119, v118, v114
	s_delay_alu instid0(VALU_DEP_1) | instskip(SKIP_1) | instid1(VALU_DEP_2)
	v_sub_f32_e32 v128, v116, v119
	v_sub_f32_e32 v112, v119, v118
	;; [unrolled: 1-line block ×3, first 2 shown]
	s_delay_alu instid0(VALU_DEP_2) | instskip(NEXT) | instid1(VALU_DEP_2)
	v_sub_f32_e32 v112, v112, v114
	v_sub_f32_e32 v116, v116, v119
	s_delay_alu instid0(VALU_DEP_1) | instskip(NEXT) | instid1(VALU_DEP_1)
	v_add_f32_e32 v101, v101, v116
	v_add_f32_e32 v101, v112, v101
	s_delay_alu instid0(VALU_DEP_1) | instskip(NEXT) | instid1(VALU_DEP_1)
	v_add_f32_e32 v112, v128, v101
	v_mul_f32_e32 v114, v103, v112
	s_delay_alu instid0(VALU_DEP_1) | instskip(NEXT) | instid1(VALU_DEP_1)
	v_dual_sub_f32 v119, v128, v112 :: v_dual_mul_f32 v116, v115, v114
	v_add_f32_e32 v101, v101, v119
	s_delay_alu instid0(VALU_DEP_2) | instskip(NEXT) | instid1(VALU_DEP_1)
	v_fma_f32 v115, v114, v115, -v116
	v_fmac_f32_e32 v115, v114, v113
	s_delay_alu instid0(VALU_DEP_1) | instskip(NEXT) | instid1(VALU_DEP_1)
	v_add_f32_e32 v113, v116, v115
	v_sub_f32_e32 v118, v112, v113
	v_sub_f32_e32 v116, v113, v116
	s_delay_alu instid0(VALU_DEP_2) | instskip(NEXT) | instid1(VALU_DEP_1)
	v_sub_f32_e32 v112, v112, v118
	v_sub_f32_e32 v112, v112, v113
	s_delay_alu instid0(VALU_DEP_3) | instskip(NEXT) | instid1(VALU_DEP_2)
	v_sub_f32_e32 v113, v116, v115
	v_add_f32_e32 v101, v101, v112
	v_add_f32_e32 v112, v117, v114
	s_delay_alu instid0(VALU_DEP_2) | instskip(NEXT) | instid1(VALU_DEP_2)
	v_add_f32_e32 v101, v113, v101
	v_sub_f32_e32 v113, v112, v117
	s_delay_alu instid0(VALU_DEP_2) | instskip(NEXT) | instid1(VALU_DEP_2)
	v_add_f32_e32 v101, v118, v101
	v_sub_f32_e32 v113, v114, v113
	s_delay_alu instid0(VALU_DEP_2) | instskip(NEXT) | instid1(VALU_DEP_1)
	v_mul_f32_e32 v101, v103, v101
	v_add_f32_e32 v101, v113, v101
	s_delay_alu instid0(VALU_DEP_1) | instskip(NEXT) | instid1(VALU_DEP_1)
	v_add_f32_e32 v103, v112, v101
	v_mul_f32_e32 v113, v103, v103
	s_delay_alu instid0(VALU_DEP_1) | instskip(SKIP_2) | instid1(VALU_DEP_3)
	v_fmaak_f32 v114, s24, v113, 0x3ecc95a3
	v_mul_f32_e32 v115, v103, v113
	v_cmp_eq_f32_e64 s24, 0x7f800000, v102
	v_fmaak_f32 v113, v113, v114, 0x3f2aaada
	v_ldexp_f32 v114, v103, 1
	v_sub_f32_e32 v103, v103, v112
	s_delay_alu instid0(VALU_DEP_4) | instskip(NEXT) | instid1(VALU_DEP_3)
	s_or_b32 s24, s24, s27
	v_mul_f32_e32 v113, v115, v113
	v_mul_f32_e32 v115, 0x3f317218, v100
	s_delay_alu instid0(VALU_DEP_2) | instskip(NEXT) | instid1(VALU_DEP_1)
	v_dual_sub_f32 v101, v101, v103 :: v_dual_add_f32 v112, v114, v113
	v_ldexp_f32 v101, v101, 1
	s_delay_alu instid0(VALU_DEP_2) | instskip(NEXT) | instid1(VALU_DEP_4)
	v_sub_f32_e32 v103, v112, v114
	v_fma_f32 v114, 0x3f317218, v100, -v115
	s_delay_alu instid0(VALU_DEP_1) | instskip(NEXT) | instid1(VALU_DEP_1)
	v_dual_sub_f32 v103, v113, v103 :: v_dual_fmamk_f32 v100, v100, 0xb102e308, v114
	v_add_f32_e32 v101, v101, v103
	s_delay_alu instid0(VALU_DEP_2) | instskip(NEXT) | instid1(VALU_DEP_2)
	v_add_f32_e32 v103, v115, v100
	v_add_f32_e32 v113, v112, v101
	s_delay_alu instid0(VALU_DEP_2) | instskip(NEXT) | instid1(VALU_DEP_2)
	v_sub_f32_e32 v115, v103, v115
	v_add_f32_e32 v114, v103, v113
	v_sub_f32_e32 v112, v113, v112
	s_delay_alu instid0(VALU_DEP_3) | instskip(NEXT) | instid1(VALU_DEP_2)
	v_sub_f32_e32 v100, v100, v115
	v_dual_sub_f32 v116, v114, v103 :: v_dual_sub_f32 v101, v101, v112
	s_delay_alu instid0(VALU_DEP_1) | instskip(NEXT) | instid1(VALU_DEP_2)
	v_sub_f32_e32 v117, v114, v116
	v_dual_sub_f32 v112, v113, v116 :: v_dual_add_f32 v113, v100, v101
	s_delay_alu instid0(VALU_DEP_2) | instskip(NEXT) | instid1(VALU_DEP_1)
	v_sub_f32_e32 v103, v103, v117
	v_dual_add_f32 v103, v112, v103 :: v_dual_sub_f32 v112, v113, v100
	s_delay_alu instid0(VALU_DEP_1) | instskip(NEXT) | instid1(VALU_DEP_2)
	v_add_f32_e32 v103, v113, v103
	v_sub_f32_e32 v113, v113, v112
	v_sub_f32_e32 v101, v101, v112
	s_delay_alu instid0(VALU_DEP_2) | instskip(NEXT) | instid1(VALU_DEP_1)
	v_dual_add_f32 v115, v114, v103 :: v_dual_sub_f32 v100, v100, v113
	v_sub_f32_e32 v112, v115, v114
	s_delay_alu instid0(VALU_DEP_2) | instskip(NEXT) | instid1(VALU_DEP_2)
	v_add_f32_e32 v100, v101, v100
	v_sub_f32_e32 v101, v103, v112
	s_delay_alu instid0(VALU_DEP_1) | instskip(NEXT) | instid1(VALU_DEP_1)
	v_add_f32_e32 v100, v100, v101
	v_add_f32_e32 v100, v115, v100
	s_delay_alu instid0(VALU_DEP_1) | instskip(NEXT) | instid1(VALU_DEP_1)
	v_cndmask_b32_e64 v100, v100, v102, s24
	v_add_f32_e32 v101, v99, v100
.LBB481_311:
	s_or_b32 exec_lo, exec_lo, s25
	s_delay_alu instid0(VALU_DEP_1) | instskip(SKIP_1) | instid1(VALU_DEP_2)
	v_bfe_u32 v99, v101, 16, 1
	v_cmp_o_f32_e64 s24, v101, v101
	; wave barrier
	v_add3_u32 v99, v101, v99, 0x7fff
	s_delay_alu instid0(VALU_DEP_1) | instskip(NEXT) | instid1(VALU_DEP_1)
	v_lshrrev_b32_e32 v99, 16, v99
	v_cndmask_b32_e64 v99, 0x7fc0, v99, s24
	s_delay_alu instid0(VALU_DEP_1)
	v_cndmask_b32_e64 v99, v99, v97, s2
	ds_store_b16 v98, v99
	; wave barrier
	ds_load_u16 v101, v98 offset:2
	v_lshlrev_b32_e32 v100, 16, v99
	s_waitcnt lgkmcnt(0)
	v_lshlrev_b32_e32 v99, 16, v101
	s_delay_alu instid0(VALU_DEP_1) | instskip(NEXT) | instid1(VALU_DEP_1)
	v_dual_max_f32 v101, v100, v100 :: v_dual_max_f32 v102, v99, v99
	v_min_f32_e32 v103, v101, v102
	v_max_f32_e32 v101, v101, v102
	v_cmp_u_f32_e64 s2, v100, v100
	s_delay_alu instid0(VALU_DEP_1) | instskip(NEXT) | instid1(VALU_DEP_3)
	v_cndmask_b32_e64 v102, v103, v100, s2
	v_cndmask_b32_e64 v103, v101, v100, s2
	v_cmp_u_f32_e64 s2, v99, v99
	s_delay_alu instid0(VALU_DEP_1) | instskip(NEXT) | instid1(VALU_DEP_3)
	v_cndmask_b32_e64 v101, v102, v99, s2
	v_cndmask_b32_e64 v99, v103, v99, s2
	s_delay_alu instid0(VALU_DEP_2) | instskip(NEXT) | instid1(VALU_DEP_2)
	v_cmp_class_f32_e64 s24, v101, 0x1f8
	v_cmp_neq_f32_e64 s2, v101, v99
	s_delay_alu instid0(VALU_DEP_1) | instskip(NEXT) | instid1(SALU_CYCLE_1)
	s_or_b32 s2, s2, s24
	s_and_saveexec_b32 s24, s2
	s_cbranch_execz .LBB481_313
; %bb.312:
	v_sub_f32_e32 v100, v101, v99
	s_delay_alu instid0(VALU_DEP_1) | instskip(SKIP_1) | instid1(VALU_DEP_2)
	v_mul_f32_e32 v101, 0x3fb8aa3b, v100
	v_cmp_ngt_f32_e64 s2, 0xc2ce8ed0, v100
	v_fma_f32 v102, 0x3fb8aa3b, v100, -v101
	v_rndne_f32_e32 v103, v101
	s_delay_alu instid0(VALU_DEP_1) | instskip(NEXT) | instid1(VALU_DEP_1)
	v_dual_fmamk_f32 v102, v100, 0x32a5705f, v102 :: v_dual_sub_f32 v101, v101, v103
	v_add_f32_e32 v101, v101, v102
	v_cvt_i32_f32_e32 v102, v103
	s_delay_alu instid0(VALU_DEP_2) | instskip(SKIP_2) | instid1(VALU_DEP_1)
	v_exp_f32_e32 v101, v101
	s_waitcnt_depctr 0xfff
	v_ldexp_f32 v101, v101, v102
	v_cndmask_b32_e64 v101, 0, v101, s2
	v_cmp_nlt_f32_e64 s2, 0x42b17218, v100
	s_delay_alu instid0(VALU_DEP_1) | instskip(NEXT) | instid1(VALU_DEP_1)
	v_cndmask_b32_e64 v102, 0x7f800000, v101, s2
	v_add_f32_e32 v103, 1.0, v102
	v_cmp_gt_f32_e64 s25, 0x33800000, |v102|
	s_delay_alu instid0(VALU_DEP_2) | instskip(NEXT) | instid1(VALU_DEP_1)
	v_cvt_f64_f32_e32 v[100:101], v103
	v_frexp_exp_i32_f64_e32 v100, v[100:101]
	v_frexp_mant_f32_e32 v101, v103
	s_delay_alu instid0(VALU_DEP_1) | instskip(SKIP_1) | instid1(VALU_DEP_1)
	v_cmp_gt_f32_e64 s2, 0x3f2aaaab, v101
	v_add_f32_e32 v101, -1.0, v103
	v_sub_f32_e32 v113, v101, v103
	v_sub_f32_e32 v101, v102, v101
	s_delay_alu instid0(VALU_DEP_4) | instskip(SKIP_1) | instid1(VALU_DEP_1)
	v_subrev_co_ci_u32_e64 v100, s2, 0, v100, s2
	s_mov_b32 s2, 0x3e9b6dac
	v_sub_nc_u32_e32 v112, 0, v100
	v_cvt_f32_i32_e32 v100, v100
	s_delay_alu instid0(VALU_DEP_2) | instskip(NEXT) | instid1(VALU_DEP_1)
	v_ldexp_f32 v103, v103, v112
	v_dual_add_f32 v114, 1.0, v103 :: v_dual_add_f32 v113, 1.0, v113
	s_delay_alu instid0(VALU_DEP_1) | instskip(NEXT) | instid1(VALU_DEP_2)
	v_add_f32_e32 v101, v101, v113
	v_add_f32_e32 v113, -1.0, v114
	s_delay_alu instid0(VALU_DEP_2) | instskip(NEXT) | instid1(VALU_DEP_2)
	v_ldexp_f32 v101, v101, v112
	v_dual_add_f32 v112, -1.0, v103 :: v_dual_sub_f32 v113, v103, v113
	s_delay_alu instid0(VALU_DEP_1) | instskip(NEXT) | instid1(VALU_DEP_2)
	v_add_f32_e32 v115, 1.0, v112
	v_add_f32_e32 v113, v101, v113
	s_delay_alu instid0(VALU_DEP_2) | instskip(NEXT) | instid1(VALU_DEP_2)
	v_sub_f32_e32 v103, v103, v115
	v_add_f32_e32 v115, v114, v113
	s_delay_alu instid0(VALU_DEP_2) | instskip(NEXT) | instid1(VALU_DEP_2)
	v_add_f32_e32 v101, v101, v103
	v_rcp_f32_e32 v103, v115
	v_sub_f32_e32 v114, v114, v115
	s_delay_alu instid0(VALU_DEP_1) | instskip(NEXT) | instid1(VALU_DEP_1)
	v_dual_add_f32 v116, v112, v101 :: v_dual_add_f32 v113, v113, v114
	v_sub_f32_e32 v112, v112, v116
	s_waitcnt_depctr 0xfff
	v_mul_f32_e32 v117, v116, v103
	s_delay_alu instid0(VALU_DEP_1) | instskip(NEXT) | instid1(VALU_DEP_1)
	v_dual_add_f32 v101, v101, v112 :: v_dual_mul_f32 v118, v115, v117
	v_fma_f32 v114, v117, v115, -v118
	s_delay_alu instid0(VALU_DEP_1) | instskip(NEXT) | instid1(VALU_DEP_1)
	v_fmac_f32_e32 v114, v117, v113
	v_add_f32_e32 v119, v118, v114
	s_delay_alu instid0(VALU_DEP_1) | instskip(SKIP_1) | instid1(VALU_DEP_2)
	v_sub_f32_e32 v128, v116, v119
	v_sub_f32_e32 v112, v119, v118
	;; [unrolled: 1-line block ×3, first 2 shown]
	s_delay_alu instid0(VALU_DEP_2) | instskip(NEXT) | instid1(VALU_DEP_2)
	v_sub_f32_e32 v112, v112, v114
	v_sub_f32_e32 v116, v116, v119
	s_delay_alu instid0(VALU_DEP_1) | instskip(NEXT) | instid1(VALU_DEP_1)
	v_add_f32_e32 v101, v101, v116
	v_add_f32_e32 v101, v112, v101
	s_delay_alu instid0(VALU_DEP_1) | instskip(NEXT) | instid1(VALU_DEP_1)
	v_add_f32_e32 v112, v128, v101
	v_mul_f32_e32 v114, v103, v112
	s_delay_alu instid0(VALU_DEP_1) | instskip(NEXT) | instid1(VALU_DEP_1)
	v_dual_sub_f32 v119, v128, v112 :: v_dual_mul_f32 v116, v115, v114
	v_add_f32_e32 v101, v101, v119
	s_delay_alu instid0(VALU_DEP_2) | instskip(NEXT) | instid1(VALU_DEP_1)
	v_fma_f32 v115, v114, v115, -v116
	v_fmac_f32_e32 v115, v114, v113
	s_delay_alu instid0(VALU_DEP_1) | instskip(NEXT) | instid1(VALU_DEP_1)
	v_add_f32_e32 v113, v116, v115
	v_sub_f32_e32 v118, v112, v113
	v_sub_f32_e32 v116, v113, v116
	s_delay_alu instid0(VALU_DEP_2) | instskip(NEXT) | instid1(VALU_DEP_1)
	v_sub_f32_e32 v112, v112, v118
	v_sub_f32_e32 v112, v112, v113
	s_delay_alu instid0(VALU_DEP_3) | instskip(NEXT) | instid1(VALU_DEP_2)
	v_sub_f32_e32 v113, v116, v115
	v_add_f32_e32 v101, v101, v112
	v_add_f32_e32 v112, v117, v114
	s_delay_alu instid0(VALU_DEP_2) | instskip(NEXT) | instid1(VALU_DEP_2)
	v_add_f32_e32 v101, v113, v101
	v_sub_f32_e32 v113, v112, v117
	s_delay_alu instid0(VALU_DEP_2) | instskip(NEXT) | instid1(VALU_DEP_2)
	v_add_f32_e32 v101, v118, v101
	v_sub_f32_e32 v113, v114, v113
	s_delay_alu instid0(VALU_DEP_2) | instskip(NEXT) | instid1(VALU_DEP_1)
	v_mul_f32_e32 v101, v103, v101
	v_add_f32_e32 v101, v113, v101
	s_delay_alu instid0(VALU_DEP_1) | instskip(NEXT) | instid1(VALU_DEP_1)
	v_add_f32_e32 v103, v112, v101
	v_mul_f32_e32 v113, v103, v103
	s_delay_alu instid0(VALU_DEP_1) | instskip(SKIP_2) | instid1(VALU_DEP_3)
	v_fmaak_f32 v114, s2, v113, 0x3ecc95a3
	v_mul_f32_e32 v115, v103, v113
	v_cmp_eq_f32_e64 s2, 0x7f800000, v102
	v_fmaak_f32 v113, v113, v114, 0x3f2aaada
	v_ldexp_f32 v114, v103, 1
	v_sub_f32_e32 v103, v103, v112
	s_delay_alu instid0(VALU_DEP_4) | instskip(NEXT) | instid1(VALU_DEP_3)
	s_or_b32 s2, s2, s25
	v_mul_f32_e32 v113, v115, v113
	v_mul_f32_e32 v115, 0x3f317218, v100
	s_delay_alu instid0(VALU_DEP_2) | instskip(NEXT) | instid1(VALU_DEP_1)
	v_dual_sub_f32 v101, v101, v103 :: v_dual_add_f32 v112, v114, v113
	v_ldexp_f32 v101, v101, 1
	s_delay_alu instid0(VALU_DEP_2) | instskip(NEXT) | instid1(VALU_DEP_4)
	v_sub_f32_e32 v103, v112, v114
	v_fma_f32 v114, 0x3f317218, v100, -v115
	s_delay_alu instid0(VALU_DEP_1) | instskip(NEXT) | instid1(VALU_DEP_1)
	v_dual_sub_f32 v103, v113, v103 :: v_dual_fmamk_f32 v100, v100, 0xb102e308, v114
	v_add_f32_e32 v101, v101, v103
	s_delay_alu instid0(VALU_DEP_2) | instskip(NEXT) | instid1(VALU_DEP_2)
	v_add_f32_e32 v103, v115, v100
	v_add_f32_e32 v113, v112, v101
	s_delay_alu instid0(VALU_DEP_2) | instskip(NEXT) | instid1(VALU_DEP_2)
	v_sub_f32_e32 v115, v103, v115
	v_add_f32_e32 v114, v103, v113
	v_sub_f32_e32 v112, v113, v112
	s_delay_alu instid0(VALU_DEP_3) | instskip(NEXT) | instid1(VALU_DEP_2)
	v_sub_f32_e32 v100, v100, v115
	v_dual_sub_f32 v116, v114, v103 :: v_dual_sub_f32 v101, v101, v112
	s_delay_alu instid0(VALU_DEP_1) | instskip(NEXT) | instid1(VALU_DEP_2)
	v_sub_f32_e32 v117, v114, v116
	v_dual_sub_f32 v112, v113, v116 :: v_dual_add_f32 v113, v100, v101
	s_delay_alu instid0(VALU_DEP_2) | instskip(NEXT) | instid1(VALU_DEP_1)
	v_sub_f32_e32 v103, v103, v117
	v_dual_add_f32 v103, v112, v103 :: v_dual_sub_f32 v112, v113, v100
	s_delay_alu instid0(VALU_DEP_1) | instskip(NEXT) | instid1(VALU_DEP_2)
	v_add_f32_e32 v103, v113, v103
	v_sub_f32_e32 v113, v113, v112
	v_sub_f32_e32 v101, v101, v112
	s_delay_alu instid0(VALU_DEP_2) | instskip(NEXT) | instid1(VALU_DEP_1)
	v_dual_add_f32 v115, v114, v103 :: v_dual_sub_f32 v100, v100, v113
	v_sub_f32_e32 v112, v115, v114
	s_delay_alu instid0(VALU_DEP_2) | instskip(NEXT) | instid1(VALU_DEP_2)
	v_add_f32_e32 v100, v101, v100
	v_sub_f32_e32 v101, v103, v112
	s_delay_alu instid0(VALU_DEP_1) | instskip(NEXT) | instid1(VALU_DEP_1)
	v_add_f32_e32 v100, v100, v101
	v_add_f32_e32 v100, v115, v100
	s_delay_alu instid0(VALU_DEP_1) | instskip(NEXT) | instid1(VALU_DEP_1)
	v_cndmask_b32_e64 v100, v100, v102, s2
	v_add_f32_e32 v100, v99, v100
.LBB481_313:
	s_or_b32 exec_lo, exec_lo, s24
	s_delay_alu instid0(VALU_DEP_1) | instskip(SKIP_1) | instid1(VALU_DEP_2)
	v_bfe_u32 v99, v100, 16, 1
	v_cmp_o_f32_e64 s2, v100, v100
	v_add3_u32 v99, v100, v99, 0x7fff
	s_delay_alu instid0(VALU_DEP_1) | instskip(NEXT) | instid1(VALU_DEP_1)
	v_lshrrev_b32_e32 v99, 16, v99
	v_cndmask_b32_e64 v99, 0x7fc0, v99, s2
	ds_store_b16 v98, v99 offset:2
.LBB481_314:
	s_or_b32 exec_lo, exec_lo, s26
	s_waitcnt lgkmcnt(0)
	s_barrier
	buffer_gl0_inv
	s_and_saveexec_b32 s2, s1
	s_cbranch_execz .LBB481_316
; %bb.315:
	v_add_nc_u32_e32 v97, -1, v21
	s_delay_alu instid0(VALU_DEP_1) | instskip(NEXT) | instid1(VALU_DEP_1)
	v_lshrrev_b32_e32 v98, 5, v97
	v_add_lshl_u32 v97, v98, v97, 1
	ds_load_u16 v97, v97
.LBB481_316:
	s_or_b32 exec_lo, exec_lo, s2
	s_and_saveexec_b32 s2, s1
	s_cbranch_execz .LBB481_320
; %bb.317:
	s_waitcnt lgkmcnt(0)
	v_lshlrev_b32_e32 v64, 16, v97
	s_delay_alu instid0(VALU_DEP_1) | instskip(NEXT) | instid1(VALU_DEP_1)
	v_max_f32_e32 v16, v64, v64
	v_min_f32_e32 v65, v16, v96
	v_max_f32_e32 v16, v16, v96
	v_cmp_u_f32_e64 s1, v64, v64
	s_delay_alu instid0(VALU_DEP_1) | instskip(NEXT) | instid1(VALU_DEP_3)
	v_cndmask_b32_e64 v65, v65, v64, s1
	v_cndmask_b32_e64 v16, v16, v64, s1
	s_delay_alu instid0(VALU_DEP_2) | instskip(NEXT) | instid1(VALU_DEP_2)
	v_cndmask_b32_e64 v65, v65, v22, s23
	v_cndmask_b32_e64 v16, v16, v22, s23
	s_delay_alu instid0(VALU_DEP_2) | instskip(NEXT) | instid1(VALU_DEP_2)
	v_cmp_class_f32_e64 s23, v65, 0x1f8
	v_cmp_neq_f32_e64 s1, v65, v16
	s_delay_alu instid0(VALU_DEP_1) | instskip(NEXT) | instid1(SALU_CYCLE_1)
	s_or_b32 s1, s1, s23
	s_and_saveexec_b32 s23, s1
	s_cbranch_execz .LBB481_319
; %bb.318:
	v_sub_f32_e32 v22, v65, v16
	s_delay_alu instid0(VALU_DEP_1) | instskip(SKIP_1) | instid1(VALU_DEP_2)
	v_mul_f32_e32 v64, 0x3fb8aa3b, v22
	v_cmp_ngt_f32_e64 s1, 0xc2ce8ed0, v22
	v_fma_f32 v65, 0x3fb8aa3b, v22, -v64
	v_rndne_f32_e32 v96, v64
	s_delay_alu instid0(VALU_DEP_1) | instskip(NEXT) | instid1(VALU_DEP_1)
	v_dual_fmamk_f32 v65, v22, 0x32a5705f, v65 :: v_dual_sub_f32 v64, v64, v96
	v_add_f32_e32 v64, v64, v65
	v_cvt_i32_f32_e32 v65, v96
	s_delay_alu instid0(VALU_DEP_2) | instskip(SKIP_2) | instid1(VALU_DEP_1)
	v_exp_f32_e32 v64, v64
	s_waitcnt_depctr 0xfff
	v_ldexp_f32 v64, v64, v65
	v_cndmask_b32_e64 v64, 0, v64, s1
	v_cmp_nlt_f32_e64 s1, 0x42b17218, v22
	s_delay_alu instid0(VALU_DEP_1) | instskip(NEXT) | instid1(VALU_DEP_1)
	v_cndmask_b32_e64 v22, 0x7f800000, v64, s1
	v_add_f32_e32 v96, 1.0, v22
	v_cmp_gt_f32_e64 s24, 0x33800000, |v22|
	s_delay_alu instid0(VALU_DEP_2) | instskip(NEXT) | instid1(VALU_DEP_1)
	v_cvt_f64_f32_e32 v[64:65], v96
	v_frexp_exp_i32_f64_e32 v64, v[64:65]
	v_frexp_mant_f32_e32 v65, v96
	s_delay_alu instid0(VALU_DEP_1) | instskip(SKIP_1) | instid1(VALU_DEP_1)
	v_cmp_gt_f32_e64 s1, 0x3f2aaaab, v65
	v_add_f32_e32 v65, -1.0, v96
	v_dual_sub_f32 v98, v65, v96 :: v_dual_sub_f32 v65, v22, v65
	s_delay_alu instid0(VALU_DEP_3) | instskip(SKIP_1) | instid1(VALU_DEP_1)
	v_subrev_co_ci_u32_e64 v64, s1, 0, v64, s1
	s_mov_b32 s1, 0x3e9b6dac
	v_sub_nc_u32_e32 v97, 0, v64
	v_cvt_f32_i32_e32 v64, v64
	s_delay_alu instid0(VALU_DEP_2) | instskip(NEXT) | instid1(VALU_DEP_1)
	v_ldexp_f32 v96, v96, v97
	v_dual_add_f32 v98, 1.0, v98 :: v_dual_add_f32 v99, 1.0, v96
	s_delay_alu instid0(VALU_DEP_1) | instskip(NEXT) | instid1(VALU_DEP_1)
	v_dual_add_f32 v65, v65, v98 :: v_dual_add_f32 v98, -1.0, v99
	v_ldexp_f32 v65, v65, v97
	s_delay_alu instid0(VALU_DEP_2) | instskip(NEXT) | instid1(VALU_DEP_1)
	v_dual_add_f32 v97, -1.0, v96 :: v_dual_sub_f32 v98, v96, v98
	v_add_f32_e32 v100, 1.0, v97
	s_delay_alu instid0(VALU_DEP_2) | instskip(NEXT) | instid1(VALU_DEP_2)
	v_add_f32_e32 v98, v65, v98
	v_sub_f32_e32 v96, v96, v100
	s_delay_alu instid0(VALU_DEP_1) | instskip(NEXT) | instid1(VALU_DEP_1)
	v_add_f32_e32 v65, v65, v96
	v_dual_add_f32 v101, v97, v65 :: v_dual_add_f32 v100, v99, v98
	s_delay_alu instid0(VALU_DEP_1) | instskip(NEXT) | instid1(VALU_DEP_2)
	v_sub_f32_e32 v97, v97, v101
	v_rcp_f32_e32 v96, v100
	v_sub_f32_e32 v99, v99, v100
	s_delay_alu instid0(VALU_DEP_1) | instskip(SKIP_2) | instid1(VALU_DEP_1)
	v_dual_add_f32 v98, v98, v99 :: v_dual_add_f32 v65, v65, v97
	s_waitcnt_depctr 0xfff
	v_mul_f32_e32 v102, v101, v96
	v_mul_f32_e32 v103, v100, v102
	s_delay_alu instid0(VALU_DEP_1) | instskip(NEXT) | instid1(VALU_DEP_1)
	v_fma_f32 v99, v102, v100, -v103
	v_fmac_f32_e32 v99, v102, v98
	s_delay_alu instid0(VALU_DEP_1) | instskip(NEXT) | instid1(VALU_DEP_1)
	v_add_f32_e32 v112, v103, v99
	v_sub_f32_e32 v113, v101, v112
	s_delay_alu instid0(VALU_DEP_1) | instskip(SKIP_1) | instid1(VALU_DEP_2)
	v_sub_f32_e32 v101, v101, v113
	v_sub_f32_e32 v97, v112, v103
	;; [unrolled: 1-line block ×3, first 2 shown]
	s_delay_alu instid0(VALU_DEP_2) | instskip(NEXT) | instid1(VALU_DEP_2)
	v_sub_f32_e32 v97, v97, v99
	v_add_f32_e32 v65, v65, v101
	s_delay_alu instid0(VALU_DEP_1) | instskip(NEXT) | instid1(VALU_DEP_1)
	v_add_f32_e32 v65, v97, v65
	v_add_f32_e32 v97, v113, v65
	s_delay_alu instid0(VALU_DEP_1) | instskip(NEXT) | instid1(VALU_DEP_1)
	v_mul_f32_e32 v99, v96, v97
	v_dual_sub_f32 v112, v113, v97 :: v_dual_mul_f32 v101, v100, v99
	s_delay_alu instid0(VALU_DEP_1) | instskip(NEXT) | instid1(VALU_DEP_2)
	v_add_f32_e32 v65, v65, v112
	v_fma_f32 v100, v99, v100, -v101
	s_delay_alu instid0(VALU_DEP_1) | instskip(NEXT) | instid1(VALU_DEP_1)
	v_fmac_f32_e32 v100, v99, v98
	v_add_f32_e32 v98, v101, v100
	s_delay_alu instid0(VALU_DEP_1) | instskip(NEXT) | instid1(VALU_DEP_1)
	v_sub_f32_e32 v103, v97, v98
	v_sub_f32_e32 v97, v97, v103
	s_delay_alu instid0(VALU_DEP_1) | instskip(NEXT) | instid1(VALU_DEP_1)
	v_sub_f32_e32 v97, v97, v98
	v_add_f32_e32 v65, v65, v97
	v_add_f32_e32 v97, v102, v99
	v_sub_f32_e32 v101, v98, v101
	s_delay_alu instid0(VALU_DEP_1) | instskip(NEXT) | instid1(VALU_DEP_1)
	v_sub_f32_e32 v98, v101, v100
	v_dual_add_f32 v65, v98, v65 :: v_dual_sub_f32 v98, v97, v102
	s_delay_alu instid0(VALU_DEP_1) | instskip(NEXT) | instid1(VALU_DEP_1)
	v_add_f32_e32 v65, v103, v65
	v_dual_sub_f32 v98, v99, v98 :: v_dual_mul_f32 v65, v96, v65
	s_delay_alu instid0(VALU_DEP_1) | instskip(NEXT) | instid1(VALU_DEP_1)
	v_add_f32_e32 v65, v98, v65
	v_add_f32_e32 v96, v97, v65
	s_delay_alu instid0(VALU_DEP_1) | instskip(NEXT) | instid1(VALU_DEP_1)
	v_mul_f32_e32 v98, v96, v96
	v_fmaak_f32 v99, s1, v98, 0x3ecc95a3
	v_mul_f32_e32 v100, v96, v98
	v_cmp_eq_f32_e64 s1, 0x7f800000, v22
	s_delay_alu instid0(VALU_DEP_3) | instskip(SKIP_2) | instid1(VALU_DEP_4)
	v_fmaak_f32 v98, v98, v99, 0x3f2aaada
	v_ldexp_f32 v99, v96, 1
	v_sub_f32_e32 v96, v96, v97
	s_or_b32 s1, s1, s24
	s_delay_alu instid0(VALU_DEP_3) | instskip(SKIP_1) | instid1(VALU_DEP_3)
	v_mul_f32_e32 v98, v100, v98
	v_mul_f32_e32 v100, 0x3f317218, v64
	v_sub_f32_e32 v65, v65, v96
	s_delay_alu instid0(VALU_DEP_3) | instskip(NEXT) | instid1(VALU_DEP_2)
	v_add_f32_e32 v97, v99, v98
	v_ldexp_f32 v65, v65, 1
	s_delay_alu instid0(VALU_DEP_2) | instskip(SKIP_1) | instid1(VALU_DEP_2)
	v_sub_f32_e32 v96, v97, v99
	v_fma_f32 v99, 0x3f317218, v64, -v100
	v_sub_f32_e32 v96, v98, v96
	s_delay_alu instid0(VALU_DEP_1) | instskip(NEXT) | instid1(VALU_DEP_1)
	v_dual_fmamk_f32 v64, v64, 0xb102e308, v99 :: v_dual_add_f32 v65, v65, v96
	v_add_f32_e32 v96, v100, v64
	s_delay_alu instid0(VALU_DEP_1) | instskip(NEXT) | instid1(VALU_DEP_1)
	v_sub_f32_e32 v100, v96, v100
	v_sub_f32_e32 v64, v64, v100
	s_delay_alu instid0(VALU_DEP_4) | instskip(NEXT) | instid1(VALU_DEP_1)
	v_add_f32_e32 v98, v97, v65
	v_add_f32_e32 v99, v96, v98
	s_delay_alu instid0(VALU_DEP_1) | instskip(SKIP_1) | instid1(VALU_DEP_2)
	v_sub_f32_e32 v101, v99, v96
	v_sub_f32_e32 v97, v98, v97
	;; [unrolled: 1-line block ×3, first 2 shown]
	s_delay_alu instid0(VALU_DEP_1) | instskip(SKIP_1) | instid1(VALU_DEP_2)
	v_dual_sub_f32 v96, v96, v102 :: v_dual_sub_f32 v65, v65, v97
	v_sub_f32_e32 v97, v98, v101
	v_add_f32_e32 v98, v64, v65
	s_delay_alu instid0(VALU_DEP_2) | instskip(NEXT) | instid1(VALU_DEP_2)
	v_add_f32_e32 v96, v97, v96
	v_sub_f32_e32 v97, v98, v64
	s_delay_alu instid0(VALU_DEP_2) | instskip(NEXT) | instid1(VALU_DEP_1)
	v_add_f32_e32 v96, v98, v96
	v_add_f32_e32 v100, v99, v96
	s_delay_alu instid0(VALU_DEP_3) | instskip(NEXT) | instid1(VALU_DEP_1)
	v_sub_f32_e32 v98, v98, v97
	v_dual_sub_f32 v64, v64, v98 :: v_dual_sub_f32 v65, v65, v97
	s_delay_alu instid0(VALU_DEP_1) | instskip(NEXT) | instid1(VALU_DEP_1)
	v_dual_sub_f32 v97, v100, v99 :: v_dual_add_f32 v64, v65, v64
	v_sub_f32_e32 v65, v96, v97
	s_delay_alu instid0(VALU_DEP_1) | instskip(NEXT) | instid1(VALU_DEP_1)
	v_add_f32_e32 v64, v64, v65
	v_add_f32_e32 v64, v100, v64
	s_delay_alu instid0(VALU_DEP_1) | instskip(NEXT) | instid1(VALU_DEP_1)
	v_cndmask_b32_e64 v22, v64, v22, s1
	v_add_f32_e32 v64, v16, v22
.LBB481_319:
	s_or_b32 exec_lo, exec_lo, s23
	s_delay_alu instid0(VALU_DEP_1) | instskip(SKIP_2) | instid1(VALU_DEP_2)
	v_bfe_u32 v16, v64, 16, 1
	v_cmp_o_f32_e64 s1, v64, v64
	;;#ASMSTART
	;;#ASMEND
	v_add3_u32 v16, v64, v16, 0x7fff
	s_delay_alu instid0(VALU_DEP_1) | instskip(NEXT) | instid1(VALU_DEP_1)
	v_lshrrev_b32_e32 v16, 16, v16
	v_cndmask_b32_e64 v16, 0x7fc0, v16, s1
	s_delay_alu instid0(VALU_DEP_1) | instskip(NEXT) | instid1(VALU_DEP_1)
	v_lshlrev_b32_e32 v22, 16, v16
	v_max_f32_e32 v65, v22, v22
	s_delay_alu instid0(VALU_DEP_1)
	v_min_f32_e32 v64, v65, v17
	v_max_f32_e32 v65, v65, v17
.LBB481_320:
	s_or_b32 exec_lo, exec_lo, s2
	v_cmp_u_f32_e64 s1, v22, v22
	s_delay_alu instid0(VALU_DEP_1) | instskip(NEXT) | instid1(VALU_DEP_3)
	v_cndmask_b32_e64 v17, v64, v22, s1
	v_cndmask_b32_e64 v64, v65, v22, s1
	s_delay_alu instid0(VALU_DEP_2) | instskip(NEXT) | instid1(VALU_DEP_2)
	v_cndmask_b32_e32 v17, v17, v13, vcc_lo
	v_cndmask_b32_e32 v13, v64, v13, vcc_lo
	s_delay_alu instid0(VALU_DEP_2) | instskip(NEXT) | instid1(VALU_DEP_2)
	v_cmp_class_f32_e64 s1, v17, 0x1f8
	v_cmp_neq_f32_e32 vcc_lo, v17, v13
	s_delay_alu instid0(VALU_DEP_2) | instskip(NEXT) | instid1(SALU_CYCLE_1)
	s_or_b32 s2, vcc_lo, s1
	s_and_saveexec_b32 s1, s2
	s_cbranch_execz .LBB481_322
; %bb.321:
	v_sub_f32_e32 v17, v17, v13
	s_mov_b32 s2, 0x3e9b6dac
	s_delay_alu instid0(VALU_DEP_1) | instskip(NEXT) | instid1(VALU_DEP_1)
	v_mul_f32_e32 v22, 0x3fb8aa3b, v17
	v_fma_f32 v64, 0x3fb8aa3b, v17, -v22
	v_rndne_f32_e32 v65, v22
	s_delay_alu instid0(VALU_DEP_2) | instskip(NEXT) | instid1(VALU_DEP_2)
	v_fmamk_f32 v64, v17, 0x32a5705f, v64
	v_sub_f32_e32 v22, v22, v65
	s_delay_alu instid0(VALU_DEP_1) | instskip(SKIP_2) | instid1(VALU_DEP_3)
	v_add_f32_e32 v22, v22, v64
	v_cvt_i32_f32_e32 v64, v65
	v_cmp_ngt_f32_e32 vcc_lo, 0xc2ce8ed0, v17
	v_exp_f32_e32 v22, v22
	s_waitcnt_depctr 0xfff
	v_ldexp_f32 v22, v22, v64
	s_delay_alu instid0(VALU_DEP_1) | instskip(SKIP_1) | instid1(VALU_DEP_2)
	v_cndmask_b32_e32 v22, 0, v22, vcc_lo
	v_cmp_nlt_f32_e32 vcc_lo, 0x42b17218, v17
	v_cndmask_b32_e32 v17, 0x7f800000, v22, vcc_lo
	s_delay_alu instid0(VALU_DEP_1) | instskip(NEXT) | instid1(VALU_DEP_1)
	v_add_f32_e32 v22, 1.0, v17
	v_cvt_f64_f32_e32 v[64:65], v22
	s_delay_alu instid0(VALU_DEP_1) | instskip(SKIP_1) | instid1(VALU_DEP_1)
	v_frexp_exp_i32_f64_e32 v64, v[64:65]
	v_frexp_mant_f32_e32 v65, v22
	v_cmp_gt_f32_e32 vcc_lo, 0x3f2aaaab, v65
	v_add_f32_e32 v65, -1.0, v22
	s_waitcnt lgkmcnt(0)
	s_delay_alu instid0(VALU_DEP_1) | instskip(SKIP_2) | instid1(VALU_DEP_1)
	v_sub_f32_e32 v97, v65, v22
	v_sub_f32_e32 v65, v17, v65
	v_subrev_co_ci_u32_e32 v64, vcc_lo, 0, v64, vcc_lo
	v_sub_nc_u32_e32 v96, 0, v64
	v_cvt_f32_i32_e32 v64, v64
	s_delay_alu instid0(VALU_DEP_2) | instskip(NEXT) | instid1(VALU_DEP_1)
	v_ldexp_f32 v22, v22, v96
	v_dual_add_f32 v97, 1.0, v97 :: v_dual_add_f32 v98, 1.0, v22
	s_delay_alu instid0(VALU_DEP_1) | instskip(NEXT) | instid1(VALU_DEP_2)
	v_add_f32_e32 v65, v65, v97
	v_add_f32_e32 v97, -1.0, v98
	s_delay_alu instid0(VALU_DEP_2) | instskip(NEXT) | instid1(VALU_DEP_2)
	v_ldexp_f32 v65, v65, v96
	v_dual_add_f32 v96, -1.0, v22 :: v_dual_sub_f32 v97, v22, v97
	s_delay_alu instid0(VALU_DEP_1) | instskip(NEXT) | instid1(VALU_DEP_1)
	v_add_f32_e32 v99, 1.0, v96
	v_sub_f32_e32 v22, v22, v99
	v_cmp_eq_f32_e32 vcc_lo, 0x7f800000, v17
	s_delay_alu instid0(VALU_DEP_2) | instskip(NEXT) | instid1(VALU_DEP_1)
	v_add_f32_e32 v22, v65, v22
	v_dual_add_f32 v97, v65, v97 :: v_dual_add_f32 v100, v96, v22
	s_delay_alu instid0(VALU_DEP_1) | instskip(NEXT) | instid1(VALU_DEP_1)
	v_add_f32_e32 v99, v98, v97
	v_rcp_f32_e32 v65, v99
	v_sub_f32_e32 v98, v98, v99
	s_delay_alu instid0(VALU_DEP_1) | instskip(SKIP_2) | instid1(VALU_DEP_1)
	v_dual_add_f32 v97, v97, v98 :: v_dual_sub_f32 v96, v96, v100
	s_waitcnt_depctr 0xfff
	v_dual_mul_f32 v101, v100, v65 :: v_dual_add_f32 v22, v22, v96
	v_mul_f32_e32 v102, v99, v101
	s_delay_alu instid0(VALU_DEP_1) | instskip(NEXT) | instid1(VALU_DEP_1)
	v_fma_f32 v98, v101, v99, -v102
	v_fmac_f32_e32 v98, v101, v97
	s_delay_alu instid0(VALU_DEP_1) | instskip(NEXT) | instid1(VALU_DEP_1)
	v_add_f32_e32 v103, v102, v98
	v_sub_f32_e32 v112, v100, v103
	s_delay_alu instid0(VALU_DEP_1) | instskip(SKIP_1) | instid1(VALU_DEP_2)
	v_sub_f32_e32 v100, v100, v112
	v_sub_f32_e32 v96, v103, v102
	;; [unrolled: 1-line block ×3, first 2 shown]
	s_delay_alu instid0(VALU_DEP_2) | instskip(NEXT) | instid1(VALU_DEP_2)
	v_sub_f32_e32 v96, v96, v98
	v_add_f32_e32 v22, v22, v100
	s_delay_alu instid0(VALU_DEP_1) | instskip(NEXT) | instid1(VALU_DEP_1)
	v_add_f32_e32 v22, v96, v22
	v_add_f32_e32 v96, v112, v22
	s_delay_alu instid0(VALU_DEP_1) | instskip(NEXT) | instid1(VALU_DEP_1)
	v_mul_f32_e32 v98, v65, v96
	v_dual_sub_f32 v103, v112, v96 :: v_dual_mul_f32 v100, v99, v98
	s_delay_alu instid0(VALU_DEP_1) | instskip(NEXT) | instid1(VALU_DEP_2)
	v_add_f32_e32 v22, v22, v103
	v_fma_f32 v99, v98, v99, -v100
	s_delay_alu instid0(VALU_DEP_1) | instskip(NEXT) | instid1(VALU_DEP_1)
	v_fmac_f32_e32 v99, v98, v97
	v_add_f32_e32 v97, v100, v99
	s_delay_alu instid0(VALU_DEP_1) | instskip(SKIP_1) | instid1(VALU_DEP_2)
	v_sub_f32_e32 v102, v96, v97
	v_sub_f32_e32 v100, v97, v100
	;; [unrolled: 1-line block ×3, first 2 shown]
	s_delay_alu instid0(VALU_DEP_1) | instskip(NEXT) | instid1(VALU_DEP_1)
	v_sub_f32_e32 v96, v96, v97
	v_dual_sub_f32 v97, v100, v99 :: v_dual_add_f32 v22, v22, v96
	v_add_f32_e32 v96, v101, v98
	s_delay_alu instid0(VALU_DEP_1) | instskip(NEXT) | instid1(VALU_DEP_1)
	v_dual_add_f32 v22, v97, v22 :: v_dual_sub_f32 v97, v96, v101
	v_add_f32_e32 v22, v102, v22
	s_delay_alu instid0(VALU_DEP_1) | instskip(NEXT) | instid1(VALU_DEP_1)
	v_dual_sub_f32 v97, v98, v97 :: v_dual_mul_f32 v22, v65, v22
	v_add_f32_e32 v22, v97, v22
	s_delay_alu instid0(VALU_DEP_1) | instskip(NEXT) | instid1(VALU_DEP_1)
	v_add_f32_e32 v65, v96, v22
	v_mul_f32_e32 v97, v65, v65
	s_delay_alu instid0(VALU_DEP_1) | instskip(SKIP_2) | instid1(VALU_DEP_3)
	v_fmaak_f32 v98, s2, v97, 0x3ecc95a3
	v_mul_f32_e32 v99, v65, v97
	v_cmp_gt_f32_e64 s2, 0x33800000, |v17|
	v_fmaak_f32 v97, v97, v98, 0x3f2aaada
	v_ldexp_f32 v98, v65, 1
	v_sub_f32_e32 v65, v65, v96
	s_delay_alu instid0(VALU_DEP_4) | instskip(NEXT) | instid1(VALU_DEP_3)
	s_or_b32 vcc_lo, vcc_lo, s2
	v_mul_f32_e32 v97, v99, v97
	s_delay_alu instid0(VALU_DEP_2) | instskip(NEXT) | instid1(VALU_DEP_2)
	v_dual_mul_f32 v99, 0x3f317218, v64 :: v_dual_sub_f32 v22, v22, v65
	v_add_f32_e32 v96, v98, v97
	s_delay_alu instid0(VALU_DEP_2) | instskip(NEXT) | instid1(VALU_DEP_2)
	v_ldexp_f32 v22, v22, 1
	v_sub_f32_e32 v65, v96, v98
	s_delay_alu instid0(VALU_DEP_4) | instskip(NEXT) | instid1(VALU_DEP_1)
	v_fma_f32 v98, 0x3f317218, v64, -v99
	v_dual_sub_f32 v65, v97, v65 :: v_dual_fmamk_f32 v64, v64, 0xb102e308, v98
	s_delay_alu instid0(VALU_DEP_1) | instskip(NEXT) | instid1(VALU_DEP_1)
	v_dual_add_f32 v22, v22, v65 :: v_dual_add_f32 v65, v99, v64
	v_add_f32_e32 v97, v96, v22
	s_delay_alu instid0(VALU_DEP_2) | instskip(NEXT) | instid1(VALU_DEP_2)
	v_sub_f32_e32 v99, v65, v99
	v_add_f32_e32 v98, v65, v97
	v_sub_f32_e32 v96, v97, v96
	s_delay_alu instid0(VALU_DEP_2) | instskip(NEXT) | instid1(VALU_DEP_2)
	v_sub_f32_e32 v100, v98, v65
	v_sub_f32_e32 v22, v22, v96
	s_delay_alu instid0(VALU_DEP_2) | instskip(SKIP_1) | instid1(VALU_DEP_2)
	v_sub_f32_e32 v101, v98, v100
	v_sub_f32_e32 v96, v97, v100
	;; [unrolled: 1-line block ×3, first 2 shown]
	s_delay_alu instid0(VALU_DEP_1) | instskip(SKIP_1) | instid1(VALU_DEP_1)
	v_add_f32_e32 v65, v96, v65
	v_sub_f32_e32 v64, v64, v99
	v_add_f32_e32 v97, v64, v22
	s_delay_alu instid0(VALU_DEP_1) | instskip(NEXT) | instid1(VALU_DEP_1)
	v_add_f32_e32 v65, v97, v65
	v_dual_sub_f32 v96, v97, v64 :: v_dual_add_f32 v99, v98, v65
	s_delay_alu instid0(VALU_DEP_1) | instskip(SKIP_1) | instid1(VALU_DEP_3)
	v_sub_f32_e32 v97, v97, v96
	v_sub_f32_e32 v22, v22, v96
	v_sub_f32_e32 v96, v99, v98
	s_delay_alu instid0(VALU_DEP_3) | instskip(NEXT) | instid1(VALU_DEP_1)
	v_sub_f32_e32 v64, v64, v97
	v_add_f32_e32 v22, v22, v64
	s_delay_alu instid0(VALU_DEP_3) | instskip(NEXT) | instid1(VALU_DEP_1)
	v_sub_f32_e32 v64, v65, v96
	v_add_f32_e32 v22, v22, v64
	s_delay_alu instid0(VALU_DEP_1) | instskip(NEXT) | instid1(VALU_DEP_1)
	v_add_f32_e32 v22, v99, v22
	v_cndmask_b32_e32 v17, v22, v17, vcc_lo
	s_delay_alu instid0(VALU_DEP_1)
	v_add_f32_e32 v22, v13, v17
.LBB481_322:
	s_or_b32 exec_lo, exec_lo, s1
	s_delay_alu instid0(VALU_DEP_1) | instskip(SKIP_1) | instid1(VALU_DEP_2)
	v_bfe_u32 v13, v22, 16, 1
	v_cmp_o_f32_e32 vcc_lo, v22, v22
	v_add3_u32 v13, v22, v13, 0x7fff
	s_delay_alu instid0(VALU_DEP_1) | instskip(NEXT) | instid1(VALU_DEP_1)
	v_lshrrev_b32_e32 v13, 16, v13
	v_cndmask_b32_e32 v17, 0x7fc0, v13, vcc_lo
	s_delay_alu instid0(VALU_DEP_1) | instskip(NEXT) | instid1(VALU_DEP_1)
	v_lshlrev_b32_e32 v13, 16, v17
	v_max_f32_e32 v22, v13, v13
	v_cmp_u_f32_e32 vcc_lo, v13, v13
	s_delay_alu instid0(VALU_DEP_2) | instskip(NEXT) | instid1(VALU_DEP_1)
	v_min_f32_e32 v64, v22, v7
	v_dual_max_f32 v7, v22, v7 :: v_dual_cndmask_b32 v22, v64, v13
	s_delay_alu instid0(VALU_DEP_1) | instskip(NEXT) | instid1(VALU_DEP_2)
	v_cndmask_b32_e32 v64, v7, v13, vcc_lo
	v_cndmask_b32_e64 v7, v22, v2, s3
	s_delay_alu instid0(VALU_DEP_2) | instskip(NEXT) | instid1(VALU_DEP_2)
	v_cndmask_b32_e64 v2, v64, v2, s3
	v_cmp_class_f32_e64 s1, v7, 0x1f8
	s_delay_alu instid0(VALU_DEP_2) | instskip(NEXT) | instid1(VALU_DEP_2)
	v_cmp_neq_f32_e32 vcc_lo, v7, v2
	s_or_b32 s2, vcc_lo, s1
	s_delay_alu instid0(SALU_CYCLE_1)
	s_and_saveexec_b32 s1, s2
	s_cbranch_execz .LBB481_324
; %bb.323:
	v_sub_f32_e32 v7, v7, v2
	s_mov_b32 s2, 0x3e9b6dac
	s_delay_alu instid0(VALU_DEP_1) | instskip(SKIP_1) | instid1(VALU_DEP_2)
	v_mul_f32_e32 v13, 0x3fb8aa3b, v7
	v_cmp_ngt_f32_e32 vcc_lo, 0xc2ce8ed0, v7
	v_fma_f32 v22, 0x3fb8aa3b, v7, -v13
	v_rndne_f32_e32 v64, v13
	s_delay_alu instid0(VALU_DEP_1) | instskip(NEXT) | instid1(VALU_DEP_1)
	v_dual_fmamk_f32 v22, v7, 0x32a5705f, v22 :: v_dual_sub_f32 v13, v13, v64
	v_add_f32_e32 v13, v13, v22
	v_cvt_i32_f32_e32 v22, v64
	s_delay_alu instid0(VALU_DEP_2) | instskip(SKIP_2) | instid1(VALU_DEP_1)
	v_exp_f32_e32 v13, v13
	s_waitcnt_depctr 0xfff
	v_ldexp_f32 v13, v13, v22
	v_cndmask_b32_e32 v13, 0, v13, vcc_lo
	v_cmp_nlt_f32_e32 vcc_lo, 0x42b17218, v7
	s_delay_alu instid0(VALU_DEP_2) | instskip(NEXT) | instid1(VALU_DEP_1)
	v_cndmask_b32_e32 v7, 0x7f800000, v13, vcc_lo
	v_add_f32_e32 v13, 1.0, v7
	s_delay_alu instid0(VALU_DEP_1) | instskip(NEXT) | instid1(VALU_DEP_1)
	v_cvt_f64_f32_e32 v[64:65], v13
	v_frexp_exp_i32_f64_e32 v22, v[64:65]
	v_frexp_mant_f32_e32 v64, v13
	s_delay_alu instid0(VALU_DEP_1) | instskip(SKIP_1) | instid1(VALU_DEP_1)
	v_cmp_gt_f32_e32 vcc_lo, 0x3f2aaaab, v64
	v_add_f32_e32 v64, -1.0, v13
	v_sub_f32_e32 v96, v64, v13
	v_sub_f32_e32 v64, v7, v64
	s_delay_alu instid0(VALU_DEP_2) | instskip(NEXT) | instid1(VALU_DEP_1)
	v_add_f32_e32 v96, 1.0, v96
	v_add_f32_e32 v64, v64, v96
	v_subrev_co_ci_u32_e32 v22, vcc_lo, 0, v22, vcc_lo
	s_delay_alu instid0(VALU_DEP_1) | instskip(SKIP_1) | instid1(VALU_DEP_2)
	v_sub_nc_u32_e32 v65, 0, v22
	v_cvt_f32_i32_e32 v22, v22
	v_ldexp_f32 v13, v13, v65
	v_ldexp_f32 v64, v64, v65
	s_waitcnt lgkmcnt(0)
	s_delay_alu instid0(VALU_DEP_2) | instskip(NEXT) | instid1(VALU_DEP_1)
	v_add_f32_e32 v97, 1.0, v13
	v_add_f32_e32 v96, -1.0, v97
	s_delay_alu instid0(VALU_DEP_1) | instskip(SKIP_1) | instid1(VALU_DEP_2)
	v_sub_f32_e32 v96, v13, v96
	v_cmp_eq_f32_e32 vcc_lo, 0x7f800000, v7
	v_dual_add_f32 v96, v64, v96 :: v_dual_add_f32 v65, -1.0, v13
	s_delay_alu instid0(VALU_DEP_1) | instskip(NEXT) | instid1(VALU_DEP_1)
	v_add_f32_e32 v98, 1.0, v65
	v_sub_f32_e32 v13, v13, v98
	s_delay_alu instid0(VALU_DEP_1) | instskip(NEXT) | instid1(VALU_DEP_1)
	v_dual_add_f32 v98, v97, v96 :: v_dual_add_f32 v13, v64, v13
	v_rcp_f32_e32 v64, v98
	v_sub_f32_e32 v97, v97, v98
	s_delay_alu instid0(VALU_DEP_2) | instskip(NEXT) | instid1(VALU_DEP_1)
	v_add_f32_e32 v99, v65, v13
	v_dual_add_f32 v96, v96, v97 :: v_dual_sub_f32 v65, v65, v99
	s_waitcnt_depctr 0xfff
	v_dual_mul_f32 v100, v99, v64 :: v_dual_add_f32 v13, v13, v65
	s_delay_alu instid0(VALU_DEP_1) | instskip(NEXT) | instid1(VALU_DEP_1)
	v_mul_f32_e32 v101, v98, v100
	v_fma_f32 v97, v100, v98, -v101
	s_delay_alu instid0(VALU_DEP_1) | instskip(NEXT) | instid1(VALU_DEP_1)
	v_fmac_f32_e32 v97, v100, v96
	v_add_f32_e32 v102, v101, v97
	s_delay_alu instid0(VALU_DEP_1) | instskip(NEXT) | instid1(VALU_DEP_1)
	v_sub_f32_e32 v103, v99, v102
	v_sub_f32_e32 v99, v99, v103
	;; [unrolled: 1-line block ×3, first 2 shown]
	s_delay_alu instid0(VALU_DEP_2) | instskip(NEXT) | instid1(VALU_DEP_2)
	v_sub_f32_e32 v99, v99, v102
	v_sub_f32_e32 v65, v65, v97
	s_delay_alu instid0(VALU_DEP_2) | instskip(NEXT) | instid1(VALU_DEP_1)
	v_add_f32_e32 v13, v13, v99
	v_add_f32_e32 v13, v65, v13
	s_delay_alu instid0(VALU_DEP_1) | instskip(NEXT) | instid1(VALU_DEP_1)
	v_add_f32_e32 v65, v103, v13
	v_mul_f32_e32 v97, v64, v65
	s_delay_alu instid0(VALU_DEP_1) | instskip(NEXT) | instid1(VALU_DEP_1)
	v_mul_f32_e32 v99, v98, v97
	v_fma_f32 v98, v97, v98, -v99
	s_delay_alu instid0(VALU_DEP_1) | instskip(SKIP_1) | instid1(VALU_DEP_2)
	v_fmac_f32_e32 v98, v97, v96
	v_sub_f32_e32 v102, v103, v65
	v_add_f32_e32 v96, v99, v98
	s_delay_alu instid0(VALU_DEP_2) | instskip(NEXT) | instid1(VALU_DEP_2)
	v_add_f32_e32 v13, v13, v102
	v_sub_f32_e32 v101, v65, v96
	s_delay_alu instid0(VALU_DEP_1) | instskip(NEXT) | instid1(VALU_DEP_1)
	v_sub_f32_e32 v65, v65, v101
	v_sub_f32_e32 v65, v65, v96
	s_delay_alu instid0(VALU_DEP_1) | instskip(SKIP_2) | instid1(VALU_DEP_1)
	v_add_f32_e32 v13, v13, v65
	v_add_f32_e32 v65, v100, v97
	v_sub_f32_e32 v99, v96, v99
	v_sub_f32_e32 v96, v99, v98
	s_delay_alu instid0(VALU_DEP_1) | instskip(NEXT) | instid1(VALU_DEP_1)
	v_dual_add_f32 v13, v96, v13 :: v_dual_sub_f32 v96, v65, v100
	v_add_f32_e32 v13, v101, v13
	s_delay_alu instid0(VALU_DEP_1) | instskip(NEXT) | instid1(VALU_DEP_1)
	v_dual_sub_f32 v96, v97, v96 :: v_dual_mul_f32 v13, v64, v13
	v_add_f32_e32 v13, v96, v13
	s_delay_alu instid0(VALU_DEP_1) | instskip(NEXT) | instid1(VALU_DEP_1)
	v_add_f32_e32 v64, v65, v13
	v_mul_f32_e32 v96, v64, v64
	s_delay_alu instid0(VALU_DEP_1) | instskip(SKIP_2) | instid1(VALU_DEP_3)
	v_fmaak_f32 v97, s2, v96, 0x3ecc95a3
	v_mul_f32_e32 v98, v64, v96
	v_cmp_gt_f32_e64 s2, 0x33800000, |v7|
	v_fmaak_f32 v96, v96, v97, 0x3f2aaada
	v_ldexp_f32 v97, v64, 1
	v_sub_f32_e32 v64, v64, v65
	s_delay_alu instid0(VALU_DEP_4) | instskip(NEXT) | instid1(VALU_DEP_3)
	s_or_b32 vcc_lo, vcc_lo, s2
	v_mul_f32_e32 v96, v98, v96
	s_delay_alu instid0(VALU_DEP_2) | instskip(NEXT) | instid1(VALU_DEP_2)
	v_dual_mul_f32 v98, 0x3f317218, v22 :: v_dual_sub_f32 v13, v13, v64
	v_add_f32_e32 v65, v97, v96
	s_delay_alu instid0(VALU_DEP_2) | instskip(NEXT) | instid1(VALU_DEP_2)
	v_ldexp_f32 v13, v13, 1
	v_sub_f32_e32 v64, v65, v97
	s_delay_alu instid0(VALU_DEP_4) | instskip(NEXT) | instid1(VALU_DEP_2)
	v_fma_f32 v97, 0x3f317218, v22, -v98
	v_sub_f32_e32 v64, v96, v64
	s_delay_alu instid0(VALU_DEP_1) | instskip(NEXT) | instid1(VALU_DEP_1)
	v_dual_fmamk_f32 v22, v22, 0xb102e308, v97 :: v_dual_add_f32 v13, v13, v64
	v_add_f32_e32 v64, v98, v22
	s_delay_alu instid0(VALU_DEP_2) | instskip(NEXT) | instid1(VALU_DEP_2)
	v_add_f32_e32 v96, v65, v13
	v_sub_f32_e32 v98, v64, v98
	s_delay_alu instid0(VALU_DEP_2) | instskip(NEXT) | instid1(VALU_DEP_2)
	v_add_f32_e32 v97, v64, v96
	v_dual_sub_f32 v65, v96, v65 :: v_dual_sub_f32 v22, v22, v98
	s_delay_alu instid0(VALU_DEP_2) | instskip(NEXT) | instid1(VALU_DEP_2)
	v_sub_f32_e32 v99, v97, v64
	v_sub_f32_e32 v13, v13, v65
	s_delay_alu instid0(VALU_DEP_2) | instskip(NEXT) | instid1(VALU_DEP_2)
	v_sub_f32_e32 v100, v97, v99
	v_dual_sub_f32 v65, v96, v99 :: v_dual_add_f32 v96, v22, v13
	s_delay_alu instid0(VALU_DEP_2) | instskip(NEXT) | instid1(VALU_DEP_1)
	v_sub_f32_e32 v64, v64, v100
	v_dual_add_f32 v64, v65, v64 :: v_dual_sub_f32 v65, v96, v22
	s_delay_alu instid0(VALU_DEP_1) | instskip(NEXT) | instid1(VALU_DEP_2)
	v_add_f32_e32 v64, v96, v64
	v_sub_f32_e32 v96, v96, v65
	v_sub_f32_e32 v13, v13, v65
	s_delay_alu instid0(VALU_DEP_3) | instskip(NEXT) | instid1(VALU_DEP_3)
	v_add_f32_e32 v98, v97, v64
	v_sub_f32_e32 v22, v22, v96
	s_delay_alu instid0(VALU_DEP_2) | instskip(NEXT) | instid1(VALU_DEP_1)
	v_sub_f32_e32 v65, v98, v97
	v_dual_add_f32 v13, v13, v22 :: v_dual_sub_f32 v22, v64, v65
	s_delay_alu instid0(VALU_DEP_1) | instskip(NEXT) | instid1(VALU_DEP_1)
	v_add_f32_e32 v13, v13, v22
	v_add_f32_e32 v13, v98, v13
	s_delay_alu instid0(VALU_DEP_1) | instskip(NEXT) | instid1(VALU_DEP_1)
	v_cndmask_b32_e32 v7, v13, v7, vcc_lo
	v_add_f32_e32 v13, v2, v7
.LBB481_324:
	s_or_b32 exec_lo, exec_lo, s1
	s_delay_alu instid0(VALU_DEP_1) | instskip(SKIP_1) | instid1(VALU_DEP_2)
	v_bfe_u32 v2, v13, 16, 1
	v_cmp_o_f32_e32 vcc_lo, v13, v13
	v_add3_u32 v2, v13, v2, 0x7fff
	s_delay_alu instid0(VALU_DEP_1) | instskip(NEXT) | instid1(VALU_DEP_1)
	v_lshrrev_b32_e32 v2, 16, v2
	v_cndmask_b32_e32 v22, 0x7fc0, v2, vcc_lo
	s_delay_alu instid0(VALU_DEP_1) | instskip(NEXT) | instid1(VALU_DEP_1)
	v_lshlrev_b32_e32 v7, 16, v22
	v_max_f32_e32 v2, v7, v7
	s_delay_alu instid0(VALU_DEP_1) | instskip(SKIP_2) | instid1(VALU_DEP_3)
	v_min_f32_e32 v13, v2, v23
	v_max_f32_e32 v2, v2, v23
	v_cmp_u_f32_e32 vcc_lo, v7, v7
	v_cndmask_b32_e32 v13, v13, v7, vcc_lo
	s_delay_alu instid0(VALU_DEP_3) | instskip(NEXT) | instid1(VALU_DEP_2)
	v_cndmask_b32_e32 v2, v2, v7, vcc_lo
	v_cndmask_b32_e64 v13, v13, v3, s4
	s_delay_alu instid0(VALU_DEP_2) | instskip(NEXT) | instid1(VALU_DEP_2)
	v_cndmask_b32_e64 v2, v2, v3, s4
	v_cmp_class_f32_e64 s1, v13, 0x1f8
	s_delay_alu instid0(VALU_DEP_2) | instskip(NEXT) | instid1(VALU_DEP_2)
	v_cmp_neq_f32_e32 vcc_lo, v13, v2
	s_or_b32 s2, vcc_lo, s1
	s_delay_alu instid0(SALU_CYCLE_1)
	s_and_saveexec_b32 s1, s2
	s_cbranch_execz .LBB481_326
; %bb.325:
	v_sub_f32_e32 v3, v13, v2
	s_mov_b32 s2, 0x3e9b6dac
	s_delay_alu instid0(VALU_DEP_1) | instskip(SKIP_1) | instid1(VALU_DEP_2)
	v_mul_f32_e32 v7, 0x3fb8aa3b, v3
	v_cmp_ngt_f32_e32 vcc_lo, 0xc2ce8ed0, v3
	v_fma_f32 v13, 0x3fb8aa3b, v3, -v7
	v_rndne_f32_e32 v23, v7
	s_delay_alu instid0(VALU_DEP_2) | instskip(NEXT) | instid1(VALU_DEP_2)
	v_fmamk_f32 v13, v3, 0x32a5705f, v13
	v_sub_f32_e32 v7, v7, v23
	s_delay_alu instid0(VALU_DEP_1) | instskip(SKIP_1) | instid1(VALU_DEP_2)
	v_add_f32_e32 v7, v7, v13
	v_cvt_i32_f32_e32 v13, v23
	v_exp_f32_e32 v7, v7
	s_waitcnt_depctr 0xfff
	v_ldexp_f32 v7, v7, v13
	s_delay_alu instid0(VALU_DEP_1) | instskip(SKIP_1) | instid1(VALU_DEP_2)
	v_cndmask_b32_e32 v7, 0, v7, vcc_lo
	v_cmp_nlt_f32_e32 vcc_lo, 0x42b17218, v3
	v_cndmask_b32_e32 v3, 0x7f800000, v7, vcc_lo
	s_delay_alu instid0(VALU_DEP_1) | instskip(NEXT) | instid1(VALU_DEP_1)
	v_add_f32_e32 v7, 1.0, v3
	v_cvt_f64_f32_e32 v[64:65], v7
	v_frexp_mant_f32_e32 v23, v7
	s_delay_alu instid0(VALU_DEP_1) | instskip(SKIP_1) | instid1(VALU_DEP_4)
	v_cmp_gt_f32_e32 vcc_lo, 0x3f2aaaab, v23
	v_add_f32_e32 v23, -1.0, v7
	v_frexp_exp_i32_f64_e32 v13, v[64:65]
	s_delay_alu instid0(VALU_DEP_2) | instskip(SKIP_1) | instid1(VALU_DEP_2)
	v_sub_f32_e32 v65, v23, v7
	v_sub_f32_e32 v23, v3, v23
	v_add_f32_e32 v65, 1.0, v65
	s_delay_alu instid0(VALU_DEP_1) | instskip(SKIP_1) | instid1(VALU_DEP_1)
	v_add_f32_e32 v23, v23, v65
	v_subrev_co_ci_u32_e32 v13, vcc_lo, 0, v13, vcc_lo
	v_sub_nc_u32_e32 v64, 0, v13
	v_cvt_f32_i32_e32 v13, v13
	s_delay_alu instid0(VALU_DEP_2) | instskip(SKIP_1) | instid1(VALU_DEP_2)
	v_ldexp_f32 v7, v7, v64
	v_ldexp_f32 v23, v23, v64
	v_add_f32_e32 v96, 1.0, v7
	s_delay_alu instid0(VALU_DEP_1) | instskip(SKIP_1) | instid1(VALU_DEP_1)
	v_dual_add_f32 v64, -1.0, v7 :: v_dual_add_f32 v65, -1.0, v96
	s_waitcnt lgkmcnt(0)
	v_add_f32_e32 v97, 1.0, v64
	s_delay_alu instid0(VALU_DEP_2) | instskip(NEXT) | instid1(VALU_DEP_2)
	v_sub_f32_e32 v65, v7, v65
	v_sub_f32_e32 v7, v7, v97
	s_delay_alu instid0(VALU_DEP_2) | instskip(NEXT) | instid1(VALU_DEP_2)
	v_add_f32_e32 v65, v23, v65
	v_add_f32_e32 v7, v23, v7
	s_delay_alu instid0(VALU_DEP_2) | instskip(NEXT) | instid1(VALU_DEP_2)
	v_add_f32_e32 v97, v96, v65
	v_add_f32_e32 v98, v64, v7
	s_delay_alu instid0(VALU_DEP_2) | instskip(SKIP_1) | instid1(VALU_DEP_2)
	v_rcp_f32_e32 v23, v97
	v_sub_f32_e32 v96, v96, v97
	v_sub_f32_e32 v64, v64, v98
	v_cmp_eq_f32_e32 vcc_lo, 0x7f800000, v3
	s_delay_alu instid0(VALU_DEP_3) | instskip(NEXT) | instid1(VALU_DEP_3)
	v_add_f32_e32 v65, v65, v96
	v_add_f32_e32 v7, v7, v64
	s_waitcnt_depctr 0xfff
	v_mul_f32_e32 v99, v98, v23
	s_delay_alu instid0(VALU_DEP_1) | instskip(NEXT) | instid1(VALU_DEP_1)
	v_mul_f32_e32 v100, v97, v99
	v_fma_f32 v96, v99, v97, -v100
	s_delay_alu instid0(VALU_DEP_1) | instskip(NEXT) | instid1(VALU_DEP_1)
	v_fmac_f32_e32 v96, v99, v65
	v_add_f32_e32 v101, v100, v96
	s_delay_alu instid0(VALU_DEP_1) | instskip(SKIP_1) | instid1(VALU_DEP_2)
	v_sub_f32_e32 v102, v98, v101
	v_sub_f32_e32 v64, v101, v100
	;; [unrolled: 1-line block ×3, first 2 shown]
	s_delay_alu instid0(VALU_DEP_2) | instskip(NEXT) | instid1(VALU_DEP_2)
	v_sub_f32_e32 v64, v64, v96
	v_sub_f32_e32 v98, v98, v101
	s_delay_alu instid0(VALU_DEP_1) | instskip(NEXT) | instid1(VALU_DEP_1)
	v_add_f32_e32 v7, v7, v98
	v_add_f32_e32 v7, v64, v7
	s_delay_alu instid0(VALU_DEP_1) | instskip(NEXT) | instid1(VALU_DEP_1)
	v_add_f32_e32 v64, v102, v7
	v_mul_f32_e32 v96, v23, v64
	v_sub_f32_e32 v101, v102, v64
	s_delay_alu instid0(VALU_DEP_1) | instskip(NEXT) | instid1(VALU_DEP_1)
	v_dual_mul_f32 v98, v97, v96 :: v_dual_add_f32 v7, v7, v101
	v_fma_f32 v97, v96, v97, -v98
	s_delay_alu instid0(VALU_DEP_1) | instskip(NEXT) | instid1(VALU_DEP_1)
	v_fmac_f32_e32 v97, v96, v65
	v_add_f32_e32 v65, v98, v97
	s_delay_alu instid0(VALU_DEP_1) | instskip(SKIP_1) | instid1(VALU_DEP_2)
	v_sub_f32_e32 v100, v64, v65
	v_sub_f32_e32 v98, v65, v98
	;; [unrolled: 1-line block ×3, first 2 shown]
	s_delay_alu instid0(VALU_DEP_1) | instskip(NEXT) | instid1(VALU_DEP_3)
	v_sub_f32_e32 v64, v64, v65
	v_sub_f32_e32 v65, v98, v97
	s_delay_alu instid0(VALU_DEP_2) | instskip(NEXT) | instid1(VALU_DEP_1)
	v_add_f32_e32 v7, v7, v64
	v_dual_add_f32 v64, v99, v96 :: v_dual_add_f32 v7, v65, v7
	s_delay_alu instid0(VALU_DEP_1) | instskip(NEXT) | instid1(VALU_DEP_2)
	v_sub_f32_e32 v65, v64, v99
	v_add_f32_e32 v7, v100, v7
	s_delay_alu instid0(VALU_DEP_2) | instskip(NEXT) | instid1(VALU_DEP_2)
	v_sub_f32_e32 v65, v96, v65
	v_mul_f32_e32 v7, v23, v7
	s_delay_alu instid0(VALU_DEP_1) | instskip(NEXT) | instid1(VALU_DEP_1)
	v_add_f32_e32 v7, v65, v7
	v_add_f32_e32 v23, v64, v7
	s_delay_alu instid0(VALU_DEP_1) | instskip(NEXT) | instid1(VALU_DEP_1)
	v_mul_f32_e32 v65, v23, v23
	v_fmaak_f32 v96, s2, v65, 0x3ecc95a3
	v_mul_f32_e32 v97, v23, v65
	v_cmp_gt_f32_e64 s2, 0x33800000, |v3|
	s_delay_alu instid0(VALU_DEP_3) | instskip(SKIP_2) | instid1(VALU_DEP_4)
	v_fmaak_f32 v65, v65, v96, 0x3f2aaada
	v_ldexp_f32 v96, v23, 1
	v_sub_f32_e32 v23, v23, v64
	s_or_b32 vcc_lo, vcc_lo, s2
	s_delay_alu instid0(VALU_DEP_3) | instskip(SKIP_1) | instid1(VALU_DEP_2)
	v_mul_f32_e32 v65, v97, v65
	v_mul_f32_e32 v97, 0x3f317218, v13
	v_dual_sub_f32 v7, v7, v23 :: v_dual_add_f32 v64, v96, v65
	s_delay_alu instid0(VALU_DEP_1) | instskip(NEXT) | instid1(VALU_DEP_2)
	v_ldexp_f32 v7, v7, 1
	v_sub_f32_e32 v23, v64, v96
	s_delay_alu instid0(VALU_DEP_4) | instskip(NEXT) | instid1(VALU_DEP_2)
	v_fma_f32 v96, 0x3f317218, v13, -v97
	v_sub_f32_e32 v23, v65, v23
	s_delay_alu instid0(VALU_DEP_2) | instskip(NEXT) | instid1(VALU_DEP_2)
	v_fmamk_f32 v13, v13, 0xb102e308, v96
	v_add_f32_e32 v7, v7, v23
	s_delay_alu instid0(VALU_DEP_2) | instskip(NEXT) | instid1(VALU_DEP_2)
	v_add_f32_e32 v23, v97, v13
	v_add_f32_e32 v65, v64, v7
	s_delay_alu instid0(VALU_DEP_2) | instskip(NEXT) | instid1(VALU_DEP_2)
	v_sub_f32_e32 v97, v23, v97
	v_add_f32_e32 v96, v23, v65
	v_sub_f32_e32 v64, v65, v64
	s_delay_alu instid0(VALU_DEP_2) | instskip(NEXT) | instid1(VALU_DEP_2)
	v_dual_sub_f32 v13, v13, v97 :: v_dual_sub_f32 v98, v96, v23
	v_sub_f32_e32 v7, v7, v64
	s_delay_alu instid0(VALU_DEP_2) | instskip(SKIP_1) | instid1(VALU_DEP_3)
	v_sub_f32_e32 v99, v96, v98
	v_sub_f32_e32 v64, v65, v98
	v_add_f32_e32 v65, v13, v7
	s_delay_alu instid0(VALU_DEP_3) | instskip(NEXT) | instid1(VALU_DEP_1)
	v_sub_f32_e32 v23, v23, v99
	v_dual_add_f32 v23, v64, v23 :: v_dual_sub_f32 v64, v65, v13
	s_delay_alu instid0(VALU_DEP_1) | instskip(NEXT) | instid1(VALU_DEP_2)
	v_add_f32_e32 v23, v65, v23
	v_sub_f32_e32 v65, v65, v64
	v_sub_f32_e32 v7, v7, v64
	s_delay_alu instid0(VALU_DEP_3) | instskip(NEXT) | instid1(VALU_DEP_3)
	v_add_f32_e32 v97, v96, v23
	v_sub_f32_e32 v13, v13, v65
	s_delay_alu instid0(VALU_DEP_1) | instskip(NEXT) | instid1(VALU_DEP_1)
	v_dual_sub_f32 v64, v97, v96 :: v_dual_add_f32 v7, v7, v13
	v_sub_f32_e32 v13, v23, v64
	s_delay_alu instid0(VALU_DEP_1) | instskip(NEXT) | instid1(VALU_DEP_1)
	v_add_f32_e32 v7, v7, v13
	v_add_f32_e32 v7, v97, v7
	s_delay_alu instid0(VALU_DEP_1) | instskip(NEXT) | instid1(VALU_DEP_1)
	v_cndmask_b32_e32 v3, v7, v3, vcc_lo
	v_add_f32_e32 v7, v2, v3
.LBB481_326:
	s_or_b32 exec_lo, exec_lo, s1
	s_delay_alu instid0(VALU_DEP_1) | instskip(SKIP_1) | instid1(VALU_DEP_2)
	v_bfe_u32 v2, v7, 16, 1
	v_cmp_o_f32_e32 vcc_lo, v7, v7
	v_add3_u32 v2, v7, v2, 0x7fff
	s_delay_alu instid0(VALU_DEP_1) | instskip(NEXT) | instid1(VALU_DEP_1)
	v_lshrrev_b32_e32 v2, 16, v2
	v_cndmask_b32_e32 v23, 0x7fc0, v2, vcc_lo
	s_delay_alu instid0(VALU_DEP_1) | instskip(NEXT) | instid1(VALU_DEP_1)
	v_lshlrev_b32_e32 v3, 16, v23
	v_max_f32_e32 v2, v3, v3
	s_delay_alu instid0(VALU_DEP_1) | instskip(SKIP_2) | instid1(VALU_DEP_3)
	v_min_f32_e32 v7, v2, v53
	v_max_f32_e32 v2, v2, v53
	v_cmp_u_f32_e32 vcc_lo, v3, v3
	v_cndmask_b32_e32 v7, v7, v3, vcc_lo
	s_delay_alu instid0(VALU_DEP_3) | instskip(NEXT) | instid1(VALU_DEP_2)
	v_cndmask_b32_e32 v2, v2, v3, vcc_lo
	v_cndmask_b32_e64 v7, v7, v6, s5
	s_delay_alu instid0(VALU_DEP_2) | instskip(NEXT) | instid1(VALU_DEP_2)
	v_cndmask_b32_e64 v2, v2, v6, s5
	v_cmp_class_f32_e64 s1, v7, 0x1f8
	s_delay_alu instid0(VALU_DEP_2) | instskip(NEXT) | instid1(VALU_DEP_2)
	v_cmp_neq_f32_e32 vcc_lo, v7, v2
	s_or_b32 s2, vcc_lo, s1
	s_delay_alu instid0(SALU_CYCLE_1)
	s_and_saveexec_b32 s1, s2
	s_cbranch_execz .LBB481_328
; %bb.327:
	v_sub_f32_e32 v3, v7, v2
	s_mov_b32 s2, 0x3e9b6dac
	s_delay_alu instid0(VALU_DEP_1) | instskip(NEXT) | instid1(VALU_DEP_1)
	v_mul_f32_e32 v6, 0x3fb8aa3b, v3
	v_fma_f32 v7, 0x3fb8aa3b, v3, -v6
	v_rndne_f32_e32 v13, v6
	s_delay_alu instid0(VALU_DEP_1) | instskip(SKIP_1) | instid1(VALU_DEP_4)
	v_sub_f32_e32 v6, v6, v13
	v_cmp_ngt_f32_e32 vcc_lo, 0xc2ce8ed0, v3
	v_fmamk_f32 v7, v3, 0x32a5705f, v7
	s_delay_alu instid0(VALU_DEP_1) | instskip(SKIP_1) | instid1(VALU_DEP_2)
	v_add_f32_e32 v6, v6, v7
	v_cvt_i32_f32_e32 v7, v13
	v_exp_f32_e32 v6, v6
	s_waitcnt_depctr 0xfff
	v_ldexp_f32 v6, v6, v7
	s_delay_alu instid0(VALU_DEP_1) | instskip(SKIP_1) | instid1(VALU_DEP_2)
	v_cndmask_b32_e32 v6, 0, v6, vcc_lo
	v_cmp_nlt_f32_e32 vcc_lo, 0x42b17218, v3
	v_cndmask_b32_e32 v3, 0x7f800000, v6, vcc_lo
	s_delay_alu instid0(VALU_DEP_1) | instskip(NEXT) | instid1(VALU_DEP_1)
	v_add_f32_e32 v13, 1.0, v3
	v_cvt_f64_f32_e32 v[6:7], v13
	s_delay_alu instid0(VALU_DEP_1) | instskip(SKIP_1) | instid1(VALU_DEP_1)
	v_frexp_exp_i32_f64_e32 v6, v[6:7]
	v_frexp_mant_f32_e32 v7, v13
	v_cmp_gt_f32_e32 vcc_lo, 0x3f2aaaab, v7
	v_add_f32_e32 v7, -1.0, v13
	s_delay_alu instid0(VALU_DEP_1) | instskip(NEXT) | instid1(VALU_DEP_1)
	v_sub_f32_e32 v64, v7, v13
	v_add_f32_e32 v64, 1.0, v64
	v_subrev_co_ci_u32_e32 v6, vcc_lo, 0, v6, vcc_lo
	v_cmp_eq_f32_e32 vcc_lo, 0x7f800000, v3
	s_delay_alu instid0(VALU_DEP_2) | instskip(SKIP_1) | instid1(VALU_DEP_2)
	v_sub_nc_u32_e32 v53, 0, v6
	v_cvt_f32_i32_e32 v6, v6
	v_ldexp_f32 v13, v13, v53
	s_delay_alu instid0(VALU_DEP_1) | instskip(SKIP_1) | instid1(VALU_DEP_1)
	v_add_f32_e32 v65, 1.0, v13
	v_sub_f32_e32 v7, v3, v7
	v_dual_add_f32 v7, v7, v64 :: v_dual_add_f32 v64, -1.0, v65
	s_delay_alu instid0(VALU_DEP_1) | instskip(NEXT) | instid1(VALU_DEP_2)
	v_ldexp_f32 v7, v7, v53
	v_dual_add_f32 v53, -1.0, v13 :: v_dual_sub_f32 v64, v13, v64
	s_delay_alu instid0(VALU_DEP_1) | instskip(NEXT) | instid1(VALU_DEP_2)
	v_add_f32_e32 v96, 1.0, v53
	v_add_f32_e32 v64, v7, v64
	s_delay_alu instid0(VALU_DEP_2) | instskip(NEXT) | instid1(VALU_DEP_1)
	v_sub_f32_e32 v13, v13, v96
	v_add_f32_e32 v7, v7, v13
	s_waitcnt lgkmcnt(0)
	s_delay_alu instid0(VALU_DEP_1) | instskip(NEXT) | instid1(VALU_DEP_1)
	v_add_f32_e32 v97, v53, v7
	v_sub_f32_e32 v53, v53, v97
	s_delay_alu instid0(VALU_DEP_1) | instskip(NEXT) | instid1(VALU_DEP_1)
	v_dual_add_f32 v96, v65, v64 :: v_dual_add_f32 v7, v7, v53
	v_rcp_f32_e32 v13, v96
	v_sub_f32_e32 v65, v65, v96
	s_delay_alu instid0(VALU_DEP_1) | instskip(SKIP_2) | instid1(VALU_DEP_1)
	v_add_f32_e32 v64, v64, v65
	s_waitcnt_depctr 0xfff
	v_mul_f32_e32 v98, v97, v13
	v_mul_f32_e32 v99, v96, v98
	s_delay_alu instid0(VALU_DEP_1) | instskip(NEXT) | instid1(VALU_DEP_1)
	v_fma_f32 v65, v98, v96, -v99
	v_fmac_f32_e32 v65, v98, v64
	s_delay_alu instid0(VALU_DEP_1) | instskip(NEXT) | instid1(VALU_DEP_1)
	v_add_f32_e32 v100, v99, v65
	v_sub_f32_e32 v101, v97, v100
	v_sub_f32_e32 v53, v100, v99
	s_delay_alu instid0(VALU_DEP_2) | instskip(NEXT) | instid1(VALU_DEP_2)
	v_sub_f32_e32 v97, v97, v101
	v_sub_f32_e32 v53, v53, v65
	s_delay_alu instid0(VALU_DEP_2) | instskip(NEXT) | instid1(VALU_DEP_1)
	v_sub_f32_e32 v97, v97, v100
	v_add_f32_e32 v7, v7, v97
	s_delay_alu instid0(VALU_DEP_1) | instskip(NEXT) | instid1(VALU_DEP_1)
	v_add_f32_e32 v7, v53, v7
	v_add_f32_e32 v53, v101, v7
	s_delay_alu instid0(VALU_DEP_1) | instskip(SKIP_1) | instid1(VALU_DEP_2)
	v_mul_f32_e32 v65, v13, v53
	v_sub_f32_e32 v100, v101, v53
	v_mul_f32_e32 v97, v96, v65
	s_delay_alu instid0(VALU_DEP_2) | instskip(NEXT) | instid1(VALU_DEP_2)
	v_add_f32_e32 v7, v7, v100
	v_fma_f32 v96, v65, v96, -v97
	s_delay_alu instid0(VALU_DEP_1) | instskip(NEXT) | instid1(VALU_DEP_1)
	v_fmac_f32_e32 v96, v65, v64
	v_add_f32_e32 v64, v97, v96
	s_delay_alu instid0(VALU_DEP_1) | instskip(SKIP_1) | instid1(VALU_DEP_2)
	v_sub_f32_e32 v99, v53, v64
	v_sub_f32_e32 v97, v64, v97
	;; [unrolled: 1-line block ×3, first 2 shown]
	s_delay_alu instid0(VALU_DEP_1) | instskip(NEXT) | instid1(VALU_DEP_1)
	v_sub_f32_e32 v53, v53, v64
	v_dual_sub_f32 v64, v97, v96 :: v_dual_add_f32 v7, v7, v53
	v_add_f32_e32 v53, v98, v65
	s_delay_alu instid0(VALU_DEP_1) | instskip(NEXT) | instid1(VALU_DEP_1)
	v_dual_add_f32 v7, v64, v7 :: v_dual_sub_f32 v64, v53, v98
	v_dual_add_f32 v7, v99, v7 :: v_dual_sub_f32 v64, v65, v64
	s_delay_alu instid0(VALU_DEP_1) | instskip(NEXT) | instid1(VALU_DEP_1)
	v_mul_f32_e32 v7, v13, v7
	v_add_f32_e32 v7, v64, v7
	s_delay_alu instid0(VALU_DEP_1) | instskip(NEXT) | instid1(VALU_DEP_1)
	v_add_f32_e32 v13, v53, v7
	v_mul_f32_e32 v64, v13, v13
	s_delay_alu instid0(VALU_DEP_1) | instskip(SKIP_2) | instid1(VALU_DEP_3)
	v_fmaak_f32 v65, s2, v64, 0x3ecc95a3
	v_mul_f32_e32 v96, v13, v64
	v_cmp_gt_f32_e64 s2, 0x33800000, |v3|
	v_fmaak_f32 v64, v64, v65, 0x3f2aaada
	v_ldexp_f32 v65, v13, 1
	v_sub_f32_e32 v13, v13, v53
	s_delay_alu instid0(VALU_DEP_4) | instskip(NEXT) | instid1(VALU_DEP_3)
	s_or_b32 vcc_lo, vcc_lo, s2
	v_mul_f32_e32 v64, v96, v64
	s_delay_alu instid0(VALU_DEP_2) | instskip(NEXT) | instid1(VALU_DEP_2)
	v_dual_mul_f32 v96, 0x3f317218, v6 :: v_dual_sub_f32 v7, v7, v13
	v_add_f32_e32 v53, v65, v64
	s_delay_alu instid0(VALU_DEP_2) | instskip(NEXT) | instid1(VALU_DEP_2)
	v_ldexp_f32 v7, v7, 1
	v_sub_f32_e32 v13, v53, v65
	s_delay_alu instid0(VALU_DEP_4) | instskip(NEXT) | instid1(VALU_DEP_1)
	v_fma_f32 v65, 0x3f317218, v6, -v96
	v_dual_sub_f32 v13, v64, v13 :: v_dual_fmamk_f32 v6, v6, 0xb102e308, v65
	s_delay_alu instid0(VALU_DEP_1) | instskip(NEXT) | instid1(VALU_DEP_1)
	v_add_f32_e32 v7, v7, v13
	v_dual_add_f32 v13, v96, v6 :: v_dual_add_f32 v64, v53, v7
	s_delay_alu instid0(VALU_DEP_1) | instskip(NEXT) | instid1(VALU_DEP_2)
	v_sub_f32_e32 v96, v13, v96
	v_add_f32_e32 v65, v13, v64
	s_delay_alu instid0(VALU_DEP_2) | instskip(NEXT) | instid1(VALU_DEP_2)
	v_dual_sub_f32 v53, v64, v53 :: v_dual_sub_f32 v6, v6, v96
	v_sub_f32_e32 v97, v65, v13
	s_delay_alu instid0(VALU_DEP_2) | instskip(NEXT) | instid1(VALU_DEP_2)
	v_sub_f32_e32 v7, v7, v53
	v_sub_f32_e32 v98, v65, v97
	s_delay_alu instid0(VALU_DEP_2) | instskip(NEXT) | instid1(VALU_DEP_2)
	v_dual_sub_f32 v53, v64, v97 :: v_dual_add_f32 v64, v6, v7
	v_sub_f32_e32 v13, v13, v98
	s_delay_alu instid0(VALU_DEP_1) | instskip(NEXT) | instid1(VALU_DEP_3)
	v_add_f32_e32 v13, v53, v13
	v_sub_f32_e32 v53, v64, v6
	s_delay_alu instid0(VALU_DEP_2) | instskip(NEXT) | instid1(VALU_DEP_2)
	v_add_f32_e32 v13, v64, v13
	v_sub_f32_e32 v64, v64, v53
	v_sub_f32_e32 v7, v7, v53
	s_delay_alu instid0(VALU_DEP_3) | instskip(NEXT) | instid1(VALU_DEP_1)
	v_add_f32_e32 v96, v65, v13
	v_dual_sub_f32 v6, v6, v64 :: v_dual_sub_f32 v53, v96, v65
	s_delay_alu instid0(VALU_DEP_1) | instskip(NEXT) | instid1(VALU_DEP_1)
	v_dual_add_f32 v6, v7, v6 :: v_dual_sub_f32 v7, v13, v53
	v_add_f32_e32 v6, v6, v7
	s_delay_alu instid0(VALU_DEP_1) | instskip(NEXT) | instid1(VALU_DEP_1)
	v_add_f32_e32 v6, v96, v6
	v_cndmask_b32_e32 v3, v6, v3, vcc_lo
	s_delay_alu instid0(VALU_DEP_1)
	v_add_f32_e32 v3, v2, v3
.LBB481_328:
	s_or_b32 exec_lo, exec_lo, s1
	s_delay_alu instid0(VALU_DEP_1) | instskip(SKIP_1) | instid1(VALU_DEP_2)
	v_bfe_u32 v2, v3, 16, 1
	v_cmp_o_f32_e32 vcc_lo, v3, v3
	v_add3_u32 v2, v3, v2, 0x7fff
	s_delay_alu instid0(VALU_DEP_1) | instskip(NEXT) | instid1(VALU_DEP_1)
	v_lshrrev_b32_e32 v2, 16, v2
	v_cndmask_b32_e32 v64, 0x7fc0, v2, vcc_lo
	s_delay_alu instid0(VALU_DEP_1) | instskip(NEXT) | instid1(VALU_DEP_1)
	v_lshlrev_b32_e32 v3, 16, v64
	v_max_f32_e32 v2, v3, v3
	v_cmp_u_f32_e32 vcc_lo, v3, v3
	s_delay_alu instid0(VALU_DEP_2) | instskip(SKIP_1) | instid1(VALU_DEP_2)
	v_min_f32_e32 v6, v2, v52
	v_max_f32_e32 v2, v2, v52
	v_cndmask_b32_e32 v6, v6, v3, vcc_lo
	s_delay_alu instid0(VALU_DEP_2) | instskip(NEXT) | instid1(VALU_DEP_2)
	v_cndmask_b32_e32 v2, v2, v3, vcc_lo
	v_cndmask_b32_e64 v6, v6, v12, s6
	s_delay_alu instid0(VALU_DEP_2) | instskip(NEXT) | instid1(VALU_DEP_2)
	v_cndmask_b32_e64 v2, v2, v12, s6
	v_cmp_class_f32_e64 s1, v6, 0x1f8
	s_delay_alu instid0(VALU_DEP_2) | instskip(NEXT) | instid1(VALU_DEP_2)
	v_cmp_neq_f32_e32 vcc_lo, v6, v2
	s_or_b32 s2, vcc_lo, s1
	s_delay_alu instid0(SALU_CYCLE_1)
	s_and_saveexec_b32 s1, s2
	s_cbranch_execz .LBB481_330
; %bb.329:
	v_sub_f32_e32 v3, v6, v2
	s_mov_b32 s2, 0x3e9b6dac
	s_delay_alu instid0(VALU_DEP_1) | instskip(SKIP_1) | instid1(VALU_DEP_2)
	v_mul_f32_e32 v6, 0x3fb8aa3b, v3
	v_cmp_ngt_f32_e32 vcc_lo, 0xc2ce8ed0, v3
	v_fma_f32 v7, 0x3fb8aa3b, v3, -v6
	v_rndne_f32_e32 v12, v6
	s_delay_alu instid0(VALU_DEP_1) | instskip(NEXT) | instid1(VALU_DEP_1)
	v_dual_fmamk_f32 v7, v3, 0x32a5705f, v7 :: v_dual_sub_f32 v6, v6, v12
	v_add_f32_e32 v6, v6, v7
	v_cvt_i32_f32_e32 v7, v12
	s_delay_alu instid0(VALU_DEP_2) | instskip(SKIP_2) | instid1(VALU_DEP_1)
	v_exp_f32_e32 v6, v6
	s_waitcnt_depctr 0xfff
	v_ldexp_f32 v6, v6, v7
	v_cndmask_b32_e32 v6, 0, v6, vcc_lo
	v_cmp_nlt_f32_e32 vcc_lo, 0x42b17218, v3
	s_delay_alu instid0(VALU_DEP_2) | instskip(NEXT) | instid1(VALU_DEP_1)
	v_cndmask_b32_e32 v3, 0x7f800000, v6, vcc_lo
	v_add_f32_e32 v12, 1.0, v3
	s_delay_alu instid0(VALU_DEP_1) | instskip(NEXT) | instid1(VALU_DEP_1)
	v_cvt_f64_f32_e32 v[6:7], v12
	v_frexp_exp_i32_f64_e32 v6, v[6:7]
	v_frexp_mant_f32_e32 v7, v12
	s_delay_alu instid0(VALU_DEP_1) | instskip(SKIP_1) | instid1(VALU_DEP_1)
	v_cmp_gt_f32_e32 vcc_lo, 0x3f2aaaab, v7
	v_add_f32_e32 v7, -1.0, v12
	v_sub_f32_e32 v52, v7, v12
	s_delay_alu instid0(VALU_DEP_1) | instskip(NEXT) | instid1(VALU_DEP_1)
	v_dual_add_f32 v52, 1.0, v52 :: v_dual_sub_f32 v7, v3, v7
	v_add_f32_e32 v7, v7, v52
	v_subrev_co_ci_u32_e32 v6, vcc_lo, 0, v6, vcc_lo
	v_cmp_eq_f32_e32 vcc_lo, 0x7f800000, v3
	s_delay_alu instid0(VALU_DEP_2) | instskip(SKIP_1) | instid1(VALU_DEP_2)
	v_sub_nc_u32_e32 v13, 0, v6
	v_cvt_f32_i32_e32 v6, v6
	v_ldexp_f32 v12, v12, v13
	v_ldexp_f32 v7, v7, v13
	s_delay_alu instid0(VALU_DEP_2) | instskip(NEXT) | instid1(VALU_DEP_1)
	v_add_f32_e32 v53, 1.0, v12
	v_dual_add_f32 v13, -1.0, v12 :: v_dual_add_f32 v52, -1.0, v53
	s_delay_alu instid0(VALU_DEP_1) | instskip(NEXT) | instid1(VALU_DEP_1)
	v_dual_add_f32 v65, 1.0, v13 :: v_dual_sub_f32 v52, v12, v52
	v_add_f32_e32 v52, v7, v52
	s_delay_alu instid0(VALU_DEP_1) | instskip(NEXT) | instid1(VALU_DEP_1)
	v_dual_sub_f32 v12, v12, v65 :: v_dual_add_f32 v65, v53, v52
	v_add_f32_e32 v7, v7, v12
	s_delay_alu instid0(VALU_DEP_2) | instskip(NEXT) | instid1(VALU_DEP_1)
	v_rcp_f32_e32 v12, v65
	v_add_f32_e32 v96, v13, v7
	v_sub_f32_e32 v53, v53, v65
	s_delay_alu instid0(VALU_DEP_1) | instskip(SKIP_3) | instid1(VALU_DEP_1)
	v_add_f32_e32 v52, v52, v53
	s_waitcnt lgkmcnt(0)
	s_waitcnt_depctr 0xfff
	v_mul_f32_e32 v97, v96, v12
	v_mul_f32_e32 v98, v65, v97
	s_delay_alu instid0(VALU_DEP_1) | instskip(NEXT) | instid1(VALU_DEP_1)
	v_fma_f32 v53, v97, v65, -v98
	v_fmac_f32_e32 v53, v97, v52
	s_delay_alu instid0(VALU_DEP_1) | instskip(NEXT) | instid1(VALU_DEP_1)
	v_add_f32_e32 v99, v98, v53
	v_dual_sub_f32 v13, v13, v96 :: v_dual_sub_f32 v100, v96, v99
	s_delay_alu instid0(VALU_DEP_1) | instskip(NEXT) | instid1(VALU_DEP_1)
	v_dual_add_f32 v7, v7, v13 :: v_dual_sub_f32 v96, v96, v100
	v_dual_sub_f32 v13, v99, v98 :: v_dual_sub_f32 v96, v96, v99
	s_delay_alu instid0(VALU_DEP_1) | instskip(NEXT) | instid1(VALU_DEP_2)
	v_sub_f32_e32 v13, v13, v53
	v_add_f32_e32 v7, v7, v96
	s_delay_alu instid0(VALU_DEP_1) | instskip(NEXT) | instid1(VALU_DEP_1)
	v_add_f32_e32 v7, v13, v7
	v_add_f32_e32 v13, v100, v7
	s_delay_alu instid0(VALU_DEP_1) | instskip(SKIP_1) | instid1(VALU_DEP_2)
	v_mul_f32_e32 v53, v12, v13
	v_sub_f32_e32 v99, v100, v13
	v_mul_f32_e32 v96, v65, v53
	s_delay_alu instid0(VALU_DEP_1) | instskip(NEXT) | instid1(VALU_DEP_1)
	v_fma_f32 v65, v53, v65, -v96
	v_fmac_f32_e32 v65, v53, v52
	s_delay_alu instid0(VALU_DEP_1) | instskip(NEXT) | instid1(VALU_DEP_1)
	v_add_f32_e32 v52, v96, v65
	v_sub_f32_e32 v98, v13, v52
	s_delay_alu instid0(VALU_DEP_1) | instskip(NEXT) | instid1(VALU_DEP_1)
	v_dual_sub_f32 v96, v52, v96 :: v_dual_sub_f32 v13, v13, v98
	v_dual_sub_f32 v13, v13, v52 :: v_dual_sub_f32 v52, v96, v65
	v_add_f32_e32 v7, v7, v99
	s_delay_alu instid0(VALU_DEP_1) | instskip(SKIP_1) | instid1(VALU_DEP_1)
	v_add_f32_e32 v7, v7, v13
	v_add_f32_e32 v13, v97, v53
	v_dual_add_f32 v7, v52, v7 :: v_dual_sub_f32 v52, v13, v97
	s_delay_alu instid0(VALU_DEP_1) | instskip(NEXT) | instid1(VALU_DEP_1)
	v_dual_add_f32 v7, v98, v7 :: v_dual_sub_f32 v52, v53, v52
	v_mul_f32_e32 v7, v12, v7
	s_delay_alu instid0(VALU_DEP_1) | instskip(NEXT) | instid1(VALU_DEP_1)
	v_add_f32_e32 v7, v52, v7
	v_add_f32_e32 v12, v13, v7
	s_delay_alu instid0(VALU_DEP_1) | instskip(NEXT) | instid1(VALU_DEP_1)
	v_mul_f32_e32 v52, v12, v12
	v_fmaak_f32 v53, s2, v52, 0x3ecc95a3
	v_mul_f32_e32 v65, v12, v52
	v_cmp_gt_f32_e64 s2, 0x33800000, |v3|
	s_delay_alu instid0(VALU_DEP_3) | instskip(SKIP_2) | instid1(VALU_DEP_4)
	v_fmaak_f32 v52, v52, v53, 0x3f2aaada
	v_ldexp_f32 v53, v12, 1
	v_sub_f32_e32 v12, v12, v13
	s_or_b32 vcc_lo, vcc_lo, s2
	s_delay_alu instid0(VALU_DEP_3) | instskip(NEXT) | instid1(VALU_DEP_2)
	v_dual_mul_f32 v52, v65, v52 :: v_dual_mul_f32 v65, 0x3f317218, v6
	v_sub_f32_e32 v7, v7, v12
	s_delay_alu instid0(VALU_DEP_2) | instskip(NEXT) | instid1(VALU_DEP_2)
	v_add_f32_e32 v13, v53, v52
	v_ldexp_f32 v7, v7, 1
	s_delay_alu instid0(VALU_DEP_2) | instskip(SKIP_1) | instid1(VALU_DEP_2)
	v_sub_f32_e32 v12, v13, v53
	v_fma_f32 v53, 0x3f317218, v6, -v65
	v_sub_f32_e32 v12, v52, v12
	s_delay_alu instid0(VALU_DEP_1) | instskip(NEXT) | instid1(VALU_DEP_1)
	v_dual_fmamk_f32 v6, v6, 0xb102e308, v53 :: v_dual_add_f32 v7, v7, v12
	v_add_f32_e32 v12, v65, v6
	s_delay_alu instid0(VALU_DEP_1) | instskip(NEXT) | instid1(VALU_DEP_1)
	v_sub_f32_e32 v65, v12, v65
	v_sub_f32_e32 v6, v6, v65
	s_delay_alu instid0(VALU_DEP_4) | instskip(NEXT) | instid1(VALU_DEP_1)
	v_add_f32_e32 v52, v13, v7
	v_add_f32_e32 v53, v12, v52
	s_delay_alu instid0(VALU_DEP_1) | instskip(NEXT) | instid1(VALU_DEP_1)
	v_dual_sub_f32 v13, v52, v13 :: v_dual_sub_f32 v96, v53, v12
	v_sub_f32_e32 v7, v7, v13
	s_delay_alu instid0(VALU_DEP_2) | instskip(NEXT) | instid1(VALU_DEP_2)
	v_sub_f32_e32 v97, v53, v96
	v_dual_sub_f32 v13, v52, v96 :: v_dual_add_f32 v52, v6, v7
	s_delay_alu instid0(VALU_DEP_2) | instskip(NEXT) | instid1(VALU_DEP_1)
	v_sub_f32_e32 v12, v12, v97
	v_dual_add_f32 v12, v13, v12 :: v_dual_sub_f32 v13, v52, v6
	s_delay_alu instid0(VALU_DEP_1) | instskip(NEXT) | instid1(VALU_DEP_2)
	v_add_f32_e32 v12, v52, v12
	v_sub_f32_e32 v52, v52, v13
	s_delay_alu instid0(VALU_DEP_1) | instskip(NEXT) | instid1(VALU_DEP_1)
	v_dual_sub_f32 v7, v7, v13 :: v_dual_sub_f32 v6, v6, v52
	v_dual_add_f32 v6, v7, v6 :: v_dual_add_f32 v65, v53, v12
	s_delay_alu instid0(VALU_DEP_1) | instskip(NEXT) | instid1(VALU_DEP_1)
	v_sub_f32_e32 v13, v65, v53
	v_sub_f32_e32 v7, v12, v13
	s_delay_alu instid0(VALU_DEP_1) | instskip(NEXT) | instid1(VALU_DEP_1)
	v_add_f32_e32 v6, v6, v7
	v_add_f32_e32 v6, v65, v6
	s_delay_alu instid0(VALU_DEP_1) | instskip(NEXT) | instid1(VALU_DEP_1)
	v_cndmask_b32_e32 v3, v6, v3, vcc_lo
	v_add_f32_e32 v3, v2, v3
.LBB481_330:
	s_or_b32 exec_lo, exec_lo, s1
	s_delay_alu instid0(VALU_DEP_1) | instskip(SKIP_1) | instid1(VALU_DEP_2)
	v_bfe_u32 v2, v3, 16, 1
	v_cmp_o_f32_e32 vcc_lo, v3, v3
	v_add3_u32 v2, v3, v2, 0x7fff
	s_delay_alu instid0(VALU_DEP_1) | instskip(NEXT) | instid1(VALU_DEP_1)
	v_lshrrev_b32_e32 v2, 16, v2
	v_cndmask_b32_e32 v65, 0x7fc0, v2, vcc_lo
	s_delay_alu instid0(VALU_DEP_1) | instskip(NEXT) | instid1(VALU_DEP_1)
	v_lshlrev_b32_e32 v3, 16, v65
	v_max_f32_e32 v2, v3, v3
	s_delay_alu instid0(VALU_DEP_1) | instskip(SKIP_2) | instid1(VALU_DEP_3)
	v_min_f32_e32 v6, v2, v54
	v_max_f32_e32 v2, v2, v54
	v_cmp_u_f32_e32 vcc_lo, v3, v3
	v_cndmask_b32_e32 v6, v6, v3, vcc_lo
	s_delay_alu instid0(VALU_DEP_3) | instskip(NEXT) | instid1(VALU_DEP_2)
	v_cndmask_b32_e32 v2, v2, v3, vcc_lo
	v_cndmask_b32_e64 v6, v6, v51, s7
	s_delay_alu instid0(VALU_DEP_2) | instskip(NEXT) | instid1(VALU_DEP_2)
	v_cndmask_b32_e64 v2, v2, v51, s7
	v_cmp_class_f32_e64 s1, v6, 0x1f8
	s_delay_alu instid0(VALU_DEP_2) | instskip(NEXT) | instid1(VALU_DEP_2)
	v_cmp_neq_f32_e32 vcc_lo, v6, v2
	s_or_b32 s2, vcc_lo, s1
	s_delay_alu instid0(SALU_CYCLE_1)
	s_and_saveexec_b32 s1, s2
	s_cbranch_execz .LBB481_332
; %bb.331:
	v_sub_f32_e32 v3, v6, v2
	s_mov_b32 s2, 0x3e9b6dac
	s_delay_alu instid0(VALU_DEP_1) | instskip(SKIP_1) | instid1(VALU_DEP_2)
	v_mul_f32_e32 v6, 0x3fb8aa3b, v3
	v_cmp_ngt_f32_e32 vcc_lo, 0xc2ce8ed0, v3
	v_fma_f32 v7, 0x3fb8aa3b, v3, -v6
	v_rndne_f32_e32 v12, v6
	s_delay_alu instid0(VALU_DEP_1) | instskip(NEXT) | instid1(VALU_DEP_1)
	v_dual_fmamk_f32 v7, v3, 0x32a5705f, v7 :: v_dual_sub_f32 v6, v6, v12
	v_add_f32_e32 v6, v6, v7
	v_cvt_i32_f32_e32 v7, v12
	s_delay_alu instid0(VALU_DEP_2) | instskip(SKIP_2) | instid1(VALU_DEP_1)
	v_exp_f32_e32 v6, v6
	s_waitcnt_depctr 0xfff
	v_ldexp_f32 v6, v6, v7
	v_cndmask_b32_e32 v6, 0, v6, vcc_lo
	v_cmp_nlt_f32_e32 vcc_lo, 0x42b17218, v3
	s_delay_alu instid0(VALU_DEP_2) | instskip(NEXT) | instid1(VALU_DEP_1)
	v_cndmask_b32_e32 v3, 0x7f800000, v6, vcc_lo
	v_add_f32_e32 v12, 1.0, v3
	s_delay_alu instid0(VALU_DEP_1) | instskip(NEXT) | instid1(VALU_DEP_1)
	v_cvt_f64_f32_e32 v[6:7], v12
	v_frexp_exp_i32_f64_e32 v6, v[6:7]
	v_frexp_mant_f32_e32 v7, v12
	s_delay_alu instid0(VALU_DEP_1) | instskip(SKIP_1) | instid1(VALU_DEP_1)
	v_cmp_gt_f32_e32 vcc_lo, 0x3f2aaaab, v7
	v_add_f32_e32 v7, -1.0, v12
	v_sub_f32_e32 v51, v7, v12
	v_sub_f32_e32 v7, v3, v7
	s_delay_alu instid0(VALU_DEP_2) | instskip(SKIP_1) | instid1(VALU_DEP_1)
	v_add_f32_e32 v51, 1.0, v51
	v_subrev_co_ci_u32_e32 v6, vcc_lo, 0, v6, vcc_lo
	v_sub_nc_u32_e32 v13, 0, v6
	v_cvt_f32_i32_e32 v6, v6
	s_delay_alu instid0(VALU_DEP_2) | instskip(NEXT) | instid1(VALU_DEP_1)
	v_ldexp_f32 v12, v12, v13
	v_dual_add_f32 v52, 1.0, v12 :: v_dual_add_f32 v7, v7, v51
	s_delay_alu instid0(VALU_DEP_1) | instskip(NEXT) | instid1(VALU_DEP_2)
	v_add_f32_e32 v51, -1.0, v52
	v_ldexp_f32 v7, v7, v13
	v_add_f32_e32 v13, -1.0, v12
	s_delay_alu instid0(VALU_DEP_3) | instskip(NEXT) | instid1(VALU_DEP_2)
	v_sub_f32_e32 v51, v12, v51
	v_add_f32_e32 v53, 1.0, v13
	s_delay_alu instid0(VALU_DEP_1) | instskip(SKIP_1) | instid1(VALU_DEP_2)
	v_dual_add_f32 v51, v7, v51 :: v_dual_sub_f32 v12, v12, v53
	v_cmp_eq_f32_e32 vcc_lo, 0x7f800000, v3
	v_add_f32_e32 v53, v52, v51
	s_delay_alu instid0(VALU_DEP_3) | instskip(NEXT) | instid1(VALU_DEP_2)
	v_add_f32_e32 v7, v7, v12
	v_rcp_f32_e32 v12, v53
	v_sub_f32_e32 v52, v52, v53
	s_delay_alu instid0(VALU_DEP_1) | instskip(SKIP_3) | instid1(VALU_DEP_1)
	v_dual_add_f32 v54, v13, v7 :: v_dual_add_f32 v51, v51, v52
	s_waitcnt_depctr 0xfff
	v_mul_f32_e32 v96, v54, v12
	s_waitcnt lgkmcnt(0)
	v_mul_f32_e32 v97, v53, v96
	s_delay_alu instid0(VALU_DEP_1) | instskip(NEXT) | instid1(VALU_DEP_1)
	v_fma_f32 v52, v96, v53, -v97
	v_dual_fmac_f32 v52, v96, v51 :: v_dual_sub_f32 v13, v13, v54
	s_delay_alu instid0(VALU_DEP_1) | instskip(NEXT) | instid1(VALU_DEP_1)
	v_add_f32_e32 v98, v97, v52
	v_sub_f32_e32 v99, v54, v98
	s_delay_alu instid0(VALU_DEP_1) | instskip(SKIP_1) | instid1(VALU_DEP_1)
	v_dual_sub_f32 v54, v54, v99 :: v_dual_add_f32 v7, v7, v13
	v_sub_f32_e32 v13, v98, v97
	v_dual_sub_f32 v54, v54, v98 :: v_dual_sub_f32 v13, v13, v52
	s_delay_alu instid0(VALU_DEP_1) | instskip(NEXT) | instid1(VALU_DEP_1)
	v_add_f32_e32 v7, v7, v54
	v_add_f32_e32 v7, v13, v7
	s_delay_alu instid0(VALU_DEP_1) | instskip(NEXT) | instid1(VALU_DEP_1)
	v_add_f32_e32 v13, v99, v7
	v_mul_f32_e32 v52, v12, v13
	v_sub_f32_e32 v98, v99, v13
	s_delay_alu instid0(VALU_DEP_1) | instskip(NEXT) | instid1(VALU_DEP_1)
	v_dual_mul_f32 v54, v53, v52 :: v_dual_add_f32 v7, v7, v98
	v_fma_f32 v53, v52, v53, -v54
	s_delay_alu instid0(VALU_DEP_1) | instskip(NEXT) | instid1(VALU_DEP_1)
	v_fmac_f32_e32 v53, v52, v51
	v_add_f32_e32 v51, v54, v53
	s_delay_alu instid0(VALU_DEP_1) | instskip(NEXT) | instid1(VALU_DEP_1)
	v_dual_sub_f32 v97, v13, v51 :: v_dual_sub_f32 v54, v51, v54
	v_sub_f32_e32 v13, v13, v97
	s_delay_alu instid0(VALU_DEP_1) | instskip(NEXT) | instid1(VALU_DEP_3)
	v_sub_f32_e32 v13, v13, v51
	v_sub_f32_e32 v51, v54, v53
	s_delay_alu instid0(VALU_DEP_2) | instskip(SKIP_1) | instid1(VALU_DEP_2)
	v_add_f32_e32 v7, v7, v13
	v_add_f32_e32 v13, v96, v52
	;; [unrolled: 1-line block ×3, first 2 shown]
	s_delay_alu instid0(VALU_DEP_2) | instskip(NEXT) | instid1(VALU_DEP_2)
	v_sub_f32_e32 v51, v13, v96
	v_add_f32_e32 v7, v97, v7
	s_delay_alu instid0(VALU_DEP_2) | instskip(NEXT) | instid1(VALU_DEP_2)
	v_sub_f32_e32 v51, v52, v51
	v_mul_f32_e32 v7, v12, v7
	s_delay_alu instid0(VALU_DEP_1) | instskip(NEXT) | instid1(VALU_DEP_1)
	v_add_f32_e32 v7, v51, v7
	v_add_f32_e32 v12, v13, v7
	s_delay_alu instid0(VALU_DEP_1) | instskip(NEXT) | instid1(VALU_DEP_1)
	v_mul_f32_e32 v51, v12, v12
	v_fmaak_f32 v52, s2, v51, 0x3ecc95a3
	v_mul_f32_e32 v53, v12, v51
	v_cmp_gt_f32_e64 s2, 0x33800000, |v3|
	s_delay_alu instid0(VALU_DEP_3) | instskip(SKIP_2) | instid1(VALU_DEP_4)
	v_fmaak_f32 v51, v51, v52, 0x3f2aaada
	v_ldexp_f32 v52, v12, 1
	v_sub_f32_e32 v12, v12, v13
	s_or_b32 vcc_lo, vcc_lo, s2
	s_delay_alu instid0(VALU_DEP_3) | instskip(SKIP_1) | instid1(VALU_DEP_3)
	v_mul_f32_e32 v51, v53, v51
	v_mul_f32_e32 v53, 0x3f317218, v6
	v_sub_f32_e32 v7, v7, v12
	s_delay_alu instid0(VALU_DEP_3) | instskip(NEXT) | instid1(VALU_DEP_2)
	v_add_f32_e32 v13, v52, v51
	v_ldexp_f32 v7, v7, 1
	s_delay_alu instid0(VALU_DEP_2) | instskip(SKIP_1) | instid1(VALU_DEP_2)
	v_sub_f32_e32 v12, v13, v52
	v_fma_f32 v52, 0x3f317218, v6, -v53
	v_sub_f32_e32 v12, v51, v12
	s_delay_alu instid0(VALU_DEP_1) | instskip(NEXT) | instid1(VALU_DEP_1)
	v_dual_fmamk_f32 v6, v6, 0xb102e308, v52 :: v_dual_add_f32 v7, v7, v12
	v_add_f32_e32 v12, v53, v6
	s_delay_alu instid0(VALU_DEP_2) | instskip(NEXT) | instid1(VALU_DEP_2)
	v_add_f32_e32 v51, v13, v7
	v_sub_f32_e32 v53, v12, v53
	s_delay_alu instid0(VALU_DEP_2) | instskip(NEXT) | instid1(VALU_DEP_2)
	v_dual_add_f32 v52, v12, v51 :: v_dual_sub_f32 v13, v51, v13
	v_sub_f32_e32 v6, v6, v53
	s_delay_alu instid0(VALU_DEP_2) | instskip(NEXT) | instid1(VALU_DEP_1)
	v_dual_sub_f32 v54, v52, v12 :: v_dual_sub_f32 v7, v7, v13
	v_sub_f32_e32 v96, v52, v54
	v_sub_f32_e32 v13, v51, v54
	s_delay_alu instid0(VALU_DEP_2) | instskip(NEXT) | instid1(VALU_DEP_1)
	v_dual_add_f32 v51, v6, v7 :: v_dual_sub_f32 v12, v12, v96
	v_dual_add_f32 v12, v13, v12 :: v_dual_sub_f32 v13, v51, v6
	s_delay_alu instid0(VALU_DEP_1) | instskip(NEXT) | instid1(VALU_DEP_2)
	v_add_f32_e32 v12, v51, v12
	v_sub_f32_e32 v51, v51, v13
	v_sub_f32_e32 v7, v7, v13
	s_delay_alu instid0(VALU_DEP_2) | instskip(NEXT) | instid1(VALU_DEP_1)
	v_dual_add_f32 v53, v52, v12 :: v_dual_sub_f32 v6, v6, v51
	v_dual_sub_f32 v13, v53, v52 :: v_dual_add_f32 v6, v7, v6
	s_delay_alu instid0(VALU_DEP_1) | instskip(NEXT) | instid1(VALU_DEP_1)
	v_sub_f32_e32 v7, v12, v13
	v_add_f32_e32 v6, v6, v7
	s_delay_alu instid0(VALU_DEP_1) | instskip(NEXT) | instid1(VALU_DEP_1)
	v_add_f32_e32 v6, v53, v6
	v_cndmask_b32_e32 v3, v6, v3, vcc_lo
	s_delay_alu instid0(VALU_DEP_1)
	v_add_f32_e32 v3, v2, v3
.LBB481_332:
	s_or_b32 exec_lo, exec_lo, s1
	s_delay_alu instid0(VALU_DEP_1) | instskip(SKIP_1) | instid1(VALU_DEP_2)
	v_bfe_u32 v2, v3, 16, 1
	v_cmp_o_f32_e32 vcc_lo, v3, v3
	v_add3_u32 v2, v3, v2, 0x7fff
	s_delay_alu instid0(VALU_DEP_1) | instskip(NEXT) | instid1(VALU_DEP_1)
	v_lshrrev_b32_e32 v2, 16, v2
	v_cndmask_b32_e32 v145, 0x7fc0, v2, vcc_lo
	s_delay_alu instid0(VALU_DEP_1) | instskip(NEXT) | instid1(VALU_DEP_1)
	v_lshlrev_b32_e32 v3, 16, v145
	v_max_f32_e32 v2, v3, v3
	s_delay_alu instid0(VALU_DEP_1) | instskip(SKIP_2) | instid1(VALU_DEP_3)
	v_min_f32_e32 v6, v2, v55
	v_max_f32_e32 v2, v2, v55
	v_cmp_u_f32_e32 vcc_lo, v3, v3
	v_cndmask_b32_e32 v6, v6, v3, vcc_lo
	s_delay_alu instid0(VALU_DEP_3) | instskip(NEXT) | instid1(VALU_DEP_2)
	v_cndmask_b32_e32 v2, v2, v3, vcc_lo
	v_cndmask_b32_e64 v6, v6, v50, s8
	s_delay_alu instid0(VALU_DEP_2) | instskip(NEXT) | instid1(VALU_DEP_2)
	v_cndmask_b32_e64 v2, v2, v50, s8
	v_cmp_class_f32_e64 s1, v6, 0x1f8
	s_delay_alu instid0(VALU_DEP_2) | instskip(NEXT) | instid1(VALU_DEP_2)
	v_cmp_neq_f32_e32 vcc_lo, v6, v2
	s_or_b32 s2, vcc_lo, s1
	s_delay_alu instid0(SALU_CYCLE_1)
	s_and_saveexec_b32 s1, s2
	s_cbranch_execz .LBB481_334
; %bb.333:
	v_sub_f32_e32 v3, v6, v2
	s_mov_b32 s2, 0x3e9b6dac
	s_delay_alu instid0(VALU_DEP_1) | instskip(SKIP_1) | instid1(VALU_DEP_2)
	v_mul_f32_e32 v6, 0x3fb8aa3b, v3
	v_cmp_ngt_f32_e32 vcc_lo, 0xc2ce8ed0, v3
	v_fma_f32 v7, 0x3fb8aa3b, v3, -v6
	v_rndne_f32_e32 v12, v6
	s_delay_alu instid0(VALU_DEP_1) | instskip(NEXT) | instid1(VALU_DEP_1)
	v_dual_fmamk_f32 v7, v3, 0x32a5705f, v7 :: v_dual_sub_f32 v6, v6, v12
	v_add_f32_e32 v6, v6, v7
	v_cvt_i32_f32_e32 v7, v12
	s_delay_alu instid0(VALU_DEP_2) | instskip(SKIP_2) | instid1(VALU_DEP_1)
	v_exp_f32_e32 v6, v6
	s_waitcnt_depctr 0xfff
	v_ldexp_f32 v6, v6, v7
	v_cndmask_b32_e32 v6, 0, v6, vcc_lo
	v_cmp_nlt_f32_e32 vcc_lo, 0x42b17218, v3
	s_delay_alu instid0(VALU_DEP_2) | instskip(NEXT) | instid1(VALU_DEP_1)
	v_cndmask_b32_e32 v3, 0x7f800000, v6, vcc_lo
	v_add_f32_e32 v12, 1.0, v3
	s_delay_alu instid0(VALU_DEP_1) | instskip(NEXT) | instid1(VALU_DEP_1)
	v_cvt_f64_f32_e32 v[6:7], v12
	v_frexp_exp_i32_f64_e32 v6, v[6:7]
	v_frexp_mant_f32_e32 v7, v12
	s_delay_alu instid0(VALU_DEP_1) | instskip(SKIP_1) | instid1(VALU_DEP_1)
	v_cmp_gt_f32_e32 vcc_lo, 0x3f2aaaab, v7
	v_add_f32_e32 v7, -1.0, v12
	v_sub_f32_e32 v50, v7, v12
	s_delay_alu instid0(VALU_DEP_1) | instskip(NEXT) | instid1(VALU_DEP_1)
	v_dual_sub_f32 v7, v3, v7 :: v_dual_add_f32 v50, 1.0, v50
	v_add_f32_e32 v7, v7, v50
	v_subrev_co_ci_u32_e32 v6, vcc_lo, 0, v6, vcc_lo
	s_delay_alu instid0(VALU_DEP_1) | instskip(SKIP_1) | instid1(VALU_DEP_2)
	v_sub_nc_u32_e32 v13, 0, v6
	v_cvt_f32_i32_e32 v6, v6
	v_ldexp_f32 v12, v12, v13
	v_ldexp_f32 v7, v7, v13
	s_delay_alu instid0(VALU_DEP_2) | instskip(NEXT) | instid1(VALU_DEP_1)
	v_add_f32_e32 v13, -1.0, v12
	v_dual_add_f32 v51, 1.0, v12 :: v_dual_add_f32 v52, 1.0, v13
	s_delay_alu instid0(VALU_DEP_1) | instskip(SKIP_1) | instid1(VALU_DEP_2)
	v_add_f32_e32 v50, -1.0, v51
	v_cmp_eq_f32_e32 vcc_lo, 0x7f800000, v3
	v_sub_f32_e32 v50, v12, v50
	s_delay_alu instid0(VALU_DEP_4) | instskip(NEXT) | instid1(VALU_DEP_2)
	v_sub_f32_e32 v12, v12, v52
	v_add_f32_e32 v50, v7, v50
	s_delay_alu instid0(VALU_DEP_2) | instskip(NEXT) | instid1(VALU_DEP_1)
	v_add_f32_e32 v7, v7, v12
	v_dual_add_f32 v53, v13, v7 :: v_dual_add_f32 v52, v51, v50
	s_delay_alu instid0(VALU_DEP_1) | instskip(NEXT) | instid1(VALU_DEP_2)
	v_sub_f32_e32 v13, v13, v53
	v_rcp_f32_e32 v12, v52
	v_sub_f32_e32 v51, v51, v52
	s_delay_alu instid0(VALU_DEP_1) | instskip(SKIP_2) | instid1(VALU_DEP_1)
	v_dual_add_f32 v7, v7, v13 :: v_dual_add_f32 v50, v50, v51
	s_waitcnt_depctr 0xfff
	v_mul_f32_e32 v54, v53, v12
	v_mul_f32_e32 v55, v52, v54
	s_delay_alu instid0(VALU_DEP_1) | instskip(NEXT) | instid1(VALU_DEP_1)
	v_fma_f32 v51, v54, v52, -v55
	v_fmac_f32_e32 v51, v54, v50
	s_delay_alu instid0(VALU_DEP_1) | instskip(SKIP_1) | instid1(VALU_DEP_1)
	v_add_f32_e32 v96, v55, v51
	s_waitcnt lgkmcnt(0)
	v_sub_f32_e32 v97, v53, v96
	s_delay_alu instid0(VALU_DEP_1) | instskip(SKIP_1) | instid1(VALU_DEP_2)
	v_sub_f32_e32 v53, v53, v97
	v_sub_f32_e32 v13, v96, v55
	;; [unrolled: 1-line block ×3, first 2 shown]
	s_delay_alu instid0(VALU_DEP_2) | instskip(NEXT) | instid1(VALU_DEP_2)
	v_sub_f32_e32 v13, v13, v51
	v_add_f32_e32 v7, v7, v53
	s_delay_alu instid0(VALU_DEP_1) | instskip(NEXT) | instid1(VALU_DEP_1)
	v_add_f32_e32 v7, v13, v7
	v_add_f32_e32 v13, v97, v7
	s_delay_alu instid0(VALU_DEP_1) | instskip(NEXT) | instid1(VALU_DEP_1)
	v_mul_f32_e32 v51, v12, v13
	v_dual_sub_f32 v96, v97, v13 :: v_dual_mul_f32 v53, v52, v51
	s_delay_alu instid0(VALU_DEP_1) | instskip(NEXT) | instid1(VALU_DEP_2)
	v_add_f32_e32 v7, v7, v96
	v_fma_f32 v52, v51, v52, -v53
	s_delay_alu instid0(VALU_DEP_1) | instskip(NEXT) | instid1(VALU_DEP_1)
	v_fmac_f32_e32 v52, v51, v50
	v_add_f32_e32 v50, v53, v52
	s_delay_alu instid0(VALU_DEP_1) | instskip(SKIP_1) | instid1(VALU_DEP_2)
	v_sub_f32_e32 v55, v13, v50
	v_sub_f32_e32 v53, v50, v53
	;; [unrolled: 1-line block ×3, first 2 shown]
	s_delay_alu instid0(VALU_DEP_1) | instskip(NEXT) | instid1(VALU_DEP_1)
	v_sub_f32_e32 v13, v13, v50
	v_dual_sub_f32 v50, v53, v52 :: v_dual_add_f32 v7, v7, v13
	v_add_f32_e32 v13, v54, v51
	s_delay_alu instid0(VALU_DEP_1) | instskip(NEXT) | instid1(VALU_DEP_1)
	v_dual_add_f32 v7, v50, v7 :: v_dual_sub_f32 v50, v13, v54
	v_add_f32_e32 v7, v55, v7
	s_delay_alu instid0(VALU_DEP_1) | instskip(NEXT) | instid1(VALU_DEP_1)
	v_dual_sub_f32 v50, v51, v50 :: v_dual_mul_f32 v7, v12, v7
	v_add_f32_e32 v7, v50, v7
	s_delay_alu instid0(VALU_DEP_1) | instskip(NEXT) | instid1(VALU_DEP_1)
	v_add_f32_e32 v12, v13, v7
	v_mul_f32_e32 v50, v12, v12
	s_delay_alu instid0(VALU_DEP_1) | instskip(SKIP_2) | instid1(VALU_DEP_3)
	v_fmaak_f32 v51, s2, v50, 0x3ecc95a3
	v_mul_f32_e32 v52, v12, v50
	v_cmp_gt_f32_e64 s2, 0x33800000, |v3|
	v_fmaak_f32 v50, v50, v51, 0x3f2aaada
	v_ldexp_f32 v51, v12, 1
	v_sub_f32_e32 v12, v12, v13
	s_delay_alu instid0(VALU_DEP_4) | instskip(NEXT) | instid1(VALU_DEP_3)
	s_or_b32 vcc_lo, vcc_lo, s2
	v_mul_f32_e32 v50, v52, v50
	s_delay_alu instid0(VALU_DEP_2) | instskip(NEXT) | instid1(VALU_DEP_2)
	v_dual_mul_f32 v52, 0x3f317218, v6 :: v_dual_sub_f32 v7, v7, v12
	v_add_f32_e32 v13, v51, v50
	s_delay_alu instid0(VALU_DEP_2) | instskip(NEXT) | instid1(VALU_DEP_2)
	v_ldexp_f32 v7, v7, 1
	v_sub_f32_e32 v12, v13, v51
	s_delay_alu instid0(VALU_DEP_4) | instskip(NEXT) | instid1(VALU_DEP_2)
	v_fma_f32 v51, 0x3f317218, v6, -v52
	v_sub_f32_e32 v12, v50, v12
	s_delay_alu instid0(VALU_DEP_1) | instskip(NEXT) | instid1(VALU_DEP_1)
	v_dual_fmamk_f32 v6, v6, 0xb102e308, v51 :: v_dual_add_f32 v7, v7, v12
	v_add_f32_e32 v12, v52, v6
	s_delay_alu instid0(VALU_DEP_1) | instskip(NEXT) | instid1(VALU_DEP_1)
	v_sub_f32_e32 v52, v12, v52
	v_sub_f32_e32 v6, v6, v52
	s_delay_alu instid0(VALU_DEP_4) | instskip(NEXT) | instid1(VALU_DEP_1)
	v_add_f32_e32 v50, v13, v7
	v_sub_f32_e32 v13, v50, v13
	s_delay_alu instid0(VALU_DEP_1) | instskip(SKIP_1) | instid1(VALU_DEP_1)
	v_sub_f32_e32 v7, v7, v13
	v_add_f32_e32 v51, v12, v50
	v_sub_f32_e32 v53, v51, v12
	s_delay_alu instid0(VALU_DEP_1) | instskip(NEXT) | instid1(VALU_DEP_4)
	v_sub_f32_e32 v13, v50, v53
	v_add_f32_e32 v50, v6, v7
	v_sub_f32_e32 v54, v51, v53
	s_delay_alu instid0(VALU_DEP_1) | instskip(NEXT) | instid1(VALU_DEP_1)
	v_sub_f32_e32 v12, v12, v54
	v_dual_add_f32 v12, v13, v12 :: v_dual_sub_f32 v13, v50, v6
	s_delay_alu instid0(VALU_DEP_1) | instskip(SKIP_1) | instid1(VALU_DEP_2)
	v_dual_add_f32 v12, v50, v12 :: v_dual_sub_f32 v7, v7, v13
	v_sub_f32_e32 v50, v50, v13
	v_add_f32_e32 v52, v51, v12
	s_delay_alu instid0(VALU_DEP_1) | instskip(NEXT) | instid1(VALU_DEP_1)
	v_dual_sub_f32 v6, v6, v50 :: v_dual_sub_f32 v13, v52, v51
	v_dual_add_f32 v6, v7, v6 :: v_dual_sub_f32 v7, v12, v13
	s_delay_alu instid0(VALU_DEP_1) | instskip(NEXT) | instid1(VALU_DEP_1)
	v_add_f32_e32 v6, v6, v7
	v_add_f32_e32 v6, v52, v6
	s_delay_alu instid0(VALU_DEP_1) | instskip(NEXT) | instid1(VALU_DEP_1)
	v_cndmask_b32_e32 v3, v6, v3, vcc_lo
	v_add_f32_e32 v3, v2, v3
.LBB481_334:
	s_or_b32 exec_lo, exec_lo, s1
	s_delay_alu instid0(VALU_DEP_1) | instskip(SKIP_1) | instid1(VALU_DEP_2)
	v_bfe_u32 v2, v3, 16, 1
	v_cmp_o_f32_e32 vcc_lo, v3, v3
	v_add3_u32 v2, v3, v2, 0x7fff
	s_delay_alu instid0(VALU_DEP_1) | instskip(NEXT) | instid1(VALU_DEP_1)
	v_lshrrev_b32_e32 v2, 16, v2
	v_cndmask_b32_e32 v146, 0x7fc0, v2, vcc_lo
	s_delay_alu instid0(VALU_DEP_1) | instskip(NEXT) | instid1(VALU_DEP_1)
	v_lshlrev_b32_e32 v3, 16, v146
	v_max_f32_e32 v2, v3, v3
	v_cmp_u_f32_e32 vcc_lo, v3, v3
	s_delay_alu instid0(VALU_DEP_2) | instskip(SKIP_1) | instid1(VALU_DEP_2)
	v_min_f32_e32 v6, v2, v66
	v_max_f32_e32 v2, v2, v66
	v_cndmask_b32_e32 v6, v6, v3, vcc_lo
	s_delay_alu instid0(VALU_DEP_2) | instskip(NEXT) | instid1(VALU_DEP_2)
	v_cndmask_b32_e32 v2, v2, v3, vcc_lo
	v_cndmask_b32_e64 v6, v6, v49, s9
	s_delay_alu instid0(VALU_DEP_2) | instskip(NEXT) | instid1(VALU_DEP_2)
	v_cndmask_b32_e64 v2, v2, v49, s9
	v_cmp_class_f32_e64 s1, v6, 0x1f8
	s_delay_alu instid0(VALU_DEP_2) | instskip(NEXT) | instid1(VALU_DEP_2)
	v_cmp_neq_f32_e32 vcc_lo, v6, v2
	s_or_b32 s2, vcc_lo, s1
	s_delay_alu instid0(SALU_CYCLE_1)
	s_and_saveexec_b32 s1, s2
	s_cbranch_execz .LBB481_336
; %bb.335:
	v_sub_f32_e32 v3, v6, v2
	s_mov_b32 s2, 0x3e9b6dac
	s_delay_alu instid0(VALU_DEP_1) | instskip(SKIP_1) | instid1(VALU_DEP_2)
	v_mul_f32_e32 v6, 0x3fb8aa3b, v3
	v_cmp_ngt_f32_e32 vcc_lo, 0xc2ce8ed0, v3
	v_fma_f32 v7, 0x3fb8aa3b, v3, -v6
	v_rndne_f32_e32 v12, v6
	s_delay_alu instid0(VALU_DEP_1) | instskip(NEXT) | instid1(VALU_DEP_1)
	v_dual_fmamk_f32 v7, v3, 0x32a5705f, v7 :: v_dual_sub_f32 v6, v6, v12
	v_add_f32_e32 v6, v6, v7
	v_cvt_i32_f32_e32 v7, v12
	s_delay_alu instid0(VALU_DEP_2) | instskip(SKIP_2) | instid1(VALU_DEP_1)
	v_exp_f32_e32 v6, v6
	s_waitcnt_depctr 0xfff
	v_ldexp_f32 v6, v6, v7
	v_cndmask_b32_e32 v6, 0, v6, vcc_lo
	v_cmp_nlt_f32_e32 vcc_lo, 0x42b17218, v3
	s_delay_alu instid0(VALU_DEP_2) | instskip(NEXT) | instid1(VALU_DEP_1)
	v_cndmask_b32_e32 v3, 0x7f800000, v6, vcc_lo
	v_add_f32_e32 v12, 1.0, v3
	s_delay_alu instid0(VALU_DEP_1) | instskip(NEXT) | instid1(VALU_DEP_1)
	v_cvt_f64_f32_e32 v[6:7], v12
	v_frexp_exp_i32_f64_e32 v6, v[6:7]
	v_frexp_mant_f32_e32 v7, v12
	s_delay_alu instid0(VALU_DEP_1) | instskip(SKIP_1) | instid1(VALU_DEP_1)
	v_cmp_gt_f32_e32 vcc_lo, 0x3f2aaaab, v7
	v_add_f32_e32 v7, -1.0, v12
	v_sub_f32_e32 v49, v7, v12
	v_sub_f32_e32 v7, v3, v7
	s_delay_alu instid0(VALU_DEP_2) | instskip(SKIP_1) | instid1(VALU_DEP_1)
	v_add_f32_e32 v49, 1.0, v49
	v_subrev_co_ci_u32_e32 v6, vcc_lo, 0, v6, vcc_lo
	v_sub_nc_u32_e32 v13, 0, v6
	v_cvt_f32_i32_e32 v6, v6
	s_delay_alu instid0(VALU_DEP_2) | instskip(NEXT) | instid1(VALU_DEP_1)
	v_ldexp_f32 v12, v12, v13
	v_dual_add_f32 v50, 1.0, v12 :: v_dual_add_f32 v7, v7, v49
	s_delay_alu instid0(VALU_DEP_1) | instskip(SKIP_1) | instid1(VALU_DEP_3)
	v_ldexp_f32 v7, v7, v13
	v_add_f32_e32 v13, -1.0, v12
	v_add_f32_e32 v49, -1.0, v50
	s_delay_alu instid0(VALU_DEP_2) | instskip(NEXT) | instid1(VALU_DEP_2)
	v_add_f32_e32 v51, 1.0, v13
	v_sub_f32_e32 v49, v12, v49
	s_delay_alu instid0(VALU_DEP_1) | instskip(SKIP_1) | instid1(VALU_DEP_2)
	v_dual_sub_f32 v12, v12, v51 :: v_dual_add_f32 v49, v7, v49
	v_cmp_eq_f32_e32 vcc_lo, 0x7f800000, v3
	v_add_f32_e32 v51, v50, v49
	s_delay_alu instid0(VALU_DEP_1) | instskip(NEXT) | instid1(VALU_DEP_1)
	v_sub_f32_e32 v50, v50, v51
	v_add_f32_e32 v49, v49, v50
	v_add_f32_e32 v7, v7, v12
	v_rcp_f32_e32 v12, v51
	s_delay_alu instid0(VALU_DEP_1) | instskip(SKIP_2) | instid1(VALU_DEP_1)
	v_add_f32_e32 v52, v13, v7
	s_waitcnt_depctr 0xfff
	v_mul_f32_e32 v53, v52, v12
	v_dual_mul_f32 v54, v51, v53 :: v_dual_sub_f32 v13, v13, v52
	s_delay_alu instid0(VALU_DEP_1) | instskip(NEXT) | instid1(VALU_DEP_1)
	v_fma_f32 v50, v53, v51, -v54
	v_fmac_f32_e32 v50, v53, v49
	s_delay_alu instid0(VALU_DEP_3) | instskip(NEXT) | instid1(VALU_DEP_2)
	v_add_f32_e32 v7, v7, v13
	v_add_f32_e32 v55, v54, v50
	s_delay_alu instid0(VALU_DEP_1) | instskip(NEXT) | instid1(VALU_DEP_1)
	v_dual_sub_f32 v66, v52, v55 :: v_dual_sub_f32 v13, v55, v54
	v_sub_f32_e32 v52, v52, v66
	s_delay_alu instid0(VALU_DEP_1) | instskip(NEXT) | instid1(VALU_DEP_1)
	v_dual_sub_f32 v13, v13, v50 :: v_dual_sub_f32 v52, v52, v55
	v_add_f32_e32 v7, v7, v52
	s_delay_alu instid0(VALU_DEP_1) | instskip(NEXT) | instid1(VALU_DEP_1)
	v_add_f32_e32 v7, v13, v7
	v_add_f32_e32 v13, v66, v7
	s_delay_alu instid0(VALU_DEP_1) | instskip(NEXT) | instid1(VALU_DEP_1)
	v_mul_f32_e32 v50, v12, v13
	v_dual_sub_f32 v55, v66, v13 :: v_dual_mul_f32 v52, v51, v50
	s_delay_alu instid0(VALU_DEP_1) | instskip(NEXT) | instid1(VALU_DEP_2)
	v_add_f32_e32 v7, v7, v55
	v_fma_f32 v51, v50, v51, -v52
	s_delay_alu instid0(VALU_DEP_1) | instskip(NEXT) | instid1(VALU_DEP_1)
	v_fmac_f32_e32 v51, v50, v49
	v_add_f32_e32 v49, v52, v51
	s_delay_alu instid0(VALU_DEP_1) | instskip(SKIP_1) | instid1(VALU_DEP_2)
	v_sub_f32_e32 v54, v13, v49
	v_sub_f32_e32 v52, v49, v52
	;; [unrolled: 1-line block ×3, first 2 shown]
	s_delay_alu instid0(VALU_DEP_1) | instskip(NEXT) | instid1(VALU_DEP_3)
	v_sub_f32_e32 v13, v13, v49
	v_sub_f32_e32 v49, v52, v51
	s_delay_alu instid0(VALU_DEP_2) | instskip(SKIP_1) | instid1(VALU_DEP_2)
	v_add_f32_e32 v7, v7, v13
	v_add_f32_e32 v13, v53, v50
	;; [unrolled: 1-line block ×3, first 2 shown]
	s_delay_alu instid0(VALU_DEP_2) | instskip(NEXT) | instid1(VALU_DEP_2)
	v_sub_f32_e32 v49, v13, v53
	v_add_f32_e32 v7, v54, v7
	s_delay_alu instid0(VALU_DEP_2) | instskip(NEXT) | instid1(VALU_DEP_2)
	v_sub_f32_e32 v49, v50, v49
	v_mul_f32_e32 v7, v12, v7
	s_delay_alu instid0(VALU_DEP_1) | instskip(NEXT) | instid1(VALU_DEP_1)
	v_add_f32_e32 v7, v49, v7
	v_add_f32_e32 v12, v13, v7
	s_delay_alu instid0(VALU_DEP_1) | instskip(NEXT) | instid1(VALU_DEP_1)
	v_mul_f32_e32 v49, v12, v12
	v_fmaak_f32 v50, s2, v49, 0x3ecc95a3
	v_mul_f32_e32 v51, v12, v49
	v_cmp_gt_f32_e64 s2, 0x33800000, |v3|
	s_delay_alu instid0(VALU_DEP_3) | instskip(SKIP_2) | instid1(VALU_DEP_4)
	v_fmaak_f32 v49, v49, v50, 0x3f2aaada
	v_ldexp_f32 v50, v12, 1
	v_sub_f32_e32 v12, v12, v13
	s_or_b32 vcc_lo, vcc_lo, s2
	s_delay_alu instid0(VALU_DEP_3) | instskip(SKIP_1) | instid1(VALU_DEP_3)
	v_mul_f32_e32 v49, v51, v49
	v_mul_f32_e32 v51, 0x3f317218, v6
	v_sub_f32_e32 v7, v7, v12
	s_delay_alu instid0(VALU_DEP_3) | instskip(NEXT) | instid1(VALU_DEP_2)
	v_add_f32_e32 v13, v50, v49
	v_ldexp_f32 v7, v7, 1
	s_delay_alu instid0(VALU_DEP_2) | instskip(SKIP_1) | instid1(VALU_DEP_2)
	v_sub_f32_e32 v12, v13, v50
	v_fma_f32 v50, 0x3f317218, v6, -v51
	v_sub_f32_e32 v12, v49, v12
	s_delay_alu instid0(VALU_DEP_1) | instskip(NEXT) | instid1(VALU_DEP_1)
	v_dual_fmamk_f32 v6, v6, 0xb102e308, v50 :: v_dual_add_f32 v7, v7, v12
	v_dual_add_f32 v12, v51, v6 :: v_dual_add_f32 v49, v13, v7
	s_delay_alu instid0(VALU_DEP_1) | instskip(NEXT) | instid1(VALU_DEP_2)
	v_sub_f32_e32 v51, v12, v51
	v_add_f32_e32 v50, v12, v49
	s_delay_alu instid0(VALU_DEP_2) | instskip(NEXT) | instid1(VALU_DEP_1)
	v_dual_sub_f32 v13, v49, v13 :: v_dual_sub_f32 v6, v6, v51
	v_dual_sub_f32 v52, v50, v12 :: v_dual_sub_f32 v7, v7, v13
	s_delay_alu instid0(VALU_DEP_1) | instskip(SKIP_1) | instid1(VALU_DEP_2)
	v_sub_f32_e32 v53, v50, v52
	v_sub_f32_e32 v13, v49, v52
	v_dual_add_f32 v49, v6, v7 :: v_dual_sub_f32 v12, v12, v53
	s_delay_alu instid0(VALU_DEP_1) | instskip(NEXT) | instid1(VALU_DEP_2)
	v_add_f32_e32 v12, v13, v12
	v_sub_f32_e32 v13, v49, v6
	s_delay_alu instid0(VALU_DEP_2) | instskip(NEXT) | instid1(VALU_DEP_2)
	v_add_f32_e32 v12, v49, v12
	v_sub_f32_e32 v49, v49, v13
	v_sub_f32_e32 v7, v7, v13
	s_delay_alu instid0(VALU_DEP_3) | instskip(NEXT) | instid1(VALU_DEP_1)
	v_add_f32_e32 v51, v50, v12
	v_dual_sub_f32 v6, v6, v49 :: v_dual_sub_f32 v13, v51, v50
	s_delay_alu instid0(VALU_DEP_1) | instskip(NEXT) | instid1(VALU_DEP_1)
	v_dual_add_f32 v6, v7, v6 :: v_dual_sub_f32 v7, v12, v13
	v_add_f32_e32 v6, v6, v7
	s_delay_alu instid0(VALU_DEP_1) | instskip(NEXT) | instid1(VALU_DEP_1)
	v_add_f32_e32 v6, v51, v6
	v_cndmask_b32_e32 v3, v6, v3, vcc_lo
	s_delay_alu instid0(VALU_DEP_1)
	v_add_f32_e32 v3, v2, v3
.LBB481_336:
	s_or_b32 exec_lo, exec_lo, s1
	s_delay_alu instid0(VALU_DEP_1) | instskip(SKIP_1) | instid1(VALU_DEP_2)
	v_bfe_u32 v2, v3, 16, 1
	v_cmp_o_f32_e32 vcc_lo, v3, v3
	v_add3_u32 v2, v3, v2, 0x7fff
	s_delay_alu instid0(VALU_DEP_1) | instskip(NEXT) | instid1(VALU_DEP_1)
	v_lshrrev_b32_e32 v2, 16, v2
	v_cndmask_b32_e32 v66, 0x7fc0, v2, vcc_lo
	s_delay_alu instid0(VALU_DEP_1) | instskip(NEXT) | instid1(VALU_DEP_1)
	v_lshlrev_b32_e32 v3, 16, v66
	v_max_f32_e32 v2, v3, v3
	s_delay_alu instid0(VALU_DEP_1) | instskip(SKIP_2) | instid1(VALU_DEP_3)
	v_min_f32_e32 v6, v2, v67
	v_max_f32_e32 v2, v2, v67
	v_cmp_u_f32_e32 vcc_lo, v3, v3
	v_cndmask_b32_e32 v6, v6, v3, vcc_lo
	s_delay_alu instid0(VALU_DEP_3) | instskip(NEXT) | instid1(VALU_DEP_2)
	v_cndmask_b32_e32 v2, v2, v3, vcc_lo
	v_cndmask_b32_e64 v6, v6, v48, s10
	s_delay_alu instid0(VALU_DEP_2) | instskip(NEXT) | instid1(VALU_DEP_2)
	v_cndmask_b32_e64 v2, v2, v48, s10
	v_cmp_class_f32_e64 s1, v6, 0x1f8
	s_delay_alu instid0(VALU_DEP_2) | instskip(NEXT) | instid1(VALU_DEP_2)
	v_cmp_neq_f32_e32 vcc_lo, v6, v2
	s_or_b32 s2, vcc_lo, s1
	s_delay_alu instid0(SALU_CYCLE_1)
	s_and_saveexec_b32 s1, s2
	s_cbranch_execz .LBB481_338
; %bb.337:
	v_sub_f32_e32 v3, v6, v2
	s_mov_b32 s2, 0x3e9b6dac
	s_delay_alu instid0(VALU_DEP_1) | instskip(SKIP_1) | instid1(VALU_DEP_2)
	v_mul_f32_e32 v6, 0x3fb8aa3b, v3
	v_cmp_ngt_f32_e32 vcc_lo, 0xc2ce8ed0, v3
	v_fma_f32 v7, 0x3fb8aa3b, v3, -v6
	v_rndne_f32_e32 v12, v6
	s_delay_alu instid0(VALU_DEP_1) | instskip(NEXT) | instid1(VALU_DEP_1)
	v_dual_fmamk_f32 v7, v3, 0x32a5705f, v7 :: v_dual_sub_f32 v6, v6, v12
	v_add_f32_e32 v6, v6, v7
	v_cvt_i32_f32_e32 v7, v12
	s_delay_alu instid0(VALU_DEP_2) | instskip(SKIP_2) | instid1(VALU_DEP_1)
	v_exp_f32_e32 v6, v6
	s_waitcnt_depctr 0xfff
	v_ldexp_f32 v6, v6, v7
	v_cndmask_b32_e32 v6, 0, v6, vcc_lo
	v_cmp_nlt_f32_e32 vcc_lo, 0x42b17218, v3
	s_delay_alu instid0(VALU_DEP_2) | instskip(NEXT) | instid1(VALU_DEP_1)
	v_cndmask_b32_e32 v3, 0x7f800000, v6, vcc_lo
	v_add_f32_e32 v12, 1.0, v3
	s_delay_alu instid0(VALU_DEP_1) | instskip(NEXT) | instid1(VALU_DEP_1)
	v_cvt_f64_f32_e32 v[6:7], v12
	v_frexp_exp_i32_f64_e32 v6, v[6:7]
	v_frexp_mant_f32_e32 v7, v12
	s_delay_alu instid0(VALU_DEP_1) | instskip(SKIP_1) | instid1(VALU_DEP_1)
	v_cmp_gt_f32_e32 vcc_lo, 0x3f2aaaab, v7
	v_add_f32_e32 v7, -1.0, v12
	v_sub_f32_e32 v48, v7, v12
	s_delay_alu instid0(VALU_DEP_1) | instskip(NEXT) | instid1(VALU_DEP_1)
	v_dual_add_f32 v48, 1.0, v48 :: v_dual_sub_f32 v7, v3, v7
	v_add_f32_e32 v7, v7, v48
	v_subrev_co_ci_u32_e32 v6, vcc_lo, 0, v6, vcc_lo
	v_cmp_eq_f32_e32 vcc_lo, 0x7f800000, v3
	s_delay_alu instid0(VALU_DEP_2) | instskip(SKIP_1) | instid1(VALU_DEP_2)
	v_sub_nc_u32_e32 v13, 0, v6
	v_cvt_f32_i32_e32 v6, v6
	v_ldexp_f32 v12, v12, v13
	v_ldexp_f32 v7, v7, v13
	s_delay_alu instid0(VALU_DEP_2) | instskip(NEXT) | instid1(VALU_DEP_1)
	v_add_f32_e32 v49, 1.0, v12
	v_dual_add_f32 v13, -1.0, v12 :: v_dual_add_f32 v48, -1.0, v49
	s_delay_alu instid0(VALU_DEP_1) | instskip(NEXT) | instid1(VALU_DEP_2)
	v_add_f32_e32 v50, 1.0, v13
	v_sub_f32_e32 v48, v12, v48
	s_delay_alu instid0(VALU_DEP_2) | instskip(NEXT) | instid1(VALU_DEP_2)
	v_sub_f32_e32 v12, v12, v50
	v_add_f32_e32 v48, v7, v48
	s_delay_alu instid0(VALU_DEP_2) | instskip(NEXT) | instid1(VALU_DEP_1)
	v_add_f32_e32 v7, v7, v12
	v_add_f32_e32 v51, v13, v7
	s_delay_alu instid0(VALU_DEP_3) | instskip(NEXT) | instid1(VALU_DEP_2)
	v_add_f32_e32 v50, v49, v48
	v_sub_f32_e32 v13, v13, v51
	s_delay_alu instid0(VALU_DEP_2) | instskip(SKIP_1) | instid1(VALU_DEP_1)
	v_rcp_f32_e32 v12, v50
	v_sub_f32_e32 v49, v49, v50
	v_add_f32_e32 v48, v48, v49
	s_delay_alu instid0(VALU_DEP_3) | instskip(SKIP_2) | instid1(VALU_DEP_1)
	v_add_f32_e32 v7, v7, v13
	s_waitcnt_depctr 0xfff
	v_mul_f32_e32 v52, v51, v12
	v_mul_f32_e32 v53, v50, v52
	s_delay_alu instid0(VALU_DEP_1) | instskip(NEXT) | instid1(VALU_DEP_1)
	v_fma_f32 v49, v52, v50, -v53
	v_fmac_f32_e32 v49, v52, v48
	s_delay_alu instid0(VALU_DEP_1) | instskip(NEXT) | instid1(VALU_DEP_1)
	v_add_f32_e32 v54, v53, v49
	v_sub_f32_e32 v55, v51, v54
	s_delay_alu instid0(VALU_DEP_1) | instskip(NEXT) | instid1(VALU_DEP_1)
	v_sub_f32_e32 v51, v51, v55
	v_sub_f32_e32 v51, v51, v54
	s_delay_alu instid0(VALU_DEP_1) | instskip(SKIP_1) | instid1(VALU_DEP_1)
	v_add_f32_e32 v7, v7, v51
	v_sub_f32_e32 v13, v54, v53
	v_sub_f32_e32 v13, v13, v49
	s_delay_alu instid0(VALU_DEP_1) | instskip(NEXT) | instid1(VALU_DEP_1)
	v_add_f32_e32 v7, v13, v7
	v_add_f32_e32 v13, v55, v7
	s_delay_alu instid0(VALU_DEP_1) | instskip(SKIP_1) | instid1(VALU_DEP_2)
	v_mul_f32_e32 v49, v12, v13
	v_sub_f32_e32 v54, v55, v13
	v_mul_f32_e32 v51, v50, v49
	s_delay_alu instid0(VALU_DEP_2) | instskip(NEXT) | instid1(VALU_DEP_2)
	v_add_f32_e32 v7, v7, v54
	v_fma_f32 v50, v49, v50, -v51
	s_delay_alu instid0(VALU_DEP_1) | instskip(NEXT) | instid1(VALU_DEP_1)
	v_fmac_f32_e32 v50, v49, v48
	v_add_f32_e32 v48, v51, v50
	s_delay_alu instid0(VALU_DEP_1) | instskip(SKIP_1) | instid1(VALU_DEP_2)
	v_sub_f32_e32 v53, v13, v48
	v_sub_f32_e32 v51, v48, v51
	;; [unrolled: 1-line block ×3, first 2 shown]
	s_delay_alu instid0(VALU_DEP_1) | instskip(NEXT) | instid1(VALU_DEP_1)
	v_dual_sub_f32 v13, v13, v48 :: v_dual_sub_f32 v48, v51, v50
	v_add_f32_e32 v7, v7, v13
	v_add_f32_e32 v13, v52, v49
	s_delay_alu instid0(VALU_DEP_1) | instskip(NEXT) | instid1(VALU_DEP_1)
	v_dual_add_f32 v7, v48, v7 :: v_dual_sub_f32 v48, v13, v52
	v_add_f32_e32 v7, v53, v7
	s_delay_alu instid0(VALU_DEP_1) | instskip(NEXT) | instid1(VALU_DEP_1)
	v_dual_sub_f32 v48, v49, v48 :: v_dual_mul_f32 v7, v12, v7
	v_add_f32_e32 v7, v48, v7
	s_delay_alu instid0(VALU_DEP_1) | instskip(NEXT) | instid1(VALU_DEP_1)
	v_add_f32_e32 v12, v13, v7
	v_mul_f32_e32 v48, v12, v12
	s_delay_alu instid0(VALU_DEP_1) | instskip(SKIP_2) | instid1(VALU_DEP_3)
	v_fmaak_f32 v49, s2, v48, 0x3ecc95a3
	v_mul_f32_e32 v50, v12, v48
	v_cmp_gt_f32_e64 s2, 0x33800000, |v3|
	v_fmaak_f32 v48, v48, v49, 0x3f2aaada
	v_ldexp_f32 v49, v12, 1
	v_sub_f32_e32 v12, v12, v13
	s_delay_alu instid0(VALU_DEP_4) | instskip(NEXT) | instid1(VALU_DEP_3)
	s_or_b32 vcc_lo, vcc_lo, s2
	v_mul_f32_e32 v48, v50, v48
	s_delay_alu instid0(VALU_DEP_2) | instskip(NEXT) | instid1(VALU_DEP_2)
	v_dual_mul_f32 v50, 0x3f317218, v6 :: v_dual_sub_f32 v7, v7, v12
	v_add_f32_e32 v13, v49, v48
	s_delay_alu instid0(VALU_DEP_2) | instskip(NEXT) | instid1(VALU_DEP_2)
	v_ldexp_f32 v7, v7, 1
	v_sub_f32_e32 v12, v13, v49
	s_delay_alu instid0(VALU_DEP_4) | instskip(NEXT) | instid1(VALU_DEP_2)
	v_fma_f32 v49, 0x3f317218, v6, -v50
	v_sub_f32_e32 v12, v48, v12
	s_delay_alu instid0(VALU_DEP_1) | instskip(NEXT) | instid1(VALU_DEP_1)
	v_dual_fmamk_f32 v6, v6, 0xb102e308, v49 :: v_dual_add_f32 v7, v7, v12
	v_add_f32_e32 v12, v50, v6
	s_delay_alu instid0(VALU_DEP_2) | instskip(NEXT) | instid1(VALU_DEP_2)
	v_add_f32_e32 v48, v13, v7
	v_sub_f32_e32 v50, v12, v50
	s_delay_alu instid0(VALU_DEP_2) | instskip(NEXT) | instid1(VALU_DEP_2)
	v_add_f32_e32 v49, v12, v48
	v_dual_sub_f32 v13, v48, v13 :: v_dual_sub_f32 v6, v6, v50
	s_delay_alu instid0(VALU_DEP_2) | instskip(NEXT) | instid1(VALU_DEP_1)
	v_sub_f32_e32 v51, v49, v12
	v_dual_sub_f32 v52, v49, v51 :: v_dual_sub_f32 v7, v7, v13
	v_sub_f32_e32 v13, v48, v51
	s_delay_alu instid0(VALU_DEP_2) | instskip(NEXT) | instid1(VALU_DEP_3)
	v_sub_f32_e32 v12, v12, v52
	v_add_f32_e32 v48, v6, v7
	s_delay_alu instid0(VALU_DEP_1) | instskip(NEXT) | instid1(VALU_DEP_1)
	v_dual_add_f32 v12, v13, v12 :: v_dual_sub_f32 v13, v48, v6
	v_dual_add_f32 v12, v48, v12 :: v_dual_sub_f32 v7, v7, v13
	v_sub_f32_e32 v48, v48, v13
	s_delay_alu instid0(VALU_DEP_1) | instskip(NEXT) | instid1(VALU_DEP_1)
	v_sub_f32_e32 v6, v6, v48
	v_add_f32_e32 v6, v7, v6
	s_delay_alu instid0(VALU_DEP_4) | instskip(NEXT) | instid1(VALU_DEP_1)
	v_add_f32_e32 v50, v49, v12
	v_sub_f32_e32 v13, v50, v49
	s_delay_alu instid0(VALU_DEP_1) | instskip(NEXT) | instid1(VALU_DEP_1)
	v_sub_f32_e32 v7, v12, v13
	v_add_f32_e32 v6, v6, v7
	s_delay_alu instid0(VALU_DEP_1) | instskip(NEXT) | instid1(VALU_DEP_1)
	v_add_f32_e32 v6, v50, v6
	v_cndmask_b32_e32 v3, v6, v3, vcc_lo
	s_delay_alu instid0(VALU_DEP_1)
	v_add_f32_e32 v3, v2, v3
.LBB481_338:
	s_or_b32 exec_lo, exec_lo, s1
	s_delay_alu instid0(VALU_DEP_1) | instskip(SKIP_1) | instid1(VALU_DEP_2)
	v_bfe_u32 v2, v3, 16, 1
	v_cmp_o_f32_e32 vcc_lo, v3, v3
	v_add3_u32 v2, v3, v2, 0x7fff
	s_delay_alu instid0(VALU_DEP_1) | instskip(NEXT) | instid1(VALU_DEP_1)
	v_lshrrev_b32_e32 v2, 16, v2
	v_cndmask_b32_e32 v67, 0x7fc0, v2, vcc_lo
	s_delay_alu instid0(VALU_DEP_1) | instskip(NEXT) | instid1(VALU_DEP_1)
	v_lshlrev_b32_e32 v3, 16, v67
	v_max_f32_e32 v2, v3, v3
	s_delay_alu instid0(VALU_DEP_1) | instskip(SKIP_2) | instid1(VALU_DEP_3)
	v_min_f32_e32 v6, v2, v68
	v_max_f32_e32 v2, v2, v68
	v_cmp_u_f32_e32 vcc_lo, v3, v3
	v_cndmask_b32_e32 v6, v6, v3, vcc_lo
	s_delay_alu instid0(VALU_DEP_3) | instskip(NEXT) | instid1(VALU_DEP_2)
	v_cndmask_b32_e32 v2, v2, v3, vcc_lo
	v_cndmask_b32_e64 v6, v6, v39, s11
	s_delay_alu instid0(VALU_DEP_2) | instskip(NEXT) | instid1(VALU_DEP_2)
	v_cndmask_b32_e64 v2, v2, v39, s11
	v_cmp_class_f32_e64 s1, v6, 0x1f8
	s_delay_alu instid0(VALU_DEP_2) | instskip(NEXT) | instid1(VALU_DEP_2)
	v_cmp_neq_f32_e32 vcc_lo, v6, v2
	s_or_b32 s2, vcc_lo, s1
	s_delay_alu instid0(SALU_CYCLE_1)
	s_and_saveexec_b32 s1, s2
	s_cbranch_execz .LBB481_340
; %bb.339:
	v_sub_f32_e32 v3, v6, v2
	s_mov_b32 s2, 0x3e9b6dac
	s_delay_alu instid0(VALU_DEP_1) | instskip(SKIP_1) | instid1(VALU_DEP_2)
	v_mul_f32_e32 v6, 0x3fb8aa3b, v3
	v_cmp_ngt_f32_e32 vcc_lo, 0xc2ce8ed0, v3
	v_fma_f32 v7, 0x3fb8aa3b, v3, -v6
	v_rndne_f32_e32 v12, v6
	s_delay_alu instid0(VALU_DEP_1) | instskip(NEXT) | instid1(VALU_DEP_1)
	v_dual_fmamk_f32 v7, v3, 0x32a5705f, v7 :: v_dual_sub_f32 v6, v6, v12
	v_add_f32_e32 v6, v6, v7
	v_cvt_i32_f32_e32 v7, v12
	s_delay_alu instid0(VALU_DEP_2) | instskip(SKIP_2) | instid1(VALU_DEP_1)
	v_exp_f32_e32 v6, v6
	s_waitcnt_depctr 0xfff
	v_ldexp_f32 v6, v6, v7
	v_cndmask_b32_e32 v6, 0, v6, vcc_lo
	v_cmp_nlt_f32_e32 vcc_lo, 0x42b17218, v3
	s_delay_alu instid0(VALU_DEP_2) | instskip(NEXT) | instid1(VALU_DEP_1)
	v_cndmask_b32_e32 v3, 0x7f800000, v6, vcc_lo
	v_add_f32_e32 v12, 1.0, v3
	s_delay_alu instid0(VALU_DEP_1) | instskip(NEXT) | instid1(VALU_DEP_1)
	v_cvt_f64_f32_e32 v[6:7], v12
	v_frexp_exp_i32_f64_e32 v6, v[6:7]
	v_frexp_mant_f32_e32 v7, v12
	s_delay_alu instid0(VALU_DEP_1) | instskip(SKIP_1) | instid1(VALU_DEP_1)
	v_cmp_gt_f32_e32 vcc_lo, 0x3f2aaaab, v7
	v_add_f32_e32 v7, -1.0, v12
	v_sub_f32_e32 v39, v7, v12
	v_sub_f32_e32 v7, v3, v7
	v_subrev_co_ci_u32_e32 v6, vcc_lo, 0, v6, vcc_lo
	s_delay_alu instid0(VALU_DEP_1) | instskip(SKIP_1) | instid1(VALU_DEP_2)
	v_sub_nc_u32_e32 v13, 0, v6
	v_cvt_f32_i32_e32 v6, v6
	v_ldexp_f32 v12, v12, v13
	s_delay_alu instid0(VALU_DEP_1) | instskip(NEXT) | instid1(VALU_DEP_1)
	v_dual_add_f32 v48, 1.0, v12 :: v_dual_add_f32 v39, 1.0, v39
	v_add_f32_e32 v7, v7, v39
	s_delay_alu instid0(VALU_DEP_2) | instskip(NEXT) | instid1(VALU_DEP_2)
	v_add_f32_e32 v39, -1.0, v48
	v_ldexp_f32 v7, v7, v13
	v_add_f32_e32 v13, -1.0, v12
	s_delay_alu instid0(VALU_DEP_3) | instskip(NEXT) | instid1(VALU_DEP_2)
	v_sub_f32_e32 v39, v12, v39
	v_add_f32_e32 v49, 1.0, v13
	s_delay_alu instid0(VALU_DEP_1) | instskip(NEXT) | instid1(VALU_DEP_1)
	v_dual_add_f32 v39, v7, v39 :: v_dual_sub_f32 v12, v12, v49
	v_add_f32_e32 v49, v48, v39
	v_cmp_eq_f32_e32 vcc_lo, 0x7f800000, v3
	s_delay_alu instid0(VALU_DEP_3) | instskip(NEXT) | instid1(VALU_DEP_3)
	v_add_f32_e32 v7, v7, v12
	v_rcp_f32_e32 v12, v49
	v_sub_f32_e32 v48, v48, v49
	s_delay_alu instid0(VALU_DEP_1) | instskip(SKIP_2) | instid1(VALU_DEP_1)
	v_dual_add_f32 v50, v13, v7 :: v_dual_add_f32 v39, v39, v48
	s_waitcnt_depctr 0xfff
	v_mul_f32_e32 v51, v50, v12
	v_mul_f32_e32 v52, v49, v51
	v_sub_f32_e32 v13, v13, v50
	s_delay_alu instid0(VALU_DEP_2) | instskip(NEXT) | instid1(VALU_DEP_2)
	v_fma_f32 v48, v51, v49, -v52
	v_add_f32_e32 v7, v7, v13
	s_delay_alu instid0(VALU_DEP_2) | instskip(NEXT) | instid1(VALU_DEP_1)
	v_fmac_f32_e32 v48, v51, v39
	v_add_f32_e32 v53, v52, v48
	s_delay_alu instid0(VALU_DEP_1) | instskip(NEXT) | instid1(VALU_DEP_1)
	v_dual_sub_f32 v54, v50, v53 :: v_dual_sub_f32 v13, v53, v52
	v_dual_sub_f32 v50, v50, v54 :: v_dual_sub_f32 v13, v13, v48
	s_delay_alu instid0(VALU_DEP_1) | instskip(NEXT) | instid1(VALU_DEP_1)
	v_sub_f32_e32 v50, v50, v53
	v_add_f32_e32 v7, v7, v50
	s_delay_alu instid0(VALU_DEP_1) | instskip(NEXT) | instid1(VALU_DEP_1)
	v_add_f32_e32 v7, v13, v7
	v_add_f32_e32 v13, v54, v7
	s_delay_alu instid0(VALU_DEP_1) | instskip(NEXT) | instid1(VALU_DEP_1)
	v_mul_f32_e32 v48, v12, v13
	v_dual_sub_f32 v53, v54, v13 :: v_dual_mul_f32 v50, v49, v48
	s_delay_alu instid0(VALU_DEP_1) | instskip(NEXT) | instid1(VALU_DEP_2)
	v_add_f32_e32 v7, v7, v53
	v_fma_f32 v49, v48, v49, -v50
	s_delay_alu instid0(VALU_DEP_1) | instskip(NEXT) | instid1(VALU_DEP_1)
	v_fmac_f32_e32 v49, v48, v39
	v_add_f32_e32 v39, v50, v49
	s_delay_alu instid0(VALU_DEP_1) | instskip(NEXT) | instid1(VALU_DEP_1)
	v_sub_f32_e32 v52, v13, v39
	v_dual_sub_f32 v50, v39, v50 :: v_dual_sub_f32 v13, v13, v52
	s_delay_alu instid0(VALU_DEP_1) | instskip(NEXT) | instid1(VALU_DEP_2)
	v_sub_f32_e32 v13, v13, v39
	v_sub_f32_e32 v39, v50, v49
	s_delay_alu instid0(VALU_DEP_2) | instskip(SKIP_1) | instid1(VALU_DEP_2)
	v_add_f32_e32 v7, v7, v13
	v_add_f32_e32 v13, v51, v48
	;; [unrolled: 1-line block ×3, first 2 shown]
	s_delay_alu instid0(VALU_DEP_2) | instskip(NEXT) | instid1(VALU_DEP_2)
	v_sub_f32_e32 v39, v13, v51
	v_add_f32_e32 v7, v52, v7
	s_delay_alu instid0(VALU_DEP_2) | instskip(NEXT) | instid1(VALU_DEP_2)
	v_sub_f32_e32 v39, v48, v39
	v_mul_f32_e32 v7, v12, v7
	s_delay_alu instid0(VALU_DEP_1) | instskip(NEXT) | instid1(VALU_DEP_1)
	v_add_f32_e32 v7, v39, v7
	v_add_f32_e32 v12, v13, v7
	s_delay_alu instid0(VALU_DEP_1) | instskip(NEXT) | instid1(VALU_DEP_1)
	v_mul_f32_e32 v39, v12, v12
	v_fmaak_f32 v48, s2, v39, 0x3ecc95a3
	v_mul_f32_e32 v49, v12, v39
	v_cmp_gt_f32_e64 s2, 0x33800000, |v3|
	s_delay_alu instid0(VALU_DEP_3) | instskip(SKIP_2) | instid1(VALU_DEP_4)
	v_fmaak_f32 v39, v39, v48, 0x3f2aaada
	v_ldexp_f32 v48, v12, 1
	v_sub_f32_e32 v12, v12, v13
	s_or_b32 vcc_lo, vcc_lo, s2
	s_delay_alu instid0(VALU_DEP_3) | instskip(SKIP_1) | instid1(VALU_DEP_3)
	v_mul_f32_e32 v39, v49, v39
	v_mul_f32_e32 v49, 0x3f317218, v6
	v_sub_f32_e32 v7, v7, v12
	s_delay_alu instid0(VALU_DEP_3) | instskip(NEXT) | instid1(VALU_DEP_2)
	v_add_f32_e32 v13, v48, v39
	v_ldexp_f32 v7, v7, 1
	s_delay_alu instid0(VALU_DEP_2) | instskip(SKIP_1) | instid1(VALU_DEP_2)
	v_sub_f32_e32 v12, v13, v48
	v_fma_f32 v48, 0x3f317218, v6, -v49
	v_sub_f32_e32 v12, v39, v12
	s_delay_alu instid0(VALU_DEP_1) | instskip(NEXT) | instid1(VALU_DEP_1)
	v_dual_fmamk_f32 v6, v6, 0xb102e308, v48 :: v_dual_add_f32 v7, v7, v12
	v_add_f32_e32 v12, v49, v6
	s_delay_alu instid0(VALU_DEP_2) | instskip(NEXT) | instid1(VALU_DEP_2)
	v_add_f32_e32 v39, v13, v7
	v_sub_f32_e32 v49, v12, v49
	s_delay_alu instid0(VALU_DEP_2) | instskip(NEXT) | instid1(VALU_DEP_2)
	v_dual_add_f32 v48, v12, v39 :: v_dual_sub_f32 v13, v39, v13
	v_sub_f32_e32 v6, v6, v49
	s_delay_alu instid0(VALU_DEP_2) | instskip(NEXT) | instid1(VALU_DEP_1)
	v_dual_sub_f32 v50, v48, v12 :: v_dual_sub_f32 v7, v7, v13
	v_sub_f32_e32 v51, v48, v50
	v_sub_f32_e32 v13, v39, v50
	s_delay_alu instid0(VALU_DEP_3) | instskip(NEXT) | instid1(VALU_DEP_3)
	v_add_f32_e32 v39, v6, v7
	v_sub_f32_e32 v12, v12, v51
	s_delay_alu instid0(VALU_DEP_1) | instskip(NEXT) | instid1(VALU_DEP_1)
	v_dual_add_f32 v12, v13, v12 :: v_dual_sub_f32 v13, v39, v6
	v_add_f32_e32 v12, v39, v12
	s_delay_alu instid0(VALU_DEP_2) | instskip(SKIP_1) | instid1(VALU_DEP_2)
	v_sub_f32_e32 v39, v39, v13
	v_sub_f32_e32 v7, v7, v13
	v_dual_add_f32 v49, v48, v12 :: v_dual_sub_f32 v6, v6, v39
	s_delay_alu instid0(VALU_DEP_1) | instskip(NEXT) | instid1(VALU_DEP_1)
	v_dual_sub_f32 v13, v49, v48 :: v_dual_add_f32 v6, v7, v6
	v_sub_f32_e32 v7, v12, v13
	s_delay_alu instid0(VALU_DEP_1) | instskip(NEXT) | instid1(VALU_DEP_1)
	v_add_f32_e32 v6, v6, v7
	v_add_f32_e32 v6, v49, v6
	s_delay_alu instid0(VALU_DEP_1) | instskip(NEXT) | instid1(VALU_DEP_1)
	v_cndmask_b32_e32 v3, v6, v3, vcc_lo
	v_add_f32_e32 v3, v2, v3
.LBB481_340:
	s_or_b32 exec_lo, exec_lo, s1
	s_delay_alu instid0(VALU_DEP_1) | instskip(SKIP_1) | instid1(VALU_DEP_2)
	v_bfe_u32 v2, v3, 16, 1
	v_cmp_o_f32_e32 vcc_lo, v3, v3
	v_add3_u32 v2, v3, v2, 0x7fff
	s_delay_alu instid0(VALU_DEP_1) | instskip(NEXT) | instid1(VALU_DEP_1)
	v_lshrrev_b32_e32 v2, 16, v2
	v_cndmask_b32_e32 v68, 0x7fc0, v2, vcc_lo
	s_delay_alu instid0(VALU_DEP_1) | instskip(NEXT) | instid1(VALU_DEP_1)
	v_lshlrev_b32_e32 v3, 16, v68
	v_max_f32_e32 v2, v3, v3
	s_delay_alu instid0(VALU_DEP_1) | instskip(SKIP_2) | instid1(VALU_DEP_3)
	v_min_f32_e32 v6, v2, v69
	v_max_f32_e32 v2, v2, v69
	v_cmp_u_f32_e32 vcc_lo, v3, v3
	v_cndmask_b32_e32 v6, v6, v3, vcc_lo
	s_delay_alu instid0(VALU_DEP_3) | instskip(NEXT) | instid1(VALU_DEP_2)
	v_cndmask_b32_e32 v2, v2, v3, vcc_lo
	v_cndmask_b32_e64 v6, v6, v38, s12
	s_delay_alu instid0(VALU_DEP_2) | instskip(NEXT) | instid1(VALU_DEP_2)
	v_cndmask_b32_e64 v2, v2, v38, s12
	v_cmp_class_f32_e64 s1, v6, 0x1f8
	s_delay_alu instid0(VALU_DEP_2) | instskip(NEXT) | instid1(VALU_DEP_2)
	v_cmp_neq_f32_e32 vcc_lo, v6, v2
	s_or_b32 s2, vcc_lo, s1
	s_delay_alu instid0(SALU_CYCLE_1)
	s_and_saveexec_b32 s1, s2
	s_cbranch_execz .LBB481_342
; %bb.341:
	v_sub_f32_e32 v3, v6, v2
	s_mov_b32 s2, 0x3e9b6dac
	s_delay_alu instid0(VALU_DEP_1) | instskip(SKIP_1) | instid1(VALU_DEP_2)
	v_mul_f32_e32 v6, 0x3fb8aa3b, v3
	v_cmp_ngt_f32_e32 vcc_lo, 0xc2ce8ed0, v3
	v_fma_f32 v7, 0x3fb8aa3b, v3, -v6
	v_rndne_f32_e32 v12, v6
	s_delay_alu instid0(VALU_DEP_1) | instskip(NEXT) | instid1(VALU_DEP_1)
	v_dual_fmamk_f32 v7, v3, 0x32a5705f, v7 :: v_dual_sub_f32 v6, v6, v12
	v_add_f32_e32 v6, v6, v7
	v_cvt_i32_f32_e32 v7, v12
	s_delay_alu instid0(VALU_DEP_2) | instskip(SKIP_2) | instid1(VALU_DEP_1)
	v_exp_f32_e32 v6, v6
	s_waitcnt_depctr 0xfff
	v_ldexp_f32 v6, v6, v7
	v_cndmask_b32_e32 v6, 0, v6, vcc_lo
	v_cmp_nlt_f32_e32 vcc_lo, 0x42b17218, v3
	s_delay_alu instid0(VALU_DEP_2) | instskip(NEXT) | instid1(VALU_DEP_1)
	v_cndmask_b32_e32 v3, 0x7f800000, v6, vcc_lo
	v_add_f32_e32 v12, 1.0, v3
	s_delay_alu instid0(VALU_DEP_1) | instskip(NEXT) | instid1(VALU_DEP_1)
	v_cvt_f64_f32_e32 v[6:7], v12
	v_frexp_exp_i32_f64_e32 v6, v[6:7]
	v_frexp_mant_f32_e32 v7, v12
	s_delay_alu instid0(VALU_DEP_1) | instskip(SKIP_1) | instid1(VALU_DEP_1)
	v_cmp_gt_f32_e32 vcc_lo, 0x3f2aaaab, v7
	v_add_f32_e32 v7, -1.0, v12
	v_sub_f32_e32 v38, v7, v12
	s_delay_alu instid0(VALU_DEP_1) | instskip(NEXT) | instid1(VALU_DEP_1)
	v_dual_sub_f32 v7, v3, v7 :: v_dual_add_f32 v38, 1.0, v38
	v_add_f32_e32 v7, v7, v38
	v_subrev_co_ci_u32_e32 v6, vcc_lo, 0, v6, vcc_lo
	s_delay_alu instid0(VALU_DEP_1) | instskip(SKIP_1) | instid1(VALU_DEP_2)
	v_sub_nc_u32_e32 v13, 0, v6
	v_cvt_f32_i32_e32 v6, v6
	v_ldexp_f32 v12, v12, v13
	v_ldexp_f32 v7, v7, v13
	s_delay_alu instid0(VALU_DEP_2) | instskip(NEXT) | instid1(VALU_DEP_1)
	v_add_f32_e32 v13, -1.0, v12
	v_dual_add_f32 v39, 1.0, v12 :: v_dual_add_f32 v48, 1.0, v13
	s_delay_alu instid0(VALU_DEP_1) | instskip(SKIP_1) | instid1(VALU_DEP_2)
	v_add_f32_e32 v38, -1.0, v39
	v_cmp_eq_f32_e32 vcc_lo, 0x7f800000, v3
	v_sub_f32_e32 v38, v12, v38
	s_delay_alu instid0(VALU_DEP_4) | instskip(NEXT) | instid1(VALU_DEP_2)
	v_sub_f32_e32 v12, v12, v48
	v_add_f32_e32 v38, v7, v38
	s_delay_alu instid0(VALU_DEP_2) | instskip(NEXT) | instid1(VALU_DEP_1)
	v_add_f32_e32 v7, v7, v12
	v_dual_add_f32 v49, v13, v7 :: v_dual_add_f32 v48, v39, v38
	s_delay_alu instid0(VALU_DEP_1) | instskip(NEXT) | instid1(VALU_DEP_2)
	v_sub_f32_e32 v13, v13, v49
	v_rcp_f32_e32 v12, v48
	v_sub_f32_e32 v39, v39, v48
	s_delay_alu instid0(VALU_DEP_1) | instskip(SKIP_2) | instid1(VALU_DEP_1)
	v_dual_add_f32 v7, v7, v13 :: v_dual_add_f32 v38, v38, v39
	s_waitcnt_depctr 0xfff
	v_mul_f32_e32 v50, v49, v12
	v_mul_f32_e32 v51, v48, v50
	s_delay_alu instid0(VALU_DEP_1) | instskip(NEXT) | instid1(VALU_DEP_1)
	v_fma_f32 v39, v50, v48, -v51
	v_fmac_f32_e32 v39, v50, v38
	s_delay_alu instid0(VALU_DEP_1) | instskip(NEXT) | instid1(VALU_DEP_1)
	v_add_f32_e32 v52, v51, v39
	v_sub_f32_e32 v53, v49, v52
	s_delay_alu instid0(VALU_DEP_1) | instskip(SKIP_1) | instid1(VALU_DEP_2)
	v_sub_f32_e32 v49, v49, v53
	v_sub_f32_e32 v13, v52, v51
	;; [unrolled: 1-line block ×3, first 2 shown]
	s_delay_alu instid0(VALU_DEP_2) | instskip(NEXT) | instid1(VALU_DEP_2)
	v_sub_f32_e32 v13, v13, v39
	v_add_f32_e32 v7, v7, v49
	s_delay_alu instid0(VALU_DEP_1) | instskip(NEXT) | instid1(VALU_DEP_1)
	v_add_f32_e32 v7, v13, v7
	v_add_f32_e32 v13, v53, v7
	s_delay_alu instid0(VALU_DEP_1) | instskip(NEXT) | instid1(VALU_DEP_1)
	v_mul_f32_e32 v39, v12, v13
	v_dual_sub_f32 v52, v53, v13 :: v_dual_mul_f32 v49, v48, v39
	s_delay_alu instid0(VALU_DEP_1) | instskip(NEXT) | instid1(VALU_DEP_2)
	v_add_f32_e32 v7, v7, v52
	v_fma_f32 v48, v39, v48, -v49
	s_delay_alu instid0(VALU_DEP_1) | instskip(NEXT) | instid1(VALU_DEP_1)
	v_fmac_f32_e32 v48, v39, v38
	v_add_f32_e32 v38, v49, v48
	s_delay_alu instid0(VALU_DEP_1) | instskip(SKIP_1) | instid1(VALU_DEP_2)
	v_sub_f32_e32 v51, v13, v38
	v_sub_f32_e32 v49, v38, v49
	;; [unrolled: 1-line block ×3, first 2 shown]
	s_delay_alu instid0(VALU_DEP_1) | instskip(NEXT) | instid1(VALU_DEP_1)
	v_sub_f32_e32 v13, v13, v38
	v_dual_sub_f32 v38, v49, v48 :: v_dual_add_f32 v7, v7, v13
	v_add_f32_e32 v13, v50, v39
	s_delay_alu instid0(VALU_DEP_1) | instskip(NEXT) | instid1(VALU_DEP_1)
	v_dual_add_f32 v7, v38, v7 :: v_dual_sub_f32 v38, v13, v50
	v_add_f32_e32 v7, v51, v7
	s_delay_alu instid0(VALU_DEP_1) | instskip(NEXT) | instid1(VALU_DEP_1)
	v_dual_sub_f32 v38, v39, v38 :: v_dual_mul_f32 v7, v12, v7
	v_add_f32_e32 v7, v38, v7
	s_delay_alu instid0(VALU_DEP_1) | instskip(NEXT) | instid1(VALU_DEP_1)
	v_add_f32_e32 v12, v13, v7
	v_mul_f32_e32 v38, v12, v12
	s_delay_alu instid0(VALU_DEP_1) | instskip(SKIP_2) | instid1(VALU_DEP_3)
	v_fmaak_f32 v39, s2, v38, 0x3ecc95a3
	v_mul_f32_e32 v48, v12, v38
	v_cmp_gt_f32_e64 s2, 0x33800000, |v3|
	v_fmaak_f32 v38, v38, v39, 0x3f2aaada
	v_ldexp_f32 v39, v12, 1
	v_sub_f32_e32 v12, v12, v13
	s_delay_alu instid0(VALU_DEP_4) | instskip(NEXT) | instid1(VALU_DEP_3)
	s_or_b32 vcc_lo, vcc_lo, s2
	v_mul_f32_e32 v38, v48, v38
	s_delay_alu instid0(VALU_DEP_2) | instskip(NEXT) | instid1(VALU_DEP_2)
	v_dual_mul_f32 v48, 0x3f317218, v6 :: v_dual_sub_f32 v7, v7, v12
	v_add_f32_e32 v13, v39, v38
	s_delay_alu instid0(VALU_DEP_2) | instskip(NEXT) | instid1(VALU_DEP_2)
	v_ldexp_f32 v7, v7, 1
	v_sub_f32_e32 v12, v13, v39
	s_delay_alu instid0(VALU_DEP_4) | instskip(NEXT) | instid1(VALU_DEP_2)
	v_fma_f32 v39, 0x3f317218, v6, -v48
	v_sub_f32_e32 v12, v38, v12
	s_delay_alu instid0(VALU_DEP_1) | instskip(NEXT) | instid1(VALU_DEP_1)
	v_dual_fmamk_f32 v6, v6, 0xb102e308, v39 :: v_dual_add_f32 v7, v7, v12
	v_add_f32_e32 v12, v48, v6
	s_delay_alu instid0(VALU_DEP_1) | instskip(NEXT) | instid1(VALU_DEP_1)
	v_sub_f32_e32 v48, v12, v48
	v_sub_f32_e32 v6, v6, v48
	s_delay_alu instid0(VALU_DEP_4) | instskip(NEXT) | instid1(VALU_DEP_1)
	v_add_f32_e32 v38, v13, v7
	v_sub_f32_e32 v13, v38, v13
	s_delay_alu instid0(VALU_DEP_1) | instskip(SKIP_1) | instid1(VALU_DEP_1)
	v_sub_f32_e32 v7, v7, v13
	v_add_f32_e32 v39, v12, v38
	v_sub_f32_e32 v49, v39, v12
	s_delay_alu instid0(VALU_DEP_1) | instskip(NEXT) | instid1(VALU_DEP_4)
	v_sub_f32_e32 v13, v38, v49
	v_add_f32_e32 v38, v6, v7
	v_sub_f32_e32 v50, v39, v49
	s_delay_alu instid0(VALU_DEP_1) | instskip(NEXT) | instid1(VALU_DEP_1)
	v_sub_f32_e32 v12, v12, v50
	v_dual_add_f32 v12, v13, v12 :: v_dual_sub_f32 v13, v38, v6
	s_delay_alu instid0(VALU_DEP_1) | instskip(SKIP_1) | instid1(VALU_DEP_2)
	v_dual_add_f32 v12, v38, v12 :: v_dual_sub_f32 v7, v7, v13
	v_sub_f32_e32 v38, v38, v13
	v_add_f32_e32 v48, v39, v12
	s_delay_alu instid0(VALU_DEP_1) | instskip(NEXT) | instid1(VALU_DEP_1)
	v_dual_sub_f32 v6, v6, v38 :: v_dual_sub_f32 v13, v48, v39
	v_dual_add_f32 v6, v7, v6 :: v_dual_sub_f32 v7, v12, v13
	s_delay_alu instid0(VALU_DEP_1) | instskip(NEXT) | instid1(VALU_DEP_1)
	v_add_f32_e32 v6, v6, v7
	v_add_f32_e32 v6, v48, v6
	s_delay_alu instid0(VALU_DEP_1) | instskip(NEXT) | instid1(VALU_DEP_1)
	v_cndmask_b32_e32 v3, v6, v3, vcc_lo
	v_add_f32_e32 v3, v2, v3
.LBB481_342:
	s_or_b32 exec_lo, exec_lo, s1
	s_delay_alu instid0(VALU_DEP_1) | instskip(SKIP_1) | instid1(VALU_DEP_2)
	v_bfe_u32 v2, v3, 16, 1
	v_cmp_o_f32_e32 vcc_lo, v3, v3
	v_add3_u32 v2, v3, v2, 0x7fff
	s_delay_alu instid0(VALU_DEP_1) | instskip(NEXT) | instid1(VALU_DEP_1)
	v_lshrrev_b32_e32 v2, 16, v2
	v_cndmask_b32_e32 v69, 0x7fc0, v2, vcc_lo
	s_delay_alu instid0(VALU_DEP_1) | instskip(NEXT) | instid1(VALU_DEP_1)
	v_lshlrev_b32_e32 v3, 16, v69
	v_max_f32_e32 v2, v3, v3
	s_delay_alu instid0(VALU_DEP_1) | instskip(SKIP_2) | instid1(VALU_DEP_3)
	v_min_f32_e32 v6, v2, v70
	v_max_f32_e32 v2, v2, v70
	v_cmp_u_f32_e32 vcc_lo, v3, v3
	v_cndmask_b32_e32 v6, v6, v3, vcc_lo
	s_delay_alu instid0(VALU_DEP_3) | instskip(NEXT) | instid1(VALU_DEP_2)
	v_cndmask_b32_e32 v2, v2, v3, vcc_lo
	v_cndmask_b32_e64 v6, v6, v37, s13
	s_delay_alu instid0(VALU_DEP_2) | instskip(NEXT) | instid1(VALU_DEP_2)
	v_cndmask_b32_e64 v2, v2, v37, s13
	v_cmp_class_f32_e64 s1, v6, 0x1f8
	s_delay_alu instid0(VALU_DEP_2) | instskip(NEXT) | instid1(VALU_DEP_2)
	v_cmp_neq_f32_e32 vcc_lo, v6, v2
	s_or_b32 s2, vcc_lo, s1
	s_delay_alu instid0(SALU_CYCLE_1)
	s_and_saveexec_b32 s1, s2
	s_cbranch_execz .LBB481_344
; %bb.343:
	v_sub_f32_e32 v3, v6, v2
	s_mov_b32 s2, 0x3e9b6dac
	s_delay_alu instid0(VALU_DEP_1) | instskip(SKIP_1) | instid1(VALU_DEP_2)
	v_mul_f32_e32 v6, 0x3fb8aa3b, v3
	v_cmp_ngt_f32_e32 vcc_lo, 0xc2ce8ed0, v3
	v_fma_f32 v7, 0x3fb8aa3b, v3, -v6
	v_rndne_f32_e32 v12, v6
	s_delay_alu instid0(VALU_DEP_1) | instskip(NEXT) | instid1(VALU_DEP_1)
	v_dual_fmamk_f32 v7, v3, 0x32a5705f, v7 :: v_dual_sub_f32 v6, v6, v12
	v_add_f32_e32 v6, v6, v7
	v_cvt_i32_f32_e32 v7, v12
	s_delay_alu instid0(VALU_DEP_2) | instskip(SKIP_2) | instid1(VALU_DEP_1)
	v_exp_f32_e32 v6, v6
	s_waitcnt_depctr 0xfff
	v_ldexp_f32 v6, v6, v7
	v_cndmask_b32_e32 v6, 0, v6, vcc_lo
	v_cmp_nlt_f32_e32 vcc_lo, 0x42b17218, v3
	s_delay_alu instid0(VALU_DEP_2) | instskip(NEXT) | instid1(VALU_DEP_1)
	v_cndmask_b32_e32 v3, 0x7f800000, v6, vcc_lo
	v_add_f32_e32 v12, 1.0, v3
	s_delay_alu instid0(VALU_DEP_1) | instskip(NEXT) | instid1(VALU_DEP_1)
	v_cvt_f64_f32_e32 v[6:7], v12
	v_frexp_exp_i32_f64_e32 v6, v[6:7]
	v_frexp_mant_f32_e32 v7, v12
	s_delay_alu instid0(VALU_DEP_1) | instskip(SKIP_1) | instid1(VALU_DEP_1)
	v_cmp_gt_f32_e32 vcc_lo, 0x3f2aaaab, v7
	v_add_f32_e32 v7, -1.0, v12
	v_sub_f32_e32 v37, v7, v12
	v_sub_f32_e32 v7, v3, v7
	s_delay_alu instid0(VALU_DEP_2) | instskip(SKIP_1) | instid1(VALU_DEP_1)
	v_add_f32_e32 v37, 1.0, v37
	v_subrev_co_ci_u32_e32 v6, vcc_lo, 0, v6, vcc_lo
	v_sub_nc_u32_e32 v13, 0, v6
	v_cvt_f32_i32_e32 v6, v6
	s_delay_alu instid0(VALU_DEP_2) | instskip(NEXT) | instid1(VALU_DEP_1)
	v_ldexp_f32 v12, v12, v13
	v_dual_add_f32 v38, 1.0, v12 :: v_dual_add_f32 v7, v7, v37
	s_delay_alu instid0(VALU_DEP_1) | instskip(SKIP_1) | instid1(VALU_DEP_3)
	v_ldexp_f32 v7, v7, v13
	v_add_f32_e32 v13, -1.0, v12
	v_add_f32_e32 v37, -1.0, v38
	s_delay_alu instid0(VALU_DEP_2) | instskip(NEXT) | instid1(VALU_DEP_2)
	v_add_f32_e32 v39, 1.0, v13
	v_sub_f32_e32 v37, v12, v37
	s_delay_alu instid0(VALU_DEP_1) | instskip(SKIP_1) | instid1(VALU_DEP_2)
	v_dual_sub_f32 v12, v12, v39 :: v_dual_add_f32 v37, v7, v37
	v_cmp_eq_f32_e32 vcc_lo, 0x7f800000, v3
	v_add_f32_e32 v39, v38, v37
	s_delay_alu instid0(VALU_DEP_1) | instskip(NEXT) | instid1(VALU_DEP_1)
	v_sub_f32_e32 v38, v38, v39
	v_add_f32_e32 v37, v37, v38
	v_add_f32_e32 v7, v7, v12
	v_rcp_f32_e32 v12, v39
	s_delay_alu instid0(VALU_DEP_1) | instskip(SKIP_2) | instid1(VALU_DEP_1)
	v_add_f32_e32 v48, v13, v7
	s_waitcnt_depctr 0xfff
	v_mul_f32_e32 v49, v48, v12
	v_dual_mul_f32 v50, v39, v49 :: v_dual_sub_f32 v13, v13, v48
	s_delay_alu instid0(VALU_DEP_1) | instskip(NEXT) | instid1(VALU_DEP_1)
	v_fma_f32 v38, v49, v39, -v50
	v_fmac_f32_e32 v38, v49, v37
	s_delay_alu instid0(VALU_DEP_3) | instskip(NEXT) | instid1(VALU_DEP_2)
	v_add_f32_e32 v7, v7, v13
	v_add_f32_e32 v51, v50, v38
	s_delay_alu instid0(VALU_DEP_1) | instskip(NEXT) | instid1(VALU_DEP_1)
	v_dual_sub_f32 v52, v48, v51 :: v_dual_sub_f32 v13, v51, v50
	v_dual_sub_f32 v48, v48, v52 :: v_dual_sub_f32 v13, v13, v38
	s_delay_alu instid0(VALU_DEP_1) | instskip(NEXT) | instid1(VALU_DEP_1)
	v_sub_f32_e32 v48, v48, v51
	v_add_f32_e32 v7, v7, v48
	s_delay_alu instid0(VALU_DEP_1) | instskip(NEXT) | instid1(VALU_DEP_1)
	v_add_f32_e32 v7, v13, v7
	v_add_f32_e32 v13, v52, v7
	s_delay_alu instid0(VALU_DEP_1) | instskip(NEXT) | instid1(VALU_DEP_1)
	v_mul_f32_e32 v38, v12, v13
	v_dual_sub_f32 v51, v52, v13 :: v_dual_mul_f32 v48, v39, v38
	s_delay_alu instid0(VALU_DEP_1) | instskip(NEXT) | instid1(VALU_DEP_2)
	v_add_f32_e32 v7, v7, v51
	v_fma_f32 v39, v38, v39, -v48
	s_delay_alu instid0(VALU_DEP_1) | instskip(NEXT) | instid1(VALU_DEP_1)
	v_fmac_f32_e32 v39, v38, v37
	v_add_f32_e32 v37, v48, v39
	s_delay_alu instid0(VALU_DEP_1) | instskip(SKIP_1) | instid1(VALU_DEP_2)
	v_sub_f32_e32 v50, v13, v37
	v_sub_f32_e32 v48, v37, v48
	;; [unrolled: 1-line block ×3, first 2 shown]
	s_delay_alu instid0(VALU_DEP_1) | instskip(NEXT) | instid1(VALU_DEP_3)
	v_sub_f32_e32 v13, v13, v37
	v_sub_f32_e32 v37, v48, v39
	s_delay_alu instid0(VALU_DEP_2) | instskip(SKIP_1) | instid1(VALU_DEP_2)
	v_add_f32_e32 v7, v7, v13
	v_add_f32_e32 v13, v49, v38
	;; [unrolled: 1-line block ×3, first 2 shown]
	s_delay_alu instid0(VALU_DEP_2) | instskip(NEXT) | instid1(VALU_DEP_2)
	v_sub_f32_e32 v37, v13, v49
	v_add_f32_e32 v7, v50, v7
	s_delay_alu instid0(VALU_DEP_2) | instskip(NEXT) | instid1(VALU_DEP_2)
	v_sub_f32_e32 v37, v38, v37
	v_mul_f32_e32 v7, v12, v7
	s_delay_alu instid0(VALU_DEP_1) | instskip(NEXT) | instid1(VALU_DEP_1)
	v_add_f32_e32 v7, v37, v7
	v_add_f32_e32 v12, v13, v7
	s_delay_alu instid0(VALU_DEP_1) | instskip(NEXT) | instid1(VALU_DEP_1)
	v_mul_f32_e32 v37, v12, v12
	v_fmaak_f32 v38, s2, v37, 0x3ecc95a3
	v_mul_f32_e32 v39, v12, v37
	v_cmp_gt_f32_e64 s2, 0x33800000, |v3|
	s_delay_alu instid0(VALU_DEP_3) | instskip(SKIP_2) | instid1(VALU_DEP_4)
	v_fmaak_f32 v37, v37, v38, 0x3f2aaada
	v_ldexp_f32 v38, v12, 1
	v_sub_f32_e32 v12, v12, v13
	s_or_b32 vcc_lo, vcc_lo, s2
	s_delay_alu instid0(VALU_DEP_3) | instskip(SKIP_1) | instid1(VALU_DEP_3)
	v_mul_f32_e32 v37, v39, v37
	v_mul_f32_e32 v39, 0x3f317218, v6
	v_sub_f32_e32 v7, v7, v12
	s_delay_alu instid0(VALU_DEP_3) | instskip(NEXT) | instid1(VALU_DEP_2)
	v_add_f32_e32 v13, v38, v37
	v_ldexp_f32 v7, v7, 1
	s_delay_alu instid0(VALU_DEP_2) | instskip(SKIP_1) | instid1(VALU_DEP_2)
	v_sub_f32_e32 v12, v13, v38
	v_fma_f32 v38, 0x3f317218, v6, -v39
	v_sub_f32_e32 v12, v37, v12
	s_delay_alu instid0(VALU_DEP_1) | instskip(NEXT) | instid1(VALU_DEP_1)
	v_dual_fmamk_f32 v6, v6, 0xb102e308, v38 :: v_dual_add_f32 v7, v7, v12
	v_dual_add_f32 v12, v39, v6 :: v_dual_add_f32 v37, v13, v7
	s_delay_alu instid0(VALU_DEP_1) | instskip(NEXT) | instid1(VALU_DEP_2)
	v_sub_f32_e32 v39, v12, v39
	v_add_f32_e32 v38, v12, v37
	s_delay_alu instid0(VALU_DEP_2) | instskip(NEXT) | instid1(VALU_DEP_1)
	v_dual_sub_f32 v13, v37, v13 :: v_dual_sub_f32 v6, v6, v39
	v_dual_sub_f32 v48, v38, v12 :: v_dual_sub_f32 v7, v7, v13
	s_delay_alu instid0(VALU_DEP_1) | instskip(SKIP_1) | instid1(VALU_DEP_2)
	v_sub_f32_e32 v49, v38, v48
	v_sub_f32_e32 v13, v37, v48
	v_dual_add_f32 v37, v6, v7 :: v_dual_sub_f32 v12, v12, v49
	s_delay_alu instid0(VALU_DEP_1) | instskip(NEXT) | instid1(VALU_DEP_2)
	v_add_f32_e32 v12, v13, v12
	v_sub_f32_e32 v13, v37, v6
	s_delay_alu instid0(VALU_DEP_2) | instskip(NEXT) | instid1(VALU_DEP_2)
	v_add_f32_e32 v12, v37, v12
	v_sub_f32_e32 v37, v37, v13
	v_sub_f32_e32 v7, v7, v13
	s_delay_alu instid0(VALU_DEP_3) | instskip(NEXT) | instid1(VALU_DEP_1)
	v_add_f32_e32 v39, v38, v12
	v_dual_sub_f32 v6, v6, v37 :: v_dual_sub_f32 v13, v39, v38
	s_delay_alu instid0(VALU_DEP_1) | instskip(NEXT) | instid1(VALU_DEP_1)
	v_dual_add_f32 v6, v7, v6 :: v_dual_sub_f32 v7, v12, v13
	v_add_f32_e32 v6, v6, v7
	s_delay_alu instid0(VALU_DEP_1) | instskip(NEXT) | instid1(VALU_DEP_1)
	v_add_f32_e32 v6, v39, v6
	v_cndmask_b32_e32 v3, v6, v3, vcc_lo
	s_delay_alu instid0(VALU_DEP_1)
	v_add_f32_e32 v3, v2, v3
.LBB481_344:
	s_or_b32 exec_lo, exec_lo, s1
	s_delay_alu instid0(VALU_DEP_1) | instskip(SKIP_1) | instid1(VALU_DEP_2)
	v_bfe_u32 v2, v3, 16, 1
	v_cmp_o_f32_e32 vcc_lo, v3, v3
	v_add3_u32 v2, v3, v2, 0x7fff
	s_delay_alu instid0(VALU_DEP_1) | instskip(NEXT) | instid1(VALU_DEP_1)
	v_lshrrev_b32_e32 v2, 16, v2
	v_cndmask_b32_e32 v70, 0x7fc0, v2, vcc_lo
	s_delay_alu instid0(VALU_DEP_1) | instskip(NEXT) | instid1(VALU_DEP_1)
	v_lshlrev_b32_e32 v3, 16, v70
	v_max_f32_e32 v2, v3, v3
	s_delay_alu instid0(VALU_DEP_1) | instskip(SKIP_2) | instid1(VALU_DEP_3)
	v_min_f32_e32 v6, v2, v71
	v_max_f32_e32 v2, v2, v71
	v_cmp_u_f32_e32 vcc_lo, v3, v3
	v_cndmask_b32_e32 v6, v6, v3, vcc_lo
	s_delay_alu instid0(VALU_DEP_3) | instskip(NEXT) | instid1(VALU_DEP_2)
	v_cndmask_b32_e32 v2, v2, v3, vcc_lo
	v_cndmask_b32_e64 v6, v6, v36, s14
	s_delay_alu instid0(VALU_DEP_2) | instskip(NEXT) | instid1(VALU_DEP_2)
	v_cndmask_b32_e64 v2, v2, v36, s14
	v_cmp_class_f32_e64 s1, v6, 0x1f8
	s_delay_alu instid0(VALU_DEP_2) | instskip(NEXT) | instid1(VALU_DEP_2)
	v_cmp_neq_f32_e32 vcc_lo, v6, v2
	s_or_b32 s2, vcc_lo, s1
	s_delay_alu instid0(SALU_CYCLE_1)
	s_and_saveexec_b32 s1, s2
	s_cbranch_execz .LBB481_346
; %bb.345:
	v_sub_f32_e32 v3, v6, v2
	s_mov_b32 s2, 0x3e9b6dac
	s_delay_alu instid0(VALU_DEP_1) | instskip(SKIP_1) | instid1(VALU_DEP_2)
	v_mul_f32_e32 v6, 0x3fb8aa3b, v3
	v_cmp_ngt_f32_e32 vcc_lo, 0xc2ce8ed0, v3
	v_fma_f32 v7, 0x3fb8aa3b, v3, -v6
	v_rndne_f32_e32 v12, v6
	s_delay_alu instid0(VALU_DEP_1) | instskip(NEXT) | instid1(VALU_DEP_1)
	v_dual_fmamk_f32 v7, v3, 0x32a5705f, v7 :: v_dual_sub_f32 v6, v6, v12
	v_add_f32_e32 v6, v6, v7
	v_cvt_i32_f32_e32 v7, v12
	s_delay_alu instid0(VALU_DEP_2) | instskip(SKIP_2) | instid1(VALU_DEP_1)
	v_exp_f32_e32 v6, v6
	s_waitcnt_depctr 0xfff
	v_ldexp_f32 v6, v6, v7
	v_cndmask_b32_e32 v6, 0, v6, vcc_lo
	v_cmp_nlt_f32_e32 vcc_lo, 0x42b17218, v3
	s_delay_alu instid0(VALU_DEP_2) | instskip(NEXT) | instid1(VALU_DEP_1)
	v_cndmask_b32_e32 v3, 0x7f800000, v6, vcc_lo
	v_add_f32_e32 v12, 1.0, v3
	s_delay_alu instid0(VALU_DEP_1) | instskip(NEXT) | instid1(VALU_DEP_1)
	v_cvt_f64_f32_e32 v[6:7], v12
	v_frexp_exp_i32_f64_e32 v6, v[6:7]
	v_frexp_mant_f32_e32 v7, v12
	s_delay_alu instid0(VALU_DEP_1) | instskip(SKIP_1) | instid1(VALU_DEP_1)
	v_cmp_gt_f32_e32 vcc_lo, 0x3f2aaaab, v7
	v_add_f32_e32 v7, -1.0, v12
	v_sub_f32_e32 v36, v7, v12
	s_delay_alu instid0(VALU_DEP_1) | instskip(NEXT) | instid1(VALU_DEP_1)
	v_dual_add_f32 v36, 1.0, v36 :: v_dual_sub_f32 v7, v3, v7
	v_add_f32_e32 v7, v7, v36
	v_subrev_co_ci_u32_e32 v6, vcc_lo, 0, v6, vcc_lo
	v_cmp_eq_f32_e32 vcc_lo, 0x7f800000, v3
	s_delay_alu instid0(VALU_DEP_2) | instskip(SKIP_1) | instid1(VALU_DEP_2)
	v_sub_nc_u32_e32 v13, 0, v6
	v_cvt_f32_i32_e32 v6, v6
	v_ldexp_f32 v12, v12, v13
	v_ldexp_f32 v7, v7, v13
	s_delay_alu instid0(VALU_DEP_2) | instskip(NEXT) | instid1(VALU_DEP_1)
	v_add_f32_e32 v37, 1.0, v12
	v_dual_add_f32 v13, -1.0, v12 :: v_dual_add_f32 v36, -1.0, v37
	s_delay_alu instid0(VALU_DEP_1) | instskip(NEXT) | instid1(VALU_DEP_2)
	v_add_f32_e32 v38, 1.0, v13
	v_sub_f32_e32 v36, v12, v36
	s_delay_alu instid0(VALU_DEP_2) | instskip(NEXT) | instid1(VALU_DEP_2)
	v_sub_f32_e32 v12, v12, v38
	v_add_f32_e32 v36, v7, v36
	s_delay_alu instid0(VALU_DEP_2) | instskip(NEXT) | instid1(VALU_DEP_1)
	v_add_f32_e32 v7, v7, v12
	v_add_f32_e32 v39, v13, v7
	s_delay_alu instid0(VALU_DEP_3) | instskip(NEXT) | instid1(VALU_DEP_2)
	v_add_f32_e32 v38, v37, v36
	v_sub_f32_e32 v13, v13, v39
	s_delay_alu instid0(VALU_DEP_2) | instskip(SKIP_1) | instid1(VALU_DEP_1)
	v_rcp_f32_e32 v12, v38
	v_sub_f32_e32 v37, v37, v38
	v_add_f32_e32 v36, v36, v37
	s_delay_alu instid0(VALU_DEP_3) | instskip(SKIP_2) | instid1(VALU_DEP_1)
	v_add_f32_e32 v7, v7, v13
	s_waitcnt_depctr 0xfff
	v_mul_f32_e32 v48, v39, v12
	v_mul_f32_e32 v49, v38, v48
	s_delay_alu instid0(VALU_DEP_1) | instskip(NEXT) | instid1(VALU_DEP_1)
	v_fma_f32 v37, v48, v38, -v49
	v_fmac_f32_e32 v37, v48, v36
	s_delay_alu instid0(VALU_DEP_1) | instskip(NEXT) | instid1(VALU_DEP_1)
	v_add_f32_e32 v50, v49, v37
	v_sub_f32_e32 v51, v39, v50
	s_delay_alu instid0(VALU_DEP_1) | instskip(NEXT) | instid1(VALU_DEP_1)
	v_sub_f32_e32 v39, v39, v51
	v_sub_f32_e32 v39, v39, v50
	s_delay_alu instid0(VALU_DEP_1) | instskip(SKIP_1) | instid1(VALU_DEP_1)
	v_add_f32_e32 v7, v7, v39
	v_sub_f32_e32 v13, v50, v49
	v_sub_f32_e32 v13, v13, v37
	s_delay_alu instid0(VALU_DEP_1) | instskip(NEXT) | instid1(VALU_DEP_1)
	v_add_f32_e32 v7, v13, v7
	v_add_f32_e32 v13, v51, v7
	s_delay_alu instid0(VALU_DEP_1) | instskip(SKIP_1) | instid1(VALU_DEP_2)
	v_mul_f32_e32 v37, v12, v13
	v_sub_f32_e32 v50, v51, v13
	v_mul_f32_e32 v39, v38, v37
	s_delay_alu instid0(VALU_DEP_2) | instskip(NEXT) | instid1(VALU_DEP_2)
	v_add_f32_e32 v7, v7, v50
	v_fma_f32 v38, v37, v38, -v39
	s_delay_alu instid0(VALU_DEP_1) | instskip(NEXT) | instid1(VALU_DEP_1)
	v_fmac_f32_e32 v38, v37, v36
	v_add_f32_e32 v36, v39, v38
	s_delay_alu instid0(VALU_DEP_1) | instskip(SKIP_1) | instid1(VALU_DEP_2)
	v_sub_f32_e32 v49, v13, v36
	v_sub_f32_e32 v39, v36, v39
	;; [unrolled: 1-line block ×3, first 2 shown]
	s_delay_alu instid0(VALU_DEP_1) | instskip(NEXT) | instid1(VALU_DEP_1)
	v_dual_sub_f32 v13, v13, v36 :: v_dual_sub_f32 v36, v39, v38
	v_add_f32_e32 v7, v7, v13
	v_add_f32_e32 v13, v48, v37
	s_delay_alu instid0(VALU_DEP_1) | instskip(NEXT) | instid1(VALU_DEP_1)
	v_dual_add_f32 v7, v36, v7 :: v_dual_sub_f32 v36, v13, v48
	v_add_f32_e32 v7, v49, v7
	s_delay_alu instid0(VALU_DEP_1) | instskip(NEXT) | instid1(VALU_DEP_1)
	v_dual_sub_f32 v36, v37, v36 :: v_dual_mul_f32 v7, v12, v7
	v_add_f32_e32 v7, v36, v7
	s_delay_alu instid0(VALU_DEP_1) | instskip(NEXT) | instid1(VALU_DEP_1)
	v_add_f32_e32 v12, v13, v7
	v_mul_f32_e32 v36, v12, v12
	s_delay_alu instid0(VALU_DEP_1) | instskip(SKIP_2) | instid1(VALU_DEP_3)
	v_fmaak_f32 v37, s2, v36, 0x3ecc95a3
	v_mul_f32_e32 v38, v12, v36
	v_cmp_gt_f32_e64 s2, 0x33800000, |v3|
	v_fmaak_f32 v36, v36, v37, 0x3f2aaada
	v_ldexp_f32 v37, v12, 1
	v_sub_f32_e32 v12, v12, v13
	s_delay_alu instid0(VALU_DEP_4) | instskip(NEXT) | instid1(VALU_DEP_3)
	s_or_b32 vcc_lo, vcc_lo, s2
	v_mul_f32_e32 v36, v38, v36
	s_delay_alu instid0(VALU_DEP_2) | instskip(NEXT) | instid1(VALU_DEP_2)
	v_dual_mul_f32 v38, 0x3f317218, v6 :: v_dual_sub_f32 v7, v7, v12
	v_add_f32_e32 v13, v37, v36
	s_delay_alu instid0(VALU_DEP_2) | instskip(NEXT) | instid1(VALU_DEP_2)
	v_ldexp_f32 v7, v7, 1
	v_sub_f32_e32 v12, v13, v37
	s_delay_alu instid0(VALU_DEP_4) | instskip(NEXT) | instid1(VALU_DEP_2)
	v_fma_f32 v37, 0x3f317218, v6, -v38
	v_sub_f32_e32 v12, v36, v12
	s_delay_alu instid0(VALU_DEP_1) | instskip(NEXT) | instid1(VALU_DEP_1)
	v_dual_fmamk_f32 v6, v6, 0xb102e308, v37 :: v_dual_add_f32 v7, v7, v12
	v_add_f32_e32 v12, v38, v6
	s_delay_alu instid0(VALU_DEP_2) | instskip(NEXT) | instid1(VALU_DEP_2)
	v_add_f32_e32 v36, v13, v7
	v_sub_f32_e32 v38, v12, v38
	s_delay_alu instid0(VALU_DEP_2) | instskip(NEXT) | instid1(VALU_DEP_2)
	v_add_f32_e32 v37, v12, v36
	v_dual_sub_f32 v13, v36, v13 :: v_dual_sub_f32 v6, v6, v38
	s_delay_alu instid0(VALU_DEP_2) | instskip(NEXT) | instid1(VALU_DEP_1)
	v_sub_f32_e32 v39, v37, v12
	v_dual_sub_f32 v48, v37, v39 :: v_dual_sub_f32 v7, v7, v13
	v_sub_f32_e32 v13, v36, v39
	s_delay_alu instid0(VALU_DEP_2) | instskip(NEXT) | instid1(VALU_DEP_3)
	v_sub_f32_e32 v12, v12, v48
	v_add_f32_e32 v36, v6, v7
	s_delay_alu instid0(VALU_DEP_1) | instskip(NEXT) | instid1(VALU_DEP_1)
	v_dual_add_f32 v12, v13, v12 :: v_dual_sub_f32 v13, v36, v6
	v_dual_add_f32 v12, v36, v12 :: v_dual_sub_f32 v7, v7, v13
	v_sub_f32_e32 v36, v36, v13
	s_delay_alu instid0(VALU_DEP_1) | instskip(NEXT) | instid1(VALU_DEP_1)
	v_sub_f32_e32 v6, v6, v36
	v_add_f32_e32 v6, v7, v6
	s_delay_alu instid0(VALU_DEP_4) | instskip(NEXT) | instid1(VALU_DEP_1)
	v_add_f32_e32 v38, v37, v12
	v_sub_f32_e32 v13, v38, v37
	s_delay_alu instid0(VALU_DEP_1) | instskip(NEXT) | instid1(VALU_DEP_1)
	v_sub_f32_e32 v7, v12, v13
	v_add_f32_e32 v6, v6, v7
	s_delay_alu instid0(VALU_DEP_1) | instskip(NEXT) | instid1(VALU_DEP_1)
	v_add_f32_e32 v6, v38, v6
	v_cndmask_b32_e32 v3, v6, v3, vcc_lo
	s_delay_alu instid0(VALU_DEP_1)
	v_add_f32_e32 v3, v2, v3
.LBB481_346:
	s_or_b32 exec_lo, exec_lo, s1
	s_delay_alu instid0(VALU_DEP_1) | instskip(SKIP_1) | instid1(VALU_DEP_2)
	v_bfe_u32 v2, v3, 16, 1
	v_cmp_o_f32_e32 vcc_lo, v3, v3
	v_add3_u32 v2, v3, v2, 0x7fff
	s_delay_alu instid0(VALU_DEP_1) | instskip(NEXT) | instid1(VALU_DEP_1)
	v_lshrrev_b32_e32 v2, 16, v2
	v_cndmask_b32_e32 v71, 0x7fc0, v2, vcc_lo
	s_delay_alu instid0(VALU_DEP_1) | instskip(NEXT) | instid1(VALU_DEP_1)
	v_lshlrev_b32_e32 v3, 16, v71
	v_max_f32_e32 v2, v3, v3
	s_delay_alu instid0(VALU_DEP_1) | instskip(SKIP_2) | instid1(VALU_DEP_3)
	v_min_f32_e32 v6, v2, v80
	v_max_f32_e32 v2, v2, v80
	v_cmp_u_f32_e32 vcc_lo, v3, v3
	v_cndmask_b32_e32 v6, v6, v3, vcc_lo
	s_delay_alu instid0(VALU_DEP_3) | instskip(NEXT) | instid1(VALU_DEP_2)
	v_cndmask_b32_e32 v2, v2, v3, vcc_lo
	v_cndmask_b32_e64 v6, v6, v35, s15
	s_delay_alu instid0(VALU_DEP_2) | instskip(NEXT) | instid1(VALU_DEP_2)
	v_cndmask_b32_e64 v2, v2, v35, s15
	v_cmp_class_f32_e64 s1, v6, 0x1f8
	s_delay_alu instid0(VALU_DEP_2) | instskip(NEXT) | instid1(VALU_DEP_2)
	v_cmp_neq_f32_e32 vcc_lo, v6, v2
	s_or_b32 s2, vcc_lo, s1
	s_delay_alu instid0(SALU_CYCLE_1)
	s_and_saveexec_b32 s1, s2
	s_cbranch_execz .LBB481_348
; %bb.347:
	v_sub_f32_e32 v3, v6, v2
	s_mov_b32 s2, 0x3e9b6dac
	s_delay_alu instid0(VALU_DEP_1) | instskip(SKIP_1) | instid1(VALU_DEP_2)
	v_mul_f32_e32 v6, 0x3fb8aa3b, v3
	v_cmp_ngt_f32_e32 vcc_lo, 0xc2ce8ed0, v3
	v_fma_f32 v7, 0x3fb8aa3b, v3, -v6
	v_rndne_f32_e32 v12, v6
	s_delay_alu instid0(VALU_DEP_1) | instskip(NEXT) | instid1(VALU_DEP_1)
	v_dual_fmamk_f32 v7, v3, 0x32a5705f, v7 :: v_dual_sub_f32 v6, v6, v12
	v_add_f32_e32 v6, v6, v7
	v_cvt_i32_f32_e32 v7, v12
	s_delay_alu instid0(VALU_DEP_2) | instskip(SKIP_2) | instid1(VALU_DEP_1)
	v_exp_f32_e32 v6, v6
	s_waitcnt_depctr 0xfff
	v_ldexp_f32 v6, v6, v7
	v_cndmask_b32_e32 v6, 0, v6, vcc_lo
	v_cmp_nlt_f32_e32 vcc_lo, 0x42b17218, v3
	s_delay_alu instid0(VALU_DEP_2) | instskip(NEXT) | instid1(VALU_DEP_1)
	v_cndmask_b32_e32 v3, 0x7f800000, v6, vcc_lo
	v_add_f32_e32 v12, 1.0, v3
	s_delay_alu instid0(VALU_DEP_1) | instskip(NEXT) | instid1(VALU_DEP_1)
	v_cvt_f64_f32_e32 v[6:7], v12
	v_frexp_exp_i32_f64_e32 v6, v[6:7]
	v_frexp_mant_f32_e32 v7, v12
	s_delay_alu instid0(VALU_DEP_1) | instskip(SKIP_1) | instid1(VALU_DEP_1)
	v_cmp_gt_f32_e32 vcc_lo, 0x3f2aaaab, v7
	v_add_f32_e32 v7, -1.0, v12
	v_sub_f32_e32 v35, v7, v12
	v_sub_f32_e32 v7, v3, v7
	v_subrev_co_ci_u32_e32 v6, vcc_lo, 0, v6, vcc_lo
	s_delay_alu instid0(VALU_DEP_1) | instskip(SKIP_1) | instid1(VALU_DEP_2)
	v_sub_nc_u32_e32 v13, 0, v6
	v_cvt_f32_i32_e32 v6, v6
	v_ldexp_f32 v12, v12, v13
	s_delay_alu instid0(VALU_DEP_1) | instskip(NEXT) | instid1(VALU_DEP_1)
	v_dual_add_f32 v36, 1.0, v12 :: v_dual_add_f32 v35, 1.0, v35
	v_add_f32_e32 v7, v7, v35
	s_delay_alu instid0(VALU_DEP_2) | instskip(NEXT) | instid1(VALU_DEP_2)
	v_add_f32_e32 v35, -1.0, v36
	v_ldexp_f32 v7, v7, v13
	v_add_f32_e32 v13, -1.0, v12
	s_delay_alu instid0(VALU_DEP_3) | instskip(NEXT) | instid1(VALU_DEP_2)
	v_sub_f32_e32 v35, v12, v35
	v_add_f32_e32 v37, 1.0, v13
	s_delay_alu instid0(VALU_DEP_1) | instskip(NEXT) | instid1(VALU_DEP_1)
	v_dual_add_f32 v35, v7, v35 :: v_dual_sub_f32 v12, v12, v37
	v_add_f32_e32 v37, v36, v35
	v_cmp_eq_f32_e32 vcc_lo, 0x7f800000, v3
	s_delay_alu instid0(VALU_DEP_3) | instskip(NEXT) | instid1(VALU_DEP_3)
	v_add_f32_e32 v7, v7, v12
	v_rcp_f32_e32 v12, v37
	v_sub_f32_e32 v36, v36, v37
	s_delay_alu instid0(VALU_DEP_1) | instskip(SKIP_2) | instid1(VALU_DEP_1)
	v_dual_add_f32 v38, v13, v7 :: v_dual_add_f32 v35, v35, v36
	s_waitcnt_depctr 0xfff
	v_mul_f32_e32 v39, v38, v12
	v_mul_f32_e32 v48, v37, v39
	v_sub_f32_e32 v13, v13, v38
	s_delay_alu instid0(VALU_DEP_2) | instskip(NEXT) | instid1(VALU_DEP_2)
	v_fma_f32 v36, v39, v37, -v48
	v_add_f32_e32 v7, v7, v13
	s_delay_alu instid0(VALU_DEP_2) | instskip(NEXT) | instid1(VALU_DEP_1)
	v_fmac_f32_e32 v36, v39, v35
	v_add_f32_e32 v49, v48, v36
	s_delay_alu instid0(VALU_DEP_1) | instskip(NEXT) | instid1(VALU_DEP_1)
	v_dual_sub_f32 v50, v38, v49 :: v_dual_sub_f32 v13, v49, v48
	v_dual_sub_f32 v38, v38, v50 :: v_dual_sub_f32 v13, v13, v36
	s_delay_alu instid0(VALU_DEP_1) | instskip(NEXT) | instid1(VALU_DEP_1)
	v_sub_f32_e32 v38, v38, v49
	v_add_f32_e32 v7, v7, v38
	s_delay_alu instid0(VALU_DEP_1) | instskip(NEXT) | instid1(VALU_DEP_1)
	v_add_f32_e32 v7, v13, v7
	v_add_f32_e32 v13, v50, v7
	s_delay_alu instid0(VALU_DEP_1) | instskip(NEXT) | instid1(VALU_DEP_1)
	v_mul_f32_e32 v36, v12, v13
	v_dual_sub_f32 v49, v50, v13 :: v_dual_mul_f32 v38, v37, v36
	s_delay_alu instid0(VALU_DEP_1) | instskip(NEXT) | instid1(VALU_DEP_2)
	v_add_f32_e32 v7, v7, v49
	v_fma_f32 v37, v36, v37, -v38
	s_delay_alu instid0(VALU_DEP_1) | instskip(NEXT) | instid1(VALU_DEP_1)
	v_fmac_f32_e32 v37, v36, v35
	v_add_f32_e32 v35, v38, v37
	s_delay_alu instid0(VALU_DEP_1) | instskip(NEXT) | instid1(VALU_DEP_1)
	v_sub_f32_e32 v48, v13, v35
	v_dual_sub_f32 v38, v35, v38 :: v_dual_sub_f32 v13, v13, v48
	s_delay_alu instid0(VALU_DEP_1) | instskip(NEXT) | instid1(VALU_DEP_2)
	v_sub_f32_e32 v13, v13, v35
	v_sub_f32_e32 v35, v38, v37
	s_delay_alu instid0(VALU_DEP_2) | instskip(SKIP_1) | instid1(VALU_DEP_2)
	v_add_f32_e32 v7, v7, v13
	v_add_f32_e32 v13, v39, v36
	v_add_f32_e32 v7, v35, v7
	s_delay_alu instid0(VALU_DEP_2) | instskip(NEXT) | instid1(VALU_DEP_2)
	v_sub_f32_e32 v35, v13, v39
	v_add_f32_e32 v7, v48, v7
	s_delay_alu instid0(VALU_DEP_2) | instskip(NEXT) | instid1(VALU_DEP_2)
	v_sub_f32_e32 v35, v36, v35
	v_mul_f32_e32 v7, v12, v7
	s_delay_alu instid0(VALU_DEP_1) | instskip(NEXT) | instid1(VALU_DEP_1)
	v_add_f32_e32 v7, v35, v7
	v_add_f32_e32 v12, v13, v7
	s_delay_alu instid0(VALU_DEP_1) | instskip(NEXT) | instid1(VALU_DEP_1)
	v_mul_f32_e32 v35, v12, v12
	v_fmaak_f32 v36, s2, v35, 0x3ecc95a3
	v_mul_f32_e32 v37, v12, v35
	v_cmp_gt_f32_e64 s2, 0x33800000, |v3|
	s_delay_alu instid0(VALU_DEP_3) | instskip(SKIP_2) | instid1(VALU_DEP_4)
	v_fmaak_f32 v35, v35, v36, 0x3f2aaada
	v_ldexp_f32 v36, v12, 1
	v_sub_f32_e32 v12, v12, v13
	s_or_b32 vcc_lo, vcc_lo, s2
	s_delay_alu instid0(VALU_DEP_3) | instskip(SKIP_1) | instid1(VALU_DEP_3)
	v_mul_f32_e32 v35, v37, v35
	v_mul_f32_e32 v37, 0x3f317218, v6
	v_sub_f32_e32 v7, v7, v12
	s_delay_alu instid0(VALU_DEP_3) | instskip(NEXT) | instid1(VALU_DEP_2)
	v_add_f32_e32 v13, v36, v35
	v_ldexp_f32 v7, v7, 1
	s_delay_alu instid0(VALU_DEP_2) | instskip(SKIP_1) | instid1(VALU_DEP_2)
	v_sub_f32_e32 v12, v13, v36
	v_fma_f32 v36, 0x3f317218, v6, -v37
	v_sub_f32_e32 v12, v35, v12
	s_delay_alu instid0(VALU_DEP_1) | instskip(NEXT) | instid1(VALU_DEP_1)
	v_dual_fmamk_f32 v6, v6, 0xb102e308, v36 :: v_dual_add_f32 v7, v7, v12
	v_add_f32_e32 v12, v37, v6
	s_delay_alu instid0(VALU_DEP_2) | instskip(NEXT) | instid1(VALU_DEP_2)
	v_add_f32_e32 v35, v13, v7
	v_sub_f32_e32 v37, v12, v37
	s_delay_alu instid0(VALU_DEP_2) | instskip(NEXT) | instid1(VALU_DEP_2)
	v_dual_add_f32 v36, v12, v35 :: v_dual_sub_f32 v13, v35, v13
	v_sub_f32_e32 v6, v6, v37
	s_delay_alu instid0(VALU_DEP_2) | instskip(NEXT) | instid1(VALU_DEP_1)
	v_dual_sub_f32 v38, v36, v12 :: v_dual_sub_f32 v7, v7, v13
	v_sub_f32_e32 v39, v36, v38
	v_sub_f32_e32 v13, v35, v38
	s_delay_alu instid0(VALU_DEP_3) | instskip(NEXT) | instid1(VALU_DEP_3)
	v_add_f32_e32 v35, v6, v7
	v_sub_f32_e32 v12, v12, v39
	s_delay_alu instid0(VALU_DEP_1) | instskip(NEXT) | instid1(VALU_DEP_1)
	v_dual_add_f32 v12, v13, v12 :: v_dual_sub_f32 v13, v35, v6
	v_add_f32_e32 v12, v35, v12
	s_delay_alu instid0(VALU_DEP_2) | instskip(SKIP_1) | instid1(VALU_DEP_2)
	v_sub_f32_e32 v35, v35, v13
	v_sub_f32_e32 v7, v7, v13
	v_dual_add_f32 v37, v36, v12 :: v_dual_sub_f32 v6, v6, v35
	s_delay_alu instid0(VALU_DEP_1) | instskip(NEXT) | instid1(VALU_DEP_1)
	v_dual_sub_f32 v13, v37, v36 :: v_dual_add_f32 v6, v7, v6
	v_sub_f32_e32 v7, v12, v13
	s_delay_alu instid0(VALU_DEP_1) | instskip(NEXT) | instid1(VALU_DEP_1)
	v_add_f32_e32 v6, v6, v7
	v_add_f32_e32 v6, v37, v6
	s_delay_alu instid0(VALU_DEP_1) | instskip(NEXT) | instid1(VALU_DEP_1)
	v_cndmask_b32_e32 v3, v6, v3, vcc_lo
	v_add_f32_e32 v3, v2, v3
.LBB481_348:
	s_or_b32 exec_lo, exec_lo, s1
	s_delay_alu instid0(VALU_DEP_1) | instskip(SKIP_1) | instid1(VALU_DEP_2)
	v_bfe_u32 v2, v3, 16, 1
	v_cmp_o_f32_e32 vcc_lo, v3, v3
	v_add3_u32 v2, v3, v2, 0x7fff
	s_delay_alu instid0(VALU_DEP_1) | instskip(NEXT) | instid1(VALU_DEP_1)
	v_lshrrev_b32_e32 v2, 16, v2
	v_cndmask_b32_e32 v80, 0x7fc0, v2, vcc_lo
	s_delay_alu instid0(VALU_DEP_1) | instskip(NEXT) | instid1(VALU_DEP_1)
	v_lshlrev_b32_e32 v3, 16, v80
	v_max_f32_e32 v2, v3, v3
	s_delay_alu instid0(VALU_DEP_1) | instskip(SKIP_2) | instid1(VALU_DEP_3)
	v_min_f32_e32 v6, v2, v81
	v_max_f32_e32 v2, v2, v81
	v_cmp_u_f32_e32 vcc_lo, v3, v3
	v_cndmask_b32_e32 v6, v6, v3, vcc_lo
	s_delay_alu instid0(VALU_DEP_3) | instskip(NEXT) | instid1(VALU_DEP_2)
	v_cndmask_b32_e32 v2, v2, v3, vcc_lo
	v_cndmask_b32_e64 v6, v6, v34, s16
	s_delay_alu instid0(VALU_DEP_2) | instskip(NEXT) | instid1(VALU_DEP_2)
	v_cndmask_b32_e64 v2, v2, v34, s16
	v_cmp_class_f32_e64 s1, v6, 0x1f8
	s_delay_alu instid0(VALU_DEP_2) | instskip(NEXT) | instid1(VALU_DEP_2)
	v_cmp_neq_f32_e32 vcc_lo, v6, v2
	s_or_b32 s2, vcc_lo, s1
	s_delay_alu instid0(SALU_CYCLE_1)
	s_and_saveexec_b32 s1, s2
	s_cbranch_execz .LBB481_350
; %bb.349:
	v_sub_f32_e32 v3, v6, v2
	s_mov_b32 s2, 0x3e9b6dac
	s_delay_alu instid0(VALU_DEP_1) | instskip(SKIP_1) | instid1(VALU_DEP_2)
	v_mul_f32_e32 v6, 0x3fb8aa3b, v3
	v_cmp_ngt_f32_e32 vcc_lo, 0xc2ce8ed0, v3
	v_fma_f32 v7, 0x3fb8aa3b, v3, -v6
	v_rndne_f32_e32 v12, v6
	s_delay_alu instid0(VALU_DEP_1) | instskip(NEXT) | instid1(VALU_DEP_1)
	v_dual_fmamk_f32 v7, v3, 0x32a5705f, v7 :: v_dual_sub_f32 v6, v6, v12
	v_add_f32_e32 v6, v6, v7
	v_cvt_i32_f32_e32 v7, v12
	s_delay_alu instid0(VALU_DEP_2) | instskip(SKIP_2) | instid1(VALU_DEP_1)
	v_exp_f32_e32 v6, v6
	s_waitcnt_depctr 0xfff
	v_ldexp_f32 v6, v6, v7
	v_cndmask_b32_e32 v6, 0, v6, vcc_lo
	v_cmp_nlt_f32_e32 vcc_lo, 0x42b17218, v3
	s_delay_alu instid0(VALU_DEP_2) | instskip(NEXT) | instid1(VALU_DEP_1)
	v_cndmask_b32_e32 v3, 0x7f800000, v6, vcc_lo
	v_add_f32_e32 v12, 1.0, v3
	s_delay_alu instid0(VALU_DEP_1) | instskip(NEXT) | instid1(VALU_DEP_1)
	v_cvt_f64_f32_e32 v[6:7], v12
	v_frexp_exp_i32_f64_e32 v6, v[6:7]
	v_frexp_mant_f32_e32 v7, v12
	s_delay_alu instid0(VALU_DEP_1) | instskip(SKIP_1) | instid1(VALU_DEP_1)
	v_cmp_gt_f32_e32 vcc_lo, 0x3f2aaaab, v7
	v_add_f32_e32 v7, -1.0, v12
	v_sub_f32_e32 v34, v7, v12
	s_delay_alu instid0(VALU_DEP_1) | instskip(NEXT) | instid1(VALU_DEP_1)
	v_dual_sub_f32 v7, v3, v7 :: v_dual_add_f32 v34, 1.0, v34
	v_add_f32_e32 v7, v7, v34
	v_subrev_co_ci_u32_e32 v6, vcc_lo, 0, v6, vcc_lo
	s_delay_alu instid0(VALU_DEP_1) | instskip(SKIP_1) | instid1(VALU_DEP_2)
	v_sub_nc_u32_e32 v13, 0, v6
	v_cvt_f32_i32_e32 v6, v6
	v_ldexp_f32 v12, v12, v13
	v_ldexp_f32 v7, v7, v13
	s_delay_alu instid0(VALU_DEP_2) | instskip(NEXT) | instid1(VALU_DEP_1)
	v_add_f32_e32 v13, -1.0, v12
	v_dual_add_f32 v35, 1.0, v12 :: v_dual_add_f32 v36, 1.0, v13
	s_delay_alu instid0(VALU_DEP_1) | instskip(SKIP_1) | instid1(VALU_DEP_2)
	v_add_f32_e32 v34, -1.0, v35
	v_cmp_eq_f32_e32 vcc_lo, 0x7f800000, v3
	v_sub_f32_e32 v34, v12, v34
	s_delay_alu instid0(VALU_DEP_4) | instskip(NEXT) | instid1(VALU_DEP_2)
	v_sub_f32_e32 v12, v12, v36
	v_add_f32_e32 v34, v7, v34
	s_delay_alu instid0(VALU_DEP_2) | instskip(NEXT) | instid1(VALU_DEP_1)
	v_add_f32_e32 v7, v7, v12
	v_dual_add_f32 v37, v13, v7 :: v_dual_add_f32 v36, v35, v34
	s_delay_alu instid0(VALU_DEP_1) | instskip(NEXT) | instid1(VALU_DEP_2)
	v_sub_f32_e32 v13, v13, v37
	v_rcp_f32_e32 v12, v36
	v_sub_f32_e32 v35, v35, v36
	s_delay_alu instid0(VALU_DEP_1) | instskip(SKIP_2) | instid1(VALU_DEP_1)
	v_dual_add_f32 v7, v7, v13 :: v_dual_add_f32 v34, v34, v35
	s_waitcnt_depctr 0xfff
	v_mul_f32_e32 v38, v37, v12
	v_mul_f32_e32 v39, v36, v38
	s_delay_alu instid0(VALU_DEP_1) | instskip(NEXT) | instid1(VALU_DEP_1)
	v_fma_f32 v35, v38, v36, -v39
	v_fmac_f32_e32 v35, v38, v34
	s_delay_alu instid0(VALU_DEP_1) | instskip(NEXT) | instid1(VALU_DEP_1)
	v_add_f32_e32 v48, v39, v35
	v_sub_f32_e32 v49, v37, v48
	s_delay_alu instid0(VALU_DEP_1) | instskip(SKIP_1) | instid1(VALU_DEP_2)
	v_sub_f32_e32 v37, v37, v49
	v_sub_f32_e32 v13, v48, v39
	;; [unrolled: 1-line block ×3, first 2 shown]
	s_delay_alu instid0(VALU_DEP_2) | instskip(NEXT) | instid1(VALU_DEP_2)
	v_sub_f32_e32 v13, v13, v35
	v_add_f32_e32 v7, v7, v37
	s_delay_alu instid0(VALU_DEP_1) | instskip(NEXT) | instid1(VALU_DEP_1)
	v_add_f32_e32 v7, v13, v7
	v_add_f32_e32 v13, v49, v7
	s_delay_alu instid0(VALU_DEP_1) | instskip(NEXT) | instid1(VALU_DEP_1)
	v_mul_f32_e32 v35, v12, v13
	v_dual_sub_f32 v48, v49, v13 :: v_dual_mul_f32 v37, v36, v35
	s_delay_alu instid0(VALU_DEP_1) | instskip(NEXT) | instid1(VALU_DEP_2)
	v_add_f32_e32 v7, v7, v48
	v_fma_f32 v36, v35, v36, -v37
	s_delay_alu instid0(VALU_DEP_1) | instskip(NEXT) | instid1(VALU_DEP_1)
	v_fmac_f32_e32 v36, v35, v34
	v_add_f32_e32 v34, v37, v36
	s_delay_alu instid0(VALU_DEP_1) | instskip(SKIP_1) | instid1(VALU_DEP_2)
	v_sub_f32_e32 v39, v13, v34
	v_sub_f32_e32 v37, v34, v37
	;; [unrolled: 1-line block ×3, first 2 shown]
	s_delay_alu instid0(VALU_DEP_1) | instskip(NEXT) | instid1(VALU_DEP_1)
	v_sub_f32_e32 v13, v13, v34
	v_dual_sub_f32 v34, v37, v36 :: v_dual_add_f32 v7, v7, v13
	v_add_f32_e32 v13, v38, v35
	s_delay_alu instid0(VALU_DEP_1) | instskip(NEXT) | instid1(VALU_DEP_1)
	v_dual_add_f32 v7, v34, v7 :: v_dual_sub_f32 v34, v13, v38
	v_add_f32_e32 v7, v39, v7
	s_delay_alu instid0(VALU_DEP_1) | instskip(NEXT) | instid1(VALU_DEP_1)
	v_dual_sub_f32 v34, v35, v34 :: v_dual_mul_f32 v7, v12, v7
	v_add_f32_e32 v7, v34, v7
	s_delay_alu instid0(VALU_DEP_1) | instskip(NEXT) | instid1(VALU_DEP_1)
	v_add_f32_e32 v12, v13, v7
	v_mul_f32_e32 v34, v12, v12
	s_delay_alu instid0(VALU_DEP_1) | instskip(SKIP_2) | instid1(VALU_DEP_3)
	v_fmaak_f32 v35, s2, v34, 0x3ecc95a3
	v_mul_f32_e32 v36, v12, v34
	v_cmp_gt_f32_e64 s2, 0x33800000, |v3|
	v_fmaak_f32 v34, v34, v35, 0x3f2aaada
	v_ldexp_f32 v35, v12, 1
	v_sub_f32_e32 v12, v12, v13
	s_delay_alu instid0(VALU_DEP_4) | instskip(NEXT) | instid1(VALU_DEP_3)
	s_or_b32 vcc_lo, vcc_lo, s2
	v_mul_f32_e32 v34, v36, v34
	s_delay_alu instid0(VALU_DEP_2) | instskip(NEXT) | instid1(VALU_DEP_2)
	v_dual_mul_f32 v36, 0x3f317218, v6 :: v_dual_sub_f32 v7, v7, v12
	v_add_f32_e32 v13, v35, v34
	s_delay_alu instid0(VALU_DEP_2) | instskip(NEXT) | instid1(VALU_DEP_2)
	v_ldexp_f32 v7, v7, 1
	v_sub_f32_e32 v12, v13, v35
	s_delay_alu instid0(VALU_DEP_4) | instskip(NEXT) | instid1(VALU_DEP_2)
	v_fma_f32 v35, 0x3f317218, v6, -v36
	v_sub_f32_e32 v12, v34, v12
	s_delay_alu instid0(VALU_DEP_1) | instskip(NEXT) | instid1(VALU_DEP_1)
	v_dual_fmamk_f32 v6, v6, 0xb102e308, v35 :: v_dual_add_f32 v7, v7, v12
	v_add_f32_e32 v12, v36, v6
	s_delay_alu instid0(VALU_DEP_1) | instskip(NEXT) | instid1(VALU_DEP_1)
	v_sub_f32_e32 v36, v12, v36
	v_sub_f32_e32 v6, v6, v36
	s_delay_alu instid0(VALU_DEP_4) | instskip(NEXT) | instid1(VALU_DEP_1)
	v_add_f32_e32 v34, v13, v7
	v_sub_f32_e32 v13, v34, v13
	s_delay_alu instid0(VALU_DEP_1) | instskip(SKIP_1) | instid1(VALU_DEP_1)
	v_sub_f32_e32 v7, v7, v13
	v_add_f32_e32 v35, v12, v34
	v_sub_f32_e32 v37, v35, v12
	s_delay_alu instid0(VALU_DEP_1) | instskip(NEXT) | instid1(VALU_DEP_4)
	v_sub_f32_e32 v13, v34, v37
	v_add_f32_e32 v34, v6, v7
	v_sub_f32_e32 v38, v35, v37
	s_delay_alu instid0(VALU_DEP_1) | instskip(NEXT) | instid1(VALU_DEP_1)
	v_sub_f32_e32 v12, v12, v38
	v_dual_add_f32 v12, v13, v12 :: v_dual_sub_f32 v13, v34, v6
	s_delay_alu instid0(VALU_DEP_1) | instskip(SKIP_1) | instid1(VALU_DEP_2)
	v_dual_add_f32 v12, v34, v12 :: v_dual_sub_f32 v7, v7, v13
	v_sub_f32_e32 v34, v34, v13
	v_add_f32_e32 v36, v35, v12
	s_delay_alu instid0(VALU_DEP_1) | instskip(NEXT) | instid1(VALU_DEP_1)
	v_dual_sub_f32 v6, v6, v34 :: v_dual_sub_f32 v13, v36, v35
	v_dual_add_f32 v6, v7, v6 :: v_dual_sub_f32 v7, v12, v13
	s_delay_alu instid0(VALU_DEP_1) | instskip(NEXT) | instid1(VALU_DEP_1)
	v_add_f32_e32 v6, v6, v7
	v_add_f32_e32 v6, v36, v6
	s_delay_alu instid0(VALU_DEP_1) | instskip(NEXT) | instid1(VALU_DEP_1)
	v_cndmask_b32_e32 v3, v6, v3, vcc_lo
	v_add_f32_e32 v3, v2, v3
.LBB481_350:
	s_or_b32 exec_lo, exec_lo, s1
	s_delay_alu instid0(VALU_DEP_1) | instskip(SKIP_1) | instid1(VALU_DEP_2)
	v_bfe_u32 v2, v3, 16, 1
	v_cmp_o_f32_e32 vcc_lo, v3, v3
	v_add3_u32 v2, v3, v2, 0x7fff
	s_delay_alu instid0(VALU_DEP_1) | instskip(NEXT) | instid1(VALU_DEP_1)
	v_lshrrev_b32_e32 v2, 16, v2
	v_cndmask_b32_e32 v81, 0x7fc0, v2, vcc_lo
	s_delay_alu instid0(VALU_DEP_1) | instskip(NEXT) | instid1(VALU_DEP_1)
	v_lshlrev_b32_e32 v3, 16, v81
	v_max_f32_e32 v2, v3, v3
	s_delay_alu instid0(VALU_DEP_1) | instskip(SKIP_2) | instid1(VALU_DEP_3)
	v_min_f32_e32 v6, v2, v82
	v_max_f32_e32 v2, v2, v82
	v_cmp_u_f32_e32 vcc_lo, v3, v3
	v_cndmask_b32_e32 v6, v6, v3, vcc_lo
	s_delay_alu instid0(VALU_DEP_3) | instskip(NEXT) | instid1(VALU_DEP_2)
	v_cndmask_b32_e32 v2, v2, v3, vcc_lo
	v_cndmask_b32_e64 v6, v6, v33, s17
	s_delay_alu instid0(VALU_DEP_2) | instskip(NEXT) | instid1(VALU_DEP_2)
	v_cndmask_b32_e64 v2, v2, v33, s17
	v_cmp_class_f32_e64 s1, v6, 0x1f8
	s_delay_alu instid0(VALU_DEP_2) | instskip(NEXT) | instid1(VALU_DEP_2)
	v_cmp_neq_f32_e32 vcc_lo, v6, v2
	s_or_b32 s2, vcc_lo, s1
	s_delay_alu instid0(SALU_CYCLE_1)
	s_and_saveexec_b32 s1, s2
	s_cbranch_execz .LBB481_352
; %bb.351:
	v_sub_f32_e32 v3, v6, v2
	s_mov_b32 s2, 0x3e9b6dac
	s_delay_alu instid0(VALU_DEP_1) | instskip(SKIP_1) | instid1(VALU_DEP_2)
	v_mul_f32_e32 v6, 0x3fb8aa3b, v3
	v_cmp_ngt_f32_e32 vcc_lo, 0xc2ce8ed0, v3
	v_fma_f32 v7, 0x3fb8aa3b, v3, -v6
	v_rndne_f32_e32 v12, v6
	s_delay_alu instid0(VALU_DEP_1) | instskip(NEXT) | instid1(VALU_DEP_1)
	v_dual_fmamk_f32 v7, v3, 0x32a5705f, v7 :: v_dual_sub_f32 v6, v6, v12
	v_add_f32_e32 v6, v6, v7
	v_cvt_i32_f32_e32 v7, v12
	s_delay_alu instid0(VALU_DEP_2) | instskip(SKIP_2) | instid1(VALU_DEP_1)
	v_exp_f32_e32 v6, v6
	s_waitcnt_depctr 0xfff
	v_ldexp_f32 v6, v6, v7
	v_cndmask_b32_e32 v6, 0, v6, vcc_lo
	v_cmp_nlt_f32_e32 vcc_lo, 0x42b17218, v3
	s_delay_alu instid0(VALU_DEP_2) | instskip(NEXT) | instid1(VALU_DEP_1)
	v_cndmask_b32_e32 v3, 0x7f800000, v6, vcc_lo
	v_add_f32_e32 v12, 1.0, v3
	s_delay_alu instid0(VALU_DEP_1) | instskip(NEXT) | instid1(VALU_DEP_1)
	v_cvt_f64_f32_e32 v[6:7], v12
	v_frexp_exp_i32_f64_e32 v6, v[6:7]
	v_frexp_mant_f32_e32 v7, v12
	s_delay_alu instid0(VALU_DEP_1) | instskip(SKIP_1) | instid1(VALU_DEP_1)
	v_cmp_gt_f32_e32 vcc_lo, 0x3f2aaaab, v7
	v_add_f32_e32 v7, -1.0, v12
	v_sub_f32_e32 v33, v7, v12
	v_sub_f32_e32 v7, v3, v7
	s_delay_alu instid0(VALU_DEP_2) | instskip(SKIP_1) | instid1(VALU_DEP_1)
	v_add_f32_e32 v33, 1.0, v33
	v_subrev_co_ci_u32_e32 v6, vcc_lo, 0, v6, vcc_lo
	v_sub_nc_u32_e32 v13, 0, v6
	v_cvt_f32_i32_e32 v6, v6
	s_delay_alu instid0(VALU_DEP_2) | instskip(NEXT) | instid1(VALU_DEP_1)
	v_ldexp_f32 v12, v12, v13
	v_dual_add_f32 v34, 1.0, v12 :: v_dual_add_f32 v7, v7, v33
	s_delay_alu instid0(VALU_DEP_1) | instskip(SKIP_1) | instid1(VALU_DEP_3)
	v_ldexp_f32 v7, v7, v13
	v_add_f32_e32 v13, -1.0, v12
	v_add_f32_e32 v33, -1.0, v34
	s_delay_alu instid0(VALU_DEP_2) | instskip(NEXT) | instid1(VALU_DEP_2)
	v_add_f32_e32 v35, 1.0, v13
	v_sub_f32_e32 v33, v12, v33
	s_delay_alu instid0(VALU_DEP_1) | instskip(SKIP_1) | instid1(VALU_DEP_2)
	v_dual_sub_f32 v12, v12, v35 :: v_dual_add_f32 v33, v7, v33
	v_cmp_eq_f32_e32 vcc_lo, 0x7f800000, v3
	v_add_f32_e32 v35, v34, v33
	s_delay_alu instid0(VALU_DEP_1) | instskip(NEXT) | instid1(VALU_DEP_1)
	v_sub_f32_e32 v34, v34, v35
	v_add_f32_e32 v33, v33, v34
	v_add_f32_e32 v7, v7, v12
	v_rcp_f32_e32 v12, v35
	s_delay_alu instid0(VALU_DEP_1) | instskip(SKIP_2) | instid1(VALU_DEP_1)
	v_add_f32_e32 v36, v13, v7
	s_waitcnt_depctr 0xfff
	v_mul_f32_e32 v37, v36, v12
	v_dual_mul_f32 v38, v35, v37 :: v_dual_sub_f32 v13, v13, v36
	s_delay_alu instid0(VALU_DEP_1) | instskip(NEXT) | instid1(VALU_DEP_1)
	v_fma_f32 v34, v37, v35, -v38
	v_fmac_f32_e32 v34, v37, v33
	s_delay_alu instid0(VALU_DEP_3) | instskip(NEXT) | instid1(VALU_DEP_2)
	v_add_f32_e32 v7, v7, v13
	v_add_f32_e32 v39, v38, v34
	s_delay_alu instid0(VALU_DEP_1) | instskip(NEXT) | instid1(VALU_DEP_1)
	v_dual_sub_f32 v48, v36, v39 :: v_dual_sub_f32 v13, v39, v38
	v_dual_sub_f32 v36, v36, v48 :: v_dual_sub_f32 v13, v13, v34
	s_delay_alu instid0(VALU_DEP_1) | instskip(NEXT) | instid1(VALU_DEP_1)
	v_sub_f32_e32 v36, v36, v39
	v_add_f32_e32 v7, v7, v36
	s_delay_alu instid0(VALU_DEP_1) | instskip(NEXT) | instid1(VALU_DEP_1)
	v_add_f32_e32 v7, v13, v7
	v_add_f32_e32 v13, v48, v7
	s_delay_alu instid0(VALU_DEP_1) | instskip(NEXT) | instid1(VALU_DEP_1)
	v_mul_f32_e32 v34, v12, v13
	v_dual_sub_f32 v39, v48, v13 :: v_dual_mul_f32 v36, v35, v34
	s_delay_alu instid0(VALU_DEP_1) | instskip(NEXT) | instid1(VALU_DEP_2)
	v_add_f32_e32 v7, v7, v39
	v_fma_f32 v35, v34, v35, -v36
	s_delay_alu instid0(VALU_DEP_1) | instskip(NEXT) | instid1(VALU_DEP_1)
	v_fmac_f32_e32 v35, v34, v33
	v_add_f32_e32 v33, v36, v35
	s_delay_alu instid0(VALU_DEP_1) | instskip(SKIP_1) | instid1(VALU_DEP_2)
	v_sub_f32_e32 v38, v13, v33
	v_sub_f32_e32 v36, v33, v36
	;; [unrolled: 1-line block ×3, first 2 shown]
	s_delay_alu instid0(VALU_DEP_1) | instskip(NEXT) | instid1(VALU_DEP_3)
	v_sub_f32_e32 v13, v13, v33
	v_sub_f32_e32 v33, v36, v35
	s_delay_alu instid0(VALU_DEP_2) | instskip(SKIP_1) | instid1(VALU_DEP_2)
	v_add_f32_e32 v7, v7, v13
	v_add_f32_e32 v13, v37, v34
	v_add_f32_e32 v7, v33, v7
	s_delay_alu instid0(VALU_DEP_2) | instskip(NEXT) | instid1(VALU_DEP_2)
	v_sub_f32_e32 v33, v13, v37
	v_add_f32_e32 v7, v38, v7
	s_delay_alu instid0(VALU_DEP_2) | instskip(NEXT) | instid1(VALU_DEP_2)
	v_sub_f32_e32 v33, v34, v33
	v_mul_f32_e32 v7, v12, v7
	s_delay_alu instid0(VALU_DEP_1) | instskip(NEXT) | instid1(VALU_DEP_1)
	v_add_f32_e32 v7, v33, v7
	v_add_f32_e32 v12, v13, v7
	s_delay_alu instid0(VALU_DEP_1) | instskip(NEXT) | instid1(VALU_DEP_1)
	v_mul_f32_e32 v33, v12, v12
	v_fmaak_f32 v34, s2, v33, 0x3ecc95a3
	v_mul_f32_e32 v35, v12, v33
	v_cmp_gt_f32_e64 s2, 0x33800000, |v3|
	s_delay_alu instid0(VALU_DEP_3) | instskip(SKIP_2) | instid1(VALU_DEP_4)
	v_fmaak_f32 v33, v33, v34, 0x3f2aaada
	v_ldexp_f32 v34, v12, 1
	v_sub_f32_e32 v12, v12, v13
	s_or_b32 vcc_lo, vcc_lo, s2
	s_delay_alu instid0(VALU_DEP_3) | instskip(SKIP_1) | instid1(VALU_DEP_3)
	v_mul_f32_e32 v33, v35, v33
	v_mul_f32_e32 v35, 0x3f317218, v6
	v_sub_f32_e32 v7, v7, v12
	s_delay_alu instid0(VALU_DEP_3) | instskip(NEXT) | instid1(VALU_DEP_2)
	v_add_f32_e32 v13, v34, v33
	v_ldexp_f32 v7, v7, 1
	s_delay_alu instid0(VALU_DEP_2) | instskip(SKIP_1) | instid1(VALU_DEP_2)
	v_sub_f32_e32 v12, v13, v34
	v_fma_f32 v34, 0x3f317218, v6, -v35
	v_sub_f32_e32 v12, v33, v12
	s_delay_alu instid0(VALU_DEP_1) | instskip(NEXT) | instid1(VALU_DEP_1)
	v_dual_fmamk_f32 v6, v6, 0xb102e308, v34 :: v_dual_add_f32 v7, v7, v12
	v_dual_add_f32 v12, v35, v6 :: v_dual_add_f32 v33, v13, v7
	s_delay_alu instid0(VALU_DEP_1) | instskip(NEXT) | instid1(VALU_DEP_2)
	v_sub_f32_e32 v35, v12, v35
	v_add_f32_e32 v34, v12, v33
	s_delay_alu instid0(VALU_DEP_2) | instskip(NEXT) | instid1(VALU_DEP_1)
	v_dual_sub_f32 v13, v33, v13 :: v_dual_sub_f32 v6, v6, v35
	v_dual_sub_f32 v36, v34, v12 :: v_dual_sub_f32 v7, v7, v13
	s_delay_alu instid0(VALU_DEP_1) | instskip(SKIP_1) | instid1(VALU_DEP_2)
	v_sub_f32_e32 v37, v34, v36
	v_sub_f32_e32 v13, v33, v36
	v_dual_add_f32 v33, v6, v7 :: v_dual_sub_f32 v12, v12, v37
	s_delay_alu instid0(VALU_DEP_1) | instskip(NEXT) | instid1(VALU_DEP_2)
	v_add_f32_e32 v12, v13, v12
	v_sub_f32_e32 v13, v33, v6
	s_delay_alu instid0(VALU_DEP_2) | instskip(NEXT) | instid1(VALU_DEP_2)
	v_add_f32_e32 v12, v33, v12
	v_sub_f32_e32 v33, v33, v13
	v_sub_f32_e32 v7, v7, v13
	s_delay_alu instid0(VALU_DEP_3) | instskip(NEXT) | instid1(VALU_DEP_1)
	v_add_f32_e32 v35, v34, v12
	v_dual_sub_f32 v6, v6, v33 :: v_dual_sub_f32 v13, v35, v34
	s_delay_alu instid0(VALU_DEP_1) | instskip(NEXT) | instid1(VALU_DEP_1)
	v_dual_add_f32 v6, v7, v6 :: v_dual_sub_f32 v7, v12, v13
	v_add_f32_e32 v6, v6, v7
	s_delay_alu instid0(VALU_DEP_1) | instskip(NEXT) | instid1(VALU_DEP_1)
	v_add_f32_e32 v6, v35, v6
	v_cndmask_b32_e32 v3, v6, v3, vcc_lo
	s_delay_alu instid0(VALU_DEP_1)
	v_add_f32_e32 v3, v2, v3
.LBB481_352:
	s_or_b32 exec_lo, exec_lo, s1
	s_delay_alu instid0(VALU_DEP_1) | instskip(SKIP_1) | instid1(VALU_DEP_2)
	v_bfe_u32 v2, v3, 16, 1
	v_cmp_o_f32_e32 vcc_lo, v3, v3
	v_add3_u32 v2, v3, v2, 0x7fff
	s_delay_alu instid0(VALU_DEP_1) | instskip(NEXT) | instid1(VALU_DEP_1)
	v_lshrrev_b32_e32 v2, 16, v2
	v_cndmask_b32_e32 v82, 0x7fc0, v2, vcc_lo
	s_delay_alu instid0(VALU_DEP_1) | instskip(NEXT) | instid1(VALU_DEP_1)
	v_lshlrev_b32_e32 v3, 16, v82
	v_max_f32_e32 v2, v3, v3
	s_delay_alu instid0(VALU_DEP_1) | instskip(SKIP_2) | instid1(VALU_DEP_3)
	v_min_f32_e32 v6, v2, v83
	v_max_f32_e32 v2, v2, v83
	v_cmp_u_f32_e32 vcc_lo, v3, v3
	v_cndmask_b32_e32 v6, v6, v3, vcc_lo
	s_delay_alu instid0(VALU_DEP_3) | instskip(NEXT) | instid1(VALU_DEP_2)
	v_cndmask_b32_e32 v2, v2, v3, vcc_lo
	v_cndmask_b32_e64 v6, v6, v32, s18
	s_delay_alu instid0(VALU_DEP_2) | instskip(NEXT) | instid1(VALU_DEP_2)
	v_cndmask_b32_e64 v2, v2, v32, s18
	v_cmp_class_f32_e64 s1, v6, 0x1f8
	s_delay_alu instid0(VALU_DEP_2) | instskip(NEXT) | instid1(VALU_DEP_2)
	v_cmp_neq_f32_e32 vcc_lo, v6, v2
	s_or_b32 s2, vcc_lo, s1
	s_delay_alu instid0(SALU_CYCLE_1)
	s_and_saveexec_b32 s1, s2
	s_cbranch_execz .LBB481_354
; %bb.353:
	v_sub_f32_e32 v3, v6, v2
	s_mov_b32 s2, 0x3e9b6dac
	s_delay_alu instid0(VALU_DEP_1) | instskip(SKIP_1) | instid1(VALU_DEP_2)
	v_mul_f32_e32 v6, 0x3fb8aa3b, v3
	v_cmp_ngt_f32_e32 vcc_lo, 0xc2ce8ed0, v3
	v_fma_f32 v7, 0x3fb8aa3b, v3, -v6
	v_rndne_f32_e32 v12, v6
	s_delay_alu instid0(VALU_DEP_1) | instskip(NEXT) | instid1(VALU_DEP_1)
	v_dual_fmamk_f32 v7, v3, 0x32a5705f, v7 :: v_dual_sub_f32 v6, v6, v12
	v_add_f32_e32 v6, v6, v7
	v_cvt_i32_f32_e32 v7, v12
	s_delay_alu instid0(VALU_DEP_2) | instskip(SKIP_2) | instid1(VALU_DEP_1)
	v_exp_f32_e32 v6, v6
	s_waitcnt_depctr 0xfff
	v_ldexp_f32 v6, v6, v7
	v_cndmask_b32_e32 v6, 0, v6, vcc_lo
	v_cmp_nlt_f32_e32 vcc_lo, 0x42b17218, v3
	s_delay_alu instid0(VALU_DEP_2) | instskip(NEXT) | instid1(VALU_DEP_1)
	v_cndmask_b32_e32 v3, 0x7f800000, v6, vcc_lo
	v_add_f32_e32 v12, 1.0, v3
	s_delay_alu instid0(VALU_DEP_1) | instskip(NEXT) | instid1(VALU_DEP_1)
	v_cvt_f64_f32_e32 v[6:7], v12
	v_frexp_exp_i32_f64_e32 v6, v[6:7]
	v_frexp_mant_f32_e32 v7, v12
	s_delay_alu instid0(VALU_DEP_1) | instskip(SKIP_1) | instid1(VALU_DEP_1)
	v_cmp_gt_f32_e32 vcc_lo, 0x3f2aaaab, v7
	v_add_f32_e32 v7, -1.0, v12
	v_sub_f32_e32 v32, v7, v12
	s_delay_alu instid0(VALU_DEP_1) | instskip(NEXT) | instid1(VALU_DEP_1)
	v_dual_add_f32 v32, 1.0, v32 :: v_dual_sub_f32 v7, v3, v7
	v_add_f32_e32 v7, v7, v32
	v_subrev_co_ci_u32_e32 v6, vcc_lo, 0, v6, vcc_lo
	v_cmp_eq_f32_e32 vcc_lo, 0x7f800000, v3
	s_delay_alu instid0(VALU_DEP_2) | instskip(SKIP_1) | instid1(VALU_DEP_2)
	v_sub_nc_u32_e32 v13, 0, v6
	v_cvt_f32_i32_e32 v6, v6
	v_ldexp_f32 v12, v12, v13
	v_ldexp_f32 v7, v7, v13
	s_delay_alu instid0(VALU_DEP_2) | instskip(NEXT) | instid1(VALU_DEP_1)
	v_add_f32_e32 v33, 1.0, v12
	v_dual_add_f32 v13, -1.0, v12 :: v_dual_add_f32 v32, -1.0, v33
	s_delay_alu instid0(VALU_DEP_1) | instskip(NEXT) | instid1(VALU_DEP_2)
	v_add_f32_e32 v34, 1.0, v13
	v_sub_f32_e32 v32, v12, v32
	s_delay_alu instid0(VALU_DEP_2) | instskip(NEXT) | instid1(VALU_DEP_2)
	v_sub_f32_e32 v12, v12, v34
	v_add_f32_e32 v32, v7, v32
	s_delay_alu instid0(VALU_DEP_2) | instskip(NEXT) | instid1(VALU_DEP_1)
	v_add_f32_e32 v7, v7, v12
	v_add_f32_e32 v35, v13, v7
	s_delay_alu instid0(VALU_DEP_3) | instskip(NEXT) | instid1(VALU_DEP_2)
	v_add_f32_e32 v34, v33, v32
	v_sub_f32_e32 v13, v13, v35
	s_delay_alu instid0(VALU_DEP_2) | instskip(SKIP_1) | instid1(VALU_DEP_1)
	v_rcp_f32_e32 v12, v34
	v_sub_f32_e32 v33, v33, v34
	v_add_f32_e32 v32, v32, v33
	s_delay_alu instid0(VALU_DEP_3) | instskip(SKIP_2) | instid1(VALU_DEP_1)
	v_add_f32_e32 v7, v7, v13
	s_waitcnt_depctr 0xfff
	v_mul_f32_e32 v36, v35, v12
	v_mul_f32_e32 v37, v34, v36
	s_delay_alu instid0(VALU_DEP_1) | instskip(NEXT) | instid1(VALU_DEP_1)
	v_fma_f32 v33, v36, v34, -v37
	v_fmac_f32_e32 v33, v36, v32
	s_delay_alu instid0(VALU_DEP_1) | instskip(NEXT) | instid1(VALU_DEP_1)
	v_add_f32_e32 v38, v37, v33
	v_sub_f32_e32 v39, v35, v38
	s_delay_alu instid0(VALU_DEP_1) | instskip(NEXT) | instid1(VALU_DEP_1)
	v_sub_f32_e32 v35, v35, v39
	v_sub_f32_e32 v35, v35, v38
	s_delay_alu instid0(VALU_DEP_1) | instskip(SKIP_1) | instid1(VALU_DEP_1)
	v_add_f32_e32 v7, v7, v35
	v_sub_f32_e32 v13, v38, v37
	v_sub_f32_e32 v13, v13, v33
	s_delay_alu instid0(VALU_DEP_1) | instskip(NEXT) | instid1(VALU_DEP_1)
	v_add_f32_e32 v7, v13, v7
	v_add_f32_e32 v13, v39, v7
	s_delay_alu instid0(VALU_DEP_1) | instskip(SKIP_1) | instid1(VALU_DEP_2)
	v_mul_f32_e32 v33, v12, v13
	v_sub_f32_e32 v38, v39, v13
	v_mul_f32_e32 v35, v34, v33
	s_delay_alu instid0(VALU_DEP_2) | instskip(NEXT) | instid1(VALU_DEP_2)
	v_add_f32_e32 v7, v7, v38
	v_fma_f32 v34, v33, v34, -v35
	s_delay_alu instid0(VALU_DEP_1) | instskip(NEXT) | instid1(VALU_DEP_1)
	v_fmac_f32_e32 v34, v33, v32
	v_add_f32_e32 v32, v35, v34
	s_delay_alu instid0(VALU_DEP_1) | instskip(SKIP_1) | instid1(VALU_DEP_2)
	v_sub_f32_e32 v37, v13, v32
	v_sub_f32_e32 v35, v32, v35
	;; [unrolled: 1-line block ×3, first 2 shown]
	s_delay_alu instid0(VALU_DEP_1) | instskip(NEXT) | instid1(VALU_DEP_1)
	v_dual_sub_f32 v13, v13, v32 :: v_dual_sub_f32 v32, v35, v34
	v_add_f32_e32 v7, v7, v13
	v_add_f32_e32 v13, v36, v33
	s_delay_alu instid0(VALU_DEP_1) | instskip(NEXT) | instid1(VALU_DEP_1)
	v_dual_add_f32 v7, v32, v7 :: v_dual_sub_f32 v32, v13, v36
	v_add_f32_e32 v7, v37, v7
	s_delay_alu instid0(VALU_DEP_1) | instskip(NEXT) | instid1(VALU_DEP_1)
	v_dual_sub_f32 v32, v33, v32 :: v_dual_mul_f32 v7, v12, v7
	v_add_f32_e32 v7, v32, v7
	s_delay_alu instid0(VALU_DEP_1) | instskip(NEXT) | instid1(VALU_DEP_1)
	v_add_f32_e32 v12, v13, v7
	v_mul_f32_e32 v32, v12, v12
	s_delay_alu instid0(VALU_DEP_1) | instskip(SKIP_2) | instid1(VALU_DEP_3)
	v_fmaak_f32 v33, s2, v32, 0x3ecc95a3
	v_mul_f32_e32 v34, v12, v32
	v_cmp_gt_f32_e64 s2, 0x33800000, |v3|
	v_fmaak_f32 v32, v32, v33, 0x3f2aaada
	v_ldexp_f32 v33, v12, 1
	v_sub_f32_e32 v12, v12, v13
	s_delay_alu instid0(VALU_DEP_4) | instskip(NEXT) | instid1(VALU_DEP_3)
	s_or_b32 vcc_lo, vcc_lo, s2
	v_mul_f32_e32 v32, v34, v32
	s_delay_alu instid0(VALU_DEP_2) | instskip(NEXT) | instid1(VALU_DEP_2)
	v_dual_mul_f32 v34, 0x3f317218, v6 :: v_dual_sub_f32 v7, v7, v12
	v_add_f32_e32 v13, v33, v32
	s_delay_alu instid0(VALU_DEP_2) | instskip(NEXT) | instid1(VALU_DEP_2)
	v_ldexp_f32 v7, v7, 1
	v_sub_f32_e32 v12, v13, v33
	s_delay_alu instid0(VALU_DEP_4) | instskip(NEXT) | instid1(VALU_DEP_2)
	v_fma_f32 v33, 0x3f317218, v6, -v34
	v_sub_f32_e32 v12, v32, v12
	s_delay_alu instid0(VALU_DEP_1) | instskip(NEXT) | instid1(VALU_DEP_1)
	v_dual_fmamk_f32 v6, v6, 0xb102e308, v33 :: v_dual_add_f32 v7, v7, v12
	v_add_f32_e32 v12, v34, v6
	s_delay_alu instid0(VALU_DEP_2) | instskip(NEXT) | instid1(VALU_DEP_2)
	v_add_f32_e32 v32, v13, v7
	v_sub_f32_e32 v34, v12, v34
	s_delay_alu instid0(VALU_DEP_2) | instskip(NEXT) | instid1(VALU_DEP_2)
	v_add_f32_e32 v33, v12, v32
	v_dual_sub_f32 v13, v32, v13 :: v_dual_sub_f32 v6, v6, v34
	s_delay_alu instid0(VALU_DEP_2) | instskip(NEXT) | instid1(VALU_DEP_1)
	v_sub_f32_e32 v35, v33, v12
	v_dual_sub_f32 v36, v33, v35 :: v_dual_sub_f32 v7, v7, v13
	v_sub_f32_e32 v13, v32, v35
	s_delay_alu instid0(VALU_DEP_2) | instskip(NEXT) | instid1(VALU_DEP_3)
	v_sub_f32_e32 v12, v12, v36
	v_add_f32_e32 v32, v6, v7
	s_delay_alu instid0(VALU_DEP_1) | instskip(NEXT) | instid1(VALU_DEP_1)
	v_dual_add_f32 v12, v13, v12 :: v_dual_sub_f32 v13, v32, v6
	v_dual_add_f32 v12, v32, v12 :: v_dual_sub_f32 v7, v7, v13
	v_sub_f32_e32 v32, v32, v13
	s_delay_alu instid0(VALU_DEP_1) | instskip(NEXT) | instid1(VALU_DEP_1)
	v_sub_f32_e32 v6, v6, v32
	v_add_f32_e32 v6, v7, v6
	s_delay_alu instid0(VALU_DEP_4) | instskip(NEXT) | instid1(VALU_DEP_1)
	v_add_f32_e32 v34, v33, v12
	v_sub_f32_e32 v13, v34, v33
	s_delay_alu instid0(VALU_DEP_1) | instskip(NEXT) | instid1(VALU_DEP_1)
	v_sub_f32_e32 v7, v12, v13
	v_add_f32_e32 v6, v6, v7
	s_delay_alu instid0(VALU_DEP_1) | instskip(NEXT) | instid1(VALU_DEP_1)
	v_add_f32_e32 v6, v34, v6
	v_cndmask_b32_e32 v3, v6, v3, vcc_lo
	s_delay_alu instid0(VALU_DEP_1)
	v_add_f32_e32 v3, v2, v3
.LBB481_354:
	s_or_b32 exec_lo, exec_lo, s1
	s_delay_alu instid0(VALU_DEP_1) | instskip(SKIP_1) | instid1(VALU_DEP_2)
	v_bfe_u32 v2, v3, 16, 1
	v_cmp_o_f32_e32 vcc_lo, v3, v3
	v_add3_u32 v2, v3, v2, 0x7fff
	s_delay_alu instid0(VALU_DEP_1) | instskip(NEXT) | instid1(VALU_DEP_1)
	v_lshrrev_b32_e32 v2, 16, v2
	v_cndmask_b32_e32 v83, 0x7fc0, v2, vcc_lo
	s_delay_alu instid0(VALU_DEP_1) | instskip(NEXT) | instid1(VALU_DEP_1)
	v_lshlrev_b32_e32 v3, 16, v83
	v_max_f32_e32 v2, v3, v3
	s_delay_alu instid0(VALU_DEP_1) | instskip(SKIP_2) | instid1(VALU_DEP_3)
	v_min_f32_e32 v6, v2, v84
	v_max_f32_e32 v2, v2, v84
	v_cmp_u_f32_e32 vcc_lo, v3, v3
	v_cndmask_b32_e32 v6, v6, v3, vcc_lo
	s_delay_alu instid0(VALU_DEP_3) | instskip(NEXT) | instid1(VALU_DEP_2)
	v_cndmask_b32_e32 v2, v2, v3, vcc_lo
	v_cndmask_b32_e64 v6, v6, v31, s19
	s_delay_alu instid0(VALU_DEP_2) | instskip(NEXT) | instid1(VALU_DEP_2)
	v_cndmask_b32_e64 v2, v2, v31, s19
	v_cmp_class_f32_e64 s1, v6, 0x1f8
	s_delay_alu instid0(VALU_DEP_2) | instskip(NEXT) | instid1(VALU_DEP_2)
	v_cmp_neq_f32_e32 vcc_lo, v6, v2
	s_or_b32 s2, vcc_lo, s1
	s_delay_alu instid0(SALU_CYCLE_1)
	s_and_saveexec_b32 s1, s2
	s_cbranch_execz .LBB481_356
; %bb.355:
	v_sub_f32_e32 v3, v6, v2
	s_mov_b32 s2, 0x3e9b6dac
	s_delay_alu instid0(VALU_DEP_1) | instskip(SKIP_1) | instid1(VALU_DEP_2)
	v_mul_f32_e32 v6, 0x3fb8aa3b, v3
	v_cmp_ngt_f32_e32 vcc_lo, 0xc2ce8ed0, v3
	v_fma_f32 v7, 0x3fb8aa3b, v3, -v6
	v_rndne_f32_e32 v12, v6
	s_delay_alu instid0(VALU_DEP_1) | instskip(NEXT) | instid1(VALU_DEP_1)
	v_dual_fmamk_f32 v7, v3, 0x32a5705f, v7 :: v_dual_sub_f32 v6, v6, v12
	v_add_f32_e32 v6, v6, v7
	v_cvt_i32_f32_e32 v7, v12
	s_delay_alu instid0(VALU_DEP_2) | instskip(SKIP_2) | instid1(VALU_DEP_1)
	v_exp_f32_e32 v6, v6
	s_waitcnt_depctr 0xfff
	v_ldexp_f32 v6, v6, v7
	v_cndmask_b32_e32 v6, 0, v6, vcc_lo
	v_cmp_nlt_f32_e32 vcc_lo, 0x42b17218, v3
	s_delay_alu instid0(VALU_DEP_2) | instskip(NEXT) | instid1(VALU_DEP_1)
	v_cndmask_b32_e32 v3, 0x7f800000, v6, vcc_lo
	v_add_f32_e32 v12, 1.0, v3
	s_delay_alu instid0(VALU_DEP_1) | instskip(NEXT) | instid1(VALU_DEP_1)
	v_cvt_f64_f32_e32 v[6:7], v12
	v_frexp_exp_i32_f64_e32 v6, v[6:7]
	v_frexp_mant_f32_e32 v7, v12
	s_delay_alu instid0(VALU_DEP_1) | instskip(SKIP_1) | instid1(VALU_DEP_1)
	v_cmp_gt_f32_e32 vcc_lo, 0x3f2aaaab, v7
	v_add_f32_e32 v7, -1.0, v12
	v_sub_f32_e32 v31, v7, v12
	v_sub_f32_e32 v7, v3, v7
	v_subrev_co_ci_u32_e32 v6, vcc_lo, 0, v6, vcc_lo
	s_delay_alu instid0(VALU_DEP_1) | instskip(SKIP_1) | instid1(VALU_DEP_2)
	v_sub_nc_u32_e32 v13, 0, v6
	v_cvt_f32_i32_e32 v6, v6
	v_ldexp_f32 v12, v12, v13
	s_delay_alu instid0(VALU_DEP_1) | instskip(NEXT) | instid1(VALU_DEP_1)
	v_dual_add_f32 v32, 1.0, v12 :: v_dual_add_f32 v31, 1.0, v31
	v_add_f32_e32 v7, v7, v31
	s_delay_alu instid0(VALU_DEP_2) | instskip(NEXT) | instid1(VALU_DEP_2)
	v_add_f32_e32 v31, -1.0, v32
	v_ldexp_f32 v7, v7, v13
	v_add_f32_e32 v13, -1.0, v12
	s_delay_alu instid0(VALU_DEP_3) | instskip(NEXT) | instid1(VALU_DEP_2)
	v_sub_f32_e32 v31, v12, v31
	v_add_f32_e32 v33, 1.0, v13
	s_delay_alu instid0(VALU_DEP_1) | instskip(NEXT) | instid1(VALU_DEP_1)
	v_dual_add_f32 v31, v7, v31 :: v_dual_sub_f32 v12, v12, v33
	v_add_f32_e32 v33, v32, v31
	v_cmp_eq_f32_e32 vcc_lo, 0x7f800000, v3
	s_delay_alu instid0(VALU_DEP_3) | instskip(NEXT) | instid1(VALU_DEP_3)
	v_add_f32_e32 v7, v7, v12
	v_rcp_f32_e32 v12, v33
	v_sub_f32_e32 v32, v32, v33
	s_delay_alu instid0(VALU_DEP_1) | instskip(SKIP_2) | instid1(VALU_DEP_1)
	v_dual_add_f32 v34, v13, v7 :: v_dual_add_f32 v31, v31, v32
	s_waitcnt_depctr 0xfff
	v_mul_f32_e32 v35, v34, v12
	v_mul_f32_e32 v36, v33, v35
	v_sub_f32_e32 v13, v13, v34
	s_delay_alu instid0(VALU_DEP_2) | instskip(NEXT) | instid1(VALU_DEP_2)
	v_fma_f32 v32, v35, v33, -v36
	v_add_f32_e32 v7, v7, v13
	s_delay_alu instid0(VALU_DEP_2) | instskip(NEXT) | instid1(VALU_DEP_1)
	v_fmac_f32_e32 v32, v35, v31
	v_add_f32_e32 v37, v36, v32
	s_delay_alu instid0(VALU_DEP_1) | instskip(NEXT) | instid1(VALU_DEP_1)
	v_dual_sub_f32 v38, v34, v37 :: v_dual_sub_f32 v13, v37, v36
	v_dual_sub_f32 v34, v34, v38 :: v_dual_sub_f32 v13, v13, v32
	s_delay_alu instid0(VALU_DEP_1) | instskip(NEXT) | instid1(VALU_DEP_1)
	v_sub_f32_e32 v34, v34, v37
	v_add_f32_e32 v7, v7, v34
	s_delay_alu instid0(VALU_DEP_1) | instskip(NEXT) | instid1(VALU_DEP_1)
	v_add_f32_e32 v7, v13, v7
	v_add_f32_e32 v13, v38, v7
	s_delay_alu instid0(VALU_DEP_1) | instskip(NEXT) | instid1(VALU_DEP_1)
	v_mul_f32_e32 v32, v12, v13
	v_dual_sub_f32 v37, v38, v13 :: v_dual_mul_f32 v34, v33, v32
	s_delay_alu instid0(VALU_DEP_1) | instskip(NEXT) | instid1(VALU_DEP_2)
	v_add_f32_e32 v7, v7, v37
	v_fma_f32 v33, v32, v33, -v34
	s_delay_alu instid0(VALU_DEP_1) | instskip(NEXT) | instid1(VALU_DEP_1)
	v_fmac_f32_e32 v33, v32, v31
	v_add_f32_e32 v31, v34, v33
	s_delay_alu instid0(VALU_DEP_1) | instskip(NEXT) | instid1(VALU_DEP_1)
	v_sub_f32_e32 v36, v13, v31
	v_dual_sub_f32 v34, v31, v34 :: v_dual_sub_f32 v13, v13, v36
	s_delay_alu instid0(VALU_DEP_1) | instskip(NEXT) | instid1(VALU_DEP_2)
	v_sub_f32_e32 v13, v13, v31
	v_sub_f32_e32 v31, v34, v33
	s_delay_alu instid0(VALU_DEP_2) | instskip(SKIP_1) | instid1(VALU_DEP_2)
	v_add_f32_e32 v7, v7, v13
	v_add_f32_e32 v13, v35, v32
	;; [unrolled: 1-line block ×3, first 2 shown]
	s_delay_alu instid0(VALU_DEP_2) | instskip(NEXT) | instid1(VALU_DEP_2)
	v_sub_f32_e32 v31, v13, v35
	v_add_f32_e32 v7, v36, v7
	s_delay_alu instid0(VALU_DEP_2) | instskip(NEXT) | instid1(VALU_DEP_2)
	v_sub_f32_e32 v31, v32, v31
	v_mul_f32_e32 v7, v12, v7
	s_delay_alu instid0(VALU_DEP_1) | instskip(NEXT) | instid1(VALU_DEP_1)
	v_add_f32_e32 v7, v31, v7
	v_add_f32_e32 v12, v13, v7
	s_delay_alu instid0(VALU_DEP_1) | instskip(NEXT) | instid1(VALU_DEP_1)
	v_mul_f32_e32 v31, v12, v12
	v_fmaak_f32 v32, s2, v31, 0x3ecc95a3
	v_mul_f32_e32 v33, v12, v31
	v_cmp_gt_f32_e64 s2, 0x33800000, |v3|
	s_delay_alu instid0(VALU_DEP_3) | instskip(SKIP_2) | instid1(VALU_DEP_4)
	v_fmaak_f32 v31, v31, v32, 0x3f2aaada
	v_ldexp_f32 v32, v12, 1
	v_sub_f32_e32 v12, v12, v13
	s_or_b32 vcc_lo, vcc_lo, s2
	s_delay_alu instid0(VALU_DEP_3) | instskip(SKIP_1) | instid1(VALU_DEP_3)
	v_mul_f32_e32 v31, v33, v31
	v_mul_f32_e32 v33, 0x3f317218, v6
	v_sub_f32_e32 v7, v7, v12
	s_delay_alu instid0(VALU_DEP_3) | instskip(NEXT) | instid1(VALU_DEP_2)
	v_add_f32_e32 v13, v32, v31
	v_ldexp_f32 v7, v7, 1
	s_delay_alu instid0(VALU_DEP_2) | instskip(SKIP_1) | instid1(VALU_DEP_2)
	v_sub_f32_e32 v12, v13, v32
	v_fma_f32 v32, 0x3f317218, v6, -v33
	v_sub_f32_e32 v12, v31, v12
	s_delay_alu instid0(VALU_DEP_1) | instskip(NEXT) | instid1(VALU_DEP_1)
	v_dual_fmamk_f32 v6, v6, 0xb102e308, v32 :: v_dual_add_f32 v7, v7, v12
	v_add_f32_e32 v12, v33, v6
	s_delay_alu instid0(VALU_DEP_2) | instskip(NEXT) | instid1(VALU_DEP_2)
	v_add_f32_e32 v31, v13, v7
	v_sub_f32_e32 v33, v12, v33
	s_delay_alu instid0(VALU_DEP_2) | instskip(NEXT) | instid1(VALU_DEP_2)
	v_dual_add_f32 v32, v12, v31 :: v_dual_sub_f32 v13, v31, v13
	v_sub_f32_e32 v6, v6, v33
	s_delay_alu instid0(VALU_DEP_2) | instskip(NEXT) | instid1(VALU_DEP_1)
	v_dual_sub_f32 v34, v32, v12 :: v_dual_sub_f32 v7, v7, v13
	v_sub_f32_e32 v35, v32, v34
	v_sub_f32_e32 v13, v31, v34
	s_delay_alu instid0(VALU_DEP_3) | instskip(NEXT) | instid1(VALU_DEP_3)
	v_add_f32_e32 v31, v6, v7
	v_sub_f32_e32 v12, v12, v35
	s_delay_alu instid0(VALU_DEP_1) | instskip(NEXT) | instid1(VALU_DEP_1)
	v_dual_add_f32 v12, v13, v12 :: v_dual_sub_f32 v13, v31, v6
	v_add_f32_e32 v12, v31, v12
	s_delay_alu instid0(VALU_DEP_2) | instskip(SKIP_1) | instid1(VALU_DEP_2)
	v_sub_f32_e32 v31, v31, v13
	v_sub_f32_e32 v7, v7, v13
	v_dual_add_f32 v33, v32, v12 :: v_dual_sub_f32 v6, v6, v31
	s_delay_alu instid0(VALU_DEP_1) | instskip(NEXT) | instid1(VALU_DEP_1)
	v_dual_sub_f32 v13, v33, v32 :: v_dual_add_f32 v6, v7, v6
	v_sub_f32_e32 v7, v12, v13
	s_delay_alu instid0(VALU_DEP_1) | instskip(NEXT) | instid1(VALU_DEP_1)
	v_add_f32_e32 v6, v6, v7
	v_add_f32_e32 v6, v33, v6
	s_delay_alu instid0(VALU_DEP_1) | instskip(NEXT) | instid1(VALU_DEP_1)
	v_cndmask_b32_e32 v3, v6, v3, vcc_lo
	v_add_f32_e32 v3, v2, v3
.LBB481_356:
	s_or_b32 exec_lo, exec_lo, s1
	s_delay_alu instid0(VALU_DEP_1) | instskip(SKIP_1) | instid1(VALU_DEP_2)
	v_bfe_u32 v2, v3, 16, 1
	v_cmp_o_f32_e32 vcc_lo, v3, v3
	v_add3_u32 v2, v3, v2, 0x7fff
	s_delay_alu instid0(VALU_DEP_1) | instskip(NEXT) | instid1(VALU_DEP_1)
	v_lshrrev_b32_e32 v2, 16, v2
	v_cndmask_b32_e32 v84, 0x7fc0, v2, vcc_lo
	s_delay_alu instid0(VALU_DEP_1) | instskip(NEXT) | instid1(VALU_DEP_1)
	v_lshlrev_b32_e32 v3, 16, v84
	v_max_f32_e32 v2, v3, v3
	s_delay_alu instid0(VALU_DEP_1) | instskip(SKIP_2) | instid1(VALU_DEP_3)
	v_min_f32_e32 v6, v2, v85
	v_max_f32_e32 v2, v2, v85
	v_cmp_u_f32_e32 vcc_lo, v3, v3
	v_cndmask_b32_e32 v6, v6, v3, vcc_lo
	s_delay_alu instid0(VALU_DEP_3) | instskip(NEXT) | instid1(VALU_DEP_2)
	v_cndmask_b32_e32 v2, v2, v3, vcc_lo
	v_cndmask_b32_e64 v6, v6, v30, s20
	s_delay_alu instid0(VALU_DEP_2) | instskip(NEXT) | instid1(VALU_DEP_2)
	v_cndmask_b32_e64 v2, v2, v30, s20
	v_cmp_class_f32_e64 s1, v6, 0x1f8
	s_delay_alu instid0(VALU_DEP_2) | instskip(NEXT) | instid1(VALU_DEP_2)
	v_cmp_neq_f32_e32 vcc_lo, v6, v2
	s_or_b32 s2, vcc_lo, s1
	s_delay_alu instid0(SALU_CYCLE_1)
	s_and_saveexec_b32 s1, s2
	s_cbranch_execz .LBB481_358
; %bb.357:
	v_sub_f32_e32 v3, v6, v2
	s_mov_b32 s2, 0x3e9b6dac
	s_delay_alu instid0(VALU_DEP_1) | instskip(SKIP_1) | instid1(VALU_DEP_2)
	v_mul_f32_e32 v6, 0x3fb8aa3b, v3
	v_cmp_ngt_f32_e32 vcc_lo, 0xc2ce8ed0, v3
	v_fma_f32 v7, 0x3fb8aa3b, v3, -v6
	v_rndne_f32_e32 v12, v6
	s_delay_alu instid0(VALU_DEP_1) | instskip(NEXT) | instid1(VALU_DEP_1)
	v_dual_fmamk_f32 v7, v3, 0x32a5705f, v7 :: v_dual_sub_f32 v6, v6, v12
	v_add_f32_e32 v6, v6, v7
	v_cvt_i32_f32_e32 v7, v12
	s_delay_alu instid0(VALU_DEP_2) | instskip(SKIP_2) | instid1(VALU_DEP_1)
	v_exp_f32_e32 v6, v6
	s_waitcnt_depctr 0xfff
	v_ldexp_f32 v6, v6, v7
	v_cndmask_b32_e32 v6, 0, v6, vcc_lo
	v_cmp_nlt_f32_e32 vcc_lo, 0x42b17218, v3
	s_delay_alu instid0(VALU_DEP_2) | instskip(NEXT) | instid1(VALU_DEP_1)
	v_cndmask_b32_e32 v3, 0x7f800000, v6, vcc_lo
	v_add_f32_e32 v12, 1.0, v3
	s_delay_alu instid0(VALU_DEP_1) | instskip(NEXT) | instid1(VALU_DEP_1)
	v_cvt_f64_f32_e32 v[6:7], v12
	v_frexp_exp_i32_f64_e32 v6, v[6:7]
	v_frexp_mant_f32_e32 v7, v12
	s_delay_alu instid0(VALU_DEP_1) | instskip(SKIP_1) | instid1(VALU_DEP_1)
	v_cmp_gt_f32_e32 vcc_lo, 0x3f2aaaab, v7
	v_add_f32_e32 v7, -1.0, v12
	v_sub_f32_e32 v30, v7, v12
	s_delay_alu instid0(VALU_DEP_1) | instskip(NEXT) | instid1(VALU_DEP_1)
	v_dual_sub_f32 v7, v3, v7 :: v_dual_add_f32 v30, 1.0, v30
	v_add_f32_e32 v7, v7, v30
	v_subrev_co_ci_u32_e32 v6, vcc_lo, 0, v6, vcc_lo
	s_delay_alu instid0(VALU_DEP_1) | instskip(SKIP_1) | instid1(VALU_DEP_2)
	v_sub_nc_u32_e32 v13, 0, v6
	v_cvt_f32_i32_e32 v6, v6
	v_ldexp_f32 v12, v12, v13
	v_ldexp_f32 v7, v7, v13
	s_delay_alu instid0(VALU_DEP_2) | instskip(NEXT) | instid1(VALU_DEP_1)
	v_add_f32_e32 v13, -1.0, v12
	v_dual_add_f32 v31, 1.0, v12 :: v_dual_add_f32 v32, 1.0, v13
	s_delay_alu instid0(VALU_DEP_1) | instskip(SKIP_1) | instid1(VALU_DEP_2)
	v_add_f32_e32 v30, -1.0, v31
	v_cmp_eq_f32_e32 vcc_lo, 0x7f800000, v3
	v_sub_f32_e32 v30, v12, v30
	s_delay_alu instid0(VALU_DEP_4) | instskip(NEXT) | instid1(VALU_DEP_2)
	v_sub_f32_e32 v12, v12, v32
	v_add_f32_e32 v30, v7, v30
	s_delay_alu instid0(VALU_DEP_2) | instskip(NEXT) | instid1(VALU_DEP_1)
	v_add_f32_e32 v7, v7, v12
	v_dual_add_f32 v33, v13, v7 :: v_dual_add_f32 v32, v31, v30
	s_delay_alu instid0(VALU_DEP_1) | instskip(NEXT) | instid1(VALU_DEP_2)
	v_sub_f32_e32 v13, v13, v33
	v_rcp_f32_e32 v12, v32
	v_sub_f32_e32 v31, v31, v32
	s_delay_alu instid0(VALU_DEP_1) | instskip(SKIP_2) | instid1(VALU_DEP_1)
	v_dual_add_f32 v7, v7, v13 :: v_dual_add_f32 v30, v30, v31
	s_waitcnt_depctr 0xfff
	v_mul_f32_e32 v34, v33, v12
	v_mul_f32_e32 v35, v32, v34
	s_delay_alu instid0(VALU_DEP_1) | instskip(NEXT) | instid1(VALU_DEP_1)
	v_fma_f32 v31, v34, v32, -v35
	v_fmac_f32_e32 v31, v34, v30
	s_delay_alu instid0(VALU_DEP_1) | instskip(NEXT) | instid1(VALU_DEP_1)
	v_add_f32_e32 v36, v35, v31
	v_sub_f32_e32 v37, v33, v36
	s_delay_alu instid0(VALU_DEP_1) | instskip(SKIP_1) | instid1(VALU_DEP_2)
	v_sub_f32_e32 v33, v33, v37
	v_sub_f32_e32 v13, v36, v35
	;; [unrolled: 1-line block ×3, first 2 shown]
	s_delay_alu instid0(VALU_DEP_2) | instskip(NEXT) | instid1(VALU_DEP_2)
	v_sub_f32_e32 v13, v13, v31
	v_add_f32_e32 v7, v7, v33
	s_delay_alu instid0(VALU_DEP_1) | instskip(NEXT) | instid1(VALU_DEP_1)
	v_add_f32_e32 v7, v13, v7
	v_add_f32_e32 v13, v37, v7
	s_delay_alu instid0(VALU_DEP_1) | instskip(NEXT) | instid1(VALU_DEP_1)
	v_mul_f32_e32 v31, v12, v13
	v_dual_sub_f32 v36, v37, v13 :: v_dual_mul_f32 v33, v32, v31
	s_delay_alu instid0(VALU_DEP_1) | instskip(NEXT) | instid1(VALU_DEP_2)
	v_add_f32_e32 v7, v7, v36
	v_fma_f32 v32, v31, v32, -v33
	s_delay_alu instid0(VALU_DEP_1) | instskip(NEXT) | instid1(VALU_DEP_1)
	v_fmac_f32_e32 v32, v31, v30
	v_add_f32_e32 v30, v33, v32
	s_delay_alu instid0(VALU_DEP_1) | instskip(SKIP_1) | instid1(VALU_DEP_2)
	v_sub_f32_e32 v35, v13, v30
	v_sub_f32_e32 v33, v30, v33
	;; [unrolled: 1-line block ×3, first 2 shown]
	s_delay_alu instid0(VALU_DEP_1) | instskip(NEXT) | instid1(VALU_DEP_1)
	v_sub_f32_e32 v13, v13, v30
	v_dual_sub_f32 v30, v33, v32 :: v_dual_add_f32 v7, v7, v13
	v_add_f32_e32 v13, v34, v31
	s_delay_alu instid0(VALU_DEP_1) | instskip(NEXT) | instid1(VALU_DEP_1)
	v_dual_add_f32 v7, v30, v7 :: v_dual_sub_f32 v30, v13, v34
	v_add_f32_e32 v7, v35, v7
	s_delay_alu instid0(VALU_DEP_1) | instskip(NEXT) | instid1(VALU_DEP_1)
	v_dual_sub_f32 v30, v31, v30 :: v_dual_mul_f32 v7, v12, v7
	v_add_f32_e32 v7, v30, v7
	s_delay_alu instid0(VALU_DEP_1) | instskip(NEXT) | instid1(VALU_DEP_1)
	v_add_f32_e32 v12, v13, v7
	v_mul_f32_e32 v30, v12, v12
	s_delay_alu instid0(VALU_DEP_1) | instskip(SKIP_2) | instid1(VALU_DEP_3)
	v_fmaak_f32 v31, s2, v30, 0x3ecc95a3
	v_mul_f32_e32 v32, v12, v30
	v_cmp_gt_f32_e64 s2, 0x33800000, |v3|
	v_fmaak_f32 v30, v30, v31, 0x3f2aaada
	v_ldexp_f32 v31, v12, 1
	v_sub_f32_e32 v12, v12, v13
	s_delay_alu instid0(VALU_DEP_4) | instskip(NEXT) | instid1(VALU_DEP_3)
	s_or_b32 vcc_lo, vcc_lo, s2
	v_mul_f32_e32 v30, v32, v30
	s_delay_alu instid0(VALU_DEP_2) | instskip(NEXT) | instid1(VALU_DEP_2)
	v_dual_mul_f32 v32, 0x3f317218, v6 :: v_dual_sub_f32 v7, v7, v12
	v_add_f32_e32 v13, v31, v30
	s_delay_alu instid0(VALU_DEP_2) | instskip(NEXT) | instid1(VALU_DEP_2)
	v_ldexp_f32 v7, v7, 1
	v_sub_f32_e32 v12, v13, v31
	s_delay_alu instid0(VALU_DEP_4) | instskip(NEXT) | instid1(VALU_DEP_2)
	v_fma_f32 v31, 0x3f317218, v6, -v32
	v_sub_f32_e32 v12, v30, v12
	s_delay_alu instid0(VALU_DEP_1) | instskip(NEXT) | instid1(VALU_DEP_1)
	v_dual_fmamk_f32 v6, v6, 0xb102e308, v31 :: v_dual_add_f32 v7, v7, v12
	v_add_f32_e32 v12, v32, v6
	s_delay_alu instid0(VALU_DEP_1) | instskip(NEXT) | instid1(VALU_DEP_1)
	v_sub_f32_e32 v32, v12, v32
	v_sub_f32_e32 v6, v6, v32
	s_delay_alu instid0(VALU_DEP_4) | instskip(NEXT) | instid1(VALU_DEP_1)
	v_add_f32_e32 v30, v13, v7
	v_sub_f32_e32 v13, v30, v13
	s_delay_alu instid0(VALU_DEP_1) | instskip(SKIP_1) | instid1(VALU_DEP_1)
	v_sub_f32_e32 v7, v7, v13
	v_add_f32_e32 v31, v12, v30
	v_sub_f32_e32 v33, v31, v12
	s_delay_alu instid0(VALU_DEP_1) | instskip(NEXT) | instid1(VALU_DEP_4)
	v_sub_f32_e32 v13, v30, v33
	v_add_f32_e32 v30, v6, v7
	v_sub_f32_e32 v34, v31, v33
	s_delay_alu instid0(VALU_DEP_1) | instskip(NEXT) | instid1(VALU_DEP_1)
	v_sub_f32_e32 v12, v12, v34
	v_dual_add_f32 v12, v13, v12 :: v_dual_sub_f32 v13, v30, v6
	s_delay_alu instid0(VALU_DEP_1) | instskip(SKIP_1) | instid1(VALU_DEP_2)
	v_dual_add_f32 v12, v30, v12 :: v_dual_sub_f32 v7, v7, v13
	v_sub_f32_e32 v30, v30, v13
	v_add_f32_e32 v32, v31, v12
	s_delay_alu instid0(VALU_DEP_1) | instskip(NEXT) | instid1(VALU_DEP_1)
	v_dual_sub_f32 v6, v6, v30 :: v_dual_sub_f32 v13, v32, v31
	v_dual_add_f32 v6, v7, v6 :: v_dual_sub_f32 v7, v12, v13
	s_delay_alu instid0(VALU_DEP_1) | instskip(NEXT) | instid1(VALU_DEP_1)
	v_add_f32_e32 v6, v6, v7
	v_add_f32_e32 v6, v32, v6
	s_delay_alu instid0(VALU_DEP_1) | instskip(NEXT) | instid1(VALU_DEP_1)
	v_cndmask_b32_e32 v3, v6, v3, vcc_lo
	v_add_f32_e32 v3, v2, v3
.LBB481_358:
	s_or_b32 exec_lo, exec_lo, s1
	s_delay_alu instid0(VALU_DEP_1) | instskip(SKIP_1) | instid1(VALU_DEP_2)
	v_bfe_u32 v2, v3, 16, 1
	v_cmp_o_f32_e32 vcc_lo, v3, v3
	v_add3_u32 v2, v3, v2, 0x7fff
	s_delay_alu instid0(VALU_DEP_1) | instskip(NEXT) | instid1(VALU_DEP_1)
	v_lshrrev_b32_e32 v2, 16, v2
	v_cndmask_b32_e32 v85, 0x7fc0, v2, vcc_lo
	s_delay_alu instid0(VALU_DEP_1) | instskip(NEXT) | instid1(VALU_DEP_1)
	v_lshlrev_b32_e32 v3, 16, v85
	v_max_f32_e32 v2, v3, v3
	s_delay_alu instid0(VALU_DEP_1) | instskip(SKIP_2) | instid1(VALU_DEP_3)
	v_min_f32_e32 v6, v2, v86
	v_max_f32_e32 v2, v2, v86
	v_cmp_u_f32_e32 vcc_lo, v3, v3
	v_cndmask_b32_e32 v6, v6, v3, vcc_lo
	s_delay_alu instid0(VALU_DEP_3) | instskip(NEXT) | instid1(VALU_DEP_2)
	v_cndmask_b32_e32 v2, v2, v3, vcc_lo
	v_cndmask_b32_e64 v6, v6, v29, s21
	s_delay_alu instid0(VALU_DEP_2) | instskip(NEXT) | instid1(VALU_DEP_2)
	v_cndmask_b32_e64 v2, v2, v29, s21
	v_cmp_class_f32_e64 s1, v6, 0x1f8
	s_delay_alu instid0(VALU_DEP_2) | instskip(NEXT) | instid1(VALU_DEP_2)
	v_cmp_neq_f32_e32 vcc_lo, v6, v2
	s_or_b32 s2, vcc_lo, s1
	s_delay_alu instid0(SALU_CYCLE_1)
	s_and_saveexec_b32 s1, s2
	s_cbranch_execz .LBB481_360
; %bb.359:
	v_sub_f32_e32 v3, v6, v2
	s_mov_b32 s2, 0x3e9b6dac
	s_delay_alu instid0(VALU_DEP_1) | instskip(SKIP_1) | instid1(VALU_DEP_2)
	v_mul_f32_e32 v6, 0x3fb8aa3b, v3
	v_cmp_ngt_f32_e32 vcc_lo, 0xc2ce8ed0, v3
	v_fma_f32 v7, 0x3fb8aa3b, v3, -v6
	v_rndne_f32_e32 v12, v6
	s_delay_alu instid0(VALU_DEP_1) | instskip(NEXT) | instid1(VALU_DEP_1)
	v_dual_fmamk_f32 v7, v3, 0x32a5705f, v7 :: v_dual_sub_f32 v6, v6, v12
	v_add_f32_e32 v6, v6, v7
	v_cvt_i32_f32_e32 v7, v12
	s_delay_alu instid0(VALU_DEP_2) | instskip(SKIP_2) | instid1(VALU_DEP_1)
	v_exp_f32_e32 v6, v6
	s_waitcnt_depctr 0xfff
	v_ldexp_f32 v6, v6, v7
	v_cndmask_b32_e32 v6, 0, v6, vcc_lo
	v_cmp_nlt_f32_e32 vcc_lo, 0x42b17218, v3
	s_delay_alu instid0(VALU_DEP_2) | instskip(NEXT) | instid1(VALU_DEP_1)
	v_cndmask_b32_e32 v3, 0x7f800000, v6, vcc_lo
	v_add_f32_e32 v12, 1.0, v3
	s_delay_alu instid0(VALU_DEP_1) | instskip(NEXT) | instid1(VALU_DEP_1)
	v_cvt_f64_f32_e32 v[6:7], v12
	v_frexp_exp_i32_f64_e32 v6, v[6:7]
	v_frexp_mant_f32_e32 v7, v12
	s_delay_alu instid0(VALU_DEP_1) | instskip(SKIP_1) | instid1(VALU_DEP_1)
	v_cmp_gt_f32_e32 vcc_lo, 0x3f2aaaab, v7
	v_add_f32_e32 v7, -1.0, v12
	v_sub_f32_e32 v29, v7, v12
	v_sub_f32_e32 v7, v3, v7
	s_delay_alu instid0(VALU_DEP_2) | instskip(SKIP_1) | instid1(VALU_DEP_1)
	v_add_f32_e32 v29, 1.0, v29
	v_subrev_co_ci_u32_e32 v6, vcc_lo, 0, v6, vcc_lo
	v_sub_nc_u32_e32 v13, 0, v6
	v_cvt_f32_i32_e32 v6, v6
	s_delay_alu instid0(VALU_DEP_2) | instskip(NEXT) | instid1(VALU_DEP_1)
	v_ldexp_f32 v12, v12, v13
	v_dual_add_f32 v30, 1.0, v12 :: v_dual_add_f32 v7, v7, v29
	s_delay_alu instid0(VALU_DEP_1) | instskip(SKIP_1) | instid1(VALU_DEP_3)
	v_ldexp_f32 v7, v7, v13
	v_add_f32_e32 v13, -1.0, v12
	v_add_f32_e32 v29, -1.0, v30
	s_delay_alu instid0(VALU_DEP_2) | instskip(NEXT) | instid1(VALU_DEP_2)
	v_add_f32_e32 v31, 1.0, v13
	v_sub_f32_e32 v29, v12, v29
	s_delay_alu instid0(VALU_DEP_1) | instskip(SKIP_1) | instid1(VALU_DEP_2)
	v_dual_sub_f32 v12, v12, v31 :: v_dual_add_f32 v29, v7, v29
	v_cmp_eq_f32_e32 vcc_lo, 0x7f800000, v3
	v_add_f32_e32 v31, v30, v29
	s_delay_alu instid0(VALU_DEP_1) | instskip(NEXT) | instid1(VALU_DEP_1)
	v_sub_f32_e32 v30, v30, v31
	v_add_f32_e32 v29, v29, v30
	v_add_f32_e32 v7, v7, v12
	v_rcp_f32_e32 v12, v31
	s_delay_alu instid0(VALU_DEP_1) | instskip(SKIP_2) | instid1(VALU_DEP_1)
	v_add_f32_e32 v32, v13, v7
	s_waitcnt_depctr 0xfff
	v_mul_f32_e32 v33, v32, v12
	v_dual_mul_f32 v34, v31, v33 :: v_dual_sub_f32 v13, v13, v32
	s_delay_alu instid0(VALU_DEP_1) | instskip(NEXT) | instid1(VALU_DEP_1)
	v_fma_f32 v30, v33, v31, -v34
	v_fmac_f32_e32 v30, v33, v29
	s_delay_alu instid0(VALU_DEP_3) | instskip(NEXT) | instid1(VALU_DEP_2)
	v_add_f32_e32 v7, v7, v13
	v_add_f32_e32 v35, v34, v30
	s_delay_alu instid0(VALU_DEP_1) | instskip(NEXT) | instid1(VALU_DEP_1)
	v_dual_sub_f32 v36, v32, v35 :: v_dual_sub_f32 v13, v35, v34
	v_dual_sub_f32 v32, v32, v36 :: v_dual_sub_f32 v13, v13, v30
	s_delay_alu instid0(VALU_DEP_1) | instskip(NEXT) | instid1(VALU_DEP_1)
	v_sub_f32_e32 v32, v32, v35
	v_add_f32_e32 v7, v7, v32
	s_delay_alu instid0(VALU_DEP_1) | instskip(NEXT) | instid1(VALU_DEP_1)
	v_add_f32_e32 v7, v13, v7
	v_add_f32_e32 v13, v36, v7
	s_delay_alu instid0(VALU_DEP_1) | instskip(NEXT) | instid1(VALU_DEP_1)
	v_mul_f32_e32 v30, v12, v13
	v_dual_sub_f32 v35, v36, v13 :: v_dual_mul_f32 v32, v31, v30
	s_delay_alu instid0(VALU_DEP_1) | instskip(NEXT) | instid1(VALU_DEP_2)
	v_add_f32_e32 v7, v7, v35
	v_fma_f32 v31, v30, v31, -v32
	s_delay_alu instid0(VALU_DEP_1) | instskip(NEXT) | instid1(VALU_DEP_1)
	v_fmac_f32_e32 v31, v30, v29
	v_add_f32_e32 v29, v32, v31
	s_delay_alu instid0(VALU_DEP_1) | instskip(SKIP_1) | instid1(VALU_DEP_2)
	v_sub_f32_e32 v34, v13, v29
	v_sub_f32_e32 v32, v29, v32
	;; [unrolled: 1-line block ×3, first 2 shown]
	s_delay_alu instid0(VALU_DEP_1) | instskip(NEXT) | instid1(VALU_DEP_3)
	v_sub_f32_e32 v13, v13, v29
	v_sub_f32_e32 v29, v32, v31
	s_delay_alu instid0(VALU_DEP_2) | instskip(SKIP_1) | instid1(VALU_DEP_2)
	v_add_f32_e32 v7, v7, v13
	v_add_f32_e32 v13, v33, v30
	;; [unrolled: 1-line block ×3, first 2 shown]
	s_delay_alu instid0(VALU_DEP_2) | instskip(NEXT) | instid1(VALU_DEP_2)
	v_sub_f32_e32 v29, v13, v33
	v_add_f32_e32 v7, v34, v7
	s_delay_alu instid0(VALU_DEP_2) | instskip(NEXT) | instid1(VALU_DEP_2)
	v_sub_f32_e32 v29, v30, v29
	v_mul_f32_e32 v7, v12, v7
	s_delay_alu instid0(VALU_DEP_1) | instskip(NEXT) | instid1(VALU_DEP_1)
	v_add_f32_e32 v7, v29, v7
	v_add_f32_e32 v12, v13, v7
	s_delay_alu instid0(VALU_DEP_1) | instskip(NEXT) | instid1(VALU_DEP_1)
	v_mul_f32_e32 v29, v12, v12
	v_fmaak_f32 v30, s2, v29, 0x3ecc95a3
	v_mul_f32_e32 v31, v12, v29
	v_cmp_gt_f32_e64 s2, 0x33800000, |v3|
	s_delay_alu instid0(VALU_DEP_3) | instskip(SKIP_2) | instid1(VALU_DEP_4)
	v_fmaak_f32 v29, v29, v30, 0x3f2aaada
	v_ldexp_f32 v30, v12, 1
	v_sub_f32_e32 v12, v12, v13
	s_or_b32 vcc_lo, vcc_lo, s2
	s_delay_alu instid0(VALU_DEP_3) | instskip(SKIP_1) | instid1(VALU_DEP_3)
	v_mul_f32_e32 v29, v31, v29
	v_mul_f32_e32 v31, 0x3f317218, v6
	v_sub_f32_e32 v7, v7, v12
	s_delay_alu instid0(VALU_DEP_3) | instskip(NEXT) | instid1(VALU_DEP_2)
	v_add_f32_e32 v13, v30, v29
	v_ldexp_f32 v7, v7, 1
	s_delay_alu instid0(VALU_DEP_2) | instskip(SKIP_1) | instid1(VALU_DEP_2)
	v_sub_f32_e32 v12, v13, v30
	v_fma_f32 v30, 0x3f317218, v6, -v31
	v_sub_f32_e32 v12, v29, v12
	s_delay_alu instid0(VALU_DEP_1) | instskip(NEXT) | instid1(VALU_DEP_1)
	v_dual_fmamk_f32 v6, v6, 0xb102e308, v30 :: v_dual_add_f32 v7, v7, v12
	v_dual_add_f32 v12, v31, v6 :: v_dual_add_f32 v29, v13, v7
	s_delay_alu instid0(VALU_DEP_1) | instskip(NEXT) | instid1(VALU_DEP_2)
	v_sub_f32_e32 v31, v12, v31
	v_add_f32_e32 v30, v12, v29
	s_delay_alu instid0(VALU_DEP_2) | instskip(NEXT) | instid1(VALU_DEP_1)
	v_dual_sub_f32 v13, v29, v13 :: v_dual_sub_f32 v6, v6, v31
	v_dual_sub_f32 v32, v30, v12 :: v_dual_sub_f32 v7, v7, v13
	s_delay_alu instid0(VALU_DEP_1) | instskip(SKIP_1) | instid1(VALU_DEP_2)
	v_sub_f32_e32 v33, v30, v32
	v_sub_f32_e32 v13, v29, v32
	v_dual_add_f32 v29, v6, v7 :: v_dual_sub_f32 v12, v12, v33
	s_delay_alu instid0(VALU_DEP_1) | instskip(NEXT) | instid1(VALU_DEP_2)
	v_add_f32_e32 v12, v13, v12
	v_sub_f32_e32 v13, v29, v6
	s_delay_alu instid0(VALU_DEP_2) | instskip(NEXT) | instid1(VALU_DEP_2)
	v_add_f32_e32 v12, v29, v12
	v_sub_f32_e32 v29, v29, v13
	v_sub_f32_e32 v7, v7, v13
	s_delay_alu instid0(VALU_DEP_3) | instskip(NEXT) | instid1(VALU_DEP_1)
	v_add_f32_e32 v31, v30, v12
	v_dual_sub_f32 v6, v6, v29 :: v_dual_sub_f32 v13, v31, v30
	s_delay_alu instid0(VALU_DEP_1) | instskip(NEXT) | instid1(VALU_DEP_1)
	v_dual_add_f32 v6, v7, v6 :: v_dual_sub_f32 v7, v12, v13
	v_add_f32_e32 v6, v6, v7
	s_delay_alu instid0(VALU_DEP_1) | instskip(NEXT) | instid1(VALU_DEP_1)
	v_add_f32_e32 v6, v31, v6
	v_cndmask_b32_e32 v3, v6, v3, vcc_lo
	s_delay_alu instid0(VALU_DEP_1)
	v_add_f32_e32 v3, v2, v3
.LBB481_360:
	s_or_b32 exec_lo, exec_lo, s1
	s_delay_alu instid0(VALU_DEP_1) | instskip(SKIP_1) | instid1(VALU_DEP_2)
	v_bfe_u32 v2, v3, 16, 1
	v_cmp_o_f32_e32 vcc_lo, v3, v3
	v_add3_u32 v2, v3, v2, 0x7fff
	s_delay_alu instid0(VALU_DEP_1) | instskip(NEXT) | instid1(VALU_DEP_1)
	v_lshrrev_b32_e32 v2, 16, v2
	v_cndmask_b32_e32 v86, 0x7fc0, v2, vcc_lo
	s_delay_alu instid0(VALU_DEP_1) | instskip(NEXT) | instid1(VALU_DEP_1)
	v_lshlrev_b32_e32 v3, 16, v86
	v_max_f32_e32 v2, v3, v3
	s_delay_alu instid0(VALU_DEP_1) | instskip(SKIP_2) | instid1(VALU_DEP_3)
	v_min_f32_e32 v6, v2, v87
	v_max_f32_e32 v2, v2, v87
	v_cmp_u_f32_e32 vcc_lo, v3, v3
	v_cndmask_b32_e32 v6, v6, v3, vcc_lo
	s_delay_alu instid0(VALU_DEP_3) | instskip(NEXT) | instid1(VALU_DEP_2)
	v_cndmask_b32_e32 v2, v2, v3, vcc_lo
	v_cndmask_b32_e64 v6, v6, v28, s22
	s_delay_alu instid0(VALU_DEP_2) | instskip(NEXT) | instid1(VALU_DEP_2)
	v_cndmask_b32_e64 v2, v2, v28, s22
	v_cmp_class_f32_e64 s1, v6, 0x1f8
	s_delay_alu instid0(VALU_DEP_2) | instskip(NEXT) | instid1(VALU_DEP_2)
	v_cmp_neq_f32_e32 vcc_lo, v6, v2
	s_or_b32 s2, vcc_lo, s1
	s_delay_alu instid0(SALU_CYCLE_1)
	s_and_saveexec_b32 s1, s2
	s_cbranch_execz .LBB481_362
; %bb.361:
	v_sub_f32_e32 v3, v6, v2
	s_mov_b32 s2, 0x3e9b6dac
	s_delay_alu instid0(VALU_DEP_1) | instskip(SKIP_1) | instid1(VALU_DEP_2)
	v_mul_f32_e32 v6, 0x3fb8aa3b, v3
	v_cmp_ngt_f32_e32 vcc_lo, 0xc2ce8ed0, v3
	v_fma_f32 v7, 0x3fb8aa3b, v3, -v6
	v_rndne_f32_e32 v12, v6
	s_delay_alu instid0(VALU_DEP_1) | instskip(NEXT) | instid1(VALU_DEP_1)
	v_dual_fmamk_f32 v7, v3, 0x32a5705f, v7 :: v_dual_sub_f32 v6, v6, v12
	v_add_f32_e32 v6, v6, v7
	v_cvt_i32_f32_e32 v7, v12
	s_delay_alu instid0(VALU_DEP_2) | instskip(SKIP_2) | instid1(VALU_DEP_1)
	v_exp_f32_e32 v6, v6
	s_waitcnt_depctr 0xfff
	v_ldexp_f32 v6, v6, v7
	v_cndmask_b32_e32 v6, 0, v6, vcc_lo
	v_cmp_nlt_f32_e32 vcc_lo, 0x42b17218, v3
	s_delay_alu instid0(VALU_DEP_2) | instskip(NEXT) | instid1(VALU_DEP_1)
	v_cndmask_b32_e32 v3, 0x7f800000, v6, vcc_lo
	v_add_f32_e32 v12, 1.0, v3
	s_delay_alu instid0(VALU_DEP_1) | instskip(NEXT) | instid1(VALU_DEP_1)
	v_cvt_f64_f32_e32 v[6:7], v12
	v_frexp_exp_i32_f64_e32 v6, v[6:7]
	v_frexp_mant_f32_e32 v7, v12
	s_delay_alu instid0(VALU_DEP_1) | instskip(SKIP_1) | instid1(VALU_DEP_1)
	v_cmp_gt_f32_e32 vcc_lo, 0x3f2aaaab, v7
	v_add_f32_e32 v7, -1.0, v12
	v_sub_f32_e32 v28, v7, v12
	s_delay_alu instid0(VALU_DEP_1) | instskip(NEXT) | instid1(VALU_DEP_1)
	v_dual_add_f32 v28, 1.0, v28 :: v_dual_sub_f32 v7, v3, v7
	v_add_f32_e32 v7, v7, v28
	v_subrev_co_ci_u32_e32 v6, vcc_lo, 0, v6, vcc_lo
	v_cmp_eq_f32_e32 vcc_lo, 0x7f800000, v3
	s_delay_alu instid0(VALU_DEP_2) | instskip(SKIP_1) | instid1(VALU_DEP_2)
	v_sub_nc_u32_e32 v13, 0, v6
	v_cvt_f32_i32_e32 v6, v6
	v_ldexp_f32 v12, v12, v13
	v_ldexp_f32 v7, v7, v13
	s_delay_alu instid0(VALU_DEP_2) | instskip(NEXT) | instid1(VALU_DEP_1)
	v_add_f32_e32 v29, 1.0, v12
	v_dual_add_f32 v13, -1.0, v12 :: v_dual_add_f32 v28, -1.0, v29
	s_delay_alu instid0(VALU_DEP_1) | instskip(NEXT) | instid1(VALU_DEP_2)
	v_add_f32_e32 v30, 1.0, v13
	v_sub_f32_e32 v28, v12, v28
	s_delay_alu instid0(VALU_DEP_2) | instskip(NEXT) | instid1(VALU_DEP_2)
	v_sub_f32_e32 v12, v12, v30
	v_add_f32_e32 v28, v7, v28
	s_delay_alu instid0(VALU_DEP_2) | instskip(NEXT) | instid1(VALU_DEP_1)
	v_add_f32_e32 v7, v7, v12
	v_add_f32_e32 v31, v13, v7
	s_delay_alu instid0(VALU_DEP_3) | instskip(NEXT) | instid1(VALU_DEP_2)
	v_add_f32_e32 v30, v29, v28
	v_sub_f32_e32 v13, v13, v31
	s_delay_alu instid0(VALU_DEP_2) | instskip(SKIP_1) | instid1(VALU_DEP_1)
	v_rcp_f32_e32 v12, v30
	v_sub_f32_e32 v29, v29, v30
	v_add_f32_e32 v28, v28, v29
	s_delay_alu instid0(VALU_DEP_3) | instskip(SKIP_2) | instid1(VALU_DEP_1)
	v_add_f32_e32 v7, v7, v13
	s_waitcnt_depctr 0xfff
	v_mul_f32_e32 v32, v31, v12
	v_mul_f32_e32 v33, v30, v32
	s_delay_alu instid0(VALU_DEP_1) | instskip(NEXT) | instid1(VALU_DEP_1)
	v_fma_f32 v29, v32, v30, -v33
	v_fmac_f32_e32 v29, v32, v28
	s_delay_alu instid0(VALU_DEP_1) | instskip(NEXT) | instid1(VALU_DEP_1)
	v_add_f32_e32 v34, v33, v29
	v_sub_f32_e32 v35, v31, v34
	s_delay_alu instid0(VALU_DEP_1) | instskip(NEXT) | instid1(VALU_DEP_1)
	v_sub_f32_e32 v31, v31, v35
	v_sub_f32_e32 v31, v31, v34
	s_delay_alu instid0(VALU_DEP_1) | instskip(SKIP_1) | instid1(VALU_DEP_1)
	v_add_f32_e32 v7, v7, v31
	v_sub_f32_e32 v13, v34, v33
	v_sub_f32_e32 v13, v13, v29
	s_delay_alu instid0(VALU_DEP_1) | instskip(NEXT) | instid1(VALU_DEP_1)
	v_add_f32_e32 v7, v13, v7
	v_add_f32_e32 v13, v35, v7
	s_delay_alu instid0(VALU_DEP_1) | instskip(SKIP_1) | instid1(VALU_DEP_2)
	v_mul_f32_e32 v29, v12, v13
	v_sub_f32_e32 v34, v35, v13
	v_mul_f32_e32 v31, v30, v29
	s_delay_alu instid0(VALU_DEP_2) | instskip(NEXT) | instid1(VALU_DEP_2)
	v_add_f32_e32 v7, v7, v34
	v_fma_f32 v30, v29, v30, -v31
	s_delay_alu instid0(VALU_DEP_1) | instskip(NEXT) | instid1(VALU_DEP_1)
	v_fmac_f32_e32 v30, v29, v28
	v_add_f32_e32 v28, v31, v30
	s_delay_alu instid0(VALU_DEP_1) | instskip(SKIP_1) | instid1(VALU_DEP_2)
	v_sub_f32_e32 v33, v13, v28
	v_sub_f32_e32 v31, v28, v31
	;; [unrolled: 1-line block ×3, first 2 shown]
	s_delay_alu instid0(VALU_DEP_1) | instskip(NEXT) | instid1(VALU_DEP_1)
	v_dual_sub_f32 v13, v13, v28 :: v_dual_sub_f32 v28, v31, v30
	v_add_f32_e32 v7, v7, v13
	v_add_f32_e32 v13, v32, v29
	s_delay_alu instid0(VALU_DEP_1) | instskip(NEXT) | instid1(VALU_DEP_1)
	v_dual_add_f32 v7, v28, v7 :: v_dual_sub_f32 v28, v13, v32
	v_add_f32_e32 v7, v33, v7
	s_delay_alu instid0(VALU_DEP_1) | instskip(NEXT) | instid1(VALU_DEP_1)
	v_dual_sub_f32 v28, v29, v28 :: v_dual_mul_f32 v7, v12, v7
	v_add_f32_e32 v7, v28, v7
	s_delay_alu instid0(VALU_DEP_1) | instskip(NEXT) | instid1(VALU_DEP_1)
	v_add_f32_e32 v12, v13, v7
	v_mul_f32_e32 v28, v12, v12
	s_delay_alu instid0(VALU_DEP_1) | instskip(SKIP_2) | instid1(VALU_DEP_3)
	v_fmaak_f32 v29, s2, v28, 0x3ecc95a3
	v_mul_f32_e32 v30, v12, v28
	v_cmp_gt_f32_e64 s2, 0x33800000, |v3|
	v_fmaak_f32 v28, v28, v29, 0x3f2aaada
	v_ldexp_f32 v29, v12, 1
	v_sub_f32_e32 v12, v12, v13
	s_delay_alu instid0(VALU_DEP_4) | instskip(NEXT) | instid1(VALU_DEP_3)
	s_or_b32 vcc_lo, vcc_lo, s2
	v_mul_f32_e32 v28, v30, v28
	s_delay_alu instid0(VALU_DEP_2) | instskip(NEXT) | instid1(VALU_DEP_2)
	v_dual_mul_f32 v30, 0x3f317218, v6 :: v_dual_sub_f32 v7, v7, v12
	v_add_f32_e32 v13, v29, v28
	s_delay_alu instid0(VALU_DEP_2) | instskip(NEXT) | instid1(VALU_DEP_2)
	v_ldexp_f32 v7, v7, 1
	v_sub_f32_e32 v12, v13, v29
	s_delay_alu instid0(VALU_DEP_4) | instskip(NEXT) | instid1(VALU_DEP_2)
	v_fma_f32 v29, 0x3f317218, v6, -v30
	v_sub_f32_e32 v12, v28, v12
	s_delay_alu instid0(VALU_DEP_1) | instskip(NEXT) | instid1(VALU_DEP_1)
	v_dual_fmamk_f32 v6, v6, 0xb102e308, v29 :: v_dual_add_f32 v7, v7, v12
	v_add_f32_e32 v12, v30, v6
	s_delay_alu instid0(VALU_DEP_2) | instskip(NEXT) | instid1(VALU_DEP_2)
	v_add_f32_e32 v28, v13, v7
	v_sub_f32_e32 v30, v12, v30
	s_delay_alu instid0(VALU_DEP_2) | instskip(NEXT) | instid1(VALU_DEP_2)
	v_add_f32_e32 v29, v12, v28
	v_dual_sub_f32 v13, v28, v13 :: v_dual_sub_f32 v6, v6, v30
	s_delay_alu instid0(VALU_DEP_2) | instskip(NEXT) | instid1(VALU_DEP_1)
	v_sub_f32_e32 v31, v29, v12
	v_dual_sub_f32 v32, v29, v31 :: v_dual_sub_f32 v7, v7, v13
	v_sub_f32_e32 v13, v28, v31
	s_delay_alu instid0(VALU_DEP_2) | instskip(NEXT) | instid1(VALU_DEP_3)
	v_sub_f32_e32 v12, v12, v32
	v_add_f32_e32 v28, v6, v7
	s_delay_alu instid0(VALU_DEP_1) | instskip(NEXT) | instid1(VALU_DEP_1)
	v_dual_add_f32 v12, v13, v12 :: v_dual_sub_f32 v13, v28, v6
	v_dual_add_f32 v12, v28, v12 :: v_dual_sub_f32 v7, v7, v13
	v_sub_f32_e32 v28, v28, v13
	s_delay_alu instid0(VALU_DEP_1) | instskip(NEXT) | instid1(VALU_DEP_1)
	v_sub_f32_e32 v6, v6, v28
	v_add_f32_e32 v6, v7, v6
	s_delay_alu instid0(VALU_DEP_4) | instskip(NEXT) | instid1(VALU_DEP_1)
	v_add_f32_e32 v30, v29, v12
	v_sub_f32_e32 v13, v30, v29
	s_delay_alu instid0(VALU_DEP_1) | instskip(NEXT) | instid1(VALU_DEP_1)
	v_sub_f32_e32 v7, v12, v13
	v_add_f32_e32 v6, v6, v7
	s_delay_alu instid0(VALU_DEP_1) | instskip(NEXT) | instid1(VALU_DEP_1)
	v_add_f32_e32 v6, v30, v6
	v_cndmask_b32_e32 v3, v6, v3, vcc_lo
	s_delay_alu instid0(VALU_DEP_1)
	v_add_f32_e32 v3, v2, v3
.LBB481_362:
	s_or_b32 exec_lo, exec_lo, s1
	s_delay_alu instid0(VALU_DEP_1) | instskip(SKIP_2) | instid1(VALU_DEP_2)
	v_bfe_u32 v2, v3, 16, 1
	v_cmp_o_f32_e32 vcc_lo, v3, v3
	s_mov_b32 s1, exec_lo
	v_add3_u32 v2, v3, v2, 0x7fff
	s_delay_alu instid0(VALU_DEP_1) | instskip(NEXT) | instid1(VALU_DEP_1)
	v_lshrrev_b32_e32 v2, 16, v2
	v_cndmask_b32_e32 v87, 0x7fc0, v2, vcc_lo
	v_cmpx_eq_u32_e32 63, v21
	s_cbranch_execz .LBB481_364
; %bb.363:
	s_delay_alu instid0(VALU_DEP_2) | instskip(NEXT) | instid1(VALU_DEP_1)
	v_and_b32_e32 v2, 0xffff, v87
	v_or_b32_e32 v2, 0x20000, v2
	flat_store_b32 v[18:19], v2 offset:128
.LBB481_364:
	s_or_b32 exec_lo, exec_lo, s1
.LBB481_365:
	v_add_co_u32 v0, vcc_lo, v10, v0
	v_add_co_ci_u32_e32 v1, vcc_lo, v11, v1, vcc_lo
	v_perm_b32 v2, v23, v22, 0x5040100
	s_delay_alu instid0(VALU_DEP_3) | instskip(NEXT) | instid1(VALU_DEP_3)
	v_add_co_u32 v0, vcc_lo, v0, v14
	v_add_co_ci_u32_e32 v1, vcc_lo, v1, v15, vcc_lo
	v_perm_b32 v3, v17, v16, 0x5040100
	v_perm_b32 v6, v146, v145, 0x5040100
	;; [unrolled: 1-line block ×10, first 2 shown]
	s_waitcnt lgkmcnt(0)
	s_waitcnt_vscnt null, 0x0
	s_barrier
	buffer_gl0_inv
	s_and_saveexec_b32 s1, s0
	s_delay_alu instid0(SALU_CYCLE_1)
	s_xor_b32 s0, exec_lo, s1
	s_cbranch_execz .LBB481_367
; %bb.366:
	ds_store_2addr_b32 v27, v3, v2 offset1:1
	ds_store_2addr_b32 v27, v7, v6 offset0:2 offset1:3
	ds_store_2addr_b32 v27, v11, v10 offset0:4 offset1:5
	;; [unrolled: 1-line block ×4, first 2 shown]
	ds_store_b32 v27, v16 offset:40
	s_waitcnt lgkmcnt(0)
	s_barrier
	buffer_gl0_inv
	ds_load_u16 v2, v25
	ds_load_u16 v3, v25 offset:128
	ds_load_u16 v4, v25 offset:256
	;; [unrolled: 1-line block ×21, first 2 shown]
	v_add_co_u32 v0, vcc_lo, v0, v25
	v_add_co_ci_u32_e32 v1, vcc_lo, 0, v1, vcc_lo
                                        ; implicit-def: $vgpr27
                                        ; implicit-def: $vgpr26
                                        ; implicit-def: $vgpr24
                                        ; implicit-def: $vgpr25
	s_waitcnt lgkmcnt(21)
	flat_store_b16 v[0:1], v2
	s_waitcnt lgkmcnt(21)
	flat_store_b16 v[0:1], v3 offset:128
	s_waitcnt lgkmcnt(21)
	flat_store_b16 v[0:1], v4 offset:256
	;; [unrolled: 2-line block ×21, first 2 shown]
                                        ; implicit-def: $vgpr2_vgpr3_vgpr4_vgpr5
                                        ; implicit-def: $vgpr6_vgpr7_vgpr8_vgpr9
                                        ; implicit-def: $vgpr21
                                        ; implicit-def: $vgpr20
                                        ; implicit-def: $vgpr0
                                        ; implicit-def: $vgpr1
                                        ; implicit-def: $vgpr2
                                        ; implicit-def: $vgpr3
                                        ; implicit-def: $vgpr6
                                        ; implicit-def: $vgpr7
                                        ; implicit-def: $vgpr10
                                        ; implicit-def: $vgpr11
                                        ; implicit-def: $vgpr12
                                        ; implicit-def: $vgpr13
                                        ; implicit-def: $vgpr14
                                        ; implicit-def: $vgpr15
                                        ; implicit-def: $vgpr16
.LBB481_367:
	s_and_not1_saveexec_b32 s1, s0
	s_cbranch_execz .LBB481_495
; %bb.368:
	ds_store_2addr_b32 v27, v3, v2 offset1:1
	ds_store_2addr_b32 v27, v7, v6 offset0:2 offset1:3
	ds_store_2addr_b32 v27, v11, v10 offset0:4 offset1:5
	;; [unrolled: 1-line block ×4, first 2 shown]
	ds_store_b32 v27, v16 offset:40
	s_waitcnt lgkmcnt(0)
	s_waitcnt_vscnt null, 0x0
	s_barrier
	buffer_gl0_inv
	ds_load_u16 v3, v25
	ds_load_u16 v2, v25 offset:128
	ds_load_u16 v7, v25 offset:256
	;; [unrolled: 1-line block ×21, first 2 shown]
	v_add_co_u32 v0, vcc_lo, v0, v25
	v_mov_b32_e32 v22, 0
	v_add_co_ci_u32_e32 v1, vcc_lo, 0, v1, vcc_lo
	s_mov_b32 s0, exec_lo
	v_cmpx_lt_u32_e64 v21, v20
	s_cbranch_execz .LBB481_370
; %bb.369:
	s_waitcnt lgkmcnt(21)
	flat_store_b16 v[0:1], v3
.LBB481_370:
	s_or_b32 exec_lo, exec_lo, s0
	v_add_nc_u32_e32 v25, 64, v21
	s_mov_b32 s0, exec_lo
	s_delay_alu instid0(VALU_DEP_1)
	v_cmpx_lt_u32_e64 v25, v20
	s_cbranch_execz .LBB481_372
; %bb.371:
	s_waitcnt lgkmcnt(20)
	flat_store_b16 v[0:1], v2 offset:128
.LBB481_372:
	s_or_b32 exec_lo, exec_lo, s0
	v_add_nc_u32_e32 v25, 0x80, v21
	s_mov_b32 s0, exec_lo
	s_delay_alu instid0(VALU_DEP_1)
	v_cmpx_lt_u32_e64 v25, v20
	s_cbranch_execz .LBB481_374
; %bb.373:
	s_waitcnt lgkmcnt(19)
	flat_store_b16 v[0:1], v7 offset:256
.LBB481_374:
	;; [unrolled: 10-line block ×15, first 2 shown]
	s_or_b32 exec_lo, exec_lo, s0
	v_or_b32_e32 v25, 0x400, v21
	s_mov_b32 s0, exec_lo
	s_delay_alu instid0(VALU_DEP_1)
	v_cmpx_lt_u32_e64 v25, v20
	s_cbranch_execz .LBB481_402
; %bb.401:
	s_waitcnt lgkmcnt(5)
	flat_store_b16 v[0:1], v29 offset:2048
.LBB481_402:
	s_or_b32 exec_lo, exec_lo, s0
	v_add_nc_u32_e32 v25, 0x440, v21
	s_mov_b32 s0, exec_lo
	s_delay_alu instid0(VALU_DEP_1)
	v_cmpx_lt_u32_e64 v25, v20
	s_cbranch_execz .LBB481_404
; %bb.403:
	s_waitcnt lgkmcnt(4)
	flat_store_b16 v[0:1], v27 offset:2176
.LBB481_404:
	s_or_b32 exec_lo, exec_lo, s0
	v_add_nc_u32_e32 v25, 0x480, v21
	;; [unrolled: 10-line block ×5, first 2 shown]
	s_mov_b32 s0, exec_lo
	s_delay_alu instid0(VALU_DEP_1)
	v_cmpx_lt_u32_e64 v25, v20
	s_cbranch_execz .LBB481_412
; %bb.411:
	s_waitcnt lgkmcnt(0)
	flat_store_b16 v[0:1], v33 offset:2688
.LBB481_412:
	s_or_b32 exec_lo, exec_lo, s0
	s_delay_alu instid0(SALU_CYCLE_1)
	s_mov_b32 s2, exec_lo
	v_cmpx_lt_u64_e32 1, v[8:9]
	s_cbranch_execz .LBB481_494
; %bb.413:
	s_add_u32 s0, 0, 0x2e8b0a00
	s_addc_u32 s3, 0, 42
	s_mul_hi_u32 s5, s0, 0xffffffea
	s_add_i32 s3, s3, 0xba2e890
	s_sub_i32 s5, s5, s0
	s_mul_i32 s6, s3, 0xffffffea
	s_mul_i32 s4, s0, 0xffffffea
	s_add_i32 s5, s5, s6
	s_mul_hi_u32 s7, s3, s4
	s_mul_i32 s6, s3, s4
	s_mul_i32 s8, s0, s5
	s_mul_hi_u32 s4, s0, s4
	s_mul_hi_u32 s9, s0, s5
	s_add_u32 s4, s4, s8
	s_addc_u32 s8, 0, s9
	s_mul_hi_u32 s9, s3, s5
	s_add_u32 s4, s4, s6
	s_addc_u32 s4, s8, s7
	s_mul_i32 s5, s3, s5
	s_addc_u32 s6, s9, 0
	s_add_u32 s4, s4, s5
	v_add_co_u32 v0, vcc_lo, v20, -1
	v_add_co_u32 v34, s0, s0, s4
	s_addc_u32 s4, 0, s6
	s_cmp_lg_u32 s0, 0
	v_add_co_ci_u32_e32 v1, vcc_lo, -1, v24, vcc_lo
	s_addc_u32 s0, s3, s4
	v_mul_hi_u32 v20, v0, v34
	v_mad_u64_u32 v[8:9], null, v0, s0, 0
	s_delay_alu instid0(VALU_DEP_3) | instskip(NEXT) | instid1(VALU_DEP_2)
	v_mad_u64_u32 v[24:25], null, v1, v34, 0
	v_add_co_u32 v20, vcc_lo, v20, v8
	s_delay_alu instid0(VALU_DEP_3) | instskip(SKIP_1) | instid1(VALU_DEP_3)
	v_add_co_ci_u32_e32 v34, vcc_lo, 0, v9, vcc_lo
	v_mad_u64_u32 v[8:9], null, v1, s0, 0
	v_add_co_u32 v20, vcc_lo, v20, v24
	s_delay_alu instid0(VALU_DEP_3) | instskip(NEXT) | instid1(VALU_DEP_3)
	v_add_co_ci_u32_e32 v20, vcc_lo, v34, v25, vcc_lo
	v_add_co_ci_u32_e32 v9, vcc_lo, 0, v9, vcc_lo
	s_delay_alu instid0(VALU_DEP_2) | instskip(NEXT) | instid1(VALU_DEP_2)
	v_add_co_u32 v20, vcc_lo, v20, v8
	v_add_co_ci_u32_e32 v34, vcc_lo, 0, v9, vcc_lo
	s_delay_alu instid0(VALU_DEP_2) | instskip(SKIP_1) | instid1(VALU_DEP_1)
	v_mad_u64_u32 v[8:9], null, v20, 22, 0
	s_waitcnt lgkmcnt(18)
	v_mad_u64_u32 v[24:25], null, v34, 22, v[9:10]
	s_delay_alu instid0(VALU_DEP_2) | instskip(NEXT) | instid1(VALU_DEP_2)
	v_sub_co_u32 v8, vcc_lo, v0, v8
	v_sub_co_ci_u32_e32 v9, vcc_lo, v1, v24, vcc_lo
	s_delay_alu instid0(VALU_DEP_2) | instskip(NEXT) | instid1(VALU_DEP_2)
	v_sub_co_u32 v24, vcc_lo, v8, 22
	v_subrev_co_ci_u32_e32 v25, vcc_lo, 0, v9, vcc_lo
	s_delay_alu instid0(VALU_DEP_2)
	v_cmp_lt_u32_e32 vcc_lo, 21, v24
	v_cmp_eq_u32_e64 s0, 0, v9
	v_cndmask_b32_e64 v24, 0, -1, vcc_lo
	v_add_co_u32 v35, vcc_lo, v20, 2
	v_add_co_ci_u32_e32 v36, vcc_lo, 0, v34, vcc_lo
	v_cmp_lt_u32_e32 vcc_lo, 21, v8
	v_cndmask_b32_e64 v8, 0, -1, vcc_lo
	v_cmp_eq_u32_e32 vcc_lo, 0, v25
	s_delay_alu instid0(VALU_DEP_2) | instskip(SKIP_3) | instid1(VALU_DEP_3)
	v_cndmask_b32_e64 v8, -1, v8, s0
	v_cndmask_b32_e32 v24, -1, v24, vcc_lo
	v_add_co_u32 v25, vcc_lo, v20, 1
	v_add_co_ci_u32_e32 v37, vcc_lo, 0, v34, vcc_lo
	v_cmp_ne_u32_e32 vcc_lo, 0, v24
	s_delay_alu instid0(VALU_DEP_2) | instskip(NEXT) | instid1(VALU_DEP_4)
	v_cndmask_b32_e32 v9, v37, v36, vcc_lo
	v_cndmask_b32_e32 v24, v25, v35, vcc_lo
	v_cmp_ne_u32_e32 vcc_lo, 0, v8
	s_delay_alu instid0(VALU_DEP_2) | instskip(NEXT) | instid1(VALU_DEP_1)
	v_dual_cndmask_b32 v9, v34, v9 :: v_dual_cndmask_b32 v8, v20, v24
	v_cmp_eq_u64_e32 vcc_lo, v[8:9], v[21:22]
	s_and_b32 exec_lo, exec_lo, vcc_lo
	s_cbranch_execz .LBB481_494
; %bb.414:
	v_mul_hi_u32_u24_e32 v8, 22, v21
	v_sub_co_u32 v0, vcc_lo, v0, v26
	s_mov_b32 s0, 0
	s_mov_b32 s4, 0
	s_delay_alu instid0(VALU_DEP_2) | instskip(SKIP_1) | instid1(VALU_DEP_1)
	v_sub_co_ci_u32_e32 v1, vcc_lo, v1, v8, vcc_lo
	s_mov_b32 s3, exec_lo
	v_cmpx_lt_i64_e32 10, v[0:1]
	s_xor_b32 s3, exec_lo, s3
	s_cbranch_execnz .LBB481_418
; %bb.415:
	s_or_saveexec_b32 s3, s3
	s_mov_b32 s5, 0
	s_xor_b32 exec_lo, exec_lo, s3
	s_cbranch_execnz .LBB481_459
.LBB481_416:
	s_or_b32 exec_lo, exec_lo, s3
	s_and_saveexec_b32 s3, s4
	s_cbranch_execnz .LBB481_470
.LBB481_417:
	s_or_b32 exec_lo, exec_lo, s3
	s_and_saveexec_b32 s3, s0
	s_cbranch_execnz .LBB481_471
	s_branch .LBB481_475
.LBB481_418:
	s_mov_b32 s5, 0
	s_mov_b32 s4, exec_lo
	v_cmpx_lt_i64_e32 15, v[0:1]
	s_xor_b32 s4, exec_lo, s4
	s_cbranch_execz .LBB481_440
; %bb.419:
	s_mov_b32 s6, exec_lo
                                        ; implicit-def: $vgpr14
	v_cmpx_lt_i64_e32 18, v[0:1]
	s_xor_b32 s6, exec_lo, s6
	s_cbranch_execz .LBB481_429
; %bb.420:
	s_mov_b32 s7, 0
	s_mov_b32 s5, exec_lo
                                        ; implicit-def: $vgpr14
	v_cmpx_lt_i64_e32 19, v[0:1]
	s_xor_b32 s5, exec_lo, s5
	s_cbranch_execz .LBB481_426
; %bb.421:
	s_mov_b32 s7, exec_lo
	v_cmpx_lt_i64_e32 20, v[0:1]
	s_xor_b32 s7, exec_lo, s7
	s_cbranch_execz .LBB481_423
; %bb.422:
	s_waitcnt lgkmcnt(0)
	flat_store_b16 v[4:5], v33
                                        ; implicit-def: $vgpr19
.LBB481_423:
	s_or_saveexec_b32 s7, s7
	s_mov_b32 s8, 0
	s_xor_b32 exec_lo, exec_lo, s7
; %bb.424:
	s_delay_alu instid0(SALU_CYCLE_1)
	s_mov_b32 s8, exec_lo
; %bb.425:
	s_or_b32 exec_lo, exec_lo, s7
	s_waitcnt lgkmcnt(1)
	v_mov_b32_e32 v14, v19
	s_and_b32 s7, s8, exec_lo
                                        ; implicit-def: $vgpr32
.LBB481_426:
	s_and_not1_saveexec_b32 s5, s5
	s_cbranch_execz .LBB481_428
; %bb.427:
	s_waitcnt lgkmcnt(2)
	flat_store_b16 v[4:5], v32
                                        ; implicit-def: $vgpr14
.LBB481_428:
	s_or_b32 exec_lo, exec_lo, s5
	s_delay_alu instid0(SALU_CYCLE_1)
	s_and_b32 s5, s7, exec_lo
                                        ; implicit-def: $vgpr29
                                        ; implicit-def: $vgpr27
                                        ; implicit-def: $vgpr31
.LBB481_429:
	s_and_not1_saveexec_b32 s6, s6
	s_cbranch_execz .LBB481_439
; %bb.430:
	s_mov_b32 s7, exec_lo
	v_cmpx_lt_i64_e32 16, v[0:1]
	s_xor_b32 s7, exec_lo, s7
	s_cbranch_execz .LBB481_436
; %bb.431:
	s_mov_b32 s8, exec_lo
	v_cmpx_lt_i64_e32 17, v[0:1]
	s_xor_b32 s8, exec_lo, s8
	s_cbranch_execz .LBB481_433
; %bb.432:
	s_waitcnt lgkmcnt(3)
	flat_store_b16 v[4:5], v31
                                        ; implicit-def: $vgpr27
.LBB481_433:
	s_and_not1_saveexec_b32 s8, s8
	s_cbranch_execz .LBB481_435
; %bb.434:
	s_waitcnt lgkmcnt(4)
	flat_store_b16 v[4:5], v27
.LBB481_435:
	s_or_b32 exec_lo, exec_lo, s8
                                        ; implicit-def: $vgpr29
.LBB481_436:
	s_and_not1_saveexec_b32 s7, s7
	s_cbranch_execz .LBB481_438
; %bb.437:
	s_waitcnt lgkmcnt(5)
	flat_store_b16 v[4:5], v29
.LBB481_438:
	s_or_b32 exec_lo, exec_lo, s7
                                        ; implicit-def: $vgpr14
.LBB481_439:
	s_delay_alu instid0(SALU_CYCLE_1) | instskip(NEXT) | instid1(SALU_CYCLE_1)
	s_or_b32 exec_lo, exec_lo, s6
	s_and_b32 s5, s5, exec_lo
                                        ; implicit-def: $vgpr28
                                        ; implicit-def: $vgpr23
                                        ; implicit-def: $vgpr18
                                        ; implicit-def: $vgpr30
.LBB481_440:
	s_and_not1_saveexec_b32 s4, s4
	s_cbranch_execz .LBB481_458
; %bb.441:
	s_mov_b32 s6, exec_lo
	v_cmpx_lt_i64_e32 12, v[0:1]
	s_xor_b32 s6, exec_lo, s6
	s_cbranch_execz .LBB481_451
; %bb.442:
	s_mov_b32 s7, exec_lo
	v_cmpx_lt_i64_e32 13, v[0:1]
	s_xor_b32 s7, exec_lo, s7
	s_cbranch_execz .LBB481_448
; %bb.443:
	s_mov_b32 s8, exec_lo
	v_cmpx_lt_i64_e32 14, v[0:1]
	s_xor_b32 s8, exec_lo, s8
	s_cbranch_execz .LBB481_445
; %bb.444:
	s_waitcnt lgkmcnt(6)
	flat_store_b16 v[4:5], v30
                                        ; implicit-def: $vgpr18
.LBB481_445:
	s_and_not1_saveexec_b32 s8, s8
	s_cbranch_execz .LBB481_447
; %bb.446:
	s_waitcnt lgkmcnt(7)
	flat_store_b16 v[4:5], v18
.LBB481_447:
	s_or_b32 exec_lo, exec_lo, s8
                                        ; implicit-def: $vgpr28
.LBB481_448:
	s_and_not1_saveexec_b32 s7, s7
	s_cbranch_execz .LBB481_450
; %bb.449:
	s_waitcnt lgkmcnt(8)
	flat_store_b16 v[4:5], v28
.LBB481_450:
	s_or_b32 exec_lo, exec_lo, s7
                                        ; implicit-def: $vgpr14
                                        ; implicit-def: $vgpr23
.LBB481_451:
	s_or_saveexec_b32 s6, s6
	s_mov_b32 s7, s5
	s_xor_b32 exec_lo, exec_lo, s6
	s_cbranch_execz .LBB481_457
; %bb.452:
	s_mov_b32 s7, exec_lo
	v_cmpx_lt_i64_e32 11, v[0:1]
	s_xor_b32 s7, exec_lo, s7
	s_cbranch_execz .LBB481_454
; %bb.453:
	s_waitcnt lgkmcnt(9)
	flat_store_b16 v[4:5], v23
                                        ; implicit-def: $vgpr14
.LBB481_454:
	s_or_saveexec_b32 s7, s7
	s_mov_b32 s8, s5
	s_xor_b32 exec_lo, exec_lo, s7
; %bb.455:
	s_delay_alu instid0(SALU_CYCLE_1)
	s_or_b32 s8, s5, exec_lo
; %bb.456:
	s_or_b32 exec_lo, exec_lo, s7
	s_delay_alu instid0(SALU_CYCLE_1) | instskip(SKIP_1) | instid1(SALU_CYCLE_1)
	s_and_not1_b32 s7, s5, exec_lo
	s_and_b32 s8, s8, exec_lo
	s_or_b32 s7, s7, s8
.LBB481_457:
	s_or_b32 exec_lo, exec_lo, s6
	s_delay_alu instid0(SALU_CYCLE_1) | instskip(SKIP_1) | instid1(SALU_CYCLE_1)
	s_and_not1_b32 s5, s5, exec_lo
	s_and_b32 s6, s7, exec_lo
	s_or_b32 s5, s5, s6
.LBB481_458:
	s_or_b32 exec_lo, exec_lo, s4
	s_delay_alu instid0(SALU_CYCLE_1)
	s_and_b32 s4, s5, exec_lo
                                        ; implicit-def: $vgpr16
                                        ; implicit-def: $vgpr17
                                        ; implicit-def: $vgpr15
	s_or_saveexec_b32 s3, s3
	s_mov_b32 s5, 0
	s_xor_b32 exec_lo, exec_lo, s3
	s_cbranch_execz .LBB481_416
.LBB481_459:
	s_mov_b32 s6, 0
	s_mov_b32 s5, -1
	s_mov_b32 s7, s4
	s_mov_b32 s0, exec_lo
                                        ; implicit-def: $vgpr14
	v_cmpx_lt_i64_e32 5, v[0:1]
	s_cbranch_execz .LBB481_469
; %bb.460:
	s_mov_b32 s6, -1
	s_mov_b32 s7, s4
	s_mov_b32 s5, exec_lo
	v_cmpx_lt_i64_e32 7, v[0:1]
	s_cbranch_execz .LBB481_468
; %bb.461:
	s_mov_b32 s6, exec_lo
	v_cmpx_lt_i64_e32 8, v[0:1]
	s_cbranch_execz .LBB481_467
; %bb.462:
	s_mov_b32 s7, exec_lo
	v_cmpx_lt_i64_e32 9, v[0:1]
	s_xor_b32 s7, exec_lo, s7
; %bb.463:
                                        ; implicit-def: $vgpr17
; %bb.464:
	s_delay_alu instid0(SALU_CYCLE_1)
	s_and_not1_saveexec_b32 s7, s7
	s_cbranch_execz .LBB481_466
; %bb.465:
	s_waitcnt lgkmcnt(11)
	v_mov_b32_e32 v15, v17
.LBB481_466:
	s_or_b32 exec_lo, exec_lo, s7
	s_waitcnt lgkmcnt(11)
	s_delay_alu instid0(VALU_DEP_1)
	v_mov_b32_e32 v16, v15
.LBB481_467:
	s_or_b32 exec_lo, exec_lo, s6
	s_delay_alu instid0(SALU_CYCLE_1)
	s_xor_b32 s6, exec_lo, -1
	s_or_b32 s7, s4, exec_lo
.LBB481_468:
	s_or_b32 exec_lo, exec_lo, s5
	s_waitcnt lgkmcnt(10)
	v_mov_b32_e32 v14, v16
	s_and_not1_b32 s8, s4, exec_lo
	s_and_b32 s7, s7, exec_lo
	s_xor_b32 s5, exec_lo, -1
	s_and_b32 s6, s6, exec_lo
	s_or_b32 s7, s8, s7
.LBB481_469:
	s_or_b32 exec_lo, exec_lo, s0
	s_delay_alu instid0(SALU_CYCLE_1)
	s_and_not1_b32 s4, s4, exec_lo
	s_and_b32 s7, s7, exec_lo
	s_and_b32 s5, s5, exec_lo
	;; [unrolled: 1-line block ×3, first 2 shown]
	s_or_b32 s4, s4, s7
	s_or_b32 exec_lo, exec_lo, s3
	s_and_saveexec_b32 s3, s4
	s_cbranch_execz .LBB481_417
.LBB481_470:
	s_waitcnt lgkmcnt(10)
	flat_store_b16 v[4:5], v14
	s_or_b32 exec_lo, exec_lo, s3
	s_and_saveexec_b32 s3, s0
	s_cbranch_execz .LBB481_475
.LBB481_471:
	s_mov_b32 s0, exec_lo
	v_cmpx_lt_i64_e32 6, v[0:1]
	s_xor_b32 s0, exec_lo, s0
	s_cbranch_execz .LBB481_473
; %bb.472:
	s_waitcnt lgkmcnt(14)
	flat_store_b16 v[4:5], v13
                                        ; implicit-def: $vgpr12
.LBB481_473:
	s_and_not1_saveexec_b32 s0, s0
	s_cbranch_execz .LBB481_475
; %bb.474:
	s_waitcnt lgkmcnt(15)
	flat_store_b16 v[4:5], v12
.LBB481_475:
	s_or_b32 exec_lo, exec_lo, s3
	s_delay_alu instid0(SALU_CYCLE_1)
	s_and_b32 exec_lo, exec_lo, s5
	s_cbranch_execz .LBB481_494
; %bb.476:
	s_mov_b32 s0, exec_lo
	v_cmpx_lt_i64_e32 2, v[0:1]
	s_xor_b32 s0, exec_lo, s0
	s_cbranch_execz .LBB481_486
; %bb.477:
	s_mov_b32 s3, exec_lo
	v_cmpx_lt_i64_e32 3, v[0:1]
	s_xor_b32 s3, exec_lo, s3
	;; [unrolled: 5-line block ×3, first 2 shown]
	s_cbranch_execz .LBB481_480
; %bb.479:
	s_waitcnt lgkmcnt(16)
	flat_store_b16 v[4:5], v11
                                        ; implicit-def: $vgpr4_vgpr5
                                        ; implicit-def: $vgpr6
.LBB481_480:
	s_and_not1_saveexec_b32 s4, s4
	s_cbranch_execz .LBB481_482
; %bb.481:
	s_waitcnt lgkmcnt(17)
	flat_store_b16 v[4:5], v6
.LBB481_482:
	s_or_b32 exec_lo, exec_lo, s4
                                        ; implicit-def: $vgpr4_vgpr5
                                        ; implicit-def: $vgpr10
.LBB481_483:
	s_and_not1_saveexec_b32 s3, s3
	s_cbranch_execz .LBB481_485
; %bb.484:
	flat_store_b16 v[4:5], v10
.LBB481_485:
	s_or_b32 exec_lo, exec_lo, s3
                                        ; implicit-def: $vgpr0_vgpr1
                                        ; implicit-def: $vgpr4_vgpr5
                                        ; implicit-def: $vgpr7
                                        ; implicit-def: $vgpr2
                                        ; implicit-def: $vgpr3
.LBB481_486:
	s_and_not1_saveexec_b32 s0, s0
	s_cbranch_execz .LBB481_494
; %bb.487:
	s_mov_b32 s0, exec_lo
	v_cmpx_lt_i64_e32 1, v[0:1]
	s_xor_b32 s0, exec_lo, s0
	s_cbranch_execz .LBB481_489
; %bb.488:
	flat_store_b16 v[4:5], v7
                                        ; implicit-def: $vgpr4_vgpr5
                                        ; implicit-def: $vgpr2
                                        ; implicit-def: $vgpr0_vgpr1
                                        ; implicit-def: $vgpr3
.LBB481_489:
	s_and_not1_saveexec_b32 s0, s0
	s_cbranch_execz .LBB481_494
; %bb.490:
	s_mov_b32 s0, exec_lo
	v_cmpx_ne_u64_e32 1, v[0:1]
	s_xor_b32 s0, exec_lo, s0
	s_cbranch_execz .LBB481_492
; %bb.491:
	flat_store_b16 v[4:5], v3
                                        ; implicit-def: $vgpr4_vgpr5
                                        ; implicit-def: $vgpr2
.LBB481_492:
	s_and_not1_saveexec_b32 s0, s0
	s_cbranch_execz .LBB481_494
; %bb.493:
	flat_store_b16 v[4:5], v2
.LBB481_494:
	s_or_b32 exec_lo, exec_lo, s2
.LBB481_495:
	s_delay_alu instid0(SALU_CYCLE_1)
	s_or_b32 exec_lo, exec_lo, s1
	v_readlane_b32 s30, v40, 0
	v_readlane_b32 s31, v40, 1
	s_or_saveexec_b32 s0, -1
	scratch_load_b32 v40, off, s32          ; 4-byte Folded Reload
	s_mov_b32 exec_lo, s0
	s_waitcnt vmcnt(0) lgkmcnt(0)
	s_setpc_b64 s[30:31]
.Lfunc_end481:
	.size	_ZZZN7rocprim17ROCPRIM_400000_NS6detail9scan_implILNS1_25lookback_scan_determinismE0ELb0ELb0ENS0_14default_configEPKN3c108BFloat16EPS6_S6_ZZZN2at6native31launch_logcumsumexp_cuda_kernelERKNSA_10TensorBaseESE_lENKUlvE_clEvENKUlvE4_clEvEUlS6_S6_E_S6_EEDaPvRmT3_T4_T5_mT6_P12ihipStream_tbENKUlT_T0_E_clISt17integral_constantIbLb1EESV_EEDaSQ_SR_ENKUlSQ_E_clINS1_13target_configIS4_NS1_20scan_config_selectorIS6_EENS1_11comp_targetILNS1_3genE9ELNS1_11target_archE1100ELNS1_3gpuE3ELNS1_3repE0EEELNS0_4arch9wavefront6targetE0EEEEEDaSQ_, .Lfunc_end481-_ZZZN7rocprim17ROCPRIM_400000_NS6detail9scan_implILNS1_25lookback_scan_determinismE0ELb0ELb0ENS0_14default_configEPKN3c108BFloat16EPS6_S6_ZZZN2at6native31launch_logcumsumexp_cuda_kernelERKNSA_10TensorBaseESE_lENKUlvE_clEvENKUlvE4_clEvEUlS6_S6_E_S6_EEDaPvRmT3_T4_T5_mT6_P12ihipStream_tbENKUlT_T0_E_clISt17integral_constantIbLb1EESV_EEDaSQ_SR_ENKUlSQ_E_clINS1_13target_configIS4_NS1_20scan_config_selectorIS6_EENS1_11comp_targetILNS1_3genE9ELNS1_11target_archE1100ELNS1_3gpuE3ELNS1_3repE0EEELNS0_4arch9wavefront6targetE0EEEEEDaSQ_
                                        ; -- End function
	.section	.AMDGPU.csdata,"",@progbits
; Function info:
; codeLenInByte = 118156
; NumSgprs: 35
; NumVgprs: 199
; ScratchSize: 8
; MemoryBound: 0
	.section	.text._ZN7rocprim17ROCPRIM_400000_NS6detail17trampoline_kernelINS0_14default_configENS1_20scan_config_selectorIN3c108BFloat16EEEZZNS1_9scan_implILNS1_25lookback_scan_determinismE0ELb0ELb0ES3_PKS6_PS6_S6_ZZZN2at6native31launch_logcumsumexp_cuda_kernelERKNSD_10TensorBaseESH_lENKUlvE_clEvENKUlvE4_clEvEUlS6_S6_E_S6_EEDaPvRmT3_T4_T5_mT6_P12ihipStream_tbENKUlT_T0_E_clISt17integral_constantIbLb1EESY_EEDaST_SU_EUlST_E_NS1_11comp_targetILNS1_3genE9ELNS1_11target_archE1100ELNS1_3gpuE3ELNS1_3repE0EEENS1_30default_config_static_selectorELNS0_4arch9wavefront6targetE0EEEvT1_,"axG",@progbits,_ZN7rocprim17ROCPRIM_400000_NS6detail17trampoline_kernelINS0_14default_configENS1_20scan_config_selectorIN3c108BFloat16EEEZZNS1_9scan_implILNS1_25lookback_scan_determinismE0ELb0ELb0ES3_PKS6_PS6_S6_ZZZN2at6native31launch_logcumsumexp_cuda_kernelERKNSD_10TensorBaseESH_lENKUlvE_clEvENKUlvE4_clEvEUlS6_S6_E_S6_EEDaPvRmT3_T4_T5_mT6_P12ihipStream_tbENKUlT_T0_E_clISt17integral_constantIbLb1EESY_EEDaST_SU_EUlST_E_NS1_11comp_targetILNS1_3genE9ELNS1_11target_archE1100ELNS1_3gpuE3ELNS1_3repE0EEENS1_30default_config_static_selectorELNS0_4arch9wavefront6targetE0EEEvT1_,comdat
	.globl	_ZN7rocprim17ROCPRIM_400000_NS6detail17trampoline_kernelINS0_14default_configENS1_20scan_config_selectorIN3c108BFloat16EEEZZNS1_9scan_implILNS1_25lookback_scan_determinismE0ELb0ELb0ES3_PKS6_PS6_S6_ZZZN2at6native31launch_logcumsumexp_cuda_kernelERKNSD_10TensorBaseESH_lENKUlvE_clEvENKUlvE4_clEvEUlS6_S6_E_S6_EEDaPvRmT3_T4_T5_mT6_P12ihipStream_tbENKUlT_T0_E_clISt17integral_constantIbLb1EESY_EEDaST_SU_EUlST_E_NS1_11comp_targetILNS1_3genE9ELNS1_11target_archE1100ELNS1_3gpuE3ELNS1_3repE0EEENS1_30default_config_static_selectorELNS0_4arch9wavefront6targetE0EEEvT1_ ; -- Begin function _ZN7rocprim17ROCPRIM_400000_NS6detail17trampoline_kernelINS0_14default_configENS1_20scan_config_selectorIN3c108BFloat16EEEZZNS1_9scan_implILNS1_25lookback_scan_determinismE0ELb0ELb0ES3_PKS6_PS6_S6_ZZZN2at6native31launch_logcumsumexp_cuda_kernelERKNSD_10TensorBaseESH_lENKUlvE_clEvENKUlvE4_clEvEUlS6_S6_E_S6_EEDaPvRmT3_T4_T5_mT6_P12ihipStream_tbENKUlT_T0_E_clISt17integral_constantIbLb1EESY_EEDaST_SU_EUlST_E_NS1_11comp_targetILNS1_3genE9ELNS1_11target_archE1100ELNS1_3gpuE3ELNS1_3repE0EEENS1_30default_config_static_selectorELNS0_4arch9wavefront6targetE0EEEvT1_
	.p2align	8
	.type	_ZN7rocprim17ROCPRIM_400000_NS6detail17trampoline_kernelINS0_14default_configENS1_20scan_config_selectorIN3c108BFloat16EEEZZNS1_9scan_implILNS1_25lookback_scan_determinismE0ELb0ELb0ES3_PKS6_PS6_S6_ZZZN2at6native31launch_logcumsumexp_cuda_kernelERKNSD_10TensorBaseESH_lENKUlvE_clEvENKUlvE4_clEvEUlS6_S6_E_S6_EEDaPvRmT3_T4_T5_mT6_P12ihipStream_tbENKUlT_T0_E_clISt17integral_constantIbLb1EESY_EEDaST_SU_EUlST_E_NS1_11comp_targetILNS1_3genE9ELNS1_11target_archE1100ELNS1_3gpuE3ELNS1_3repE0EEENS1_30default_config_static_selectorELNS0_4arch9wavefront6targetE0EEEvT1_,@function
_ZN7rocprim17ROCPRIM_400000_NS6detail17trampoline_kernelINS0_14default_configENS1_20scan_config_selectorIN3c108BFloat16EEEZZNS1_9scan_implILNS1_25lookback_scan_determinismE0ELb0ELb0ES3_PKS6_PS6_S6_ZZZN2at6native31launch_logcumsumexp_cuda_kernelERKNSD_10TensorBaseESH_lENKUlvE_clEvENKUlvE4_clEvEUlS6_S6_E_S6_EEDaPvRmT3_T4_T5_mT6_P12ihipStream_tbENKUlT_T0_E_clISt17integral_constantIbLb1EESY_EEDaST_SU_EUlST_E_NS1_11comp_targetILNS1_3genE9ELNS1_11target_archE1100ELNS1_3gpuE3ELNS1_3repE0EEENS1_30default_config_static_selectorELNS0_4arch9wavefront6targetE0EEEvT1_: ; @_ZN7rocprim17ROCPRIM_400000_NS6detail17trampoline_kernelINS0_14default_configENS1_20scan_config_selectorIN3c108BFloat16EEEZZNS1_9scan_implILNS1_25lookback_scan_determinismE0ELb0ELb0ES3_PKS6_PS6_S6_ZZZN2at6native31launch_logcumsumexp_cuda_kernelERKNSD_10TensorBaseESH_lENKUlvE_clEvENKUlvE4_clEvEUlS6_S6_E_S6_EEDaPvRmT3_T4_T5_mT6_P12ihipStream_tbENKUlT_T0_E_clISt17integral_constantIbLb1EESY_EEDaST_SU_EUlST_E_NS1_11comp_targetILNS1_3genE9ELNS1_11target_archE1100ELNS1_3gpuE3ELNS1_3repE0EEENS1_30default_config_static_selectorELNS0_4arch9wavefront6targetE0EEEvT1_
; %bb.0:
	s_clause 0x2
	s_load_b256 s[12:19], s[0:1], 0x0
	s_load_b256 s[20:27], s[0:1], 0x20
	;; [unrolled: 1-line block ×3, first 2 shown]
	v_mov_b32_e32 v31, v0
	s_mov_b64 s[2:3], src_private_base
	s_add_u32 s8, s0, 0x60
	s_addc_u32 s9, s1, 0
	s_movk_i32 s32, 0x70
	s_getpc_b64 s[0:1]
	s_add_u32 s0, s0, _ZZZN7rocprim17ROCPRIM_400000_NS6detail9scan_implILNS1_25lookback_scan_determinismE0ELb0ELb0ENS0_14default_configEPKN3c108BFloat16EPS6_S6_ZZZN2at6native31launch_logcumsumexp_cuda_kernelERKNSA_10TensorBaseESE_lENKUlvE_clEvENKUlvE4_clEvEUlS6_S6_E_S6_EEDaPvRmT3_T4_T5_mT6_P12ihipStream_tbENKUlT_T0_E_clISt17integral_constantIbLb1EESV_EEDaSQ_SR_ENKUlSQ_E_clINS1_13target_configIS4_NS1_20scan_config_selectorIS6_EENS1_11comp_targetILNS1_3genE9ELNS1_11target_archE1100ELNS1_3gpuE3ELNS1_3repE0EEELNS0_4arch9wavefront6targetE0EEEEEDaSQ_@rel32@lo+4
	s_addc_u32 s1, s1, _ZZZN7rocprim17ROCPRIM_400000_NS6detail9scan_implILNS1_25lookback_scan_determinismE0ELb0ELb0ENS0_14default_configEPKN3c108BFloat16EPS6_S6_ZZZN2at6native31launch_logcumsumexp_cuda_kernelERKNSA_10TensorBaseESE_lENKUlvE_clEvENKUlvE4_clEvEUlS6_S6_E_S6_EEDaPvRmT3_T4_T5_mT6_P12ihipStream_tbENKUlT_T0_E_clISt17integral_constantIbLb1EESV_EEDaSQ_SR_ENKUlSQ_E_clINS1_13target_configIS4_NS1_20scan_config_selectorIS6_EENS1_11comp_targetILNS1_3genE9ELNS1_11target_archE1100ELNS1_3gpuE3ELNS1_3repE0EEELNS0_4arch9wavefront6targetE0EEEEEDaSQ_@rel32@hi+12
	s_waitcnt lgkmcnt(0)
	v_dual_mov_b32 v0, s12 :: v_dual_mov_b32 v1, s13
	v_dual_mov_b32 v2, s14 :: v_dual_mov_b32 v3, s15
	;; [unrolled: 1-line block ×12, first 2 shown]
	s_clause 0x5
	scratch_store_b128 off, v[0:3], off
	scratch_store_b128 off, v[4:7], off offset:16
	scratch_store_b128 off, v[8:11], off offset:32
	;; [unrolled: 1-line block ×5, first 2 shown]
	v_dual_mov_b32 v0, 0 :: v_dual_mov_b32 v1, s3
	s_swappc_b64 s[30:31], s[0:1]
	s_endpgm
	.section	.rodata,"a",@progbits
	.p2align	6, 0x0
	.amdhsa_kernel _ZN7rocprim17ROCPRIM_400000_NS6detail17trampoline_kernelINS0_14default_configENS1_20scan_config_selectorIN3c108BFloat16EEEZZNS1_9scan_implILNS1_25lookback_scan_determinismE0ELb0ELb0ES3_PKS6_PS6_S6_ZZZN2at6native31launch_logcumsumexp_cuda_kernelERKNSD_10TensorBaseESH_lENKUlvE_clEvENKUlvE4_clEvEUlS6_S6_E_S6_EEDaPvRmT3_T4_T5_mT6_P12ihipStream_tbENKUlT_T0_E_clISt17integral_constantIbLb1EESY_EEDaST_SU_EUlST_E_NS1_11comp_targetILNS1_3genE9ELNS1_11target_archE1100ELNS1_3gpuE3ELNS1_3repE0EEENS1_30default_config_static_selectorELNS0_4arch9wavefront6targetE0EEEvT1_
		.amdhsa_group_segment_fixed_size 2816
		.amdhsa_private_segment_fixed_size 120
		.amdhsa_kernarg_size 352
		.amdhsa_user_sgpr_count 15
		.amdhsa_user_sgpr_dispatch_ptr 0
		.amdhsa_user_sgpr_queue_ptr 0
		.amdhsa_user_sgpr_kernarg_segment_ptr 1
		.amdhsa_user_sgpr_dispatch_id 0
		.amdhsa_user_sgpr_private_segment_size 0
		.amdhsa_wavefront_size32 1
		.amdhsa_uses_dynamic_stack 0
		.amdhsa_enable_private_segment 1
		.amdhsa_system_sgpr_workgroup_id_x 1
		.amdhsa_system_sgpr_workgroup_id_y 0
		.amdhsa_system_sgpr_workgroup_id_z 0
		.amdhsa_system_sgpr_workgroup_info 0
		.amdhsa_system_vgpr_workitem_id 0
		.amdhsa_next_free_vgpr 199
		.amdhsa_next_free_sgpr 44
		.amdhsa_reserve_vcc 1
		.amdhsa_float_round_mode_32 0
		.amdhsa_float_round_mode_16_64 0
		.amdhsa_float_denorm_mode_32 3
		.amdhsa_float_denorm_mode_16_64 3
		.amdhsa_dx10_clamp 1
		.amdhsa_ieee_mode 1
		.amdhsa_fp16_overflow 0
		.amdhsa_workgroup_processor_mode 1
		.amdhsa_memory_ordered 1
		.amdhsa_forward_progress 0
		.amdhsa_shared_vgpr_count 0
		.amdhsa_exception_fp_ieee_invalid_op 0
		.amdhsa_exception_fp_denorm_src 0
		.amdhsa_exception_fp_ieee_div_zero 0
		.amdhsa_exception_fp_ieee_overflow 0
		.amdhsa_exception_fp_ieee_underflow 0
		.amdhsa_exception_fp_ieee_inexact 0
		.amdhsa_exception_int_div_zero 0
	.end_amdhsa_kernel
	.section	.text._ZN7rocprim17ROCPRIM_400000_NS6detail17trampoline_kernelINS0_14default_configENS1_20scan_config_selectorIN3c108BFloat16EEEZZNS1_9scan_implILNS1_25lookback_scan_determinismE0ELb0ELb0ES3_PKS6_PS6_S6_ZZZN2at6native31launch_logcumsumexp_cuda_kernelERKNSD_10TensorBaseESH_lENKUlvE_clEvENKUlvE4_clEvEUlS6_S6_E_S6_EEDaPvRmT3_T4_T5_mT6_P12ihipStream_tbENKUlT_T0_E_clISt17integral_constantIbLb1EESY_EEDaST_SU_EUlST_E_NS1_11comp_targetILNS1_3genE9ELNS1_11target_archE1100ELNS1_3gpuE3ELNS1_3repE0EEENS1_30default_config_static_selectorELNS0_4arch9wavefront6targetE0EEEvT1_,"axG",@progbits,_ZN7rocprim17ROCPRIM_400000_NS6detail17trampoline_kernelINS0_14default_configENS1_20scan_config_selectorIN3c108BFloat16EEEZZNS1_9scan_implILNS1_25lookback_scan_determinismE0ELb0ELb0ES3_PKS6_PS6_S6_ZZZN2at6native31launch_logcumsumexp_cuda_kernelERKNSD_10TensorBaseESH_lENKUlvE_clEvENKUlvE4_clEvEUlS6_S6_E_S6_EEDaPvRmT3_T4_T5_mT6_P12ihipStream_tbENKUlT_T0_E_clISt17integral_constantIbLb1EESY_EEDaST_SU_EUlST_E_NS1_11comp_targetILNS1_3genE9ELNS1_11target_archE1100ELNS1_3gpuE3ELNS1_3repE0EEENS1_30default_config_static_selectorELNS0_4arch9wavefront6targetE0EEEvT1_,comdat
.Lfunc_end482:
	.size	_ZN7rocprim17ROCPRIM_400000_NS6detail17trampoline_kernelINS0_14default_configENS1_20scan_config_selectorIN3c108BFloat16EEEZZNS1_9scan_implILNS1_25lookback_scan_determinismE0ELb0ELb0ES3_PKS6_PS6_S6_ZZZN2at6native31launch_logcumsumexp_cuda_kernelERKNSD_10TensorBaseESH_lENKUlvE_clEvENKUlvE4_clEvEUlS6_S6_E_S6_EEDaPvRmT3_T4_T5_mT6_P12ihipStream_tbENKUlT_T0_E_clISt17integral_constantIbLb1EESY_EEDaST_SU_EUlST_E_NS1_11comp_targetILNS1_3genE9ELNS1_11target_archE1100ELNS1_3gpuE3ELNS1_3repE0EEENS1_30default_config_static_selectorELNS0_4arch9wavefront6targetE0EEEvT1_, .Lfunc_end482-_ZN7rocprim17ROCPRIM_400000_NS6detail17trampoline_kernelINS0_14default_configENS1_20scan_config_selectorIN3c108BFloat16EEEZZNS1_9scan_implILNS1_25lookback_scan_determinismE0ELb0ELb0ES3_PKS6_PS6_S6_ZZZN2at6native31launch_logcumsumexp_cuda_kernelERKNSD_10TensorBaseESH_lENKUlvE_clEvENKUlvE4_clEvEUlS6_S6_E_S6_EEDaPvRmT3_T4_T5_mT6_P12ihipStream_tbENKUlT_T0_E_clISt17integral_constantIbLb1EESY_EEDaST_SU_EUlST_E_NS1_11comp_targetILNS1_3genE9ELNS1_11target_archE1100ELNS1_3gpuE3ELNS1_3repE0EEENS1_30default_config_static_selectorELNS0_4arch9wavefront6targetE0EEEvT1_
                                        ; -- End function
	.section	.AMDGPU.csdata,"",@progbits
; Kernel info:
; codeLenInByte = 240
; NumSgprs: 46
; NumVgprs: 199
; ScratchSize: 120
; MemoryBound: 0
; FloatMode: 240
; IeeeMode: 1
; LDSByteSize: 2816 bytes/workgroup (compile time only)
; SGPRBlocks: 5
; VGPRBlocks: 24
; NumSGPRsForWavesPerEU: 46
; NumVGPRsForWavesPerEU: 199
; Occupancy: 7
; WaveLimiterHint : 1
; COMPUTE_PGM_RSRC2:SCRATCH_EN: 1
; COMPUTE_PGM_RSRC2:USER_SGPR: 15
; COMPUTE_PGM_RSRC2:TRAP_HANDLER: 0
; COMPUTE_PGM_RSRC2:TGID_X_EN: 1
; COMPUTE_PGM_RSRC2:TGID_Y_EN: 0
; COMPUTE_PGM_RSRC2:TGID_Z_EN: 0
; COMPUTE_PGM_RSRC2:TIDIG_COMP_CNT: 0
	.section	.text._ZN7rocprim17ROCPRIM_400000_NS6detail17trampoline_kernelINS0_14default_configENS1_20scan_config_selectorIN3c108BFloat16EEEZZNS1_9scan_implILNS1_25lookback_scan_determinismE0ELb0ELb0ES3_PKS6_PS6_S6_ZZZN2at6native31launch_logcumsumexp_cuda_kernelERKNSD_10TensorBaseESH_lENKUlvE_clEvENKUlvE4_clEvEUlS6_S6_E_S6_EEDaPvRmT3_T4_T5_mT6_P12ihipStream_tbENKUlT_T0_E_clISt17integral_constantIbLb1EESY_EEDaST_SU_EUlST_E_NS1_11comp_targetILNS1_3genE8ELNS1_11target_archE1030ELNS1_3gpuE2ELNS1_3repE0EEENS1_30default_config_static_selectorELNS0_4arch9wavefront6targetE0EEEvT1_,"axG",@progbits,_ZN7rocprim17ROCPRIM_400000_NS6detail17trampoline_kernelINS0_14default_configENS1_20scan_config_selectorIN3c108BFloat16EEEZZNS1_9scan_implILNS1_25lookback_scan_determinismE0ELb0ELb0ES3_PKS6_PS6_S6_ZZZN2at6native31launch_logcumsumexp_cuda_kernelERKNSD_10TensorBaseESH_lENKUlvE_clEvENKUlvE4_clEvEUlS6_S6_E_S6_EEDaPvRmT3_T4_T5_mT6_P12ihipStream_tbENKUlT_T0_E_clISt17integral_constantIbLb1EESY_EEDaST_SU_EUlST_E_NS1_11comp_targetILNS1_3genE8ELNS1_11target_archE1030ELNS1_3gpuE2ELNS1_3repE0EEENS1_30default_config_static_selectorELNS0_4arch9wavefront6targetE0EEEvT1_,comdat
	.globl	_ZN7rocprim17ROCPRIM_400000_NS6detail17trampoline_kernelINS0_14default_configENS1_20scan_config_selectorIN3c108BFloat16EEEZZNS1_9scan_implILNS1_25lookback_scan_determinismE0ELb0ELb0ES3_PKS6_PS6_S6_ZZZN2at6native31launch_logcumsumexp_cuda_kernelERKNSD_10TensorBaseESH_lENKUlvE_clEvENKUlvE4_clEvEUlS6_S6_E_S6_EEDaPvRmT3_T4_T5_mT6_P12ihipStream_tbENKUlT_T0_E_clISt17integral_constantIbLb1EESY_EEDaST_SU_EUlST_E_NS1_11comp_targetILNS1_3genE8ELNS1_11target_archE1030ELNS1_3gpuE2ELNS1_3repE0EEENS1_30default_config_static_selectorELNS0_4arch9wavefront6targetE0EEEvT1_ ; -- Begin function _ZN7rocprim17ROCPRIM_400000_NS6detail17trampoline_kernelINS0_14default_configENS1_20scan_config_selectorIN3c108BFloat16EEEZZNS1_9scan_implILNS1_25lookback_scan_determinismE0ELb0ELb0ES3_PKS6_PS6_S6_ZZZN2at6native31launch_logcumsumexp_cuda_kernelERKNSD_10TensorBaseESH_lENKUlvE_clEvENKUlvE4_clEvEUlS6_S6_E_S6_EEDaPvRmT3_T4_T5_mT6_P12ihipStream_tbENKUlT_T0_E_clISt17integral_constantIbLb1EESY_EEDaST_SU_EUlST_E_NS1_11comp_targetILNS1_3genE8ELNS1_11target_archE1030ELNS1_3gpuE2ELNS1_3repE0EEENS1_30default_config_static_selectorELNS0_4arch9wavefront6targetE0EEEvT1_
	.p2align	8
	.type	_ZN7rocprim17ROCPRIM_400000_NS6detail17trampoline_kernelINS0_14default_configENS1_20scan_config_selectorIN3c108BFloat16EEEZZNS1_9scan_implILNS1_25lookback_scan_determinismE0ELb0ELb0ES3_PKS6_PS6_S6_ZZZN2at6native31launch_logcumsumexp_cuda_kernelERKNSD_10TensorBaseESH_lENKUlvE_clEvENKUlvE4_clEvEUlS6_S6_E_S6_EEDaPvRmT3_T4_T5_mT6_P12ihipStream_tbENKUlT_T0_E_clISt17integral_constantIbLb1EESY_EEDaST_SU_EUlST_E_NS1_11comp_targetILNS1_3genE8ELNS1_11target_archE1030ELNS1_3gpuE2ELNS1_3repE0EEENS1_30default_config_static_selectorELNS0_4arch9wavefront6targetE0EEEvT1_,@function
_ZN7rocprim17ROCPRIM_400000_NS6detail17trampoline_kernelINS0_14default_configENS1_20scan_config_selectorIN3c108BFloat16EEEZZNS1_9scan_implILNS1_25lookback_scan_determinismE0ELb0ELb0ES3_PKS6_PS6_S6_ZZZN2at6native31launch_logcumsumexp_cuda_kernelERKNSD_10TensorBaseESH_lENKUlvE_clEvENKUlvE4_clEvEUlS6_S6_E_S6_EEDaPvRmT3_T4_T5_mT6_P12ihipStream_tbENKUlT_T0_E_clISt17integral_constantIbLb1EESY_EEDaST_SU_EUlST_E_NS1_11comp_targetILNS1_3genE8ELNS1_11target_archE1030ELNS1_3gpuE2ELNS1_3repE0EEENS1_30default_config_static_selectorELNS0_4arch9wavefront6targetE0EEEvT1_: ; @_ZN7rocprim17ROCPRIM_400000_NS6detail17trampoline_kernelINS0_14default_configENS1_20scan_config_selectorIN3c108BFloat16EEEZZNS1_9scan_implILNS1_25lookback_scan_determinismE0ELb0ELb0ES3_PKS6_PS6_S6_ZZZN2at6native31launch_logcumsumexp_cuda_kernelERKNSD_10TensorBaseESH_lENKUlvE_clEvENKUlvE4_clEvEUlS6_S6_E_S6_EEDaPvRmT3_T4_T5_mT6_P12ihipStream_tbENKUlT_T0_E_clISt17integral_constantIbLb1EESY_EEDaST_SU_EUlST_E_NS1_11comp_targetILNS1_3genE8ELNS1_11target_archE1030ELNS1_3gpuE2ELNS1_3repE0EEENS1_30default_config_static_selectorELNS0_4arch9wavefront6targetE0EEEvT1_
; %bb.0:
	.section	.rodata,"a",@progbits
	.p2align	6, 0x0
	.amdhsa_kernel _ZN7rocprim17ROCPRIM_400000_NS6detail17trampoline_kernelINS0_14default_configENS1_20scan_config_selectorIN3c108BFloat16EEEZZNS1_9scan_implILNS1_25lookback_scan_determinismE0ELb0ELb0ES3_PKS6_PS6_S6_ZZZN2at6native31launch_logcumsumexp_cuda_kernelERKNSD_10TensorBaseESH_lENKUlvE_clEvENKUlvE4_clEvEUlS6_S6_E_S6_EEDaPvRmT3_T4_T5_mT6_P12ihipStream_tbENKUlT_T0_E_clISt17integral_constantIbLb1EESY_EEDaST_SU_EUlST_E_NS1_11comp_targetILNS1_3genE8ELNS1_11target_archE1030ELNS1_3gpuE2ELNS1_3repE0EEENS1_30default_config_static_selectorELNS0_4arch9wavefront6targetE0EEEvT1_
		.amdhsa_group_segment_fixed_size 0
		.amdhsa_private_segment_fixed_size 0
		.amdhsa_kernarg_size 96
		.amdhsa_user_sgpr_count 15
		.amdhsa_user_sgpr_dispatch_ptr 0
		.amdhsa_user_sgpr_queue_ptr 0
		.amdhsa_user_sgpr_kernarg_segment_ptr 1
		.amdhsa_user_sgpr_dispatch_id 0
		.amdhsa_user_sgpr_private_segment_size 0
		.amdhsa_wavefront_size32 1
		.amdhsa_uses_dynamic_stack 0
		.amdhsa_enable_private_segment 0
		.amdhsa_system_sgpr_workgroup_id_x 1
		.amdhsa_system_sgpr_workgroup_id_y 0
		.amdhsa_system_sgpr_workgroup_id_z 0
		.amdhsa_system_sgpr_workgroup_info 0
		.amdhsa_system_vgpr_workitem_id 0
		.amdhsa_next_free_vgpr 1
		.amdhsa_next_free_sgpr 1
		.amdhsa_reserve_vcc 0
		.amdhsa_float_round_mode_32 0
		.amdhsa_float_round_mode_16_64 0
		.amdhsa_float_denorm_mode_32 3
		.amdhsa_float_denorm_mode_16_64 3
		.amdhsa_dx10_clamp 1
		.amdhsa_ieee_mode 1
		.amdhsa_fp16_overflow 0
		.amdhsa_workgroup_processor_mode 1
		.amdhsa_memory_ordered 1
		.amdhsa_forward_progress 0
		.amdhsa_shared_vgpr_count 0
		.amdhsa_exception_fp_ieee_invalid_op 0
		.amdhsa_exception_fp_denorm_src 0
		.amdhsa_exception_fp_ieee_div_zero 0
		.amdhsa_exception_fp_ieee_overflow 0
		.amdhsa_exception_fp_ieee_underflow 0
		.amdhsa_exception_fp_ieee_inexact 0
		.amdhsa_exception_int_div_zero 0
	.end_amdhsa_kernel
	.section	.text._ZN7rocprim17ROCPRIM_400000_NS6detail17trampoline_kernelINS0_14default_configENS1_20scan_config_selectorIN3c108BFloat16EEEZZNS1_9scan_implILNS1_25lookback_scan_determinismE0ELb0ELb0ES3_PKS6_PS6_S6_ZZZN2at6native31launch_logcumsumexp_cuda_kernelERKNSD_10TensorBaseESH_lENKUlvE_clEvENKUlvE4_clEvEUlS6_S6_E_S6_EEDaPvRmT3_T4_T5_mT6_P12ihipStream_tbENKUlT_T0_E_clISt17integral_constantIbLb1EESY_EEDaST_SU_EUlST_E_NS1_11comp_targetILNS1_3genE8ELNS1_11target_archE1030ELNS1_3gpuE2ELNS1_3repE0EEENS1_30default_config_static_selectorELNS0_4arch9wavefront6targetE0EEEvT1_,"axG",@progbits,_ZN7rocprim17ROCPRIM_400000_NS6detail17trampoline_kernelINS0_14default_configENS1_20scan_config_selectorIN3c108BFloat16EEEZZNS1_9scan_implILNS1_25lookback_scan_determinismE0ELb0ELb0ES3_PKS6_PS6_S6_ZZZN2at6native31launch_logcumsumexp_cuda_kernelERKNSD_10TensorBaseESH_lENKUlvE_clEvENKUlvE4_clEvEUlS6_S6_E_S6_EEDaPvRmT3_T4_T5_mT6_P12ihipStream_tbENKUlT_T0_E_clISt17integral_constantIbLb1EESY_EEDaST_SU_EUlST_E_NS1_11comp_targetILNS1_3genE8ELNS1_11target_archE1030ELNS1_3gpuE2ELNS1_3repE0EEENS1_30default_config_static_selectorELNS0_4arch9wavefront6targetE0EEEvT1_,comdat
.Lfunc_end483:
	.size	_ZN7rocprim17ROCPRIM_400000_NS6detail17trampoline_kernelINS0_14default_configENS1_20scan_config_selectorIN3c108BFloat16EEEZZNS1_9scan_implILNS1_25lookback_scan_determinismE0ELb0ELb0ES3_PKS6_PS6_S6_ZZZN2at6native31launch_logcumsumexp_cuda_kernelERKNSD_10TensorBaseESH_lENKUlvE_clEvENKUlvE4_clEvEUlS6_S6_E_S6_EEDaPvRmT3_T4_T5_mT6_P12ihipStream_tbENKUlT_T0_E_clISt17integral_constantIbLb1EESY_EEDaST_SU_EUlST_E_NS1_11comp_targetILNS1_3genE8ELNS1_11target_archE1030ELNS1_3gpuE2ELNS1_3repE0EEENS1_30default_config_static_selectorELNS0_4arch9wavefront6targetE0EEEvT1_, .Lfunc_end483-_ZN7rocprim17ROCPRIM_400000_NS6detail17trampoline_kernelINS0_14default_configENS1_20scan_config_selectorIN3c108BFloat16EEEZZNS1_9scan_implILNS1_25lookback_scan_determinismE0ELb0ELb0ES3_PKS6_PS6_S6_ZZZN2at6native31launch_logcumsumexp_cuda_kernelERKNSD_10TensorBaseESH_lENKUlvE_clEvENKUlvE4_clEvEUlS6_S6_E_S6_EEDaPvRmT3_T4_T5_mT6_P12ihipStream_tbENKUlT_T0_E_clISt17integral_constantIbLb1EESY_EEDaST_SU_EUlST_E_NS1_11comp_targetILNS1_3genE8ELNS1_11target_archE1030ELNS1_3gpuE2ELNS1_3repE0EEENS1_30default_config_static_selectorELNS0_4arch9wavefront6targetE0EEEvT1_
                                        ; -- End function
	.section	.AMDGPU.csdata,"",@progbits
; Kernel info:
; codeLenInByte = 0
; NumSgprs: 0
; NumVgprs: 0
; ScratchSize: 0
; MemoryBound: 0
; FloatMode: 240
; IeeeMode: 1
; LDSByteSize: 0 bytes/workgroup (compile time only)
; SGPRBlocks: 0
; VGPRBlocks: 0
; NumSGPRsForWavesPerEU: 1
; NumVGPRsForWavesPerEU: 1
; Occupancy: 16
; WaveLimiterHint : 0
; COMPUTE_PGM_RSRC2:SCRATCH_EN: 0
; COMPUTE_PGM_RSRC2:USER_SGPR: 15
; COMPUTE_PGM_RSRC2:TRAP_HANDLER: 0
; COMPUTE_PGM_RSRC2:TGID_X_EN: 1
; COMPUTE_PGM_RSRC2:TGID_Y_EN: 0
; COMPUTE_PGM_RSRC2:TGID_Z_EN: 0
; COMPUTE_PGM_RSRC2:TIDIG_COMP_CNT: 0
	.section	.text._ZN7rocprim17ROCPRIM_400000_NS6detail17trampoline_kernelINS0_14default_configENS1_20scan_config_selectorIN3c108BFloat16EEEZZNS1_9scan_implILNS1_25lookback_scan_determinismE0ELb0ELb0ES3_PKS6_PS6_S6_ZZZN2at6native31launch_logcumsumexp_cuda_kernelERKNSD_10TensorBaseESH_lENKUlvE_clEvENKUlvE4_clEvEUlS6_S6_E_S6_EEDaPvRmT3_T4_T5_mT6_P12ihipStream_tbENKUlT_T0_E_clISt17integral_constantIbLb1EESY_EEDaST_SU_EUlST_E0_NS1_11comp_targetILNS1_3genE0ELNS1_11target_archE4294967295ELNS1_3gpuE0ELNS1_3repE0EEENS1_30default_config_static_selectorELNS0_4arch9wavefront6targetE0EEEvT1_,"axG",@progbits,_ZN7rocprim17ROCPRIM_400000_NS6detail17trampoline_kernelINS0_14default_configENS1_20scan_config_selectorIN3c108BFloat16EEEZZNS1_9scan_implILNS1_25lookback_scan_determinismE0ELb0ELb0ES3_PKS6_PS6_S6_ZZZN2at6native31launch_logcumsumexp_cuda_kernelERKNSD_10TensorBaseESH_lENKUlvE_clEvENKUlvE4_clEvEUlS6_S6_E_S6_EEDaPvRmT3_T4_T5_mT6_P12ihipStream_tbENKUlT_T0_E_clISt17integral_constantIbLb1EESY_EEDaST_SU_EUlST_E0_NS1_11comp_targetILNS1_3genE0ELNS1_11target_archE4294967295ELNS1_3gpuE0ELNS1_3repE0EEENS1_30default_config_static_selectorELNS0_4arch9wavefront6targetE0EEEvT1_,comdat
	.globl	_ZN7rocprim17ROCPRIM_400000_NS6detail17trampoline_kernelINS0_14default_configENS1_20scan_config_selectorIN3c108BFloat16EEEZZNS1_9scan_implILNS1_25lookback_scan_determinismE0ELb0ELb0ES3_PKS6_PS6_S6_ZZZN2at6native31launch_logcumsumexp_cuda_kernelERKNSD_10TensorBaseESH_lENKUlvE_clEvENKUlvE4_clEvEUlS6_S6_E_S6_EEDaPvRmT3_T4_T5_mT6_P12ihipStream_tbENKUlT_T0_E_clISt17integral_constantIbLb1EESY_EEDaST_SU_EUlST_E0_NS1_11comp_targetILNS1_3genE0ELNS1_11target_archE4294967295ELNS1_3gpuE0ELNS1_3repE0EEENS1_30default_config_static_selectorELNS0_4arch9wavefront6targetE0EEEvT1_ ; -- Begin function _ZN7rocprim17ROCPRIM_400000_NS6detail17trampoline_kernelINS0_14default_configENS1_20scan_config_selectorIN3c108BFloat16EEEZZNS1_9scan_implILNS1_25lookback_scan_determinismE0ELb0ELb0ES3_PKS6_PS6_S6_ZZZN2at6native31launch_logcumsumexp_cuda_kernelERKNSD_10TensorBaseESH_lENKUlvE_clEvENKUlvE4_clEvEUlS6_S6_E_S6_EEDaPvRmT3_T4_T5_mT6_P12ihipStream_tbENKUlT_T0_E_clISt17integral_constantIbLb1EESY_EEDaST_SU_EUlST_E0_NS1_11comp_targetILNS1_3genE0ELNS1_11target_archE4294967295ELNS1_3gpuE0ELNS1_3repE0EEENS1_30default_config_static_selectorELNS0_4arch9wavefront6targetE0EEEvT1_
	.p2align	8
	.type	_ZN7rocprim17ROCPRIM_400000_NS6detail17trampoline_kernelINS0_14default_configENS1_20scan_config_selectorIN3c108BFloat16EEEZZNS1_9scan_implILNS1_25lookback_scan_determinismE0ELb0ELb0ES3_PKS6_PS6_S6_ZZZN2at6native31launch_logcumsumexp_cuda_kernelERKNSD_10TensorBaseESH_lENKUlvE_clEvENKUlvE4_clEvEUlS6_S6_E_S6_EEDaPvRmT3_T4_T5_mT6_P12ihipStream_tbENKUlT_T0_E_clISt17integral_constantIbLb1EESY_EEDaST_SU_EUlST_E0_NS1_11comp_targetILNS1_3genE0ELNS1_11target_archE4294967295ELNS1_3gpuE0ELNS1_3repE0EEENS1_30default_config_static_selectorELNS0_4arch9wavefront6targetE0EEEvT1_,@function
_ZN7rocprim17ROCPRIM_400000_NS6detail17trampoline_kernelINS0_14default_configENS1_20scan_config_selectorIN3c108BFloat16EEEZZNS1_9scan_implILNS1_25lookback_scan_determinismE0ELb0ELb0ES3_PKS6_PS6_S6_ZZZN2at6native31launch_logcumsumexp_cuda_kernelERKNSD_10TensorBaseESH_lENKUlvE_clEvENKUlvE4_clEvEUlS6_S6_E_S6_EEDaPvRmT3_T4_T5_mT6_P12ihipStream_tbENKUlT_T0_E_clISt17integral_constantIbLb1EESY_EEDaST_SU_EUlST_E0_NS1_11comp_targetILNS1_3genE0ELNS1_11target_archE4294967295ELNS1_3gpuE0ELNS1_3repE0EEENS1_30default_config_static_selectorELNS0_4arch9wavefront6targetE0EEEvT1_: ; @_ZN7rocprim17ROCPRIM_400000_NS6detail17trampoline_kernelINS0_14default_configENS1_20scan_config_selectorIN3c108BFloat16EEEZZNS1_9scan_implILNS1_25lookback_scan_determinismE0ELb0ELb0ES3_PKS6_PS6_S6_ZZZN2at6native31launch_logcumsumexp_cuda_kernelERKNSD_10TensorBaseESH_lENKUlvE_clEvENKUlvE4_clEvEUlS6_S6_E_S6_EEDaPvRmT3_T4_T5_mT6_P12ihipStream_tbENKUlT_T0_E_clISt17integral_constantIbLb1EESY_EEDaST_SU_EUlST_E0_NS1_11comp_targetILNS1_3genE0ELNS1_11target_archE4294967295ELNS1_3gpuE0ELNS1_3repE0EEENS1_30default_config_static_selectorELNS0_4arch9wavefront6targetE0EEEvT1_
; %bb.0:
	.section	.rodata,"a",@progbits
	.p2align	6, 0x0
	.amdhsa_kernel _ZN7rocprim17ROCPRIM_400000_NS6detail17trampoline_kernelINS0_14default_configENS1_20scan_config_selectorIN3c108BFloat16EEEZZNS1_9scan_implILNS1_25lookback_scan_determinismE0ELb0ELb0ES3_PKS6_PS6_S6_ZZZN2at6native31launch_logcumsumexp_cuda_kernelERKNSD_10TensorBaseESH_lENKUlvE_clEvENKUlvE4_clEvEUlS6_S6_E_S6_EEDaPvRmT3_T4_T5_mT6_P12ihipStream_tbENKUlT_T0_E_clISt17integral_constantIbLb1EESY_EEDaST_SU_EUlST_E0_NS1_11comp_targetILNS1_3genE0ELNS1_11target_archE4294967295ELNS1_3gpuE0ELNS1_3repE0EEENS1_30default_config_static_selectorELNS0_4arch9wavefront6targetE0EEEvT1_
		.amdhsa_group_segment_fixed_size 0
		.amdhsa_private_segment_fixed_size 0
		.amdhsa_kernarg_size 32
		.amdhsa_user_sgpr_count 15
		.amdhsa_user_sgpr_dispatch_ptr 0
		.amdhsa_user_sgpr_queue_ptr 0
		.amdhsa_user_sgpr_kernarg_segment_ptr 1
		.amdhsa_user_sgpr_dispatch_id 0
		.amdhsa_user_sgpr_private_segment_size 0
		.amdhsa_wavefront_size32 1
		.amdhsa_uses_dynamic_stack 0
		.amdhsa_enable_private_segment 0
		.amdhsa_system_sgpr_workgroup_id_x 1
		.amdhsa_system_sgpr_workgroup_id_y 0
		.amdhsa_system_sgpr_workgroup_id_z 0
		.amdhsa_system_sgpr_workgroup_info 0
		.amdhsa_system_vgpr_workitem_id 0
		.amdhsa_next_free_vgpr 1
		.amdhsa_next_free_sgpr 1
		.amdhsa_reserve_vcc 0
		.amdhsa_float_round_mode_32 0
		.amdhsa_float_round_mode_16_64 0
		.amdhsa_float_denorm_mode_32 3
		.amdhsa_float_denorm_mode_16_64 3
		.amdhsa_dx10_clamp 1
		.amdhsa_ieee_mode 1
		.amdhsa_fp16_overflow 0
		.amdhsa_workgroup_processor_mode 1
		.amdhsa_memory_ordered 1
		.amdhsa_forward_progress 0
		.amdhsa_shared_vgpr_count 0
		.amdhsa_exception_fp_ieee_invalid_op 0
		.amdhsa_exception_fp_denorm_src 0
		.amdhsa_exception_fp_ieee_div_zero 0
		.amdhsa_exception_fp_ieee_overflow 0
		.amdhsa_exception_fp_ieee_underflow 0
		.amdhsa_exception_fp_ieee_inexact 0
		.amdhsa_exception_int_div_zero 0
	.end_amdhsa_kernel
	.section	.text._ZN7rocprim17ROCPRIM_400000_NS6detail17trampoline_kernelINS0_14default_configENS1_20scan_config_selectorIN3c108BFloat16EEEZZNS1_9scan_implILNS1_25lookback_scan_determinismE0ELb0ELb0ES3_PKS6_PS6_S6_ZZZN2at6native31launch_logcumsumexp_cuda_kernelERKNSD_10TensorBaseESH_lENKUlvE_clEvENKUlvE4_clEvEUlS6_S6_E_S6_EEDaPvRmT3_T4_T5_mT6_P12ihipStream_tbENKUlT_T0_E_clISt17integral_constantIbLb1EESY_EEDaST_SU_EUlST_E0_NS1_11comp_targetILNS1_3genE0ELNS1_11target_archE4294967295ELNS1_3gpuE0ELNS1_3repE0EEENS1_30default_config_static_selectorELNS0_4arch9wavefront6targetE0EEEvT1_,"axG",@progbits,_ZN7rocprim17ROCPRIM_400000_NS6detail17trampoline_kernelINS0_14default_configENS1_20scan_config_selectorIN3c108BFloat16EEEZZNS1_9scan_implILNS1_25lookback_scan_determinismE0ELb0ELb0ES3_PKS6_PS6_S6_ZZZN2at6native31launch_logcumsumexp_cuda_kernelERKNSD_10TensorBaseESH_lENKUlvE_clEvENKUlvE4_clEvEUlS6_S6_E_S6_EEDaPvRmT3_T4_T5_mT6_P12ihipStream_tbENKUlT_T0_E_clISt17integral_constantIbLb1EESY_EEDaST_SU_EUlST_E0_NS1_11comp_targetILNS1_3genE0ELNS1_11target_archE4294967295ELNS1_3gpuE0ELNS1_3repE0EEENS1_30default_config_static_selectorELNS0_4arch9wavefront6targetE0EEEvT1_,comdat
.Lfunc_end484:
	.size	_ZN7rocprim17ROCPRIM_400000_NS6detail17trampoline_kernelINS0_14default_configENS1_20scan_config_selectorIN3c108BFloat16EEEZZNS1_9scan_implILNS1_25lookback_scan_determinismE0ELb0ELb0ES3_PKS6_PS6_S6_ZZZN2at6native31launch_logcumsumexp_cuda_kernelERKNSD_10TensorBaseESH_lENKUlvE_clEvENKUlvE4_clEvEUlS6_S6_E_S6_EEDaPvRmT3_T4_T5_mT6_P12ihipStream_tbENKUlT_T0_E_clISt17integral_constantIbLb1EESY_EEDaST_SU_EUlST_E0_NS1_11comp_targetILNS1_3genE0ELNS1_11target_archE4294967295ELNS1_3gpuE0ELNS1_3repE0EEENS1_30default_config_static_selectorELNS0_4arch9wavefront6targetE0EEEvT1_, .Lfunc_end484-_ZN7rocprim17ROCPRIM_400000_NS6detail17trampoline_kernelINS0_14default_configENS1_20scan_config_selectorIN3c108BFloat16EEEZZNS1_9scan_implILNS1_25lookback_scan_determinismE0ELb0ELb0ES3_PKS6_PS6_S6_ZZZN2at6native31launch_logcumsumexp_cuda_kernelERKNSD_10TensorBaseESH_lENKUlvE_clEvENKUlvE4_clEvEUlS6_S6_E_S6_EEDaPvRmT3_T4_T5_mT6_P12ihipStream_tbENKUlT_T0_E_clISt17integral_constantIbLb1EESY_EEDaST_SU_EUlST_E0_NS1_11comp_targetILNS1_3genE0ELNS1_11target_archE4294967295ELNS1_3gpuE0ELNS1_3repE0EEENS1_30default_config_static_selectorELNS0_4arch9wavefront6targetE0EEEvT1_
                                        ; -- End function
	.section	.AMDGPU.csdata,"",@progbits
; Kernel info:
; codeLenInByte = 0
; NumSgprs: 0
; NumVgprs: 0
; ScratchSize: 0
; MemoryBound: 0
; FloatMode: 240
; IeeeMode: 1
; LDSByteSize: 0 bytes/workgroup (compile time only)
; SGPRBlocks: 0
; VGPRBlocks: 0
; NumSGPRsForWavesPerEU: 1
; NumVGPRsForWavesPerEU: 1
; Occupancy: 16
; WaveLimiterHint : 0
; COMPUTE_PGM_RSRC2:SCRATCH_EN: 0
; COMPUTE_PGM_RSRC2:USER_SGPR: 15
; COMPUTE_PGM_RSRC2:TRAP_HANDLER: 0
; COMPUTE_PGM_RSRC2:TGID_X_EN: 1
; COMPUTE_PGM_RSRC2:TGID_Y_EN: 0
; COMPUTE_PGM_RSRC2:TGID_Z_EN: 0
; COMPUTE_PGM_RSRC2:TIDIG_COMP_CNT: 0
	.section	.text._ZN7rocprim17ROCPRIM_400000_NS6detail17trampoline_kernelINS0_14default_configENS1_20scan_config_selectorIN3c108BFloat16EEEZZNS1_9scan_implILNS1_25lookback_scan_determinismE0ELb0ELb0ES3_PKS6_PS6_S6_ZZZN2at6native31launch_logcumsumexp_cuda_kernelERKNSD_10TensorBaseESH_lENKUlvE_clEvENKUlvE4_clEvEUlS6_S6_E_S6_EEDaPvRmT3_T4_T5_mT6_P12ihipStream_tbENKUlT_T0_E_clISt17integral_constantIbLb1EESY_EEDaST_SU_EUlST_E0_NS1_11comp_targetILNS1_3genE5ELNS1_11target_archE942ELNS1_3gpuE9ELNS1_3repE0EEENS1_30default_config_static_selectorELNS0_4arch9wavefront6targetE0EEEvT1_,"axG",@progbits,_ZN7rocprim17ROCPRIM_400000_NS6detail17trampoline_kernelINS0_14default_configENS1_20scan_config_selectorIN3c108BFloat16EEEZZNS1_9scan_implILNS1_25lookback_scan_determinismE0ELb0ELb0ES3_PKS6_PS6_S6_ZZZN2at6native31launch_logcumsumexp_cuda_kernelERKNSD_10TensorBaseESH_lENKUlvE_clEvENKUlvE4_clEvEUlS6_S6_E_S6_EEDaPvRmT3_T4_T5_mT6_P12ihipStream_tbENKUlT_T0_E_clISt17integral_constantIbLb1EESY_EEDaST_SU_EUlST_E0_NS1_11comp_targetILNS1_3genE5ELNS1_11target_archE942ELNS1_3gpuE9ELNS1_3repE0EEENS1_30default_config_static_selectorELNS0_4arch9wavefront6targetE0EEEvT1_,comdat
	.globl	_ZN7rocprim17ROCPRIM_400000_NS6detail17trampoline_kernelINS0_14default_configENS1_20scan_config_selectorIN3c108BFloat16EEEZZNS1_9scan_implILNS1_25lookback_scan_determinismE0ELb0ELb0ES3_PKS6_PS6_S6_ZZZN2at6native31launch_logcumsumexp_cuda_kernelERKNSD_10TensorBaseESH_lENKUlvE_clEvENKUlvE4_clEvEUlS6_S6_E_S6_EEDaPvRmT3_T4_T5_mT6_P12ihipStream_tbENKUlT_T0_E_clISt17integral_constantIbLb1EESY_EEDaST_SU_EUlST_E0_NS1_11comp_targetILNS1_3genE5ELNS1_11target_archE942ELNS1_3gpuE9ELNS1_3repE0EEENS1_30default_config_static_selectorELNS0_4arch9wavefront6targetE0EEEvT1_ ; -- Begin function _ZN7rocprim17ROCPRIM_400000_NS6detail17trampoline_kernelINS0_14default_configENS1_20scan_config_selectorIN3c108BFloat16EEEZZNS1_9scan_implILNS1_25lookback_scan_determinismE0ELb0ELb0ES3_PKS6_PS6_S6_ZZZN2at6native31launch_logcumsumexp_cuda_kernelERKNSD_10TensorBaseESH_lENKUlvE_clEvENKUlvE4_clEvEUlS6_S6_E_S6_EEDaPvRmT3_T4_T5_mT6_P12ihipStream_tbENKUlT_T0_E_clISt17integral_constantIbLb1EESY_EEDaST_SU_EUlST_E0_NS1_11comp_targetILNS1_3genE5ELNS1_11target_archE942ELNS1_3gpuE9ELNS1_3repE0EEENS1_30default_config_static_selectorELNS0_4arch9wavefront6targetE0EEEvT1_
	.p2align	8
	.type	_ZN7rocprim17ROCPRIM_400000_NS6detail17trampoline_kernelINS0_14default_configENS1_20scan_config_selectorIN3c108BFloat16EEEZZNS1_9scan_implILNS1_25lookback_scan_determinismE0ELb0ELb0ES3_PKS6_PS6_S6_ZZZN2at6native31launch_logcumsumexp_cuda_kernelERKNSD_10TensorBaseESH_lENKUlvE_clEvENKUlvE4_clEvEUlS6_S6_E_S6_EEDaPvRmT3_T4_T5_mT6_P12ihipStream_tbENKUlT_T0_E_clISt17integral_constantIbLb1EESY_EEDaST_SU_EUlST_E0_NS1_11comp_targetILNS1_3genE5ELNS1_11target_archE942ELNS1_3gpuE9ELNS1_3repE0EEENS1_30default_config_static_selectorELNS0_4arch9wavefront6targetE0EEEvT1_,@function
_ZN7rocprim17ROCPRIM_400000_NS6detail17trampoline_kernelINS0_14default_configENS1_20scan_config_selectorIN3c108BFloat16EEEZZNS1_9scan_implILNS1_25lookback_scan_determinismE0ELb0ELb0ES3_PKS6_PS6_S6_ZZZN2at6native31launch_logcumsumexp_cuda_kernelERKNSD_10TensorBaseESH_lENKUlvE_clEvENKUlvE4_clEvEUlS6_S6_E_S6_EEDaPvRmT3_T4_T5_mT6_P12ihipStream_tbENKUlT_T0_E_clISt17integral_constantIbLb1EESY_EEDaST_SU_EUlST_E0_NS1_11comp_targetILNS1_3genE5ELNS1_11target_archE942ELNS1_3gpuE9ELNS1_3repE0EEENS1_30default_config_static_selectorELNS0_4arch9wavefront6targetE0EEEvT1_: ; @_ZN7rocprim17ROCPRIM_400000_NS6detail17trampoline_kernelINS0_14default_configENS1_20scan_config_selectorIN3c108BFloat16EEEZZNS1_9scan_implILNS1_25lookback_scan_determinismE0ELb0ELb0ES3_PKS6_PS6_S6_ZZZN2at6native31launch_logcumsumexp_cuda_kernelERKNSD_10TensorBaseESH_lENKUlvE_clEvENKUlvE4_clEvEUlS6_S6_E_S6_EEDaPvRmT3_T4_T5_mT6_P12ihipStream_tbENKUlT_T0_E_clISt17integral_constantIbLb1EESY_EEDaST_SU_EUlST_E0_NS1_11comp_targetILNS1_3genE5ELNS1_11target_archE942ELNS1_3gpuE9ELNS1_3repE0EEENS1_30default_config_static_selectorELNS0_4arch9wavefront6targetE0EEEvT1_
; %bb.0:
	.section	.rodata,"a",@progbits
	.p2align	6, 0x0
	.amdhsa_kernel _ZN7rocprim17ROCPRIM_400000_NS6detail17trampoline_kernelINS0_14default_configENS1_20scan_config_selectorIN3c108BFloat16EEEZZNS1_9scan_implILNS1_25lookback_scan_determinismE0ELb0ELb0ES3_PKS6_PS6_S6_ZZZN2at6native31launch_logcumsumexp_cuda_kernelERKNSD_10TensorBaseESH_lENKUlvE_clEvENKUlvE4_clEvEUlS6_S6_E_S6_EEDaPvRmT3_T4_T5_mT6_P12ihipStream_tbENKUlT_T0_E_clISt17integral_constantIbLb1EESY_EEDaST_SU_EUlST_E0_NS1_11comp_targetILNS1_3genE5ELNS1_11target_archE942ELNS1_3gpuE9ELNS1_3repE0EEENS1_30default_config_static_selectorELNS0_4arch9wavefront6targetE0EEEvT1_
		.amdhsa_group_segment_fixed_size 0
		.amdhsa_private_segment_fixed_size 0
		.amdhsa_kernarg_size 32
		.amdhsa_user_sgpr_count 15
		.amdhsa_user_sgpr_dispatch_ptr 0
		.amdhsa_user_sgpr_queue_ptr 0
		.amdhsa_user_sgpr_kernarg_segment_ptr 1
		.amdhsa_user_sgpr_dispatch_id 0
		.amdhsa_user_sgpr_private_segment_size 0
		.amdhsa_wavefront_size32 1
		.amdhsa_uses_dynamic_stack 0
		.amdhsa_enable_private_segment 0
		.amdhsa_system_sgpr_workgroup_id_x 1
		.amdhsa_system_sgpr_workgroup_id_y 0
		.amdhsa_system_sgpr_workgroup_id_z 0
		.amdhsa_system_sgpr_workgroup_info 0
		.amdhsa_system_vgpr_workitem_id 0
		.amdhsa_next_free_vgpr 1
		.amdhsa_next_free_sgpr 1
		.amdhsa_reserve_vcc 0
		.amdhsa_float_round_mode_32 0
		.amdhsa_float_round_mode_16_64 0
		.amdhsa_float_denorm_mode_32 3
		.amdhsa_float_denorm_mode_16_64 3
		.amdhsa_dx10_clamp 1
		.amdhsa_ieee_mode 1
		.amdhsa_fp16_overflow 0
		.amdhsa_workgroup_processor_mode 1
		.amdhsa_memory_ordered 1
		.amdhsa_forward_progress 0
		.amdhsa_shared_vgpr_count 0
		.amdhsa_exception_fp_ieee_invalid_op 0
		.amdhsa_exception_fp_denorm_src 0
		.amdhsa_exception_fp_ieee_div_zero 0
		.amdhsa_exception_fp_ieee_overflow 0
		.amdhsa_exception_fp_ieee_underflow 0
		.amdhsa_exception_fp_ieee_inexact 0
		.amdhsa_exception_int_div_zero 0
	.end_amdhsa_kernel
	.section	.text._ZN7rocprim17ROCPRIM_400000_NS6detail17trampoline_kernelINS0_14default_configENS1_20scan_config_selectorIN3c108BFloat16EEEZZNS1_9scan_implILNS1_25lookback_scan_determinismE0ELb0ELb0ES3_PKS6_PS6_S6_ZZZN2at6native31launch_logcumsumexp_cuda_kernelERKNSD_10TensorBaseESH_lENKUlvE_clEvENKUlvE4_clEvEUlS6_S6_E_S6_EEDaPvRmT3_T4_T5_mT6_P12ihipStream_tbENKUlT_T0_E_clISt17integral_constantIbLb1EESY_EEDaST_SU_EUlST_E0_NS1_11comp_targetILNS1_3genE5ELNS1_11target_archE942ELNS1_3gpuE9ELNS1_3repE0EEENS1_30default_config_static_selectorELNS0_4arch9wavefront6targetE0EEEvT1_,"axG",@progbits,_ZN7rocprim17ROCPRIM_400000_NS6detail17trampoline_kernelINS0_14default_configENS1_20scan_config_selectorIN3c108BFloat16EEEZZNS1_9scan_implILNS1_25lookback_scan_determinismE0ELb0ELb0ES3_PKS6_PS6_S6_ZZZN2at6native31launch_logcumsumexp_cuda_kernelERKNSD_10TensorBaseESH_lENKUlvE_clEvENKUlvE4_clEvEUlS6_S6_E_S6_EEDaPvRmT3_T4_T5_mT6_P12ihipStream_tbENKUlT_T0_E_clISt17integral_constantIbLb1EESY_EEDaST_SU_EUlST_E0_NS1_11comp_targetILNS1_3genE5ELNS1_11target_archE942ELNS1_3gpuE9ELNS1_3repE0EEENS1_30default_config_static_selectorELNS0_4arch9wavefront6targetE0EEEvT1_,comdat
.Lfunc_end485:
	.size	_ZN7rocprim17ROCPRIM_400000_NS6detail17trampoline_kernelINS0_14default_configENS1_20scan_config_selectorIN3c108BFloat16EEEZZNS1_9scan_implILNS1_25lookback_scan_determinismE0ELb0ELb0ES3_PKS6_PS6_S6_ZZZN2at6native31launch_logcumsumexp_cuda_kernelERKNSD_10TensorBaseESH_lENKUlvE_clEvENKUlvE4_clEvEUlS6_S6_E_S6_EEDaPvRmT3_T4_T5_mT6_P12ihipStream_tbENKUlT_T0_E_clISt17integral_constantIbLb1EESY_EEDaST_SU_EUlST_E0_NS1_11comp_targetILNS1_3genE5ELNS1_11target_archE942ELNS1_3gpuE9ELNS1_3repE0EEENS1_30default_config_static_selectorELNS0_4arch9wavefront6targetE0EEEvT1_, .Lfunc_end485-_ZN7rocprim17ROCPRIM_400000_NS6detail17trampoline_kernelINS0_14default_configENS1_20scan_config_selectorIN3c108BFloat16EEEZZNS1_9scan_implILNS1_25lookback_scan_determinismE0ELb0ELb0ES3_PKS6_PS6_S6_ZZZN2at6native31launch_logcumsumexp_cuda_kernelERKNSD_10TensorBaseESH_lENKUlvE_clEvENKUlvE4_clEvEUlS6_S6_E_S6_EEDaPvRmT3_T4_T5_mT6_P12ihipStream_tbENKUlT_T0_E_clISt17integral_constantIbLb1EESY_EEDaST_SU_EUlST_E0_NS1_11comp_targetILNS1_3genE5ELNS1_11target_archE942ELNS1_3gpuE9ELNS1_3repE0EEENS1_30default_config_static_selectorELNS0_4arch9wavefront6targetE0EEEvT1_
                                        ; -- End function
	.section	.AMDGPU.csdata,"",@progbits
; Kernel info:
; codeLenInByte = 0
; NumSgprs: 0
; NumVgprs: 0
; ScratchSize: 0
; MemoryBound: 0
; FloatMode: 240
; IeeeMode: 1
; LDSByteSize: 0 bytes/workgroup (compile time only)
; SGPRBlocks: 0
; VGPRBlocks: 0
; NumSGPRsForWavesPerEU: 1
; NumVGPRsForWavesPerEU: 1
; Occupancy: 16
; WaveLimiterHint : 0
; COMPUTE_PGM_RSRC2:SCRATCH_EN: 0
; COMPUTE_PGM_RSRC2:USER_SGPR: 15
; COMPUTE_PGM_RSRC2:TRAP_HANDLER: 0
; COMPUTE_PGM_RSRC2:TGID_X_EN: 1
; COMPUTE_PGM_RSRC2:TGID_Y_EN: 0
; COMPUTE_PGM_RSRC2:TGID_Z_EN: 0
; COMPUTE_PGM_RSRC2:TIDIG_COMP_CNT: 0
	.section	.text._ZN7rocprim17ROCPRIM_400000_NS6detail17trampoline_kernelINS0_14default_configENS1_20scan_config_selectorIN3c108BFloat16EEEZZNS1_9scan_implILNS1_25lookback_scan_determinismE0ELb0ELb0ES3_PKS6_PS6_S6_ZZZN2at6native31launch_logcumsumexp_cuda_kernelERKNSD_10TensorBaseESH_lENKUlvE_clEvENKUlvE4_clEvEUlS6_S6_E_S6_EEDaPvRmT3_T4_T5_mT6_P12ihipStream_tbENKUlT_T0_E_clISt17integral_constantIbLb1EESY_EEDaST_SU_EUlST_E0_NS1_11comp_targetILNS1_3genE4ELNS1_11target_archE910ELNS1_3gpuE8ELNS1_3repE0EEENS1_30default_config_static_selectorELNS0_4arch9wavefront6targetE0EEEvT1_,"axG",@progbits,_ZN7rocprim17ROCPRIM_400000_NS6detail17trampoline_kernelINS0_14default_configENS1_20scan_config_selectorIN3c108BFloat16EEEZZNS1_9scan_implILNS1_25lookback_scan_determinismE0ELb0ELb0ES3_PKS6_PS6_S6_ZZZN2at6native31launch_logcumsumexp_cuda_kernelERKNSD_10TensorBaseESH_lENKUlvE_clEvENKUlvE4_clEvEUlS6_S6_E_S6_EEDaPvRmT3_T4_T5_mT6_P12ihipStream_tbENKUlT_T0_E_clISt17integral_constantIbLb1EESY_EEDaST_SU_EUlST_E0_NS1_11comp_targetILNS1_3genE4ELNS1_11target_archE910ELNS1_3gpuE8ELNS1_3repE0EEENS1_30default_config_static_selectorELNS0_4arch9wavefront6targetE0EEEvT1_,comdat
	.globl	_ZN7rocprim17ROCPRIM_400000_NS6detail17trampoline_kernelINS0_14default_configENS1_20scan_config_selectorIN3c108BFloat16EEEZZNS1_9scan_implILNS1_25lookback_scan_determinismE0ELb0ELb0ES3_PKS6_PS6_S6_ZZZN2at6native31launch_logcumsumexp_cuda_kernelERKNSD_10TensorBaseESH_lENKUlvE_clEvENKUlvE4_clEvEUlS6_S6_E_S6_EEDaPvRmT3_T4_T5_mT6_P12ihipStream_tbENKUlT_T0_E_clISt17integral_constantIbLb1EESY_EEDaST_SU_EUlST_E0_NS1_11comp_targetILNS1_3genE4ELNS1_11target_archE910ELNS1_3gpuE8ELNS1_3repE0EEENS1_30default_config_static_selectorELNS0_4arch9wavefront6targetE0EEEvT1_ ; -- Begin function _ZN7rocprim17ROCPRIM_400000_NS6detail17trampoline_kernelINS0_14default_configENS1_20scan_config_selectorIN3c108BFloat16EEEZZNS1_9scan_implILNS1_25lookback_scan_determinismE0ELb0ELb0ES3_PKS6_PS6_S6_ZZZN2at6native31launch_logcumsumexp_cuda_kernelERKNSD_10TensorBaseESH_lENKUlvE_clEvENKUlvE4_clEvEUlS6_S6_E_S6_EEDaPvRmT3_T4_T5_mT6_P12ihipStream_tbENKUlT_T0_E_clISt17integral_constantIbLb1EESY_EEDaST_SU_EUlST_E0_NS1_11comp_targetILNS1_3genE4ELNS1_11target_archE910ELNS1_3gpuE8ELNS1_3repE0EEENS1_30default_config_static_selectorELNS0_4arch9wavefront6targetE0EEEvT1_
	.p2align	8
	.type	_ZN7rocprim17ROCPRIM_400000_NS6detail17trampoline_kernelINS0_14default_configENS1_20scan_config_selectorIN3c108BFloat16EEEZZNS1_9scan_implILNS1_25lookback_scan_determinismE0ELb0ELb0ES3_PKS6_PS6_S6_ZZZN2at6native31launch_logcumsumexp_cuda_kernelERKNSD_10TensorBaseESH_lENKUlvE_clEvENKUlvE4_clEvEUlS6_S6_E_S6_EEDaPvRmT3_T4_T5_mT6_P12ihipStream_tbENKUlT_T0_E_clISt17integral_constantIbLb1EESY_EEDaST_SU_EUlST_E0_NS1_11comp_targetILNS1_3genE4ELNS1_11target_archE910ELNS1_3gpuE8ELNS1_3repE0EEENS1_30default_config_static_selectorELNS0_4arch9wavefront6targetE0EEEvT1_,@function
_ZN7rocprim17ROCPRIM_400000_NS6detail17trampoline_kernelINS0_14default_configENS1_20scan_config_selectorIN3c108BFloat16EEEZZNS1_9scan_implILNS1_25lookback_scan_determinismE0ELb0ELb0ES3_PKS6_PS6_S6_ZZZN2at6native31launch_logcumsumexp_cuda_kernelERKNSD_10TensorBaseESH_lENKUlvE_clEvENKUlvE4_clEvEUlS6_S6_E_S6_EEDaPvRmT3_T4_T5_mT6_P12ihipStream_tbENKUlT_T0_E_clISt17integral_constantIbLb1EESY_EEDaST_SU_EUlST_E0_NS1_11comp_targetILNS1_3genE4ELNS1_11target_archE910ELNS1_3gpuE8ELNS1_3repE0EEENS1_30default_config_static_selectorELNS0_4arch9wavefront6targetE0EEEvT1_: ; @_ZN7rocprim17ROCPRIM_400000_NS6detail17trampoline_kernelINS0_14default_configENS1_20scan_config_selectorIN3c108BFloat16EEEZZNS1_9scan_implILNS1_25lookback_scan_determinismE0ELb0ELb0ES3_PKS6_PS6_S6_ZZZN2at6native31launch_logcumsumexp_cuda_kernelERKNSD_10TensorBaseESH_lENKUlvE_clEvENKUlvE4_clEvEUlS6_S6_E_S6_EEDaPvRmT3_T4_T5_mT6_P12ihipStream_tbENKUlT_T0_E_clISt17integral_constantIbLb1EESY_EEDaST_SU_EUlST_E0_NS1_11comp_targetILNS1_3genE4ELNS1_11target_archE910ELNS1_3gpuE8ELNS1_3repE0EEENS1_30default_config_static_selectorELNS0_4arch9wavefront6targetE0EEEvT1_
; %bb.0:
	.section	.rodata,"a",@progbits
	.p2align	6, 0x0
	.amdhsa_kernel _ZN7rocprim17ROCPRIM_400000_NS6detail17trampoline_kernelINS0_14default_configENS1_20scan_config_selectorIN3c108BFloat16EEEZZNS1_9scan_implILNS1_25lookback_scan_determinismE0ELb0ELb0ES3_PKS6_PS6_S6_ZZZN2at6native31launch_logcumsumexp_cuda_kernelERKNSD_10TensorBaseESH_lENKUlvE_clEvENKUlvE4_clEvEUlS6_S6_E_S6_EEDaPvRmT3_T4_T5_mT6_P12ihipStream_tbENKUlT_T0_E_clISt17integral_constantIbLb1EESY_EEDaST_SU_EUlST_E0_NS1_11comp_targetILNS1_3genE4ELNS1_11target_archE910ELNS1_3gpuE8ELNS1_3repE0EEENS1_30default_config_static_selectorELNS0_4arch9wavefront6targetE0EEEvT1_
		.amdhsa_group_segment_fixed_size 0
		.amdhsa_private_segment_fixed_size 0
		.amdhsa_kernarg_size 32
		.amdhsa_user_sgpr_count 15
		.amdhsa_user_sgpr_dispatch_ptr 0
		.amdhsa_user_sgpr_queue_ptr 0
		.amdhsa_user_sgpr_kernarg_segment_ptr 1
		.amdhsa_user_sgpr_dispatch_id 0
		.amdhsa_user_sgpr_private_segment_size 0
		.amdhsa_wavefront_size32 1
		.amdhsa_uses_dynamic_stack 0
		.amdhsa_enable_private_segment 0
		.amdhsa_system_sgpr_workgroup_id_x 1
		.amdhsa_system_sgpr_workgroup_id_y 0
		.amdhsa_system_sgpr_workgroup_id_z 0
		.amdhsa_system_sgpr_workgroup_info 0
		.amdhsa_system_vgpr_workitem_id 0
		.amdhsa_next_free_vgpr 1
		.amdhsa_next_free_sgpr 1
		.amdhsa_reserve_vcc 0
		.amdhsa_float_round_mode_32 0
		.amdhsa_float_round_mode_16_64 0
		.amdhsa_float_denorm_mode_32 3
		.amdhsa_float_denorm_mode_16_64 3
		.amdhsa_dx10_clamp 1
		.amdhsa_ieee_mode 1
		.amdhsa_fp16_overflow 0
		.amdhsa_workgroup_processor_mode 1
		.amdhsa_memory_ordered 1
		.amdhsa_forward_progress 0
		.amdhsa_shared_vgpr_count 0
		.amdhsa_exception_fp_ieee_invalid_op 0
		.amdhsa_exception_fp_denorm_src 0
		.amdhsa_exception_fp_ieee_div_zero 0
		.amdhsa_exception_fp_ieee_overflow 0
		.amdhsa_exception_fp_ieee_underflow 0
		.amdhsa_exception_fp_ieee_inexact 0
		.amdhsa_exception_int_div_zero 0
	.end_amdhsa_kernel
	.section	.text._ZN7rocprim17ROCPRIM_400000_NS6detail17trampoline_kernelINS0_14default_configENS1_20scan_config_selectorIN3c108BFloat16EEEZZNS1_9scan_implILNS1_25lookback_scan_determinismE0ELb0ELb0ES3_PKS6_PS6_S6_ZZZN2at6native31launch_logcumsumexp_cuda_kernelERKNSD_10TensorBaseESH_lENKUlvE_clEvENKUlvE4_clEvEUlS6_S6_E_S6_EEDaPvRmT3_T4_T5_mT6_P12ihipStream_tbENKUlT_T0_E_clISt17integral_constantIbLb1EESY_EEDaST_SU_EUlST_E0_NS1_11comp_targetILNS1_3genE4ELNS1_11target_archE910ELNS1_3gpuE8ELNS1_3repE0EEENS1_30default_config_static_selectorELNS0_4arch9wavefront6targetE0EEEvT1_,"axG",@progbits,_ZN7rocprim17ROCPRIM_400000_NS6detail17trampoline_kernelINS0_14default_configENS1_20scan_config_selectorIN3c108BFloat16EEEZZNS1_9scan_implILNS1_25lookback_scan_determinismE0ELb0ELb0ES3_PKS6_PS6_S6_ZZZN2at6native31launch_logcumsumexp_cuda_kernelERKNSD_10TensorBaseESH_lENKUlvE_clEvENKUlvE4_clEvEUlS6_S6_E_S6_EEDaPvRmT3_T4_T5_mT6_P12ihipStream_tbENKUlT_T0_E_clISt17integral_constantIbLb1EESY_EEDaST_SU_EUlST_E0_NS1_11comp_targetILNS1_3genE4ELNS1_11target_archE910ELNS1_3gpuE8ELNS1_3repE0EEENS1_30default_config_static_selectorELNS0_4arch9wavefront6targetE0EEEvT1_,comdat
.Lfunc_end486:
	.size	_ZN7rocprim17ROCPRIM_400000_NS6detail17trampoline_kernelINS0_14default_configENS1_20scan_config_selectorIN3c108BFloat16EEEZZNS1_9scan_implILNS1_25lookback_scan_determinismE0ELb0ELb0ES3_PKS6_PS6_S6_ZZZN2at6native31launch_logcumsumexp_cuda_kernelERKNSD_10TensorBaseESH_lENKUlvE_clEvENKUlvE4_clEvEUlS6_S6_E_S6_EEDaPvRmT3_T4_T5_mT6_P12ihipStream_tbENKUlT_T0_E_clISt17integral_constantIbLb1EESY_EEDaST_SU_EUlST_E0_NS1_11comp_targetILNS1_3genE4ELNS1_11target_archE910ELNS1_3gpuE8ELNS1_3repE0EEENS1_30default_config_static_selectorELNS0_4arch9wavefront6targetE0EEEvT1_, .Lfunc_end486-_ZN7rocprim17ROCPRIM_400000_NS6detail17trampoline_kernelINS0_14default_configENS1_20scan_config_selectorIN3c108BFloat16EEEZZNS1_9scan_implILNS1_25lookback_scan_determinismE0ELb0ELb0ES3_PKS6_PS6_S6_ZZZN2at6native31launch_logcumsumexp_cuda_kernelERKNSD_10TensorBaseESH_lENKUlvE_clEvENKUlvE4_clEvEUlS6_S6_E_S6_EEDaPvRmT3_T4_T5_mT6_P12ihipStream_tbENKUlT_T0_E_clISt17integral_constantIbLb1EESY_EEDaST_SU_EUlST_E0_NS1_11comp_targetILNS1_3genE4ELNS1_11target_archE910ELNS1_3gpuE8ELNS1_3repE0EEENS1_30default_config_static_selectorELNS0_4arch9wavefront6targetE0EEEvT1_
                                        ; -- End function
	.section	.AMDGPU.csdata,"",@progbits
; Kernel info:
; codeLenInByte = 0
; NumSgprs: 0
; NumVgprs: 0
; ScratchSize: 0
; MemoryBound: 0
; FloatMode: 240
; IeeeMode: 1
; LDSByteSize: 0 bytes/workgroup (compile time only)
; SGPRBlocks: 0
; VGPRBlocks: 0
; NumSGPRsForWavesPerEU: 1
; NumVGPRsForWavesPerEU: 1
; Occupancy: 16
; WaveLimiterHint : 0
; COMPUTE_PGM_RSRC2:SCRATCH_EN: 0
; COMPUTE_PGM_RSRC2:USER_SGPR: 15
; COMPUTE_PGM_RSRC2:TRAP_HANDLER: 0
; COMPUTE_PGM_RSRC2:TGID_X_EN: 1
; COMPUTE_PGM_RSRC2:TGID_Y_EN: 0
; COMPUTE_PGM_RSRC2:TGID_Z_EN: 0
; COMPUTE_PGM_RSRC2:TIDIG_COMP_CNT: 0
	.section	.text._ZN7rocprim17ROCPRIM_400000_NS6detail17trampoline_kernelINS0_14default_configENS1_20scan_config_selectorIN3c108BFloat16EEEZZNS1_9scan_implILNS1_25lookback_scan_determinismE0ELb0ELb0ES3_PKS6_PS6_S6_ZZZN2at6native31launch_logcumsumexp_cuda_kernelERKNSD_10TensorBaseESH_lENKUlvE_clEvENKUlvE4_clEvEUlS6_S6_E_S6_EEDaPvRmT3_T4_T5_mT6_P12ihipStream_tbENKUlT_T0_E_clISt17integral_constantIbLb1EESY_EEDaST_SU_EUlST_E0_NS1_11comp_targetILNS1_3genE3ELNS1_11target_archE908ELNS1_3gpuE7ELNS1_3repE0EEENS1_30default_config_static_selectorELNS0_4arch9wavefront6targetE0EEEvT1_,"axG",@progbits,_ZN7rocprim17ROCPRIM_400000_NS6detail17trampoline_kernelINS0_14default_configENS1_20scan_config_selectorIN3c108BFloat16EEEZZNS1_9scan_implILNS1_25lookback_scan_determinismE0ELb0ELb0ES3_PKS6_PS6_S6_ZZZN2at6native31launch_logcumsumexp_cuda_kernelERKNSD_10TensorBaseESH_lENKUlvE_clEvENKUlvE4_clEvEUlS6_S6_E_S6_EEDaPvRmT3_T4_T5_mT6_P12ihipStream_tbENKUlT_T0_E_clISt17integral_constantIbLb1EESY_EEDaST_SU_EUlST_E0_NS1_11comp_targetILNS1_3genE3ELNS1_11target_archE908ELNS1_3gpuE7ELNS1_3repE0EEENS1_30default_config_static_selectorELNS0_4arch9wavefront6targetE0EEEvT1_,comdat
	.globl	_ZN7rocprim17ROCPRIM_400000_NS6detail17trampoline_kernelINS0_14default_configENS1_20scan_config_selectorIN3c108BFloat16EEEZZNS1_9scan_implILNS1_25lookback_scan_determinismE0ELb0ELb0ES3_PKS6_PS6_S6_ZZZN2at6native31launch_logcumsumexp_cuda_kernelERKNSD_10TensorBaseESH_lENKUlvE_clEvENKUlvE4_clEvEUlS6_S6_E_S6_EEDaPvRmT3_T4_T5_mT6_P12ihipStream_tbENKUlT_T0_E_clISt17integral_constantIbLb1EESY_EEDaST_SU_EUlST_E0_NS1_11comp_targetILNS1_3genE3ELNS1_11target_archE908ELNS1_3gpuE7ELNS1_3repE0EEENS1_30default_config_static_selectorELNS0_4arch9wavefront6targetE0EEEvT1_ ; -- Begin function _ZN7rocprim17ROCPRIM_400000_NS6detail17trampoline_kernelINS0_14default_configENS1_20scan_config_selectorIN3c108BFloat16EEEZZNS1_9scan_implILNS1_25lookback_scan_determinismE0ELb0ELb0ES3_PKS6_PS6_S6_ZZZN2at6native31launch_logcumsumexp_cuda_kernelERKNSD_10TensorBaseESH_lENKUlvE_clEvENKUlvE4_clEvEUlS6_S6_E_S6_EEDaPvRmT3_T4_T5_mT6_P12ihipStream_tbENKUlT_T0_E_clISt17integral_constantIbLb1EESY_EEDaST_SU_EUlST_E0_NS1_11comp_targetILNS1_3genE3ELNS1_11target_archE908ELNS1_3gpuE7ELNS1_3repE0EEENS1_30default_config_static_selectorELNS0_4arch9wavefront6targetE0EEEvT1_
	.p2align	8
	.type	_ZN7rocprim17ROCPRIM_400000_NS6detail17trampoline_kernelINS0_14default_configENS1_20scan_config_selectorIN3c108BFloat16EEEZZNS1_9scan_implILNS1_25lookback_scan_determinismE0ELb0ELb0ES3_PKS6_PS6_S6_ZZZN2at6native31launch_logcumsumexp_cuda_kernelERKNSD_10TensorBaseESH_lENKUlvE_clEvENKUlvE4_clEvEUlS6_S6_E_S6_EEDaPvRmT3_T4_T5_mT6_P12ihipStream_tbENKUlT_T0_E_clISt17integral_constantIbLb1EESY_EEDaST_SU_EUlST_E0_NS1_11comp_targetILNS1_3genE3ELNS1_11target_archE908ELNS1_3gpuE7ELNS1_3repE0EEENS1_30default_config_static_selectorELNS0_4arch9wavefront6targetE0EEEvT1_,@function
_ZN7rocprim17ROCPRIM_400000_NS6detail17trampoline_kernelINS0_14default_configENS1_20scan_config_selectorIN3c108BFloat16EEEZZNS1_9scan_implILNS1_25lookback_scan_determinismE0ELb0ELb0ES3_PKS6_PS6_S6_ZZZN2at6native31launch_logcumsumexp_cuda_kernelERKNSD_10TensorBaseESH_lENKUlvE_clEvENKUlvE4_clEvEUlS6_S6_E_S6_EEDaPvRmT3_T4_T5_mT6_P12ihipStream_tbENKUlT_T0_E_clISt17integral_constantIbLb1EESY_EEDaST_SU_EUlST_E0_NS1_11comp_targetILNS1_3genE3ELNS1_11target_archE908ELNS1_3gpuE7ELNS1_3repE0EEENS1_30default_config_static_selectorELNS0_4arch9wavefront6targetE0EEEvT1_: ; @_ZN7rocprim17ROCPRIM_400000_NS6detail17trampoline_kernelINS0_14default_configENS1_20scan_config_selectorIN3c108BFloat16EEEZZNS1_9scan_implILNS1_25lookback_scan_determinismE0ELb0ELb0ES3_PKS6_PS6_S6_ZZZN2at6native31launch_logcumsumexp_cuda_kernelERKNSD_10TensorBaseESH_lENKUlvE_clEvENKUlvE4_clEvEUlS6_S6_E_S6_EEDaPvRmT3_T4_T5_mT6_P12ihipStream_tbENKUlT_T0_E_clISt17integral_constantIbLb1EESY_EEDaST_SU_EUlST_E0_NS1_11comp_targetILNS1_3genE3ELNS1_11target_archE908ELNS1_3gpuE7ELNS1_3repE0EEENS1_30default_config_static_selectorELNS0_4arch9wavefront6targetE0EEEvT1_
; %bb.0:
	.section	.rodata,"a",@progbits
	.p2align	6, 0x0
	.amdhsa_kernel _ZN7rocprim17ROCPRIM_400000_NS6detail17trampoline_kernelINS0_14default_configENS1_20scan_config_selectorIN3c108BFloat16EEEZZNS1_9scan_implILNS1_25lookback_scan_determinismE0ELb0ELb0ES3_PKS6_PS6_S6_ZZZN2at6native31launch_logcumsumexp_cuda_kernelERKNSD_10TensorBaseESH_lENKUlvE_clEvENKUlvE4_clEvEUlS6_S6_E_S6_EEDaPvRmT3_T4_T5_mT6_P12ihipStream_tbENKUlT_T0_E_clISt17integral_constantIbLb1EESY_EEDaST_SU_EUlST_E0_NS1_11comp_targetILNS1_3genE3ELNS1_11target_archE908ELNS1_3gpuE7ELNS1_3repE0EEENS1_30default_config_static_selectorELNS0_4arch9wavefront6targetE0EEEvT1_
		.amdhsa_group_segment_fixed_size 0
		.amdhsa_private_segment_fixed_size 0
		.amdhsa_kernarg_size 32
		.amdhsa_user_sgpr_count 15
		.amdhsa_user_sgpr_dispatch_ptr 0
		.amdhsa_user_sgpr_queue_ptr 0
		.amdhsa_user_sgpr_kernarg_segment_ptr 1
		.amdhsa_user_sgpr_dispatch_id 0
		.amdhsa_user_sgpr_private_segment_size 0
		.amdhsa_wavefront_size32 1
		.amdhsa_uses_dynamic_stack 0
		.amdhsa_enable_private_segment 0
		.amdhsa_system_sgpr_workgroup_id_x 1
		.amdhsa_system_sgpr_workgroup_id_y 0
		.amdhsa_system_sgpr_workgroup_id_z 0
		.amdhsa_system_sgpr_workgroup_info 0
		.amdhsa_system_vgpr_workitem_id 0
		.amdhsa_next_free_vgpr 1
		.amdhsa_next_free_sgpr 1
		.amdhsa_reserve_vcc 0
		.amdhsa_float_round_mode_32 0
		.amdhsa_float_round_mode_16_64 0
		.amdhsa_float_denorm_mode_32 3
		.amdhsa_float_denorm_mode_16_64 3
		.amdhsa_dx10_clamp 1
		.amdhsa_ieee_mode 1
		.amdhsa_fp16_overflow 0
		.amdhsa_workgroup_processor_mode 1
		.amdhsa_memory_ordered 1
		.amdhsa_forward_progress 0
		.amdhsa_shared_vgpr_count 0
		.amdhsa_exception_fp_ieee_invalid_op 0
		.amdhsa_exception_fp_denorm_src 0
		.amdhsa_exception_fp_ieee_div_zero 0
		.amdhsa_exception_fp_ieee_overflow 0
		.amdhsa_exception_fp_ieee_underflow 0
		.amdhsa_exception_fp_ieee_inexact 0
		.amdhsa_exception_int_div_zero 0
	.end_amdhsa_kernel
	.section	.text._ZN7rocprim17ROCPRIM_400000_NS6detail17trampoline_kernelINS0_14default_configENS1_20scan_config_selectorIN3c108BFloat16EEEZZNS1_9scan_implILNS1_25lookback_scan_determinismE0ELb0ELb0ES3_PKS6_PS6_S6_ZZZN2at6native31launch_logcumsumexp_cuda_kernelERKNSD_10TensorBaseESH_lENKUlvE_clEvENKUlvE4_clEvEUlS6_S6_E_S6_EEDaPvRmT3_T4_T5_mT6_P12ihipStream_tbENKUlT_T0_E_clISt17integral_constantIbLb1EESY_EEDaST_SU_EUlST_E0_NS1_11comp_targetILNS1_3genE3ELNS1_11target_archE908ELNS1_3gpuE7ELNS1_3repE0EEENS1_30default_config_static_selectorELNS0_4arch9wavefront6targetE0EEEvT1_,"axG",@progbits,_ZN7rocprim17ROCPRIM_400000_NS6detail17trampoline_kernelINS0_14default_configENS1_20scan_config_selectorIN3c108BFloat16EEEZZNS1_9scan_implILNS1_25lookback_scan_determinismE0ELb0ELb0ES3_PKS6_PS6_S6_ZZZN2at6native31launch_logcumsumexp_cuda_kernelERKNSD_10TensorBaseESH_lENKUlvE_clEvENKUlvE4_clEvEUlS6_S6_E_S6_EEDaPvRmT3_T4_T5_mT6_P12ihipStream_tbENKUlT_T0_E_clISt17integral_constantIbLb1EESY_EEDaST_SU_EUlST_E0_NS1_11comp_targetILNS1_3genE3ELNS1_11target_archE908ELNS1_3gpuE7ELNS1_3repE0EEENS1_30default_config_static_selectorELNS0_4arch9wavefront6targetE0EEEvT1_,comdat
.Lfunc_end487:
	.size	_ZN7rocprim17ROCPRIM_400000_NS6detail17trampoline_kernelINS0_14default_configENS1_20scan_config_selectorIN3c108BFloat16EEEZZNS1_9scan_implILNS1_25lookback_scan_determinismE0ELb0ELb0ES3_PKS6_PS6_S6_ZZZN2at6native31launch_logcumsumexp_cuda_kernelERKNSD_10TensorBaseESH_lENKUlvE_clEvENKUlvE4_clEvEUlS6_S6_E_S6_EEDaPvRmT3_T4_T5_mT6_P12ihipStream_tbENKUlT_T0_E_clISt17integral_constantIbLb1EESY_EEDaST_SU_EUlST_E0_NS1_11comp_targetILNS1_3genE3ELNS1_11target_archE908ELNS1_3gpuE7ELNS1_3repE0EEENS1_30default_config_static_selectorELNS0_4arch9wavefront6targetE0EEEvT1_, .Lfunc_end487-_ZN7rocprim17ROCPRIM_400000_NS6detail17trampoline_kernelINS0_14default_configENS1_20scan_config_selectorIN3c108BFloat16EEEZZNS1_9scan_implILNS1_25lookback_scan_determinismE0ELb0ELb0ES3_PKS6_PS6_S6_ZZZN2at6native31launch_logcumsumexp_cuda_kernelERKNSD_10TensorBaseESH_lENKUlvE_clEvENKUlvE4_clEvEUlS6_S6_E_S6_EEDaPvRmT3_T4_T5_mT6_P12ihipStream_tbENKUlT_T0_E_clISt17integral_constantIbLb1EESY_EEDaST_SU_EUlST_E0_NS1_11comp_targetILNS1_3genE3ELNS1_11target_archE908ELNS1_3gpuE7ELNS1_3repE0EEENS1_30default_config_static_selectorELNS0_4arch9wavefront6targetE0EEEvT1_
                                        ; -- End function
	.section	.AMDGPU.csdata,"",@progbits
; Kernel info:
; codeLenInByte = 0
; NumSgprs: 0
; NumVgprs: 0
; ScratchSize: 0
; MemoryBound: 0
; FloatMode: 240
; IeeeMode: 1
; LDSByteSize: 0 bytes/workgroup (compile time only)
; SGPRBlocks: 0
; VGPRBlocks: 0
; NumSGPRsForWavesPerEU: 1
; NumVGPRsForWavesPerEU: 1
; Occupancy: 16
; WaveLimiterHint : 0
; COMPUTE_PGM_RSRC2:SCRATCH_EN: 0
; COMPUTE_PGM_RSRC2:USER_SGPR: 15
; COMPUTE_PGM_RSRC2:TRAP_HANDLER: 0
; COMPUTE_PGM_RSRC2:TGID_X_EN: 1
; COMPUTE_PGM_RSRC2:TGID_Y_EN: 0
; COMPUTE_PGM_RSRC2:TGID_Z_EN: 0
; COMPUTE_PGM_RSRC2:TIDIG_COMP_CNT: 0
	.section	.text._ZN7rocprim17ROCPRIM_400000_NS6detail17trampoline_kernelINS0_14default_configENS1_20scan_config_selectorIN3c108BFloat16EEEZZNS1_9scan_implILNS1_25lookback_scan_determinismE0ELb0ELb0ES3_PKS6_PS6_S6_ZZZN2at6native31launch_logcumsumexp_cuda_kernelERKNSD_10TensorBaseESH_lENKUlvE_clEvENKUlvE4_clEvEUlS6_S6_E_S6_EEDaPvRmT3_T4_T5_mT6_P12ihipStream_tbENKUlT_T0_E_clISt17integral_constantIbLb1EESY_EEDaST_SU_EUlST_E0_NS1_11comp_targetILNS1_3genE2ELNS1_11target_archE906ELNS1_3gpuE6ELNS1_3repE0EEENS1_30default_config_static_selectorELNS0_4arch9wavefront6targetE0EEEvT1_,"axG",@progbits,_ZN7rocprim17ROCPRIM_400000_NS6detail17trampoline_kernelINS0_14default_configENS1_20scan_config_selectorIN3c108BFloat16EEEZZNS1_9scan_implILNS1_25lookback_scan_determinismE0ELb0ELb0ES3_PKS6_PS6_S6_ZZZN2at6native31launch_logcumsumexp_cuda_kernelERKNSD_10TensorBaseESH_lENKUlvE_clEvENKUlvE4_clEvEUlS6_S6_E_S6_EEDaPvRmT3_T4_T5_mT6_P12ihipStream_tbENKUlT_T0_E_clISt17integral_constantIbLb1EESY_EEDaST_SU_EUlST_E0_NS1_11comp_targetILNS1_3genE2ELNS1_11target_archE906ELNS1_3gpuE6ELNS1_3repE0EEENS1_30default_config_static_selectorELNS0_4arch9wavefront6targetE0EEEvT1_,comdat
	.globl	_ZN7rocprim17ROCPRIM_400000_NS6detail17trampoline_kernelINS0_14default_configENS1_20scan_config_selectorIN3c108BFloat16EEEZZNS1_9scan_implILNS1_25lookback_scan_determinismE0ELb0ELb0ES3_PKS6_PS6_S6_ZZZN2at6native31launch_logcumsumexp_cuda_kernelERKNSD_10TensorBaseESH_lENKUlvE_clEvENKUlvE4_clEvEUlS6_S6_E_S6_EEDaPvRmT3_T4_T5_mT6_P12ihipStream_tbENKUlT_T0_E_clISt17integral_constantIbLb1EESY_EEDaST_SU_EUlST_E0_NS1_11comp_targetILNS1_3genE2ELNS1_11target_archE906ELNS1_3gpuE6ELNS1_3repE0EEENS1_30default_config_static_selectorELNS0_4arch9wavefront6targetE0EEEvT1_ ; -- Begin function _ZN7rocprim17ROCPRIM_400000_NS6detail17trampoline_kernelINS0_14default_configENS1_20scan_config_selectorIN3c108BFloat16EEEZZNS1_9scan_implILNS1_25lookback_scan_determinismE0ELb0ELb0ES3_PKS6_PS6_S6_ZZZN2at6native31launch_logcumsumexp_cuda_kernelERKNSD_10TensorBaseESH_lENKUlvE_clEvENKUlvE4_clEvEUlS6_S6_E_S6_EEDaPvRmT3_T4_T5_mT6_P12ihipStream_tbENKUlT_T0_E_clISt17integral_constantIbLb1EESY_EEDaST_SU_EUlST_E0_NS1_11comp_targetILNS1_3genE2ELNS1_11target_archE906ELNS1_3gpuE6ELNS1_3repE0EEENS1_30default_config_static_selectorELNS0_4arch9wavefront6targetE0EEEvT1_
	.p2align	8
	.type	_ZN7rocprim17ROCPRIM_400000_NS6detail17trampoline_kernelINS0_14default_configENS1_20scan_config_selectorIN3c108BFloat16EEEZZNS1_9scan_implILNS1_25lookback_scan_determinismE0ELb0ELb0ES3_PKS6_PS6_S6_ZZZN2at6native31launch_logcumsumexp_cuda_kernelERKNSD_10TensorBaseESH_lENKUlvE_clEvENKUlvE4_clEvEUlS6_S6_E_S6_EEDaPvRmT3_T4_T5_mT6_P12ihipStream_tbENKUlT_T0_E_clISt17integral_constantIbLb1EESY_EEDaST_SU_EUlST_E0_NS1_11comp_targetILNS1_3genE2ELNS1_11target_archE906ELNS1_3gpuE6ELNS1_3repE0EEENS1_30default_config_static_selectorELNS0_4arch9wavefront6targetE0EEEvT1_,@function
_ZN7rocprim17ROCPRIM_400000_NS6detail17trampoline_kernelINS0_14default_configENS1_20scan_config_selectorIN3c108BFloat16EEEZZNS1_9scan_implILNS1_25lookback_scan_determinismE0ELb0ELb0ES3_PKS6_PS6_S6_ZZZN2at6native31launch_logcumsumexp_cuda_kernelERKNSD_10TensorBaseESH_lENKUlvE_clEvENKUlvE4_clEvEUlS6_S6_E_S6_EEDaPvRmT3_T4_T5_mT6_P12ihipStream_tbENKUlT_T0_E_clISt17integral_constantIbLb1EESY_EEDaST_SU_EUlST_E0_NS1_11comp_targetILNS1_3genE2ELNS1_11target_archE906ELNS1_3gpuE6ELNS1_3repE0EEENS1_30default_config_static_selectorELNS0_4arch9wavefront6targetE0EEEvT1_: ; @_ZN7rocprim17ROCPRIM_400000_NS6detail17trampoline_kernelINS0_14default_configENS1_20scan_config_selectorIN3c108BFloat16EEEZZNS1_9scan_implILNS1_25lookback_scan_determinismE0ELb0ELb0ES3_PKS6_PS6_S6_ZZZN2at6native31launch_logcumsumexp_cuda_kernelERKNSD_10TensorBaseESH_lENKUlvE_clEvENKUlvE4_clEvEUlS6_S6_E_S6_EEDaPvRmT3_T4_T5_mT6_P12ihipStream_tbENKUlT_T0_E_clISt17integral_constantIbLb1EESY_EEDaST_SU_EUlST_E0_NS1_11comp_targetILNS1_3genE2ELNS1_11target_archE906ELNS1_3gpuE6ELNS1_3repE0EEENS1_30default_config_static_selectorELNS0_4arch9wavefront6targetE0EEEvT1_
; %bb.0:
	.section	.rodata,"a",@progbits
	.p2align	6, 0x0
	.amdhsa_kernel _ZN7rocprim17ROCPRIM_400000_NS6detail17trampoline_kernelINS0_14default_configENS1_20scan_config_selectorIN3c108BFloat16EEEZZNS1_9scan_implILNS1_25lookback_scan_determinismE0ELb0ELb0ES3_PKS6_PS6_S6_ZZZN2at6native31launch_logcumsumexp_cuda_kernelERKNSD_10TensorBaseESH_lENKUlvE_clEvENKUlvE4_clEvEUlS6_S6_E_S6_EEDaPvRmT3_T4_T5_mT6_P12ihipStream_tbENKUlT_T0_E_clISt17integral_constantIbLb1EESY_EEDaST_SU_EUlST_E0_NS1_11comp_targetILNS1_3genE2ELNS1_11target_archE906ELNS1_3gpuE6ELNS1_3repE0EEENS1_30default_config_static_selectorELNS0_4arch9wavefront6targetE0EEEvT1_
		.amdhsa_group_segment_fixed_size 0
		.amdhsa_private_segment_fixed_size 0
		.amdhsa_kernarg_size 32
		.amdhsa_user_sgpr_count 15
		.amdhsa_user_sgpr_dispatch_ptr 0
		.amdhsa_user_sgpr_queue_ptr 0
		.amdhsa_user_sgpr_kernarg_segment_ptr 1
		.amdhsa_user_sgpr_dispatch_id 0
		.amdhsa_user_sgpr_private_segment_size 0
		.amdhsa_wavefront_size32 1
		.amdhsa_uses_dynamic_stack 0
		.amdhsa_enable_private_segment 0
		.amdhsa_system_sgpr_workgroup_id_x 1
		.amdhsa_system_sgpr_workgroup_id_y 0
		.amdhsa_system_sgpr_workgroup_id_z 0
		.amdhsa_system_sgpr_workgroup_info 0
		.amdhsa_system_vgpr_workitem_id 0
		.amdhsa_next_free_vgpr 1
		.amdhsa_next_free_sgpr 1
		.amdhsa_reserve_vcc 0
		.amdhsa_float_round_mode_32 0
		.amdhsa_float_round_mode_16_64 0
		.amdhsa_float_denorm_mode_32 3
		.amdhsa_float_denorm_mode_16_64 3
		.amdhsa_dx10_clamp 1
		.amdhsa_ieee_mode 1
		.amdhsa_fp16_overflow 0
		.amdhsa_workgroup_processor_mode 1
		.amdhsa_memory_ordered 1
		.amdhsa_forward_progress 0
		.amdhsa_shared_vgpr_count 0
		.amdhsa_exception_fp_ieee_invalid_op 0
		.amdhsa_exception_fp_denorm_src 0
		.amdhsa_exception_fp_ieee_div_zero 0
		.amdhsa_exception_fp_ieee_overflow 0
		.amdhsa_exception_fp_ieee_underflow 0
		.amdhsa_exception_fp_ieee_inexact 0
		.amdhsa_exception_int_div_zero 0
	.end_amdhsa_kernel
	.section	.text._ZN7rocprim17ROCPRIM_400000_NS6detail17trampoline_kernelINS0_14default_configENS1_20scan_config_selectorIN3c108BFloat16EEEZZNS1_9scan_implILNS1_25lookback_scan_determinismE0ELb0ELb0ES3_PKS6_PS6_S6_ZZZN2at6native31launch_logcumsumexp_cuda_kernelERKNSD_10TensorBaseESH_lENKUlvE_clEvENKUlvE4_clEvEUlS6_S6_E_S6_EEDaPvRmT3_T4_T5_mT6_P12ihipStream_tbENKUlT_T0_E_clISt17integral_constantIbLb1EESY_EEDaST_SU_EUlST_E0_NS1_11comp_targetILNS1_3genE2ELNS1_11target_archE906ELNS1_3gpuE6ELNS1_3repE0EEENS1_30default_config_static_selectorELNS0_4arch9wavefront6targetE0EEEvT1_,"axG",@progbits,_ZN7rocprim17ROCPRIM_400000_NS6detail17trampoline_kernelINS0_14default_configENS1_20scan_config_selectorIN3c108BFloat16EEEZZNS1_9scan_implILNS1_25lookback_scan_determinismE0ELb0ELb0ES3_PKS6_PS6_S6_ZZZN2at6native31launch_logcumsumexp_cuda_kernelERKNSD_10TensorBaseESH_lENKUlvE_clEvENKUlvE4_clEvEUlS6_S6_E_S6_EEDaPvRmT3_T4_T5_mT6_P12ihipStream_tbENKUlT_T0_E_clISt17integral_constantIbLb1EESY_EEDaST_SU_EUlST_E0_NS1_11comp_targetILNS1_3genE2ELNS1_11target_archE906ELNS1_3gpuE6ELNS1_3repE0EEENS1_30default_config_static_selectorELNS0_4arch9wavefront6targetE0EEEvT1_,comdat
.Lfunc_end488:
	.size	_ZN7rocprim17ROCPRIM_400000_NS6detail17trampoline_kernelINS0_14default_configENS1_20scan_config_selectorIN3c108BFloat16EEEZZNS1_9scan_implILNS1_25lookback_scan_determinismE0ELb0ELb0ES3_PKS6_PS6_S6_ZZZN2at6native31launch_logcumsumexp_cuda_kernelERKNSD_10TensorBaseESH_lENKUlvE_clEvENKUlvE4_clEvEUlS6_S6_E_S6_EEDaPvRmT3_T4_T5_mT6_P12ihipStream_tbENKUlT_T0_E_clISt17integral_constantIbLb1EESY_EEDaST_SU_EUlST_E0_NS1_11comp_targetILNS1_3genE2ELNS1_11target_archE906ELNS1_3gpuE6ELNS1_3repE0EEENS1_30default_config_static_selectorELNS0_4arch9wavefront6targetE0EEEvT1_, .Lfunc_end488-_ZN7rocprim17ROCPRIM_400000_NS6detail17trampoline_kernelINS0_14default_configENS1_20scan_config_selectorIN3c108BFloat16EEEZZNS1_9scan_implILNS1_25lookback_scan_determinismE0ELb0ELb0ES3_PKS6_PS6_S6_ZZZN2at6native31launch_logcumsumexp_cuda_kernelERKNSD_10TensorBaseESH_lENKUlvE_clEvENKUlvE4_clEvEUlS6_S6_E_S6_EEDaPvRmT3_T4_T5_mT6_P12ihipStream_tbENKUlT_T0_E_clISt17integral_constantIbLb1EESY_EEDaST_SU_EUlST_E0_NS1_11comp_targetILNS1_3genE2ELNS1_11target_archE906ELNS1_3gpuE6ELNS1_3repE0EEENS1_30default_config_static_selectorELNS0_4arch9wavefront6targetE0EEEvT1_
                                        ; -- End function
	.section	.AMDGPU.csdata,"",@progbits
; Kernel info:
; codeLenInByte = 0
; NumSgprs: 0
; NumVgprs: 0
; ScratchSize: 0
; MemoryBound: 0
; FloatMode: 240
; IeeeMode: 1
; LDSByteSize: 0 bytes/workgroup (compile time only)
; SGPRBlocks: 0
; VGPRBlocks: 0
; NumSGPRsForWavesPerEU: 1
; NumVGPRsForWavesPerEU: 1
; Occupancy: 16
; WaveLimiterHint : 0
; COMPUTE_PGM_RSRC2:SCRATCH_EN: 0
; COMPUTE_PGM_RSRC2:USER_SGPR: 15
; COMPUTE_PGM_RSRC2:TRAP_HANDLER: 0
; COMPUTE_PGM_RSRC2:TGID_X_EN: 1
; COMPUTE_PGM_RSRC2:TGID_Y_EN: 0
; COMPUTE_PGM_RSRC2:TGID_Z_EN: 0
; COMPUTE_PGM_RSRC2:TIDIG_COMP_CNT: 0
	.section	.text._ZN7rocprim17ROCPRIM_400000_NS6detail17trampoline_kernelINS0_14default_configENS1_20scan_config_selectorIN3c108BFloat16EEEZZNS1_9scan_implILNS1_25lookback_scan_determinismE0ELb0ELb0ES3_PKS6_PS6_S6_ZZZN2at6native31launch_logcumsumexp_cuda_kernelERKNSD_10TensorBaseESH_lENKUlvE_clEvENKUlvE4_clEvEUlS6_S6_E_S6_EEDaPvRmT3_T4_T5_mT6_P12ihipStream_tbENKUlT_T0_E_clISt17integral_constantIbLb1EESY_EEDaST_SU_EUlST_E0_NS1_11comp_targetILNS1_3genE10ELNS1_11target_archE1201ELNS1_3gpuE5ELNS1_3repE0EEENS1_30default_config_static_selectorELNS0_4arch9wavefront6targetE0EEEvT1_,"axG",@progbits,_ZN7rocprim17ROCPRIM_400000_NS6detail17trampoline_kernelINS0_14default_configENS1_20scan_config_selectorIN3c108BFloat16EEEZZNS1_9scan_implILNS1_25lookback_scan_determinismE0ELb0ELb0ES3_PKS6_PS6_S6_ZZZN2at6native31launch_logcumsumexp_cuda_kernelERKNSD_10TensorBaseESH_lENKUlvE_clEvENKUlvE4_clEvEUlS6_S6_E_S6_EEDaPvRmT3_T4_T5_mT6_P12ihipStream_tbENKUlT_T0_E_clISt17integral_constantIbLb1EESY_EEDaST_SU_EUlST_E0_NS1_11comp_targetILNS1_3genE10ELNS1_11target_archE1201ELNS1_3gpuE5ELNS1_3repE0EEENS1_30default_config_static_selectorELNS0_4arch9wavefront6targetE0EEEvT1_,comdat
	.globl	_ZN7rocprim17ROCPRIM_400000_NS6detail17trampoline_kernelINS0_14default_configENS1_20scan_config_selectorIN3c108BFloat16EEEZZNS1_9scan_implILNS1_25lookback_scan_determinismE0ELb0ELb0ES3_PKS6_PS6_S6_ZZZN2at6native31launch_logcumsumexp_cuda_kernelERKNSD_10TensorBaseESH_lENKUlvE_clEvENKUlvE4_clEvEUlS6_S6_E_S6_EEDaPvRmT3_T4_T5_mT6_P12ihipStream_tbENKUlT_T0_E_clISt17integral_constantIbLb1EESY_EEDaST_SU_EUlST_E0_NS1_11comp_targetILNS1_3genE10ELNS1_11target_archE1201ELNS1_3gpuE5ELNS1_3repE0EEENS1_30default_config_static_selectorELNS0_4arch9wavefront6targetE0EEEvT1_ ; -- Begin function _ZN7rocprim17ROCPRIM_400000_NS6detail17trampoline_kernelINS0_14default_configENS1_20scan_config_selectorIN3c108BFloat16EEEZZNS1_9scan_implILNS1_25lookback_scan_determinismE0ELb0ELb0ES3_PKS6_PS6_S6_ZZZN2at6native31launch_logcumsumexp_cuda_kernelERKNSD_10TensorBaseESH_lENKUlvE_clEvENKUlvE4_clEvEUlS6_S6_E_S6_EEDaPvRmT3_T4_T5_mT6_P12ihipStream_tbENKUlT_T0_E_clISt17integral_constantIbLb1EESY_EEDaST_SU_EUlST_E0_NS1_11comp_targetILNS1_3genE10ELNS1_11target_archE1201ELNS1_3gpuE5ELNS1_3repE0EEENS1_30default_config_static_selectorELNS0_4arch9wavefront6targetE0EEEvT1_
	.p2align	8
	.type	_ZN7rocprim17ROCPRIM_400000_NS6detail17trampoline_kernelINS0_14default_configENS1_20scan_config_selectorIN3c108BFloat16EEEZZNS1_9scan_implILNS1_25lookback_scan_determinismE0ELb0ELb0ES3_PKS6_PS6_S6_ZZZN2at6native31launch_logcumsumexp_cuda_kernelERKNSD_10TensorBaseESH_lENKUlvE_clEvENKUlvE4_clEvEUlS6_S6_E_S6_EEDaPvRmT3_T4_T5_mT6_P12ihipStream_tbENKUlT_T0_E_clISt17integral_constantIbLb1EESY_EEDaST_SU_EUlST_E0_NS1_11comp_targetILNS1_3genE10ELNS1_11target_archE1201ELNS1_3gpuE5ELNS1_3repE0EEENS1_30default_config_static_selectorELNS0_4arch9wavefront6targetE0EEEvT1_,@function
_ZN7rocprim17ROCPRIM_400000_NS6detail17trampoline_kernelINS0_14default_configENS1_20scan_config_selectorIN3c108BFloat16EEEZZNS1_9scan_implILNS1_25lookback_scan_determinismE0ELb0ELb0ES3_PKS6_PS6_S6_ZZZN2at6native31launch_logcumsumexp_cuda_kernelERKNSD_10TensorBaseESH_lENKUlvE_clEvENKUlvE4_clEvEUlS6_S6_E_S6_EEDaPvRmT3_T4_T5_mT6_P12ihipStream_tbENKUlT_T0_E_clISt17integral_constantIbLb1EESY_EEDaST_SU_EUlST_E0_NS1_11comp_targetILNS1_3genE10ELNS1_11target_archE1201ELNS1_3gpuE5ELNS1_3repE0EEENS1_30default_config_static_selectorELNS0_4arch9wavefront6targetE0EEEvT1_: ; @_ZN7rocprim17ROCPRIM_400000_NS6detail17trampoline_kernelINS0_14default_configENS1_20scan_config_selectorIN3c108BFloat16EEEZZNS1_9scan_implILNS1_25lookback_scan_determinismE0ELb0ELb0ES3_PKS6_PS6_S6_ZZZN2at6native31launch_logcumsumexp_cuda_kernelERKNSD_10TensorBaseESH_lENKUlvE_clEvENKUlvE4_clEvEUlS6_S6_E_S6_EEDaPvRmT3_T4_T5_mT6_P12ihipStream_tbENKUlT_T0_E_clISt17integral_constantIbLb1EESY_EEDaST_SU_EUlST_E0_NS1_11comp_targetILNS1_3genE10ELNS1_11target_archE1201ELNS1_3gpuE5ELNS1_3repE0EEENS1_30default_config_static_selectorELNS0_4arch9wavefront6targetE0EEEvT1_
; %bb.0:
	.section	.rodata,"a",@progbits
	.p2align	6, 0x0
	.amdhsa_kernel _ZN7rocprim17ROCPRIM_400000_NS6detail17trampoline_kernelINS0_14default_configENS1_20scan_config_selectorIN3c108BFloat16EEEZZNS1_9scan_implILNS1_25lookback_scan_determinismE0ELb0ELb0ES3_PKS6_PS6_S6_ZZZN2at6native31launch_logcumsumexp_cuda_kernelERKNSD_10TensorBaseESH_lENKUlvE_clEvENKUlvE4_clEvEUlS6_S6_E_S6_EEDaPvRmT3_T4_T5_mT6_P12ihipStream_tbENKUlT_T0_E_clISt17integral_constantIbLb1EESY_EEDaST_SU_EUlST_E0_NS1_11comp_targetILNS1_3genE10ELNS1_11target_archE1201ELNS1_3gpuE5ELNS1_3repE0EEENS1_30default_config_static_selectorELNS0_4arch9wavefront6targetE0EEEvT1_
		.amdhsa_group_segment_fixed_size 0
		.amdhsa_private_segment_fixed_size 0
		.amdhsa_kernarg_size 32
		.amdhsa_user_sgpr_count 15
		.amdhsa_user_sgpr_dispatch_ptr 0
		.amdhsa_user_sgpr_queue_ptr 0
		.amdhsa_user_sgpr_kernarg_segment_ptr 1
		.amdhsa_user_sgpr_dispatch_id 0
		.amdhsa_user_sgpr_private_segment_size 0
		.amdhsa_wavefront_size32 1
		.amdhsa_uses_dynamic_stack 0
		.amdhsa_enable_private_segment 0
		.amdhsa_system_sgpr_workgroup_id_x 1
		.amdhsa_system_sgpr_workgroup_id_y 0
		.amdhsa_system_sgpr_workgroup_id_z 0
		.amdhsa_system_sgpr_workgroup_info 0
		.amdhsa_system_vgpr_workitem_id 0
		.amdhsa_next_free_vgpr 1
		.amdhsa_next_free_sgpr 1
		.amdhsa_reserve_vcc 0
		.amdhsa_float_round_mode_32 0
		.amdhsa_float_round_mode_16_64 0
		.amdhsa_float_denorm_mode_32 3
		.amdhsa_float_denorm_mode_16_64 3
		.amdhsa_dx10_clamp 1
		.amdhsa_ieee_mode 1
		.amdhsa_fp16_overflow 0
		.amdhsa_workgroup_processor_mode 1
		.amdhsa_memory_ordered 1
		.amdhsa_forward_progress 0
		.amdhsa_shared_vgpr_count 0
		.amdhsa_exception_fp_ieee_invalid_op 0
		.amdhsa_exception_fp_denorm_src 0
		.amdhsa_exception_fp_ieee_div_zero 0
		.amdhsa_exception_fp_ieee_overflow 0
		.amdhsa_exception_fp_ieee_underflow 0
		.amdhsa_exception_fp_ieee_inexact 0
		.amdhsa_exception_int_div_zero 0
	.end_amdhsa_kernel
	.section	.text._ZN7rocprim17ROCPRIM_400000_NS6detail17trampoline_kernelINS0_14default_configENS1_20scan_config_selectorIN3c108BFloat16EEEZZNS1_9scan_implILNS1_25lookback_scan_determinismE0ELb0ELb0ES3_PKS6_PS6_S6_ZZZN2at6native31launch_logcumsumexp_cuda_kernelERKNSD_10TensorBaseESH_lENKUlvE_clEvENKUlvE4_clEvEUlS6_S6_E_S6_EEDaPvRmT3_T4_T5_mT6_P12ihipStream_tbENKUlT_T0_E_clISt17integral_constantIbLb1EESY_EEDaST_SU_EUlST_E0_NS1_11comp_targetILNS1_3genE10ELNS1_11target_archE1201ELNS1_3gpuE5ELNS1_3repE0EEENS1_30default_config_static_selectorELNS0_4arch9wavefront6targetE0EEEvT1_,"axG",@progbits,_ZN7rocprim17ROCPRIM_400000_NS6detail17trampoline_kernelINS0_14default_configENS1_20scan_config_selectorIN3c108BFloat16EEEZZNS1_9scan_implILNS1_25lookback_scan_determinismE0ELb0ELb0ES3_PKS6_PS6_S6_ZZZN2at6native31launch_logcumsumexp_cuda_kernelERKNSD_10TensorBaseESH_lENKUlvE_clEvENKUlvE4_clEvEUlS6_S6_E_S6_EEDaPvRmT3_T4_T5_mT6_P12ihipStream_tbENKUlT_T0_E_clISt17integral_constantIbLb1EESY_EEDaST_SU_EUlST_E0_NS1_11comp_targetILNS1_3genE10ELNS1_11target_archE1201ELNS1_3gpuE5ELNS1_3repE0EEENS1_30default_config_static_selectorELNS0_4arch9wavefront6targetE0EEEvT1_,comdat
.Lfunc_end489:
	.size	_ZN7rocprim17ROCPRIM_400000_NS6detail17trampoline_kernelINS0_14default_configENS1_20scan_config_selectorIN3c108BFloat16EEEZZNS1_9scan_implILNS1_25lookback_scan_determinismE0ELb0ELb0ES3_PKS6_PS6_S6_ZZZN2at6native31launch_logcumsumexp_cuda_kernelERKNSD_10TensorBaseESH_lENKUlvE_clEvENKUlvE4_clEvEUlS6_S6_E_S6_EEDaPvRmT3_T4_T5_mT6_P12ihipStream_tbENKUlT_T0_E_clISt17integral_constantIbLb1EESY_EEDaST_SU_EUlST_E0_NS1_11comp_targetILNS1_3genE10ELNS1_11target_archE1201ELNS1_3gpuE5ELNS1_3repE0EEENS1_30default_config_static_selectorELNS0_4arch9wavefront6targetE0EEEvT1_, .Lfunc_end489-_ZN7rocprim17ROCPRIM_400000_NS6detail17trampoline_kernelINS0_14default_configENS1_20scan_config_selectorIN3c108BFloat16EEEZZNS1_9scan_implILNS1_25lookback_scan_determinismE0ELb0ELb0ES3_PKS6_PS6_S6_ZZZN2at6native31launch_logcumsumexp_cuda_kernelERKNSD_10TensorBaseESH_lENKUlvE_clEvENKUlvE4_clEvEUlS6_S6_E_S6_EEDaPvRmT3_T4_T5_mT6_P12ihipStream_tbENKUlT_T0_E_clISt17integral_constantIbLb1EESY_EEDaST_SU_EUlST_E0_NS1_11comp_targetILNS1_3genE10ELNS1_11target_archE1201ELNS1_3gpuE5ELNS1_3repE0EEENS1_30default_config_static_selectorELNS0_4arch9wavefront6targetE0EEEvT1_
                                        ; -- End function
	.section	.AMDGPU.csdata,"",@progbits
; Kernel info:
; codeLenInByte = 0
; NumSgprs: 0
; NumVgprs: 0
; ScratchSize: 0
; MemoryBound: 0
; FloatMode: 240
; IeeeMode: 1
; LDSByteSize: 0 bytes/workgroup (compile time only)
; SGPRBlocks: 0
; VGPRBlocks: 0
; NumSGPRsForWavesPerEU: 1
; NumVGPRsForWavesPerEU: 1
; Occupancy: 16
; WaveLimiterHint : 0
; COMPUTE_PGM_RSRC2:SCRATCH_EN: 0
; COMPUTE_PGM_RSRC2:USER_SGPR: 15
; COMPUTE_PGM_RSRC2:TRAP_HANDLER: 0
; COMPUTE_PGM_RSRC2:TGID_X_EN: 1
; COMPUTE_PGM_RSRC2:TGID_Y_EN: 0
; COMPUTE_PGM_RSRC2:TGID_Z_EN: 0
; COMPUTE_PGM_RSRC2:TIDIG_COMP_CNT: 0
	.section	.text._ZN7rocprim17ROCPRIM_400000_NS6detail17trampoline_kernelINS0_14default_configENS1_20scan_config_selectorIN3c108BFloat16EEEZZNS1_9scan_implILNS1_25lookback_scan_determinismE0ELb0ELb0ES3_PKS6_PS6_S6_ZZZN2at6native31launch_logcumsumexp_cuda_kernelERKNSD_10TensorBaseESH_lENKUlvE_clEvENKUlvE4_clEvEUlS6_S6_E_S6_EEDaPvRmT3_T4_T5_mT6_P12ihipStream_tbENKUlT_T0_E_clISt17integral_constantIbLb1EESY_EEDaST_SU_EUlST_E0_NS1_11comp_targetILNS1_3genE10ELNS1_11target_archE1200ELNS1_3gpuE4ELNS1_3repE0EEENS1_30default_config_static_selectorELNS0_4arch9wavefront6targetE0EEEvT1_,"axG",@progbits,_ZN7rocprim17ROCPRIM_400000_NS6detail17trampoline_kernelINS0_14default_configENS1_20scan_config_selectorIN3c108BFloat16EEEZZNS1_9scan_implILNS1_25lookback_scan_determinismE0ELb0ELb0ES3_PKS6_PS6_S6_ZZZN2at6native31launch_logcumsumexp_cuda_kernelERKNSD_10TensorBaseESH_lENKUlvE_clEvENKUlvE4_clEvEUlS6_S6_E_S6_EEDaPvRmT3_T4_T5_mT6_P12ihipStream_tbENKUlT_T0_E_clISt17integral_constantIbLb1EESY_EEDaST_SU_EUlST_E0_NS1_11comp_targetILNS1_3genE10ELNS1_11target_archE1200ELNS1_3gpuE4ELNS1_3repE0EEENS1_30default_config_static_selectorELNS0_4arch9wavefront6targetE0EEEvT1_,comdat
	.globl	_ZN7rocprim17ROCPRIM_400000_NS6detail17trampoline_kernelINS0_14default_configENS1_20scan_config_selectorIN3c108BFloat16EEEZZNS1_9scan_implILNS1_25lookback_scan_determinismE0ELb0ELb0ES3_PKS6_PS6_S6_ZZZN2at6native31launch_logcumsumexp_cuda_kernelERKNSD_10TensorBaseESH_lENKUlvE_clEvENKUlvE4_clEvEUlS6_S6_E_S6_EEDaPvRmT3_T4_T5_mT6_P12ihipStream_tbENKUlT_T0_E_clISt17integral_constantIbLb1EESY_EEDaST_SU_EUlST_E0_NS1_11comp_targetILNS1_3genE10ELNS1_11target_archE1200ELNS1_3gpuE4ELNS1_3repE0EEENS1_30default_config_static_selectorELNS0_4arch9wavefront6targetE0EEEvT1_ ; -- Begin function _ZN7rocprim17ROCPRIM_400000_NS6detail17trampoline_kernelINS0_14default_configENS1_20scan_config_selectorIN3c108BFloat16EEEZZNS1_9scan_implILNS1_25lookback_scan_determinismE0ELb0ELb0ES3_PKS6_PS6_S6_ZZZN2at6native31launch_logcumsumexp_cuda_kernelERKNSD_10TensorBaseESH_lENKUlvE_clEvENKUlvE4_clEvEUlS6_S6_E_S6_EEDaPvRmT3_T4_T5_mT6_P12ihipStream_tbENKUlT_T0_E_clISt17integral_constantIbLb1EESY_EEDaST_SU_EUlST_E0_NS1_11comp_targetILNS1_3genE10ELNS1_11target_archE1200ELNS1_3gpuE4ELNS1_3repE0EEENS1_30default_config_static_selectorELNS0_4arch9wavefront6targetE0EEEvT1_
	.p2align	8
	.type	_ZN7rocprim17ROCPRIM_400000_NS6detail17trampoline_kernelINS0_14default_configENS1_20scan_config_selectorIN3c108BFloat16EEEZZNS1_9scan_implILNS1_25lookback_scan_determinismE0ELb0ELb0ES3_PKS6_PS6_S6_ZZZN2at6native31launch_logcumsumexp_cuda_kernelERKNSD_10TensorBaseESH_lENKUlvE_clEvENKUlvE4_clEvEUlS6_S6_E_S6_EEDaPvRmT3_T4_T5_mT6_P12ihipStream_tbENKUlT_T0_E_clISt17integral_constantIbLb1EESY_EEDaST_SU_EUlST_E0_NS1_11comp_targetILNS1_3genE10ELNS1_11target_archE1200ELNS1_3gpuE4ELNS1_3repE0EEENS1_30default_config_static_selectorELNS0_4arch9wavefront6targetE0EEEvT1_,@function
_ZN7rocprim17ROCPRIM_400000_NS6detail17trampoline_kernelINS0_14default_configENS1_20scan_config_selectorIN3c108BFloat16EEEZZNS1_9scan_implILNS1_25lookback_scan_determinismE0ELb0ELb0ES3_PKS6_PS6_S6_ZZZN2at6native31launch_logcumsumexp_cuda_kernelERKNSD_10TensorBaseESH_lENKUlvE_clEvENKUlvE4_clEvEUlS6_S6_E_S6_EEDaPvRmT3_T4_T5_mT6_P12ihipStream_tbENKUlT_T0_E_clISt17integral_constantIbLb1EESY_EEDaST_SU_EUlST_E0_NS1_11comp_targetILNS1_3genE10ELNS1_11target_archE1200ELNS1_3gpuE4ELNS1_3repE0EEENS1_30default_config_static_selectorELNS0_4arch9wavefront6targetE0EEEvT1_: ; @_ZN7rocprim17ROCPRIM_400000_NS6detail17trampoline_kernelINS0_14default_configENS1_20scan_config_selectorIN3c108BFloat16EEEZZNS1_9scan_implILNS1_25lookback_scan_determinismE0ELb0ELb0ES3_PKS6_PS6_S6_ZZZN2at6native31launch_logcumsumexp_cuda_kernelERKNSD_10TensorBaseESH_lENKUlvE_clEvENKUlvE4_clEvEUlS6_S6_E_S6_EEDaPvRmT3_T4_T5_mT6_P12ihipStream_tbENKUlT_T0_E_clISt17integral_constantIbLb1EESY_EEDaST_SU_EUlST_E0_NS1_11comp_targetILNS1_3genE10ELNS1_11target_archE1200ELNS1_3gpuE4ELNS1_3repE0EEENS1_30default_config_static_selectorELNS0_4arch9wavefront6targetE0EEEvT1_
; %bb.0:
	.section	.rodata,"a",@progbits
	.p2align	6, 0x0
	.amdhsa_kernel _ZN7rocprim17ROCPRIM_400000_NS6detail17trampoline_kernelINS0_14default_configENS1_20scan_config_selectorIN3c108BFloat16EEEZZNS1_9scan_implILNS1_25lookback_scan_determinismE0ELb0ELb0ES3_PKS6_PS6_S6_ZZZN2at6native31launch_logcumsumexp_cuda_kernelERKNSD_10TensorBaseESH_lENKUlvE_clEvENKUlvE4_clEvEUlS6_S6_E_S6_EEDaPvRmT3_T4_T5_mT6_P12ihipStream_tbENKUlT_T0_E_clISt17integral_constantIbLb1EESY_EEDaST_SU_EUlST_E0_NS1_11comp_targetILNS1_3genE10ELNS1_11target_archE1200ELNS1_3gpuE4ELNS1_3repE0EEENS1_30default_config_static_selectorELNS0_4arch9wavefront6targetE0EEEvT1_
		.amdhsa_group_segment_fixed_size 0
		.amdhsa_private_segment_fixed_size 0
		.amdhsa_kernarg_size 32
		.amdhsa_user_sgpr_count 15
		.amdhsa_user_sgpr_dispatch_ptr 0
		.amdhsa_user_sgpr_queue_ptr 0
		.amdhsa_user_sgpr_kernarg_segment_ptr 1
		.amdhsa_user_sgpr_dispatch_id 0
		.amdhsa_user_sgpr_private_segment_size 0
		.amdhsa_wavefront_size32 1
		.amdhsa_uses_dynamic_stack 0
		.amdhsa_enable_private_segment 0
		.amdhsa_system_sgpr_workgroup_id_x 1
		.amdhsa_system_sgpr_workgroup_id_y 0
		.amdhsa_system_sgpr_workgroup_id_z 0
		.amdhsa_system_sgpr_workgroup_info 0
		.amdhsa_system_vgpr_workitem_id 0
		.amdhsa_next_free_vgpr 1
		.amdhsa_next_free_sgpr 1
		.amdhsa_reserve_vcc 0
		.amdhsa_float_round_mode_32 0
		.amdhsa_float_round_mode_16_64 0
		.amdhsa_float_denorm_mode_32 3
		.amdhsa_float_denorm_mode_16_64 3
		.amdhsa_dx10_clamp 1
		.amdhsa_ieee_mode 1
		.amdhsa_fp16_overflow 0
		.amdhsa_workgroup_processor_mode 1
		.amdhsa_memory_ordered 1
		.amdhsa_forward_progress 0
		.amdhsa_shared_vgpr_count 0
		.amdhsa_exception_fp_ieee_invalid_op 0
		.amdhsa_exception_fp_denorm_src 0
		.amdhsa_exception_fp_ieee_div_zero 0
		.amdhsa_exception_fp_ieee_overflow 0
		.amdhsa_exception_fp_ieee_underflow 0
		.amdhsa_exception_fp_ieee_inexact 0
		.amdhsa_exception_int_div_zero 0
	.end_amdhsa_kernel
	.section	.text._ZN7rocprim17ROCPRIM_400000_NS6detail17trampoline_kernelINS0_14default_configENS1_20scan_config_selectorIN3c108BFloat16EEEZZNS1_9scan_implILNS1_25lookback_scan_determinismE0ELb0ELb0ES3_PKS6_PS6_S6_ZZZN2at6native31launch_logcumsumexp_cuda_kernelERKNSD_10TensorBaseESH_lENKUlvE_clEvENKUlvE4_clEvEUlS6_S6_E_S6_EEDaPvRmT3_T4_T5_mT6_P12ihipStream_tbENKUlT_T0_E_clISt17integral_constantIbLb1EESY_EEDaST_SU_EUlST_E0_NS1_11comp_targetILNS1_3genE10ELNS1_11target_archE1200ELNS1_3gpuE4ELNS1_3repE0EEENS1_30default_config_static_selectorELNS0_4arch9wavefront6targetE0EEEvT1_,"axG",@progbits,_ZN7rocprim17ROCPRIM_400000_NS6detail17trampoline_kernelINS0_14default_configENS1_20scan_config_selectorIN3c108BFloat16EEEZZNS1_9scan_implILNS1_25lookback_scan_determinismE0ELb0ELb0ES3_PKS6_PS6_S6_ZZZN2at6native31launch_logcumsumexp_cuda_kernelERKNSD_10TensorBaseESH_lENKUlvE_clEvENKUlvE4_clEvEUlS6_S6_E_S6_EEDaPvRmT3_T4_T5_mT6_P12ihipStream_tbENKUlT_T0_E_clISt17integral_constantIbLb1EESY_EEDaST_SU_EUlST_E0_NS1_11comp_targetILNS1_3genE10ELNS1_11target_archE1200ELNS1_3gpuE4ELNS1_3repE0EEENS1_30default_config_static_selectorELNS0_4arch9wavefront6targetE0EEEvT1_,comdat
.Lfunc_end490:
	.size	_ZN7rocprim17ROCPRIM_400000_NS6detail17trampoline_kernelINS0_14default_configENS1_20scan_config_selectorIN3c108BFloat16EEEZZNS1_9scan_implILNS1_25lookback_scan_determinismE0ELb0ELb0ES3_PKS6_PS6_S6_ZZZN2at6native31launch_logcumsumexp_cuda_kernelERKNSD_10TensorBaseESH_lENKUlvE_clEvENKUlvE4_clEvEUlS6_S6_E_S6_EEDaPvRmT3_T4_T5_mT6_P12ihipStream_tbENKUlT_T0_E_clISt17integral_constantIbLb1EESY_EEDaST_SU_EUlST_E0_NS1_11comp_targetILNS1_3genE10ELNS1_11target_archE1200ELNS1_3gpuE4ELNS1_3repE0EEENS1_30default_config_static_selectorELNS0_4arch9wavefront6targetE0EEEvT1_, .Lfunc_end490-_ZN7rocprim17ROCPRIM_400000_NS6detail17trampoline_kernelINS0_14default_configENS1_20scan_config_selectorIN3c108BFloat16EEEZZNS1_9scan_implILNS1_25lookback_scan_determinismE0ELb0ELb0ES3_PKS6_PS6_S6_ZZZN2at6native31launch_logcumsumexp_cuda_kernelERKNSD_10TensorBaseESH_lENKUlvE_clEvENKUlvE4_clEvEUlS6_S6_E_S6_EEDaPvRmT3_T4_T5_mT6_P12ihipStream_tbENKUlT_T0_E_clISt17integral_constantIbLb1EESY_EEDaST_SU_EUlST_E0_NS1_11comp_targetILNS1_3genE10ELNS1_11target_archE1200ELNS1_3gpuE4ELNS1_3repE0EEENS1_30default_config_static_selectorELNS0_4arch9wavefront6targetE0EEEvT1_
                                        ; -- End function
	.section	.AMDGPU.csdata,"",@progbits
; Kernel info:
; codeLenInByte = 0
; NumSgprs: 0
; NumVgprs: 0
; ScratchSize: 0
; MemoryBound: 0
; FloatMode: 240
; IeeeMode: 1
; LDSByteSize: 0 bytes/workgroup (compile time only)
; SGPRBlocks: 0
; VGPRBlocks: 0
; NumSGPRsForWavesPerEU: 1
; NumVGPRsForWavesPerEU: 1
; Occupancy: 16
; WaveLimiterHint : 0
; COMPUTE_PGM_RSRC2:SCRATCH_EN: 0
; COMPUTE_PGM_RSRC2:USER_SGPR: 15
; COMPUTE_PGM_RSRC2:TRAP_HANDLER: 0
; COMPUTE_PGM_RSRC2:TGID_X_EN: 1
; COMPUTE_PGM_RSRC2:TGID_Y_EN: 0
; COMPUTE_PGM_RSRC2:TGID_Z_EN: 0
; COMPUTE_PGM_RSRC2:TIDIG_COMP_CNT: 0
	.section	.text._ZN7rocprim17ROCPRIM_400000_NS6detail17trampoline_kernelINS0_14default_configENS1_20scan_config_selectorIN3c108BFloat16EEEZZNS1_9scan_implILNS1_25lookback_scan_determinismE0ELb0ELb0ES3_PKS6_PS6_S6_ZZZN2at6native31launch_logcumsumexp_cuda_kernelERKNSD_10TensorBaseESH_lENKUlvE_clEvENKUlvE4_clEvEUlS6_S6_E_S6_EEDaPvRmT3_T4_T5_mT6_P12ihipStream_tbENKUlT_T0_E_clISt17integral_constantIbLb1EESY_EEDaST_SU_EUlST_E0_NS1_11comp_targetILNS1_3genE9ELNS1_11target_archE1100ELNS1_3gpuE3ELNS1_3repE0EEENS1_30default_config_static_selectorELNS0_4arch9wavefront6targetE0EEEvT1_,"axG",@progbits,_ZN7rocprim17ROCPRIM_400000_NS6detail17trampoline_kernelINS0_14default_configENS1_20scan_config_selectorIN3c108BFloat16EEEZZNS1_9scan_implILNS1_25lookback_scan_determinismE0ELb0ELb0ES3_PKS6_PS6_S6_ZZZN2at6native31launch_logcumsumexp_cuda_kernelERKNSD_10TensorBaseESH_lENKUlvE_clEvENKUlvE4_clEvEUlS6_S6_E_S6_EEDaPvRmT3_T4_T5_mT6_P12ihipStream_tbENKUlT_T0_E_clISt17integral_constantIbLb1EESY_EEDaST_SU_EUlST_E0_NS1_11comp_targetILNS1_3genE9ELNS1_11target_archE1100ELNS1_3gpuE3ELNS1_3repE0EEENS1_30default_config_static_selectorELNS0_4arch9wavefront6targetE0EEEvT1_,comdat
	.globl	_ZN7rocprim17ROCPRIM_400000_NS6detail17trampoline_kernelINS0_14default_configENS1_20scan_config_selectorIN3c108BFloat16EEEZZNS1_9scan_implILNS1_25lookback_scan_determinismE0ELb0ELb0ES3_PKS6_PS6_S6_ZZZN2at6native31launch_logcumsumexp_cuda_kernelERKNSD_10TensorBaseESH_lENKUlvE_clEvENKUlvE4_clEvEUlS6_S6_E_S6_EEDaPvRmT3_T4_T5_mT6_P12ihipStream_tbENKUlT_T0_E_clISt17integral_constantIbLb1EESY_EEDaST_SU_EUlST_E0_NS1_11comp_targetILNS1_3genE9ELNS1_11target_archE1100ELNS1_3gpuE3ELNS1_3repE0EEENS1_30default_config_static_selectorELNS0_4arch9wavefront6targetE0EEEvT1_ ; -- Begin function _ZN7rocprim17ROCPRIM_400000_NS6detail17trampoline_kernelINS0_14default_configENS1_20scan_config_selectorIN3c108BFloat16EEEZZNS1_9scan_implILNS1_25lookback_scan_determinismE0ELb0ELb0ES3_PKS6_PS6_S6_ZZZN2at6native31launch_logcumsumexp_cuda_kernelERKNSD_10TensorBaseESH_lENKUlvE_clEvENKUlvE4_clEvEUlS6_S6_E_S6_EEDaPvRmT3_T4_T5_mT6_P12ihipStream_tbENKUlT_T0_E_clISt17integral_constantIbLb1EESY_EEDaST_SU_EUlST_E0_NS1_11comp_targetILNS1_3genE9ELNS1_11target_archE1100ELNS1_3gpuE3ELNS1_3repE0EEENS1_30default_config_static_selectorELNS0_4arch9wavefront6targetE0EEEvT1_
	.p2align	8
	.type	_ZN7rocprim17ROCPRIM_400000_NS6detail17trampoline_kernelINS0_14default_configENS1_20scan_config_selectorIN3c108BFloat16EEEZZNS1_9scan_implILNS1_25lookback_scan_determinismE0ELb0ELb0ES3_PKS6_PS6_S6_ZZZN2at6native31launch_logcumsumexp_cuda_kernelERKNSD_10TensorBaseESH_lENKUlvE_clEvENKUlvE4_clEvEUlS6_S6_E_S6_EEDaPvRmT3_T4_T5_mT6_P12ihipStream_tbENKUlT_T0_E_clISt17integral_constantIbLb1EESY_EEDaST_SU_EUlST_E0_NS1_11comp_targetILNS1_3genE9ELNS1_11target_archE1100ELNS1_3gpuE3ELNS1_3repE0EEENS1_30default_config_static_selectorELNS0_4arch9wavefront6targetE0EEEvT1_,@function
_ZN7rocprim17ROCPRIM_400000_NS6detail17trampoline_kernelINS0_14default_configENS1_20scan_config_selectorIN3c108BFloat16EEEZZNS1_9scan_implILNS1_25lookback_scan_determinismE0ELb0ELb0ES3_PKS6_PS6_S6_ZZZN2at6native31launch_logcumsumexp_cuda_kernelERKNSD_10TensorBaseESH_lENKUlvE_clEvENKUlvE4_clEvEUlS6_S6_E_S6_EEDaPvRmT3_T4_T5_mT6_P12ihipStream_tbENKUlT_T0_E_clISt17integral_constantIbLb1EESY_EEDaST_SU_EUlST_E0_NS1_11comp_targetILNS1_3genE9ELNS1_11target_archE1100ELNS1_3gpuE3ELNS1_3repE0EEENS1_30default_config_static_selectorELNS0_4arch9wavefront6targetE0EEEvT1_: ; @_ZN7rocprim17ROCPRIM_400000_NS6detail17trampoline_kernelINS0_14default_configENS1_20scan_config_selectorIN3c108BFloat16EEEZZNS1_9scan_implILNS1_25lookback_scan_determinismE0ELb0ELb0ES3_PKS6_PS6_S6_ZZZN2at6native31launch_logcumsumexp_cuda_kernelERKNSD_10TensorBaseESH_lENKUlvE_clEvENKUlvE4_clEvEUlS6_S6_E_S6_EEDaPvRmT3_T4_T5_mT6_P12ihipStream_tbENKUlT_T0_E_clISt17integral_constantIbLb1EESY_EEDaST_SU_EUlST_E0_NS1_11comp_targetILNS1_3genE9ELNS1_11target_archE1100ELNS1_3gpuE3ELNS1_3repE0EEENS1_30default_config_static_selectorELNS0_4arch9wavefront6targetE0EEEvT1_
; %bb.0:
	s_load_b128 s[24:27], s[0:1], 0x0
	v_dual_mov_b32 v1, 0 :: v_dual_lshlrev_b32 v12, 1, v0
	s_waitcnt lgkmcnt(0)
	global_load_u16 v2, v1, s[24:25]
	v_cmp_gt_u32_e32 vcc_lo, s26, v0
	s_waitcnt vmcnt(0)
	v_mov_b32_e32 v3, v2
	s_and_saveexec_b32 s2, vcc_lo
	s_cbranch_execz .LBB491_2
; %bb.1:
	global_load_u16 v3, v12, s[24:25]
.LBB491_2:
	s_or_b32 exec_lo, exec_lo, s2
	v_or_b32_e32 v1, 64, v0
	v_mov_b32_e32 v4, v2
	s_delay_alu instid0(VALU_DEP_2) | instskip(NEXT) | instid1(VALU_DEP_1)
	v_cmp_gt_u32_e64 s2, s26, v1
	s_and_saveexec_b32 s3, s2
	s_cbranch_execz .LBB491_4
; %bb.3:
	global_load_u16 v4, v12, s[24:25] offset:128
.LBB491_4:
	s_or_b32 exec_lo, exec_lo, s3
	v_or_b32_e32 v1, 0x80, v0
	v_mov_b32_e32 v5, v2
	s_delay_alu instid0(VALU_DEP_2) | instskip(NEXT) | instid1(VALU_DEP_1)
	v_cmp_gt_u32_e64 s3, s26, v1
	s_and_saveexec_b32 s4, s3
	s_cbranch_execz .LBB491_6
; %bb.5:
	global_load_u16 v5, v12, s[24:25] offset:256
.LBB491_6:
	;; [unrolled: 10-line block ×20, first 2 shown]
	s_or_b32 exec_lo, exec_lo, s22
	v_or_b32_e32 v1, 0x540, v0
	s_delay_alu instid0(VALU_DEP_1) | instskip(SKIP_1) | instid1(VALU_DEP_1)
	v_cmp_gt_u32_e64 s22, s26, v1
	v_cmp_le_u32_e64 s23, s26, v1
	s_and_saveexec_b32 s26, s23
	s_delay_alu instid0(SALU_CYCLE_1)
	s_xor_b32 s23, exec_lo, s26
; %bb.43:
	v_mov_b32_e32 v1, 0
; %bb.44:
	s_and_not1_saveexec_b32 s23, s23
	s_cbranch_execz .LBB491_46
; %bb.45:
	global_load_u16 v2, v12, s[24:25] offset:2688
	v_mov_b32_e32 v1, 0
.LBB491_46:
	s_or_b32 exec_lo, exec_lo, s23
	s_waitcnt vmcnt(0)
	ds_store_b16 v12, v3
	ds_store_b16 v12, v4 offset:128
	ds_store_b16 v12, v5 offset:256
	;; [unrolled: 1-line block ×15, first 2 shown]
	v_mad_u32_u24 v14, v0, 42, v12
	ds_store_b16 v12, v20 offset:2048
	ds_store_b16 v12, v21 offset:2176
	;; [unrolled: 1-line block ×6, first 2 shown]
	s_waitcnt lgkmcnt(0)
	s_barrier
	buffer_gl0_inv
	ds_load_2addr_b32 v[2:3], v14 offset1:1
	ds_load_2addr_b32 v[10:11], v14 offset0:2 offset1:3
	ds_load_2addr_b32 v[8:9], v14 offset0:4 offset1:5
	;; [unrolled: 1-line block ×4, first 2 shown]
	ds_load_b32 v42, v14 offset:40
	s_waitcnt lgkmcnt(0)
	s_barrier
	buffer_gl0_inv
	v_lshlrev_b32_e32 v46, 16, v2
	s_delay_alu instid0(VALU_DEP_1) | instskip(SKIP_1) | instid1(VALU_DEP_1)
	v_max_f32_e32 v49, v46, v46
	v_and_b32_e32 v13, 0xffff0000, v2
	v_max_f32_e32 v17, v13, v13
	v_cmp_u_f32_e64 s45, v46, v46
	s_delay_alu instid0(VALU_DEP_2) | instskip(SKIP_2) | instid1(VALU_DEP_3)
	v_max_f32_e32 v48, v49, v17
	v_min_f32_e32 v47, v49, v17
	v_cmp_u_f32_e64 s23, v13, v13
	v_cndmask_b32_e64 v15, v48, v46, s45
	s_delay_alu instid0(VALU_DEP_3) | instskip(NEXT) | instid1(VALU_DEP_1)
	v_cndmask_b32_e64 v14, v47, v46, s45
	v_cndmask_b32_e64 v16, v14, v13, s23
	s_delay_alu instid0(VALU_DEP_3) | instskip(SKIP_1) | instid1(VALU_DEP_3)
	v_cndmask_b32_e64 v14, v15, v13, s23
	v_mov_b32_e32 v15, v46
	v_cmp_class_f32_e64 s25, v16, 0x1f8
	s_delay_alu instid0(VALU_DEP_3) | instskip(NEXT) | instid1(VALU_DEP_1)
	v_cmp_neq_f32_e64 s24, v16, v14
	s_or_b32 s24, s24, s25
	s_delay_alu instid0(SALU_CYCLE_1)
	s_and_saveexec_b32 s25, s24
	s_cbranch_execz .LBB491_48
; %bb.47:
	v_sub_f32_e32 v15, v16, v14
	s_delay_alu instid0(VALU_DEP_1) | instskip(SKIP_1) | instid1(VALU_DEP_2)
	v_mul_f32_e32 v16, 0x3fb8aa3b, v15
	v_cmp_ngt_f32_e64 s24, 0xc2ce8ed0, v15
	v_fma_f32 v18, 0x3fb8aa3b, v15, -v16
	v_rndne_f32_e32 v19, v16
	s_delay_alu instid0(VALU_DEP_2) | instskip(NEXT) | instid1(VALU_DEP_2)
	v_fmamk_f32 v18, v15, 0x32a5705f, v18
	v_sub_f32_e32 v16, v16, v19
	s_delay_alu instid0(VALU_DEP_1) | instskip(SKIP_1) | instid1(VALU_DEP_2)
	v_add_f32_e32 v16, v16, v18
	v_cvt_i32_f32_e32 v18, v19
	v_exp_f32_e32 v16, v16
	s_waitcnt_depctr 0xfff
	v_ldexp_f32 v16, v16, v18
	s_delay_alu instid0(VALU_DEP_1) | instskip(SKIP_1) | instid1(VALU_DEP_1)
	v_cndmask_b32_e64 v16, 0, v16, s24
	v_cmp_nlt_f32_e64 s24, 0x42b17218, v15
	v_cndmask_b32_e64 v18, 0x7f800000, v16, s24
	s_delay_alu instid0(VALU_DEP_1) | instskip(SKIP_1) | instid1(VALU_DEP_2)
	v_add_f32_e32 v19, 1.0, v18
	v_cmp_gt_f32_e64 s26, 0x33800000, |v18|
	v_cvt_f64_f32_e32 v[15:16], v19
	s_delay_alu instid0(VALU_DEP_1) | instskip(SKIP_1) | instid1(VALU_DEP_1)
	v_frexp_exp_i32_f64_e32 v15, v[15:16]
	v_frexp_mant_f32_e32 v16, v19
	v_cmp_gt_f32_e64 s24, 0x3f2aaaab, v16
	v_add_f32_e32 v16, -1.0, v19
	s_delay_alu instid0(VALU_DEP_1) | instskip(NEXT) | instid1(VALU_DEP_1)
	v_sub_f32_e32 v21, v16, v19
	v_add_f32_e32 v21, 1.0, v21
	s_delay_alu instid0(VALU_DEP_4) | instskip(SKIP_1) | instid1(VALU_DEP_1)
	v_subrev_co_ci_u32_e64 v15, s24, 0, v15, s24
	s_mov_b32 s24, 0x3e9b6dac
	v_sub_nc_u32_e32 v20, 0, v15
	v_cvt_f32_i32_e32 v15, v15
	s_delay_alu instid0(VALU_DEP_2) | instskip(NEXT) | instid1(VALU_DEP_1)
	v_ldexp_f32 v19, v19, v20
	v_add_f32_e32 v22, 1.0, v19
	v_sub_f32_e32 v16, v18, v16
	s_delay_alu instid0(VALU_DEP_1) | instskip(NEXT) | instid1(VALU_DEP_1)
	v_add_f32_e32 v16, v16, v21
	v_ldexp_f32 v16, v16, v20
	v_add_f32_e32 v20, -1.0, v19
	s_delay_alu instid0(VALU_DEP_1) | instskip(SKIP_1) | instid1(VALU_DEP_1)
	v_add_f32_e32 v23, 1.0, v20
	v_add_f32_e32 v21, -1.0, v22
	v_sub_f32_e32 v21, v19, v21
	s_delay_alu instid0(VALU_DEP_3) | instskip(NEXT) | instid1(VALU_DEP_2)
	v_sub_f32_e32 v19, v19, v23
	v_add_f32_e32 v21, v16, v21
	s_delay_alu instid0(VALU_DEP_1) | instskip(NEXT) | instid1(VALU_DEP_1)
	v_dual_add_f32 v16, v16, v19 :: v_dual_add_f32 v23, v22, v21
	v_rcp_f32_e32 v19, v23
	v_sub_f32_e32 v22, v22, v23
	s_delay_alu instid0(VALU_DEP_1) | instskip(NEXT) | instid1(VALU_DEP_1)
	v_dual_add_f32 v24, v20, v16 :: v_dual_add_f32 v21, v21, v22
	v_sub_f32_e32 v20, v20, v24
	s_waitcnt_depctr 0xfff
	v_mul_f32_e32 v25, v24, v19
	v_add_f32_e32 v16, v16, v20
	s_delay_alu instid0(VALU_DEP_2) | instskip(NEXT) | instid1(VALU_DEP_1)
	v_mul_f32_e32 v26, v23, v25
	v_fma_f32 v22, v25, v23, -v26
	s_delay_alu instid0(VALU_DEP_1) | instskip(NEXT) | instid1(VALU_DEP_1)
	v_fmac_f32_e32 v22, v25, v21
	v_add_f32_e32 v27, v26, v22
	s_delay_alu instid0(VALU_DEP_1) | instskip(SKIP_1) | instid1(VALU_DEP_2)
	v_sub_f32_e32 v28, v24, v27
	v_sub_f32_e32 v20, v27, v26
	;; [unrolled: 1-line block ×3, first 2 shown]
	s_delay_alu instid0(VALU_DEP_2) | instskip(NEXT) | instid1(VALU_DEP_2)
	v_sub_f32_e32 v20, v20, v22
	v_sub_f32_e32 v24, v24, v27
	s_delay_alu instid0(VALU_DEP_1) | instskip(NEXT) | instid1(VALU_DEP_1)
	v_add_f32_e32 v16, v16, v24
	v_add_f32_e32 v16, v20, v16
	s_delay_alu instid0(VALU_DEP_1) | instskip(NEXT) | instid1(VALU_DEP_1)
	v_add_f32_e32 v20, v28, v16
	v_mul_f32_e32 v22, v19, v20
	s_delay_alu instid0(VALU_DEP_1) | instskip(NEXT) | instid1(VALU_DEP_1)
	v_mul_f32_e32 v24, v23, v22
	v_fma_f32 v23, v22, v23, -v24
	s_delay_alu instid0(VALU_DEP_1) | instskip(SKIP_1) | instid1(VALU_DEP_2)
	v_fmac_f32_e32 v23, v22, v21
	v_sub_f32_e32 v27, v28, v20
	v_add_f32_e32 v21, v24, v23
	s_delay_alu instid0(VALU_DEP_2) | instskip(NEXT) | instid1(VALU_DEP_2)
	v_add_f32_e32 v16, v16, v27
	v_sub_f32_e32 v26, v20, v21
	v_sub_f32_e32 v24, v21, v24
	s_delay_alu instid0(VALU_DEP_2) | instskip(NEXT) | instid1(VALU_DEP_1)
	v_sub_f32_e32 v20, v20, v26
	v_sub_f32_e32 v20, v20, v21
	s_delay_alu instid0(VALU_DEP_3) | instskip(NEXT) | instid1(VALU_DEP_2)
	v_sub_f32_e32 v21, v24, v23
	v_add_f32_e32 v16, v16, v20
	v_add_f32_e32 v20, v25, v22
	s_delay_alu instid0(VALU_DEP_1) | instskip(NEXT) | instid1(VALU_DEP_1)
	v_dual_add_f32 v16, v21, v16 :: v_dual_sub_f32 v21, v20, v25
	v_add_f32_e32 v16, v26, v16
	s_delay_alu instid0(VALU_DEP_1) | instskip(NEXT) | instid1(VALU_DEP_1)
	v_dual_sub_f32 v21, v22, v21 :: v_dual_mul_f32 v16, v19, v16
	v_add_f32_e32 v16, v21, v16
	s_delay_alu instid0(VALU_DEP_1) | instskip(NEXT) | instid1(VALU_DEP_1)
	v_add_f32_e32 v19, v20, v16
	v_mul_f32_e32 v21, v19, v19
	s_delay_alu instid0(VALU_DEP_1) | instskip(SKIP_2) | instid1(VALU_DEP_3)
	v_fmaak_f32 v22, s24, v21, 0x3ecc95a3
	v_mul_f32_e32 v23, v19, v21
	v_cmp_eq_f32_e64 s24, 0x7f800000, v18
	v_fmaak_f32 v21, v21, v22, 0x3f2aaada
	v_ldexp_f32 v22, v19, 1
	v_sub_f32_e32 v19, v19, v20
	s_delay_alu instid0(VALU_DEP_4) | instskip(NEXT) | instid1(VALU_DEP_3)
	s_or_b32 s24, s24, s26
	v_mul_f32_e32 v21, v23, v21
	v_mul_f32_e32 v23, 0x3f317218, v15
	s_delay_alu instid0(VALU_DEP_3) | instskip(NEXT) | instid1(VALU_DEP_3)
	v_sub_f32_e32 v16, v16, v19
	v_add_f32_e32 v20, v22, v21
	s_delay_alu instid0(VALU_DEP_2) | instskip(NEXT) | instid1(VALU_DEP_2)
	v_ldexp_f32 v16, v16, 1
	v_sub_f32_e32 v19, v20, v22
	v_fma_f32 v22, 0x3f317218, v15, -v23
	s_delay_alu instid0(VALU_DEP_2) | instskip(NEXT) | instid1(VALU_DEP_1)
	v_sub_f32_e32 v19, v21, v19
	v_dual_fmamk_f32 v15, v15, 0xb102e308, v22 :: v_dual_add_f32 v16, v16, v19
	s_delay_alu instid0(VALU_DEP_1) | instskip(NEXT) | instid1(VALU_DEP_2)
	v_add_f32_e32 v19, v23, v15
	v_add_f32_e32 v21, v20, v16
	s_delay_alu instid0(VALU_DEP_2) | instskip(NEXT) | instid1(VALU_DEP_2)
	v_sub_f32_e32 v23, v19, v23
	v_add_f32_e32 v22, v19, v21
	s_delay_alu instid0(VALU_DEP_2) | instskip(NEXT) | instid1(VALU_DEP_2)
	v_dual_sub_f32 v20, v21, v20 :: v_dual_sub_f32 v15, v15, v23
	v_sub_f32_e32 v24, v22, v19
	s_delay_alu instid0(VALU_DEP_2) | instskip(NEXT) | instid1(VALU_DEP_2)
	v_sub_f32_e32 v16, v16, v20
	v_sub_f32_e32 v25, v22, v24
	;; [unrolled: 1-line block ×3, first 2 shown]
	s_delay_alu instid0(VALU_DEP_3) | instskip(NEXT) | instid1(VALU_DEP_3)
	v_add_f32_e32 v21, v15, v16
	v_sub_f32_e32 v19, v19, v25
	s_delay_alu instid0(VALU_DEP_1) | instskip(NEXT) | instid1(VALU_DEP_3)
	v_add_f32_e32 v19, v20, v19
	v_sub_f32_e32 v20, v21, v15
	s_delay_alu instid0(VALU_DEP_2) | instskip(NEXT) | instid1(VALU_DEP_2)
	v_add_f32_e32 v19, v21, v19
	v_sub_f32_e32 v21, v21, v20
	s_delay_alu instid0(VALU_DEP_1) | instskip(NEXT) | instid1(VALU_DEP_1)
	v_dual_sub_f32 v16, v16, v20 :: v_dual_sub_f32 v15, v15, v21
	v_add_f32_e32 v15, v16, v15
	s_delay_alu instid0(VALU_DEP_4) | instskip(NEXT) | instid1(VALU_DEP_1)
	v_add_f32_e32 v23, v22, v19
	v_sub_f32_e32 v20, v23, v22
	s_delay_alu instid0(VALU_DEP_1) | instskip(NEXT) | instid1(VALU_DEP_1)
	v_sub_f32_e32 v16, v19, v20
	v_add_f32_e32 v15, v15, v16
	s_delay_alu instid0(VALU_DEP_1) | instskip(NEXT) | instid1(VALU_DEP_1)
	v_add_f32_e32 v15, v23, v15
	v_cndmask_b32_e64 v15, v15, v18, s24
	s_delay_alu instid0(VALU_DEP_1)
	v_add_f32_e32 v15, v14, v15
.LBB491_48:
	s_or_b32 exec_lo, exec_lo, s25
	s_delay_alu instid0(VALU_DEP_1) | instskip(SKIP_1) | instid1(VALU_DEP_2)
	v_bfe_u32 v14, v15, 16, 1
	v_cmp_o_f32_e64 s24, v15, v15
	v_add3_u32 v14, v15, v14, 0x7fff
	s_delay_alu instid0(VALU_DEP_1) | instskip(NEXT) | instid1(VALU_DEP_1)
	v_and_b32_e32 v16, 0xffff0000, v14
	v_cndmask_b32_e64 v18, 0x7fc00000, v16, s24
	s_delay_alu instid0(VALU_DEP_1) | instskip(NEXT) | instid1(VALU_DEP_1)
	v_dual_max_f32 v15, v18, v18 :: v_dual_lshlrev_b32 v14, 16, v3
	v_max_f32_e32 v16, v14, v14
	v_cmp_u_f32_e64 s24, v18, v18
	s_delay_alu instid0(VALU_DEP_2) | instskip(SKIP_1) | instid1(VALU_DEP_2)
	v_min_f32_e32 v19, v15, v16
	v_max_f32_e32 v15, v15, v16
	v_cndmask_b32_e64 v19, v19, v18, s24
	s_delay_alu instid0(VALU_DEP_2) | instskip(SKIP_1) | instid1(VALU_DEP_1)
	v_cndmask_b32_e64 v15, v15, v18, s24
	v_cmp_u_f32_e64 s24, v14, v14
	v_cndmask_b32_e64 v19, v19, v14, s24
	s_delay_alu instid0(VALU_DEP_3) | instskip(NEXT) | instid1(VALU_DEP_2)
	v_cndmask_b32_e64 v15, v15, v14, s24
	v_cmp_class_f32_e64 s26, v19, 0x1f8
	s_delay_alu instid0(VALU_DEP_2) | instskip(NEXT) | instid1(VALU_DEP_1)
	v_cmp_neq_f32_e64 s25, v19, v15
	s_or_b32 s25, s25, s26
	s_delay_alu instid0(SALU_CYCLE_1)
	s_and_saveexec_b32 s26, s25
	s_cbranch_execz .LBB491_50
; %bb.49:
	v_sub_f32_e32 v18, v19, v15
	s_delay_alu instid0(VALU_DEP_1) | instskip(SKIP_1) | instid1(VALU_DEP_2)
	v_mul_f32_e32 v19, 0x3fb8aa3b, v18
	v_cmp_ngt_f32_e64 s25, 0xc2ce8ed0, v18
	v_fma_f32 v20, 0x3fb8aa3b, v18, -v19
	v_rndne_f32_e32 v21, v19
	s_delay_alu instid0(VALU_DEP_1) | instskip(NEXT) | instid1(VALU_DEP_1)
	v_dual_fmamk_f32 v20, v18, 0x32a5705f, v20 :: v_dual_sub_f32 v19, v19, v21
	v_add_f32_e32 v19, v19, v20
	v_cvt_i32_f32_e32 v20, v21
	s_delay_alu instid0(VALU_DEP_2) | instskip(SKIP_2) | instid1(VALU_DEP_1)
	v_exp_f32_e32 v19, v19
	s_waitcnt_depctr 0xfff
	v_ldexp_f32 v19, v19, v20
	v_cndmask_b32_e64 v19, 0, v19, s25
	v_cmp_nlt_f32_e64 s25, 0x42b17218, v18
	s_delay_alu instid0(VALU_DEP_1) | instskip(NEXT) | instid1(VALU_DEP_1)
	v_cndmask_b32_e64 v20, 0x7f800000, v19, s25
	v_add_f32_e32 v21, 1.0, v20
	v_cmp_gt_f32_e64 s27, 0x33800000, |v20|
	s_delay_alu instid0(VALU_DEP_2) | instskip(NEXT) | instid1(VALU_DEP_1)
	v_cvt_f64_f32_e32 v[18:19], v21
	v_frexp_exp_i32_f64_e32 v18, v[18:19]
	v_frexp_mant_f32_e32 v19, v21
	s_delay_alu instid0(VALU_DEP_1) | instskip(SKIP_1) | instid1(VALU_DEP_1)
	v_cmp_gt_f32_e64 s25, 0x3f2aaaab, v19
	v_add_f32_e32 v19, -1.0, v21
	v_sub_f32_e32 v23, v19, v21
	v_sub_f32_e32 v19, v20, v19
	s_delay_alu instid0(VALU_DEP_4) | instskip(SKIP_1) | instid1(VALU_DEP_1)
	v_subrev_co_ci_u32_e64 v18, s25, 0, v18, s25
	s_mov_b32 s25, 0x3e9b6dac
	v_sub_nc_u32_e32 v22, 0, v18
	v_cvt_f32_i32_e32 v18, v18
	s_delay_alu instid0(VALU_DEP_2) | instskip(NEXT) | instid1(VALU_DEP_1)
	v_ldexp_f32 v21, v21, v22
	v_dual_add_f32 v24, 1.0, v21 :: v_dual_add_f32 v23, 1.0, v23
	s_delay_alu instid0(VALU_DEP_1) | instskip(NEXT) | instid1(VALU_DEP_2)
	v_add_f32_e32 v19, v19, v23
	v_add_f32_e32 v23, -1.0, v24
	s_delay_alu instid0(VALU_DEP_2) | instskip(NEXT) | instid1(VALU_DEP_2)
	v_ldexp_f32 v19, v19, v22
	v_dual_add_f32 v22, -1.0, v21 :: v_dual_sub_f32 v23, v21, v23
	s_delay_alu instid0(VALU_DEP_1) | instskip(NEXT) | instid1(VALU_DEP_2)
	v_add_f32_e32 v25, 1.0, v22
	v_add_f32_e32 v23, v19, v23
	s_delay_alu instid0(VALU_DEP_2) | instskip(NEXT) | instid1(VALU_DEP_2)
	v_sub_f32_e32 v21, v21, v25
	v_add_f32_e32 v25, v24, v23
	s_delay_alu instid0(VALU_DEP_2) | instskip(NEXT) | instid1(VALU_DEP_2)
	v_add_f32_e32 v19, v19, v21
	v_rcp_f32_e32 v21, v25
	v_sub_f32_e32 v24, v24, v25
	s_delay_alu instid0(VALU_DEP_1) | instskip(NEXT) | instid1(VALU_DEP_1)
	v_dual_add_f32 v26, v22, v19 :: v_dual_add_f32 v23, v23, v24
	v_sub_f32_e32 v22, v22, v26
	s_waitcnt_depctr 0xfff
	v_mul_f32_e32 v27, v26, v21
	s_delay_alu instid0(VALU_DEP_1) | instskip(NEXT) | instid1(VALU_DEP_1)
	v_dual_add_f32 v19, v19, v22 :: v_dual_mul_f32 v28, v25, v27
	v_fma_f32 v24, v27, v25, -v28
	s_delay_alu instid0(VALU_DEP_1) | instskip(NEXT) | instid1(VALU_DEP_1)
	v_fmac_f32_e32 v24, v27, v23
	v_add_f32_e32 v29, v28, v24
	s_delay_alu instid0(VALU_DEP_1) | instskip(SKIP_1) | instid1(VALU_DEP_2)
	v_sub_f32_e32 v30, v26, v29
	v_sub_f32_e32 v22, v29, v28
	;; [unrolled: 1-line block ×3, first 2 shown]
	s_delay_alu instid0(VALU_DEP_2) | instskip(NEXT) | instid1(VALU_DEP_2)
	v_sub_f32_e32 v22, v22, v24
	v_sub_f32_e32 v26, v26, v29
	s_delay_alu instid0(VALU_DEP_1) | instskip(NEXT) | instid1(VALU_DEP_1)
	v_add_f32_e32 v19, v19, v26
	v_add_f32_e32 v19, v22, v19
	s_delay_alu instid0(VALU_DEP_1) | instskip(NEXT) | instid1(VALU_DEP_1)
	v_add_f32_e32 v22, v30, v19
	v_mul_f32_e32 v24, v21, v22
	s_delay_alu instid0(VALU_DEP_1) | instskip(NEXT) | instid1(VALU_DEP_1)
	v_dual_sub_f32 v29, v30, v22 :: v_dual_mul_f32 v26, v25, v24
	v_add_f32_e32 v19, v19, v29
	s_delay_alu instid0(VALU_DEP_2) | instskip(NEXT) | instid1(VALU_DEP_1)
	v_fma_f32 v25, v24, v25, -v26
	v_fmac_f32_e32 v25, v24, v23
	s_delay_alu instid0(VALU_DEP_1) | instskip(NEXT) | instid1(VALU_DEP_1)
	v_add_f32_e32 v23, v26, v25
	v_sub_f32_e32 v28, v22, v23
	v_sub_f32_e32 v26, v23, v26
	s_delay_alu instid0(VALU_DEP_2) | instskip(NEXT) | instid1(VALU_DEP_1)
	v_sub_f32_e32 v22, v22, v28
	v_sub_f32_e32 v22, v22, v23
	s_delay_alu instid0(VALU_DEP_3) | instskip(NEXT) | instid1(VALU_DEP_2)
	v_sub_f32_e32 v23, v26, v25
	v_add_f32_e32 v19, v19, v22
	v_add_f32_e32 v22, v27, v24
	s_delay_alu instid0(VALU_DEP_2) | instskip(NEXT) | instid1(VALU_DEP_2)
	v_add_f32_e32 v19, v23, v19
	v_sub_f32_e32 v23, v22, v27
	s_delay_alu instid0(VALU_DEP_2) | instskip(NEXT) | instid1(VALU_DEP_2)
	v_add_f32_e32 v19, v28, v19
	v_sub_f32_e32 v23, v24, v23
	s_delay_alu instid0(VALU_DEP_2) | instskip(NEXT) | instid1(VALU_DEP_1)
	v_mul_f32_e32 v19, v21, v19
	v_add_f32_e32 v19, v23, v19
	s_delay_alu instid0(VALU_DEP_1) | instskip(NEXT) | instid1(VALU_DEP_1)
	v_add_f32_e32 v21, v22, v19
	v_mul_f32_e32 v23, v21, v21
	s_delay_alu instid0(VALU_DEP_1) | instskip(SKIP_2) | instid1(VALU_DEP_3)
	v_fmaak_f32 v24, s25, v23, 0x3ecc95a3
	v_mul_f32_e32 v25, v21, v23
	v_cmp_eq_f32_e64 s25, 0x7f800000, v20
	v_fmaak_f32 v23, v23, v24, 0x3f2aaada
	v_ldexp_f32 v24, v21, 1
	v_sub_f32_e32 v21, v21, v22
	s_delay_alu instid0(VALU_DEP_4) | instskip(NEXT) | instid1(VALU_DEP_3)
	s_or_b32 s25, s25, s27
	v_mul_f32_e32 v23, v25, v23
	v_mul_f32_e32 v25, 0x3f317218, v18
	s_delay_alu instid0(VALU_DEP_2) | instskip(NEXT) | instid1(VALU_DEP_1)
	v_dual_sub_f32 v19, v19, v21 :: v_dual_add_f32 v22, v24, v23
	v_ldexp_f32 v19, v19, 1
	s_delay_alu instid0(VALU_DEP_2) | instskip(NEXT) | instid1(VALU_DEP_4)
	v_sub_f32_e32 v21, v22, v24
	v_fma_f32 v24, 0x3f317218, v18, -v25
	s_delay_alu instid0(VALU_DEP_1) | instskip(NEXT) | instid1(VALU_DEP_1)
	v_dual_sub_f32 v21, v23, v21 :: v_dual_fmamk_f32 v18, v18, 0xb102e308, v24
	v_add_f32_e32 v19, v19, v21
	s_delay_alu instid0(VALU_DEP_2) | instskip(NEXT) | instid1(VALU_DEP_2)
	v_add_f32_e32 v21, v25, v18
	v_add_f32_e32 v23, v22, v19
	s_delay_alu instid0(VALU_DEP_2) | instskip(NEXT) | instid1(VALU_DEP_2)
	v_sub_f32_e32 v25, v21, v25
	v_add_f32_e32 v24, v21, v23
	v_sub_f32_e32 v22, v23, v22
	s_delay_alu instid0(VALU_DEP_3) | instskip(NEXT) | instid1(VALU_DEP_2)
	v_sub_f32_e32 v18, v18, v25
	v_dual_sub_f32 v26, v24, v21 :: v_dual_sub_f32 v19, v19, v22
	s_delay_alu instid0(VALU_DEP_1) | instskip(NEXT) | instid1(VALU_DEP_2)
	v_sub_f32_e32 v27, v24, v26
	v_dual_sub_f32 v22, v23, v26 :: v_dual_add_f32 v23, v18, v19
	s_delay_alu instid0(VALU_DEP_2) | instskip(NEXT) | instid1(VALU_DEP_1)
	v_sub_f32_e32 v21, v21, v27
	v_dual_add_f32 v21, v22, v21 :: v_dual_sub_f32 v22, v23, v18
	s_delay_alu instid0(VALU_DEP_1) | instskip(NEXT) | instid1(VALU_DEP_2)
	v_add_f32_e32 v21, v23, v21
	v_sub_f32_e32 v23, v23, v22
	v_sub_f32_e32 v19, v19, v22
	s_delay_alu instid0(VALU_DEP_2) | instskip(NEXT) | instid1(VALU_DEP_1)
	v_dual_add_f32 v25, v24, v21 :: v_dual_sub_f32 v18, v18, v23
	v_sub_f32_e32 v22, v25, v24
	s_delay_alu instid0(VALU_DEP_2) | instskip(NEXT) | instid1(VALU_DEP_2)
	v_add_f32_e32 v18, v19, v18
	v_sub_f32_e32 v19, v21, v22
	s_delay_alu instid0(VALU_DEP_1) | instskip(NEXT) | instid1(VALU_DEP_1)
	v_add_f32_e32 v18, v18, v19
	v_add_f32_e32 v18, v25, v18
	s_delay_alu instid0(VALU_DEP_1) | instskip(NEXT) | instid1(VALU_DEP_1)
	v_cndmask_b32_e64 v18, v18, v20, s25
	v_add_f32_e32 v18, v15, v18
.LBB491_50:
	s_or_b32 exec_lo, exec_lo, s26
	s_delay_alu instid0(VALU_DEP_1) | instskip(SKIP_1) | instid1(VALU_DEP_2)
	v_bfe_u32 v15, v18, 16, 1
	v_cmp_o_f32_e64 s25, v18, v18
	v_add3_u32 v15, v18, v15, 0x7fff
	s_delay_alu instid0(VALU_DEP_1) | instskip(NEXT) | instid1(VALU_DEP_1)
	v_and_b32_e32 v15, 0xffff0000, v15
	v_cndmask_b32_e64 v19, 0x7fc00000, v15, s25
	s_delay_alu instid0(VALU_DEP_1) | instskip(SKIP_2) | instid1(VALU_DEP_2)
	v_max_f32_e32 v15, v19, v19
	v_and_b32_e32 v3, 0xffff0000, v3
	v_cmp_u_f32_e64 s25, v19, v19
	v_max_f32_e32 v18, v3, v3
	s_delay_alu instid0(VALU_DEP_1) | instskip(SKIP_1) | instid1(VALU_DEP_2)
	v_min_f32_e32 v20, v15, v18
	v_max_f32_e32 v15, v15, v18
	v_cndmask_b32_e64 v20, v20, v19, s25
	s_delay_alu instid0(VALU_DEP_2) | instskip(SKIP_1) | instid1(VALU_DEP_1)
	v_cndmask_b32_e64 v15, v15, v19, s25
	v_cmp_u_f32_e64 s25, v3, v3
	v_cndmask_b32_e64 v20, v20, v3, s25
	s_delay_alu instid0(VALU_DEP_3) | instskip(NEXT) | instid1(VALU_DEP_2)
	v_cndmask_b32_e64 v15, v15, v3, s25
	v_cmp_class_f32_e64 s27, v20, 0x1f8
	s_delay_alu instid0(VALU_DEP_2) | instskip(NEXT) | instid1(VALU_DEP_1)
	v_cmp_neq_f32_e64 s26, v20, v15
	s_or_b32 s26, s26, s27
	s_delay_alu instid0(SALU_CYCLE_1)
	s_and_saveexec_b32 s27, s26
	s_cbranch_execz .LBB491_52
; %bb.51:
	v_sub_f32_e32 v19, v20, v15
	s_delay_alu instid0(VALU_DEP_1) | instskip(SKIP_1) | instid1(VALU_DEP_2)
	v_mul_f32_e32 v20, 0x3fb8aa3b, v19
	v_cmp_ngt_f32_e64 s26, 0xc2ce8ed0, v19
	v_fma_f32 v21, 0x3fb8aa3b, v19, -v20
	v_rndne_f32_e32 v22, v20
	s_delay_alu instid0(VALU_DEP_1) | instskip(NEXT) | instid1(VALU_DEP_1)
	v_dual_fmamk_f32 v21, v19, 0x32a5705f, v21 :: v_dual_sub_f32 v20, v20, v22
	v_add_f32_e32 v20, v20, v21
	v_cvt_i32_f32_e32 v21, v22
	s_delay_alu instid0(VALU_DEP_2) | instskip(SKIP_2) | instid1(VALU_DEP_1)
	v_exp_f32_e32 v20, v20
	s_waitcnt_depctr 0xfff
	v_ldexp_f32 v20, v20, v21
	v_cndmask_b32_e64 v20, 0, v20, s26
	v_cmp_nlt_f32_e64 s26, 0x42b17218, v19
	s_delay_alu instid0(VALU_DEP_1) | instskip(NEXT) | instid1(VALU_DEP_1)
	v_cndmask_b32_e64 v21, 0x7f800000, v20, s26
	v_add_f32_e32 v22, 1.0, v21
	v_cmp_gt_f32_e64 s28, 0x33800000, |v21|
	s_delay_alu instid0(VALU_DEP_2) | instskip(NEXT) | instid1(VALU_DEP_1)
	v_cvt_f64_f32_e32 v[19:20], v22
	v_frexp_exp_i32_f64_e32 v19, v[19:20]
	v_frexp_mant_f32_e32 v20, v22
	s_delay_alu instid0(VALU_DEP_1) | instskip(SKIP_1) | instid1(VALU_DEP_1)
	v_cmp_gt_f32_e64 s26, 0x3f2aaaab, v20
	v_add_f32_e32 v20, -1.0, v22
	v_sub_f32_e32 v24, v20, v22
	v_sub_f32_e32 v20, v21, v20
	s_delay_alu instid0(VALU_DEP_4) | instskip(SKIP_1) | instid1(VALU_DEP_1)
	v_subrev_co_ci_u32_e64 v19, s26, 0, v19, s26
	s_mov_b32 s26, 0x3e9b6dac
	v_sub_nc_u32_e32 v23, 0, v19
	v_cvt_f32_i32_e32 v19, v19
	s_delay_alu instid0(VALU_DEP_2) | instskip(NEXT) | instid1(VALU_DEP_1)
	v_ldexp_f32 v22, v22, v23
	v_dual_add_f32 v25, 1.0, v22 :: v_dual_add_f32 v24, 1.0, v24
	s_delay_alu instid0(VALU_DEP_1) | instskip(NEXT) | instid1(VALU_DEP_2)
	v_add_f32_e32 v20, v20, v24
	v_add_f32_e32 v24, -1.0, v25
	s_delay_alu instid0(VALU_DEP_2) | instskip(NEXT) | instid1(VALU_DEP_2)
	v_ldexp_f32 v20, v20, v23
	v_dual_add_f32 v23, -1.0, v22 :: v_dual_sub_f32 v24, v22, v24
	s_delay_alu instid0(VALU_DEP_1) | instskip(NEXT) | instid1(VALU_DEP_2)
	v_add_f32_e32 v26, 1.0, v23
	v_add_f32_e32 v24, v20, v24
	s_delay_alu instid0(VALU_DEP_2) | instskip(NEXT) | instid1(VALU_DEP_2)
	v_sub_f32_e32 v22, v22, v26
	v_add_f32_e32 v26, v25, v24
	s_delay_alu instid0(VALU_DEP_2) | instskip(NEXT) | instid1(VALU_DEP_2)
	v_add_f32_e32 v20, v20, v22
	v_rcp_f32_e32 v22, v26
	v_sub_f32_e32 v25, v25, v26
	s_delay_alu instid0(VALU_DEP_1) | instskip(NEXT) | instid1(VALU_DEP_1)
	v_dual_add_f32 v27, v23, v20 :: v_dual_add_f32 v24, v24, v25
	v_sub_f32_e32 v23, v23, v27
	s_waitcnt_depctr 0xfff
	v_mul_f32_e32 v28, v27, v22
	s_delay_alu instid0(VALU_DEP_1) | instskip(NEXT) | instid1(VALU_DEP_1)
	v_dual_add_f32 v20, v20, v23 :: v_dual_mul_f32 v29, v26, v28
	v_fma_f32 v25, v28, v26, -v29
	s_delay_alu instid0(VALU_DEP_1) | instskip(NEXT) | instid1(VALU_DEP_1)
	v_fmac_f32_e32 v25, v28, v24
	v_add_f32_e32 v30, v29, v25
	s_delay_alu instid0(VALU_DEP_1) | instskip(SKIP_1) | instid1(VALU_DEP_2)
	v_sub_f32_e32 v31, v27, v30
	v_sub_f32_e32 v23, v30, v29
	;; [unrolled: 1-line block ×3, first 2 shown]
	s_delay_alu instid0(VALU_DEP_2) | instskip(NEXT) | instid1(VALU_DEP_2)
	v_sub_f32_e32 v23, v23, v25
	v_sub_f32_e32 v27, v27, v30
	s_delay_alu instid0(VALU_DEP_1) | instskip(NEXT) | instid1(VALU_DEP_1)
	v_add_f32_e32 v20, v20, v27
	v_add_f32_e32 v20, v23, v20
	s_delay_alu instid0(VALU_DEP_1) | instskip(NEXT) | instid1(VALU_DEP_1)
	v_add_f32_e32 v23, v31, v20
	v_mul_f32_e32 v25, v22, v23
	s_delay_alu instid0(VALU_DEP_1) | instskip(NEXT) | instid1(VALU_DEP_1)
	v_dual_sub_f32 v30, v31, v23 :: v_dual_mul_f32 v27, v26, v25
	v_add_f32_e32 v20, v20, v30
	s_delay_alu instid0(VALU_DEP_2) | instskip(NEXT) | instid1(VALU_DEP_1)
	v_fma_f32 v26, v25, v26, -v27
	v_fmac_f32_e32 v26, v25, v24
	s_delay_alu instid0(VALU_DEP_1) | instskip(NEXT) | instid1(VALU_DEP_1)
	v_add_f32_e32 v24, v27, v26
	v_sub_f32_e32 v29, v23, v24
	v_sub_f32_e32 v27, v24, v27
	s_delay_alu instid0(VALU_DEP_2) | instskip(NEXT) | instid1(VALU_DEP_1)
	v_sub_f32_e32 v23, v23, v29
	v_sub_f32_e32 v23, v23, v24
	s_delay_alu instid0(VALU_DEP_3) | instskip(NEXT) | instid1(VALU_DEP_2)
	v_sub_f32_e32 v24, v27, v26
	v_add_f32_e32 v20, v20, v23
	v_add_f32_e32 v23, v28, v25
	s_delay_alu instid0(VALU_DEP_2) | instskip(NEXT) | instid1(VALU_DEP_2)
	v_add_f32_e32 v20, v24, v20
	v_sub_f32_e32 v24, v23, v28
	s_delay_alu instid0(VALU_DEP_2) | instskip(NEXT) | instid1(VALU_DEP_2)
	v_add_f32_e32 v20, v29, v20
	v_sub_f32_e32 v24, v25, v24
	s_delay_alu instid0(VALU_DEP_2) | instskip(NEXT) | instid1(VALU_DEP_1)
	v_mul_f32_e32 v20, v22, v20
	v_add_f32_e32 v20, v24, v20
	s_delay_alu instid0(VALU_DEP_1) | instskip(NEXT) | instid1(VALU_DEP_1)
	v_add_f32_e32 v22, v23, v20
	v_mul_f32_e32 v24, v22, v22
	s_delay_alu instid0(VALU_DEP_1) | instskip(SKIP_2) | instid1(VALU_DEP_3)
	v_fmaak_f32 v25, s26, v24, 0x3ecc95a3
	v_mul_f32_e32 v26, v22, v24
	v_cmp_eq_f32_e64 s26, 0x7f800000, v21
	v_fmaak_f32 v24, v24, v25, 0x3f2aaada
	v_ldexp_f32 v25, v22, 1
	v_sub_f32_e32 v22, v22, v23
	s_delay_alu instid0(VALU_DEP_4) | instskip(NEXT) | instid1(VALU_DEP_3)
	s_or_b32 s26, s26, s28
	v_mul_f32_e32 v24, v26, v24
	v_mul_f32_e32 v26, 0x3f317218, v19
	s_delay_alu instid0(VALU_DEP_2) | instskip(NEXT) | instid1(VALU_DEP_1)
	v_dual_sub_f32 v20, v20, v22 :: v_dual_add_f32 v23, v25, v24
	v_ldexp_f32 v20, v20, 1
	s_delay_alu instid0(VALU_DEP_2) | instskip(NEXT) | instid1(VALU_DEP_4)
	v_sub_f32_e32 v22, v23, v25
	v_fma_f32 v25, 0x3f317218, v19, -v26
	s_delay_alu instid0(VALU_DEP_1) | instskip(NEXT) | instid1(VALU_DEP_1)
	v_dual_sub_f32 v22, v24, v22 :: v_dual_fmamk_f32 v19, v19, 0xb102e308, v25
	v_add_f32_e32 v20, v20, v22
	s_delay_alu instid0(VALU_DEP_2) | instskip(NEXT) | instid1(VALU_DEP_2)
	v_add_f32_e32 v22, v26, v19
	v_add_f32_e32 v24, v23, v20
	s_delay_alu instid0(VALU_DEP_2) | instskip(NEXT) | instid1(VALU_DEP_2)
	v_sub_f32_e32 v26, v22, v26
	v_add_f32_e32 v25, v22, v24
	v_sub_f32_e32 v23, v24, v23
	s_delay_alu instid0(VALU_DEP_3) | instskip(NEXT) | instid1(VALU_DEP_2)
	v_sub_f32_e32 v19, v19, v26
	v_dual_sub_f32 v27, v25, v22 :: v_dual_sub_f32 v20, v20, v23
	s_delay_alu instid0(VALU_DEP_1) | instskip(NEXT) | instid1(VALU_DEP_2)
	v_sub_f32_e32 v28, v25, v27
	v_dual_sub_f32 v23, v24, v27 :: v_dual_add_f32 v24, v19, v20
	s_delay_alu instid0(VALU_DEP_2) | instskip(NEXT) | instid1(VALU_DEP_1)
	v_sub_f32_e32 v22, v22, v28
	v_dual_add_f32 v22, v23, v22 :: v_dual_sub_f32 v23, v24, v19
	s_delay_alu instid0(VALU_DEP_1) | instskip(NEXT) | instid1(VALU_DEP_2)
	v_add_f32_e32 v22, v24, v22
	v_sub_f32_e32 v24, v24, v23
	v_sub_f32_e32 v20, v20, v23
	s_delay_alu instid0(VALU_DEP_2) | instskip(NEXT) | instid1(VALU_DEP_1)
	v_dual_add_f32 v26, v25, v22 :: v_dual_sub_f32 v19, v19, v24
	v_sub_f32_e32 v23, v26, v25
	s_delay_alu instid0(VALU_DEP_2) | instskip(NEXT) | instid1(VALU_DEP_2)
	v_add_f32_e32 v19, v20, v19
	v_sub_f32_e32 v20, v22, v23
	s_delay_alu instid0(VALU_DEP_1) | instskip(NEXT) | instid1(VALU_DEP_1)
	v_add_f32_e32 v19, v19, v20
	v_add_f32_e32 v19, v26, v19
	s_delay_alu instid0(VALU_DEP_1) | instskip(NEXT) | instid1(VALU_DEP_1)
	v_cndmask_b32_e64 v19, v19, v21, s26
	v_add_f32_e32 v19, v15, v19
.LBB491_52:
	s_or_b32 exec_lo, exec_lo, s27
	s_delay_alu instid0(VALU_DEP_1) | instskip(SKIP_1) | instid1(VALU_DEP_2)
	v_bfe_u32 v15, v19, 16, 1
	v_cmp_o_f32_e64 s26, v19, v19
	v_add3_u32 v15, v19, v15, 0x7fff
	s_delay_alu instid0(VALU_DEP_1) | instskip(NEXT) | instid1(VALU_DEP_1)
	v_and_b32_e32 v20, 0xffff0000, v15
	v_cndmask_b32_e64 v21, 0x7fc00000, v20, s26
	s_delay_alu instid0(VALU_DEP_1) | instskip(SKIP_2) | instid1(VALU_DEP_2)
	v_max_f32_e32 v19, v21, v21
	v_lshlrev_b32_e32 v15, 16, v10
	v_cmp_u_f32_e64 s26, v21, v21
	v_max_f32_e32 v20, v15, v15
	s_delay_alu instid0(VALU_DEP_1) | instskip(SKIP_1) | instid1(VALU_DEP_2)
	v_min_f32_e32 v22, v19, v20
	v_max_f32_e32 v19, v19, v20
	v_cndmask_b32_e64 v22, v22, v21, s26
	s_delay_alu instid0(VALU_DEP_2) | instskip(SKIP_1) | instid1(VALU_DEP_1)
	v_cndmask_b32_e64 v19, v19, v21, s26
	v_cmp_u_f32_e64 s26, v15, v15
	v_cndmask_b32_e64 v22, v22, v15, s26
	s_delay_alu instid0(VALU_DEP_3) | instskip(NEXT) | instid1(VALU_DEP_2)
	v_cndmask_b32_e64 v19, v19, v15, s26
	v_cmp_class_f32_e64 s28, v22, 0x1f8
	s_delay_alu instid0(VALU_DEP_2) | instskip(NEXT) | instid1(VALU_DEP_1)
	v_cmp_neq_f32_e64 s27, v22, v19
	s_or_b32 s27, s27, s28
	s_delay_alu instid0(SALU_CYCLE_1)
	s_and_saveexec_b32 s28, s27
	s_cbranch_execz .LBB491_54
; %bb.53:
	v_sub_f32_e32 v21, v22, v19
	s_delay_alu instid0(VALU_DEP_1) | instskip(SKIP_1) | instid1(VALU_DEP_2)
	v_mul_f32_e32 v22, 0x3fb8aa3b, v21
	v_cmp_ngt_f32_e64 s27, 0xc2ce8ed0, v21
	v_fma_f32 v23, 0x3fb8aa3b, v21, -v22
	v_rndne_f32_e32 v24, v22
	s_delay_alu instid0(VALU_DEP_1) | instskip(NEXT) | instid1(VALU_DEP_1)
	v_dual_fmamk_f32 v23, v21, 0x32a5705f, v23 :: v_dual_sub_f32 v22, v22, v24
	v_add_f32_e32 v22, v22, v23
	v_cvt_i32_f32_e32 v23, v24
	s_delay_alu instid0(VALU_DEP_2) | instskip(SKIP_2) | instid1(VALU_DEP_1)
	v_exp_f32_e32 v22, v22
	s_waitcnt_depctr 0xfff
	v_ldexp_f32 v22, v22, v23
	v_cndmask_b32_e64 v22, 0, v22, s27
	v_cmp_nlt_f32_e64 s27, 0x42b17218, v21
	s_delay_alu instid0(VALU_DEP_1) | instskip(NEXT) | instid1(VALU_DEP_1)
	v_cndmask_b32_e64 v23, 0x7f800000, v22, s27
	v_add_f32_e32 v24, 1.0, v23
	v_cmp_gt_f32_e64 s29, 0x33800000, |v23|
	s_delay_alu instid0(VALU_DEP_2) | instskip(NEXT) | instid1(VALU_DEP_1)
	v_cvt_f64_f32_e32 v[21:22], v24
	v_frexp_exp_i32_f64_e32 v21, v[21:22]
	v_frexp_mant_f32_e32 v22, v24
	s_delay_alu instid0(VALU_DEP_1) | instskip(SKIP_1) | instid1(VALU_DEP_1)
	v_cmp_gt_f32_e64 s27, 0x3f2aaaab, v22
	v_add_f32_e32 v22, -1.0, v24
	v_sub_f32_e32 v26, v22, v24
	v_sub_f32_e32 v22, v23, v22
	s_delay_alu instid0(VALU_DEP_4) | instskip(SKIP_1) | instid1(VALU_DEP_1)
	v_subrev_co_ci_u32_e64 v21, s27, 0, v21, s27
	s_mov_b32 s27, 0x3e9b6dac
	v_sub_nc_u32_e32 v25, 0, v21
	v_cvt_f32_i32_e32 v21, v21
	s_delay_alu instid0(VALU_DEP_2) | instskip(NEXT) | instid1(VALU_DEP_1)
	v_ldexp_f32 v24, v24, v25
	v_dual_add_f32 v27, 1.0, v24 :: v_dual_add_f32 v26, 1.0, v26
	s_delay_alu instid0(VALU_DEP_1) | instskip(NEXT) | instid1(VALU_DEP_2)
	v_add_f32_e32 v22, v22, v26
	v_add_f32_e32 v26, -1.0, v27
	s_delay_alu instid0(VALU_DEP_2) | instskip(NEXT) | instid1(VALU_DEP_2)
	v_ldexp_f32 v22, v22, v25
	v_dual_add_f32 v25, -1.0, v24 :: v_dual_sub_f32 v26, v24, v26
	s_delay_alu instid0(VALU_DEP_1) | instskip(NEXT) | instid1(VALU_DEP_2)
	v_add_f32_e32 v28, 1.0, v25
	v_add_f32_e32 v26, v22, v26
	s_delay_alu instid0(VALU_DEP_2) | instskip(NEXT) | instid1(VALU_DEP_2)
	v_sub_f32_e32 v24, v24, v28
	v_add_f32_e32 v28, v27, v26
	s_delay_alu instid0(VALU_DEP_2) | instskip(NEXT) | instid1(VALU_DEP_2)
	v_add_f32_e32 v22, v22, v24
	v_rcp_f32_e32 v24, v28
	v_sub_f32_e32 v27, v27, v28
	s_delay_alu instid0(VALU_DEP_1) | instskip(NEXT) | instid1(VALU_DEP_1)
	v_dual_add_f32 v29, v25, v22 :: v_dual_add_f32 v26, v26, v27
	v_sub_f32_e32 v25, v25, v29
	s_waitcnt_depctr 0xfff
	v_mul_f32_e32 v30, v29, v24
	s_delay_alu instid0(VALU_DEP_1) | instskip(NEXT) | instid1(VALU_DEP_1)
	v_dual_add_f32 v22, v22, v25 :: v_dual_mul_f32 v31, v28, v30
	v_fma_f32 v27, v30, v28, -v31
	s_delay_alu instid0(VALU_DEP_1) | instskip(NEXT) | instid1(VALU_DEP_1)
	v_fmac_f32_e32 v27, v30, v26
	v_add_f32_e32 v32, v31, v27
	s_delay_alu instid0(VALU_DEP_1) | instskip(SKIP_1) | instid1(VALU_DEP_2)
	v_sub_f32_e32 v33, v29, v32
	v_sub_f32_e32 v25, v32, v31
	;; [unrolled: 1-line block ×3, first 2 shown]
	s_delay_alu instid0(VALU_DEP_2) | instskip(NEXT) | instid1(VALU_DEP_2)
	v_sub_f32_e32 v25, v25, v27
	v_sub_f32_e32 v29, v29, v32
	s_delay_alu instid0(VALU_DEP_1) | instskip(NEXT) | instid1(VALU_DEP_1)
	v_add_f32_e32 v22, v22, v29
	v_add_f32_e32 v22, v25, v22
	s_delay_alu instid0(VALU_DEP_1) | instskip(NEXT) | instid1(VALU_DEP_1)
	v_add_f32_e32 v25, v33, v22
	v_mul_f32_e32 v27, v24, v25
	s_delay_alu instid0(VALU_DEP_1) | instskip(NEXT) | instid1(VALU_DEP_1)
	v_dual_sub_f32 v32, v33, v25 :: v_dual_mul_f32 v29, v28, v27
	v_add_f32_e32 v22, v22, v32
	s_delay_alu instid0(VALU_DEP_2) | instskip(NEXT) | instid1(VALU_DEP_1)
	v_fma_f32 v28, v27, v28, -v29
	v_fmac_f32_e32 v28, v27, v26
	s_delay_alu instid0(VALU_DEP_1) | instskip(NEXT) | instid1(VALU_DEP_1)
	v_add_f32_e32 v26, v29, v28
	v_sub_f32_e32 v31, v25, v26
	v_sub_f32_e32 v29, v26, v29
	s_delay_alu instid0(VALU_DEP_2) | instskip(NEXT) | instid1(VALU_DEP_1)
	v_sub_f32_e32 v25, v25, v31
	v_sub_f32_e32 v25, v25, v26
	s_delay_alu instid0(VALU_DEP_3) | instskip(NEXT) | instid1(VALU_DEP_2)
	v_sub_f32_e32 v26, v29, v28
	v_add_f32_e32 v22, v22, v25
	v_add_f32_e32 v25, v30, v27
	s_delay_alu instid0(VALU_DEP_2) | instskip(NEXT) | instid1(VALU_DEP_2)
	v_add_f32_e32 v22, v26, v22
	v_sub_f32_e32 v26, v25, v30
	s_delay_alu instid0(VALU_DEP_2) | instskip(NEXT) | instid1(VALU_DEP_2)
	v_add_f32_e32 v22, v31, v22
	v_sub_f32_e32 v26, v27, v26
	s_delay_alu instid0(VALU_DEP_2) | instskip(NEXT) | instid1(VALU_DEP_1)
	v_mul_f32_e32 v22, v24, v22
	v_add_f32_e32 v22, v26, v22
	s_delay_alu instid0(VALU_DEP_1) | instskip(NEXT) | instid1(VALU_DEP_1)
	v_add_f32_e32 v24, v25, v22
	v_mul_f32_e32 v26, v24, v24
	s_delay_alu instid0(VALU_DEP_1) | instskip(SKIP_2) | instid1(VALU_DEP_3)
	v_fmaak_f32 v27, s27, v26, 0x3ecc95a3
	v_mul_f32_e32 v28, v24, v26
	v_cmp_eq_f32_e64 s27, 0x7f800000, v23
	v_fmaak_f32 v26, v26, v27, 0x3f2aaada
	v_ldexp_f32 v27, v24, 1
	v_sub_f32_e32 v24, v24, v25
	s_delay_alu instid0(VALU_DEP_4) | instskip(NEXT) | instid1(VALU_DEP_3)
	s_or_b32 s27, s27, s29
	v_mul_f32_e32 v26, v28, v26
	v_mul_f32_e32 v28, 0x3f317218, v21
	s_delay_alu instid0(VALU_DEP_2) | instskip(NEXT) | instid1(VALU_DEP_1)
	v_dual_sub_f32 v22, v22, v24 :: v_dual_add_f32 v25, v27, v26
	v_ldexp_f32 v22, v22, 1
	s_delay_alu instid0(VALU_DEP_2) | instskip(NEXT) | instid1(VALU_DEP_4)
	v_sub_f32_e32 v24, v25, v27
	v_fma_f32 v27, 0x3f317218, v21, -v28
	s_delay_alu instid0(VALU_DEP_1) | instskip(NEXT) | instid1(VALU_DEP_1)
	v_dual_sub_f32 v24, v26, v24 :: v_dual_fmamk_f32 v21, v21, 0xb102e308, v27
	v_add_f32_e32 v22, v22, v24
	s_delay_alu instid0(VALU_DEP_2) | instskip(NEXT) | instid1(VALU_DEP_2)
	v_add_f32_e32 v24, v28, v21
	v_add_f32_e32 v26, v25, v22
	s_delay_alu instid0(VALU_DEP_2) | instskip(NEXT) | instid1(VALU_DEP_2)
	v_sub_f32_e32 v28, v24, v28
	v_add_f32_e32 v27, v24, v26
	v_sub_f32_e32 v25, v26, v25
	s_delay_alu instid0(VALU_DEP_3) | instskip(NEXT) | instid1(VALU_DEP_2)
	v_sub_f32_e32 v21, v21, v28
	v_dual_sub_f32 v29, v27, v24 :: v_dual_sub_f32 v22, v22, v25
	s_delay_alu instid0(VALU_DEP_1) | instskip(NEXT) | instid1(VALU_DEP_2)
	v_sub_f32_e32 v30, v27, v29
	v_dual_sub_f32 v25, v26, v29 :: v_dual_add_f32 v26, v21, v22
	s_delay_alu instid0(VALU_DEP_2) | instskip(NEXT) | instid1(VALU_DEP_1)
	v_sub_f32_e32 v24, v24, v30
	v_dual_add_f32 v24, v25, v24 :: v_dual_sub_f32 v25, v26, v21
	s_delay_alu instid0(VALU_DEP_1) | instskip(NEXT) | instid1(VALU_DEP_2)
	v_add_f32_e32 v24, v26, v24
	v_sub_f32_e32 v26, v26, v25
	v_sub_f32_e32 v22, v22, v25
	s_delay_alu instid0(VALU_DEP_2) | instskip(NEXT) | instid1(VALU_DEP_1)
	v_dual_add_f32 v28, v27, v24 :: v_dual_sub_f32 v21, v21, v26
	v_sub_f32_e32 v25, v28, v27
	s_delay_alu instid0(VALU_DEP_2) | instskip(NEXT) | instid1(VALU_DEP_2)
	v_add_f32_e32 v21, v22, v21
	v_sub_f32_e32 v22, v24, v25
	s_delay_alu instid0(VALU_DEP_1) | instskip(NEXT) | instid1(VALU_DEP_1)
	v_add_f32_e32 v21, v21, v22
	v_add_f32_e32 v21, v28, v21
	s_delay_alu instid0(VALU_DEP_1) | instskip(NEXT) | instid1(VALU_DEP_1)
	v_cndmask_b32_e64 v21, v21, v23, s27
	v_add_f32_e32 v21, v19, v21
.LBB491_54:
	s_or_b32 exec_lo, exec_lo, s28
	s_delay_alu instid0(VALU_DEP_1) | instskip(SKIP_1) | instid1(VALU_DEP_2)
	v_bfe_u32 v19, v21, 16, 1
	v_cmp_o_f32_e64 s27, v21, v21
	v_add3_u32 v19, v21, v19, 0x7fff
	s_delay_alu instid0(VALU_DEP_1) | instskip(NEXT) | instid1(VALU_DEP_1)
	v_and_b32_e32 v19, 0xffff0000, v19
	v_cndmask_b32_e64 v22, 0x7fc00000, v19, s27
	s_delay_alu instid0(VALU_DEP_1) | instskip(SKIP_2) | instid1(VALU_DEP_2)
	v_max_f32_e32 v19, v22, v22
	v_and_b32_e32 v10, 0xffff0000, v10
	v_cmp_u_f32_e64 s27, v22, v22
	v_max_f32_e32 v21, v10, v10
	s_delay_alu instid0(VALU_DEP_1) | instskip(SKIP_1) | instid1(VALU_DEP_2)
	v_min_f32_e32 v23, v19, v21
	v_max_f32_e32 v19, v19, v21
	v_cndmask_b32_e64 v23, v23, v22, s27
	s_delay_alu instid0(VALU_DEP_2) | instskip(SKIP_1) | instid1(VALU_DEP_1)
	v_cndmask_b32_e64 v19, v19, v22, s27
	v_cmp_u_f32_e64 s27, v10, v10
	v_cndmask_b32_e64 v23, v23, v10, s27
	s_delay_alu instid0(VALU_DEP_3) | instskip(NEXT) | instid1(VALU_DEP_2)
	v_cndmask_b32_e64 v19, v19, v10, s27
	v_cmp_class_f32_e64 s29, v23, 0x1f8
	s_delay_alu instid0(VALU_DEP_2) | instskip(NEXT) | instid1(VALU_DEP_1)
	v_cmp_neq_f32_e64 s28, v23, v19
	s_or_b32 s28, s28, s29
	s_delay_alu instid0(SALU_CYCLE_1)
	s_and_saveexec_b32 s29, s28
	s_cbranch_execz .LBB491_56
; %bb.55:
	v_sub_f32_e32 v22, v23, v19
	s_delay_alu instid0(VALU_DEP_1) | instskip(SKIP_1) | instid1(VALU_DEP_2)
	v_mul_f32_e32 v23, 0x3fb8aa3b, v22
	v_cmp_ngt_f32_e64 s28, 0xc2ce8ed0, v22
	v_fma_f32 v24, 0x3fb8aa3b, v22, -v23
	v_rndne_f32_e32 v25, v23
	s_delay_alu instid0(VALU_DEP_1) | instskip(NEXT) | instid1(VALU_DEP_1)
	v_dual_fmamk_f32 v24, v22, 0x32a5705f, v24 :: v_dual_sub_f32 v23, v23, v25
	v_add_f32_e32 v23, v23, v24
	v_cvt_i32_f32_e32 v24, v25
	s_delay_alu instid0(VALU_DEP_2) | instskip(SKIP_2) | instid1(VALU_DEP_1)
	v_exp_f32_e32 v23, v23
	s_waitcnt_depctr 0xfff
	v_ldexp_f32 v23, v23, v24
	v_cndmask_b32_e64 v23, 0, v23, s28
	v_cmp_nlt_f32_e64 s28, 0x42b17218, v22
	s_delay_alu instid0(VALU_DEP_1) | instskip(NEXT) | instid1(VALU_DEP_1)
	v_cndmask_b32_e64 v24, 0x7f800000, v23, s28
	v_add_f32_e32 v25, 1.0, v24
	v_cmp_gt_f32_e64 s30, 0x33800000, |v24|
	s_delay_alu instid0(VALU_DEP_2) | instskip(NEXT) | instid1(VALU_DEP_1)
	v_cvt_f64_f32_e32 v[22:23], v25
	v_frexp_exp_i32_f64_e32 v22, v[22:23]
	v_frexp_mant_f32_e32 v23, v25
	s_delay_alu instid0(VALU_DEP_1) | instskip(SKIP_1) | instid1(VALU_DEP_1)
	v_cmp_gt_f32_e64 s28, 0x3f2aaaab, v23
	v_add_f32_e32 v23, -1.0, v25
	v_sub_f32_e32 v27, v23, v25
	v_sub_f32_e32 v23, v24, v23
	s_delay_alu instid0(VALU_DEP_4) | instskip(SKIP_1) | instid1(VALU_DEP_1)
	v_subrev_co_ci_u32_e64 v22, s28, 0, v22, s28
	s_mov_b32 s28, 0x3e9b6dac
	v_sub_nc_u32_e32 v26, 0, v22
	v_cvt_f32_i32_e32 v22, v22
	s_delay_alu instid0(VALU_DEP_2) | instskip(NEXT) | instid1(VALU_DEP_1)
	v_ldexp_f32 v25, v25, v26
	v_dual_add_f32 v28, 1.0, v25 :: v_dual_add_f32 v27, 1.0, v27
	s_delay_alu instid0(VALU_DEP_1) | instskip(NEXT) | instid1(VALU_DEP_2)
	v_add_f32_e32 v23, v23, v27
	v_add_f32_e32 v27, -1.0, v28
	s_delay_alu instid0(VALU_DEP_2) | instskip(NEXT) | instid1(VALU_DEP_2)
	v_ldexp_f32 v23, v23, v26
	v_dual_add_f32 v26, -1.0, v25 :: v_dual_sub_f32 v27, v25, v27
	s_delay_alu instid0(VALU_DEP_1) | instskip(NEXT) | instid1(VALU_DEP_2)
	v_add_f32_e32 v29, 1.0, v26
	v_add_f32_e32 v27, v23, v27
	s_delay_alu instid0(VALU_DEP_2) | instskip(NEXT) | instid1(VALU_DEP_2)
	v_sub_f32_e32 v25, v25, v29
	v_add_f32_e32 v29, v28, v27
	s_delay_alu instid0(VALU_DEP_2) | instskip(NEXT) | instid1(VALU_DEP_2)
	v_add_f32_e32 v23, v23, v25
	v_rcp_f32_e32 v25, v29
	v_sub_f32_e32 v28, v28, v29
	s_delay_alu instid0(VALU_DEP_1) | instskip(NEXT) | instid1(VALU_DEP_1)
	v_dual_add_f32 v30, v26, v23 :: v_dual_add_f32 v27, v27, v28
	v_sub_f32_e32 v26, v26, v30
	s_waitcnt_depctr 0xfff
	v_mul_f32_e32 v31, v30, v25
	s_delay_alu instid0(VALU_DEP_1) | instskip(NEXT) | instid1(VALU_DEP_1)
	v_dual_add_f32 v23, v23, v26 :: v_dual_mul_f32 v32, v29, v31
	v_fma_f32 v28, v31, v29, -v32
	s_delay_alu instid0(VALU_DEP_1) | instskip(NEXT) | instid1(VALU_DEP_1)
	v_fmac_f32_e32 v28, v31, v27
	v_add_f32_e32 v33, v32, v28
	s_delay_alu instid0(VALU_DEP_1) | instskip(SKIP_1) | instid1(VALU_DEP_2)
	v_sub_f32_e32 v34, v30, v33
	v_sub_f32_e32 v26, v33, v32
	;; [unrolled: 1-line block ×3, first 2 shown]
	s_delay_alu instid0(VALU_DEP_2) | instskip(NEXT) | instid1(VALU_DEP_2)
	v_sub_f32_e32 v26, v26, v28
	v_sub_f32_e32 v30, v30, v33
	s_delay_alu instid0(VALU_DEP_1) | instskip(NEXT) | instid1(VALU_DEP_1)
	v_add_f32_e32 v23, v23, v30
	v_add_f32_e32 v23, v26, v23
	s_delay_alu instid0(VALU_DEP_1) | instskip(NEXT) | instid1(VALU_DEP_1)
	v_add_f32_e32 v26, v34, v23
	v_mul_f32_e32 v28, v25, v26
	s_delay_alu instid0(VALU_DEP_1) | instskip(NEXT) | instid1(VALU_DEP_1)
	v_dual_sub_f32 v33, v34, v26 :: v_dual_mul_f32 v30, v29, v28
	v_add_f32_e32 v23, v23, v33
	s_delay_alu instid0(VALU_DEP_2) | instskip(NEXT) | instid1(VALU_DEP_1)
	v_fma_f32 v29, v28, v29, -v30
	v_fmac_f32_e32 v29, v28, v27
	s_delay_alu instid0(VALU_DEP_1) | instskip(NEXT) | instid1(VALU_DEP_1)
	v_add_f32_e32 v27, v30, v29
	v_sub_f32_e32 v32, v26, v27
	v_sub_f32_e32 v30, v27, v30
	s_delay_alu instid0(VALU_DEP_2) | instskip(NEXT) | instid1(VALU_DEP_1)
	v_sub_f32_e32 v26, v26, v32
	v_sub_f32_e32 v26, v26, v27
	s_delay_alu instid0(VALU_DEP_3) | instskip(NEXT) | instid1(VALU_DEP_2)
	v_sub_f32_e32 v27, v30, v29
	v_add_f32_e32 v23, v23, v26
	v_add_f32_e32 v26, v31, v28
	s_delay_alu instid0(VALU_DEP_2) | instskip(NEXT) | instid1(VALU_DEP_2)
	v_add_f32_e32 v23, v27, v23
	v_sub_f32_e32 v27, v26, v31
	s_delay_alu instid0(VALU_DEP_2) | instskip(NEXT) | instid1(VALU_DEP_2)
	v_add_f32_e32 v23, v32, v23
	v_sub_f32_e32 v27, v28, v27
	s_delay_alu instid0(VALU_DEP_2) | instskip(NEXT) | instid1(VALU_DEP_1)
	v_mul_f32_e32 v23, v25, v23
	v_add_f32_e32 v23, v27, v23
	s_delay_alu instid0(VALU_DEP_1) | instskip(NEXT) | instid1(VALU_DEP_1)
	v_add_f32_e32 v25, v26, v23
	v_mul_f32_e32 v27, v25, v25
	s_delay_alu instid0(VALU_DEP_1) | instskip(SKIP_2) | instid1(VALU_DEP_3)
	v_fmaak_f32 v28, s28, v27, 0x3ecc95a3
	v_mul_f32_e32 v29, v25, v27
	v_cmp_eq_f32_e64 s28, 0x7f800000, v24
	v_fmaak_f32 v27, v27, v28, 0x3f2aaada
	v_ldexp_f32 v28, v25, 1
	v_sub_f32_e32 v25, v25, v26
	s_delay_alu instid0(VALU_DEP_4) | instskip(NEXT) | instid1(VALU_DEP_3)
	s_or_b32 s28, s28, s30
	v_mul_f32_e32 v27, v29, v27
	v_mul_f32_e32 v29, 0x3f317218, v22
	s_delay_alu instid0(VALU_DEP_2) | instskip(NEXT) | instid1(VALU_DEP_1)
	v_dual_sub_f32 v23, v23, v25 :: v_dual_add_f32 v26, v28, v27
	v_ldexp_f32 v23, v23, 1
	s_delay_alu instid0(VALU_DEP_2) | instskip(NEXT) | instid1(VALU_DEP_4)
	v_sub_f32_e32 v25, v26, v28
	v_fma_f32 v28, 0x3f317218, v22, -v29
	s_delay_alu instid0(VALU_DEP_1) | instskip(NEXT) | instid1(VALU_DEP_1)
	v_dual_sub_f32 v25, v27, v25 :: v_dual_fmamk_f32 v22, v22, 0xb102e308, v28
	v_add_f32_e32 v23, v23, v25
	s_delay_alu instid0(VALU_DEP_2) | instskip(NEXT) | instid1(VALU_DEP_2)
	v_add_f32_e32 v25, v29, v22
	v_add_f32_e32 v27, v26, v23
	s_delay_alu instid0(VALU_DEP_2) | instskip(NEXT) | instid1(VALU_DEP_2)
	v_sub_f32_e32 v29, v25, v29
	v_add_f32_e32 v28, v25, v27
	v_sub_f32_e32 v26, v27, v26
	s_delay_alu instid0(VALU_DEP_3) | instskip(NEXT) | instid1(VALU_DEP_2)
	v_sub_f32_e32 v22, v22, v29
	v_dual_sub_f32 v30, v28, v25 :: v_dual_sub_f32 v23, v23, v26
	s_delay_alu instid0(VALU_DEP_1) | instskip(NEXT) | instid1(VALU_DEP_2)
	v_sub_f32_e32 v31, v28, v30
	v_dual_sub_f32 v26, v27, v30 :: v_dual_add_f32 v27, v22, v23
	s_delay_alu instid0(VALU_DEP_2) | instskip(NEXT) | instid1(VALU_DEP_1)
	v_sub_f32_e32 v25, v25, v31
	v_dual_add_f32 v25, v26, v25 :: v_dual_sub_f32 v26, v27, v22
	s_delay_alu instid0(VALU_DEP_1) | instskip(NEXT) | instid1(VALU_DEP_2)
	v_add_f32_e32 v25, v27, v25
	v_sub_f32_e32 v27, v27, v26
	v_sub_f32_e32 v23, v23, v26
	s_delay_alu instid0(VALU_DEP_2) | instskip(NEXT) | instid1(VALU_DEP_1)
	v_dual_add_f32 v29, v28, v25 :: v_dual_sub_f32 v22, v22, v27
	v_sub_f32_e32 v26, v29, v28
	s_delay_alu instid0(VALU_DEP_2) | instskip(NEXT) | instid1(VALU_DEP_2)
	v_add_f32_e32 v22, v23, v22
	v_sub_f32_e32 v23, v25, v26
	s_delay_alu instid0(VALU_DEP_1) | instskip(NEXT) | instid1(VALU_DEP_1)
	v_add_f32_e32 v22, v22, v23
	v_add_f32_e32 v22, v29, v22
	s_delay_alu instid0(VALU_DEP_1) | instskip(NEXT) | instid1(VALU_DEP_1)
	v_cndmask_b32_e64 v22, v22, v24, s28
	v_add_f32_e32 v22, v19, v22
.LBB491_56:
	s_or_b32 exec_lo, exec_lo, s29
	s_delay_alu instid0(VALU_DEP_1) | instskip(SKIP_1) | instid1(VALU_DEP_2)
	v_bfe_u32 v19, v22, 16, 1
	v_cmp_o_f32_e64 s28, v22, v22
	v_add3_u32 v19, v22, v19, 0x7fff
	s_delay_alu instid0(VALU_DEP_1) | instskip(SKIP_1) | instid1(VALU_DEP_2)
	v_and_b32_e32 v23, 0xffff0000, v19
	v_lshlrev_b32_e32 v19, 16, v11
	v_cndmask_b32_e64 v24, 0x7fc00000, v23, s28
	s_delay_alu instid0(VALU_DEP_1) | instskip(SKIP_1) | instid1(VALU_DEP_2)
	v_dual_max_f32 v23, v19, v19 :: v_dual_max_f32 v22, v24, v24
	v_cmp_u_f32_e64 s28, v24, v24
	v_min_f32_e32 v25, v22, v23
	v_max_f32_e32 v22, v22, v23
	s_delay_alu instid0(VALU_DEP_2) | instskip(NEXT) | instid1(VALU_DEP_2)
	v_cndmask_b32_e64 v25, v25, v24, s28
	v_cndmask_b32_e64 v22, v22, v24, s28
	v_cmp_u_f32_e64 s28, v19, v19
	s_delay_alu instid0(VALU_DEP_1) | instskip(NEXT) | instid1(VALU_DEP_3)
	v_cndmask_b32_e64 v25, v25, v19, s28
	v_cndmask_b32_e64 v22, v22, v19, s28
	s_delay_alu instid0(VALU_DEP_2) | instskip(NEXT) | instid1(VALU_DEP_2)
	v_cmp_class_f32_e64 s30, v25, 0x1f8
	v_cmp_neq_f32_e64 s29, v25, v22
	s_delay_alu instid0(VALU_DEP_1) | instskip(NEXT) | instid1(SALU_CYCLE_1)
	s_or_b32 s29, s29, s30
	s_and_saveexec_b32 s30, s29
	s_cbranch_execz .LBB491_58
; %bb.57:
	v_sub_f32_e32 v24, v25, v22
	s_delay_alu instid0(VALU_DEP_1) | instskip(SKIP_1) | instid1(VALU_DEP_2)
	v_mul_f32_e32 v25, 0x3fb8aa3b, v24
	v_cmp_ngt_f32_e64 s29, 0xc2ce8ed0, v24
	v_fma_f32 v26, 0x3fb8aa3b, v24, -v25
	v_rndne_f32_e32 v27, v25
	s_delay_alu instid0(VALU_DEP_1) | instskip(NEXT) | instid1(VALU_DEP_1)
	v_dual_fmamk_f32 v26, v24, 0x32a5705f, v26 :: v_dual_sub_f32 v25, v25, v27
	v_add_f32_e32 v25, v25, v26
	v_cvt_i32_f32_e32 v26, v27
	s_delay_alu instid0(VALU_DEP_2) | instskip(SKIP_2) | instid1(VALU_DEP_1)
	v_exp_f32_e32 v25, v25
	s_waitcnt_depctr 0xfff
	v_ldexp_f32 v25, v25, v26
	v_cndmask_b32_e64 v25, 0, v25, s29
	v_cmp_nlt_f32_e64 s29, 0x42b17218, v24
	s_delay_alu instid0(VALU_DEP_1) | instskip(NEXT) | instid1(VALU_DEP_1)
	v_cndmask_b32_e64 v26, 0x7f800000, v25, s29
	v_add_f32_e32 v27, 1.0, v26
	v_cmp_gt_f32_e64 s31, 0x33800000, |v26|
	s_delay_alu instid0(VALU_DEP_2) | instskip(NEXT) | instid1(VALU_DEP_1)
	v_cvt_f64_f32_e32 v[24:25], v27
	v_frexp_exp_i32_f64_e32 v24, v[24:25]
	v_frexp_mant_f32_e32 v25, v27
	s_delay_alu instid0(VALU_DEP_1) | instskip(SKIP_1) | instid1(VALU_DEP_1)
	v_cmp_gt_f32_e64 s29, 0x3f2aaaab, v25
	v_add_f32_e32 v25, -1.0, v27
	v_sub_f32_e32 v29, v25, v27
	v_sub_f32_e32 v25, v26, v25
	s_delay_alu instid0(VALU_DEP_4) | instskip(SKIP_1) | instid1(VALU_DEP_1)
	v_subrev_co_ci_u32_e64 v24, s29, 0, v24, s29
	s_mov_b32 s29, 0x3e9b6dac
	v_sub_nc_u32_e32 v28, 0, v24
	v_cvt_f32_i32_e32 v24, v24
	s_delay_alu instid0(VALU_DEP_2) | instskip(NEXT) | instid1(VALU_DEP_1)
	v_ldexp_f32 v27, v27, v28
	v_dual_add_f32 v30, 1.0, v27 :: v_dual_add_f32 v29, 1.0, v29
	s_delay_alu instid0(VALU_DEP_1) | instskip(NEXT) | instid1(VALU_DEP_2)
	v_add_f32_e32 v25, v25, v29
	v_add_f32_e32 v29, -1.0, v30
	s_delay_alu instid0(VALU_DEP_2) | instskip(NEXT) | instid1(VALU_DEP_2)
	v_ldexp_f32 v25, v25, v28
	v_dual_add_f32 v28, -1.0, v27 :: v_dual_sub_f32 v29, v27, v29
	s_delay_alu instid0(VALU_DEP_1) | instskip(NEXT) | instid1(VALU_DEP_2)
	v_add_f32_e32 v31, 1.0, v28
	v_add_f32_e32 v29, v25, v29
	s_delay_alu instid0(VALU_DEP_2) | instskip(NEXT) | instid1(VALU_DEP_2)
	v_sub_f32_e32 v27, v27, v31
	v_add_f32_e32 v31, v30, v29
	s_delay_alu instid0(VALU_DEP_2) | instskip(NEXT) | instid1(VALU_DEP_2)
	v_add_f32_e32 v25, v25, v27
	v_rcp_f32_e32 v27, v31
	v_sub_f32_e32 v30, v30, v31
	s_delay_alu instid0(VALU_DEP_1) | instskip(NEXT) | instid1(VALU_DEP_1)
	v_dual_add_f32 v32, v28, v25 :: v_dual_add_f32 v29, v29, v30
	v_sub_f32_e32 v28, v28, v32
	s_waitcnt_depctr 0xfff
	v_mul_f32_e32 v33, v32, v27
	s_delay_alu instid0(VALU_DEP_1) | instskip(NEXT) | instid1(VALU_DEP_1)
	v_dual_add_f32 v25, v25, v28 :: v_dual_mul_f32 v34, v31, v33
	v_fma_f32 v30, v33, v31, -v34
	s_delay_alu instid0(VALU_DEP_1) | instskip(NEXT) | instid1(VALU_DEP_1)
	v_fmac_f32_e32 v30, v33, v29
	v_add_f32_e32 v35, v34, v30
	s_delay_alu instid0(VALU_DEP_1) | instskip(SKIP_1) | instid1(VALU_DEP_2)
	v_sub_f32_e32 v36, v32, v35
	v_sub_f32_e32 v28, v35, v34
	;; [unrolled: 1-line block ×3, first 2 shown]
	s_delay_alu instid0(VALU_DEP_2) | instskip(NEXT) | instid1(VALU_DEP_2)
	v_sub_f32_e32 v28, v28, v30
	v_sub_f32_e32 v32, v32, v35
	s_delay_alu instid0(VALU_DEP_1) | instskip(NEXT) | instid1(VALU_DEP_1)
	v_add_f32_e32 v25, v25, v32
	v_add_f32_e32 v25, v28, v25
	s_delay_alu instid0(VALU_DEP_1) | instskip(NEXT) | instid1(VALU_DEP_1)
	v_add_f32_e32 v28, v36, v25
	v_mul_f32_e32 v30, v27, v28
	s_delay_alu instid0(VALU_DEP_1) | instskip(NEXT) | instid1(VALU_DEP_1)
	v_dual_sub_f32 v35, v36, v28 :: v_dual_mul_f32 v32, v31, v30
	v_add_f32_e32 v25, v25, v35
	s_delay_alu instid0(VALU_DEP_2) | instskip(NEXT) | instid1(VALU_DEP_1)
	v_fma_f32 v31, v30, v31, -v32
	v_fmac_f32_e32 v31, v30, v29
	s_delay_alu instid0(VALU_DEP_1) | instskip(NEXT) | instid1(VALU_DEP_1)
	v_add_f32_e32 v29, v32, v31
	v_sub_f32_e32 v34, v28, v29
	v_sub_f32_e32 v32, v29, v32
	s_delay_alu instid0(VALU_DEP_2) | instskip(NEXT) | instid1(VALU_DEP_1)
	v_sub_f32_e32 v28, v28, v34
	v_sub_f32_e32 v28, v28, v29
	s_delay_alu instid0(VALU_DEP_3) | instskip(NEXT) | instid1(VALU_DEP_2)
	v_sub_f32_e32 v29, v32, v31
	v_add_f32_e32 v25, v25, v28
	v_add_f32_e32 v28, v33, v30
	s_delay_alu instid0(VALU_DEP_2) | instskip(NEXT) | instid1(VALU_DEP_2)
	v_add_f32_e32 v25, v29, v25
	v_sub_f32_e32 v29, v28, v33
	s_delay_alu instid0(VALU_DEP_2) | instskip(NEXT) | instid1(VALU_DEP_2)
	v_add_f32_e32 v25, v34, v25
	v_sub_f32_e32 v29, v30, v29
	s_delay_alu instid0(VALU_DEP_2) | instskip(NEXT) | instid1(VALU_DEP_1)
	v_mul_f32_e32 v25, v27, v25
	v_add_f32_e32 v25, v29, v25
	s_delay_alu instid0(VALU_DEP_1) | instskip(NEXT) | instid1(VALU_DEP_1)
	v_add_f32_e32 v27, v28, v25
	v_mul_f32_e32 v29, v27, v27
	s_delay_alu instid0(VALU_DEP_1) | instskip(SKIP_2) | instid1(VALU_DEP_3)
	v_fmaak_f32 v30, s29, v29, 0x3ecc95a3
	v_mul_f32_e32 v31, v27, v29
	v_cmp_eq_f32_e64 s29, 0x7f800000, v26
	v_fmaak_f32 v29, v29, v30, 0x3f2aaada
	v_ldexp_f32 v30, v27, 1
	v_sub_f32_e32 v27, v27, v28
	s_delay_alu instid0(VALU_DEP_4) | instskip(NEXT) | instid1(VALU_DEP_3)
	s_or_b32 s29, s29, s31
	v_mul_f32_e32 v29, v31, v29
	v_mul_f32_e32 v31, 0x3f317218, v24
	s_delay_alu instid0(VALU_DEP_2) | instskip(NEXT) | instid1(VALU_DEP_1)
	v_dual_sub_f32 v25, v25, v27 :: v_dual_add_f32 v28, v30, v29
	v_ldexp_f32 v25, v25, 1
	s_delay_alu instid0(VALU_DEP_2) | instskip(NEXT) | instid1(VALU_DEP_4)
	v_sub_f32_e32 v27, v28, v30
	v_fma_f32 v30, 0x3f317218, v24, -v31
	s_delay_alu instid0(VALU_DEP_1) | instskip(NEXT) | instid1(VALU_DEP_1)
	v_dual_sub_f32 v27, v29, v27 :: v_dual_fmamk_f32 v24, v24, 0xb102e308, v30
	v_add_f32_e32 v25, v25, v27
	s_delay_alu instid0(VALU_DEP_2) | instskip(NEXT) | instid1(VALU_DEP_2)
	v_add_f32_e32 v27, v31, v24
	v_add_f32_e32 v29, v28, v25
	s_delay_alu instid0(VALU_DEP_2) | instskip(NEXT) | instid1(VALU_DEP_2)
	v_sub_f32_e32 v31, v27, v31
	v_add_f32_e32 v30, v27, v29
	v_sub_f32_e32 v28, v29, v28
	s_delay_alu instid0(VALU_DEP_3) | instskip(NEXT) | instid1(VALU_DEP_2)
	v_sub_f32_e32 v24, v24, v31
	v_dual_sub_f32 v32, v30, v27 :: v_dual_sub_f32 v25, v25, v28
	s_delay_alu instid0(VALU_DEP_1) | instskip(NEXT) | instid1(VALU_DEP_2)
	v_sub_f32_e32 v33, v30, v32
	v_dual_sub_f32 v28, v29, v32 :: v_dual_add_f32 v29, v24, v25
	s_delay_alu instid0(VALU_DEP_2) | instskip(NEXT) | instid1(VALU_DEP_1)
	v_sub_f32_e32 v27, v27, v33
	v_dual_add_f32 v27, v28, v27 :: v_dual_sub_f32 v28, v29, v24
	s_delay_alu instid0(VALU_DEP_1) | instskip(NEXT) | instid1(VALU_DEP_2)
	v_add_f32_e32 v27, v29, v27
	v_sub_f32_e32 v29, v29, v28
	v_sub_f32_e32 v25, v25, v28
	s_delay_alu instid0(VALU_DEP_2) | instskip(NEXT) | instid1(VALU_DEP_1)
	v_dual_add_f32 v31, v30, v27 :: v_dual_sub_f32 v24, v24, v29
	v_sub_f32_e32 v28, v31, v30
	s_delay_alu instid0(VALU_DEP_2) | instskip(NEXT) | instid1(VALU_DEP_2)
	v_add_f32_e32 v24, v25, v24
	v_sub_f32_e32 v25, v27, v28
	s_delay_alu instid0(VALU_DEP_1) | instskip(NEXT) | instid1(VALU_DEP_1)
	v_add_f32_e32 v24, v24, v25
	v_add_f32_e32 v24, v31, v24
	s_delay_alu instid0(VALU_DEP_1) | instskip(NEXT) | instid1(VALU_DEP_1)
	v_cndmask_b32_e64 v24, v24, v26, s29
	v_add_f32_e32 v24, v22, v24
.LBB491_58:
	s_or_b32 exec_lo, exec_lo, s30
	s_delay_alu instid0(VALU_DEP_1) | instskip(SKIP_1) | instid1(VALU_DEP_2)
	v_bfe_u32 v22, v24, 16, 1
	v_cmp_o_f32_e64 s29, v24, v24
	v_add3_u32 v22, v24, v22, 0x7fff
	s_delay_alu instid0(VALU_DEP_1) | instskip(NEXT) | instid1(VALU_DEP_1)
	v_and_b32_e32 v22, 0xffff0000, v22
	v_cndmask_b32_e64 v25, 0x7fc00000, v22, s29
	s_delay_alu instid0(VALU_DEP_1) | instskip(NEXT) | instid1(VALU_DEP_1)
	v_dual_max_f32 v22, v25, v25 :: v_dual_and_b32 v11, 0xffff0000, v11
	v_max_f32_e32 v24, v11, v11
	v_cmp_u_f32_e64 s29, v25, v25
	s_delay_alu instid0(VALU_DEP_2) | instskip(SKIP_1) | instid1(VALU_DEP_2)
	v_min_f32_e32 v26, v22, v24
	v_max_f32_e32 v22, v22, v24
	v_cndmask_b32_e64 v26, v26, v25, s29
	s_delay_alu instid0(VALU_DEP_2) | instskip(SKIP_1) | instid1(VALU_DEP_1)
	v_cndmask_b32_e64 v22, v22, v25, s29
	v_cmp_u_f32_e64 s29, v11, v11
	v_cndmask_b32_e64 v26, v26, v11, s29
	s_delay_alu instid0(VALU_DEP_3) | instskip(NEXT) | instid1(VALU_DEP_2)
	v_cndmask_b32_e64 v22, v22, v11, s29
	v_cmp_class_f32_e64 s31, v26, 0x1f8
	s_delay_alu instid0(VALU_DEP_2) | instskip(NEXT) | instid1(VALU_DEP_1)
	v_cmp_neq_f32_e64 s30, v26, v22
	s_or_b32 s30, s30, s31
	s_delay_alu instid0(SALU_CYCLE_1)
	s_and_saveexec_b32 s31, s30
	s_cbranch_execz .LBB491_60
; %bb.59:
	v_sub_f32_e32 v25, v26, v22
	s_delay_alu instid0(VALU_DEP_1) | instskip(SKIP_1) | instid1(VALU_DEP_2)
	v_mul_f32_e32 v26, 0x3fb8aa3b, v25
	v_cmp_ngt_f32_e64 s30, 0xc2ce8ed0, v25
	v_fma_f32 v27, 0x3fb8aa3b, v25, -v26
	v_rndne_f32_e32 v28, v26
	s_delay_alu instid0(VALU_DEP_1) | instskip(NEXT) | instid1(VALU_DEP_1)
	v_dual_fmamk_f32 v27, v25, 0x32a5705f, v27 :: v_dual_sub_f32 v26, v26, v28
	v_add_f32_e32 v26, v26, v27
	v_cvt_i32_f32_e32 v27, v28
	s_delay_alu instid0(VALU_DEP_2) | instskip(SKIP_2) | instid1(VALU_DEP_1)
	v_exp_f32_e32 v26, v26
	s_waitcnt_depctr 0xfff
	v_ldexp_f32 v26, v26, v27
	v_cndmask_b32_e64 v26, 0, v26, s30
	v_cmp_nlt_f32_e64 s30, 0x42b17218, v25
	s_delay_alu instid0(VALU_DEP_1) | instskip(NEXT) | instid1(VALU_DEP_1)
	v_cndmask_b32_e64 v27, 0x7f800000, v26, s30
	v_add_f32_e32 v28, 1.0, v27
	v_cmp_gt_f32_e64 s33, 0x33800000, |v27|
	s_delay_alu instid0(VALU_DEP_2) | instskip(NEXT) | instid1(VALU_DEP_1)
	v_cvt_f64_f32_e32 v[25:26], v28
	v_frexp_exp_i32_f64_e32 v25, v[25:26]
	v_frexp_mant_f32_e32 v26, v28
	s_delay_alu instid0(VALU_DEP_1) | instskip(SKIP_1) | instid1(VALU_DEP_1)
	v_cmp_gt_f32_e64 s30, 0x3f2aaaab, v26
	v_add_f32_e32 v26, -1.0, v28
	v_sub_f32_e32 v30, v26, v28
	v_sub_f32_e32 v26, v27, v26
	s_delay_alu instid0(VALU_DEP_4) | instskip(SKIP_1) | instid1(VALU_DEP_1)
	v_subrev_co_ci_u32_e64 v25, s30, 0, v25, s30
	s_mov_b32 s30, 0x3e9b6dac
	v_sub_nc_u32_e32 v29, 0, v25
	v_cvt_f32_i32_e32 v25, v25
	s_delay_alu instid0(VALU_DEP_2) | instskip(NEXT) | instid1(VALU_DEP_1)
	v_ldexp_f32 v28, v28, v29
	v_dual_add_f32 v31, 1.0, v28 :: v_dual_add_f32 v30, 1.0, v30
	s_delay_alu instid0(VALU_DEP_1) | instskip(NEXT) | instid1(VALU_DEP_2)
	v_add_f32_e32 v26, v26, v30
	v_add_f32_e32 v30, -1.0, v31
	s_delay_alu instid0(VALU_DEP_2) | instskip(NEXT) | instid1(VALU_DEP_2)
	v_ldexp_f32 v26, v26, v29
	v_dual_add_f32 v29, -1.0, v28 :: v_dual_sub_f32 v30, v28, v30
	s_delay_alu instid0(VALU_DEP_1) | instskip(NEXT) | instid1(VALU_DEP_2)
	v_add_f32_e32 v32, 1.0, v29
	v_add_f32_e32 v30, v26, v30
	s_delay_alu instid0(VALU_DEP_2) | instskip(NEXT) | instid1(VALU_DEP_2)
	v_sub_f32_e32 v28, v28, v32
	v_add_f32_e32 v32, v31, v30
	s_delay_alu instid0(VALU_DEP_2) | instskip(NEXT) | instid1(VALU_DEP_2)
	v_add_f32_e32 v26, v26, v28
	v_rcp_f32_e32 v28, v32
	v_sub_f32_e32 v31, v31, v32
	s_delay_alu instid0(VALU_DEP_1) | instskip(NEXT) | instid1(VALU_DEP_1)
	v_dual_add_f32 v33, v29, v26 :: v_dual_add_f32 v30, v30, v31
	v_sub_f32_e32 v29, v29, v33
	s_waitcnt_depctr 0xfff
	v_mul_f32_e32 v34, v33, v28
	s_delay_alu instid0(VALU_DEP_1) | instskip(NEXT) | instid1(VALU_DEP_1)
	v_dual_add_f32 v26, v26, v29 :: v_dual_mul_f32 v35, v32, v34
	v_fma_f32 v31, v34, v32, -v35
	s_delay_alu instid0(VALU_DEP_1) | instskip(NEXT) | instid1(VALU_DEP_1)
	v_fmac_f32_e32 v31, v34, v30
	v_add_f32_e32 v36, v35, v31
	s_delay_alu instid0(VALU_DEP_1) | instskip(SKIP_1) | instid1(VALU_DEP_2)
	v_sub_f32_e32 v37, v33, v36
	v_sub_f32_e32 v29, v36, v35
	;; [unrolled: 1-line block ×3, first 2 shown]
	s_delay_alu instid0(VALU_DEP_2) | instskip(NEXT) | instid1(VALU_DEP_2)
	v_sub_f32_e32 v29, v29, v31
	v_sub_f32_e32 v33, v33, v36
	s_delay_alu instid0(VALU_DEP_1) | instskip(NEXT) | instid1(VALU_DEP_1)
	v_add_f32_e32 v26, v26, v33
	v_add_f32_e32 v26, v29, v26
	s_delay_alu instid0(VALU_DEP_1) | instskip(NEXT) | instid1(VALU_DEP_1)
	v_add_f32_e32 v29, v37, v26
	v_mul_f32_e32 v31, v28, v29
	s_delay_alu instid0(VALU_DEP_1) | instskip(NEXT) | instid1(VALU_DEP_1)
	v_dual_sub_f32 v36, v37, v29 :: v_dual_mul_f32 v33, v32, v31
	v_add_f32_e32 v26, v26, v36
	s_delay_alu instid0(VALU_DEP_2) | instskip(NEXT) | instid1(VALU_DEP_1)
	v_fma_f32 v32, v31, v32, -v33
	v_fmac_f32_e32 v32, v31, v30
	s_delay_alu instid0(VALU_DEP_1) | instskip(NEXT) | instid1(VALU_DEP_1)
	v_add_f32_e32 v30, v33, v32
	v_sub_f32_e32 v35, v29, v30
	v_sub_f32_e32 v33, v30, v33
	s_delay_alu instid0(VALU_DEP_2) | instskip(NEXT) | instid1(VALU_DEP_1)
	v_sub_f32_e32 v29, v29, v35
	v_sub_f32_e32 v29, v29, v30
	s_delay_alu instid0(VALU_DEP_3) | instskip(NEXT) | instid1(VALU_DEP_2)
	v_sub_f32_e32 v30, v33, v32
	v_add_f32_e32 v26, v26, v29
	v_add_f32_e32 v29, v34, v31
	s_delay_alu instid0(VALU_DEP_2) | instskip(NEXT) | instid1(VALU_DEP_2)
	v_add_f32_e32 v26, v30, v26
	v_sub_f32_e32 v30, v29, v34
	s_delay_alu instid0(VALU_DEP_2) | instskip(NEXT) | instid1(VALU_DEP_2)
	v_add_f32_e32 v26, v35, v26
	v_sub_f32_e32 v30, v31, v30
	s_delay_alu instid0(VALU_DEP_2) | instskip(NEXT) | instid1(VALU_DEP_1)
	v_mul_f32_e32 v26, v28, v26
	v_add_f32_e32 v26, v30, v26
	s_delay_alu instid0(VALU_DEP_1) | instskip(NEXT) | instid1(VALU_DEP_1)
	v_add_f32_e32 v28, v29, v26
	v_mul_f32_e32 v30, v28, v28
	s_delay_alu instid0(VALU_DEP_1) | instskip(SKIP_2) | instid1(VALU_DEP_3)
	v_fmaak_f32 v31, s30, v30, 0x3ecc95a3
	v_mul_f32_e32 v32, v28, v30
	v_cmp_eq_f32_e64 s30, 0x7f800000, v27
	v_fmaak_f32 v30, v30, v31, 0x3f2aaada
	v_ldexp_f32 v31, v28, 1
	v_sub_f32_e32 v28, v28, v29
	s_delay_alu instid0(VALU_DEP_4) | instskip(NEXT) | instid1(VALU_DEP_3)
	s_or_b32 s30, s30, s33
	v_mul_f32_e32 v30, v32, v30
	v_mul_f32_e32 v32, 0x3f317218, v25
	s_delay_alu instid0(VALU_DEP_2) | instskip(NEXT) | instid1(VALU_DEP_1)
	v_dual_sub_f32 v26, v26, v28 :: v_dual_add_f32 v29, v31, v30
	v_ldexp_f32 v26, v26, 1
	s_delay_alu instid0(VALU_DEP_2) | instskip(NEXT) | instid1(VALU_DEP_4)
	v_sub_f32_e32 v28, v29, v31
	v_fma_f32 v31, 0x3f317218, v25, -v32
	s_delay_alu instid0(VALU_DEP_1) | instskip(NEXT) | instid1(VALU_DEP_1)
	v_dual_sub_f32 v28, v30, v28 :: v_dual_fmamk_f32 v25, v25, 0xb102e308, v31
	v_add_f32_e32 v26, v26, v28
	s_delay_alu instid0(VALU_DEP_2) | instskip(NEXT) | instid1(VALU_DEP_2)
	v_add_f32_e32 v28, v32, v25
	v_add_f32_e32 v30, v29, v26
	s_delay_alu instid0(VALU_DEP_2) | instskip(NEXT) | instid1(VALU_DEP_2)
	v_sub_f32_e32 v32, v28, v32
	v_add_f32_e32 v31, v28, v30
	v_sub_f32_e32 v29, v30, v29
	s_delay_alu instid0(VALU_DEP_3) | instskip(NEXT) | instid1(VALU_DEP_2)
	v_sub_f32_e32 v25, v25, v32
	v_dual_sub_f32 v33, v31, v28 :: v_dual_sub_f32 v26, v26, v29
	s_delay_alu instid0(VALU_DEP_1) | instskip(NEXT) | instid1(VALU_DEP_2)
	v_sub_f32_e32 v34, v31, v33
	v_dual_sub_f32 v29, v30, v33 :: v_dual_add_f32 v30, v25, v26
	s_delay_alu instid0(VALU_DEP_2) | instskip(NEXT) | instid1(VALU_DEP_1)
	v_sub_f32_e32 v28, v28, v34
	v_dual_add_f32 v28, v29, v28 :: v_dual_sub_f32 v29, v30, v25
	s_delay_alu instid0(VALU_DEP_1) | instskip(NEXT) | instid1(VALU_DEP_2)
	v_add_f32_e32 v28, v30, v28
	v_sub_f32_e32 v30, v30, v29
	v_sub_f32_e32 v26, v26, v29
	s_delay_alu instid0(VALU_DEP_2) | instskip(NEXT) | instid1(VALU_DEP_1)
	v_dual_add_f32 v32, v31, v28 :: v_dual_sub_f32 v25, v25, v30
	v_sub_f32_e32 v29, v32, v31
	s_delay_alu instid0(VALU_DEP_2) | instskip(NEXT) | instid1(VALU_DEP_2)
	v_add_f32_e32 v25, v26, v25
	v_sub_f32_e32 v26, v28, v29
	s_delay_alu instid0(VALU_DEP_1) | instskip(NEXT) | instid1(VALU_DEP_1)
	v_add_f32_e32 v25, v25, v26
	v_add_f32_e32 v25, v32, v25
	s_delay_alu instid0(VALU_DEP_1) | instskip(NEXT) | instid1(VALU_DEP_1)
	v_cndmask_b32_e64 v25, v25, v27, s30
	v_add_f32_e32 v25, v22, v25
.LBB491_60:
	s_or_b32 exec_lo, exec_lo, s31
	s_delay_alu instid0(VALU_DEP_1) | instskip(SKIP_1) | instid1(VALU_DEP_2)
	v_bfe_u32 v22, v25, 16, 1
	v_cmp_o_f32_e64 s30, v25, v25
	v_add3_u32 v22, v25, v22, 0x7fff
	s_delay_alu instid0(VALU_DEP_1) | instskip(NEXT) | instid1(VALU_DEP_1)
	v_and_b32_e32 v26, 0xffff0000, v22
	v_cndmask_b32_e64 v27, 0x7fc00000, v26, s30
	s_delay_alu instid0(VALU_DEP_1) | instskip(SKIP_1) | instid1(VALU_DEP_2)
	v_dual_max_f32 v25, v27, v27 :: v_dual_lshlrev_b32 v22, 16, v8
	v_cmp_u_f32_e64 s30, v27, v27
	v_max_f32_e32 v26, v22, v22
	s_delay_alu instid0(VALU_DEP_1) | instskip(SKIP_1) | instid1(VALU_DEP_2)
	v_min_f32_e32 v28, v25, v26
	v_max_f32_e32 v25, v25, v26
	v_cndmask_b32_e64 v28, v28, v27, s30
	s_delay_alu instid0(VALU_DEP_2) | instskip(SKIP_1) | instid1(VALU_DEP_1)
	v_cndmask_b32_e64 v25, v25, v27, s30
	v_cmp_u_f32_e64 s30, v22, v22
	v_cndmask_b32_e64 v28, v28, v22, s30
	s_delay_alu instid0(VALU_DEP_3) | instskip(NEXT) | instid1(VALU_DEP_2)
	v_cndmask_b32_e64 v25, v25, v22, s30
	v_cmp_class_f32_e64 s33, v28, 0x1f8
	s_delay_alu instid0(VALU_DEP_2) | instskip(NEXT) | instid1(VALU_DEP_1)
	v_cmp_neq_f32_e64 s31, v28, v25
	s_or_b32 s31, s31, s33
	s_delay_alu instid0(SALU_CYCLE_1)
	s_and_saveexec_b32 s33, s31
	s_cbranch_execz .LBB491_62
; %bb.61:
	v_sub_f32_e32 v27, v28, v25
	s_delay_alu instid0(VALU_DEP_1) | instskip(SKIP_1) | instid1(VALU_DEP_2)
	v_mul_f32_e32 v28, 0x3fb8aa3b, v27
	v_cmp_ngt_f32_e64 s31, 0xc2ce8ed0, v27
	v_fma_f32 v29, 0x3fb8aa3b, v27, -v28
	v_rndne_f32_e32 v30, v28
	s_delay_alu instid0(VALU_DEP_1) | instskip(NEXT) | instid1(VALU_DEP_1)
	v_dual_fmamk_f32 v29, v27, 0x32a5705f, v29 :: v_dual_sub_f32 v28, v28, v30
	v_add_f32_e32 v28, v28, v29
	v_cvt_i32_f32_e32 v29, v30
	s_delay_alu instid0(VALU_DEP_2) | instskip(SKIP_2) | instid1(VALU_DEP_1)
	v_exp_f32_e32 v28, v28
	s_waitcnt_depctr 0xfff
	v_ldexp_f32 v28, v28, v29
	v_cndmask_b32_e64 v28, 0, v28, s31
	v_cmp_nlt_f32_e64 s31, 0x42b17218, v27
	s_delay_alu instid0(VALU_DEP_1) | instskip(NEXT) | instid1(VALU_DEP_1)
	v_cndmask_b32_e64 v29, 0x7f800000, v28, s31
	v_add_f32_e32 v30, 1.0, v29
	v_cmp_gt_f32_e64 s34, 0x33800000, |v29|
	s_delay_alu instid0(VALU_DEP_2) | instskip(NEXT) | instid1(VALU_DEP_1)
	v_cvt_f64_f32_e32 v[27:28], v30
	v_frexp_exp_i32_f64_e32 v27, v[27:28]
	v_frexp_mant_f32_e32 v28, v30
	s_delay_alu instid0(VALU_DEP_1) | instskip(SKIP_1) | instid1(VALU_DEP_1)
	v_cmp_gt_f32_e64 s31, 0x3f2aaaab, v28
	v_add_f32_e32 v28, -1.0, v30
	v_sub_f32_e32 v32, v28, v30
	v_sub_f32_e32 v28, v29, v28
	s_delay_alu instid0(VALU_DEP_4) | instskip(SKIP_1) | instid1(VALU_DEP_1)
	v_subrev_co_ci_u32_e64 v27, s31, 0, v27, s31
	s_mov_b32 s31, 0x3e9b6dac
	v_sub_nc_u32_e32 v31, 0, v27
	v_cvt_f32_i32_e32 v27, v27
	s_delay_alu instid0(VALU_DEP_2) | instskip(NEXT) | instid1(VALU_DEP_1)
	v_ldexp_f32 v30, v30, v31
	v_dual_add_f32 v33, 1.0, v30 :: v_dual_add_f32 v32, 1.0, v32
	s_delay_alu instid0(VALU_DEP_1) | instskip(NEXT) | instid1(VALU_DEP_2)
	v_add_f32_e32 v28, v28, v32
	v_add_f32_e32 v32, -1.0, v33
	s_delay_alu instid0(VALU_DEP_2) | instskip(NEXT) | instid1(VALU_DEP_2)
	v_ldexp_f32 v28, v28, v31
	v_dual_add_f32 v31, -1.0, v30 :: v_dual_sub_f32 v32, v30, v32
	s_delay_alu instid0(VALU_DEP_1) | instskip(NEXT) | instid1(VALU_DEP_2)
	v_add_f32_e32 v34, 1.0, v31
	v_add_f32_e32 v32, v28, v32
	s_delay_alu instid0(VALU_DEP_2) | instskip(NEXT) | instid1(VALU_DEP_2)
	v_sub_f32_e32 v30, v30, v34
	v_add_f32_e32 v34, v33, v32
	s_delay_alu instid0(VALU_DEP_2) | instskip(NEXT) | instid1(VALU_DEP_2)
	v_add_f32_e32 v28, v28, v30
	v_rcp_f32_e32 v30, v34
	v_sub_f32_e32 v33, v33, v34
	s_delay_alu instid0(VALU_DEP_1) | instskip(NEXT) | instid1(VALU_DEP_1)
	v_dual_add_f32 v35, v31, v28 :: v_dual_add_f32 v32, v32, v33
	v_sub_f32_e32 v31, v31, v35
	s_waitcnt_depctr 0xfff
	v_mul_f32_e32 v36, v35, v30
	s_delay_alu instid0(VALU_DEP_1) | instskip(NEXT) | instid1(VALU_DEP_1)
	v_dual_add_f32 v28, v28, v31 :: v_dual_mul_f32 v37, v34, v36
	v_fma_f32 v33, v36, v34, -v37
	s_delay_alu instid0(VALU_DEP_1) | instskip(NEXT) | instid1(VALU_DEP_1)
	v_fmac_f32_e32 v33, v36, v32
	v_add_f32_e32 v38, v37, v33
	s_delay_alu instid0(VALU_DEP_1) | instskip(SKIP_1) | instid1(VALU_DEP_2)
	v_sub_f32_e32 v39, v35, v38
	v_sub_f32_e32 v31, v38, v37
	;; [unrolled: 1-line block ×3, first 2 shown]
	s_delay_alu instid0(VALU_DEP_2) | instskip(NEXT) | instid1(VALU_DEP_2)
	v_sub_f32_e32 v31, v31, v33
	v_sub_f32_e32 v35, v35, v38
	s_delay_alu instid0(VALU_DEP_1) | instskip(NEXT) | instid1(VALU_DEP_1)
	v_add_f32_e32 v28, v28, v35
	v_add_f32_e32 v28, v31, v28
	s_delay_alu instid0(VALU_DEP_1) | instskip(NEXT) | instid1(VALU_DEP_1)
	v_add_f32_e32 v31, v39, v28
	v_mul_f32_e32 v33, v30, v31
	s_delay_alu instid0(VALU_DEP_1) | instskip(NEXT) | instid1(VALU_DEP_1)
	v_dual_sub_f32 v38, v39, v31 :: v_dual_mul_f32 v35, v34, v33
	v_add_f32_e32 v28, v28, v38
	s_delay_alu instid0(VALU_DEP_2) | instskip(NEXT) | instid1(VALU_DEP_1)
	v_fma_f32 v34, v33, v34, -v35
	v_fmac_f32_e32 v34, v33, v32
	s_delay_alu instid0(VALU_DEP_1) | instskip(NEXT) | instid1(VALU_DEP_1)
	v_add_f32_e32 v32, v35, v34
	v_sub_f32_e32 v37, v31, v32
	v_sub_f32_e32 v35, v32, v35
	s_delay_alu instid0(VALU_DEP_2) | instskip(NEXT) | instid1(VALU_DEP_1)
	v_sub_f32_e32 v31, v31, v37
	v_sub_f32_e32 v31, v31, v32
	s_delay_alu instid0(VALU_DEP_3) | instskip(NEXT) | instid1(VALU_DEP_2)
	v_sub_f32_e32 v32, v35, v34
	v_add_f32_e32 v28, v28, v31
	v_add_f32_e32 v31, v36, v33
	s_delay_alu instid0(VALU_DEP_2) | instskip(NEXT) | instid1(VALU_DEP_2)
	v_add_f32_e32 v28, v32, v28
	v_sub_f32_e32 v32, v31, v36
	s_delay_alu instid0(VALU_DEP_2) | instskip(NEXT) | instid1(VALU_DEP_2)
	v_add_f32_e32 v28, v37, v28
	v_sub_f32_e32 v32, v33, v32
	s_delay_alu instid0(VALU_DEP_2) | instskip(NEXT) | instid1(VALU_DEP_1)
	v_mul_f32_e32 v28, v30, v28
	v_add_f32_e32 v28, v32, v28
	s_delay_alu instid0(VALU_DEP_1) | instskip(NEXT) | instid1(VALU_DEP_1)
	v_add_f32_e32 v30, v31, v28
	v_mul_f32_e32 v32, v30, v30
	s_delay_alu instid0(VALU_DEP_1) | instskip(SKIP_2) | instid1(VALU_DEP_3)
	v_fmaak_f32 v33, s31, v32, 0x3ecc95a3
	v_mul_f32_e32 v34, v30, v32
	v_cmp_eq_f32_e64 s31, 0x7f800000, v29
	v_fmaak_f32 v32, v32, v33, 0x3f2aaada
	v_ldexp_f32 v33, v30, 1
	v_sub_f32_e32 v30, v30, v31
	s_delay_alu instid0(VALU_DEP_4) | instskip(NEXT) | instid1(VALU_DEP_3)
	s_or_b32 s31, s31, s34
	v_mul_f32_e32 v32, v34, v32
	v_mul_f32_e32 v34, 0x3f317218, v27
	s_delay_alu instid0(VALU_DEP_2) | instskip(NEXT) | instid1(VALU_DEP_1)
	v_dual_sub_f32 v28, v28, v30 :: v_dual_add_f32 v31, v33, v32
	v_ldexp_f32 v28, v28, 1
	s_delay_alu instid0(VALU_DEP_2) | instskip(NEXT) | instid1(VALU_DEP_4)
	v_sub_f32_e32 v30, v31, v33
	v_fma_f32 v33, 0x3f317218, v27, -v34
	s_delay_alu instid0(VALU_DEP_1) | instskip(NEXT) | instid1(VALU_DEP_1)
	v_dual_sub_f32 v30, v32, v30 :: v_dual_fmamk_f32 v27, v27, 0xb102e308, v33
	v_add_f32_e32 v28, v28, v30
	s_delay_alu instid0(VALU_DEP_2) | instskip(NEXT) | instid1(VALU_DEP_2)
	v_add_f32_e32 v30, v34, v27
	v_add_f32_e32 v32, v31, v28
	s_delay_alu instid0(VALU_DEP_2) | instskip(NEXT) | instid1(VALU_DEP_2)
	v_sub_f32_e32 v34, v30, v34
	v_add_f32_e32 v33, v30, v32
	v_sub_f32_e32 v31, v32, v31
	s_delay_alu instid0(VALU_DEP_3) | instskip(NEXT) | instid1(VALU_DEP_2)
	v_sub_f32_e32 v27, v27, v34
	v_dual_sub_f32 v35, v33, v30 :: v_dual_sub_f32 v28, v28, v31
	s_delay_alu instid0(VALU_DEP_1) | instskip(NEXT) | instid1(VALU_DEP_2)
	v_sub_f32_e32 v36, v33, v35
	v_dual_sub_f32 v31, v32, v35 :: v_dual_add_f32 v32, v27, v28
	s_delay_alu instid0(VALU_DEP_2) | instskip(NEXT) | instid1(VALU_DEP_1)
	v_sub_f32_e32 v30, v30, v36
	v_dual_add_f32 v30, v31, v30 :: v_dual_sub_f32 v31, v32, v27
	s_delay_alu instid0(VALU_DEP_1) | instskip(NEXT) | instid1(VALU_DEP_2)
	v_add_f32_e32 v30, v32, v30
	v_sub_f32_e32 v32, v32, v31
	v_sub_f32_e32 v28, v28, v31
	s_delay_alu instid0(VALU_DEP_2) | instskip(NEXT) | instid1(VALU_DEP_1)
	v_dual_add_f32 v34, v33, v30 :: v_dual_sub_f32 v27, v27, v32
	v_sub_f32_e32 v31, v34, v33
	s_delay_alu instid0(VALU_DEP_2) | instskip(NEXT) | instid1(VALU_DEP_2)
	v_add_f32_e32 v27, v28, v27
	v_sub_f32_e32 v28, v30, v31
	s_delay_alu instid0(VALU_DEP_1) | instskip(NEXT) | instid1(VALU_DEP_1)
	v_add_f32_e32 v27, v27, v28
	v_add_f32_e32 v27, v34, v27
	s_delay_alu instid0(VALU_DEP_1) | instskip(NEXT) | instid1(VALU_DEP_1)
	v_cndmask_b32_e64 v27, v27, v29, s31
	v_add_f32_e32 v27, v25, v27
.LBB491_62:
	s_or_b32 exec_lo, exec_lo, s33
	s_delay_alu instid0(VALU_DEP_1) | instskip(SKIP_1) | instid1(VALU_DEP_2)
	v_bfe_u32 v25, v27, 16, 1
	v_cmp_o_f32_e64 s31, v27, v27
	v_add3_u32 v25, v27, v25, 0x7fff
	s_delay_alu instid0(VALU_DEP_1) | instskip(NEXT) | instid1(VALU_DEP_1)
	v_and_b32_e32 v25, 0xffff0000, v25
	v_cndmask_b32_e64 v28, 0x7fc00000, v25, s31
	s_delay_alu instid0(VALU_DEP_1) | instskip(SKIP_2) | instid1(VALU_DEP_2)
	v_max_f32_e32 v25, v28, v28
	v_and_b32_e32 v8, 0xffff0000, v8
	v_cmp_u_f32_e64 s31, v28, v28
	v_max_f32_e32 v27, v8, v8
	s_delay_alu instid0(VALU_DEP_1) | instskip(SKIP_1) | instid1(VALU_DEP_2)
	v_min_f32_e32 v29, v25, v27
	v_max_f32_e32 v25, v25, v27
	v_cndmask_b32_e64 v29, v29, v28, s31
	s_delay_alu instid0(VALU_DEP_2) | instskip(SKIP_1) | instid1(VALU_DEP_1)
	v_cndmask_b32_e64 v25, v25, v28, s31
	v_cmp_u_f32_e64 s31, v8, v8
	v_cndmask_b32_e64 v29, v29, v8, s31
	s_delay_alu instid0(VALU_DEP_3) | instskip(NEXT) | instid1(VALU_DEP_2)
	v_cndmask_b32_e64 v25, v25, v8, s31
	v_cmp_class_f32_e64 s34, v29, 0x1f8
	s_delay_alu instid0(VALU_DEP_2) | instskip(NEXT) | instid1(VALU_DEP_1)
	v_cmp_neq_f32_e64 s33, v29, v25
	s_or_b32 s33, s33, s34
	s_delay_alu instid0(SALU_CYCLE_1)
	s_and_saveexec_b32 s34, s33
	s_cbranch_execz .LBB491_64
; %bb.63:
	v_sub_f32_e32 v28, v29, v25
	s_delay_alu instid0(VALU_DEP_1) | instskip(SKIP_1) | instid1(VALU_DEP_2)
	v_mul_f32_e32 v29, 0x3fb8aa3b, v28
	v_cmp_ngt_f32_e64 s33, 0xc2ce8ed0, v28
	v_fma_f32 v30, 0x3fb8aa3b, v28, -v29
	v_rndne_f32_e32 v31, v29
	s_delay_alu instid0(VALU_DEP_1) | instskip(NEXT) | instid1(VALU_DEP_1)
	v_dual_fmamk_f32 v30, v28, 0x32a5705f, v30 :: v_dual_sub_f32 v29, v29, v31
	v_add_f32_e32 v29, v29, v30
	v_cvt_i32_f32_e32 v30, v31
	s_delay_alu instid0(VALU_DEP_2) | instskip(SKIP_2) | instid1(VALU_DEP_1)
	v_exp_f32_e32 v29, v29
	s_waitcnt_depctr 0xfff
	v_ldexp_f32 v29, v29, v30
	v_cndmask_b32_e64 v29, 0, v29, s33
	v_cmp_nlt_f32_e64 s33, 0x42b17218, v28
	s_delay_alu instid0(VALU_DEP_1) | instskip(NEXT) | instid1(VALU_DEP_1)
	v_cndmask_b32_e64 v30, 0x7f800000, v29, s33
	v_add_f32_e32 v31, 1.0, v30
	v_cmp_gt_f32_e64 s35, 0x33800000, |v30|
	s_delay_alu instid0(VALU_DEP_2) | instskip(NEXT) | instid1(VALU_DEP_1)
	v_cvt_f64_f32_e32 v[28:29], v31
	v_frexp_exp_i32_f64_e32 v28, v[28:29]
	v_frexp_mant_f32_e32 v29, v31
	s_delay_alu instid0(VALU_DEP_1) | instskip(SKIP_1) | instid1(VALU_DEP_1)
	v_cmp_gt_f32_e64 s33, 0x3f2aaaab, v29
	v_add_f32_e32 v29, -1.0, v31
	v_sub_f32_e32 v33, v29, v31
	v_sub_f32_e32 v29, v30, v29
	s_delay_alu instid0(VALU_DEP_4) | instskip(SKIP_1) | instid1(VALU_DEP_1)
	v_subrev_co_ci_u32_e64 v28, s33, 0, v28, s33
	s_mov_b32 s33, 0x3e9b6dac
	v_sub_nc_u32_e32 v32, 0, v28
	v_cvt_f32_i32_e32 v28, v28
	s_delay_alu instid0(VALU_DEP_2) | instskip(NEXT) | instid1(VALU_DEP_1)
	v_ldexp_f32 v31, v31, v32
	v_dual_add_f32 v34, 1.0, v31 :: v_dual_add_f32 v33, 1.0, v33
	s_delay_alu instid0(VALU_DEP_1) | instskip(NEXT) | instid1(VALU_DEP_2)
	v_add_f32_e32 v29, v29, v33
	v_add_f32_e32 v33, -1.0, v34
	s_delay_alu instid0(VALU_DEP_2) | instskip(NEXT) | instid1(VALU_DEP_2)
	v_ldexp_f32 v29, v29, v32
	v_dual_add_f32 v32, -1.0, v31 :: v_dual_sub_f32 v33, v31, v33
	s_delay_alu instid0(VALU_DEP_1) | instskip(NEXT) | instid1(VALU_DEP_2)
	v_add_f32_e32 v35, 1.0, v32
	v_add_f32_e32 v33, v29, v33
	s_delay_alu instid0(VALU_DEP_2) | instskip(NEXT) | instid1(VALU_DEP_2)
	v_sub_f32_e32 v31, v31, v35
	v_add_f32_e32 v35, v34, v33
	s_delay_alu instid0(VALU_DEP_2) | instskip(NEXT) | instid1(VALU_DEP_2)
	v_add_f32_e32 v29, v29, v31
	v_rcp_f32_e32 v31, v35
	v_sub_f32_e32 v34, v34, v35
	s_delay_alu instid0(VALU_DEP_1) | instskip(NEXT) | instid1(VALU_DEP_1)
	v_dual_add_f32 v36, v32, v29 :: v_dual_add_f32 v33, v33, v34
	v_sub_f32_e32 v32, v32, v36
	s_waitcnt_depctr 0xfff
	v_mul_f32_e32 v37, v36, v31
	s_delay_alu instid0(VALU_DEP_1) | instskip(NEXT) | instid1(VALU_DEP_1)
	v_dual_add_f32 v29, v29, v32 :: v_dual_mul_f32 v38, v35, v37
	v_fma_f32 v34, v37, v35, -v38
	s_delay_alu instid0(VALU_DEP_1) | instskip(NEXT) | instid1(VALU_DEP_1)
	v_fmac_f32_e32 v34, v37, v33
	v_add_f32_e32 v39, v38, v34
	s_delay_alu instid0(VALU_DEP_1) | instskip(SKIP_1) | instid1(VALU_DEP_2)
	v_sub_f32_e32 v40, v36, v39
	v_sub_f32_e32 v32, v39, v38
	;; [unrolled: 1-line block ×3, first 2 shown]
	s_delay_alu instid0(VALU_DEP_2) | instskip(NEXT) | instid1(VALU_DEP_2)
	v_sub_f32_e32 v32, v32, v34
	v_sub_f32_e32 v36, v36, v39
	s_delay_alu instid0(VALU_DEP_1) | instskip(NEXT) | instid1(VALU_DEP_1)
	v_add_f32_e32 v29, v29, v36
	v_add_f32_e32 v29, v32, v29
	s_delay_alu instid0(VALU_DEP_1) | instskip(NEXT) | instid1(VALU_DEP_1)
	v_add_f32_e32 v32, v40, v29
	v_mul_f32_e32 v34, v31, v32
	s_delay_alu instid0(VALU_DEP_1) | instskip(NEXT) | instid1(VALU_DEP_1)
	v_dual_sub_f32 v39, v40, v32 :: v_dual_mul_f32 v36, v35, v34
	v_add_f32_e32 v29, v29, v39
	s_delay_alu instid0(VALU_DEP_2) | instskip(NEXT) | instid1(VALU_DEP_1)
	v_fma_f32 v35, v34, v35, -v36
	v_fmac_f32_e32 v35, v34, v33
	s_delay_alu instid0(VALU_DEP_1) | instskip(NEXT) | instid1(VALU_DEP_1)
	v_add_f32_e32 v33, v36, v35
	v_sub_f32_e32 v38, v32, v33
	v_sub_f32_e32 v36, v33, v36
	s_delay_alu instid0(VALU_DEP_2) | instskip(NEXT) | instid1(VALU_DEP_1)
	v_sub_f32_e32 v32, v32, v38
	v_sub_f32_e32 v32, v32, v33
	s_delay_alu instid0(VALU_DEP_3) | instskip(NEXT) | instid1(VALU_DEP_2)
	v_sub_f32_e32 v33, v36, v35
	v_add_f32_e32 v29, v29, v32
	v_add_f32_e32 v32, v37, v34
	s_delay_alu instid0(VALU_DEP_2) | instskip(NEXT) | instid1(VALU_DEP_2)
	v_add_f32_e32 v29, v33, v29
	v_sub_f32_e32 v33, v32, v37
	s_delay_alu instid0(VALU_DEP_2) | instskip(NEXT) | instid1(VALU_DEP_2)
	v_add_f32_e32 v29, v38, v29
	v_sub_f32_e32 v33, v34, v33
	s_delay_alu instid0(VALU_DEP_2) | instskip(NEXT) | instid1(VALU_DEP_1)
	v_mul_f32_e32 v29, v31, v29
	v_add_f32_e32 v29, v33, v29
	s_delay_alu instid0(VALU_DEP_1) | instskip(NEXT) | instid1(VALU_DEP_1)
	v_add_f32_e32 v31, v32, v29
	v_mul_f32_e32 v33, v31, v31
	s_delay_alu instid0(VALU_DEP_1) | instskip(SKIP_2) | instid1(VALU_DEP_3)
	v_fmaak_f32 v34, s33, v33, 0x3ecc95a3
	v_mul_f32_e32 v35, v31, v33
	v_cmp_eq_f32_e64 s33, 0x7f800000, v30
	v_fmaak_f32 v33, v33, v34, 0x3f2aaada
	v_ldexp_f32 v34, v31, 1
	v_sub_f32_e32 v31, v31, v32
	s_delay_alu instid0(VALU_DEP_4) | instskip(NEXT) | instid1(VALU_DEP_3)
	s_or_b32 s33, s33, s35
	v_mul_f32_e32 v33, v35, v33
	v_mul_f32_e32 v35, 0x3f317218, v28
	s_delay_alu instid0(VALU_DEP_2) | instskip(NEXT) | instid1(VALU_DEP_1)
	v_dual_sub_f32 v29, v29, v31 :: v_dual_add_f32 v32, v34, v33
	v_ldexp_f32 v29, v29, 1
	s_delay_alu instid0(VALU_DEP_2) | instskip(NEXT) | instid1(VALU_DEP_4)
	v_sub_f32_e32 v31, v32, v34
	v_fma_f32 v34, 0x3f317218, v28, -v35
	s_delay_alu instid0(VALU_DEP_1) | instskip(NEXT) | instid1(VALU_DEP_1)
	v_dual_sub_f32 v31, v33, v31 :: v_dual_fmamk_f32 v28, v28, 0xb102e308, v34
	v_add_f32_e32 v29, v29, v31
	s_delay_alu instid0(VALU_DEP_2) | instskip(NEXT) | instid1(VALU_DEP_2)
	v_add_f32_e32 v31, v35, v28
	v_add_f32_e32 v33, v32, v29
	s_delay_alu instid0(VALU_DEP_2) | instskip(NEXT) | instid1(VALU_DEP_2)
	v_sub_f32_e32 v35, v31, v35
	v_add_f32_e32 v34, v31, v33
	v_sub_f32_e32 v32, v33, v32
	s_delay_alu instid0(VALU_DEP_3) | instskip(NEXT) | instid1(VALU_DEP_2)
	v_sub_f32_e32 v28, v28, v35
	v_dual_sub_f32 v36, v34, v31 :: v_dual_sub_f32 v29, v29, v32
	s_delay_alu instid0(VALU_DEP_1) | instskip(NEXT) | instid1(VALU_DEP_2)
	v_sub_f32_e32 v37, v34, v36
	v_dual_sub_f32 v32, v33, v36 :: v_dual_add_f32 v33, v28, v29
	s_delay_alu instid0(VALU_DEP_2) | instskip(NEXT) | instid1(VALU_DEP_1)
	v_sub_f32_e32 v31, v31, v37
	v_dual_add_f32 v31, v32, v31 :: v_dual_sub_f32 v32, v33, v28
	s_delay_alu instid0(VALU_DEP_1) | instskip(NEXT) | instid1(VALU_DEP_2)
	v_add_f32_e32 v31, v33, v31
	v_sub_f32_e32 v33, v33, v32
	v_sub_f32_e32 v29, v29, v32
	s_delay_alu instid0(VALU_DEP_2) | instskip(NEXT) | instid1(VALU_DEP_1)
	v_dual_add_f32 v35, v34, v31 :: v_dual_sub_f32 v28, v28, v33
	v_sub_f32_e32 v32, v35, v34
	s_delay_alu instid0(VALU_DEP_2) | instskip(NEXT) | instid1(VALU_DEP_2)
	v_add_f32_e32 v28, v29, v28
	v_sub_f32_e32 v29, v31, v32
	s_delay_alu instid0(VALU_DEP_1) | instskip(NEXT) | instid1(VALU_DEP_1)
	v_add_f32_e32 v28, v28, v29
	v_add_f32_e32 v28, v35, v28
	s_delay_alu instid0(VALU_DEP_1) | instskip(NEXT) | instid1(VALU_DEP_1)
	v_cndmask_b32_e64 v28, v28, v30, s33
	v_add_f32_e32 v28, v25, v28
.LBB491_64:
	s_or_b32 exec_lo, exec_lo, s34
	s_delay_alu instid0(VALU_DEP_1) | instskip(SKIP_1) | instid1(VALU_DEP_2)
	v_bfe_u32 v25, v28, 16, 1
	v_cmp_o_f32_e64 s33, v28, v28
	v_add3_u32 v25, v28, v25, 0x7fff
	s_delay_alu instid0(VALU_DEP_1) | instskip(SKIP_1) | instid1(VALU_DEP_2)
	v_and_b32_e32 v29, 0xffff0000, v25
	v_lshlrev_b32_e32 v25, 16, v9
	v_cndmask_b32_e64 v30, 0x7fc00000, v29, s33
	s_delay_alu instid0(VALU_DEP_1) | instskip(SKIP_1) | instid1(VALU_DEP_2)
	v_dual_max_f32 v29, v25, v25 :: v_dual_max_f32 v28, v30, v30
	v_cmp_u_f32_e64 s33, v30, v30
	v_min_f32_e32 v31, v28, v29
	v_max_f32_e32 v28, v28, v29
	s_delay_alu instid0(VALU_DEP_2) | instskip(NEXT) | instid1(VALU_DEP_2)
	v_cndmask_b32_e64 v31, v31, v30, s33
	v_cndmask_b32_e64 v28, v28, v30, s33
	v_cmp_u_f32_e64 s33, v25, v25
	s_delay_alu instid0(VALU_DEP_1) | instskip(NEXT) | instid1(VALU_DEP_3)
	v_cndmask_b32_e64 v31, v31, v25, s33
	v_cndmask_b32_e64 v28, v28, v25, s33
	s_delay_alu instid0(VALU_DEP_2) | instskip(NEXT) | instid1(VALU_DEP_2)
	v_cmp_class_f32_e64 s35, v31, 0x1f8
	v_cmp_neq_f32_e64 s34, v31, v28
	s_delay_alu instid0(VALU_DEP_1) | instskip(NEXT) | instid1(SALU_CYCLE_1)
	s_or_b32 s34, s34, s35
	s_and_saveexec_b32 s35, s34
	s_cbranch_execz .LBB491_66
; %bb.65:
	v_sub_f32_e32 v30, v31, v28
	s_delay_alu instid0(VALU_DEP_1) | instskip(SKIP_1) | instid1(VALU_DEP_2)
	v_mul_f32_e32 v31, 0x3fb8aa3b, v30
	v_cmp_ngt_f32_e64 s34, 0xc2ce8ed0, v30
	v_fma_f32 v32, 0x3fb8aa3b, v30, -v31
	v_rndne_f32_e32 v33, v31
	s_delay_alu instid0(VALU_DEP_1) | instskip(NEXT) | instid1(VALU_DEP_1)
	v_dual_fmamk_f32 v32, v30, 0x32a5705f, v32 :: v_dual_sub_f32 v31, v31, v33
	v_add_f32_e32 v31, v31, v32
	v_cvt_i32_f32_e32 v32, v33
	s_delay_alu instid0(VALU_DEP_2) | instskip(SKIP_2) | instid1(VALU_DEP_1)
	v_exp_f32_e32 v31, v31
	s_waitcnt_depctr 0xfff
	v_ldexp_f32 v31, v31, v32
	v_cndmask_b32_e64 v31, 0, v31, s34
	v_cmp_nlt_f32_e64 s34, 0x42b17218, v30
	s_delay_alu instid0(VALU_DEP_1) | instskip(NEXT) | instid1(VALU_DEP_1)
	v_cndmask_b32_e64 v32, 0x7f800000, v31, s34
	v_add_f32_e32 v33, 1.0, v32
	v_cmp_gt_f32_e64 s36, 0x33800000, |v32|
	s_delay_alu instid0(VALU_DEP_2) | instskip(NEXT) | instid1(VALU_DEP_1)
	v_cvt_f64_f32_e32 v[30:31], v33
	v_frexp_exp_i32_f64_e32 v30, v[30:31]
	v_frexp_mant_f32_e32 v31, v33
	s_delay_alu instid0(VALU_DEP_1) | instskip(SKIP_1) | instid1(VALU_DEP_1)
	v_cmp_gt_f32_e64 s34, 0x3f2aaaab, v31
	v_add_f32_e32 v31, -1.0, v33
	v_sub_f32_e32 v35, v31, v33
	v_sub_f32_e32 v31, v32, v31
	s_delay_alu instid0(VALU_DEP_4) | instskip(SKIP_1) | instid1(VALU_DEP_1)
	v_subrev_co_ci_u32_e64 v30, s34, 0, v30, s34
	s_mov_b32 s34, 0x3e9b6dac
	v_sub_nc_u32_e32 v34, 0, v30
	v_cvt_f32_i32_e32 v30, v30
	s_delay_alu instid0(VALU_DEP_2) | instskip(NEXT) | instid1(VALU_DEP_1)
	v_ldexp_f32 v33, v33, v34
	v_dual_add_f32 v36, 1.0, v33 :: v_dual_add_f32 v35, 1.0, v35
	s_delay_alu instid0(VALU_DEP_1) | instskip(NEXT) | instid1(VALU_DEP_2)
	v_add_f32_e32 v31, v31, v35
	v_add_f32_e32 v35, -1.0, v36
	s_delay_alu instid0(VALU_DEP_2) | instskip(NEXT) | instid1(VALU_DEP_2)
	v_ldexp_f32 v31, v31, v34
	v_dual_add_f32 v34, -1.0, v33 :: v_dual_sub_f32 v35, v33, v35
	s_delay_alu instid0(VALU_DEP_1) | instskip(NEXT) | instid1(VALU_DEP_2)
	v_add_f32_e32 v37, 1.0, v34
	v_add_f32_e32 v35, v31, v35
	s_delay_alu instid0(VALU_DEP_2) | instskip(NEXT) | instid1(VALU_DEP_2)
	v_sub_f32_e32 v33, v33, v37
	v_add_f32_e32 v37, v36, v35
	s_delay_alu instid0(VALU_DEP_2) | instskip(NEXT) | instid1(VALU_DEP_2)
	v_add_f32_e32 v31, v31, v33
	v_rcp_f32_e32 v33, v37
	v_sub_f32_e32 v36, v36, v37
	s_delay_alu instid0(VALU_DEP_1) | instskip(NEXT) | instid1(VALU_DEP_1)
	v_dual_add_f32 v38, v34, v31 :: v_dual_add_f32 v35, v35, v36
	v_sub_f32_e32 v34, v34, v38
	s_waitcnt_depctr 0xfff
	v_mul_f32_e32 v39, v38, v33
	s_delay_alu instid0(VALU_DEP_1) | instskip(NEXT) | instid1(VALU_DEP_1)
	v_dual_add_f32 v31, v31, v34 :: v_dual_mul_f32 v40, v37, v39
	v_fma_f32 v36, v39, v37, -v40
	s_delay_alu instid0(VALU_DEP_1) | instskip(NEXT) | instid1(VALU_DEP_1)
	v_fmac_f32_e32 v36, v39, v35
	v_add_f32_e32 v41, v40, v36
	s_delay_alu instid0(VALU_DEP_1) | instskip(NEXT) | instid1(VALU_DEP_1)
	v_dual_sub_f32 v43, v38, v41 :: v_dual_sub_f32 v34, v41, v40
	v_sub_f32_e32 v38, v38, v43
	s_delay_alu instid0(VALU_DEP_2) | instskip(NEXT) | instid1(VALU_DEP_2)
	v_sub_f32_e32 v34, v34, v36
	v_sub_f32_e32 v38, v38, v41
	s_delay_alu instid0(VALU_DEP_1) | instskip(NEXT) | instid1(VALU_DEP_1)
	v_add_f32_e32 v31, v31, v38
	v_add_f32_e32 v31, v34, v31
	s_delay_alu instid0(VALU_DEP_1) | instskip(NEXT) | instid1(VALU_DEP_1)
	v_add_f32_e32 v34, v43, v31
	v_mul_f32_e32 v36, v33, v34
	s_delay_alu instid0(VALU_DEP_1) | instskip(NEXT) | instid1(VALU_DEP_1)
	v_dual_sub_f32 v41, v43, v34 :: v_dual_mul_f32 v38, v37, v36
	v_add_f32_e32 v31, v31, v41
	s_delay_alu instid0(VALU_DEP_2) | instskip(NEXT) | instid1(VALU_DEP_1)
	v_fma_f32 v37, v36, v37, -v38
	v_fmac_f32_e32 v37, v36, v35
	s_delay_alu instid0(VALU_DEP_1) | instskip(NEXT) | instid1(VALU_DEP_1)
	v_add_f32_e32 v35, v38, v37
	v_sub_f32_e32 v40, v34, v35
	v_sub_f32_e32 v38, v35, v38
	s_delay_alu instid0(VALU_DEP_2) | instskip(NEXT) | instid1(VALU_DEP_1)
	v_sub_f32_e32 v34, v34, v40
	v_sub_f32_e32 v34, v34, v35
	s_delay_alu instid0(VALU_DEP_3) | instskip(NEXT) | instid1(VALU_DEP_2)
	v_sub_f32_e32 v35, v38, v37
	v_add_f32_e32 v31, v31, v34
	v_add_f32_e32 v34, v39, v36
	s_delay_alu instid0(VALU_DEP_2) | instskip(NEXT) | instid1(VALU_DEP_2)
	v_add_f32_e32 v31, v35, v31
	v_sub_f32_e32 v35, v34, v39
	s_delay_alu instid0(VALU_DEP_2) | instskip(NEXT) | instid1(VALU_DEP_2)
	v_add_f32_e32 v31, v40, v31
	v_sub_f32_e32 v35, v36, v35
	s_delay_alu instid0(VALU_DEP_2) | instskip(NEXT) | instid1(VALU_DEP_1)
	v_mul_f32_e32 v31, v33, v31
	v_add_f32_e32 v31, v35, v31
	s_delay_alu instid0(VALU_DEP_1) | instskip(NEXT) | instid1(VALU_DEP_1)
	v_add_f32_e32 v33, v34, v31
	v_mul_f32_e32 v35, v33, v33
	s_delay_alu instid0(VALU_DEP_1) | instskip(SKIP_2) | instid1(VALU_DEP_3)
	v_fmaak_f32 v36, s34, v35, 0x3ecc95a3
	v_mul_f32_e32 v37, v33, v35
	v_cmp_eq_f32_e64 s34, 0x7f800000, v32
	v_fmaak_f32 v35, v35, v36, 0x3f2aaada
	v_ldexp_f32 v36, v33, 1
	v_sub_f32_e32 v33, v33, v34
	s_delay_alu instid0(VALU_DEP_4) | instskip(NEXT) | instid1(VALU_DEP_3)
	s_or_b32 s34, s34, s36
	v_mul_f32_e32 v35, v37, v35
	v_mul_f32_e32 v37, 0x3f317218, v30
	s_delay_alu instid0(VALU_DEP_2) | instskip(NEXT) | instid1(VALU_DEP_1)
	v_dual_sub_f32 v31, v31, v33 :: v_dual_add_f32 v34, v36, v35
	v_ldexp_f32 v31, v31, 1
	s_delay_alu instid0(VALU_DEP_2) | instskip(NEXT) | instid1(VALU_DEP_4)
	v_sub_f32_e32 v33, v34, v36
	v_fma_f32 v36, 0x3f317218, v30, -v37
	s_delay_alu instid0(VALU_DEP_1) | instskip(NEXT) | instid1(VALU_DEP_1)
	v_dual_sub_f32 v33, v35, v33 :: v_dual_fmamk_f32 v30, v30, 0xb102e308, v36
	v_add_f32_e32 v31, v31, v33
	s_delay_alu instid0(VALU_DEP_2) | instskip(NEXT) | instid1(VALU_DEP_2)
	v_add_f32_e32 v33, v37, v30
	v_add_f32_e32 v35, v34, v31
	s_delay_alu instid0(VALU_DEP_2) | instskip(NEXT) | instid1(VALU_DEP_2)
	v_sub_f32_e32 v37, v33, v37
	v_add_f32_e32 v36, v33, v35
	v_sub_f32_e32 v34, v35, v34
	s_delay_alu instid0(VALU_DEP_3) | instskip(NEXT) | instid1(VALU_DEP_2)
	v_sub_f32_e32 v30, v30, v37
	v_dual_sub_f32 v38, v36, v33 :: v_dual_sub_f32 v31, v31, v34
	s_delay_alu instid0(VALU_DEP_1) | instskip(NEXT) | instid1(VALU_DEP_2)
	v_sub_f32_e32 v39, v36, v38
	v_dual_sub_f32 v34, v35, v38 :: v_dual_add_f32 v35, v30, v31
	s_delay_alu instid0(VALU_DEP_2) | instskip(NEXT) | instid1(VALU_DEP_1)
	v_sub_f32_e32 v33, v33, v39
	v_dual_add_f32 v33, v34, v33 :: v_dual_sub_f32 v34, v35, v30
	s_delay_alu instid0(VALU_DEP_1) | instskip(NEXT) | instid1(VALU_DEP_2)
	v_add_f32_e32 v33, v35, v33
	v_sub_f32_e32 v35, v35, v34
	v_sub_f32_e32 v31, v31, v34
	s_delay_alu instid0(VALU_DEP_2) | instskip(NEXT) | instid1(VALU_DEP_1)
	v_dual_add_f32 v37, v36, v33 :: v_dual_sub_f32 v30, v30, v35
	v_sub_f32_e32 v34, v37, v36
	s_delay_alu instid0(VALU_DEP_2) | instskip(NEXT) | instid1(VALU_DEP_2)
	v_add_f32_e32 v30, v31, v30
	v_sub_f32_e32 v31, v33, v34
	s_delay_alu instid0(VALU_DEP_1) | instskip(NEXT) | instid1(VALU_DEP_1)
	v_add_f32_e32 v30, v30, v31
	v_add_f32_e32 v30, v37, v30
	s_delay_alu instid0(VALU_DEP_1) | instskip(NEXT) | instid1(VALU_DEP_1)
	v_cndmask_b32_e64 v30, v30, v32, s34
	v_add_f32_e32 v30, v28, v30
.LBB491_66:
	s_or_b32 exec_lo, exec_lo, s35
	s_delay_alu instid0(VALU_DEP_1) | instskip(SKIP_1) | instid1(VALU_DEP_2)
	v_bfe_u32 v28, v30, 16, 1
	v_cmp_o_f32_e64 s34, v30, v30
	v_add3_u32 v28, v30, v28, 0x7fff
	s_delay_alu instid0(VALU_DEP_1) | instskip(NEXT) | instid1(VALU_DEP_1)
	v_and_b32_e32 v28, 0xffff0000, v28
	v_cndmask_b32_e64 v31, 0x7fc00000, v28, s34
	s_delay_alu instid0(VALU_DEP_1) | instskip(NEXT) | instid1(VALU_DEP_1)
	v_dual_max_f32 v28, v31, v31 :: v_dual_and_b32 v9, 0xffff0000, v9
	v_max_f32_e32 v30, v9, v9
	v_cmp_u_f32_e64 s34, v31, v31
	s_delay_alu instid0(VALU_DEP_2) | instskip(SKIP_1) | instid1(VALU_DEP_2)
	v_min_f32_e32 v32, v28, v30
	v_max_f32_e32 v28, v28, v30
	v_cndmask_b32_e64 v32, v32, v31, s34
	s_delay_alu instid0(VALU_DEP_2) | instskip(SKIP_1) | instid1(VALU_DEP_1)
	v_cndmask_b32_e64 v28, v28, v31, s34
	v_cmp_u_f32_e64 s34, v9, v9
	v_cndmask_b32_e64 v32, v32, v9, s34
	s_delay_alu instid0(VALU_DEP_3) | instskip(NEXT) | instid1(VALU_DEP_2)
	v_cndmask_b32_e64 v28, v28, v9, s34
	v_cmp_class_f32_e64 s36, v32, 0x1f8
	s_delay_alu instid0(VALU_DEP_2) | instskip(NEXT) | instid1(VALU_DEP_1)
	v_cmp_neq_f32_e64 s35, v32, v28
	s_or_b32 s35, s35, s36
	s_delay_alu instid0(SALU_CYCLE_1)
	s_and_saveexec_b32 s36, s35
	s_cbranch_execz .LBB491_68
; %bb.67:
	v_sub_f32_e32 v31, v32, v28
	s_delay_alu instid0(VALU_DEP_1) | instskip(SKIP_1) | instid1(VALU_DEP_2)
	v_mul_f32_e32 v32, 0x3fb8aa3b, v31
	v_cmp_ngt_f32_e64 s35, 0xc2ce8ed0, v31
	v_fma_f32 v33, 0x3fb8aa3b, v31, -v32
	v_rndne_f32_e32 v34, v32
	s_delay_alu instid0(VALU_DEP_1) | instskip(NEXT) | instid1(VALU_DEP_1)
	v_dual_fmamk_f32 v33, v31, 0x32a5705f, v33 :: v_dual_sub_f32 v32, v32, v34
	v_add_f32_e32 v32, v32, v33
	v_cvt_i32_f32_e32 v33, v34
	s_delay_alu instid0(VALU_DEP_2) | instskip(SKIP_2) | instid1(VALU_DEP_1)
	v_exp_f32_e32 v32, v32
	s_waitcnt_depctr 0xfff
	v_ldexp_f32 v32, v32, v33
	v_cndmask_b32_e64 v32, 0, v32, s35
	v_cmp_nlt_f32_e64 s35, 0x42b17218, v31
	s_delay_alu instid0(VALU_DEP_1) | instskip(NEXT) | instid1(VALU_DEP_1)
	v_cndmask_b32_e64 v33, 0x7f800000, v32, s35
	v_add_f32_e32 v34, 1.0, v33
	v_cmp_gt_f32_e64 s37, 0x33800000, |v33|
	s_delay_alu instid0(VALU_DEP_2) | instskip(NEXT) | instid1(VALU_DEP_1)
	v_cvt_f64_f32_e32 v[31:32], v34
	v_frexp_exp_i32_f64_e32 v31, v[31:32]
	v_frexp_mant_f32_e32 v32, v34
	s_delay_alu instid0(VALU_DEP_1) | instskip(SKIP_1) | instid1(VALU_DEP_1)
	v_cmp_gt_f32_e64 s35, 0x3f2aaaab, v32
	v_add_f32_e32 v32, -1.0, v34
	v_sub_f32_e32 v36, v32, v34
	v_sub_f32_e32 v32, v33, v32
	s_delay_alu instid0(VALU_DEP_4) | instskip(SKIP_1) | instid1(VALU_DEP_1)
	v_subrev_co_ci_u32_e64 v31, s35, 0, v31, s35
	s_mov_b32 s35, 0x3e9b6dac
	v_sub_nc_u32_e32 v35, 0, v31
	v_cvt_f32_i32_e32 v31, v31
	s_delay_alu instid0(VALU_DEP_2) | instskip(NEXT) | instid1(VALU_DEP_1)
	v_ldexp_f32 v34, v34, v35
	v_dual_add_f32 v37, 1.0, v34 :: v_dual_add_f32 v36, 1.0, v36
	s_delay_alu instid0(VALU_DEP_1) | instskip(NEXT) | instid1(VALU_DEP_2)
	v_add_f32_e32 v32, v32, v36
	v_add_f32_e32 v36, -1.0, v37
	s_delay_alu instid0(VALU_DEP_2) | instskip(NEXT) | instid1(VALU_DEP_2)
	v_ldexp_f32 v32, v32, v35
	v_dual_add_f32 v35, -1.0, v34 :: v_dual_sub_f32 v36, v34, v36
	s_delay_alu instid0(VALU_DEP_1) | instskip(NEXT) | instid1(VALU_DEP_2)
	v_add_f32_e32 v38, 1.0, v35
	v_add_f32_e32 v36, v32, v36
	s_delay_alu instid0(VALU_DEP_2) | instskip(NEXT) | instid1(VALU_DEP_2)
	v_sub_f32_e32 v34, v34, v38
	v_add_f32_e32 v38, v37, v36
	s_delay_alu instid0(VALU_DEP_2) | instskip(NEXT) | instid1(VALU_DEP_2)
	v_add_f32_e32 v32, v32, v34
	v_rcp_f32_e32 v34, v38
	v_sub_f32_e32 v37, v37, v38
	s_delay_alu instid0(VALU_DEP_1) | instskip(NEXT) | instid1(VALU_DEP_1)
	v_dual_add_f32 v39, v35, v32 :: v_dual_add_f32 v36, v36, v37
	v_sub_f32_e32 v35, v35, v39
	s_waitcnt_depctr 0xfff
	v_mul_f32_e32 v40, v39, v34
	s_delay_alu instid0(VALU_DEP_1) | instskip(NEXT) | instid1(VALU_DEP_1)
	v_dual_add_f32 v32, v32, v35 :: v_dual_mul_f32 v41, v38, v40
	v_fma_f32 v37, v40, v38, -v41
	s_delay_alu instid0(VALU_DEP_1) | instskip(NEXT) | instid1(VALU_DEP_1)
	v_fmac_f32_e32 v37, v40, v36
	v_add_f32_e32 v43, v41, v37
	s_delay_alu instid0(VALU_DEP_1) | instskip(SKIP_1) | instid1(VALU_DEP_2)
	v_sub_f32_e32 v44, v39, v43
	v_sub_f32_e32 v35, v43, v41
	;; [unrolled: 1-line block ×3, first 2 shown]
	s_delay_alu instid0(VALU_DEP_2) | instskip(NEXT) | instid1(VALU_DEP_2)
	v_sub_f32_e32 v35, v35, v37
	v_sub_f32_e32 v39, v39, v43
	s_delay_alu instid0(VALU_DEP_1) | instskip(NEXT) | instid1(VALU_DEP_1)
	v_add_f32_e32 v32, v32, v39
	v_add_f32_e32 v32, v35, v32
	s_delay_alu instid0(VALU_DEP_1) | instskip(NEXT) | instid1(VALU_DEP_1)
	v_add_f32_e32 v35, v44, v32
	v_sub_f32_e32 v43, v44, v35
	v_mul_f32_e32 v37, v34, v35
	s_delay_alu instid0(VALU_DEP_1) | instskip(NEXT) | instid1(VALU_DEP_1)
	v_mul_f32_e32 v39, v38, v37
	v_fma_f32 v38, v37, v38, -v39
	s_delay_alu instid0(VALU_DEP_1) | instskip(NEXT) | instid1(VALU_DEP_1)
	v_fmac_f32_e32 v38, v37, v36
	v_add_f32_e32 v36, v39, v38
	s_delay_alu instid0(VALU_DEP_1) | instskip(SKIP_1) | instid1(VALU_DEP_2)
	v_sub_f32_e32 v41, v35, v36
	v_sub_f32_e32 v39, v36, v39
	v_dual_sub_f32 v35, v35, v41 :: v_dual_add_f32 v32, v32, v43
	s_delay_alu instid0(VALU_DEP_1) | instskip(NEXT) | instid1(VALU_DEP_3)
	v_sub_f32_e32 v35, v35, v36
	v_sub_f32_e32 v36, v39, v38
	s_delay_alu instid0(VALU_DEP_2) | instskip(SKIP_1) | instid1(VALU_DEP_2)
	v_add_f32_e32 v32, v32, v35
	v_add_f32_e32 v35, v40, v37
	;; [unrolled: 1-line block ×3, first 2 shown]
	s_delay_alu instid0(VALU_DEP_2) | instskip(NEXT) | instid1(VALU_DEP_2)
	v_sub_f32_e32 v36, v35, v40
	v_add_f32_e32 v32, v41, v32
	s_delay_alu instid0(VALU_DEP_2) | instskip(NEXT) | instid1(VALU_DEP_2)
	v_sub_f32_e32 v36, v37, v36
	v_mul_f32_e32 v32, v34, v32
	s_delay_alu instid0(VALU_DEP_1) | instskip(NEXT) | instid1(VALU_DEP_1)
	v_add_f32_e32 v32, v36, v32
	v_add_f32_e32 v34, v35, v32
	s_delay_alu instid0(VALU_DEP_1) | instskip(NEXT) | instid1(VALU_DEP_1)
	v_mul_f32_e32 v36, v34, v34
	v_fmaak_f32 v37, s35, v36, 0x3ecc95a3
	v_mul_f32_e32 v38, v34, v36
	v_cmp_eq_f32_e64 s35, 0x7f800000, v33
	s_delay_alu instid0(VALU_DEP_3) | instskip(SKIP_1) | instid1(VALU_DEP_3)
	v_fmaak_f32 v36, v36, v37, 0x3f2aaada
	v_ldexp_f32 v37, v34, 1
	s_or_b32 s35, s35, s37
	s_delay_alu instid0(VALU_DEP_2) | instskip(NEXT) | instid1(VALU_DEP_1)
	v_mul_f32_e32 v36, v38, v36
	v_dual_sub_f32 v34, v34, v35 :: v_dual_add_f32 v35, v37, v36
	s_delay_alu instid0(VALU_DEP_1) | instskip(NEXT) | instid1(VALU_DEP_2)
	v_sub_f32_e32 v32, v32, v34
	v_sub_f32_e32 v34, v35, v37
	s_delay_alu instid0(VALU_DEP_2) | instskip(NEXT) | instid1(VALU_DEP_2)
	v_ldexp_f32 v32, v32, 1
	v_sub_f32_e32 v34, v36, v34
	s_delay_alu instid0(VALU_DEP_1) | instskip(NEXT) | instid1(VALU_DEP_1)
	v_add_f32_e32 v32, v32, v34
	v_add_f32_e32 v36, v35, v32
	v_mul_f32_e32 v38, 0x3f317218, v31
	s_delay_alu instid0(VALU_DEP_2) | instskip(NEXT) | instid1(VALU_DEP_2)
	v_sub_f32_e32 v35, v36, v35
	v_fma_f32 v37, 0x3f317218, v31, -v38
	s_delay_alu instid0(VALU_DEP_1) | instskip(NEXT) | instid1(VALU_DEP_1)
	v_dual_sub_f32 v32, v32, v35 :: v_dual_fmamk_f32 v31, v31, 0xb102e308, v37
	v_add_f32_e32 v34, v38, v31
	s_delay_alu instid0(VALU_DEP_1) | instskip(SKIP_1) | instid1(VALU_DEP_2)
	v_add_f32_e32 v37, v34, v36
	v_sub_f32_e32 v38, v34, v38
	v_sub_f32_e32 v39, v37, v34
	s_delay_alu instid0(VALU_DEP_1) | instskip(NEXT) | instid1(VALU_DEP_1)
	v_dual_sub_f32 v31, v31, v38 :: v_dual_sub_f32 v40, v37, v39
	v_dual_sub_f32 v35, v36, v39 :: v_dual_add_f32 v36, v31, v32
	s_delay_alu instid0(VALU_DEP_2) | instskip(NEXT) | instid1(VALU_DEP_1)
	v_sub_f32_e32 v34, v34, v40
	v_dual_add_f32 v34, v35, v34 :: v_dual_sub_f32 v35, v36, v31
	s_delay_alu instid0(VALU_DEP_1) | instskip(NEXT) | instid1(VALU_DEP_2)
	v_add_f32_e32 v34, v36, v34
	v_sub_f32_e32 v36, v36, v35
	v_sub_f32_e32 v32, v32, v35
	s_delay_alu instid0(VALU_DEP_2) | instskip(NEXT) | instid1(VALU_DEP_1)
	v_dual_add_f32 v38, v37, v34 :: v_dual_sub_f32 v31, v31, v36
	v_sub_f32_e32 v35, v38, v37
	s_delay_alu instid0(VALU_DEP_2) | instskip(NEXT) | instid1(VALU_DEP_2)
	v_add_f32_e32 v31, v32, v31
	v_sub_f32_e32 v32, v34, v35
	s_delay_alu instid0(VALU_DEP_1) | instskip(NEXT) | instid1(VALU_DEP_1)
	v_add_f32_e32 v31, v31, v32
	v_add_f32_e32 v31, v38, v31
	s_delay_alu instid0(VALU_DEP_1) | instskip(NEXT) | instid1(VALU_DEP_1)
	v_cndmask_b32_e64 v31, v31, v33, s35
	v_add_f32_e32 v31, v28, v31
.LBB491_68:
	s_or_b32 exec_lo, exec_lo, s36
	s_delay_alu instid0(VALU_DEP_1) | instskip(SKIP_1) | instid1(VALU_DEP_2)
	v_bfe_u32 v28, v31, 16, 1
	v_cmp_o_f32_e64 s35, v31, v31
	v_add3_u32 v28, v31, v28, 0x7fff
	s_delay_alu instid0(VALU_DEP_1) | instskip(NEXT) | instid1(VALU_DEP_1)
	v_and_b32_e32 v32, 0xffff0000, v28
	v_cndmask_b32_e64 v33, 0x7fc00000, v32, s35
	s_delay_alu instid0(VALU_DEP_1) | instskip(SKIP_1) | instid1(VALU_DEP_2)
	v_dual_max_f32 v31, v33, v33 :: v_dual_lshlrev_b32 v28, 16, v6
	v_cmp_u_f32_e64 s35, v33, v33
	v_max_f32_e32 v32, v28, v28
	s_delay_alu instid0(VALU_DEP_1) | instskip(SKIP_1) | instid1(VALU_DEP_2)
	v_min_f32_e32 v34, v31, v32
	v_max_f32_e32 v31, v31, v32
	v_cndmask_b32_e64 v34, v34, v33, s35
	s_delay_alu instid0(VALU_DEP_2) | instskip(SKIP_1) | instid1(VALU_DEP_1)
	v_cndmask_b32_e64 v31, v31, v33, s35
	v_cmp_u_f32_e64 s35, v28, v28
	v_cndmask_b32_e64 v34, v34, v28, s35
	s_delay_alu instid0(VALU_DEP_3) | instskip(NEXT) | instid1(VALU_DEP_2)
	v_cndmask_b32_e64 v31, v31, v28, s35
	v_cmp_class_f32_e64 s37, v34, 0x1f8
	s_delay_alu instid0(VALU_DEP_2) | instskip(NEXT) | instid1(VALU_DEP_1)
	v_cmp_neq_f32_e64 s36, v34, v31
	s_or_b32 s36, s36, s37
	s_delay_alu instid0(SALU_CYCLE_1)
	s_and_saveexec_b32 s37, s36
	s_cbranch_execz .LBB491_70
; %bb.69:
	v_sub_f32_e32 v33, v34, v31
	s_delay_alu instid0(VALU_DEP_1) | instskip(SKIP_1) | instid1(VALU_DEP_2)
	v_mul_f32_e32 v34, 0x3fb8aa3b, v33
	v_cmp_ngt_f32_e64 s36, 0xc2ce8ed0, v33
	v_fma_f32 v35, 0x3fb8aa3b, v33, -v34
	v_rndne_f32_e32 v36, v34
	s_delay_alu instid0(VALU_DEP_1) | instskip(NEXT) | instid1(VALU_DEP_1)
	v_dual_fmamk_f32 v35, v33, 0x32a5705f, v35 :: v_dual_sub_f32 v34, v34, v36
	v_add_f32_e32 v34, v34, v35
	v_cvt_i32_f32_e32 v35, v36
	s_delay_alu instid0(VALU_DEP_2) | instskip(SKIP_2) | instid1(VALU_DEP_1)
	v_exp_f32_e32 v34, v34
	s_waitcnt_depctr 0xfff
	v_ldexp_f32 v34, v34, v35
	v_cndmask_b32_e64 v34, 0, v34, s36
	v_cmp_nlt_f32_e64 s36, 0x42b17218, v33
	s_delay_alu instid0(VALU_DEP_1) | instskip(NEXT) | instid1(VALU_DEP_1)
	v_cndmask_b32_e64 v35, 0x7f800000, v34, s36
	v_add_f32_e32 v36, 1.0, v35
	v_cmp_gt_f32_e64 s38, 0x33800000, |v35|
	s_delay_alu instid0(VALU_DEP_2) | instskip(NEXT) | instid1(VALU_DEP_1)
	v_cvt_f64_f32_e32 v[33:34], v36
	v_frexp_exp_i32_f64_e32 v33, v[33:34]
	v_frexp_mant_f32_e32 v34, v36
	s_delay_alu instid0(VALU_DEP_1) | instskip(SKIP_1) | instid1(VALU_DEP_1)
	v_cmp_gt_f32_e64 s36, 0x3f2aaaab, v34
	v_add_f32_e32 v34, -1.0, v36
	v_sub_f32_e32 v38, v34, v36
	v_sub_f32_e32 v34, v35, v34
	s_delay_alu instid0(VALU_DEP_4) | instskip(SKIP_1) | instid1(VALU_DEP_1)
	v_subrev_co_ci_u32_e64 v33, s36, 0, v33, s36
	s_mov_b32 s36, 0x3e9b6dac
	v_sub_nc_u32_e32 v37, 0, v33
	v_cvt_f32_i32_e32 v33, v33
	s_delay_alu instid0(VALU_DEP_2) | instskip(NEXT) | instid1(VALU_DEP_1)
	v_ldexp_f32 v36, v36, v37
	v_dual_add_f32 v39, 1.0, v36 :: v_dual_add_f32 v38, 1.0, v38
	s_delay_alu instid0(VALU_DEP_1) | instskip(NEXT) | instid1(VALU_DEP_2)
	v_add_f32_e32 v34, v34, v38
	v_add_f32_e32 v38, -1.0, v39
	s_delay_alu instid0(VALU_DEP_2) | instskip(NEXT) | instid1(VALU_DEP_2)
	v_ldexp_f32 v34, v34, v37
	v_dual_add_f32 v37, -1.0, v36 :: v_dual_sub_f32 v38, v36, v38
	s_delay_alu instid0(VALU_DEP_1) | instskip(NEXT) | instid1(VALU_DEP_2)
	v_add_f32_e32 v40, 1.0, v37
	v_add_f32_e32 v38, v34, v38
	s_delay_alu instid0(VALU_DEP_2) | instskip(NEXT) | instid1(VALU_DEP_2)
	v_sub_f32_e32 v36, v36, v40
	v_add_f32_e32 v40, v39, v38
	s_delay_alu instid0(VALU_DEP_2) | instskip(NEXT) | instid1(VALU_DEP_2)
	v_add_f32_e32 v34, v34, v36
	v_rcp_f32_e32 v36, v40
	v_sub_f32_e32 v39, v39, v40
	s_delay_alu instid0(VALU_DEP_1) | instskip(NEXT) | instid1(VALU_DEP_1)
	v_dual_add_f32 v41, v37, v34 :: v_dual_add_f32 v38, v38, v39
	v_sub_f32_e32 v37, v37, v41
	s_waitcnt_depctr 0xfff
	v_dual_mul_f32 v43, v41, v36 :: v_dual_add_f32 v34, v34, v37
	s_delay_alu instid0(VALU_DEP_1) | instskip(NEXT) | instid1(VALU_DEP_1)
	v_mul_f32_e32 v44, v40, v43
	v_fma_f32 v39, v43, v40, -v44
	s_delay_alu instid0(VALU_DEP_1) | instskip(NEXT) | instid1(VALU_DEP_1)
	v_fmac_f32_e32 v39, v43, v38
	v_add_f32_e32 v45, v44, v39
	s_delay_alu instid0(VALU_DEP_1) | instskip(SKIP_1) | instid1(VALU_DEP_2)
	v_sub_f32_e32 v50, v41, v45
	v_sub_f32_e32 v37, v45, v44
	;; [unrolled: 1-line block ×3, first 2 shown]
	s_delay_alu instid0(VALU_DEP_2) | instskip(NEXT) | instid1(VALU_DEP_2)
	v_sub_f32_e32 v37, v37, v39
	v_sub_f32_e32 v41, v41, v45
	s_delay_alu instid0(VALU_DEP_1) | instskip(NEXT) | instid1(VALU_DEP_1)
	v_add_f32_e32 v34, v34, v41
	v_add_f32_e32 v34, v37, v34
	s_delay_alu instid0(VALU_DEP_1) | instskip(NEXT) | instid1(VALU_DEP_1)
	v_add_f32_e32 v37, v50, v34
	v_sub_f32_e32 v45, v50, v37
	v_mul_f32_e32 v39, v36, v37
	s_delay_alu instid0(VALU_DEP_1) | instskip(NEXT) | instid1(VALU_DEP_1)
	v_dual_add_f32 v34, v34, v45 :: v_dual_mul_f32 v41, v40, v39
	v_fma_f32 v40, v39, v40, -v41
	s_delay_alu instid0(VALU_DEP_1) | instskip(NEXT) | instid1(VALU_DEP_1)
	v_fmac_f32_e32 v40, v39, v38
	v_add_f32_e32 v38, v41, v40
	s_delay_alu instid0(VALU_DEP_1) | instskip(NEXT) | instid1(VALU_DEP_1)
	v_dual_sub_f32 v44, v37, v38 :: v_dual_sub_f32 v41, v38, v41
	v_sub_f32_e32 v37, v37, v44
	s_delay_alu instid0(VALU_DEP_1) | instskip(NEXT) | instid1(VALU_DEP_3)
	v_sub_f32_e32 v37, v37, v38
	v_sub_f32_e32 v38, v41, v40
	s_delay_alu instid0(VALU_DEP_2) | instskip(NEXT) | instid1(VALU_DEP_1)
	v_dual_add_f32 v34, v34, v37 :: v_dual_add_f32 v37, v43, v39
	v_add_f32_e32 v34, v38, v34
	s_delay_alu instid0(VALU_DEP_2) | instskip(NEXT) | instid1(VALU_DEP_2)
	v_sub_f32_e32 v38, v37, v43
	v_add_f32_e32 v34, v44, v34
	s_delay_alu instid0(VALU_DEP_2) | instskip(NEXT) | instid1(VALU_DEP_2)
	v_sub_f32_e32 v38, v39, v38
	v_mul_f32_e32 v34, v36, v34
	s_delay_alu instid0(VALU_DEP_1) | instskip(NEXT) | instid1(VALU_DEP_1)
	v_add_f32_e32 v34, v38, v34
	v_add_f32_e32 v36, v37, v34
	s_delay_alu instid0(VALU_DEP_1) | instskip(NEXT) | instid1(VALU_DEP_1)
	v_mul_f32_e32 v38, v36, v36
	v_fmaak_f32 v39, s36, v38, 0x3ecc95a3
	v_mul_f32_e32 v40, v36, v38
	v_cmp_eq_f32_e64 s36, 0x7f800000, v35
	s_delay_alu instid0(VALU_DEP_3) | instskip(SKIP_2) | instid1(VALU_DEP_4)
	v_fmaak_f32 v38, v38, v39, 0x3f2aaada
	v_ldexp_f32 v39, v36, 1
	v_sub_f32_e32 v36, v36, v37
	s_or_b32 s36, s36, s38
	s_delay_alu instid0(VALU_DEP_3) | instskip(NEXT) | instid1(VALU_DEP_1)
	v_mul_f32_e32 v38, v40, v38
	v_dual_sub_f32 v34, v34, v36 :: v_dual_add_f32 v37, v39, v38
	s_delay_alu instid0(VALU_DEP_1) | instskip(NEXT) | instid1(VALU_DEP_2)
	v_ldexp_f32 v34, v34, 1
	v_sub_f32_e32 v36, v37, v39
	s_delay_alu instid0(VALU_DEP_1) | instskip(NEXT) | instid1(VALU_DEP_1)
	v_sub_f32_e32 v36, v38, v36
	v_add_f32_e32 v34, v34, v36
	s_delay_alu instid0(VALU_DEP_1) | instskip(SKIP_1) | instid1(VALU_DEP_2)
	v_add_f32_e32 v38, v37, v34
	v_mul_f32_e32 v40, 0x3f317218, v33
	v_sub_f32_e32 v37, v38, v37
	s_delay_alu instid0(VALU_DEP_2) | instskip(NEXT) | instid1(VALU_DEP_1)
	v_fma_f32 v39, 0x3f317218, v33, -v40
	v_dual_sub_f32 v34, v34, v37 :: v_dual_fmamk_f32 v33, v33, 0xb102e308, v39
	s_delay_alu instid0(VALU_DEP_1) | instskip(NEXT) | instid1(VALU_DEP_1)
	v_add_f32_e32 v36, v40, v33
	v_add_f32_e32 v39, v36, v38
	v_sub_f32_e32 v40, v36, v40
	s_delay_alu instid0(VALU_DEP_2) | instskip(NEXT) | instid1(VALU_DEP_2)
	v_sub_f32_e32 v41, v39, v36
	v_sub_f32_e32 v33, v33, v40
	s_delay_alu instid0(VALU_DEP_2) | instskip(NEXT) | instid1(VALU_DEP_2)
	v_sub_f32_e32 v43, v39, v41
	v_dual_sub_f32 v37, v38, v41 :: v_dual_add_f32 v38, v33, v34
	s_delay_alu instid0(VALU_DEP_2) | instskip(NEXT) | instid1(VALU_DEP_1)
	v_sub_f32_e32 v36, v36, v43
	v_dual_add_f32 v36, v37, v36 :: v_dual_sub_f32 v37, v38, v33
	s_delay_alu instid0(VALU_DEP_1) | instskip(NEXT) | instid1(VALU_DEP_2)
	v_add_f32_e32 v36, v38, v36
	v_sub_f32_e32 v38, v38, v37
	v_sub_f32_e32 v34, v34, v37
	s_delay_alu instid0(VALU_DEP_2) | instskip(NEXT) | instid1(VALU_DEP_1)
	v_dual_add_f32 v40, v39, v36 :: v_dual_sub_f32 v33, v33, v38
	v_sub_f32_e32 v37, v40, v39
	s_delay_alu instid0(VALU_DEP_2) | instskip(NEXT) | instid1(VALU_DEP_2)
	v_add_f32_e32 v33, v34, v33
	v_sub_f32_e32 v34, v36, v37
	s_delay_alu instid0(VALU_DEP_1) | instskip(NEXT) | instid1(VALU_DEP_1)
	v_add_f32_e32 v33, v33, v34
	v_add_f32_e32 v33, v40, v33
	s_delay_alu instid0(VALU_DEP_1) | instskip(NEXT) | instid1(VALU_DEP_1)
	v_cndmask_b32_e64 v33, v33, v35, s36
	v_add_f32_e32 v33, v31, v33
.LBB491_70:
	s_or_b32 exec_lo, exec_lo, s37
	s_delay_alu instid0(VALU_DEP_1) | instskip(SKIP_1) | instid1(VALU_DEP_2)
	v_bfe_u32 v31, v33, 16, 1
	v_cmp_o_f32_e64 s36, v33, v33
	v_add3_u32 v31, v33, v31, 0x7fff
	s_delay_alu instid0(VALU_DEP_1) | instskip(NEXT) | instid1(VALU_DEP_1)
	v_and_b32_e32 v31, 0xffff0000, v31
	v_cndmask_b32_e64 v34, 0x7fc00000, v31, s36
	s_delay_alu instid0(VALU_DEP_1) | instskip(SKIP_2) | instid1(VALU_DEP_2)
	v_max_f32_e32 v31, v34, v34
	v_and_b32_e32 v6, 0xffff0000, v6
	v_cmp_u_f32_e64 s36, v34, v34
	v_max_f32_e32 v33, v6, v6
	s_delay_alu instid0(VALU_DEP_1) | instskip(SKIP_1) | instid1(VALU_DEP_2)
	v_min_f32_e32 v35, v31, v33
	v_max_f32_e32 v31, v31, v33
	v_cndmask_b32_e64 v35, v35, v34, s36
	s_delay_alu instid0(VALU_DEP_2) | instskip(SKIP_1) | instid1(VALU_DEP_1)
	v_cndmask_b32_e64 v31, v31, v34, s36
	v_cmp_u_f32_e64 s36, v6, v6
	v_cndmask_b32_e64 v35, v35, v6, s36
	s_delay_alu instid0(VALU_DEP_3) | instskip(NEXT) | instid1(VALU_DEP_2)
	v_cndmask_b32_e64 v31, v31, v6, s36
	v_cmp_class_f32_e64 s38, v35, 0x1f8
	s_delay_alu instid0(VALU_DEP_2) | instskip(NEXT) | instid1(VALU_DEP_1)
	v_cmp_neq_f32_e64 s37, v35, v31
	s_or_b32 s37, s37, s38
	s_delay_alu instid0(SALU_CYCLE_1)
	s_and_saveexec_b32 s38, s37
	s_cbranch_execz .LBB491_72
; %bb.71:
	v_sub_f32_e32 v34, v35, v31
	s_delay_alu instid0(VALU_DEP_1) | instskip(SKIP_1) | instid1(VALU_DEP_2)
	v_mul_f32_e32 v35, 0x3fb8aa3b, v34
	v_cmp_ngt_f32_e64 s37, 0xc2ce8ed0, v34
	v_fma_f32 v36, 0x3fb8aa3b, v34, -v35
	v_rndne_f32_e32 v37, v35
	s_delay_alu instid0(VALU_DEP_1) | instskip(NEXT) | instid1(VALU_DEP_1)
	v_dual_fmamk_f32 v36, v34, 0x32a5705f, v36 :: v_dual_sub_f32 v35, v35, v37
	v_add_f32_e32 v35, v35, v36
	v_cvt_i32_f32_e32 v36, v37
	s_delay_alu instid0(VALU_DEP_2) | instskip(SKIP_2) | instid1(VALU_DEP_1)
	v_exp_f32_e32 v35, v35
	s_waitcnt_depctr 0xfff
	v_ldexp_f32 v35, v35, v36
	v_cndmask_b32_e64 v35, 0, v35, s37
	v_cmp_nlt_f32_e64 s37, 0x42b17218, v34
	s_delay_alu instid0(VALU_DEP_1) | instskip(NEXT) | instid1(VALU_DEP_1)
	v_cndmask_b32_e64 v36, 0x7f800000, v35, s37
	v_add_f32_e32 v37, 1.0, v36
	v_cmp_gt_f32_e64 s39, 0x33800000, |v36|
	s_delay_alu instid0(VALU_DEP_2) | instskip(NEXT) | instid1(VALU_DEP_1)
	v_cvt_f64_f32_e32 v[34:35], v37
	v_frexp_exp_i32_f64_e32 v34, v[34:35]
	v_frexp_mant_f32_e32 v35, v37
	s_delay_alu instid0(VALU_DEP_1) | instskip(SKIP_1) | instid1(VALU_DEP_1)
	v_cmp_gt_f32_e64 s37, 0x3f2aaaab, v35
	v_add_f32_e32 v35, -1.0, v37
	v_sub_f32_e32 v39, v35, v37
	v_sub_f32_e32 v35, v36, v35
	s_delay_alu instid0(VALU_DEP_4) | instskip(SKIP_1) | instid1(VALU_DEP_1)
	v_subrev_co_ci_u32_e64 v34, s37, 0, v34, s37
	s_mov_b32 s37, 0x3e9b6dac
	v_sub_nc_u32_e32 v38, 0, v34
	v_cvt_f32_i32_e32 v34, v34
	s_delay_alu instid0(VALU_DEP_2) | instskip(NEXT) | instid1(VALU_DEP_1)
	v_ldexp_f32 v37, v37, v38
	v_dual_add_f32 v40, 1.0, v37 :: v_dual_add_f32 v39, 1.0, v39
	s_delay_alu instid0(VALU_DEP_1) | instskip(NEXT) | instid1(VALU_DEP_1)
	v_add_f32_e32 v35, v35, v39
	v_ldexp_f32 v35, v35, v38
	s_delay_alu instid0(VALU_DEP_3) | instskip(NEXT) | instid1(VALU_DEP_1)
	v_dual_add_f32 v38, -1.0, v37 :: v_dual_add_f32 v39, -1.0, v40
	v_add_f32_e32 v41, 1.0, v38
	s_delay_alu instid0(VALU_DEP_2) | instskip(NEXT) | instid1(VALU_DEP_2)
	v_sub_f32_e32 v39, v37, v39
	v_sub_f32_e32 v37, v37, v41
	s_delay_alu instid0(VALU_DEP_2) | instskip(NEXT) | instid1(VALU_DEP_2)
	v_add_f32_e32 v39, v35, v39
	v_add_f32_e32 v35, v35, v37
	s_delay_alu instid0(VALU_DEP_2) | instskip(NEXT) | instid1(VALU_DEP_2)
	v_add_f32_e32 v41, v40, v39
	v_add_f32_e32 v43, v38, v35
	s_delay_alu instid0(VALU_DEP_2) | instskip(SKIP_1) | instid1(VALU_DEP_1)
	v_rcp_f32_e32 v37, v41
	v_sub_f32_e32 v40, v40, v41
	v_dual_sub_f32 v38, v38, v43 :: v_dual_add_f32 v39, v39, v40
	s_delay_alu instid0(VALU_DEP_1) | instskip(SKIP_2) | instid1(VALU_DEP_1)
	v_add_f32_e32 v35, v35, v38
	s_waitcnt_depctr 0xfff
	v_mul_f32_e32 v44, v43, v37
	v_mul_f32_e32 v45, v41, v44
	s_delay_alu instid0(VALU_DEP_1) | instskip(NEXT) | instid1(VALU_DEP_1)
	v_fma_f32 v40, v44, v41, -v45
	v_fmac_f32_e32 v40, v44, v39
	s_delay_alu instid0(VALU_DEP_1) | instskip(NEXT) | instid1(VALU_DEP_1)
	v_add_f32_e32 v50, v45, v40
	v_dual_sub_f32 v51, v43, v50 :: v_dual_sub_f32 v38, v50, v45
	s_delay_alu instid0(VALU_DEP_1) | instskip(NEXT) | instid1(VALU_DEP_1)
	v_dual_sub_f32 v43, v43, v51 :: v_dual_sub_f32 v38, v38, v40
	v_sub_f32_e32 v43, v43, v50
	s_delay_alu instid0(VALU_DEP_1) | instskip(NEXT) | instid1(VALU_DEP_1)
	v_add_f32_e32 v35, v35, v43
	v_add_f32_e32 v35, v38, v35
	s_delay_alu instid0(VALU_DEP_1) | instskip(NEXT) | instid1(VALU_DEP_1)
	v_add_f32_e32 v38, v51, v35
	v_mul_f32_e32 v40, v37, v38
	s_delay_alu instid0(VALU_DEP_1) | instskip(NEXT) | instid1(VALU_DEP_1)
	v_dual_sub_f32 v50, v51, v38 :: v_dual_mul_f32 v43, v41, v40
	v_add_f32_e32 v35, v35, v50
	s_delay_alu instid0(VALU_DEP_2) | instskip(NEXT) | instid1(VALU_DEP_1)
	v_fma_f32 v41, v40, v41, -v43
	v_fmac_f32_e32 v41, v40, v39
	s_delay_alu instid0(VALU_DEP_1) | instskip(NEXT) | instid1(VALU_DEP_1)
	v_add_f32_e32 v39, v43, v41
	v_sub_f32_e32 v45, v38, v39
	s_delay_alu instid0(VALU_DEP_1) | instskip(NEXT) | instid1(VALU_DEP_1)
	v_dual_sub_f32 v43, v39, v43 :: v_dual_sub_f32 v38, v38, v45
	v_dual_sub_f32 v38, v38, v39 :: v_dual_sub_f32 v39, v43, v41
	s_delay_alu instid0(VALU_DEP_1) | instskip(NEXT) | instid1(VALU_DEP_1)
	v_dual_add_f32 v35, v35, v38 :: v_dual_add_f32 v38, v44, v40
	v_add_f32_e32 v35, v39, v35
	s_delay_alu instid0(VALU_DEP_2) | instskip(NEXT) | instid1(VALU_DEP_2)
	v_sub_f32_e32 v39, v38, v44
	v_add_f32_e32 v35, v45, v35
	s_delay_alu instid0(VALU_DEP_2) | instskip(NEXT) | instid1(VALU_DEP_2)
	v_sub_f32_e32 v39, v40, v39
	v_mul_f32_e32 v35, v37, v35
	s_delay_alu instid0(VALU_DEP_1) | instskip(NEXT) | instid1(VALU_DEP_1)
	v_add_f32_e32 v35, v39, v35
	v_add_f32_e32 v37, v38, v35
	s_delay_alu instid0(VALU_DEP_1) | instskip(NEXT) | instid1(VALU_DEP_1)
	v_mul_f32_e32 v39, v37, v37
	v_fmaak_f32 v40, s37, v39, 0x3ecc95a3
	v_mul_f32_e32 v41, v37, v39
	v_cmp_eq_f32_e64 s37, 0x7f800000, v36
	s_delay_alu instid0(VALU_DEP_3) | instskip(SKIP_2) | instid1(VALU_DEP_4)
	v_fmaak_f32 v39, v39, v40, 0x3f2aaada
	v_ldexp_f32 v40, v37, 1
	v_sub_f32_e32 v37, v37, v38
	s_or_b32 s37, s37, s39
	s_delay_alu instid0(VALU_DEP_3) | instskip(SKIP_1) | instid1(VALU_DEP_2)
	v_mul_f32_e32 v39, v41, v39
	v_mul_f32_e32 v41, 0x3f317218, v34
	v_dual_sub_f32 v35, v35, v37 :: v_dual_add_f32 v38, v40, v39
	s_delay_alu instid0(VALU_DEP_1) | instskip(NEXT) | instid1(VALU_DEP_2)
	v_ldexp_f32 v35, v35, 1
	v_sub_f32_e32 v37, v38, v40
	s_delay_alu instid0(VALU_DEP_4) | instskip(NEXT) | instid1(VALU_DEP_1)
	v_fma_f32 v40, 0x3f317218, v34, -v41
	v_dual_sub_f32 v37, v39, v37 :: v_dual_fmamk_f32 v34, v34, 0xb102e308, v40
	s_delay_alu instid0(VALU_DEP_1) | instskip(NEXT) | instid1(VALU_DEP_2)
	v_add_f32_e32 v35, v35, v37
	v_add_f32_e32 v37, v41, v34
	s_delay_alu instid0(VALU_DEP_2) | instskip(NEXT) | instid1(VALU_DEP_2)
	v_add_f32_e32 v39, v38, v35
	v_sub_f32_e32 v41, v37, v41
	s_delay_alu instid0(VALU_DEP_2) | instskip(SKIP_1) | instid1(VALU_DEP_3)
	v_add_f32_e32 v40, v37, v39
	v_sub_f32_e32 v38, v39, v38
	v_sub_f32_e32 v34, v34, v41
	s_delay_alu instid0(VALU_DEP_3) | instskip(NEXT) | instid1(VALU_DEP_3)
	v_sub_f32_e32 v43, v40, v37
	v_sub_f32_e32 v35, v35, v38
	s_delay_alu instid0(VALU_DEP_2) | instskip(SKIP_1) | instid1(VALU_DEP_3)
	v_sub_f32_e32 v38, v39, v43
	v_sub_f32_e32 v44, v40, v43
	v_add_f32_e32 v39, v34, v35
	s_delay_alu instid0(VALU_DEP_2) | instskip(NEXT) | instid1(VALU_DEP_1)
	v_sub_f32_e32 v37, v37, v44
	v_dual_add_f32 v37, v38, v37 :: v_dual_sub_f32 v38, v39, v34
	s_delay_alu instid0(VALU_DEP_1) | instskip(NEXT) | instid1(VALU_DEP_2)
	v_add_f32_e32 v37, v39, v37
	v_sub_f32_e32 v39, v39, v38
	v_sub_f32_e32 v35, v35, v38
	s_delay_alu instid0(VALU_DEP_2) | instskip(NEXT) | instid1(VALU_DEP_1)
	v_dual_add_f32 v41, v40, v37 :: v_dual_sub_f32 v34, v34, v39
	v_sub_f32_e32 v38, v41, v40
	s_delay_alu instid0(VALU_DEP_2) | instskip(NEXT) | instid1(VALU_DEP_2)
	v_add_f32_e32 v34, v35, v34
	v_sub_f32_e32 v35, v37, v38
	s_delay_alu instid0(VALU_DEP_1) | instskip(NEXT) | instid1(VALU_DEP_1)
	v_add_f32_e32 v34, v34, v35
	v_add_f32_e32 v34, v41, v34
	s_delay_alu instid0(VALU_DEP_1) | instskip(NEXT) | instid1(VALU_DEP_1)
	v_cndmask_b32_e64 v34, v34, v36, s37
	v_add_f32_e32 v34, v31, v34
.LBB491_72:
	s_or_b32 exec_lo, exec_lo, s38
	s_delay_alu instid0(VALU_DEP_1) | instskip(SKIP_1) | instid1(VALU_DEP_2)
	v_bfe_u32 v31, v34, 16, 1
	v_cmp_o_f32_e64 s37, v34, v34
	v_add3_u32 v31, v34, v31, 0x7fff
	s_delay_alu instid0(VALU_DEP_1) | instskip(SKIP_1) | instid1(VALU_DEP_2)
	v_and_b32_e32 v35, 0xffff0000, v31
	v_lshlrev_b32_e32 v31, 16, v7
	v_cndmask_b32_e64 v36, 0x7fc00000, v35, s37
	s_delay_alu instid0(VALU_DEP_1) | instskip(SKIP_1) | instid1(VALU_DEP_2)
	v_dual_max_f32 v35, v31, v31 :: v_dual_max_f32 v34, v36, v36
	v_cmp_u_f32_e64 s37, v36, v36
	v_min_f32_e32 v37, v34, v35
	v_max_f32_e32 v34, v34, v35
	s_delay_alu instid0(VALU_DEP_2) | instskip(NEXT) | instid1(VALU_DEP_2)
	v_cndmask_b32_e64 v37, v37, v36, s37
	v_cndmask_b32_e64 v34, v34, v36, s37
	v_cmp_u_f32_e64 s37, v31, v31
	s_delay_alu instid0(VALU_DEP_1) | instskip(NEXT) | instid1(VALU_DEP_3)
	v_cndmask_b32_e64 v37, v37, v31, s37
	v_cndmask_b32_e64 v34, v34, v31, s37
	s_delay_alu instid0(VALU_DEP_2) | instskip(NEXT) | instid1(VALU_DEP_2)
	v_cmp_class_f32_e64 s39, v37, 0x1f8
	v_cmp_neq_f32_e64 s38, v37, v34
	s_delay_alu instid0(VALU_DEP_1) | instskip(NEXT) | instid1(SALU_CYCLE_1)
	s_or_b32 s38, s38, s39
	s_and_saveexec_b32 s39, s38
	s_cbranch_execz .LBB491_74
; %bb.73:
	v_sub_f32_e32 v36, v37, v34
	s_delay_alu instid0(VALU_DEP_1) | instskip(SKIP_1) | instid1(VALU_DEP_2)
	v_mul_f32_e32 v37, 0x3fb8aa3b, v36
	v_cmp_ngt_f32_e64 s38, 0xc2ce8ed0, v36
	v_fma_f32 v38, 0x3fb8aa3b, v36, -v37
	v_rndne_f32_e32 v39, v37
	s_delay_alu instid0(VALU_DEP_1) | instskip(NEXT) | instid1(VALU_DEP_1)
	v_dual_fmamk_f32 v38, v36, 0x32a5705f, v38 :: v_dual_sub_f32 v37, v37, v39
	v_add_f32_e32 v37, v37, v38
	v_cvt_i32_f32_e32 v38, v39
	s_delay_alu instid0(VALU_DEP_2) | instskip(SKIP_2) | instid1(VALU_DEP_1)
	v_exp_f32_e32 v37, v37
	s_waitcnt_depctr 0xfff
	v_ldexp_f32 v37, v37, v38
	v_cndmask_b32_e64 v37, 0, v37, s38
	v_cmp_nlt_f32_e64 s38, 0x42b17218, v36
	s_delay_alu instid0(VALU_DEP_1) | instskip(NEXT) | instid1(VALU_DEP_1)
	v_cndmask_b32_e64 v38, 0x7f800000, v37, s38
	v_add_f32_e32 v39, 1.0, v38
	v_cmp_gt_f32_e64 s40, 0x33800000, |v38|
	s_delay_alu instid0(VALU_DEP_2) | instskip(NEXT) | instid1(VALU_DEP_1)
	v_cvt_f64_f32_e32 v[36:37], v39
	v_frexp_exp_i32_f64_e32 v36, v[36:37]
	v_frexp_mant_f32_e32 v37, v39
	s_delay_alu instid0(VALU_DEP_1) | instskip(SKIP_1) | instid1(VALU_DEP_1)
	v_cmp_gt_f32_e64 s38, 0x3f2aaaab, v37
	v_add_f32_e32 v37, -1.0, v39
	v_sub_f32_e32 v41, v37, v39
	v_sub_f32_e32 v37, v38, v37
	s_delay_alu instid0(VALU_DEP_2) | instskip(NEXT) | instid1(VALU_DEP_1)
	v_add_f32_e32 v41, 1.0, v41
	v_add_f32_e32 v37, v37, v41
	v_subrev_co_ci_u32_e64 v36, s38, 0, v36, s38
	s_mov_b32 s38, 0x3e9b6dac
	s_delay_alu instid0(VALU_DEP_1) | instskip(SKIP_1) | instid1(VALU_DEP_2)
	v_sub_nc_u32_e32 v40, 0, v36
	v_cvt_f32_i32_e32 v36, v36
	v_ldexp_f32 v39, v39, v40
	v_ldexp_f32 v37, v37, v40
	s_delay_alu instid0(VALU_DEP_2) | instskip(SKIP_1) | instid1(VALU_DEP_1)
	v_add_f32_e32 v43, 1.0, v39
	v_add_f32_e32 v40, -1.0, v39
	v_dual_add_f32 v41, -1.0, v43 :: v_dual_add_f32 v44, 1.0, v40
	s_delay_alu instid0(VALU_DEP_1) | instskip(NEXT) | instid1(VALU_DEP_2)
	v_sub_f32_e32 v41, v39, v41
	v_sub_f32_e32 v39, v39, v44
	s_delay_alu instid0(VALU_DEP_2) | instskip(NEXT) | instid1(VALU_DEP_1)
	v_add_f32_e32 v41, v37, v41
	v_add_f32_e32 v44, v43, v41
	s_delay_alu instid0(VALU_DEP_1) | instskip(NEXT) | instid1(VALU_DEP_1)
	v_sub_f32_e32 v43, v43, v44
	v_add_f32_e32 v41, v41, v43
	v_add_f32_e32 v37, v37, v39
	v_rcp_f32_e32 v39, v44
	s_delay_alu instid0(VALU_DEP_1) | instskip(NEXT) | instid1(VALU_DEP_1)
	v_add_f32_e32 v45, v40, v37
	v_sub_f32_e32 v40, v40, v45
	s_waitcnt_depctr 0xfff
	v_mul_f32_e32 v50, v45, v39
	v_add_f32_e32 v37, v37, v40
	s_delay_alu instid0(VALU_DEP_2) | instskip(NEXT) | instid1(VALU_DEP_1)
	v_mul_f32_e32 v51, v44, v50
	v_fma_f32 v43, v50, v44, -v51
	s_delay_alu instid0(VALU_DEP_1) | instskip(NEXT) | instid1(VALU_DEP_1)
	v_fmac_f32_e32 v43, v50, v41
	v_add_f32_e32 v52, v51, v43
	s_delay_alu instid0(VALU_DEP_1) | instskip(NEXT) | instid1(VALU_DEP_1)
	v_dual_sub_f32 v53, v45, v52 :: v_dual_sub_f32 v40, v52, v51
	v_dual_sub_f32 v45, v45, v53 :: v_dual_sub_f32 v40, v40, v43
	s_delay_alu instid0(VALU_DEP_1) | instskip(NEXT) | instid1(VALU_DEP_1)
	v_sub_f32_e32 v45, v45, v52
	v_add_f32_e32 v37, v37, v45
	s_delay_alu instid0(VALU_DEP_1) | instskip(NEXT) | instid1(VALU_DEP_1)
	v_add_f32_e32 v37, v40, v37
	v_add_f32_e32 v40, v53, v37
	s_delay_alu instid0(VALU_DEP_1) | instskip(NEXT) | instid1(VALU_DEP_1)
	v_mul_f32_e32 v43, v39, v40
	v_dual_sub_f32 v52, v53, v40 :: v_dual_mul_f32 v45, v44, v43
	s_delay_alu instid0(VALU_DEP_1) | instskip(NEXT) | instid1(VALU_DEP_2)
	v_add_f32_e32 v37, v37, v52
	v_fma_f32 v44, v43, v44, -v45
	s_delay_alu instid0(VALU_DEP_1) | instskip(NEXT) | instid1(VALU_DEP_1)
	v_fmac_f32_e32 v44, v43, v41
	v_add_f32_e32 v41, v45, v44
	s_delay_alu instid0(VALU_DEP_1) | instskip(NEXT) | instid1(VALU_DEP_1)
	v_sub_f32_e32 v51, v40, v41
	v_dual_sub_f32 v45, v41, v45 :: v_dual_sub_f32 v40, v40, v51
	s_delay_alu instid0(VALU_DEP_1) | instskip(NEXT) | instid1(VALU_DEP_1)
	v_dual_sub_f32 v40, v40, v41 :: v_dual_sub_f32 v41, v45, v44
	v_dual_add_f32 v37, v37, v40 :: v_dual_add_f32 v40, v50, v43
	s_delay_alu instid0(VALU_DEP_1) | instskip(NEXT) | instid1(VALU_DEP_2)
	v_add_f32_e32 v37, v41, v37
	v_sub_f32_e32 v41, v40, v50
	s_delay_alu instid0(VALU_DEP_2) | instskip(NEXT) | instid1(VALU_DEP_2)
	v_add_f32_e32 v37, v51, v37
	v_sub_f32_e32 v41, v43, v41
	s_delay_alu instid0(VALU_DEP_2) | instskip(NEXT) | instid1(VALU_DEP_1)
	v_mul_f32_e32 v37, v39, v37
	v_add_f32_e32 v37, v41, v37
	s_delay_alu instid0(VALU_DEP_1) | instskip(NEXT) | instid1(VALU_DEP_1)
	v_add_f32_e32 v39, v40, v37
	v_mul_f32_e32 v41, v39, v39
	s_delay_alu instid0(VALU_DEP_1) | instskip(SKIP_2) | instid1(VALU_DEP_3)
	v_fmaak_f32 v43, s38, v41, 0x3ecc95a3
	v_mul_f32_e32 v44, v39, v41
	v_cmp_eq_f32_e64 s38, 0x7f800000, v38
	v_fmaak_f32 v41, v41, v43, 0x3f2aaada
	v_ldexp_f32 v43, v39, 1
	v_sub_f32_e32 v39, v39, v40
	s_delay_alu instid0(VALU_DEP_4) | instskip(NEXT) | instid1(VALU_DEP_3)
	s_or_b32 s38, s38, s40
	v_dual_mul_f32 v41, v44, v41 :: v_dual_mul_f32 v44, 0x3f317218, v36
	s_delay_alu instid0(VALU_DEP_1) | instskip(NEXT) | instid1(VALU_DEP_1)
	v_dual_sub_f32 v37, v37, v39 :: v_dual_add_f32 v40, v43, v41
	v_ldexp_f32 v37, v37, 1
	s_delay_alu instid0(VALU_DEP_2) | instskip(NEXT) | instid1(VALU_DEP_4)
	v_sub_f32_e32 v39, v40, v43
	v_fma_f32 v43, 0x3f317218, v36, -v44
	s_delay_alu instid0(VALU_DEP_1) | instskip(NEXT) | instid1(VALU_DEP_1)
	v_dual_sub_f32 v39, v41, v39 :: v_dual_fmamk_f32 v36, v36, 0xb102e308, v43
	v_add_f32_e32 v37, v37, v39
	s_delay_alu instid0(VALU_DEP_2) | instskip(NEXT) | instid1(VALU_DEP_1)
	v_add_f32_e32 v39, v44, v36
	v_dual_add_f32 v41, v40, v37 :: v_dual_sub_f32 v44, v39, v44
	s_delay_alu instid0(VALU_DEP_1) | instskip(NEXT) | instid1(VALU_DEP_1)
	v_dual_add_f32 v43, v39, v41 :: v_dual_sub_f32 v40, v41, v40
	v_dual_sub_f32 v36, v36, v44 :: v_dual_sub_f32 v45, v43, v39
	s_delay_alu instid0(VALU_DEP_1) | instskip(SKIP_1) | instid1(VALU_DEP_2)
	v_dual_sub_f32 v37, v37, v40 :: v_dual_sub_f32 v50, v43, v45
	v_sub_f32_e32 v40, v41, v45
	v_add_f32_e32 v41, v36, v37
	s_delay_alu instid0(VALU_DEP_3) | instskip(NEXT) | instid1(VALU_DEP_1)
	v_sub_f32_e32 v39, v39, v50
	v_dual_add_f32 v39, v40, v39 :: v_dual_sub_f32 v40, v41, v36
	s_delay_alu instid0(VALU_DEP_1) | instskip(NEXT) | instid1(VALU_DEP_2)
	v_add_f32_e32 v39, v41, v39
	v_sub_f32_e32 v41, v41, v40
	s_delay_alu instid0(VALU_DEP_2) | instskip(NEXT) | instid1(VALU_DEP_2)
	v_dual_sub_f32 v37, v37, v40 :: v_dual_add_f32 v44, v43, v39
	v_sub_f32_e32 v36, v36, v41
	s_delay_alu instid0(VALU_DEP_2) | instskip(NEXT) | instid1(VALU_DEP_2)
	v_sub_f32_e32 v40, v44, v43
	v_add_f32_e32 v36, v37, v36
	s_delay_alu instid0(VALU_DEP_2) | instskip(NEXT) | instid1(VALU_DEP_1)
	v_sub_f32_e32 v37, v39, v40
	v_add_f32_e32 v36, v36, v37
	s_delay_alu instid0(VALU_DEP_1) | instskip(NEXT) | instid1(VALU_DEP_1)
	v_add_f32_e32 v36, v44, v36
	v_cndmask_b32_e64 v36, v36, v38, s38
	s_delay_alu instid0(VALU_DEP_1)
	v_add_f32_e32 v36, v34, v36
.LBB491_74:
	s_or_b32 exec_lo, exec_lo, s39
	s_delay_alu instid0(VALU_DEP_1) | instskip(SKIP_1) | instid1(VALU_DEP_2)
	v_bfe_u32 v34, v36, 16, 1
	v_cmp_o_f32_e64 s38, v36, v36
	v_add3_u32 v34, v36, v34, 0x7fff
	s_delay_alu instid0(VALU_DEP_1) | instskip(NEXT) | instid1(VALU_DEP_1)
	v_and_b32_e32 v34, 0xffff0000, v34
	v_cndmask_b32_e64 v37, 0x7fc00000, v34, s38
	s_delay_alu instid0(VALU_DEP_1) | instskip(NEXT) | instid1(VALU_DEP_1)
	v_dual_max_f32 v34, v37, v37 :: v_dual_and_b32 v7, 0xffff0000, v7
	v_max_f32_e32 v36, v7, v7
	v_cmp_u_f32_e64 s38, v37, v37
	s_delay_alu instid0(VALU_DEP_2) | instskip(SKIP_1) | instid1(VALU_DEP_2)
	v_min_f32_e32 v38, v34, v36
	v_max_f32_e32 v34, v34, v36
	v_cndmask_b32_e64 v38, v38, v37, s38
	s_delay_alu instid0(VALU_DEP_2) | instskip(SKIP_1) | instid1(VALU_DEP_1)
	v_cndmask_b32_e64 v34, v34, v37, s38
	v_cmp_u_f32_e64 s38, v7, v7
	v_cndmask_b32_e64 v38, v38, v7, s38
	s_delay_alu instid0(VALU_DEP_3) | instskip(NEXT) | instid1(VALU_DEP_2)
	v_cndmask_b32_e64 v34, v34, v7, s38
	v_cmp_class_f32_e64 s40, v38, 0x1f8
	s_delay_alu instid0(VALU_DEP_2) | instskip(NEXT) | instid1(VALU_DEP_1)
	v_cmp_neq_f32_e64 s39, v38, v34
	s_or_b32 s39, s39, s40
	s_delay_alu instid0(SALU_CYCLE_1)
	s_and_saveexec_b32 s40, s39
	s_cbranch_execz .LBB491_76
; %bb.75:
	v_sub_f32_e32 v37, v38, v34
	s_delay_alu instid0(VALU_DEP_1) | instskip(SKIP_1) | instid1(VALU_DEP_2)
	v_mul_f32_e32 v38, 0x3fb8aa3b, v37
	v_cmp_ngt_f32_e64 s39, 0xc2ce8ed0, v37
	v_fma_f32 v39, 0x3fb8aa3b, v37, -v38
	v_rndne_f32_e32 v40, v38
	s_delay_alu instid0(VALU_DEP_1) | instskip(NEXT) | instid1(VALU_DEP_1)
	v_dual_fmamk_f32 v39, v37, 0x32a5705f, v39 :: v_dual_sub_f32 v38, v38, v40
	v_add_f32_e32 v38, v38, v39
	v_cvt_i32_f32_e32 v39, v40
	s_delay_alu instid0(VALU_DEP_2) | instskip(SKIP_2) | instid1(VALU_DEP_1)
	v_exp_f32_e32 v38, v38
	s_waitcnt_depctr 0xfff
	v_ldexp_f32 v38, v38, v39
	v_cndmask_b32_e64 v38, 0, v38, s39
	v_cmp_nlt_f32_e64 s39, 0x42b17218, v37
	s_delay_alu instid0(VALU_DEP_1) | instskip(NEXT) | instid1(VALU_DEP_1)
	v_cndmask_b32_e64 v39, 0x7f800000, v38, s39
	v_add_f32_e32 v40, 1.0, v39
	v_cmp_gt_f32_e64 s41, 0x33800000, |v39|
	s_delay_alu instid0(VALU_DEP_2) | instskip(NEXT) | instid1(VALU_DEP_1)
	v_cvt_f64_f32_e32 v[37:38], v40
	v_frexp_exp_i32_f64_e32 v37, v[37:38]
	v_frexp_mant_f32_e32 v38, v40
	s_delay_alu instid0(VALU_DEP_1) | instskip(SKIP_1) | instid1(VALU_DEP_1)
	v_cmp_gt_f32_e64 s39, 0x3f2aaaab, v38
	v_add_f32_e32 v38, -1.0, v40
	v_dual_sub_f32 v43, v38, v40 :: v_dual_sub_f32 v38, v39, v38
	s_delay_alu instid0(VALU_DEP_1) | instskip(NEXT) | instid1(VALU_DEP_4)
	v_add_f32_e32 v43, 1.0, v43
	v_subrev_co_ci_u32_e64 v37, s39, 0, v37, s39
	s_mov_b32 s39, 0x3e9b6dac
	s_delay_alu instid0(VALU_DEP_1) | instskip(SKIP_1) | instid1(VALU_DEP_2)
	v_sub_nc_u32_e32 v41, 0, v37
	v_cvt_f32_i32_e32 v37, v37
	v_ldexp_f32 v40, v40, v41
	v_add_f32_e32 v38, v38, v43
	s_delay_alu instid0(VALU_DEP_1) | instskip(NEXT) | instid1(VALU_DEP_3)
	v_ldexp_f32 v38, v38, v41
	v_add_f32_e32 v41, -1.0, v40
	s_delay_alu instid0(VALU_DEP_1) | instskip(NEXT) | instid1(VALU_DEP_1)
	v_dual_add_f32 v44, 1.0, v40 :: v_dual_add_f32 v45, 1.0, v41
	v_add_f32_e32 v43, -1.0, v44
	s_delay_alu instid0(VALU_DEP_1) | instskip(NEXT) | instid1(VALU_DEP_1)
	v_sub_f32_e32 v43, v40, v43
	v_dual_sub_f32 v40, v40, v45 :: v_dual_add_f32 v43, v38, v43
	s_delay_alu instid0(VALU_DEP_1) | instskip(NEXT) | instid1(VALU_DEP_1)
	v_dual_add_f32 v38, v38, v40 :: v_dual_add_f32 v45, v44, v43
	v_rcp_f32_e32 v40, v45
	v_sub_f32_e32 v44, v44, v45
	s_delay_alu instid0(VALU_DEP_1) | instskip(NEXT) | instid1(VALU_DEP_1)
	v_dual_add_f32 v50, v41, v38 :: v_dual_add_f32 v43, v43, v44
	v_sub_f32_e32 v41, v41, v50
	s_waitcnt_depctr 0xfff
	v_mul_f32_e32 v51, v50, v40
	v_add_f32_e32 v38, v38, v41
	s_delay_alu instid0(VALU_DEP_2) | instskip(NEXT) | instid1(VALU_DEP_1)
	v_mul_f32_e32 v52, v45, v51
	v_fma_f32 v44, v51, v45, -v52
	s_delay_alu instid0(VALU_DEP_1) | instskip(NEXT) | instid1(VALU_DEP_1)
	v_fmac_f32_e32 v44, v51, v43
	v_add_f32_e32 v53, v52, v44
	s_delay_alu instid0(VALU_DEP_1) | instskip(NEXT) | instid1(VALU_DEP_1)
	v_sub_f32_e32 v54, v50, v53
	v_dual_sub_f32 v50, v50, v54 :: v_dual_sub_f32 v41, v53, v52
	s_delay_alu instid0(VALU_DEP_1) | instskip(NEXT) | instid1(VALU_DEP_1)
	v_dual_sub_f32 v50, v50, v53 :: v_dual_sub_f32 v41, v41, v44
	v_add_f32_e32 v38, v38, v50
	s_delay_alu instid0(VALU_DEP_1) | instskip(NEXT) | instid1(VALU_DEP_1)
	v_add_f32_e32 v38, v41, v38
	v_add_f32_e32 v41, v54, v38
	s_delay_alu instid0(VALU_DEP_1) | instskip(NEXT) | instid1(VALU_DEP_1)
	v_mul_f32_e32 v44, v40, v41
	v_dual_sub_f32 v53, v54, v41 :: v_dual_mul_f32 v50, v45, v44
	s_delay_alu instid0(VALU_DEP_1) | instskip(NEXT) | instid1(VALU_DEP_2)
	v_add_f32_e32 v38, v38, v53
	v_fma_f32 v45, v44, v45, -v50
	s_delay_alu instid0(VALU_DEP_1) | instskip(NEXT) | instid1(VALU_DEP_1)
	v_fmac_f32_e32 v45, v44, v43
	v_add_f32_e32 v43, v50, v45
	s_delay_alu instid0(VALU_DEP_1) | instskip(SKIP_1) | instid1(VALU_DEP_1)
	v_sub_f32_e32 v50, v43, v50
	v_sub_f32_e32 v52, v41, v43
	;; [unrolled: 1-line block ×3, first 2 shown]
	s_delay_alu instid0(VALU_DEP_1) | instskip(NEXT) | instid1(VALU_DEP_4)
	v_sub_f32_e32 v41, v41, v43
	v_sub_f32_e32 v43, v50, v45
	s_delay_alu instid0(VALU_DEP_2) | instskip(NEXT) | instid1(VALU_DEP_1)
	v_dual_add_f32 v38, v38, v41 :: v_dual_add_f32 v41, v51, v44
	v_dual_add_f32 v38, v43, v38 :: v_dual_sub_f32 v43, v41, v51
	s_delay_alu instid0(VALU_DEP_1) | instskip(NEXT) | instid1(VALU_DEP_2)
	v_add_f32_e32 v38, v52, v38
	v_sub_f32_e32 v43, v44, v43
	s_delay_alu instid0(VALU_DEP_2) | instskip(NEXT) | instid1(VALU_DEP_1)
	v_mul_f32_e32 v38, v40, v38
	v_add_f32_e32 v38, v43, v38
	s_delay_alu instid0(VALU_DEP_1) | instskip(NEXT) | instid1(VALU_DEP_1)
	v_add_f32_e32 v40, v41, v38
	v_mul_f32_e32 v43, v40, v40
	s_delay_alu instid0(VALU_DEP_1) | instskip(SKIP_2) | instid1(VALU_DEP_3)
	v_fmaak_f32 v44, s39, v43, 0x3ecc95a3
	v_mul_f32_e32 v45, v40, v43
	v_cmp_eq_f32_e64 s39, 0x7f800000, v39
	v_fmaak_f32 v43, v43, v44, 0x3f2aaada
	v_ldexp_f32 v44, v40, 1
	v_sub_f32_e32 v40, v40, v41
	s_delay_alu instid0(VALU_DEP_4) | instskip(NEXT) | instid1(VALU_DEP_3)
	s_or_b32 s39, s39, s41
	v_mul_f32_e32 v43, v45, v43
	s_delay_alu instid0(VALU_DEP_2) | instskip(NEXT) | instid1(VALU_DEP_2)
	v_dual_mul_f32 v45, 0x3f317218, v37 :: v_dual_sub_f32 v38, v38, v40
	v_add_f32_e32 v41, v44, v43
	s_delay_alu instid0(VALU_DEP_2) | instskip(NEXT) | instid1(VALU_DEP_2)
	v_ldexp_f32 v38, v38, 1
	v_sub_f32_e32 v40, v41, v44
	s_delay_alu instid0(VALU_DEP_4) | instskip(NEXT) | instid1(VALU_DEP_1)
	v_fma_f32 v44, 0x3f317218, v37, -v45
	v_dual_sub_f32 v40, v43, v40 :: v_dual_fmamk_f32 v37, v37, 0xb102e308, v44
	s_delay_alu instid0(VALU_DEP_1) | instskip(NEXT) | instid1(VALU_DEP_2)
	v_add_f32_e32 v38, v38, v40
	v_add_f32_e32 v40, v45, v37
	s_delay_alu instid0(VALU_DEP_1) | instskip(NEXT) | instid1(VALU_DEP_3)
	v_sub_f32_e32 v45, v40, v45
	v_add_f32_e32 v43, v41, v38
	s_delay_alu instid0(VALU_DEP_1) | instskip(SKIP_1) | instid1(VALU_DEP_1)
	v_dual_sub_f32 v37, v37, v45 :: v_dual_add_f32 v44, v40, v43
	v_sub_f32_e32 v41, v43, v41
	v_sub_f32_e32 v38, v38, v41
	s_delay_alu instid0(VALU_DEP_3) | instskip(NEXT) | instid1(VALU_DEP_1)
	v_sub_f32_e32 v50, v44, v40
	v_sub_f32_e32 v41, v43, v50
	s_delay_alu instid0(VALU_DEP_3) | instskip(SKIP_1) | instid1(VALU_DEP_1)
	v_add_f32_e32 v43, v37, v38
	v_sub_f32_e32 v51, v44, v50
	v_sub_f32_e32 v40, v40, v51
	s_delay_alu instid0(VALU_DEP_1) | instskip(NEXT) | instid1(VALU_DEP_1)
	v_dual_add_f32 v40, v41, v40 :: v_dual_sub_f32 v41, v43, v37
	v_add_f32_e32 v40, v43, v40
	s_delay_alu instid0(VALU_DEP_2) | instskip(NEXT) | instid1(VALU_DEP_1)
	v_sub_f32_e32 v43, v43, v41
	v_sub_f32_e32 v37, v37, v43
	s_delay_alu instid0(VALU_DEP_3) | instskip(NEXT) | instid1(VALU_DEP_1)
	v_dual_add_f32 v45, v44, v40 :: v_dual_sub_f32 v38, v38, v41
	v_sub_f32_e32 v41, v45, v44
	s_delay_alu instid0(VALU_DEP_2) | instskip(NEXT) | instid1(VALU_DEP_2)
	v_add_f32_e32 v37, v38, v37
	v_sub_f32_e32 v38, v40, v41
	s_delay_alu instid0(VALU_DEP_1) | instskip(NEXT) | instid1(VALU_DEP_1)
	v_add_f32_e32 v37, v37, v38
	v_add_f32_e32 v37, v45, v37
	s_delay_alu instid0(VALU_DEP_1) | instskip(NEXT) | instid1(VALU_DEP_1)
	v_cndmask_b32_e64 v37, v37, v39, s39
	v_add_f32_e32 v37, v34, v37
.LBB491_76:
	s_or_b32 exec_lo, exec_lo, s40
	s_delay_alu instid0(VALU_DEP_1) | instskip(SKIP_1) | instid1(VALU_DEP_2)
	v_bfe_u32 v34, v37, 16, 1
	v_cmp_o_f32_e64 s39, v37, v37
	v_add3_u32 v34, v37, v34, 0x7fff
	s_delay_alu instid0(VALU_DEP_1) | instskip(NEXT) | instid1(VALU_DEP_1)
	v_and_b32_e32 v38, 0xffff0000, v34
	v_cndmask_b32_e64 v39, 0x7fc00000, v38, s39
	s_delay_alu instid0(VALU_DEP_1) | instskip(SKIP_1) | instid1(VALU_DEP_2)
	v_dual_max_f32 v37, v39, v39 :: v_dual_lshlrev_b32 v34, 16, v4
	v_cmp_u_f32_e64 s39, v39, v39
	v_max_f32_e32 v38, v34, v34
	s_delay_alu instid0(VALU_DEP_1) | instskip(SKIP_1) | instid1(VALU_DEP_2)
	v_min_f32_e32 v40, v37, v38
	v_max_f32_e32 v37, v37, v38
	v_cndmask_b32_e64 v40, v40, v39, s39
	s_delay_alu instid0(VALU_DEP_2) | instskip(SKIP_1) | instid1(VALU_DEP_1)
	v_cndmask_b32_e64 v37, v37, v39, s39
	v_cmp_u_f32_e64 s39, v34, v34
	v_cndmask_b32_e64 v40, v40, v34, s39
	s_delay_alu instid0(VALU_DEP_3) | instskip(NEXT) | instid1(VALU_DEP_2)
	v_cndmask_b32_e64 v37, v37, v34, s39
	v_cmp_class_f32_e64 s41, v40, 0x1f8
	s_delay_alu instid0(VALU_DEP_2) | instskip(NEXT) | instid1(VALU_DEP_1)
	v_cmp_neq_f32_e64 s40, v40, v37
	s_or_b32 s40, s40, s41
	s_delay_alu instid0(SALU_CYCLE_1)
	s_and_saveexec_b32 s41, s40
	s_cbranch_execz .LBB491_78
; %bb.77:
	v_sub_f32_e32 v39, v40, v37
	s_delay_alu instid0(VALU_DEP_1) | instskip(SKIP_1) | instid1(VALU_DEP_2)
	v_mul_f32_e32 v40, 0x3fb8aa3b, v39
	v_cmp_ngt_f32_e64 s40, 0xc2ce8ed0, v39
	v_fma_f32 v41, 0x3fb8aa3b, v39, -v40
	v_rndne_f32_e32 v43, v40
	s_delay_alu instid0(VALU_DEP_1) | instskip(NEXT) | instid1(VALU_DEP_1)
	v_dual_fmamk_f32 v41, v39, 0x32a5705f, v41 :: v_dual_sub_f32 v40, v40, v43
	v_add_f32_e32 v40, v40, v41
	v_cvt_i32_f32_e32 v41, v43
	s_delay_alu instid0(VALU_DEP_2) | instskip(SKIP_2) | instid1(VALU_DEP_1)
	v_exp_f32_e32 v40, v40
	s_waitcnt_depctr 0xfff
	v_ldexp_f32 v40, v40, v41
	v_cndmask_b32_e64 v40, 0, v40, s40
	v_cmp_nlt_f32_e64 s40, 0x42b17218, v39
	s_delay_alu instid0(VALU_DEP_1) | instskip(NEXT) | instid1(VALU_DEP_1)
	v_cndmask_b32_e64 v41, 0x7f800000, v40, s40
	v_add_f32_e32 v43, 1.0, v41
	v_cmp_gt_f32_e64 s42, 0x33800000, |v41|
	s_delay_alu instid0(VALU_DEP_2) | instskip(NEXT) | instid1(VALU_DEP_1)
	v_cvt_f64_f32_e32 v[39:40], v43
	v_frexp_exp_i32_f64_e32 v39, v[39:40]
	v_frexp_mant_f32_e32 v40, v43
	s_delay_alu instid0(VALU_DEP_1) | instskip(SKIP_1) | instid1(VALU_DEP_1)
	v_cmp_gt_f32_e64 s40, 0x3f2aaaab, v40
	v_add_f32_e32 v40, -1.0, v43
	v_dual_sub_f32 v45, v40, v43 :: v_dual_sub_f32 v40, v41, v40
	s_delay_alu instid0(VALU_DEP_3) | instskip(SKIP_1) | instid1(VALU_DEP_1)
	v_subrev_co_ci_u32_e64 v39, s40, 0, v39, s40
	s_mov_b32 s40, 0x3e9b6dac
	v_sub_nc_u32_e32 v44, 0, v39
	v_cvt_f32_i32_e32 v39, v39
	s_delay_alu instid0(VALU_DEP_2) | instskip(NEXT) | instid1(VALU_DEP_1)
	v_ldexp_f32 v43, v43, v44
	v_dual_add_f32 v45, 1.0, v45 :: v_dual_add_f32 v50, 1.0, v43
	s_delay_alu instid0(VALU_DEP_1) | instskip(NEXT) | instid1(VALU_DEP_1)
	v_dual_add_f32 v40, v40, v45 :: v_dual_add_f32 v45, -1.0, v50
	v_ldexp_f32 v40, v40, v44
	s_delay_alu instid0(VALU_DEP_2) | instskip(NEXT) | instid1(VALU_DEP_1)
	v_dual_add_f32 v44, -1.0, v43 :: v_dual_sub_f32 v45, v43, v45
	v_add_f32_e32 v51, 1.0, v44
	s_delay_alu instid0(VALU_DEP_2) | instskip(NEXT) | instid1(VALU_DEP_2)
	v_add_f32_e32 v45, v40, v45
	v_sub_f32_e32 v43, v43, v51
	s_delay_alu instid0(VALU_DEP_1) | instskip(NEXT) | instid1(VALU_DEP_1)
	v_dual_add_f32 v51, v50, v45 :: v_dual_add_f32 v40, v40, v43
	v_rcp_f32_e32 v43, v51
	v_sub_f32_e32 v50, v50, v51
	s_delay_alu instid0(VALU_DEP_1) | instskip(NEXT) | instid1(VALU_DEP_1)
	v_dual_add_f32 v52, v44, v40 :: v_dual_add_f32 v45, v45, v50
	v_sub_f32_e32 v44, v44, v52
	s_waitcnt_depctr 0xfff
	v_mul_f32_e32 v53, v52, v43
	v_add_f32_e32 v40, v40, v44
	s_delay_alu instid0(VALU_DEP_2) | instskip(NEXT) | instid1(VALU_DEP_1)
	v_mul_f32_e32 v54, v51, v53
	v_fma_f32 v50, v53, v51, -v54
	s_delay_alu instid0(VALU_DEP_1) | instskip(NEXT) | instid1(VALU_DEP_1)
	v_fmac_f32_e32 v50, v53, v45
	v_add_f32_e32 v55, v54, v50
	s_delay_alu instid0(VALU_DEP_1) | instskip(SKIP_1) | instid1(VALU_DEP_2)
	v_sub_f32_e32 v56, v52, v55
	v_sub_f32_e32 v44, v55, v54
	;; [unrolled: 1-line block ×3, first 2 shown]
	s_delay_alu instid0(VALU_DEP_2) | instskip(NEXT) | instid1(VALU_DEP_2)
	v_sub_f32_e32 v44, v44, v50
	v_sub_f32_e32 v52, v52, v55
	s_delay_alu instid0(VALU_DEP_1) | instskip(NEXT) | instid1(VALU_DEP_1)
	v_add_f32_e32 v40, v40, v52
	v_add_f32_e32 v40, v44, v40
	s_delay_alu instid0(VALU_DEP_1) | instskip(NEXT) | instid1(VALU_DEP_1)
	v_add_f32_e32 v44, v56, v40
	v_mul_f32_e32 v50, v43, v44
	s_delay_alu instid0(VALU_DEP_1) | instskip(NEXT) | instid1(VALU_DEP_1)
	v_mul_f32_e32 v52, v51, v50
	v_fma_f32 v51, v50, v51, -v52
	s_delay_alu instid0(VALU_DEP_1) | instskip(SKIP_1) | instid1(VALU_DEP_2)
	v_fmac_f32_e32 v51, v50, v45
	v_sub_f32_e32 v55, v56, v44
	v_add_f32_e32 v45, v52, v51
	s_delay_alu instid0(VALU_DEP_2) | instskip(NEXT) | instid1(VALU_DEP_2)
	v_add_f32_e32 v40, v40, v55
	v_sub_f32_e32 v54, v44, v45
	v_sub_f32_e32 v52, v45, v52
	s_delay_alu instid0(VALU_DEP_2) | instskip(NEXT) | instid1(VALU_DEP_1)
	v_sub_f32_e32 v44, v44, v54
	v_sub_f32_e32 v44, v44, v45
	s_delay_alu instid0(VALU_DEP_3) | instskip(NEXT) | instid1(VALU_DEP_2)
	v_sub_f32_e32 v45, v52, v51
	v_add_f32_e32 v40, v40, v44
	v_add_f32_e32 v44, v53, v50
	s_delay_alu instid0(VALU_DEP_1) | instskip(NEXT) | instid1(VALU_DEP_1)
	v_dual_add_f32 v40, v45, v40 :: v_dual_sub_f32 v45, v44, v53
	v_add_f32_e32 v40, v54, v40
	s_delay_alu instid0(VALU_DEP_1) | instskip(NEXT) | instid1(VALU_DEP_1)
	v_dual_sub_f32 v45, v50, v45 :: v_dual_mul_f32 v40, v43, v40
	v_add_f32_e32 v40, v45, v40
	s_delay_alu instid0(VALU_DEP_1) | instskip(NEXT) | instid1(VALU_DEP_1)
	v_add_f32_e32 v43, v44, v40
	v_mul_f32_e32 v45, v43, v43
	s_delay_alu instid0(VALU_DEP_1) | instskip(SKIP_2) | instid1(VALU_DEP_3)
	v_fmaak_f32 v50, s40, v45, 0x3ecc95a3
	v_mul_f32_e32 v51, v43, v45
	v_cmp_eq_f32_e64 s40, 0x7f800000, v41
	v_fmaak_f32 v45, v45, v50, 0x3f2aaada
	v_ldexp_f32 v50, v43, 1
	v_sub_f32_e32 v43, v43, v44
	s_delay_alu instid0(VALU_DEP_4) | instskip(NEXT) | instid1(VALU_DEP_3)
	s_or_b32 s40, s40, s42
	v_mul_f32_e32 v45, v51, v45
	v_mul_f32_e32 v51, 0x3f317218, v39
	s_delay_alu instid0(VALU_DEP_3) | instskip(NEXT) | instid1(VALU_DEP_3)
	v_sub_f32_e32 v40, v40, v43
	v_add_f32_e32 v44, v50, v45
	s_delay_alu instid0(VALU_DEP_2) | instskip(NEXT) | instid1(VALU_DEP_2)
	v_ldexp_f32 v40, v40, 1
	v_sub_f32_e32 v43, v44, v50
	v_fma_f32 v50, 0x3f317218, v39, -v51
	s_delay_alu instid0(VALU_DEP_2) | instskip(NEXT) | instid1(VALU_DEP_1)
	v_sub_f32_e32 v43, v45, v43
	v_dual_fmamk_f32 v39, v39, 0xb102e308, v50 :: v_dual_add_f32 v40, v40, v43
	s_delay_alu instid0(VALU_DEP_1) | instskip(NEXT) | instid1(VALU_DEP_2)
	v_add_f32_e32 v43, v51, v39
	v_add_f32_e32 v45, v44, v40
	s_delay_alu instid0(VALU_DEP_2) | instskip(NEXT) | instid1(VALU_DEP_2)
	v_sub_f32_e32 v51, v43, v51
	v_add_f32_e32 v50, v43, v45
	s_delay_alu instid0(VALU_DEP_2) | instskip(NEXT) | instid1(VALU_DEP_2)
	v_sub_f32_e32 v39, v39, v51
	v_sub_f32_e32 v52, v50, v43
	;; [unrolled: 1-line block ×3, first 2 shown]
	s_delay_alu instid0(VALU_DEP_2) | instskip(NEXT) | instid1(VALU_DEP_2)
	v_sub_f32_e32 v53, v50, v52
	v_sub_f32_e32 v40, v40, v44
	s_delay_alu instid0(VALU_DEP_2) | instskip(NEXT) | instid1(VALU_DEP_2)
	v_dual_sub_f32 v44, v45, v52 :: v_dual_sub_f32 v43, v43, v53
	v_add_f32_e32 v45, v39, v40
	s_delay_alu instid0(VALU_DEP_2) | instskip(NEXT) | instid1(VALU_DEP_2)
	v_add_f32_e32 v43, v44, v43
	v_sub_f32_e32 v44, v45, v39
	s_delay_alu instid0(VALU_DEP_2) | instskip(NEXT) | instid1(VALU_DEP_2)
	v_add_f32_e32 v43, v45, v43
	v_sub_f32_e32 v45, v45, v44
	s_delay_alu instid0(VALU_DEP_2) | instskip(NEXT) | instid1(VALU_DEP_2)
	v_dual_sub_f32 v40, v40, v44 :: v_dual_add_f32 v51, v50, v43
	v_sub_f32_e32 v39, v39, v45
	s_delay_alu instid0(VALU_DEP_1) | instskip(NEXT) | instid1(VALU_DEP_1)
	v_dual_sub_f32 v44, v51, v50 :: v_dual_add_f32 v39, v40, v39
	v_sub_f32_e32 v40, v43, v44
	s_delay_alu instid0(VALU_DEP_1) | instskip(NEXT) | instid1(VALU_DEP_1)
	v_add_f32_e32 v39, v39, v40
	v_add_f32_e32 v39, v51, v39
	s_delay_alu instid0(VALU_DEP_1) | instskip(NEXT) | instid1(VALU_DEP_1)
	v_cndmask_b32_e64 v39, v39, v41, s40
	v_add_f32_e32 v39, v37, v39
.LBB491_78:
	s_or_b32 exec_lo, exec_lo, s41
	s_delay_alu instid0(VALU_DEP_1) | instskip(SKIP_1) | instid1(VALU_DEP_2)
	v_bfe_u32 v37, v39, 16, 1
	v_cmp_o_f32_e64 s40, v39, v39
	v_add3_u32 v37, v39, v37, 0x7fff
	s_delay_alu instid0(VALU_DEP_1) | instskip(NEXT) | instid1(VALU_DEP_1)
	v_and_b32_e32 v37, 0xffff0000, v37
	v_cndmask_b32_e64 v40, 0x7fc00000, v37, s40
	s_delay_alu instid0(VALU_DEP_1) | instskip(SKIP_2) | instid1(VALU_DEP_2)
	v_max_f32_e32 v37, v40, v40
	v_and_b32_e32 v4, 0xffff0000, v4
	v_cmp_u_f32_e64 s40, v40, v40
	v_max_f32_e32 v39, v4, v4
	s_delay_alu instid0(VALU_DEP_1) | instskip(SKIP_1) | instid1(VALU_DEP_2)
	v_min_f32_e32 v41, v37, v39
	v_max_f32_e32 v37, v37, v39
	v_cndmask_b32_e64 v41, v41, v40, s40
	s_delay_alu instid0(VALU_DEP_2) | instskip(SKIP_1) | instid1(VALU_DEP_1)
	v_cndmask_b32_e64 v37, v37, v40, s40
	v_cmp_u_f32_e64 s40, v4, v4
	v_cndmask_b32_e64 v41, v41, v4, s40
	s_delay_alu instid0(VALU_DEP_3) | instskip(NEXT) | instid1(VALU_DEP_2)
	v_cndmask_b32_e64 v37, v37, v4, s40
	v_cmp_class_f32_e64 s42, v41, 0x1f8
	s_delay_alu instid0(VALU_DEP_2) | instskip(NEXT) | instid1(VALU_DEP_1)
	v_cmp_neq_f32_e64 s41, v41, v37
	s_or_b32 s41, s41, s42
	s_delay_alu instid0(SALU_CYCLE_1)
	s_and_saveexec_b32 s42, s41
	s_cbranch_execz .LBB491_80
; %bb.79:
	v_sub_f32_e32 v40, v41, v37
	s_delay_alu instid0(VALU_DEP_1) | instskip(SKIP_1) | instid1(VALU_DEP_2)
	v_mul_f32_e32 v41, 0x3fb8aa3b, v40
	v_cmp_ngt_f32_e64 s41, 0xc2ce8ed0, v40
	v_fma_f32 v43, 0x3fb8aa3b, v40, -v41
	v_rndne_f32_e32 v44, v41
	s_delay_alu instid0(VALU_DEP_2) | instskip(NEXT) | instid1(VALU_DEP_2)
	v_fmamk_f32 v43, v40, 0x32a5705f, v43
	v_sub_f32_e32 v41, v41, v44
	s_delay_alu instid0(VALU_DEP_1) | instskip(SKIP_1) | instid1(VALU_DEP_2)
	v_add_f32_e32 v41, v41, v43
	v_cvt_i32_f32_e32 v43, v44
	v_exp_f32_e32 v41, v41
	s_waitcnt_depctr 0xfff
	v_ldexp_f32 v41, v41, v43
	s_delay_alu instid0(VALU_DEP_1) | instskip(SKIP_1) | instid1(VALU_DEP_1)
	v_cndmask_b32_e64 v41, 0, v41, s41
	v_cmp_nlt_f32_e64 s41, 0x42b17218, v40
	v_cndmask_b32_e64 v43, 0x7f800000, v41, s41
	s_delay_alu instid0(VALU_DEP_1) | instskip(SKIP_1) | instid1(VALU_DEP_2)
	v_add_f32_e32 v44, 1.0, v43
	v_cmp_gt_f32_e64 s43, 0x33800000, |v43|
	v_cvt_f64_f32_e32 v[40:41], v44
	s_delay_alu instid0(VALU_DEP_1) | instskip(SKIP_1) | instid1(VALU_DEP_1)
	v_frexp_exp_i32_f64_e32 v40, v[40:41]
	v_frexp_mant_f32_e32 v41, v44
	v_cmp_gt_f32_e64 s41, 0x3f2aaaab, v41
	v_add_f32_e32 v41, -1.0, v44
	s_delay_alu instid0(VALU_DEP_1) | instskip(NEXT) | instid1(VALU_DEP_1)
	v_sub_f32_e32 v50, v41, v44
	v_add_f32_e32 v50, 1.0, v50
	s_delay_alu instid0(VALU_DEP_4) | instskip(SKIP_1) | instid1(VALU_DEP_1)
	v_subrev_co_ci_u32_e64 v40, s41, 0, v40, s41
	s_mov_b32 s41, 0x3e9b6dac
	v_sub_nc_u32_e32 v45, 0, v40
	v_cvt_f32_i32_e32 v40, v40
	s_delay_alu instid0(VALU_DEP_2) | instskip(NEXT) | instid1(VALU_DEP_1)
	v_ldexp_f32 v44, v44, v45
	v_add_f32_e32 v51, 1.0, v44
	v_sub_f32_e32 v41, v43, v41
	s_delay_alu instid0(VALU_DEP_1) | instskip(NEXT) | instid1(VALU_DEP_1)
	v_add_f32_e32 v41, v41, v50
	v_ldexp_f32 v41, v41, v45
	v_add_f32_e32 v45, -1.0, v44
	s_delay_alu instid0(VALU_DEP_1) | instskip(SKIP_1) | instid1(VALU_DEP_1)
	v_add_f32_e32 v52, 1.0, v45
	v_add_f32_e32 v50, -1.0, v51
	v_sub_f32_e32 v50, v44, v50
	s_delay_alu instid0(VALU_DEP_3) | instskip(NEXT) | instid1(VALU_DEP_2)
	v_sub_f32_e32 v44, v44, v52
	v_add_f32_e32 v50, v41, v50
	s_delay_alu instid0(VALU_DEP_1) | instskip(NEXT) | instid1(VALU_DEP_1)
	v_dual_add_f32 v41, v41, v44 :: v_dual_add_f32 v52, v51, v50
	v_rcp_f32_e32 v44, v52
	v_sub_f32_e32 v51, v51, v52
	s_delay_alu instid0(VALU_DEP_1) | instskip(NEXT) | instid1(VALU_DEP_1)
	v_dual_add_f32 v53, v45, v41 :: v_dual_add_f32 v50, v50, v51
	v_sub_f32_e32 v45, v45, v53
	s_waitcnt_depctr 0xfff
	v_mul_f32_e32 v54, v53, v44
	v_add_f32_e32 v41, v41, v45
	s_delay_alu instid0(VALU_DEP_2) | instskip(NEXT) | instid1(VALU_DEP_1)
	v_mul_f32_e32 v55, v52, v54
	v_fma_f32 v51, v54, v52, -v55
	s_delay_alu instid0(VALU_DEP_1) | instskip(NEXT) | instid1(VALU_DEP_1)
	v_fmac_f32_e32 v51, v54, v50
	v_add_f32_e32 v56, v55, v51
	s_delay_alu instid0(VALU_DEP_1) | instskip(SKIP_1) | instid1(VALU_DEP_2)
	v_sub_f32_e32 v57, v53, v56
	v_sub_f32_e32 v45, v56, v55
	;; [unrolled: 1-line block ×3, first 2 shown]
	s_delay_alu instid0(VALU_DEP_2) | instskip(NEXT) | instid1(VALU_DEP_2)
	v_sub_f32_e32 v45, v45, v51
	v_sub_f32_e32 v53, v53, v56
	s_delay_alu instid0(VALU_DEP_1) | instskip(NEXT) | instid1(VALU_DEP_1)
	v_add_f32_e32 v41, v41, v53
	v_add_f32_e32 v41, v45, v41
	s_delay_alu instid0(VALU_DEP_1) | instskip(NEXT) | instid1(VALU_DEP_1)
	v_add_f32_e32 v45, v57, v41
	v_mul_f32_e32 v51, v44, v45
	s_delay_alu instid0(VALU_DEP_1) | instskip(NEXT) | instid1(VALU_DEP_1)
	v_mul_f32_e32 v53, v52, v51
	v_fma_f32 v52, v51, v52, -v53
	s_delay_alu instid0(VALU_DEP_1) | instskip(SKIP_1) | instid1(VALU_DEP_2)
	v_fmac_f32_e32 v52, v51, v50
	v_sub_f32_e32 v56, v57, v45
	v_add_f32_e32 v50, v53, v52
	s_delay_alu instid0(VALU_DEP_2) | instskip(NEXT) | instid1(VALU_DEP_2)
	v_add_f32_e32 v41, v41, v56
	v_sub_f32_e32 v55, v45, v50
	v_sub_f32_e32 v53, v50, v53
	s_delay_alu instid0(VALU_DEP_2) | instskip(NEXT) | instid1(VALU_DEP_1)
	v_sub_f32_e32 v45, v45, v55
	v_sub_f32_e32 v45, v45, v50
	s_delay_alu instid0(VALU_DEP_3) | instskip(NEXT) | instid1(VALU_DEP_2)
	v_sub_f32_e32 v50, v53, v52
	v_add_f32_e32 v41, v41, v45
	v_add_f32_e32 v45, v54, v51
	s_delay_alu instid0(VALU_DEP_1) | instskip(NEXT) | instid1(VALU_DEP_1)
	v_dual_add_f32 v41, v50, v41 :: v_dual_sub_f32 v50, v45, v54
	v_add_f32_e32 v41, v55, v41
	s_delay_alu instid0(VALU_DEP_1) | instskip(NEXT) | instid1(VALU_DEP_1)
	v_dual_sub_f32 v50, v51, v50 :: v_dual_mul_f32 v41, v44, v41
	v_add_f32_e32 v41, v50, v41
	s_delay_alu instid0(VALU_DEP_1) | instskip(NEXT) | instid1(VALU_DEP_1)
	v_add_f32_e32 v44, v45, v41
	v_mul_f32_e32 v50, v44, v44
	s_delay_alu instid0(VALU_DEP_1) | instskip(SKIP_2) | instid1(VALU_DEP_3)
	v_fmaak_f32 v51, s41, v50, 0x3ecc95a3
	v_mul_f32_e32 v52, v44, v50
	v_cmp_eq_f32_e64 s41, 0x7f800000, v43
	v_fmaak_f32 v50, v50, v51, 0x3f2aaada
	v_ldexp_f32 v51, v44, 1
	v_sub_f32_e32 v44, v44, v45
	s_delay_alu instid0(VALU_DEP_4) | instskip(NEXT) | instid1(VALU_DEP_3)
	s_or_b32 s41, s41, s43
	v_mul_f32_e32 v50, v52, v50
	v_mul_f32_e32 v52, 0x3f317218, v40
	s_delay_alu instid0(VALU_DEP_3) | instskip(NEXT) | instid1(VALU_DEP_3)
	v_sub_f32_e32 v41, v41, v44
	v_add_f32_e32 v45, v51, v50
	s_delay_alu instid0(VALU_DEP_2) | instskip(NEXT) | instid1(VALU_DEP_2)
	v_ldexp_f32 v41, v41, 1
	v_sub_f32_e32 v44, v45, v51
	v_fma_f32 v51, 0x3f317218, v40, -v52
	s_delay_alu instid0(VALU_DEP_2) | instskip(NEXT) | instid1(VALU_DEP_1)
	v_sub_f32_e32 v44, v50, v44
	v_dual_fmamk_f32 v40, v40, 0xb102e308, v51 :: v_dual_add_f32 v41, v41, v44
	s_delay_alu instid0(VALU_DEP_1) | instskip(NEXT) | instid1(VALU_DEP_2)
	v_add_f32_e32 v44, v52, v40
	v_add_f32_e32 v50, v45, v41
	s_delay_alu instid0(VALU_DEP_2) | instskip(NEXT) | instid1(VALU_DEP_2)
	v_sub_f32_e32 v52, v44, v52
	v_add_f32_e32 v51, v44, v50
	s_delay_alu instid0(VALU_DEP_2) | instskip(NEXT) | instid1(VALU_DEP_2)
	v_dual_sub_f32 v45, v50, v45 :: v_dual_sub_f32 v40, v40, v52
	v_sub_f32_e32 v53, v51, v44
	s_delay_alu instid0(VALU_DEP_2) | instskip(NEXT) | instid1(VALU_DEP_2)
	v_sub_f32_e32 v41, v41, v45
	v_sub_f32_e32 v54, v51, v53
	;; [unrolled: 1-line block ×3, first 2 shown]
	s_delay_alu instid0(VALU_DEP_3) | instskip(NEXT) | instid1(VALU_DEP_3)
	v_add_f32_e32 v50, v40, v41
	v_sub_f32_e32 v44, v44, v54
	s_delay_alu instid0(VALU_DEP_1) | instskip(NEXT) | instid1(VALU_DEP_3)
	v_add_f32_e32 v44, v45, v44
	v_sub_f32_e32 v45, v50, v40
	s_delay_alu instid0(VALU_DEP_2) | instskip(NEXT) | instid1(VALU_DEP_2)
	v_add_f32_e32 v44, v50, v44
	v_sub_f32_e32 v50, v50, v45
	s_delay_alu instid0(VALU_DEP_1) | instskip(NEXT) | instid1(VALU_DEP_1)
	v_dual_sub_f32 v41, v41, v45 :: v_dual_sub_f32 v40, v40, v50
	v_add_f32_e32 v40, v41, v40
	s_delay_alu instid0(VALU_DEP_4) | instskip(NEXT) | instid1(VALU_DEP_1)
	v_add_f32_e32 v52, v51, v44
	v_sub_f32_e32 v45, v52, v51
	s_delay_alu instid0(VALU_DEP_1) | instskip(NEXT) | instid1(VALU_DEP_1)
	v_sub_f32_e32 v41, v44, v45
	v_add_f32_e32 v40, v40, v41
	s_delay_alu instid0(VALU_DEP_1) | instskip(NEXT) | instid1(VALU_DEP_1)
	v_add_f32_e32 v40, v52, v40
	v_cndmask_b32_e64 v40, v40, v43, s41
	s_delay_alu instid0(VALU_DEP_1)
	v_add_f32_e32 v40, v37, v40
.LBB491_80:
	s_or_b32 exec_lo, exec_lo, s42
	s_delay_alu instid0(VALU_DEP_1) | instskip(SKIP_1) | instid1(VALU_DEP_2)
	v_bfe_u32 v37, v40, 16, 1
	v_cmp_o_f32_e64 s41, v40, v40
	v_add3_u32 v37, v40, v37, 0x7fff
	s_delay_alu instid0(VALU_DEP_1) | instskip(SKIP_1) | instid1(VALU_DEP_2)
	v_and_b32_e32 v41, 0xffff0000, v37
	v_lshlrev_b32_e32 v37, 16, v5
	v_cndmask_b32_e64 v43, 0x7fc00000, v41, s41
	s_delay_alu instid0(VALU_DEP_1) | instskip(SKIP_1) | instid1(VALU_DEP_2)
	v_dual_max_f32 v41, v37, v37 :: v_dual_max_f32 v40, v43, v43
	v_cmp_u_f32_e64 s41, v43, v43
	v_min_f32_e32 v44, v40, v41
	v_max_f32_e32 v40, v40, v41
	s_delay_alu instid0(VALU_DEP_2) | instskip(NEXT) | instid1(VALU_DEP_2)
	v_cndmask_b32_e64 v44, v44, v43, s41
	v_cndmask_b32_e64 v40, v40, v43, s41
	v_cmp_u_f32_e64 s41, v37, v37
	s_delay_alu instid0(VALU_DEP_1) | instskip(NEXT) | instid1(VALU_DEP_3)
	v_cndmask_b32_e64 v44, v44, v37, s41
	v_cndmask_b32_e64 v40, v40, v37, s41
	s_delay_alu instid0(VALU_DEP_2) | instskip(NEXT) | instid1(VALU_DEP_2)
	v_cmp_class_f32_e64 s43, v44, 0x1f8
	v_cmp_neq_f32_e64 s42, v44, v40
	s_delay_alu instid0(VALU_DEP_1) | instskip(NEXT) | instid1(SALU_CYCLE_1)
	s_or_b32 s42, s42, s43
	s_and_saveexec_b32 s43, s42
	s_cbranch_execz .LBB491_82
; %bb.81:
	v_sub_f32_e32 v43, v44, v40
	s_delay_alu instid0(VALU_DEP_1) | instskip(SKIP_1) | instid1(VALU_DEP_2)
	v_mul_f32_e32 v44, 0x3fb8aa3b, v43
	v_cmp_ngt_f32_e64 s42, 0xc2ce8ed0, v43
	v_fma_f32 v45, 0x3fb8aa3b, v43, -v44
	v_rndne_f32_e32 v50, v44
	s_delay_alu instid0(VALU_DEP_1) | instskip(NEXT) | instid1(VALU_DEP_1)
	v_dual_fmamk_f32 v45, v43, 0x32a5705f, v45 :: v_dual_sub_f32 v44, v44, v50
	v_add_f32_e32 v44, v44, v45
	v_cvt_i32_f32_e32 v45, v50
	s_delay_alu instid0(VALU_DEP_2) | instskip(SKIP_2) | instid1(VALU_DEP_1)
	v_exp_f32_e32 v44, v44
	s_waitcnt_depctr 0xfff
	v_ldexp_f32 v44, v44, v45
	v_cndmask_b32_e64 v44, 0, v44, s42
	v_cmp_nlt_f32_e64 s42, 0x42b17218, v43
	s_delay_alu instid0(VALU_DEP_1) | instskip(NEXT) | instid1(VALU_DEP_1)
	v_cndmask_b32_e64 v45, 0x7f800000, v44, s42
	v_add_f32_e32 v50, 1.0, v45
	v_cmp_gt_f32_e64 s44, 0x33800000, |v45|
	s_delay_alu instid0(VALU_DEP_2) | instskip(NEXT) | instid1(VALU_DEP_1)
	v_cvt_f64_f32_e32 v[43:44], v50
	v_frexp_exp_i32_f64_e32 v43, v[43:44]
	v_frexp_mant_f32_e32 v44, v50
	s_delay_alu instid0(VALU_DEP_1) | instskip(SKIP_1) | instid1(VALU_DEP_1)
	v_cmp_gt_f32_e64 s42, 0x3f2aaaab, v44
	v_add_f32_e32 v44, -1.0, v50
	v_sub_f32_e32 v52, v44, v50
	v_sub_f32_e32 v44, v45, v44
	s_delay_alu instid0(VALU_DEP_4) | instskip(SKIP_1) | instid1(VALU_DEP_1)
	v_subrev_co_ci_u32_e64 v43, s42, 0, v43, s42
	s_mov_b32 s42, 0x3e9b6dac
	v_sub_nc_u32_e32 v51, 0, v43
	v_cvt_f32_i32_e32 v43, v43
	s_delay_alu instid0(VALU_DEP_2) | instskip(NEXT) | instid1(VALU_DEP_1)
	v_ldexp_f32 v50, v50, v51
	v_dual_add_f32 v53, 1.0, v50 :: v_dual_add_f32 v52, 1.0, v52
	s_delay_alu instid0(VALU_DEP_1) | instskip(NEXT) | instid1(VALU_DEP_2)
	v_add_f32_e32 v44, v44, v52
	v_add_f32_e32 v52, -1.0, v53
	s_delay_alu instid0(VALU_DEP_2) | instskip(NEXT) | instid1(VALU_DEP_2)
	v_ldexp_f32 v44, v44, v51
	v_dual_add_f32 v51, -1.0, v50 :: v_dual_sub_f32 v52, v50, v52
	s_delay_alu instid0(VALU_DEP_1) | instskip(NEXT) | instid1(VALU_DEP_2)
	v_add_f32_e32 v54, 1.0, v51
	v_add_f32_e32 v52, v44, v52
	s_delay_alu instid0(VALU_DEP_2) | instskip(NEXT) | instid1(VALU_DEP_2)
	v_sub_f32_e32 v50, v50, v54
	v_add_f32_e32 v54, v53, v52
	s_delay_alu instid0(VALU_DEP_2) | instskip(NEXT) | instid1(VALU_DEP_2)
	v_add_f32_e32 v44, v44, v50
	v_rcp_f32_e32 v50, v54
	v_sub_f32_e32 v53, v53, v54
	s_delay_alu instid0(VALU_DEP_1) | instskip(NEXT) | instid1(VALU_DEP_1)
	v_dual_add_f32 v55, v51, v44 :: v_dual_add_f32 v52, v52, v53
	v_sub_f32_e32 v51, v51, v55
	s_waitcnt_depctr 0xfff
	v_mul_f32_e32 v56, v55, v50
	s_delay_alu instid0(VALU_DEP_1) | instskip(NEXT) | instid1(VALU_DEP_1)
	v_dual_add_f32 v44, v44, v51 :: v_dual_mul_f32 v57, v54, v56
	v_fma_f32 v53, v56, v54, -v57
	s_delay_alu instid0(VALU_DEP_1) | instskip(NEXT) | instid1(VALU_DEP_1)
	v_fmac_f32_e32 v53, v56, v52
	v_add_f32_e32 v58, v57, v53
	s_delay_alu instid0(VALU_DEP_1) | instskip(SKIP_1) | instid1(VALU_DEP_2)
	v_sub_f32_e32 v59, v55, v58
	v_sub_f32_e32 v51, v58, v57
	;; [unrolled: 1-line block ×3, first 2 shown]
	s_delay_alu instid0(VALU_DEP_2) | instskip(NEXT) | instid1(VALU_DEP_2)
	v_sub_f32_e32 v51, v51, v53
	v_sub_f32_e32 v55, v55, v58
	s_delay_alu instid0(VALU_DEP_1) | instskip(NEXT) | instid1(VALU_DEP_1)
	v_add_f32_e32 v44, v44, v55
	v_add_f32_e32 v44, v51, v44
	s_delay_alu instid0(VALU_DEP_1) | instskip(NEXT) | instid1(VALU_DEP_1)
	v_add_f32_e32 v51, v59, v44
	v_mul_f32_e32 v53, v50, v51
	s_delay_alu instid0(VALU_DEP_1) | instskip(NEXT) | instid1(VALU_DEP_1)
	v_dual_sub_f32 v58, v59, v51 :: v_dual_mul_f32 v55, v54, v53
	v_add_f32_e32 v44, v44, v58
	s_delay_alu instid0(VALU_DEP_2) | instskip(NEXT) | instid1(VALU_DEP_1)
	v_fma_f32 v54, v53, v54, -v55
	v_fmac_f32_e32 v54, v53, v52
	s_delay_alu instid0(VALU_DEP_1) | instskip(NEXT) | instid1(VALU_DEP_1)
	v_add_f32_e32 v52, v55, v54
	v_sub_f32_e32 v57, v51, v52
	v_sub_f32_e32 v55, v52, v55
	s_delay_alu instid0(VALU_DEP_2) | instskip(NEXT) | instid1(VALU_DEP_1)
	v_sub_f32_e32 v51, v51, v57
	v_sub_f32_e32 v51, v51, v52
	s_delay_alu instid0(VALU_DEP_3) | instskip(NEXT) | instid1(VALU_DEP_2)
	v_sub_f32_e32 v52, v55, v54
	v_add_f32_e32 v44, v44, v51
	v_add_f32_e32 v51, v56, v53
	s_delay_alu instid0(VALU_DEP_2) | instskip(NEXT) | instid1(VALU_DEP_2)
	v_add_f32_e32 v44, v52, v44
	v_sub_f32_e32 v52, v51, v56
	s_delay_alu instid0(VALU_DEP_2) | instskip(NEXT) | instid1(VALU_DEP_2)
	v_add_f32_e32 v44, v57, v44
	v_sub_f32_e32 v52, v53, v52
	s_delay_alu instid0(VALU_DEP_2) | instskip(NEXT) | instid1(VALU_DEP_1)
	v_mul_f32_e32 v44, v50, v44
	v_add_f32_e32 v44, v52, v44
	s_delay_alu instid0(VALU_DEP_1) | instskip(NEXT) | instid1(VALU_DEP_1)
	v_add_f32_e32 v50, v51, v44
	v_mul_f32_e32 v52, v50, v50
	s_delay_alu instid0(VALU_DEP_1) | instskip(SKIP_2) | instid1(VALU_DEP_3)
	v_fmaak_f32 v53, s42, v52, 0x3ecc95a3
	v_mul_f32_e32 v54, v50, v52
	v_cmp_eq_f32_e64 s42, 0x7f800000, v45
	v_fmaak_f32 v52, v52, v53, 0x3f2aaada
	v_ldexp_f32 v53, v50, 1
	v_sub_f32_e32 v50, v50, v51
	s_delay_alu instid0(VALU_DEP_4) | instskip(NEXT) | instid1(VALU_DEP_3)
	s_or_b32 s42, s42, s44
	v_mul_f32_e32 v52, v54, v52
	v_mul_f32_e32 v54, 0x3f317218, v43
	s_delay_alu instid0(VALU_DEP_2) | instskip(NEXT) | instid1(VALU_DEP_1)
	v_dual_sub_f32 v44, v44, v50 :: v_dual_add_f32 v51, v53, v52
	v_ldexp_f32 v44, v44, 1
	s_delay_alu instid0(VALU_DEP_2) | instskip(NEXT) | instid1(VALU_DEP_4)
	v_sub_f32_e32 v50, v51, v53
	v_fma_f32 v53, 0x3f317218, v43, -v54
	s_delay_alu instid0(VALU_DEP_1) | instskip(NEXT) | instid1(VALU_DEP_1)
	v_dual_sub_f32 v50, v52, v50 :: v_dual_fmamk_f32 v43, v43, 0xb102e308, v53
	v_add_f32_e32 v44, v44, v50
	s_delay_alu instid0(VALU_DEP_2) | instskip(NEXT) | instid1(VALU_DEP_2)
	v_add_f32_e32 v50, v54, v43
	v_add_f32_e32 v52, v51, v44
	s_delay_alu instid0(VALU_DEP_2) | instskip(NEXT) | instid1(VALU_DEP_2)
	v_sub_f32_e32 v54, v50, v54
	v_add_f32_e32 v53, v50, v52
	v_sub_f32_e32 v51, v52, v51
	s_delay_alu instid0(VALU_DEP_3) | instskip(NEXT) | instid1(VALU_DEP_2)
	v_sub_f32_e32 v43, v43, v54
	v_dual_sub_f32 v55, v53, v50 :: v_dual_sub_f32 v44, v44, v51
	s_delay_alu instid0(VALU_DEP_1) | instskip(NEXT) | instid1(VALU_DEP_2)
	v_sub_f32_e32 v56, v53, v55
	v_dual_sub_f32 v51, v52, v55 :: v_dual_add_f32 v52, v43, v44
	s_delay_alu instid0(VALU_DEP_2) | instskip(NEXT) | instid1(VALU_DEP_1)
	v_sub_f32_e32 v50, v50, v56
	v_dual_add_f32 v50, v51, v50 :: v_dual_sub_f32 v51, v52, v43
	s_delay_alu instid0(VALU_DEP_1) | instskip(NEXT) | instid1(VALU_DEP_2)
	v_add_f32_e32 v50, v52, v50
	v_sub_f32_e32 v52, v52, v51
	v_sub_f32_e32 v44, v44, v51
	s_delay_alu instid0(VALU_DEP_2) | instskip(NEXT) | instid1(VALU_DEP_1)
	v_dual_add_f32 v54, v53, v50 :: v_dual_sub_f32 v43, v43, v52
	v_sub_f32_e32 v51, v54, v53
	s_delay_alu instid0(VALU_DEP_2) | instskip(NEXT) | instid1(VALU_DEP_2)
	v_add_f32_e32 v43, v44, v43
	v_sub_f32_e32 v44, v50, v51
	s_delay_alu instid0(VALU_DEP_1) | instskip(NEXT) | instid1(VALU_DEP_1)
	v_add_f32_e32 v43, v43, v44
	v_add_f32_e32 v43, v54, v43
	s_delay_alu instid0(VALU_DEP_1) | instskip(NEXT) | instid1(VALU_DEP_1)
	v_cndmask_b32_e64 v43, v43, v45, s42
	v_add_f32_e32 v43, v40, v43
.LBB491_82:
	s_or_b32 exec_lo, exec_lo, s43
	s_delay_alu instid0(VALU_DEP_1) | instskip(SKIP_2) | instid1(VALU_DEP_3)
	v_bfe_u32 v40, v43, 16, 1
	v_and_b32_e32 v5, 0xffff0000, v5
	v_cmp_o_f32_e64 s42, v43, v43
	v_add3_u32 v40, v43, v40, 0x7fff
	s_delay_alu instid0(VALU_DEP_1) | instskip(NEXT) | instid1(VALU_DEP_1)
	v_dual_max_f32 v43, v5, v5 :: v_dual_and_b32 v40, 0xffff0000, v40
	v_cndmask_b32_e64 v44, 0x7fc00000, v40, s42
	s_delay_alu instid0(VALU_DEP_1) | instskip(SKIP_1) | instid1(VALU_DEP_2)
	v_max_f32_e32 v40, v44, v44
	v_cmp_u_f32_e64 s42, v44, v44
	v_min_f32_e32 v45, v40, v43
	v_max_f32_e32 v40, v40, v43
	s_delay_alu instid0(VALU_DEP_2) | instskip(NEXT) | instid1(VALU_DEP_2)
	v_cndmask_b32_e64 v45, v45, v44, s42
	v_cndmask_b32_e64 v40, v40, v44, s42
	v_cmp_u_f32_e64 s42, v5, v5
	s_delay_alu instid0(VALU_DEP_1) | instskip(NEXT) | instid1(VALU_DEP_3)
	v_cndmask_b32_e64 v45, v45, v5, s42
	v_cndmask_b32_e64 v40, v40, v5, s42
	s_delay_alu instid0(VALU_DEP_2) | instskip(NEXT) | instid1(VALU_DEP_2)
	v_cmp_class_f32_e64 s44, v45, 0x1f8
	v_cmp_neq_f32_e64 s43, v45, v40
	s_delay_alu instid0(VALU_DEP_1) | instskip(NEXT) | instid1(SALU_CYCLE_1)
	s_or_b32 s43, s43, s44
	s_and_saveexec_b32 s44, s43
	s_cbranch_execz .LBB491_84
; %bb.83:
	v_sub_f32_e32 v44, v45, v40
	s_delay_alu instid0(VALU_DEP_1) | instskip(SKIP_1) | instid1(VALU_DEP_2)
	v_mul_f32_e32 v45, 0x3fb8aa3b, v44
	v_cmp_ngt_f32_e64 s43, 0xc2ce8ed0, v44
	v_fma_f32 v50, 0x3fb8aa3b, v44, -v45
	v_rndne_f32_e32 v51, v45
	s_delay_alu instid0(VALU_DEP_1) | instskip(NEXT) | instid1(VALU_DEP_1)
	v_dual_fmamk_f32 v50, v44, 0x32a5705f, v50 :: v_dual_sub_f32 v45, v45, v51
	v_add_f32_e32 v45, v45, v50
	v_cvt_i32_f32_e32 v50, v51
	s_delay_alu instid0(VALU_DEP_2) | instskip(SKIP_2) | instid1(VALU_DEP_1)
	v_exp_f32_e32 v45, v45
	s_waitcnt_depctr 0xfff
	v_ldexp_f32 v45, v45, v50
	v_cndmask_b32_e64 v45, 0, v45, s43
	v_cmp_nlt_f32_e64 s43, 0x42b17218, v44
	s_delay_alu instid0(VALU_DEP_1) | instskip(NEXT) | instid1(VALU_DEP_1)
	v_cndmask_b32_e64 v50, 0x7f800000, v45, s43
	v_add_f32_e32 v51, 1.0, v50
	v_cmp_gt_f32_e64 s46, 0x33800000, |v50|
	s_delay_alu instid0(VALU_DEP_2) | instskip(NEXT) | instid1(VALU_DEP_1)
	v_cvt_f64_f32_e32 v[44:45], v51
	v_frexp_exp_i32_f64_e32 v44, v[44:45]
	v_frexp_mant_f32_e32 v45, v51
	s_delay_alu instid0(VALU_DEP_1) | instskip(SKIP_1) | instid1(VALU_DEP_1)
	v_cmp_gt_f32_e64 s43, 0x3f2aaaab, v45
	v_add_f32_e32 v45, -1.0, v51
	v_sub_f32_e32 v53, v45, v51
	v_sub_f32_e32 v45, v50, v45
	s_delay_alu instid0(VALU_DEP_4) | instskip(SKIP_1) | instid1(VALU_DEP_1)
	v_subrev_co_ci_u32_e64 v44, s43, 0, v44, s43
	s_mov_b32 s43, 0x3e9b6dac
	v_sub_nc_u32_e32 v52, 0, v44
	v_cvt_f32_i32_e32 v44, v44
	s_delay_alu instid0(VALU_DEP_2) | instskip(NEXT) | instid1(VALU_DEP_1)
	v_ldexp_f32 v51, v51, v52
	v_dual_add_f32 v54, 1.0, v51 :: v_dual_add_f32 v53, 1.0, v53
	s_delay_alu instid0(VALU_DEP_1) | instskip(NEXT) | instid1(VALU_DEP_2)
	v_add_f32_e32 v45, v45, v53
	v_add_f32_e32 v53, -1.0, v54
	s_delay_alu instid0(VALU_DEP_2) | instskip(NEXT) | instid1(VALU_DEP_2)
	v_ldexp_f32 v45, v45, v52
	v_dual_add_f32 v52, -1.0, v51 :: v_dual_sub_f32 v53, v51, v53
	s_delay_alu instid0(VALU_DEP_1) | instskip(NEXT) | instid1(VALU_DEP_2)
	v_add_f32_e32 v55, 1.0, v52
	v_add_f32_e32 v53, v45, v53
	s_delay_alu instid0(VALU_DEP_2) | instskip(NEXT) | instid1(VALU_DEP_2)
	v_sub_f32_e32 v51, v51, v55
	v_add_f32_e32 v55, v54, v53
	s_delay_alu instid0(VALU_DEP_2) | instskip(NEXT) | instid1(VALU_DEP_2)
	v_add_f32_e32 v45, v45, v51
	v_rcp_f32_e32 v51, v55
	v_sub_f32_e32 v54, v54, v55
	s_delay_alu instid0(VALU_DEP_1) | instskip(NEXT) | instid1(VALU_DEP_1)
	v_dual_add_f32 v56, v52, v45 :: v_dual_add_f32 v53, v53, v54
	v_sub_f32_e32 v52, v52, v56
	s_waitcnt_depctr 0xfff
	v_mul_f32_e32 v57, v56, v51
	s_delay_alu instid0(VALU_DEP_1) | instskip(NEXT) | instid1(VALU_DEP_1)
	v_dual_add_f32 v45, v45, v52 :: v_dual_mul_f32 v58, v55, v57
	v_fma_f32 v54, v57, v55, -v58
	s_delay_alu instid0(VALU_DEP_1) | instskip(NEXT) | instid1(VALU_DEP_1)
	v_fmac_f32_e32 v54, v57, v53
	v_add_f32_e32 v59, v58, v54
	s_delay_alu instid0(VALU_DEP_1) | instskip(SKIP_1) | instid1(VALU_DEP_2)
	v_sub_f32_e32 v60, v56, v59
	v_sub_f32_e32 v52, v59, v58
	;; [unrolled: 1-line block ×3, first 2 shown]
	s_delay_alu instid0(VALU_DEP_2) | instskip(NEXT) | instid1(VALU_DEP_2)
	v_sub_f32_e32 v52, v52, v54
	v_sub_f32_e32 v56, v56, v59
	s_delay_alu instid0(VALU_DEP_1) | instskip(NEXT) | instid1(VALU_DEP_1)
	v_add_f32_e32 v45, v45, v56
	v_add_f32_e32 v45, v52, v45
	s_delay_alu instid0(VALU_DEP_1) | instskip(NEXT) | instid1(VALU_DEP_1)
	v_add_f32_e32 v52, v60, v45
	v_mul_f32_e32 v54, v51, v52
	s_delay_alu instid0(VALU_DEP_1) | instskip(NEXT) | instid1(VALU_DEP_1)
	v_dual_sub_f32 v59, v60, v52 :: v_dual_mul_f32 v56, v55, v54
	v_add_f32_e32 v45, v45, v59
	s_delay_alu instid0(VALU_DEP_2) | instskip(NEXT) | instid1(VALU_DEP_1)
	v_fma_f32 v55, v54, v55, -v56
	v_fmac_f32_e32 v55, v54, v53
	s_delay_alu instid0(VALU_DEP_1) | instskip(NEXT) | instid1(VALU_DEP_1)
	v_add_f32_e32 v53, v56, v55
	v_sub_f32_e32 v58, v52, v53
	v_sub_f32_e32 v56, v53, v56
	s_delay_alu instid0(VALU_DEP_2) | instskip(NEXT) | instid1(VALU_DEP_1)
	v_sub_f32_e32 v52, v52, v58
	v_sub_f32_e32 v52, v52, v53
	s_delay_alu instid0(VALU_DEP_3) | instskip(NEXT) | instid1(VALU_DEP_2)
	v_sub_f32_e32 v53, v56, v55
	v_add_f32_e32 v45, v45, v52
	v_add_f32_e32 v52, v57, v54
	s_delay_alu instid0(VALU_DEP_2) | instskip(NEXT) | instid1(VALU_DEP_2)
	v_add_f32_e32 v45, v53, v45
	v_sub_f32_e32 v53, v52, v57
	s_delay_alu instid0(VALU_DEP_2) | instskip(NEXT) | instid1(VALU_DEP_2)
	v_add_f32_e32 v45, v58, v45
	v_sub_f32_e32 v53, v54, v53
	s_delay_alu instid0(VALU_DEP_2) | instskip(NEXT) | instid1(VALU_DEP_1)
	v_mul_f32_e32 v45, v51, v45
	v_add_f32_e32 v45, v53, v45
	s_delay_alu instid0(VALU_DEP_1) | instskip(NEXT) | instid1(VALU_DEP_1)
	v_add_f32_e32 v51, v52, v45
	v_mul_f32_e32 v53, v51, v51
	s_delay_alu instid0(VALU_DEP_1) | instskip(SKIP_2) | instid1(VALU_DEP_3)
	v_fmaak_f32 v54, s43, v53, 0x3ecc95a3
	v_mul_f32_e32 v55, v51, v53
	v_cmp_eq_f32_e64 s43, 0x7f800000, v50
	v_fmaak_f32 v53, v53, v54, 0x3f2aaada
	v_ldexp_f32 v54, v51, 1
	v_sub_f32_e32 v51, v51, v52
	s_delay_alu instid0(VALU_DEP_4) | instskip(NEXT) | instid1(VALU_DEP_3)
	s_or_b32 s43, s43, s46
	v_mul_f32_e32 v53, v55, v53
	v_mul_f32_e32 v55, 0x3f317218, v44
	s_delay_alu instid0(VALU_DEP_2) | instskip(NEXT) | instid1(VALU_DEP_1)
	v_dual_sub_f32 v45, v45, v51 :: v_dual_add_f32 v52, v54, v53
	v_ldexp_f32 v45, v45, 1
	s_delay_alu instid0(VALU_DEP_2) | instskip(NEXT) | instid1(VALU_DEP_4)
	v_sub_f32_e32 v51, v52, v54
	v_fma_f32 v54, 0x3f317218, v44, -v55
	s_delay_alu instid0(VALU_DEP_1) | instskip(NEXT) | instid1(VALU_DEP_1)
	v_dual_sub_f32 v51, v53, v51 :: v_dual_fmamk_f32 v44, v44, 0xb102e308, v54
	v_add_f32_e32 v45, v45, v51
	s_delay_alu instid0(VALU_DEP_2) | instskip(NEXT) | instid1(VALU_DEP_2)
	v_add_f32_e32 v51, v55, v44
	v_add_f32_e32 v53, v52, v45
	s_delay_alu instid0(VALU_DEP_2) | instskip(NEXT) | instid1(VALU_DEP_2)
	v_sub_f32_e32 v55, v51, v55
	v_add_f32_e32 v54, v51, v53
	v_sub_f32_e32 v52, v53, v52
	s_delay_alu instid0(VALU_DEP_3) | instskip(NEXT) | instid1(VALU_DEP_2)
	v_sub_f32_e32 v44, v44, v55
	v_dual_sub_f32 v56, v54, v51 :: v_dual_sub_f32 v45, v45, v52
	s_delay_alu instid0(VALU_DEP_1) | instskip(NEXT) | instid1(VALU_DEP_2)
	v_sub_f32_e32 v57, v54, v56
	v_dual_sub_f32 v52, v53, v56 :: v_dual_add_f32 v53, v44, v45
	s_delay_alu instid0(VALU_DEP_2) | instskip(NEXT) | instid1(VALU_DEP_1)
	v_sub_f32_e32 v51, v51, v57
	v_dual_add_f32 v51, v52, v51 :: v_dual_sub_f32 v52, v53, v44
	s_delay_alu instid0(VALU_DEP_1) | instskip(NEXT) | instid1(VALU_DEP_2)
	v_add_f32_e32 v51, v53, v51
	v_sub_f32_e32 v53, v53, v52
	v_sub_f32_e32 v45, v45, v52
	s_delay_alu instid0(VALU_DEP_2) | instskip(NEXT) | instid1(VALU_DEP_1)
	v_dual_add_f32 v55, v54, v51 :: v_dual_sub_f32 v44, v44, v53
	v_sub_f32_e32 v52, v55, v54
	s_delay_alu instid0(VALU_DEP_2) | instskip(NEXT) | instid1(VALU_DEP_2)
	v_add_f32_e32 v44, v45, v44
	v_sub_f32_e32 v45, v51, v52
	s_delay_alu instid0(VALU_DEP_1) | instskip(NEXT) | instid1(VALU_DEP_1)
	v_add_f32_e32 v44, v44, v45
	v_add_f32_e32 v44, v55, v44
	s_delay_alu instid0(VALU_DEP_1) | instskip(NEXT) | instid1(VALU_DEP_1)
	v_cndmask_b32_e64 v44, v44, v50, s43
	v_add_f32_e32 v44, v40, v44
.LBB491_84:
	s_or_b32 exec_lo, exec_lo, s44
	s_delay_alu instid0(VALU_DEP_1) | instskip(SKIP_1) | instid1(VALU_DEP_2)
	v_bfe_u32 v40, v44, 16, 1
	v_cmp_o_f32_e64 s43, v44, v44
	v_add3_u32 v40, v44, v40, 0x7fff
	s_delay_alu instid0(VALU_DEP_1) | instskip(NEXT) | instid1(VALU_DEP_1)
	v_and_b32_e32 v45, 0xffff0000, v40
	v_cndmask_b32_e64 v50, 0x7fc00000, v45, s43
	s_delay_alu instid0(VALU_DEP_1) | instskip(SKIP_2) | instid1(VALU_DEP_2)
	v_max_f32_e32 v45, v50, v50
	v_lshlrev_b32_e32 v40, 16, v42
	v_cmp_u_f32_e64 s43, v50, v50
	v_max_f32_e32 v44, v40, v40
	s_delay_alu instid0(VALU_DEP_1) | instskip(SKIP_1) | instid1(VALU_DEP_2)
	v_min_f32_e32 v51, v45, v44
	v_max_f32_e32 v45, v45, v44
	v_cndmask_b32_e64 v51, v51, v50, s43
	s_delay_alu instid0(VALU_DEP_2) | instskip(SKIP_1) | instid1(VALU_DEP_1)
	v_cndmask_b32_e64 v45, v45, v50, s43
	v_cmp_u_f32_e64 s43, v40, v40
	v_cndmask_b32_e64 v51, v51, v40, s43
	s_delay_alu instid0(VALU_DEP_3) | instskip(NEXT) | instid1(VALU_DEP_2)
	v_cndmask_b32_e64 v45, v45, v40, s43
	v_cmp_class_f32_e64 s46, v51, 0x1f8
	s_delay_alu instid0(VALU_DEP_2) | instskip(NEXT) | instid1(VALU_DEP_1)
	v_cmp_neq_f32_e64 s44, v51, v45
	s_or_b32 s44, s44, s46
	s_delay_alu instid0(SALU_CYCLE_1)
	s_and_saveexec_b32 s46, s44
	s_cbranch_execz .LBB491_86
; %bb.85:
	v_sub_f32_e32 v50, v51, v45
	s_delay_alu instid0(VALU_DEP_1) | instskip(SKIP_1) | instid1(VALU_DEP_2)
	v_mul_f32_e32 v51, 0x3fb8aa3b, v50
	v_cmp_ngt_f32_e64 s44, 0xc2ce8ed0, v50
	v_fma_f32 v52, 0x3fb8aa3b, v50, -v51
	v_rndne_f32_e32 v53, v51
	s_delay_alu instid0(VALU_DEP_1) | instskip(NEXT) | instid1(VALU_DEP_1)
	v_dual_fmamk_f32 v52, v50, 0x32a5705f, v52 :: v_dual_sub_f32 v51, v51, v53
	v_add_f32_e32 v51, v51, v52
	v_cvt_i32_f32_e32 v52, v53
	s_delay_alu instid0(VALU_DEP_2) | instskip(SKIP_2) | instid1(VALU_DEP_1)
	v_exp_f32_e32 v51, v51
	s_waitcnt_depctr 0xfff
	v_ldexp_f32 v51, v51, v52
	v_cndmask_b32_e64 v51, 0, v51, s44
	v_cmp_nlt_f32_e64 s44, 0x42b17218, v50
	s_delay_alu instid0(VALU_DEP_1) | instskip(NEXT) | instid1(VALU_DEP_1)
	v_cndmask_b32_e64 v52, 0x7f800000, v51, s44
	v_add_f32_e32 v53, 1.0, v52
	v_cmp_gt_f32_e64 s47, 0x33800000, |v52|
	s_delay_alu instid0(VALU_DEP_2) | instskip(NEXT) | instid1(VALU_DEP_1)
	v_cvt_f64_f32_e32 v[50:51], v53
	v_frexp_exp_i32_f64_e32 v50, v[50:51]
	v_frexp_mant_f32_e32 v51, v53
	s_delay_alu instid0(VALU_DEP_1) | instskip(SKIP_1) | instid1(VALU_DEP_1)
	v_cmp_gt_f32_e64 s44, 0x3f2aaaab, v51
	v_add_f32_e32 v51, -1.0, v53
	v_sub_f32_e32 v55, v51, v53
	v_sub_f32_e32 v51, v52, v51
	s_delay_alu instid0(VALU_DEP_4) | instskip(SKIP_1) | instid1(VALU_DEP_1)
	v_subrev_co_ci_u32_e64 v50, s44, 0, v50, s44
	s_mov_b32 s44, 0x3e9b6dac
	v_sub_nc_u32_e32 v54, 0, v50
	v_cvt_f32_i32_e32 v50, v50
	s_delay_alu instid0(VALU_DEP_2) | instskip(NEXT) | instid1(VALU_DEP_1)
	v_ldexp_f32 v53, v53, v54
	v_dual_add_f32 v56, 1.0, v53 :: v_dual_add_f32 v55, 1.0, v55
	s_delay_alu instid0(VALU_DEP_1) | instskip(NEXT) | instid1(VALU_DEP_2)
	v_add_f32_e32 v51, v51, v55
	v_add_f32_e32 v55, -1.0, v56
	s_delay_alu instid0(VALU_DEP_2) | instskip(NEXT) | instid1(VALU_DEP_2)
	v_ldexp_f32 v51, v51, v54
	v_dual_add_f32 v54, -1.0, v53 :: v_dual_sub_f32 v55, v53, v55
	s_delay_alu instid0(VALU_DEP_1) | instskip(NEXT) | instid1(VALU_DEP_2)
	v_add_f32_e32 v57, 1.0, v54
	v_add_f32_e32 v55, v51, v55
	s_delay_alu instid0(VALU_DEP_2) | instskip(NEXT) | instid1(VALU_DEP_2)
	v_sub_f32_e32 v53, v53, v57
	v_add_f32_e32 v57, v56, v55
	s_delay_alu instid0(VALU_DEP_2) | instskip(NEXT) | instid1(VALU_DEP_2)
	v_add_f32_e32 v51, v51, v53
	v_rcp_f32_e32 v53, v57
	v_sub_f32_e32 v56, v56, v57
	s_delay_alu instid0(VALU_DEP_1) | instskip(NEXT) | instid1(VALU_DEP_1)
	v_dual_add_f32 v58, v54, v51 :: v_dual_add_f32 v55, v55, v56
	v_sub_f32_e32 v54, v54, v58
	s_waitcnt_depctr 0xfff
	v_mul_f32_e32 v59, v58, v53
	s_delay_alu instid0(VALU_DEP_1) | instskip(NEXT) | instid1(VALU_DEP_1)
	v_dual_add_f32 v51, v51, v54 :: v_dual_mul_f32 v60, v57, v59
	v_fma_f32 v56, v59, v57, -v60
	s_delay_alu instid0(VALU_DEP_1) | instskip(NEXT) | instid1(VALU_DEP_1)
	v_fmac_f32_e32 v56, v59, v55
	v_add_f32_e32 v61, v60, v56
	s_delay_alu instid0(VALU_DEP_1) | instskip(SKIP_1) | instid1(VALU_DEP_2)
	v_sub_f32_e32 v62, v58, v61
	v_sub_f32_e32 v54, v61, v60
	;; [unrolled: 1-line block ×3, first 2 shown]
	s_delay_alu instid0(VALU_DEP_2) | instskip(NEXT) | instid1(VALU_DEP_2)
	v_sub_f32_e32 v54, v54, v56
	v_sub_f32_e32 v58, v58, v61
	s_delay_alu instid0(VALU_DEP_1) | instskip(NEXT) | instid1(VALU_DEP_1)
	v_add_f32_e32 v51, v51, v58
	v_add_f32_e32 v51, v54, v51
	s_delay_alu instid0(VALU_DEP_1) | instskip(NEXT) | instid1(VALU_DEP_1)
	v_add_f32_e32 v54, v62, v51
	v_mul_f32_e32 v56, v53, v54
	s_delay_alu instid0(VALU_DEP_1) | instskip(NEXT) | instid1(VALU_DEP_1)
	v_dual_sub_f32 v61, v62, v54 :: v_dual_mul_f32 v58, v57, v56
	v_add_f32_e32 v51, v51, v61
	s_delay_alu instid0(VALU_DEP_2) | instskip(NEXT) | instid1(VALU_DEP_1)
	v_fma_f32 v57, v56, v57, -v58
	v_fmac_f32_e32 v57, v56, v55
	s_delay_alu instid0(VALU_DEP_1) | instskip(NEXT) | instid1(VALU_DEP_1)
	v_add_f32_e32 v55, v58, v57
	v_sub_f32_e32 v60, v54, v55
	v_sub_f32_e32 v58, v55, v58
	s_delay_alu instid0(VALU_DEP_2) | instskip(NEXT) | instid1(VALU_DEP_1)
	v_sub_f32_e32 v54, v54, v60
	v_sub_f32_e32 v54, v54, v55
	s_delay_alu instid0(VALU_DEP_3) | instskip(NEXT) | instid1(VALU_DEP_2)
	v_sub_f32_e32 v55, v58, v57
	v_add_f32_e32 v51, v51, v54
	v_add_f32_e32 v54, v59, v56
	s_delay_alu instid0(VALU_DEP_2) | instskip(NEXT) | instid1(VALU_DEP_2)
	v_add_f32_e32 v51, v55, v51
	v_sub_f32_e32 v55, v54, v59
	s_delay_alu instid0(VALU_DEP_2) | instskip(NEXT) | instid1(VALU_DEP_2)
	v_add_f32_e32 v51, v60, v51
	v_sub_f32_e32 v55, v56, v55
	s_delay_alu instid0(VALU_DEP_2) | instskip(NEXT) | instid1(VALU_DEP_1)
	v_mul_f32_e32 v51, v53, v51
	v_add_f32_e32 v51, v55, v51
	s_delay_alu instid0(VALU_DEP_1) | instskip(NEXT) | instid1(VALU_DEP_1)
	v_add_f32_e32 v53, v54, v51
	v_mul_f32_e32 v55, v53, v53
	s_delay_alu instid0(VALU_DEP_1) | instskip(SKIP_2) | instid1(VALU_DEP_3)
	v_fmaak_f32 v56, s44, v55, 0x3ecc95a3
	v_mul_f32_e32 v57, v53, v55
	v_cmp_eq_f32_e64 s44, 0x7f800000, v52
	v_fmaak_f32 v55, v55, v56, 0x3f2aaada
	v_ldexp_f32 v56, v53, 1
	v_sub_f32_e32 v53, v53, v54
	s_delay_alu instid0(VALU_DEP_4) | instskip(NEXT) | instid1(VALU_DEP_3)
	s_or_b32 s44, s44, s47
	v_mul_f32_e32 v55, v57, v55
	v_mul_f32_e32 v57, 0x3f317218, v50
	s_delay_alu instid0(VALU_DEP_2) | instskip(NEXT) | instid1(VALU_DEP_1)
	v_dual_sub_f32 v51, v51, v53 :: v_dual_add_f32 v54, v56, v55
	v_ldexp_f32 v51, v51, 1
	s_delay_alu instid0(VALU_DEP_2) | instskip(NEXT) | instid1(VALU_DEP_4)
	v_sub_f32_e32 v53, v54, v56
	v_fma_f32 v56, 0x3f317218, v50, -v57
	s_delay_alu instid0(VALU_DEP_1) | instskip(NEXT) | instid1(VALU_DEP_1)
	v_dual_sub_f32 v53, v55, v53 :: v_dual_fmamk_f32 v50, v50, 0xb102e308, v56
	v_add_f32_e32 v51, v51, v53
	s_delay_alu instid0(VALU_DEP_2) | instskip(NEXT) | instid1(VALU_DEP_2)
	v_add_f32_e32 v53, v57, v50
	v_add_f32_e32 v55, v54, v51
	s_delay_alu instid0(VALU_DEP_2) | instskip(NEXT) | instid1(VALU_DEP_2)
	v_sub_f32_e32 v57, v53, v57
	v_add_f32_e32 v56, v53, v55
	v_sub_f32_e32 v54, v55, v54
	s_delay_alu instid0(VALU_DEP_3) | instskip(NEXT) | instid1(VALU_DEP_2)
	v_sub_f32_e32 v50, v50, v57
	v_dual_sub_f32 v58, v56, v53 :: v_dual_sub_f32 v51, v51, v54
	s_delay_alu instid0(VALU_DEP_1) | instskip(NEXT) | instid1(VALU_DEP_2)
	v_sub_f32_e32 v59, v56, v58
	v_dual_sub_f32 v54, v55, v58 :: v_dual_add_f32 v55, v50, v51
	s_delay_alu instid0(VALU_DEP_2) | instskip(NEXT) | instid1(VALU_DEP_1)
	v_sub_f32_e32 v53, v53, v59
	v_dual_add_f32 v53, v54, v53 :: v_dual_sub_f32 v54, v55, v50
	s_delay_alu instid0(VALU_DEP_1) | instskip(NEXT) | instid1(VALU_DEP_2)
	v_add_f32_e32 v53, v55, v53
	v_sub_f32_e32 v55, v55, v54
	v_sub_f32_e32 v51, v51, v54
	s_delay_alu instid0(VALU_DEP_2) | instskip(NEXT) | instid1(VALU_DEP_1)
	v_dual_add_f32 v57, v56, v53 :: v_dual_sub_f32 v50, v50, v55
	v_sub_f32_e32 v54, v57, v56
	s_delay_alu instid0(VALU_DEP_2) | instskip(NEXT) | instid1(VALU_DEP_2)
	v_add_f32_e32 v50, v51, v50
	v_sub_f32_e32 v51, v53, v54
	s_delay_alu instid0(VALU_DEP_1) | instskip(NEXT) | instid1(VALU_DEP_1)
	v_add_f32_e32 v50, v50, v51
	v_add_f32_e32 v50, v57, v50
	s_delay_alu instid0(VALU_DEP_1) | instskip(NEXT) | instid1(VALU_DEP_1)
	v_cndmask_b32_e64 v50, v50, v52, s44
	v_add_f32_e32 v50, v45, v50
.LBB491_86:
	s_or_b32 exec_lo, exec_lo, s46
	s_delay_alu instid0(VALU_DEP_1) | instskip(SKIP_2) | instid1(VALU_DEP_3)
	v_bfe_u32 v45, v50, 16, 1
	v_cmp_o_f32_e64 s44, v50, v50
	v_and_b32_e32 v42, 0xffff0000, v42
	v_add3_u32 v45, v50, v45, 0x7fff
	s_delay_alu instid0(VALU_DEP_1) | instskip(NEXT) | instid1(VALU_DEP_1)
	v_and_b32_e32 v45, 0xffff0000, v45
	v_cndmask_b32_e64 v51, 0x7fc00000, v45, s44
	s_delay_alu instid0(VALU_DEP_1) | instskip(SKIP_1) | instid1(VALU_DEP_2)
	v_dual_max_f32 v45, v42, v42 :: v_dual_max_f32 v50, v51, v51
	v_cmp_u_f32_e64 s44, v51, v51
	v_min_f32_e32 v52, v50, v45
	v_max_f32_e32 v50, v50, v45
	s_delay_alu instid0(VALU_DEP_2) | instskip(NEXT) | instid1(VALU_DEP_2)
	v_cndmask_b32_e64 v52, v52, v51, s44
	v_cndmask_b32_e64 v50, v50, v51, s44
	v_cmp_u_f32_e64 s44, v42, v42
	s_delay_alu instid0(VALU_DEP_1) | instskip(NEXT) | instid1(VALU_DEP_3)
	v_cndmask_b32_e64 v52, v52, v42, s44
	v_cndmask_b32_e64 v50, v50, v42, s44
	s_delay_alu instid0(VALU_DEP_2) | instskip(NEXT) | instid1(VALU_DEP_2)
	v_cmp_class_f32_e64 s47, v52, 0x1f8
	v_cmp_neq_f32_e64 s46, v52, v50
	s_delay_alu instid0(VALU_DEP_1) | instskip(NEXT) | instid1(SALU_CYCLE_1)
	s_or_b32 s46, s46, s47
	s_and_saveexec_b32 s47, s46
	s_cbranch_execz .LBB491_88
; %bb.87:
	v_sub_f32_e32 v51, v52, v50
	s_delay_alu instid0(VALU_DEP_1) | instskip(SKIP_1) | instid1(VALU_DEP_2)
	v_mul_f32_e32 v52, 0x3fb8aa3b, v51
	v_cmp_ngt_f32_e64 s46, 0xc2ce8ed0, v51
	v_fma_f32 v53, 0x3fb8aa3b, v51, -v52
	v_rndne_f32_e32 v54, v52
	s_delay_alu instid0(VALU_DEP_1) | instskip(NEXT) | instid1(VALU_DEP_1)
	v_dual_fmamk_f32 v53, v51, 0x32a5705f, v53 :: v_dual_sub_f32 v52, v52, v54
	v_add_f32_e32 v52, v52, v53
	v_cvt_i32_f32_e32 v53, v54
	s_delay_alu instid0(VALU_DEP_2) | instskip(SKIP_2) | instid1(VALU_DEP_1)
	v_exp_f32_e32 v52, v52
	s_waitcnt_depctr 0xfff
	v_ldexp_f32 v52, v52, v53
	v_cndmask_b32_e64 v52, 0, v52, s46
	v_cmp_nlt_f32_e64 s46, 0x42b17218, v51
	s_delay_alu instid0(VALU_DEP_1) | instskip(NEXT) | instid1(VALU_DEP_1)
	v_cndmask_b32_e64 v53, 0x7f800000, v52, s46
	v_add_f32_e32 v54, 1.0, v53
	v_cmp_gt_f32_e64 s48, 0x33800000, |v53|
	s_delay_alu instid0(VALU_DEP_2) | instskip(NEXT) | instid1(VALU_DEP_1)
	v_cvt_f64_f32_e32 v[51:52], v54
	v_frexp_exp_i32_f64_e32 v51, v[51:52]
	v_frexp_mant_f32_e32 v52, v54
	s_delay_alu instid0(VALU_DEP_1) | instskip(SKIP_1) | instid1(VALU_DEP_1)
	v_cmp_gt_f32_e64 s46, 0x3f2aaaab, v52
	v_add_f32_e32 v52, -1.0, v54
	v_sub_f32_e32 v56, v52, v54
	v_sub_f32_e32 v52, v53, v52
	s_delay_alu instid0(VALU_DEP_4) | instskip(SKIP_1) | instid1(VALU_DEP_1)
	v_subrev_co_ci_u32_e64 v51, s46, 0, v51, s46
	s_mov_b32 s46, 0x3e9b6dac
	v_sub_nc_u32_e32 v55, 0, v51
	v_cvt_f32_i32_e32 v51, v51
	s_delay_alu instid0(VALU_DEP_2) | instskip(NEXT) | instid1(VALU_DEP_1)
	v_ldexp_f32 v54, v54, v55
	v_dual_add_f32 v57, 1.0, v54 :: v_dual_add_f32 v56, 1.0, v56
	s_delay_alu instid0(VALU_DEP_1) | instskip(NEXT) | instid1(VALU_DEP_2)
	v_add_f32_e32 v52, v52, v56
	v_add_f32_e32 v56, -1.0, v57
	s_delay_alu instid0(VALU_DEP_2) | instskip(NEXT) | instid1(VALU_DEP_2)
	v_ldexp_f32 v52, v52, v55
	v_dual_add_f32 v55, -1.0, v54 :: v_dual_sub_f32 v56, v54, v56
	s_delay_alu instid0(VALU_DEP_1) | instskip(NEXT) | instid1(VALU_DEP_2)
	v_add_f32_e32 v58, 1.0, v55
	v_add_f32_e32 v56, v52, v56
	s_delay_alu instid0(VALU_DEP_2) | instskip(NEXT) | instid1(VALU_DEP_2)
	v_sub_f32_e32 v54, v54, v58
	v_add_f32_e32 v58, v57, v56
	s_delay_alu instid0(VALU_DEP_2) | instskip(NEXT) | instid1(VALU_DEP_2)
	v_add_f32_e32 v52, v52, v54
	v_rcp_f32_e32 v54, v58
	v_sub_f32_e32 v57, v57, v58
	s_delay_alu instid0(VALU_DEP_1) | instskip(NEXT) | instid1(VALU_DEP_1)
	v_dual_add_f32 v59, v55, v52 :: v_dual_add_f32 v56, v56, v57
	v_sub_f32_e32 v55, v55, v59
	s_waitcnt_depctr 0xfff
	v_mul_f32_e32 v60, v59, v54
	s_delay_alu instid0(VALU_DEP_1) | instskip(NEXT) | instid1(VALU_DEP_1)
	v_dual_add_f32 v52, v52, v55 :: v_dual_mul_f32 v61, v58, v60
	v_fma_f32 v57, v60, v58, -v61
	s_delay_alu instid0(VALU_DEP_1) | instskip(NEXT) | instid1(VALU_DEP_1)
	v_fmac_f32_e32 v57, v60, v56
	v_add_f32_e32 v62, v61, v57
	s_delay_alu instid0(VALU_DEP_1) | instskip(SKIP_1) | instid1(VALU_DEP_2)
	v_sub_f32_e32 v63, v59, v62
	v_sub_f32_e32 v55, v62, v61
	;; [unrolled: 1-line block ×3, first 2 shown]
	s_delay_alu instid0(VALU_DEP_2) | instskip(NEXT) | instid1(VALU_DEP_2)
	v_sub_f32_e32 v55, v55, v57
	v_sub_f32_e32 v59, v59, v62
	s_delay_alu instid0(VALU_DEP_1) | instskip(NEXT) | instid1(VALU_DEP_1)
	v_add_f32_e32 v52, v52, v59
	v_add_f32_e32 v52, v55, v52
	s_delay_alu instid0(VALU_DEP_1) | instskip(NEXT) | instid1(VALU_DEP_1)
	v_add_f32_e32 v55, v63, v52
	v_mul_f32_e32 v57, v54, v55
	s_delay_alu instid0(VALU_DEP_1) | instskip(NEXT) | instid1(VALU_DEP_1)
	v_dual_sub_f32 v62, v63, v55 :: v_dual_mul_f32 v59, v58, v57
	v_add_f32_e32 v52, v52, v62
	s_delay_alu instid0(VALU_DEP_2) | instskip(NEXT) | instid1(VALU_DEP_1)
	v_fma_f32 v58, v57, v58, -v59
	v_fmac_f32_e32 v58, v57, v56
	s_delay_alu instid0(VALU_DEP_1) | instskip(NEXT) | instid1(VALU_DEP_1)
	v_add_f32_e32 v56, v59, v58
	v_sub_f32_e32 v61, v55, v56
	v_sub_f32_e32 v59, v56, v59
	s_delay_alu instid0(VALU_DEP_2) | instskip(NEXT) | instid1(VALU_DEP_1)
	v_sub_f32_e32 v55, v55, v61
	v_sub_f32_e32 v55, v55, v56
	s_delay_alu instid0(VALU_DEP_3) | instskip(NEXT) | instid1(VALU_DEP_2)
	v_sub_f32_e32 v56, v59, v58
	v_add_f32_e32 v52, v52, v55
	v_add_f32_e32 v55, v60, v57
	s_delay_alu instid0(VALU_DEP_2) | instskip(NEXT) | instid1(VALU_DEP_2)
	v_add_f32_e32 v52, v56, v52
	v_sub_f32_e32 v56, v55, v60
	s_delay_alu instid0(VALU_DEP_2) | instskip(NEXT) | instid1(VALU_DEP_2)
	v_add_f32_e32 v52, v61, v52
	v_sub_f32_e32 v56, v57, v56
	s_delay_alu instid0(VALU_DEP_2) | instskip(NEXT) | instid1(VALU_DEP_1)
	v_mul_f32_e32 v52, v54, v52
	v_add_f32_e32 v52, v56, v52
	s_delay_alu instid0(VALU_DEP_1) | instskip(NEXT) | instid1(VALU_DEP_1)
	v_add_f32_e32 v54, v55, v52
	v_mul_f32_e32 v56, v54, v54
	s_delay_alu instid0(VALU_DEP_1) | instskip(SKIP_2) | instid1(VALU_DEP_3)
	v_fmaak_f32 v57, s46, v56, 0x3ecc95a3
	v_mul_f32_e32 v58, v54, v56
	v_cmp_eq_f32_e64 s46, 0x7f800000, v53
	v_fmaak_f32 v56, v56, v57, 0x3f2aaada
	v_ldexp_f32 v57, v54, 1
	v_sub_f32_e32 v54, v54, v55
	s_delay_alu instid0(VALU_DEP_4) | instskip(NEXT) | instid1(VALU_DEP_3)
	s_or_b32 s46, s46, s48
	v_mul_f32_e32 v56, v58, v56
	v_mul_f32_e32 v58, 0x3f317218, v51
	s_delay_alu instid0(VALU_DEP_2) | instskip(NEXT) | instid1(VALU_DEP_1)
	v_dual_sub_f32 v52, v52, v54 :: v_dual_add_f32 v55, v57, v56
	v_ldexp_f32 v52, v52, 1
	s_delay_alu instid0(VALU_DEP_2) | instskip(NEXT) | instid1(VALU_DEP_4)
	v_sub_f32_e32 v54, v55, v57
	v_fma_f32 v57, 0x3f317218, v51, -v58
	s_delay_alu instid0(VALU_DEP_1) | instskip(NEXT) | instid1(VALU_DEP_1)
	v_dual_sub_f32 v54, v56, v54 :: v_dual_fmamk_f32 v51, v51, 0xb102e308, v57
	v_add_f32_e32 v52, v52, v54
	s_delay_alu instid0(VALU_DEP_2) | instskip(NEXT) | instid1(VALU_DEP_2)
	v_add_f32_e32 v54, v58, v51
	v_add_f32_e32 v56, v55, v52
	s_delay_alu instid0(VALU_DEP_2) | instskip(NEXT) | instid1(VALU_DEP_2)
	v_sub_f32_e32 v58, v54, v58
	v_add_f32_e32 v57, v54, v56
	v_sub_f32_e32 v55, v56, v55
	s_delay_alu instid0(VALU_DEP_3) | instskip(NEXT) | instid1(VALU_DEP_2)
	v_sub_f32_e32 v51, v51, v58
	v_dual_sub_f32 v59, v57, v54 :: v_dual_sub_f32 v52, v52, v55
	s_delay_alu instid0(VALU_DEP_1) | instskip(NEXT) | instid1(VALU_DEP_2)
	v_sub_f32_e32 v60, v57, v59
	v_dual_sub_f32 v55, v56, v59 :: v_dual_add_f32 v56, v51, v52
	s_delay_alu instid0(VALU_DEP_2) | instskip(NEXT) | instid1(VALU_DEP_1)
	v_sub_f32_e32 v54, v54, v60
	v_dual_add_f32 v54, v55, v54 :: v_dual_sub_f32 v55, v56, v51
	s_delay_alu instid0(VALU_DEP_1) | instskip(NEXT) | instid1(VALU_DEP_2)
	v_add_f32_e32 v54, v56, v54
	v_sub_f32_e32 v56, v56, v55
	v_sub_f32_e32 v52, v52, v55
	s_delay_alu instid0(VALU_DEP_2) | instskip(NEXT) | instid1(VALU_DEP_1)
	v_dual_add_f32 v58, v57, v54 :: v_dual_sub_f32 v51, v51, v56
	v_sub_f32_e32 v55, v58, v57
	s_delay_alu instid0(VALU_DEP_2) | instskip(NEXT) | instid1(VALU_DEP_2)
	v_add_f32_e32 v51, v52, v51
	v_sub_f32_e32 v52, v54, v55
	s_delay_alu instid0(VALU_DEP_1) | instskip(NEXT) | instid1(VALU_DEP_1)
	v_add_f32_e32 v51, v51, v52
	v_add_f32_e32 v51, v58, v51
	s_delay_alu instid0(VALU_DEP_1) | instskip(NEXT) | instid1(VALU_DEP_1)
	v_cndmask_b32_e64 v51, v51, v53, s46
	v_add_f32_e32 v51, v50, v51
.LBB491_88:
	s_or_b32 exec_lo, exec_lo, s47
	s_delay_alu instid0(VALU_DEP_1)
	v_bfe_u32 v50, v51, 16, 1
	s_load_b64 s[46:47], s[0:1], 0x18
	v_lshrrev_b32_e32 v52, 4, v0
	v_cmp_o_f32_e64 s0, v51, v51
	s_mov_b32 s48, exec_lo
	v_add3_u32 v50, v51, v50, 0x7fff
	s_delay_alu instid0(VALU_DEP_3) | instskip(NEXT) | instid1(VALU_DEP_2)
	v_and_b32_e32 v52, 2, v52
	v_lshrrev_b32_e32 v50, 16, v50
	s_delay_alu instid0(VALU_DEP_2) | instskip(NEXT) | instid1(VALU_DEP_2)
	v_add_nc_u32_e32 v52, v12, v52
	v_cndmask_b32_e64 v51, 0x7fc0, v50, s0
	ds_store_b16 v52, v51
	s_waitcnt lgkmcnt(0)
	s_barrier
	buffer_gl0_inv
	v_cmpx_gt_u32_e32 32, v0
	s_cbranch_execz .LBB491_116
; %bb.89:
	v_lshrrev_b32_e32 v50, 3, v0
	s_delay_alu instid0(VALU_DEP_1) | instskip(NEXT) | instid1(VALU_DEP_1)
	v_and_b32_e32 v50, 6, v50
	v_lshl_or_b32 v50, v0, 2, v50
	ds_load_u16 v52, v50 offset:2
	ds_load_u16 v53, v50
	s_waitcnt lgkmcnt(1)
	v_lshlrev_b32_e32 v54, 16, v52
	s_waitcnt lgkmcnt(0)
	s_delay_alu instid0(VALU_DEP_1) | instskip(NEXT) | instid1(VALU_DEP_1)
	v_dual_max_f32 v55, v54, v54 :: v_dual_lshlrev_b32 v52, 16, v53
	v_max_f32_e32 v53, v52, v52
	v_cmp_u_f32_e64 s0, v52, v52
	s_delay_alu instid0(VALU_DEP_2) | instskip(SKIP_2) | instid1(VALU_DEP_3)
	v_min_f32_e32 v56, v53, v55
	v_max_f32_e32 v55, v53, v55
	v_cmp_u_f32_e64 s1, v54, v54
	v_cndmask_b32_e64 v56, v56, v52, s0
	s_delay_alu instid0(VALU_DEP_3) | instskip(NEXT) | instid1(VALU_DEP_2)
	v_cndmask_b32_e64 v55, v55, v52, s0
	v_cndmask_b32_e64 v56, v56, v54, s1
	s_delay_alu instid0(VALU_DEP_2) | instskip(SKIP_1) | instid1(VALU_DEP_3)
	v_cndmask_b32_e64 v54, v55, v54, s1
	v_mov_b32_e32 v55, v52
	v_cmp_class_f32_e64 s49, v56, 0x1f8
	s_delay_alu instid0(VALU_DEP_3) | instskip(NEXT) | instid1(VALU_DEP_1)
	v_cmp_neq_f32_e64 s1, v56, v54
	s_or_b32 s1, s1, s49
	s_delay_alu instid0(SALU_CYCLE_1)
	s_and_saveexec_b32 s49, s1
	s_cbranch_execz .LBB491_91
; %bb.90:
	v_sub_f32_e32 v55, v56, v54
	s_delay_alu instid0(VALU_DEP_1) | instskip(SKIP_1) | instid1(VALU_DEP_2)
	v_mul_f32_e32 v56, 0x3fb8aa3b, v55
	v_cmp_ngt_f32_e64 s1, 0xc2ce8ed0, v55
	v_fma_f32 v57, 0x3fb8aa3b, v55, -v56
	v_rndne_f32_e32 v58, v56
	s_delay_alu instid0(VALU_DEP_1) | instskip(NEXT) | instid1(VALU_DEP_1)
	v_dual_fmamk_f32 v57, v55, 0x32a5705f, v57 :: v_dual_sub_f32 v56, v56, v58
	v_add_f32_e32 v56, v56, v57
	v_cvt_i32_f32_e32 v57, v58
	s_delay_alu instid0(VALU_DEP_2) | instskip(SKIP_2) | instid1(VALU_DEP_1)
	v_exp_f32_e32 v56, v56
	s_waitcnt_depctr 0xfff
	v_ldexp_f32 v56, v56, v57
	v_cndmask_b32_e64 v56, 0, v56, s1
	v_cmp_nlt_f32_e64 s1, 0x42b17218, v55
	s_delay_alu instid0(VALU_DEP_1) | instskip(NEXT) | instid1(VALU_DEP_1)
	v_cndmask_b32_e64 v57, 0x7f800000, v56, s1
	v_add_f32_e32 v58, 1.0, v57
	v_cmp_gt_f32_e64 s50, 0x33800000, |v57|
	s_delay_alu instid0(VALU_DEP_2) | instskip(NEXT) | instid1(VALU_DEP_1)
	v_cvt_f64_f32_e32 v[55:56], v58
	v_frexp_exp_i32_f64_e32 v55, v[55:56]
	v_frexp_mant_f32_e32 v56, v58
	s_delay_alu instid0(VALU_DEP_1) | instskip(SKIP_1) | instid1(VALU_DEP_1)
	v_cmp_gt_f32_e64 s1, 0x3f2aaaab, v56
	v_add_f32_e32 v56, -1.0, v58
	v_sub_f32_e32 v60, v56, v58
	v_sub_f32_e32 v56, v57, v56
	s_delay_alu instid0(VALU_DEP_4) | instskip(SKIP_1) | instid1(VALU_DEP_1)
	v_subrev_co_ci_u32_e64 v55, s1, 0, v55, s1
	s_mov_b32 s1, 0x3e9b6dac
	v_sub_nc_u32_e32 v59, 0, v55
	v_cvt_f32_i32_e32 v55, v55
	s_delay_alu instid0(VALU_DEP_2) | instskip(NEXT) | instid1(VALU_DEP_1)
	v_ldexp_f32 v58, v58, v59
	v_dual_add_f32 v61, 1.0, v58 :: v_dual_add_f32 v60, 1.0, v60
	s_delay_alu instid0(VALU_DEP_1) | instskip(NEXT) | instid1(VALU_DEP_2)
	v_add_f32_e32 v56, v56, v60
	v_add_f32_e32 v60, -1.0, v61
	s_delay_alu instid0(VALU_DEP_2) | instskip(NEXT) | instid1(VALU_DEP_2)
	v_ldexp_f32 v56, v56, v59
	v_dual_add_f32 v59, -1.0, v58 :: v_dual_sub_f32 v60, v58, v60
	s_delay_alu instid0(VALU_DEP_1) | instskip(NEXT) | instid1(VALU_DEP_2)
	v_add_f32_e32 v62, 1.0, v59
	v_add_f32_e32 v60, v56, v60
	s_delay_alu instid0(VALU_DEP_2) | instskip(NEXT) | instid1(VALU_DEP_2)
	v_sub_f32_e32 v58, v58, v62
	v_add_f32_e32 v62, v61, v60
	s_delay_alu instid0(VALU_DEP_2) | instskip(NEXT) | instid1(VALU_DEP_2)
	v_add_f32_e32 v56, v56, v58
	v_rcp_f32_e32 v58, v62
	v_sub_f32_e32 v61, v61, v62
	s_delay_alu instid0(VALU_DEP_1) | instskip(NEXT) | instid1(VALU_DEP_1)
	v_dual_add_f32 v63, v59, v56 :: v_dual_add_f32 v60, v60, v61
	v_sub_f32_e32 v59, v59, v63
	s_waitcnt_depctr 0xfff
	v_mul_f32_e32 v64, v63, v58
	s_delay_alu instid0(VALU_DEP_1) | instskip(NEXT) | instid1(VALU_DEP_1)
	v_dual_add_f32 v56, v56, v59 :: v_dual_mul_f32 v65, v62, v64
	v_fma_f32 v61, v64, v62, -v65
	s_delay_alu instid0(VALU_DEP_1) | instskip(NEXT) | instid1(VALU_DEP_1)
	v_fmac_f32_e32 v61, v64, v60
	v_add_f32_e32 v66, v65, v61
	s_delay_alu instid0(VALU_DEP_1) | instskip(SKIP_1) | instid1(VALU_DEP_2)
	v_sub_f32_e32 v67, v63, v66
	v_sub_f32_e32 v59, v66, v65
	;; [unrolled: 1-line block ×3, first 2 shown]
	s_delay_alu instid0(VALU_DEP_2) | instskip(NEXT) | instid1(VALU_DEP_2)
	v_sub_f32_e32 v59, v59, v61
	v_sub_f32_e32 v63, v63, v66
	s_delay_alu instid0(VALU_DEP_1) | instskip(NEXT) | instid1(VALU_DEP_1)
	v_add_f32_e32 v56, v56, v63
	v_add_f32_e32 v56, v59, v56
	s_delay_alu instid0(VALU_DEP_1) | instskip(NEXT) | instid1(VALU_DEP_1)
	v_add_f32_e32 v59, v67, v56
	v_mul_f32_e32 v61, v58, v59
	s_delay_alu instid0(VALU_DEP_1) | instskip(NEXT) | instid1(VALU_DEP_1)
	v_dual_sub_f32 v66, v67, v59 :: v_dual_mul_f32 v63, v62, v61
	v_add_f32_e32 v56, v56, v66
	s_delay_alu instid0(VALU_DEP_2) | instskip(NEXT) | instid1(VALU_DEP_1)
	v_fma_f32 v62, v61, v62, -v63
	v_fmac_f32_e32 v62, v61, v60
	s_delay_alu instid0(VALU_DEP_1) | instskip(NEXT) | instid1(VALU_DEP_1)
	v_add_f32_e32 v60, v63, v62
	v_sub_f32_e32 v65, v59, v60
	v_sub_f32_e32 v63, v60, v63
	s_delay_alu instid0(VALU_DEP_2) | instskip(NEXT) | instid1(VALU_DEP_1)
	v_sub_f32_e32 v59, v59, v65
	v_sub_f32_e32 v59, v59, v60
	s_delay_alu instid0(VALU_DEP_3) | instskip(NEXT) | instid1(VALU_DEP_2)
	v_sub_f32_e32 v60, v63, v62
	v_add_f32_e32 v56, v56, v59
	v_add_f32_e32 v59, v64, v61
	s_delay_alu instid0(VALU_DEP_2) | instskip(NEXT) | instid1(VALU_DEP_2)
	v_add_f32_e32 v56, v60, v56
	v_sub_f32_e32 v60, v59, v64
	s_delay_alu instid0(VALU_DEP_2) | instskip(NEXT) | instid1(VALU_DEP_2)
	v_add_f32_e32 v56, v65, v56
	v_sub_f32_e32 v60, v61, v60
	s_delay_alu instid0(VALU_DEP_2) | instskip(NEXT) | instid1(VALU_DEP_1)
	v_mul_f32_e32 v56, v58, v56
	v_add_f32_e32 v56, v60, v56
	s_delay_alu instid0(VALU_DEP_1) | instskip(NEXT) | instid1(VALU_DEP_1)
	v_add_f32_e32 v58, v59, v56
	v_mul_f32_e32 v60, v58, v58
	s_delay_alu instid0(VALU_DEP_1) | instskip(SKIP_2) | instid1(VALU_DEP_3)
	v_fmaak_f32 v61, s1, v60, 0x3ecc95a3
	v_mul_f32_e32 v62, v58, v60
	v_cmp_eq_f32_e64 s1, 0x7f800000, v57
	v_fmaak_f32 v60, v60, v61, 0x3f2aaada
	v_ldexp_f32 v61, v58, 1
	v_sub_f32_e32 v58, v58, v59
	s_delay_alu instid0(VALU_DEP_4) | instskip(NEXT) | instid1(VALU_DEP_3)
	s_or_b32 s1, s1, s50
	v_mul_f32_e32 v60, v62, v60
	v_mul_f32_e32 v62, 0x3f317218, v55
	s_delay_alu instid0(VALU_DEP_2) | instskip(NEXT) | instid1(VALU_DEP_1)
	v_dual_sub_f32 v56, v56, v58 :: v_dual_add_f32 v59, v61, v60
	v_ldexp_f32 v56, v56, 1
	s_delay_alu instid0(VALU_DEP_2) | instskip(NEXT) | instid1(VALU_DEP_4)
	v_sub_f32_e32 v58, v59, v61
	v_fma_f32 v61, 0x3f317218, v55, -v62
	s_delay_alu instid0(VALU_DEP_1) | instskip(NEXT) | instid1(VALU_DEP_1)
	v_dual_sub_f32 v58, v60, v58 :: v_dual_fmamk_f32 v55, v55, 0xb102e308, v61
	v_add_f32_e32 v56, v56, v58
	s_delay_alu instid0(VALU_DEP_2) | instskip(NEXT) | instid1(VALU_DEP_2)
	v_add_f32_e32 v58, v62, v55
	v_add_f32_e32 v60, v59, v56
	s_delay_alu instid0(VALU_DEP_2) | instskip(NEXT) | instid1(VALU_DEP_2)
	v_sub_f32_e32 v62, v58, v62
	v_add_f32_e32 v61, v58, v60
	v_sub_f32_e32 v59, v60, v59
	s_delay_alu instid0(VALU_DEP_3) | instskip(NEXT) | instid1(VALU_DEP_2)
	v_sub_f32_e32 v55, v55, v62
	v_dual_sub_f32 v63, v61, v58 :: v_dual_sub_f32 v56, v56, v59
	s_delay_alu instid0(VALU_DEP_1) | instskip(NEXT) | instid1(VALU_DEP_2)
	v_sub_f32_e32 v64, v61, v63
	v_dual_sub_f32 v59, v60, v63 :: v_dual_add_f32 v60, v55, v56
	s_delay_alu instid0(VALU_DEP_2) | instskip(NEXT) | instid1(VALU_DEP_1)
	v_sub_f32_e32 v58, v58, v64
	v_dual_add_f32 v58, v59, v58 :: v_dual_sub_f32 v59, v60, v55
	s_delay_alu instid0(VALU_DEP_1) | instskip(NEXT) | instid1(VALU_DEP_2)
	v_add_f32_e32 v58, v60, v58
	v_sub_f32_e32 v60, v60, v59
	v_sub_f32_e32 v56, v56, v59
	s_delay_alu instid0(VALU_DEP_2) | instskip(NEXT) | instid1(VALU_DEP_1)
	v_dual_add_f32 v62, v61, v58 :: v_dual_sub_f32 v55, v55, v60
	v_sub_f32_e32 v59, v62, v61
	s_delay_alu instid0(VALU_DEP_2) | instskip(NEXT) | instid1(VALU_DEP_2)
	v_add_f32_e32 v55, v56, v55
	v_sub_f32_e32 v56, v58, v59
	s_delay_alu instid0(VALU_DEP_1) | instskip(NEXT) | instid1(VALU_DEP_1)
	v_add_f32_e32 v55, v55, v56
	v_add_f32_e32 v55, v62, v55
	s_delay_alu instid0(VALU_DEP_1) | instskip(NEXT) | instid1(VALU_DEP_1)
	v_cndmask_b32_e64 v55, v55, v57, s1
	v_add_f32_e32 v55, v54, v55
.LBB491_91:
	s_or_b32 exec_lo, exec_lo, s49
	s_delay_alu instid0(VALU_DEP_1) | instskip(SKIP_2) | instid1(VALU_DEP_2)
	v_bfe_u32 v54, v55, 16, 1
	v_cmp_o_f32_e64 s1, v55, v55
	s_mov_b32 s49, exec_lo
	v_add3_u32 v54, v55, v54, 0x7fff
	s_delay_alu instid0(VALU_DEP_1) | instskip(NEXT) | instid1(VALU_DEP_1)
	v_lshrrev_b32_e32 v54, 16, v54
	v_cndmask_b32_e64 v56, 0x7fc0, v54, s1
	v_mbcnt_lo_u32_b32 v54, -1, 0
	s_delay_alu instid0(VALU_DEP_2) | instskip(NEXT) | instid1(VALU_DEP_2)
	v_and_b32_e32 v57, 0xffff, v56
	v_and_b32_e32 v55, 15, v54
	s_delay_alu instid0(VALU_DEP_2) | instskip(NEXT) | instid1(VALU_DEP_2)
	v_mov_b32_dpp v58, v57 row_shr:1 row_mask:0xf bank_mask:0xf
	v_cmpx_ne_u32_e32 0, v55
	s_cbranch_execz .LBB491_95
; %bb.92:
	v_lshlrev_b32_e32 v56, 16, v57
	s_delay_alu instid0(VALU_DEP_1) | instskip(NEXT) | instid1(VALU_DEP_1)
	v_dual_max_f32 v58, v56, v56 :: v_dual_lshlrev_b32 v57, 16, v58
	v_max_f32_e32 v59, v57, v57
	v_cmp_u_f32_e64 s1, v57, v57
	s_delay_alu instid0(VALU_DEP_2) | instskip(SKIP_1) | instid1(VALU_DEP_2)
	v_min_f32_e32 v60, v59, v58
	v_max_f32_e32 v58, v59, v58
	v_cndmask_b32_e64 v59, v60, v57, s1
	s_delay_alu instid0(VALU_DEP_2) | instskip(SKIP_1) | instid1(VALU_DEP_1)
	v_cndmask_b32_e64 v60, v58, v57, s1
	v_cmp_u_f32_e64 s1, v56, v56
	v_cndmask_b32_e64 v58, v59, v56, s1
	s_delay_alu instid0(VALU_DEP_3) | instskip(NEXT) | instid1(VALU_DEP_2)
	v_cndmask_b32_e64 v56, v60, v56, s1
	v_cmp_class_f32_e64 s50, v58, 0x1f8
	s_delay_alu instid0(VALU_DEP_2) | instskip(NEXT) | instid1(VALU_DEP_1)
	v_cmp_neq_f32_e64 s1, v58, v56
	s_or_b32 s1, s1, s50
	s_delay_alu instid0(SALU_CYCLE_1)
	s_and_saveexec_b32 s50, s1
	s_cbranch_execz .LBB491_94
; %bb.93:
	v_sub_f32_e32 v57, v58, v56
	s_delay_alu instid0(VALU_DEP_1) | instskip(SKIP_1) | instid1(VALU_DEP_2)
	v_mul_f32_e32 v58, 0x3fb8aa3b, v57
	v_cmp_ngt_f32_e64 s1, 0xc2ce8ed0, v57
	v_fma_f32 v59, 0x3fb8aa3b, v57, -v58
	v_rndne_f32_e32 v60, v58
	s_delay_alu instid0(VALU_DEP_1) | instskip(NEXT) | instid1(VALU_DEP_1)
	v_dual_fmamk_f32 v59, v57, 0x32a5705f, v59 :: v_dual_sub_f32 v58, v58, v60
	v_add_f32_e32 v58, v58, v59
	v_cvt_i32_f32_e32 v59, v60
	s_delay_alu instid0(VALU_DEP_2) | instskip(SKIP_2) | instid1(VALU_DEP_1)
	v_exp_f32_e32 v58, v58
	s_waitcnt_depctr 0xfff
	v_ldexp_f32 v58, v58, v59
	v_cndmask_b32_e64 v58, 0, v58, s1
	v_cmp_nlt_f32_e64 s1, 0x42b17218, v57
	s_delay_alu instid0(VALU_DEP_1) | instskip(NEXT) | instid1(VALU_DEP_1)
	v_cndmask_b32_e64 v59, 0x7f800000, v58, s1
	v_add_f32_e32 v60, 1.0, v59
	v_cmp_gt_f32_e64 s51, 0x33800000, |v59|
	s_delay_alu instid0(VALU_DEP_2) | instskip(NEXT) | instid1(VALU_DEP_1)
	v_cvt_f64_f32_e32 v[57:58], v60
	v_frexp_exp_i32_f64_e32 v57, v[57:58]
	v_frexp_mant_f32_e32 v58, v60
	s_delay_alu instid0(VALU_DEP_1) | instskip(SKIP_1) | instid1(VALU_DEP_1)
	v_cmp_gt_f32_e64 s1, 0x3f2aaaab, v58
	v_add_f32_e32 v58, -1.0, v60
	v_sub_f32_e32 v62, v58, v60
	v_sub_f32_e32 v58, v59, v58
	s_delay_alu instid0(VALU_DEP_4) | instskip(SKIP_1) | instid1(VALU_DEP_1)
	v_subrev_co_ci_u32_e64 v57, s1, 0, v57, s1
	s_mov_b32 s1, 0x3e9b6dac
	v_sub_nc_u32_e32 v61, 0, v57
	v_cvt_f32_i32_e32 v57, v57
	s_delay_alu instid0(VALU_DEP_2) | instskip(NEXT) | instid1(VALU_DEP_1)
	v_ldexp_f32 v60, v60, v61
	v_dual_add_f32 v63, 1.0, v60 :: v_dual_add_f32 v62, 1.0, v62
	s_delay_alu instid0(VALU_DEP_1) | instskip(NEXT) | instid1(VALU_DEP_2)
	v_add_f32_e32 v58, v58, v62
	v_add_f32_e32 v62, -1.0, v63
	s_delay_alu instid0(VALU_DEP_2) | instskip(NEXT) | instid1(VALU_DEP_2)
	v_ldexp_f32 v58, v58, v61
	v_dual_add_f32 v61, -1.0, v60 :: v_dual_sub_f32 v62, v60, v62
	s_delay_alu instid0(VALU_DEP_1) | instskip(NEXT) | instid1(VALU_DEP_2)
	v_add_f32_e32 v64, 1.0, v61
	v_add_f32_e32 v62, v58, v62
	s_delay_alu instid0(VALU_DEP_2) | instskip(NEXT) | instid1(VALU_DEP_2)
	v_sub_f32_e32 v60, v60, v64
	v_add_f32_e32 v64, v63, v62
	s_delay_alu instid0(VALU_DEP_2) | instskip(NEXT) | instid1(VALU_DEP_2)
	v_add_f32_e32 v58, v58, v60
	v_rcp_f32_e32 v60, v64
	v_sub_f32_e32 v63, v63, v64
	s_delay_alu instid0(VALU_DEP_1) | instskip(NEXT) | instid1(VALU_DEP_1)
	v_dual_add_f32 v65, v61, v58 :: v_dual_add_f32 v62, v62, v63
	v_sub_f32_e32 v61, v61, v65
	s_waitcnt_depctr 0xfff
	v_mul_f32_e32 v66, v65, v60
	s_delay_alu instid0(VALU_DEP_1) | instskip(NEXT) | instid1(VALU_DEP_1)
	v_dual_add_f32 v58, v58, v61 :: v_dual_mul_f32 v67, v64, v66
	v_fma_f32 v63, v66, v64, -v67
	s_delay_alu instid0(VALU_DEP_1) | instskip(NEXT) | instid1(VALU_DEP_1)
	v_fmac_f32_e32 v63, v66, v62
	v_add_f32_e32 v68, v67, v63
	s_delay_alu instid0(VALU_DEP_1) | instskip(SKIP_1) | instid1(VALU_DEP_2)
	v_sub_f32_e32 v69, v65, v68
	v_sub_f32_e32 v61, v68, v67
	v_sub_f32_e32 v65, v65, v69
	s_delay_alu instid0(VALU_DEP_2) | instskip(NEXT) | instid1(VALU_DEP_2)
	v_sub_f32_e32 v61, v61, v63
	v_sub_f32_e32 v65, v65, v68
	s_delay_alu instid0(VALU_DEP_1) | instskip(NEXT) | instid1(VALU_DEP_1)
	v_add_f32_e32 v58, v58, v65
	v_add_f32_e32 v58, v61, v58
	s_delay_alu instid0(VALU_DEP_1) | instskip(NEXT) | instid1(VALU_DEP_1)
	v_add_f32_e32 v61, v69, v58
	v_mul_f32_e32 v63, v60, v61
	s_delay_alu instid0(VALU_DEP_1) | instskip(NEXT) | instid1(VALU_DEP_1)
	v_dual_sub_f32 v68, v69, v61 :: v_dual_mul_f32 v65, v64, v63
	v_add_f32_e32 v58, v58, v68
	s_delay_alu instid0(VALU_DEP_2) | instskip(NEXT) | instid1(VALU_DEP_1)
	v_fma_f32 v64, v63, v64, -v65
	v_fmac_f32_e32 v64, v63, v62
	s_delay_alu instid0(VALU_DEP_1) | instskip(NEXT) | instid1(VALU_DEP_1)
	v_add_f32_e32 v62, v65, v64
	v_sub_f32_e32 v67, v61, v62
	v_sub_f32_e32 v65, v62, v65
	s_delay_alu instid0(VALU_DEP_2) | instskip(NEXT) | instid1(VALU_DEP_1)
	v_sub_f32_e32 v61, v61, v67
	v_sub_f32_e32 v61, v61, v62
	s_delay_alu instid0(VALU_DEP_3) | instskip(NEXT) | instid1(VALU_DEP_2)
	v_sub_f32_e32 v62, v65, v64
	v_add_f32_e32 v58, v58, v61
	v_add_f32_e32 v61, v66, v63
	s_delay_alu instid0(VALU_DEP_2) | instskip(NEXT) | instid1(VALU_DEP_2)
	v_add_f32_e32 v58, v62, v58
	v_sub_f32_e32 v62, v61, v66
	s_delay_alu instid0(VALU_DEP_2) | instskip(NEXT) | instid1(VALU_DEP_2)
	v_add_f32_e32 v58, v67, v58
	v_sub_f32_e32 v62, v63, v62
	s_delay_alu instid0(VALU_DEP_2) | instskip(NEXT) | instid1(VALU_DEP_1)
	v_mul_f32_e32 v58, v60, v58
	v_add_f32_e32 v58, v62, v58
	s_delay_alu instid0(VALU_DEP_1) | instskip(NEXT) | instid1(VALU_DEP_1)
	v_add_f32_e32 v60, v61, v58
	v_mul_f32_e32 v62, v60, v60
	s_delay_alu instid0(VALU_DEP_1) | instskip(SKIP_2) | instid1(VALU_DEP_3)
	v_fmaak_f32 v63, s1, v62, 0x3ecc95a3
	v_mul_f32_e32 v64, v60, v62
	v_cmp_eq_f32_e64 s1, 0x7f800000, v59
	v_fmaak_f32 v62, v62, v63, 0x3f2aaada
	v_ldexp_f32 v63, v60, 1
	v_sub_f32_e32 v60, v60, v61
	s_delay_alu instid0(VALU_DEP_4) | instskip(NEXT) | instid1(VALU_DEP_3)
	s_or_b32 s1, s1, s51
	v_mul_f32_e32 v62, v64, v62
	v_mul_f32_e32 v64, 0x3f317218, v57
	s_delay_alu instid0(VALU_DEP_2) | instskip(NEXT) | instid1(VALU_DEP_1)
	v_dual_sub_f32 v58, v58, v60 :: v_dual_add_f32 v61, v63, v62
	v_ldexp_f32 v58, v58, 1
	s_delay_alu instid0(VALU_DEP_2) | instskip(NEXT) | instid1(VALU_DEP_4)
	v_sub_f32_e32 v60, v61, v63
	v_fma_f32 v63, 0x3f317218, v57, -v64
	s_delay_alu instid0(VALU_DEP_1) | instskip(NEXT) | instid1(VALU_DEP_1)
	v_dual_sub_f32 v60, v62, v60 :: v_dual_fmamk_f32 v57, v57, 0xb102e308, v63
	v_add_f32_e32 v58, v58, v60
	s_delay_alu instid0(VALU_DEP_2) | instskip(NEXT) | instid1(VALU_DEP_2)
	v_add_f32_e32 v60, v64, v57
	v_add_f32_e32 v62, v61, v58
	s_delay_alu instid0(VALU_DEP_2) | instskip(NEXT) | instid1(VALU_DEP_2)
	v_sub_f32_e32 v64, v60, v64
	v_add_f32_e32 v63, v60, v62
	v_sub_f32_e32 v61, v62, v61
	s_delay_alu instid0(VALU_DEP_3) | instskip(NEXT) | instid1(VALU_DEP_2)
	v_sub_f32_e32 v57, v57, v64
	v_dual_sub_f32 v65, v63, v60 :: v_dual_sub_f32 v58, v58, v61
	s_delay_alu instid0(VALU_DEP_1) | instskip(NEXT) | instid1(VALU_DEP_2)
	v_sub_f32_e32 v66, v63, v65
	v_dual_sub_f32 v61, v62, v65 :: v_dual_add_f32 v62, v57, v58
	s_delay_alu instid0(VALU_DEP_2) | instskip(NEXT) | instid1(VALU_DEP_1)
	v_sub_f32_e32 v60, v60, v66
	v_dual_add_f32 v60, v61, v60 :: v_dual_sub_f32 v61, v62, v57
	s_delay_alu instid0(VALU_DEP_1) | instskip(NEXT) | instid1(VALU_DEP_2)
	v_add_f32_e32 v60, v62, v60
	v_sub_f32_e32 v62, v62, v61
	v_sub_f32_e32 v58, v58, v61
	s_delay_alu instid0(VALU_DEP_2) | instskip(NEXT) | instid1(VALU_DEP_1)
	v_dual_add_f32 v64, v63, v60 :: v_dual_sub_f32 v57, v57, v62
	v_sub_f32_e32 v61, v64, v63
	s_delay_alu instid0(VALU_DEP_2) | instskip(NEXT) | instid1(VALU_DEP_2)
	v_add_f32_e32 v57, v58, v57
	v_sub_f32_e32 v58, v60, v61
	s_delay_alu instid0(VALU_DEP_1) | instskip(NEXT) | instid1(VALU_DEP_1)
	v_add_f32_e32 v57, v57, v58
	v_add_f32_e32 v57, v64, v57
	s_delay_alu instid0(VALU_DEP_1) | instskip(NEXT) | instid1(VALU_DEP_1)
	v_cndmask_b32_e64 v57, v57, v59, s1
	v_add_f32_e32 v57, v56, v57
.LBB491_94:
	s_or_b32 exec_lo, exec_lo, s50
	s_delay_alu instid0(VALU_DEP_1) | instskip(SKIP_1) | instid1(VALU_DEP_2)
	v_bfe_u32 v56, v57, 16, 1
	v_cmp_o_f32_e64 s1, v57, v57
	v_add3_u32 v56, v57, v56, 0x7fff
	s_delay_alu instid0(VALU_DEP_1) | instskip(NEXT) | instid1(VALU_DEP_1)
	v_lshrrev_b32_e32 v56, 16, v56
	v_cndmask_b32_e64 v56, 0x7fc0, v56, s1
	s_delay_alu instid0(VALU_DEP_1)
	v_and_b32_e32 v57, 0xffff, v56
.LBB491_95:
	s_or_b32 exec_lo, exec_lo, s49
	s_delay_alu instid0(VALU_DEP_1)
	v_mov_b32_dpp v58, v57 row_shr:2 row_mask:0xf bank_mask:0xf
	s_mov_b32 s49, exec_lo
	v_cmpx_lt_u32_e32 1, v55
	s_cbranch_execz .LBB491_99
; %bb.96:
	v_lshlrev_b32_e32 v56, 16, v57
	s_delay_alu instid0(VALU_DEP_1) | instskip(NEXT) | instid1(VALU_DEP_1)
	v_dual_max_f32 v58, v56, v56 :: v_dual_lshlrev_b32 v57, 16, v58
	v_max_f32_e32 v59, v57, v57
	v_cmp_u_f32_e64 s1, v57, v57
	s_delay_alu instid0(VALU_DEP_2) | instskip(SKIP_1) | instid1(VALU_DEP_2)
	v_min_f32_e32 v60, v59, v58
	v_max_f32_e32 v58, v59, v58
	v_cndmask_b32_e64 v59, v60, v57, s1
	s_delay_alu instid0(VALU_DEP_2) | instskip(SKIP_1) | instid1(VALU_DEP_1)
	v_cndmask_b32_e64 v60, v58, v57, s1
	v_cmp_u_f32_e64 s1, v56, v56
	v_cndmask_b32_e64 v58, v59, v56, s1
	s_delay_alu instid0(VALU_DEP_3) | instskip(NEXT) | instid1(VALU_DEP_2)
	v_cndmask_b32_e64 v56, v60, v56, s1
	v_cmp_class_f32_e64 s50, v58, 0x1f8
	s_delay_alu instid0(VALU_DEP_2) | instskip(NEXT) | instid1(VALU_DEP_1)
	v_cmp_neq_f32_e64 s1, v58, v56
	s_or_b32 s1, s1, s50
	s_delay_alu instid0(SALU_CYCLE_1)
	s_and_saveexec_b32 s50, s1
	s_cbranch_execz .LBB491_98
; %bb.97:
	v_sub_f32_e32 v57, v58, v56
	s_delay_alu instid0(VALU_DEP_1) | instskip(SKIP_1) | instid1(VALU_DEP_2)
	v_mul_f32_e32 v58, 0x3fb8aa3b, v57
	v_cmp_ngt_f32_e64 s1, 0xc2ce8ed0, v57
	v_fma_f32 v59, 0x3fb8aa3b, v57, -v58
	v_rndne_f32_e32 v60, v58
	s_delay_alu instid0(VALU_DEP_1) | instskip(NEXT) | instid1(VALU_DEP_1)
	v_dual_fmamk_f32 v59, v57, 0x32a5705f, v59 :: v_dual_sub_f32 v58, v58, v60
	v_add_f32_e32 v58, v58, v59
	v_cvt_i32_f32_e32 v59, v60
	s_delay_alu instid0(VALU_DEP_2) | instskip(SKIP_2) | instid1(VALU_DEP_1)
	v_exp_f32_e32 v58, v58
	s_waitcnt_depctr 0xfff
	v_ldexp_f32 v58, v58, v59
	v_cndmask_b32_e64 v58, 0, v58, s1
	v_cmp_nlt_f32_e64 s1, 0x42b17218, v57
	s_delay_alu instid0(VALU_DEP_1) | instskip(NEXT) | instid1(VALU_DEP_1)
	v_cndmask_b32_e64 v59, 0x7f800000, v58, s1
	v_add_f32_e32 v60, 1.0, v59
	v_cmp_gt_f32_e64 s51, 0x33800000, |v59|
	s_delay_alu instid0(VALU_DEP_2) | instskip(NEXT) | instid1(VALU_DEP_1)
	v_cvt_f64_f32_e32 v[57:58], v60
	v_frexp_exp_i32_f64_e32 v57, v[57:58]
	v_frexp_mant_f32_e32 v58, v60
	s_delay_alu instid0(VALU_DEP_1) | instskip(SKIP_1) | instid1(VALU_DEP_1)
	v_cmp_gt_f32_e64 s1, 0x3f2aaaab, v58
	v_add_f32_e32 v58, -1.0, v60
	v_sub_f32_e32 v62, v58, v60
	v_sub_f32_e32 v58, v59, v58
	s_delay_alu instid0(VALU_DEP_4) | instskip(SKIP_1) | instid1(VALU_DEP_1)
	v_subrev_co_ci_u32_e64 v57, s1, 0, v57, s1
	s_mov_b32 s1, 0x3e9b6dac
	v_sub_nc_u32_e32 v61, 0, v57
	v_cvt_f32_i32_e32 v57, v57
	s_delay_alu instid0(VALU_DEP_2) | instskip(NEXT) | instid1(VALU_DEP_1)
	v_ldexp_f32 v60, v60, v61
	v_dual_add_f32 v63, 1.0, v60 :: v_dual_add_f32 v62, 1.0, v62
	s_delay_alu instid0(VALU_DEP_1) | instskip(NEXT) | instid1(VALU_DEP_2)
	v_add_f32_e32 v58, v58, v62
	v_add_f32_e32 v62, -1.0, v63
	s_delay_alu instid0(VALU_DEP_2) | instskip(NEXT) | instid1(VALU_DEP_2)
	v_ldexp_f32 v58, v58, v61
	v_dual_add_f32 v61, -1.0, v60 :: v_dual_sub_f32 v62, v60, v62
	s_delay_alu instid0(VALU_DEP_1) | instskip(NEXT) | instid1(VALU_DEP_2)
	v_add_f32_e32 v64, 1.0, v61
	v_add_f32_e32 v62, v58, v62
	s_delay_alu instid0(VALU_DEP_2) | instskip(NEXT) | instid1(VALU_DEP_2)
	v_sub_f32_e32 v60, v60, v64
	v_add_f32_e32 v64, v63, v62
	s_delay_alu instid0(VALU_DEP_2) | instskip(NEXT) | instid1(VALU_DEP_2)
	v_add_f32_e32 v58, v58, v60
	v_rcp_f32_e32 v60, v64
	v_sub_f32_e32 v63, v63, v64
	s_delay_alu instid0(VALU_DEP_1) | instskip(NEXT) | instid1(VALU_DEP_1)
	v_dual_add_f32 v65, v61, v58 :: v_dual_add_f32 v62, v62, v63
	v_sub_f32_e32 v61, v61, v65
	s_waitcnt_depctr 0xfff
	v_mul_f32_e32 v66, v65, v60
	s_delay_alu instid0(VALU_DEP_1) | instskip(NEXT) | instid1(VALU_DEP_1)
	v_dual_add_f32 v58, v58, v61 :: v_dual_mul_f32 v67, v64, v66
	v_fma_f32 v63, v66, v64, -v67
	s_delay_alu instid0(VALU_DEP_1) | instskip(NEXT) | instid1(VALU_DEP_1)
	v_fmac_f32_e32 v63, v66, v62
	v_add_f32_e32 v68, v67, v63
	s_delay_alu instid0(VALU_DEP_1) | instskip(SKIP_1) | instid1(VALU_DEP_2)
	v_sub_f32_e32 v69, v65, v68
	v_sub_f32_e32 v61, v68, v67
	;; [unrolled: 1-line block ×3, first 2 shown]
	s_delay_alu instid0(VALU_DEP_2) | instskip(NEXT) | instid1(VALU_DEP_2)
	v_sub_f32_e32 v61, v61, v63
	v_sub_f32_e32 v65, v65, v68
	s_delay_alu instid0(VALU_DEP_1) | instskip(NEXT) | instid1(VALU_DEP_1)
	v_add_f32_e32 v58, v58, v65
	v_add_f32_e32 v58, v61, v58
	s_delay_alu instid0(VALU_DEP_1) | instskip(NEXT) | instid1(VALU_DEP_1)
	v_add_f32_e32 v61, v69, v58
	v_mul_f32_e32 v63, v60, v61
	s_delay_alu instid0(VALU_DEP_1) | instskip(NEXT) | instid1(VALU_DEP_1)
	v_dual_sub_f32 v68, v69, v61 :: v_dual_mul_f32 v65, v64, v63
	v_add_f32_e32 v58, v58, v68
	s_delay_alu instid0(VALU_DEP_2) | instskip(NEXT) | instid1(VALU_DEP_1)
	v_fma_f32 v64, v63, v64, -v65
	v_fmac_f32_e32 v64, v63, v62
	s_delay_alu instid0(VALU_DEP_1) | instskip(NEXT) | instid1(VALU_DEP_1)
	v_add_f32_e32 v62, v65, v64
	v_sub_f32_e32 v67, v61, v62
	v_sub_f32_e32 v65, v62, v65
	s_delay_alu instid0(VALU_DEP_2) | instskip(NEXT) | instid1(VALU_DEP_1)
	v_sub_f32_e32 v61, v61, v67
	v_sub_f32_e32 v61, v61, v62
	s_delay_alu instid0(VALU_DEP_3) | instskip(NEXT) | instid1(VALU_DEP_2)
	v_sub_f32_e32 v62, v65, v64
	v_add_f32_e32 v58, v58, v61
	v_add_f32_e32 v61, v66, v63
	s_delay_alu instid0(VALU_DEP_2) | instskip(NEXT) | instid1(VALU_DEP_2)
	v_add_f32_e32 v58, v62, v58
	v_sub_f32_e32 v62, v61, v66
	s_delay_alu instid0(VALU_DEP_2) | instskip(NEXT) | instid1(VALU_DEP_2)
	v_add_f32_e32 v58, v67, v58
	v_sub_f32_e32 v62, v63, v62
	s_delay_alu instid0(VALU_DEP_2) | instskip(NEXT) | instid1(VALU_DEP_1)
	v_mul_f32_e32 v58, v60, v58
	v_add_f32_e32 v58, v62, v58
	s_delay_alu instid0(VALU_DEP_1) | instskip(NEXT) | instid1(VALU_DEP_1)
	v_add_f32_e32 v60, v61, v58
	v_mul_f32_e32 v62, v60, v60
	s_delay_alu instid0(VALU_DEP_1) | instskip(SKIP_2) | instid1(VALU_DEP_3)
	v_fmaak_f32 v63, s1, v62, 0x3ecc95a3
	v_mul_f32_e32 v64, v60, v62
	v_cmp_eq_f32_e64 s1, 0x7f800000, v59
	v_fmaak_f32 v62, v62, v63, 0x3f2aaada
	v_ldexp_f32 v63, v60, 1
	v_sub_f32_e32 v60, v60, v61
	s_delay_alu instid0(VALU_DEP_4) | instskip(NEXT) | instid1(VALU_DEP_3)
	s_or_b32 s1, s1, s51
	v_mul_f32_e32 v62, v64, v62
	v_mul_f32_e32 v64, 0x3f317218, v57
	s_delay_alu instid0(VALU_DEP_2) | instskip(NEXT) | instid1(VALU_DEP_1)
	v_dual_sub_f32 v58, v58, v60 :: v_dual_add_f32 v61, v63, v62
	v_ldexp_f32 v58, v58, 1
	s_delay_alu instid0(VALU_DEP_2) | instskip(NEXT) | instid1(VALU_DEP_4)
	v_sub_f32_e32 v60, v61, v63
	v_fma_f32 v63, 0x3f317218, v57, -v64
	s_delay_alu instid0(VALU_DEP_1) | instskip(NEXT) | instid1(VALU_DEP_1)
	v_dual_sub_f32 v60, v62, v60 :: v_dual_fmamk_f32 v57, v57, 0xb102e308, v63
	v_add_f32_e32 v58, v58, v60
	s_delay_alu instid0(VALU_DEP_2) | instskip(NEXT) | instid1(VALU_DEP_2)
	v_add_f32_e32 v60, v64, v57
	v_add_f32_e32 v62, v61, v58
	s_delay_alu instid0(VALU_DEP_2) | instskip(NEXT) | instid1(VALU_DEP_2)
	v_sub_f32_e32 v64, v60, v64
	v_add_f32_e32 v63, v60, v62
	v_sub_f32_e32 v61, v62, v61
	s_delay_alu instid0(VALU_DEP_3) | instskip(NEXT) | instid1(VALU_DEP_2)
	v_sub_f32_e32 v57, v57, v64
	v_dual_sub_f32 v65, v63, v60 :: v_dual_sub_f32 v58, v58, v61
	s_delay_alu instid0(VALU_DEP_1) | instskip(NEXT) | instid1(VALU_DEP_2)
	v_sub_f32_e32 v66, v63, v65
	v_dual_sub_f32 v61, v62, v65 :: v_dual_add_f32 v62, v57, v58
	s_delay_alu instid0(VALU_DEP_2) | instskip(NEXT) | instid1(VALU_DEP_1)
	v_sub_f32_e32 v60, v60, v66
	v_dual_add_f32 v60, v61, v60 :: v_dual_sub_f32 v61, v62, v57
	s_delay_alu instid0(VALU_DEP_1) | instskip(NEXT) | instid1(VALU_DEP_2)
	v_add_f32_e32 v60, v62, v60
	v_sub_f32_e32 v62, v62, v61
	v_sub_f32_e32 v58, v58, v61
	s_delay_alu instid0(VALU_DEP_2) | instskip(NEXT) | instid1(VALU_DEP_1)
	v_dual_add_f32 v64, v63, v60 :: v_dual_sub_f32 v57, v57, v62
	v_sub_f32_e32 v61, v64, v63
	s_delay_alu instid0(VALU_DEP_2) | instskip(NEXT) | instid1(VALU_DEP_2)
	v_add_f32_e32 v57, v58, v57
	v_sub_f32_e32 v58, v60, v61
	s_delay_alu instid0(VALU_DEP_1) | instskip(NEXT) | instid1(VALU_DEP_1)
	v_add_f32_e32 v57, v57, v58
	v_add_f32_e32 v57, v64, v57
	s_delay_alu instid0(VALU_DEP_1) | instskip(NEXT) | instid1(VALU_DEP_1)
	v_cndmask_b32_e64 v57, v57, v59, s1
	v_add_f32_e32 v57, v56, v57
.LBB491_98:
	s_or_b32 exec_lo, exec_lo, s50
	s_delay_alu instid0(VALU_DEP_1) | instskip(SKIP_1) | instid1(VALU_DEP_2)
	v_bfe_u32 v56, v57, 16, 1
	v_cmp_o_f32_e64 s1, v57, v57
	v_add3_u32 v56, v57, v56, 0x7fff
	s_delay_alu instid0(VALU_DEP_1) | instskip(NEXT) | instid1(VALU_DEP_1)
	v_lshrrev_b32_e32 v56, 16, v56
	v_cndmask_b32_e64 v56, 0x7fc0, v56, s1
	s_delay_alu instid0(VALU_DEP_1)
	v_and_b32_e32 v57, 0xffff, v56
.LBB491_99:
	s_or_b32 exec_lo, exec_lo, s49
	s_delay_alu instid0(VALU_DEP_1)
	v_mov_b32_dpp v58, v57 row_shr:4 row_mask:0xf bank_mask:0xf
	s_mov_b32 s49, exec_lo
	v_cmpx_lt_u32_e32 3, v55
	s_cbranch_execz .LBB491_103
; %bb.100:
	v_lshlrev_b32_e32 v56, 16, v57
	s_delay_alu instid0(VALU_DEP_1) | instskip(NEXT) | instid1(VALU_DEP_1)
	v_dual_max_f32 v58, v56, v56 :: v_dual_lshlrev_b32 v57, 16, v58
	v_max_f32_e32 v59, v57, v57
	v_cmp_u_f32_e64 s1, v57, v57
	s_delay_alu instid0(VALU_DEP_2) | instskip(SKIP_1) | instid1(VALU_DEP_2)
	v_min_f32_e32 v60, v59, v58
	v_max_f32_e32 v58, v59, v58
	v_cndmask_b32_e64 v59, v60, v57, s1
	s_delay_alu instid0(VALU_DEP_2) | instskip(SKIP_1) | instid1(VALU_DEP_1)
	v_cndmask_b32_e64 v60, v58, v57, s1
	v_cmp_u_f32_e64 s1, v56, v56
	v_cndmask_b32_e64 v58, v59, v56, s1
	s_delay_alu instid0(VALU_DEP_3) | instskip(NEXT) | instid1(VALU_DEP_2)
	v_cndmask_b32_e64 v56, v60, v56, s1
	v_cmp_class_f32_e64 s50, v58, 0x1f8
	s_delay_alu instid0(VALU_DEP_2) | instskip(NEXT) | instid1(VALU_DEP_1)
	v_cmp_neq_f32_e64 s1, v58, v56
	s_or_b32 s1, s1, s50
	s_delay_alu instid0(SALU_CYCLE_1)
	s_and_saveexec_b32 s50, s1
	s_cbranch_execz .LBB491_102
; %bb.101:
	v_sub_f32_e32 v57, v58, v56
	s_delay_alu instid0(VALU_DEP_1) | instskip(SKIP_1) | instid1(VALU_DEP_2)
	v_mul_f32_e32 v58, 0x3fb8aa3b, v57
	v_cmp_ngt_f32_e64 s1, 0xc2ce8ed0, v57
	v_fma_f32 v59, 0x3fb8aa3b, v57, -v58
	v_rndne_f32_e32 v60, v58
	s_delay_alu instid0(VALU_DEP_1) | instskip(NEXT) | instid1(VALU_DEP_1)
	v_dual_fmamk_f32 v59, v57, 0x32a5705f, v59 :: v_dual_sub_f32 v58, v58, v60
	v_add_f32_e32 v58, v58, v59
	v_cvt_i32_f32_e32 v59, v60
	s_delay_alu instid0(VALU_DEP_2) | instskip(SKIP_2) | instid1(VALU_DEP_1)
	v_exp_f32_e32 v58, v58
	s_waitcnt_depctr 0xfff
	v_ldexp_f32 v58, v58, v59
	v_cndmask_b32_e64 v58, 0, v58, s1
	v_cmp_nlt_f32_e64 s1, 0x42b17218, v57
	s_delay_alu instid0(VALU_DEP_1) | instskip(NEXT) | instid1(VALU_DEP_1)
	v_cndmask_b32_e64 v59, 0x7f800000, v58, s1
	v_add_f32_e32 v60, 1.0, v59
	v_cmp_gt_f32_e64 s51, 0x33800000, |v59|
	s_delay_alu instid0(VALU_DEP_2) | instskip(NEXT) | instid1(VALU_DEP_1)
	v_cvt_f64_f32_e32 v[57:58], v60
	v_frexp_exp_i32_f64_e32 v57, v[57:58]
	v_frexp_mant_f32_e32 v58, v60
	s_delay_alu instid0(VALU_DEP_1) | instskip(SKIP_1) | instid1(VALU_DEP_1)
	v_cmp_gt_f32_e64 s1, 0x3f2aaaab, v58
	v_add_f32_e32 v58, -1.0, v60
	v_sub_f32_e32 v62, v58, v60
	v_sub_f32_e32 v58, v59, v58
	s_delay_alu instid0(VALU_DEP_4) | instskip(SKIP_1) | instid1(VALU_DEP_1)
	v_subrev_co_ci_u32_e64 v57, s1, 0, v57, s1
	s_mov_b32 s1, 0x3e9b6dac
	v_sub_nc_u32_e32 v61, 0, v57
	v_cvt_f32_i32_e32 v57, v57
	s_delay_alu instid0(VALU_DEP_2) | instskip(NEXT) | instid1(VALU_DEP_1)
	v_ldexp_f32 v60, v60, v61
	v_dual_add_f32 v63, 1.0, v60 :: v_dual_add_f32 v62, 1.0, v62
	s_delay_alu instid0(VALU_DEP_1) | instskip(NEXT) | instid1(VALU_DEP_2)
	v_add_f32_e32 v58, v58, v62
	v_add_f32_e32 v62, -1.0, v63
	s_delay_alu instid0(VALU_DEP_2) | instskip(NEXT) | instid1(VALU_DEP_2)
	v_ldexp_f32 v58, v58, v61
	v_dual_add_f32 v61, -1.0, v60 :: v_dual_sub_f32 v62, v60, v62
	s_delay_alu instid0(VALU_DEP_1) | instskip(NEXT) | instid1(VALU_DEP_2)
	v_add_f32_e32 v64, 1.0, v61
	v_add_f32_e32 v62, v58, v62
	s_delay_alu instid0(VALU_DEP_2) | instskip(NEXT) | instid1(VALU_DEP_2)
	v_sub_f32_e32 v60, v60, v64
	v_add_f32_e32 v64, v63, v62
	s_delay_alu instid0(VALU_DEP_2) | instskip(NEXT) | instid1(VALU_DEP_2)
	v_add_f32_e32 v58, v58, v60
	v_rcp_f32_e32 v60, v64
	v_sub_f32_e32 v63, v63, v64
	s_delay_alu instid0(VALU_DEP_1) | instskip(NEXT) | instid1(VALU_DEP_1)
	v_dual_add_f32 v65, v61, v58 :: v_dual_add_f32 v62, v62, v63
	v_sub_f32_e32 v61, v61, v65
	s_waitcnt_depctr 0xfff
	v_mul_f32_e32 v66, v65, v60
	s_delay_alu instid0(VALU_DEP_1) | instskip(NEXT) | instid1(VALU_DEP_1)
	v_dual_add_f32 v58, v58, v61 :: v_dual_mul_f32 v67, v64, v66
	v_fma_f32 v63, v66, v64, -v67
	s_delay_alu instid0(VALU_DEP_1) | instskip(NEXT) | instid1(VALU_DEP_1)
	v_fmac_f32_e32 v63, v66, v62
	v_add_f32_e32 v68, v67, v63
	s_delay_alu instid0(VALU_DEP_1) | instskip(SKIP_1) | instid1(VALU_DEP_2)
	v_sub_f32_e32 v69, v65, v68
	v_sub_f32_e32 v61, v68, v67
	;; [unrolled: 1-line block ×3, first 2 shown]
	s_delay_alu instid0(VALU_DEP_2) | instskip(NEXT) | instid1(VALU_DEP_2)
	v_sub_f32_e32 v61, v61, v63
	v_sub_f32_e32 v65, v65, v68
	s_delay_alu instid0(VALU_DEP_1) | instskip(NEXT) | instid1(VALU_DEP_1)
	v_add_f32_e32 v58, v58, v65
	v_add_f32_e32 v58, v61, v58
	s_delay_alu instid0(VALU_DEP_1) | instskip(NEXT) | instid1(VALU_DEP_1)
	v_add_f32_e32 v61, v69, v58
	v_mul_f32_e32 v63, v60, v61
	s_delay_alu instid0(VALU_DEP_1) | instskip(NEXT) | instid1(VALU_DEP_1)
	v_dual_sub_f32 v68, v69, v61 :: v_dual_mul_f32 v65, v64, v63
	v_add_f32_e32 v58, v58, v68
	s_delay_alu instid0(VALU_DEP_2) | instskip(NEXT) | instid1(VALU_DEP_1)
	v_fma_f32 v64, v63, v64, -v65
	v_fmac_f32_e32 v64, v63, v62
	s_delay_alu instid0(VALU_DEP_1) | instskip(NEXT) | instid1(VALU_DEP_1)
	v_add_f32_e32 v62, v65, v64
	v_sub_f32_e32 v67, v61, v62
	v_sub_f32_e32 v65, v62, v65
	s_delay_alu instid0(VALU_DEP_2) | instskip(NEXT) | instid1(VALU_DEP_1)
	v_sub_f32_e32 v61, v61, v67
	v_sub_f32_e32 v61, v61, v62
	s_delay_alu instid0(VALU_DEP_3) | instskip(NEXT) | instid1(VALU_DEP_2)
	v_sub_f32_e32 v62, v65, v64
	v_add_f32_e32 v58, v58, v61
	v_add_f32_e32 v61, v66, v63
	s_delay_alu instid0(VALU_DEP_2) | instskip(NEXT) | instid1(VALU_DEP_2)
	v_add_f32_e32 v58, v62, v58
	v_sub_f32_e32 v62, v61, v66
	s_delay_alu instid0(VALU_DEP_2) | instskip(NEXT) | instid1(VALU_DEP_2)
	v_add_f32_e32 v58, v67, v58
	v_sub_f32_e32 v62, v63, v62
	s_delay_alu instid0(VALU_DEP_2) | instskip(NEXT) | instid1(VALU_DEP_1)
	v_mul_f32_e32 v58, v60, v58
	v_add_f32_e32 v58, v62, v58
	s_delay_alu instid0(VALU_DEP_1) | instskip(NEXT) | instid1(VALU_DEP_1)
	v_add_f32_e32 v60, v61, v58
	v_mul_f32_e32 v62, v60, v60
	s_delay_alu instid0(VALU_DEP_1) | instskip(SKIP_2) | instid1(VALU_DEP_3)
	v_fmaak_f32 v63, s1, v62, 0x3ecc95a3
	v_mul_f32_e32 v64, v60, v62
	v_cmp_eq_f32_e64 s1, 0x7f800000, v59
	v_fmaak_f32 v62, v62, v63, 0x3f2aaada
	v_ldexp_f32 v63, v60, 1
	v_sub_f32_e32 v60, v60, v61
	s_delay_alu instid0(VALU_DEP_4) | instskip(NEXT) | instid1(VALU_DEP_3)
	s_or_b32 s1, s1, s51
	v_mul_f32_e32 v62, v64, v62
	v_mul_f32_e32 v64, 0x3f317218, v57
	s_delay_alu instid0(VALU_DEP_2) | instskip(NEXT) | instid1(VALU_DEP_1)
	v_dual_sub_f32 v58, v58, v60 :: v_dual_add_f32 v61, v63, v62
	v_ldexp_f32 v58, v58, 1
	s_delay_alu instid0(VALU_DEP_2) | instskip(NEXT) | instid1(VALU_DEP_4)
	v_sub_f32_e32 v60, v61, v63
	v_fma_f32 v63, 0x3f317218, v57, -v64
	s_delay_alu instid0(VALU_DEP_1) | instskip(NEXT) | instid1(VALU_DEP_1)
	v_dual_sub_f32 v60, v62, v60 :: v_dual_fmamk_f32 v57, v57, 0xb102e308, v63
	v_add_f32_e32 v58, v58, v60
	s_delay_alu instid0(VALU_DEP_2) | instskip(NEXT) | instid1(VALU_DEP_2)
	v_add_f32_e32 v60, v64, v57
	v_add_f32_e32 v62, v61, v58
	s_delay_alu instid0(VALU_DEP_2) | instskip(NEXT) | instid1(VALU_DEP_2)
	v_sub_f32_e32 v64, v60, v64
	v_add_f32_e32 v63, v60, v62
	v_sub_f32_e32 v61, v62, v61
	s_delay_alu instid0(VALU_DEP_3) | instskip(NEXT) | instid1(VALU_DEP_2)
	v_sub_f32_e32 v57, v57, v64
	v_dual_sub_f32 v65, v63, v60 :: v_dual_sub_f32 v58, v58, v61
	s_delay_alu instid0(VALU_DEP_1) | instskip(NEXT) | instid1(VALU_DEP_2)
	v_sub_f32_e32 v66, v63, v65
	v_dual_sub_f32 v61, v62, v65 :: v_dual_add_f32 v62, v57, v58
	s_delay_alu instid0(VALU_DEP_2) | instskip(NEXT) | instid1(VALU_DEP_1)
	v_sub_f32_e32 v60, v60, v66
	v_dual_add_f32 v60, v61, v60 :: v_dual_sub_f32 v61, v62, v57
	s_delay_alu instid0(VALU_DEP_1) | instskip(NEXT) | instid1(VALU_DEP_2)
	v_add_f32_e32 v60, v62, v60
	v_sub_f32_e32 v62, v62, v61
	v_sub_f32_e32 v58, v58, v61
	s_delay_alu instid0(VALU_DEP_2) | instskip(NEXT) | instid1(VALU_DEP_1)
	v_dual_add_f32 v64, v63, v60 :: v_dual_sub_f32 v57, v57, v62
	v_sub_f32_e32 v61, v64, v63
	s_delay_alu instid0(VALU_DEP_2) | instskip(NEXT) | instid1(VALU_DEP_2)
	v_add_f32_e32 v57, v58, v57
	v_sub_f32_e32 v58, v60, v61
	s_delay_alu instid0(VALU_DEP_1) | instskip(NEXT) | instid1(VALU_DEP_1)
	v_add_f32_e32 v57, v57, v58
	v_add_f32_e32 v57, v64, v57
	s_delay_alu instid0(VALU_DEP_1) | instskip(NEXT) | instid1(VALU_DEP_1)
	v_cndmask_b32_e64 v57, v57, v59, s1
	v_add_f32_e32 v57, v56, v57
.LBB491_102:
	s_or_b32 exec_lo, exec_lo, s50
	s_delay_alu instid0(VALU_DEP_1) | instskip(SKIP_1) | instid1(VALU_DEP_2)
	v_bfe_u32 v56, v57, 16, 1
	v_cmp_o_f32_e64 s1, v57, v57
	v_add3_u32 v56, v57, v56, 0x7fff
	s_delay_alu instid0(VALU_DEP_1) | instskip(NEXT) | instid1(VALU_DEP_1)
	v_lshrrev_b32_e32 v56, 16, v56
	v_cndmask_b32_e64 v56, 0x7fc0, v56, s1
	s_delay_alu instid0(VALU_DEP_1)
	v_and_b32_e32 v57, 0xffff, v56
.LBB491_103:
	s_or_b32 exec_lo, exec_lo, s49
	s_delay_alu instid0(VALU_DEP_1)
	v_mov_b32_dpp v58, v57 row_shr:8 row_mask:0xf bank_mask:0xf
	s_mov_b32 s49, exec_lo
	v_cmpx_lt_u32_e32 7, v55
	s_cbranch_execz .LBB491_107
; %bb.104:
	s_delay_alu instid0(VALU_DEP_2) | instskip(NEXT) | instid1(VALU_DEP_1)
	v_lshlrev_b32_e32 v56, 16, v58
	v_dual_max_f32 v58, v56, v56 :: v_dual_lshlrev_b32 v55, 16, v57
	s_delay_alu instid0(VALU_DEP_1) | instskip(SKIP_1) | instid1(VALU_DEP_2)
	v_max_f32_e32 v57, v55, v55
	v_cmp_u_f32_e64 s1, v56, v56
	v_min_f32_e32 v59, v58, v57
	v_max_f32_e32 v57, v58, v57
	s_delay_alu instid0(VALU_DEP_2) | instskip(NEXT) | instid1(VALU_DEP_2)
	v_cndmask_b32_e64 v58, v59, v56, s1
	v_cndmask_b32_e64 v59, v57, v56, s1
	v_cmp_u_f32_e64 s1, v55, v55
	s_delay_alu instid0(VALU_DEP_1) | instskip(NEXT) | instid1(VALU_DEP_3)
	v_cndmask_b32_e64 v57, v58, v55, s1
	v_cndmask_b32_e64 v55, v59, v55, s1
	s_delay_alu instid0(VALU_DEP_2) | instskip(NEXT) | instid1(VALU_DEP_2)
	v_cmp_class_f32_e64 s50, v57, 0x1f8
	v_cmp_neq_f32_e64 s1, v57, v55
	s_delay_alu instid0(VALU_DEP_1) | instskip(NEXT) | instid1(SALU_CYCLE_1)
	s_or_b32 s1, s1, s50
	s_and_saveexec_b32 s50, s1
	s_cbranch_execz .LBB491_106
; %bb.105:
	v_sub_f32_e32 v56, v57, v55
	s_delay_alu instid0(VALU_DEP_1) | instskip(SKIP_1) | instid1(VALU_DEP_2)
	v_mul_f32_e32 v57, 0x3fb8aa3b, v56
	v_cmp_ngt_f32_e64 s1, 0xc2ce8ed0, v56
	v_fma_f32 v58, 0x3fb8aa3b, v56, -v57
	v_rndne_f32_e32 v59, v57
	s_delay_alu instid0(VALU_DEP_1) | instskip(NEXT) | instid1(VALU_DEP_1)
	v_dual_fmamk_f32 v58, v56, 0x32a5705f, v58 :: v_dual_sub_f32 v57, v57, v59
	v_add_f32_e32 v57, v57, v58
	v_cvt_i32_f32_e32 v58, v59
	s_delay_alu instid0(VALU_DEP_2) | instskip(SKIP_2) | instid1(VALU_DEP_1)
	v_exp_f32_e32 v57, v57
	s_waitcnt_depctr 0xfff
	v_ldexp_f32 v57, v57, v58
	v_cndmask_b32_e64 v57, 0, v57, s1
	v_cmp_nlt_f32_e64 s1, 0x42b17218, v56
	s_delay_alu instid0(VALU_DEP_1) | instskip(NEXT) | instid1(VALU_DEP_1)
	v_cndmask_b32_e64 v58, 0x7f800000, v57, s1
	v_add_f32_e32 v59, 1.0, v58
	v_cmp_gt_f32_e64 s51, 0x33800000, |v58|
	s_delay_alu instid0(VALU_DEP_2) | instskip(NEXT) | instid1(VALU_DEP_1)
	v_cvt_f64_f32_e32 v[56:57], v59
	v_frexp_exp_i32_f64_e32 v56, v[56:57]
	v_frexp_mant_f32_e32 v57, v59
	s_delay_alu instid0(VALU_DEP_1) | instskip(SKIP_1) | instid1(VALU_DEP_1)
	v_cmp_gt_f32_e64 s1, 0x3f2aaaab, v57
	v_add_f32_e32 v57, -1.0, v59
	v_sub_f32_e32 v61, v57, v59
	v_sub_f32_e32 v57, v58, v57
	s_delay_alu instid0(VALU_DEP_4) | instskip(SKIP_1) | instid1(VALU_DEP_1)
	v_subrev_co_ci_u32_e64 v56, s1, 0, v56, s1
	s_mov_b32 s1, 0x3e9b6dac
	v_sub_nc_u32_e32 v60, 0, v56
	v_cvt_f32_i32_e32 v56, v56
	s_delay_alu instid0(VALU_DEP_2) | instskip(NEXT) | instid1(VALU_DEP_1)
	v_ldexp_f32 v59, v59, v60
	v_dual_add_f32 v62, 1.0, v59 :: v_dual_add_f32 v61, 1.0, v61
	s_delay_alu instid0(VALU_DEP_1) | instskip(NEXT) | instid1(VALU_DEP_2)
	v_add_f32_e32 v57, v57, v61
	v_add_f32_e32 v61, -1.0, v62
	s_delay_alu instid0(VALU_DEP_2) | instskip(NEXT) | instid1(VALU_DEP_2)
	v_ldexp_f32 v57, v57, v60
	v_dual_add_f32 v60, -1.0, v59 :: v_dual_sub_f32 v61, v59, v61
	s_delay_alu instid0(VALU_DEP_1) | instskip(NEXT) | instid1(VALU_DEP_2)
	v_add_f32_e32 v63, 1.0, v60
	v_add_f32_e32 v61, v57, v61
	s_delay_alu instid0(VALU_DEP_2) | instskip(NEXT) | instid1(VALU_DEP_2)
	v_sub_f32_e32 v59, v59, v63
	v_add_f32_e32 v63, v62, v61
	s_delay_alu instid0(VALU_DEP_2) | instskip(NEXT) | instid1(VALU_DEP_2)
	v_add_f32_e32 v57, v57, v59
	v_rcp_f32_e32 v59, v63
	v_sub_f32_e32 v62, v62, v63
	s_delay_alu instid0(VALU_DEP_1) | instskip(NEXT) | instid1(VALU_DEP_1)
	v_dual_add_f32 v64, v60, v57 :: v_dual_add_f32 v61, v61, v62
	v_sub_f32_e32 v60, v60, v64
	s_waitcnt_depctr 0xfff
	v_mul_f32_e32 v65, v64, v59
	s_delay_alu instid0(VALU_DEP_1) | instskip(NEXT) | instid1(VALU_DEP_1)
	v_dual_add_f32 v57, v57, v60 :: v_dual_mul_f32 v66, v63, v65
	v_fma_f32 v62, v65, v63, -v66
	s_delay_alu instid0(VALU_DEP_1) | instskip(NEXT) | instid1(VALU_DEP_1)
	v_fmac_f32_e32 v62, v65, v61
	v_add_f32_e32 v67, v66, v62
	s_delay_alu instid0(VALU_DEP_1) | instskip(SKIP_1) | instid1(VALU_DEP_2)
	v_sub_f32_e32 v68, v64, v67
	v_sub_f32_e32 v60, v67, v66
	v_sub_f32_e32 v64, v64, v68
	s_delay_alu instid0(VALU_DEP_2) | instskip(NEXT) | instid1(VALU_DEP_2)
	v_sub_f32_e32 v60, v60, v62
	v_sub_f32_e32 v64, v64, v67
	s_delay_alu instid0(VALU_DEP_1) | instskip(NEXT) | instid1(VALU_DEP_1)
	v_add_f32_e32 v57, v57, v64
	v_add_f32_e32 v57, v60, v57
	s_delay_alu instid0(VALU_DEP_1) | instskip(NEXT) | instid1(VALU_DEP_1)
	v_add_f32_e32 v60, v68, v57
	v_mul_f32_e32 v62, v59, v60
	s_delay_alu instid0(VALU_DEP_1) | instskip(NEXT) | instid1(VALU_DEP_1)
	v_dual_sub_f32 v67, v68, v60 :: v_dual_mul_f32 v64, v63, v62
	v_add_f32_e32 v57, v57, v67
	s_delay_alu instid0(VALU_DEP_2) | instskip(NEXT) | instid1(VALU_DEP_1)
	v_fma_f32 v63, v62, v63, -v64
	v_fmac_f32_e32 v63, v62, v61
	s_delay_alu instid0(VALU_DEP_1) | instskip(NEXT) | instid1(VALU_DEP_1)
	v_add_f32_e32 v61, v64, v63
	v_sub_f32_e32 v66, v60, v61
	v_sub_f32_e32 v64, v61, v64
	s_delay_alu instid0(VALU_DEP_2) | instskip(NEXT) | instid1(VALU_DEP_1)
	v_sub_f32_e32 v60, v60, v66
	v_sub_f32_e32 v60, v60, v61
	s_delay_alu instid0(VALU_DEP_3) | instskip(NEXT) | instid1(VALU_DEP_2)
	v_sub_f32_e32 v61, v64, v63
	v_add_f32_e32 v57, v57, v60
	v_add_f32_e32 v60, v65, v62
	s_delay_alu instid0(VALU_DEP_2) | instskip(NEXT) | instid1(VALU_DEP_2)
	v_add_f32_e32 v57, v61, v57
	v_sub_f32_e32 v61, v60, v65
	s_delay_alu instid0(VALU_DEP_2) | instskip(NEXT) | instid1(VALU_DEP_2)
	v_add_f32_e32 v57, v66, v57
	v_sub_f32_e32 v61, v62, v61
	s_delay_alu instid0(VALU_DEP_2) | instskip(NEXT) | instid1(VALU_DEP_1)
	v_mul_f32_e32 v57, v59, v57
	v_add_f32_e32 v57, v61, v57
	s_delay_alu instid0(VALU_DEP_1) | instskip(NEXT) | instid1(VALU_DEP_1)
	v_add_f32_e32 v59, v60, v57
	v_mul_f32_e32 v61, v59, v59
	s_delay_alu instid0(VALU_DEP_1) | instskip(SKIP_2) | instid1(VALU_DEP_3)
	v_fmaak_f32 v62, s1, v61, 0x3ecc95a3
	v_mul_f32_e32 v63, v59, v61
	v_cmp_eq_f32_e64 s1, 0x7f800000, v58
	v_fmaak_f32 v61, v61, v62, 0x3f2aaada
	v_ldexp_f32 v62, v59, 1
	v_sub_f32_e32 v59, v59, v60
	s_delay_alu instid0(VALU_DEP_4) | instskip(NEXT) | instid1(VALU_DEP_3)
	s_or_b32 s1, s1, s51
	v_mul_f32_e32 v61, v63, v61
	v_mul_f32_e32 v63, 0x3f317218, v56
	s_delay_alu instid0(VALU_DEP_2) | instskip(NEXT) | instid1(VALU_DEP_1)
	v_dual_sub_f32 v57, v57, v59 :: v_dual_add_f32 v60, v62, v61
	v_ldexp_f32 v57, v57, 1
	s_delay_alu instid0(VALU_DEP_2) | instskip(NEXT) | instid1(VALU_DEP_4)
	v_sub_f32_e32 v59, v60, v62
	v_fma_f32 v62, 0x3f317218, v56, -v63
	s_delay_alu instid0(VALU_DEP_1) | instskip(NEXT) | instid1(VALU_DEP_1)
	v_dual_sub_f32 v59, v61, v59 :: v_dual_fmamk_f32 v56, v56, 0xb102e308, v62
	v_add_f32_e32 v57, v57, v59
	s_delay_alu instid0(VALU_DEP_2) | instskip(NEXT) | instid1(VALU_DEP_2)
	v_add_f32_e32 v59, v63, v56
	v_add_f32_e32 v61, v60, v57
	s_delay_alu instid0(VALU_DEP_2) | instskip(NEXT) | instid1(VALU_DEP_2)
	v_sub_f32_e32 v63, v59, v63
	v_add_f32_e32 v62, v59, v61
	v_sub_f32_e32 v60, v61, v60
	s_delay_alu instid0(VALU_DEP_3) | instskip(NEXT) | instid1(VALU_DEP_2)
	v_sub_f32_e32 v56, v56, v63
	v_dual_sub_f32 v64, v62, v59 :: v_dual_sub_f32 v57, v57, v60
	s_delay_alu instid0(VALU_DEP_1) | instskip(NEXT) | instid1(VALU_DEP_2)
	v_sub_f32_e32 v65, v62, v64
	v_dual_sub_f32 v60, v61, v64 :: v_dual_add_f32 v61, v56, v57
	s_delay_alu instid0(VALU_DEP_2) | instskip(NEXT) | instid1(VALU_DEP_1)
	v_sub_f32_e32 v59, v59, v65
	v_dual_add_f32 v59, v60, v59 :: v_dual_sub_f32 v60, v61, v56
	s_delay_alu instid0(VALU_DEP_1) | instskip(NEXT) | instid1(VALU_DEP_2)
	v_add_f32_e32 v59, v61, v59
	v_sub_f32_e32 v61, v61, v60
	v_sub_f32_e32 v57, v57, v60
	s_delay_alu instid0(VALU_DEP_2) | instskip(NEXT) | instid1(VALU_DEP_1)
	v_dual_add_f32 v63, v62, v59 :: v_dual_sub_f32 v56, v56, v61
	v_sub_f32_e32 v60, v63, v62
	s_delay_alu instid0(VALU_DEP_2) | instskip(NEXT) | instid1(VALU_DEP_2)
	v_add_f32_e32 v56, v57, v56
	v_sub_f32_e32 v57, v59, v60
	s_delay_alu instid0(VALU_DEP_1) | instskip(NEXT) | instid1(VALU_DEP_1)
	v_add_f32_e32 v56, v56, v57
	v_add_f32_e32 v56, v63, v56
	s_delay_alu instid0(VALU_DEP_1) | instskip(NEXT) | instid1(VALU_DEP_1)
	v_cndmask_b32_e64 v56, v56, v58, s1
	v_add_f32_e32 v56, v55, v56
.LBB491_106:
	s_or_b32 exec_lo, exec_lo, s50
	s_delay_alu instid0(VALU_DEP_1) | instskip(SKIP_1) | instid1(VALU_DEP_2)
	v_bfe_u32 v55, v56, 16, 1
	v_cmp_o_f32_e64 s1, v56, v56
	v_add3_u32 v55, v56, v55, 0x7fff
	s_delay_alu instid0(VALU_DEP_1) | instskip(NEXT) | instid1(VALU_DEP_1)
	v_lshrrev_b32_e32 v55, 16, v55
	v_cndmask_b32_e64 v56, 0x7fc0, v55, s1
	s_delay_alu instid0(VALU_DEP_1)
	v_and_b32_e32 v57, 0xffff, v56
.LBB491_107:
	s_or_b32 exec_lo, exec_lo, s49
	ds_swizzle_b32 v55, v57 offset:swizzle(BROADCAST,32,15)
	v_and_b32_e32 v58, 16, v54
	s_mov_b32 s49, exec_lo
	s_delay_alu instid0(VALU_DEP_1)
	v_cmpx_ne_u32_e32 0, v58
	s_cbranch_execz .LBB491_111
; %bb.108:
	s_waitcnt lgkmcnt(0)
	v_lshlrev_b32_e32 v56, 16, v55
	s_delay_alu instid0(VALU_DEP_1) | instskip(NEXT) | instid1(VALU_DEP_1)
	v_dual_max_f32 v57, v56, v56 :: v_dual_lshlrev_b32 v58, 16, v57
	v_max_f32_e32 v55, v58, v58
	v_cmp_u_f32_e64 s1, v56, v56
	s_delay_alu instid0(VALU_DEP_2) | instskip(SKIP_1) | instid1(VALU_DEP_2)
	v_min_f32_e32 v59, v57, v55
	v_max_f32_e32 v55, v57, v55
	v_cndmask_b32_e64 v57, v59, v56, s1
	s_delay_alu instid0(VALU_DEP_2) | instskip(SKIP_1) | instid1(VALU_DEP_1)
	v_cndmask_b32_e64 v55, v55, v56, s1
	v_cmp_u_f32_e64 s1, v58, v58
	v_cndmask_b32_e64 v57, v57, v58, s1
	s_delay_alu instid0(VALU_DEP_3) | instskip(NEXT) | instid1(VALU_DEP_2)
	v_cndmask_b32_e64 v55, v55, v58, s1
	v_cmp_class_f32_e64 s50, v57, 0x1f8
	s_delay_alu instid0(VALU_DEP_2) | instskip(NEXT) | instid1(VALU_DEP_1)
	v_cmp_neq_f32_e64 s1, v57, v55
	s_or_b32 s1, s1, s50
	s_delay_alu instid0(SALU_CYCLE_1)
	s_and_saveexec_b32 s50, s1
	s_cbranch_execz .LBB491_110
; %bb.109:
	v_sub_f32_e32 v56, v57, v55
	s_delay_alu instid0(VALU_DEP_1) | instskip(SKIP_1) | instid1(VALU_DEP_2)
	v_mul_f32_e32 v57, 0x3fb8aa3b, v56
	v_cmp_ngt_f32_e64 s1, 0xc2ce8ed0, v56
	v_fma_f32 v58, 0x3fb8aa3b, v56, -v57
	v_rndne_f32_e32 v59, v57
	s_delay_alu instid0(VALU_DEP_1) | instskip(NEXT) | instid1(VALU_DEP_1)
	v_dual_fmamk_f32 v58, v56, 0x32a5705f, v58 :: v_dual_sub_f32 v57, v57, v59
	v_add_f32_e32 v57, v57, v58
	v_cvt_i32_f32_e32 v58, v59
	s_delay_alu instid0(VALU_DEP_2) | instskip(SKIP_2) | instid1(VALU_DEP_1)
	v_exp_f32_e32 v57, v57
	s_waitcnt_depctr 0xfff
	v_ldexp_f32 v57, v57, v58
	v_cndmask_b32_e64 v57, 0, v57, s1
	v_cmp_nlt_f32_e64 s1, 0x42b17218, v56
	s_delay_alu instid0(VALU_DEP_1) | instskip(NEXT) | instid1(VALU_DEP_1)
	v_cndmask_b32_e64 v58, 0x7f800000, v57, s1
	v_add_f32_e32 v59, 1.0, v58
	v_cmp_gt_f32_e64 s51, 0x33800000, |v58|
	s_delay_alu instid0(VALU_DEP_2) | instskip(NEXT) | instid1(VALU_DEP_1)
	v_cvt_f64_f32_e32 v[56:57], v59
	v_frexp_exp_i32_f64_e32 v56, v[56:57]
	v_frexp_mant_f32_e32 v57, v59
	s_delay_alu instid0(VALU_DEP_1) | instskip(SKIP_1) | instid1(VALU_DEP_1)
	v_cmp_gt_f32_e64 s1, 0x3f2aaaab, v57
	v_add_f32_e32 v57, -1.0, v59
	v_sub_f32_e32 v61, v57, v59
	v_sub_f32_e32 v57, v58, v57
	s_delay_alu instid0(VALU_DEP_4) | instskip(SKIP_1) | instid1(VALU_DEP_1)
	v_subrev_co_ci_u32_e64 v56, s1, 0, v56, s1
	s_mov_b32 s1, 0x3e9b6dac
	v_sub_nc_u32_e32 v60, 0, v56
	v_cvt_f32_i32_e32 v56, v56
	s_delay_alu instid0(VALU_DEP_2) | instskip(NEXT) | instid1(VALU_DEP_1)
	v_ldexp_f32 v59, v59, v60
	v_dual_add_f32 v62, 1.0, v59 :: v_dual_add_f32 v61, 1.0, v61
	s_delay_alu instid0(VALU_DEP_1) | instskip(NEXT) | instid1(VALU_DEP_2)
	v_add_f32_e32 v57, v57, v61
	v_add_f32_e32 v61, -1.0, v62
	s_delay_alu instid0(VALU_DEP_2) | instskip(NEXT) | instid1(VALU_DEP_2)
	v_ldexp_f32 v57, v57, v60
	v_dual_add_f32 v60, -1.0, v59 :: v_dual_sub_f32 v61, v59, v61
	s_delay_alu instid0(VALU_DEP_1) | instskip(NEXT) | instid1(VALU_DEP_2)
	v_add_f32_e32 v63, 1.0, v60
	v_add_f32_e32 v61, v57, v61
	s_delay_alu instid0(VALU_DEP_2) | instskip(NEXT) | instid1(VALU_DEP_2)
	v_sub_f32_e32 v59, v59, v63
	v_add_f32_e32 v63, v62, v61
	s_delay_alu instid0(VALU_DEP_2) | instskip(NEXT) | instid1(VALU_DEP_2)
	v_add_f32_e32 v57, v57, v59
	v_rcp_f32_e32 v59, v63
	v_sub_f32_e32 v62, v62, v63
	s_delay_alu instid0(VALU_DEP_1) | instskip(NEXT) | instid1(VALU_DEP_1)
	v_dual_add_f32 v64, v60, v57 :: v_dual_add_f32 v61, v61, v62
	v_sub_f32_e32 v60, v60, v64
	s_waitcnt_depctr 0xfff
	v_mul_f32_e32 v65, v64, v59
	s_delay_alu instid0(VALU_DEP_1) | instskip(NEXT) | instid1(VALU_DEP_1)
	v_dual_add_f32 v57, v57, v60 :: v_dual_mul_f32 v66, v63, v65
	v_fma_f32 v62, v65, v63, -v66
	s_delay_alu instid0(VALU_DEP_1) | instskip(NEXT) | instid1(VALU_DEP_1)
	v_fmac_f32_e32 v62, v65, v61
	v_add_f32_e32 v67, v66, v62
	s_delay_alu instid0(VALU_DEP_1) | instskip(SKIP_1) | instid1(VALU_DEP_2)
	v_sub_f32_e32 v68, v64, v67
	v_sub_f32_e32 v60, v67, v66
	;; [unrolled: 1-line block ×3, first 2 shown]
	s_delay_alu instid0(VALU_DEP_2) | instskip(NEXT) | instid1(VALU_DEP_2)
	v_sub_f32_e32 v60, v60, v62
	v_sub_f32_e32 v64, v64, v67
	s_delay_alu instid0(VALU_DEP_1) | instskip(NEXT) | instid1(VALU_DEP_1)
	v_add_f32_e32 v57, v57, v64
	v_add_f32_e32 v57, v60, v57
	s_delay_alu instid0(VALU_DEP_1) | instskip(NEXT) | instid1(VALU_DEP_1)
	v_add_f32_e32 v60, v68, v57
	v_mul_f32_e32 v62, v59, v60
	s_delay_alu instid0(VALU_DEP_1) | instskip(NEXT) | instid1(VALU_DEP_1)
	v_dual_sub_f32 v67, v68, v60 :: v_dual_mul_f32 v64, v63, v62
	v_add_f32_e32 v57, v57, v67
	s_delay_alu instid0(VALU_DEP_2) | instskip(NEXT) | instid1(VALU_DEP_1)
	v_fma_f32 v63, v62, v63, -v64
	v_fmac_f32_e32 v63, v62, v61
	s_delay_alu instid0(VALU_DEP_1) | instskip(NEXT) | instid1(VALU_DEP_1)
	v_add_f32_e32 v61, v64, v63
	v_sub_f32_e32 v66, v60, v61
	v_sub_f32_e32 v64, v61, v64
	s_delay_alu instid0(VALU_DEP_2) | instskip(NEXT) | instid1(VALU_DEP_1)
	v_sub_f32_e32 v60, v60, v66
	v_sub_f32_e32 v60, v60, v61
	s_delay_alu instid0(VALU_DEP_3) | instskip(NEXT) | instid1(VALU_DEP_2)
	v_sub_f32_e32 v61, v64, v63
	v_add_f32_e32 v57, v57, v60
	v_add_f32_e32 v60, v65, v62
	s_delay_alu instid0(VALU_DEP_2) | instskip(NEXT) | instid1(VALU_DEP_2)
	v_add_f32_e32 v57, v61, v57
	v_sub_f32_e32 v61, v60, v65
	s_delay_alu instid0(VALU_DEP_2) | instskip(NEXT) | instid1(VALU_DEP_2)
	v_add_f32_e32 v57, v66, v57
	v_sub_f32_e32 v61, v62, v61
	s_delay_alu instid0(VALU_DEP_2) | instskip(NEXT) | instid1(VALU_DEP_1)
	v_mul_f32_e32 v57, v59, v57
	v_add_f32_e32 v57, v61, v57
	s_delay_alu instid0(VALU_DEP_1) | instskip(NEXT) | instid1(VALU_DEP_1)
	v_add_f32_e32 v59, v60, v57
	v_mul_f32_e32 v61, v59, v59
	s_delay_alu instid0(VALU_DEP_1) | instskip(SKIP_2) | instid1(VALU_DEP_3)
	v_fmaak_f32 v62, s1, v61, 0x3ecc95a3
	v_mul_f32_e32 v63, v59, v61
	v_cmp_eq_f32_e64 s1, 0x7f800000, v58
	v_fmaak_f32 v61, v61, v62, 0x3f2aaada
	v_ldexp_f32 v62, v59, 1
	v_sub_f32_e32 v59, v59, v60
	s_delay_alu instid0(VALU_DEP_4) | instskip(NEXT) | instid1(VALU_DEP_3)
	s_or_b32 s1, s1, s51
	v_mul_f32_e32 v61, v63, v61
	v_mul_f32_e32 v63, 0x3f317218, v56
	s_delay_alu instid0(VALU_DEP_2) | instskip(NEXT) | instid1(VALU_DEP_1)
	v_dual_sub_f32 v57, v57, v59 :: v_dual_add_f32 v60, v62, v61
	v_ldexp_f32 v57, v57, 1
	s_delay_alu instid0(VALU_DEP_2) | instskip(NEXT) | instid1(VALU_DEP_4)
	v_sub_f32_e32 v59, v60, v62
	v_fma_f32 v62, 0x3f317218, v56, -v63
	s_delay_alu instid0(VALU_DEP_1) | instskip(NEXT) | instid1(VALU_DEP_1)
	v_dual_sub_f32 v59, v61, v59 :: v_dual_fmamk_f32 v56, v56, 0xb102e308, v62
	v_add_f32_e32 v57, v57, v59
	s_delay_alu instid0(VALU_DEP_2) | instskip(NEXT) | instid1(VALU_DEP_2)
	v_add_f32_e32 v59, v63, v56
	v_add_f32_e32 v61, v60, v57
	s_delay_alu instid0(VALU_DEP_2) | instskip(NEXT) | instid1(VALU_DEP_2)
	v_sub_f32_e32 v63, v59, v63
	v_add_f32_e32 v62, v59, v61
	v_sub_f32_e32 v60, v61, v60
	s_delay_alu instid0(VALU_DEP_3) | instskip(NEXT) | instid1(VALU_DEP_2)
	v_sub_f32_e32 v56, v56, v63
	v_dual_sub_f32 v64, v62, v59 :: v_dual_sub_f32 v57, v57, v60
	s_delay_alu instid0(VALU_DEP_1) | instskip(NEXT) | instid1(VALU_DEP_2)
	v_sub_f32_e32 v65, v62, v64
	v_dual_sub_f32 v60, v61, v64 :: v_dual_add_f32 v61, v56, v57
	s_delay_alu instid0(VALU_DEP_2) | instskip(NEXT) | instid1(VALU_DEP_1)
	v_sub_f32_e32 v59, v59, v65
	v_dual_add_f32 v59, v60, v59 :: v_dual_sub_f32 v60, v61, v56
	s_delay_alu instid0(VALU_DEP_1) | instskip(NEXT) | instid1(VALU_DEP_2)
	v_add_f32_e32 v59, v61, v59
	v_sub_f32_e32 v61, v61, v60
	v_sub_f32_e32 v57, v57, v60
	s_delay_alu instid0(VALU_DEP_2) | instskip(NEXT) | instid1(VALU_DEP_1)
	v_dual_add_f32 v63, v62, v59 :: v_dual_sub_f32 v56, v56, v61
	v_sub_f32_e32 v60, v63, v62
	s_delay_alu instid0(VALU_DEP_2) | instskip(NEXT) | instid1(VALU_DEP_2)
	v_add_f32_e32 v56, v57, v56
	v_sub_f32_e32 v57, v59, v60
	s_delay_alu instid0(VALU_DEP_1) | instskip(NEXT) | instid1(VALU_DEP_1)
	v_add_f32_e32 v56, v56, v57
	v_add_f32_e32 v56, v63, v56
	s_delay_alu instid0(VALU_DEP_1) | instskip(NEXT) | instid1(VALU_DEP_1)
	v_cndmask_b32_e64 v56, v56, v58, s1
	v_add_f32_e32 v56, v55, v56
.LBB491_110:
	s_or_b32 exec_lo, exec_lo, s50
	s_delay_alu instid0(VALU_DEP_1) | instskip(SKIP_1) | instid1(VALU_DEP_2)
	v_bfe_u32 v55, v56, 16, 1
	v_cmp_o_f32_e64 s1, v56, v56
	v_add3_u32 v55, v56, v55, 0x7fff
	s_delay_alu instid0(VALU_DEP_1) | instskip(NEXT) | instid1(VALU_DEP_1)
	v_lshrrev_b32_e32 v55, 16, v55
	v_cndmask_b32_e64 v56, 0x7fc0, v55, s1
.LBB491_111:
	s_or_b32 exec_lo, exec_lo, s49
	s_waitcnt lgkmcnt(0)
	v_add_nc_u32_e32 v55, -1, v54
	s_delay_alu instid0(VALU_DEP_1) | instskip(NEXT) | instid1(VALU_DEP_1)
	v_cmp_gt_i32_e64 s1, 0, v55
	v_cndmask_b32_e64 v54, v55, v54, s1
	v_and_b32_e32 v55, 0xffff, v56
	s_delay_alu instid0(VALU_DEP_2) | instskip(SKIP_3) | instid1(VALU_DEP_1)
	v_lshlrev_b32_e32 v54, 2, v54
	ds_bpermute_b32 v54, v54, v55
	s_waitcnt lgkmcnt(0)
	v_lshlrev_b32_e32 v54, 16, v54
	v_max_f32_e32 v55, v54, v54
	v_cmp_u_f32_e64 s1, v54, v54
	s_delay_alu instid0(VALU_DEP_2) | instskip(SKIP_1) | instid1(VALU_DEP_2)
	v_min_f32_e32 v56, v55, v53
	v_max_f32_e32 v53, v55, v53
	v_cndmask_b32_e64 v55, v56, v54, s1
	s_delay_alu instid0(VALU_DEP_2) | instskip(NEXT) | instid1(VALU_DEP_2)
	v_cndmask_b32_e64 v56, v53, v54, s1
	v_cndmask_b32_e64 v53, v55, v52, s0
	s_delay_alu instid0(VALU_DEP_2) | instskip(NEXT) | instid1(VALU_DEP_2)
	v_cndmask_b32_e64 v52, v56, v52, s0
	v_cmp_class_f32_e64 s1, v53, 0x1f8
	s_delay_alu instid0(VALU_DEP_2) | instskip(NEXT) | instid1(VALU_DEP_1)
	v_cmp_neq_f32_e64 s0, v53, v52
	s_or_b32 s0, s0, s1
	s_delay_alu instid0(SALU_CYCLE_1)
	s_and_saveexec_b32 s1, s0
	s_cbranch_execz .LBB491_113
; %bb.112:
	v_sub_f32_e32 v53, v53, v52
	s_delay_alu instid0(VALU_DEP_1) | instskip(NEXT) | instid1(VALU_DEP_1)
	v_mul_f32_e32 v54, 0x3fb8aa3b, v53
	v_fma_f32 v55, 0x3fb8aa3b, v53, -v54
	v_rndne_f32_e32 v56, v54
	s_delay_alu instid0(VALU_DEP_1) | instskip(NEXT) | instid1(VALU_DEP_1)
	v_dual_fmamk_f32 v55, v53, 0x32a5705f, v55 :: v_dual_sub_f32 v54, v54, v56
	v_add_f32_e32 v54, v54, v55
	v_cvt_i32_f32_e32 v55, v56
	v_cmp_ngt_f32_e64 s0, 0xc2ce8ed0, v53
	s_delay_alu instid0(VALU_DEP_3) | instskip(SKIP_2) | instid1(VALU_DEP_1)
	v_exp_f32_e32 v54, v54
	s_waitcnt_depctr 0xfff
	v_ldexp_f32 v54, v54, v55
	v_cndmask_b32_e64 v54, 0, v54, s0
	v_cmp_nlt_f32_e64 s0, 0x42b17218, v53
	s_delay_alu instid0(VALU_DEP_1) | instskip(NEXT) | instid1(VALU_DEP_1)
	v_cndmask_b32_e64 v55, 0x7f800000, v54, s0
	v_add_f32_e32 v56, 1.0, v55
	v_cmp_gt_f32_e64 s49, 0x33800000, |v55|
	s_delay_alu instid0(VALU_DEP_2) | instskip(NEXT) | instid1(VALU_DEP_1)
	v_cvt_f64_f32_e32 v[53:54], v56
	v_frexp_exp_i32_f64_e32 v53, v[53:54]
	v_frexp_mant_f32_e32 v54, v56
	s_delay_alu instid0(VALU_DEP_1) | instskip(SKIP_1) | instid1(VALU_DEP_1)
	v_cmp_gt_f32_e64 s0, 0x3f2aaaab, v54
	v_add_f32_e32 v54, -1.0, v56
	v_sub_f32_e32 v58, v54, v56
	s_delay_alu instid0(VALU_DEP_3) | instskip(SKIP_1) | instid1(VALU_DEP_1)
	v_subrev_co_ci_u32_e64 v53, s0, 0, v53, s0
	s_mov_b32 s0, 0x3e9b6dac
	v_sub_nc_u32_e32 v57, 0, v53
	v_cvt_f32_i32_e32 v53, v53
	s_delay_alu instid0(VALU_DEP_2) | instskip(NEXT) | instid1(VALU_DEP_1)
	v_ldexp_f32 v56, v56, v57
	v_dual_sub_f32 v54, v55, v54 :: v_dual_add_f32 v59, 1.0, v56
	v_add_f32_e32 v58, 1.0, v58
	s_delay_alu instid0(VALU_DEP_1) | instskip(NEXT) | instid1(VALU_DEP_3)
	v_add_f32_e32 v54, v54, v58
	v_add_f32_e32 v58, -1.0, v59
	s_delay_alu instid0(VALU_DEP_2) | instskip(NEXT) | instid1(VALU_DEP_2)
	v_ldexp_f32 v54, v54, v57
	v_dual_add_f32 v57, -1.0, v56 :: v_dual_sub_f32 v58, v56, v58
	s_delay_alu instid0(VALU_DEP_1) | instskip(NEXT) | instid1(VALU_DEP_2)
	v_add_f32_e32 v60, 1.0, v57
	v_add_f32_e32 v58, v54, v58
	s_delay_alu instid0(VALU_DEP_2) | instskip(NEXT) | instid1(VALU_DEP_2)
	v_sub_f32_e32 v56, v56, v60
	v_add_f32_e32 v60, v59, v58
	s_delay_alu instid0(VALU_DEP_2) | instskip(NEXT) | instid1(VALU_DEP_2)
	v_add_f32_e32 v54, v54, v56
	v_rcp_f32_e32 v56, v60
	v_sub_f32_e32 v59, v59, v60
	s_delay_alu instid0(VALU_DEP_1) | instskip(NEXT) | instid1(VALU_DEP_1)
	v_dual_add_f32 v61, v57, v54 :: v_dual_add_f32 v58, v58, v59
	v_sub_f32_e32 v57, v57, v61
	s_waitcnt_depctr 0xfff
	v_mul_f32_e32 v62, v61, v56
	s_delay_alu instid0(VALU_DEP_1) | instskip(NEXT) | instid1(VALU_DEP_1)
	v_dual_add_f32 v54, v54, v57 :: v_dual_mul_f32 v63, v60, v62
	v_fma_f32 v59, v62, v60, -v63
	s_delay_alu instid0(VALU_DEP_1) | instskip(NEXT) | instid1(VALU_DEP_1)
	v_fmac_f32_e32 v59, v62, v58
	v_add_f32_e32 v64, v63, v59
	s_delay_alu instid0(VALU_DEP_1) | instskip(SKIP_1) | instid1(VALU_DEP_2)
	v_sub_f32_e32 v65, v61, v64
	v_sub_f32_e32 v57, v64, v63
	;; [unrolled: 1-line block ×3, first 2 shown]
	s_delay_alu instid0(VALU_DEP_2) | instskip(NEXT) | instid1(VALU_DEP_2)
	v_sub_f32_e32 v57, v57, v59
	v_sub_f32_e32 v61, v61, v64
	s_delay_alu instid0(VALU_DEP_1) | instskip(NEXT) | instid1(VALU_DEP_1)
	v_add_f32_e32 v54, v54, v61
	v_add_f32_e32 v54, v57, v54
	s_delay_alu instid0(VALU_DEP_1) | instskip(NEXT) | instid1(VALU_DEP_1)
	v_add_f32_e32 v57, v65, v54
	v_mul_f32_e32 v59, v56, v57
	s_delay_alu instid0(VALU_DEP_1) | instskip(NEXT) | instid1(VALU_DEP_1)
	v_dual_sub_f32 v64, v65, v57 :: v_dual_mul_f32 v61, v60, v59
	v_add_f32_e32 v54, v54, v64
	s_delay_alu instid0(VALU_DEP_2) | instskip(NEXT) | instid1(VALU_DEP_1)
	v_fma_f32 v60, v59, v60, -v61
	v_fmac_f32_e32 v60, v59, v58
	s_delay_alu instid0(VALU_DEP_1) | instskip(NEXT) | instid1(VALU_DEP_1)
	v_add_f32_e32 v58, v61, v60
	v_sub_f32_e32 v63, v57, v58
	v_sub_f32_e32 v61, v58, v61
	s_delay_alu instid0(VALU_DEP_2) | instskip(NEXT) | instid1(VALU_DEP_1)
	v_sub_f32_e32 v57, v57, v63
	v_sub_f32_e32 v57, v57, v58
	s_delay_alu instid0(VALU_DEP_3) | instskip(NEXT) | instid1(VALU_DEP_2)
	v_sub_f32_e32 v58, v61, v60
	v_add_f32_e32 v54, v54, v57
	v_add_f32_e32 v57, v62, v59
	s_delay_alu instid0(VALU_DEP_2) | instskip(NEXT) | instid1(VALU_DEP_2)
	v_add_f32_e32 v54, v58, v54
	v_sub_f32_e32 v58, v57, v62
	s_delay_alu instid0(VALU_DEP_2) | instskip(NEXT) | instid1(VALU_DEP_2)
	v_add_f32_e32 v54, v63, v54
	v_sub_f32_e32 v58, v59, v58
	s_delay_alu instid0(VALU_DEP_2) | instskip(NEXT) | instid1(VALU_DEP_1)
	v_mul_f32_e32 v54, v56, v54
	v_add_f32_e32 v54, v58, v54
	s_delay_alu instid0(VALU_DEP_1) | instskip(NEXT) | instid1(VALU_DEP_1)
	v_add_f32_e32 v56, v57, v54
	v_mul_f32_e32 v58, v56, v56
	s_delay_alu instid0(VALU_DEP_1) | instskip(SKIP_2) | instid1(VALU_DEP_3)
	v_fmaak_f32 v59, s0, v58, 0x3ecc95a3
	v_mul_f32_e32 v60, v56, v58
	v_cmp_eq_f32_e64 s0, 0x7f800000, v55
	v_fmaak_f32 v58, v58, v59, 0x3f2aaada
	v_ldexp_f32 v59, v56, 1
	v_sub_f32_e32 v56, v56, v57
	s_delay_alu instid0(VALU_DEP_4) | instskip(NEXT) | instid1(VALU_DEP_3)
	s_or_b32 s0, s0, s49
	v_mul_f32_e32 v58, v60, v58
	v_mul_f32_e32 v60, 0x3f317218, v53
	s_delay_alu instid0(VALU_DEP_2) | instskip(NEXT) | instid1(VALU_DEP_1)
	v_dual_sub_f32 v54, v54, v56 :: v_dual_add_f32 v57, v59, v58
	v_ldexp_f32 v54, v54, 1
	s_delay_alu instid0(VALU_DEP_2) | instskip(NEXT) | instid1(VALU_DEP_4)
	v_sub_f32_e32 v56, v57, v59
	v_fma_f32 v59, 0x3f317218, v53, -v60
	s_delay_alu instid0(VALU_DEP_1) | instskip(NEXT) | instid1(VALU_DEP_1)
	v_dual_sub_f32 v56, v58, v56 :: v_dual_fmamk_f32 v53, v53, 0xb102e308, v59
	v_add_f32_e32 v54, v54, v56
	s_delay_alu instid0(VALU_DEP_2) | instskip(NEXT) | instid1(VALU_DEP_2)
	v_add_f32_e32 v56, v60, v53
	v_add_f32_e32 v58, v57, v54
	s_delay_alu instid0(VALU_DEP_2) | instskip(NEXT) | instid1(VALU_DEP_2)
	v_sub_f32_e32 v60, v56, v60
	v_add_f32_e32 v59, v56, v58
	v_sub_f32_e32 v57, v58, v57
	s_delay_alu instid0(VALU_DEP_3) | instskip(NEXT) | instid1(VALU_DEP_2)
	v_sub_f32_e32 v53, v53, v60
	v_dual_sub_f32 v61, v59, v56 :: v_dual_sub_f32 v54, v54, v57
	s_delay_alu instid0(VALU_DEP_1) | instskip(NEXT) | instid1(VALU_DEP_2)
	v_sub_f32_e32 v62, v59, v61
	v_dual_sub_f32 v57, v58, v61 :: v_dual_add_f32 v58, v53, v54
	s_delay_alu instid0(VALU_DEP_2) | instskip(NEXT) | instid1(VALU_DEP_1)
	v_sub_f32_e32 v56, v56, v62
	v_dual_add_f32 v56, v57, v56 :: v_dual_sub_f32 v57, v58, v53
	s_delay_alu instid0(VALU_DEP_1) | instskip(NEXT) | instid1(VALU_DEP_2)
	v_add_f32_e32 v56, v58, v56
	v_sub_f32_e32 v58, v58, v57
	v_sub_f32_e32 v54, v54, v57
	s_delay_alu instid0(VALU_DEP_2) | instskip(NEXT) | instid1(VALU_DEP_1)
	v_dual_add_f32 v60, v59, v56 :: v_dual_sub_f32 v53, v53, v58
	v_sub_f32_e32 v57, v60, v59
	s_delay_alu instid0(VALU_DEP_2) | instskip(NEXT) | instid1(VALU_DEP_2)
	v_add_f32_e32 v53, v54, v53
	v_sub_f32_e32 v54, v56, v57
	s_delay_alu instid0(VALU_DEP_1) | instskip(NEXT) | instid1(VALU_DEP_1)
	v_add_f32_e32 v53, v53, v54
	v_add_f32_e32 v53, v60, v53
	s_delay_alu instid0(VALU_DEP_1) | instskip(NEXT) | instid1(VALU_DEP_1)
	v_cndmask_b32_e64 v53, v53, v55, s0
	v_add_f32_e32 v54, v52, v53
.LBB491_113:
	s_or_b32 exec_lo, exec_lo, s1
	s_delay_alu instid0(VALU_DEP_1) | instskip(SKIP_1) | instid1(VALU_DEP_2)
	v_bfe_u32 v52, v54, 16, 1
	v_cmp_o_f32_e64 s0, v54, v54
	; wave barrier
	v_add3_u32 v52, v54, v52, 0x7fff
	s_delay_alu instid0(VALU_DEP_1) | instskip(NEXT) | instid1(VALU_DEP_1)
	v_lshrrev_b32_e32 v52, 16, v52
	v_cndmask_b32_e64 v52, 0x7fc0, v52, s0
	v_cmp_eq_u32_e64 s0, 0, v0
	s_delay_alu instid0(VALU_DEP_1)
	v_cndmask_b32_e64 v52, v52, v51, s0
	ds_store_b16 v50, v52
	; wave barrier
	ds_load_u16 v54, v50 offset:2
	v_lshlrev_b32_e32 v53, 16, v52
	s_waitcnt lgkmcnt(0)
	v_lshlrev_b32_e32 v52, 16, v54
	s_delay_alu instid0(VALU_DEP_1) | instskip(NEXT) | instid1(VALU_DEP_1)
	v_dual_max_f32 v54, v53, v53 :: v_dual_max_f32 v55, v52, v52
	v_min_f32_e32 v56, v54, v55
	v_max_f32_e32 v54, v54, v55
	v_cmp_u_f32_e64 s0, v53, v53
	s_delay_alu instid0(VALU_DEP_1) | instskip(NEXT) | instid1(VALU_DEP_3)
	v_cndmask_b32_e64 v55, v56, v53, s0
	v_cndmask_b32_e64 v56, v54, v53, s0
	v_cmp_u_f32_e64 s0, v52, v52
	s_delay_alu instid0(VALU_DEP_1) | instskip(NEXT) | instid1(VALU_DEP_3)
	v_cndmask_b32_e64 v54, v55, v52, s0
	v_cndmask_b32_e64 v52, v56, v52, s0
	s_delay_alu instid0(VALU_DEP_2) | instskip(NEXT) | instid1(VALU_DEP_2)
	v_cmp_class_f32_e64 s1, v54, 0x1f8
	v_cmp_neq_f32_e64 s0, v54, v52
	s_delay_alu instid0(VALU_DEP_1) | instskip(NEXT) | instid1(SALU_CYCLE_1)
	s_or_b32 s0, s0, s1
	s_and_saveexec_b32 s1, s0
	s_cbranch_execz .LBB491_115
; %bb.114:
	v_sub_f32_e32 v53, v54, v52
	s_delay_alu instid0(VALU_DEP_1) | instskip(SKIP_1) | instid1(VALU_DEP_2)
	v_mul_f32_e32 v54, 0x3fb8aa3b, v53
	v_cmp_ngt_f32_e64 s0, 0xc2ce8ed0, v53
	v_fma_f32 v55, 0x3fb8aa3b, v53, -v54
	v_rndne_f32_e32 v56, v54
	s_delay_alu instid0(VALU_DEP_1) | instskip(NEXT) | instid1(VALU_DEP_1)
	v_dual_fmamk_f32 v55, v53, 0x32a5705f, v55 :: v_dual_sub_f32 v54, v54, v56
	v_add_f32_e32 v54, v54, v55
	v_cvt_i32_f32_e32 v55, v56
	s_delay_alu instid0(VALU_DEP_2) | instskip(SKIP_2) | instid1(VALU_DEP_1)
	v_exp_f32_e32 v54, v54
	s_waitcnt_depctr 0xfff
	v_ldexp_f32 v54, v54, v55
	v_cndmask_b32_e64 v54, 0, v54, s0
	v_cmp_nlt_f32_e64 s0, 0x42b17218, v53
	s_delay_alu instid0(VALU_DEP_1) | instskip(NEXT) | instid1(VALU_DEP_1)
	v_cndmask_b32_e64 v55, 0x7f800000, v54, s0
	v_add_f32_e32 v56, 1.0, v55
	v_cmp_gt_f32_e64 s49, 0x33800000, |v55|
	s_delay_alu instid0(VALU_DEP_2) | instskip(NEXT) | instid1(VALU_DEP_1)
	v_cvt_f64_f32_e32 v[53:54], v56
	v_frexp_exp_i32_f64_e32 v53, v[53:54]
	v_frexp_mant_f32_e32 v54, v56
	s_delay_alu instid0(VALU_DEP_1) | instskip(SKIP_1) | instid1(VALU_DEP_1)
	v_cmp_gt_f32_e64 s0, 0x3f2aaaab, v54
	v_add_f32_e32 v54, -1.0, v56
	v_sub_f32_e32 v58, v54, v56
	v_sub_f32_e32 v54, v55, v54
	s_delay_alu instid0(VALU_DEP_4) | instskip(SKIP_1) | instid1(VALU_DEP_1)
	v_subrev_co_ci_u32_e64 v53, s0, 0, v53, s0
	s_mov_b32 s0, 0x3e9b6dac
	v_sub_nc_u32_e32 v57, 0, v53
	v_cvt_f32_i32_e32 v53, v53
	s_delay_alu instid0(VALU_DEP_2) | instskip(NEXT) | instid1(VALU_DEP_1)
	v_ldexp_f32 v56, v56, v57
	v_dual_add_f32 v59, 1.0, v56 :: v_dual_add_f32 v58, 1.0, v58
	s_delay_alu instid0(VALU_DEP_1) | instskip(NEXT) | instid1(VALU_DEP_2)
	v_add_f32_e32 v54, v54, v58
	v_add_f32_e32 v58, -1.0, v59
	s_delay_alu instid0(VALU_DEP_2) | instskip(NEXT) | instid1(VALU_DEP_2)
	v_ldexp_f32 v54, v54, v57
	v_dual_add_f32 v57, -1.0, v56 :: v_dual_sub_f32 v58, v56, v58
	s_delay_alu instid0(VALU_DEP_1) | instskip(NEXT) | instid1(VALU_DEP_2)
	v_add_f32_e32 v60, 1.0, v57
	v_add_f32_e32 v58, v54, v58
	s_delay_alu instid0(VALU_DEP_2) | instskip(NEXT) | instid1(VALU_DEP_2)
	v_sub_f32_e32 v56, v56, v60
	v_add_f32_e32 v60, v59, v58
	s_delay_alu instid0(VALU_DEP_2) | instskip(NEXT) | instid1(VALU_DEP_2)
	v_add_f32_e32 v54, v54, v56
	v_rcp_f32_e32 v56, v60
	v_sub_f32_e32 v59, v59, v60
	s_delay_alu instid0(VALU_DEP_1) | instskip(NEXT) | instid1(VALU_DEP_1)
	v_dual_add_f32 v61, v57, v54 :: v_dual_add_f32 v58, v58, v59
	v_sub_f32_e32 v57, v57, v61
	s_waitcnt_depctr 0xfff
	v_mul_f32_e32 v62, v61, v56
	s_delay_alu instid0(VALU_DEP_1) | instskip(NEXT) | instid1(VALU_DEP_1)
	v_dual_add_f32 v54, v54, v57 :: v_dual_mul_f32 v63, v60, v62
	v_fma_f32 v59, v62, v60, -v63
	s_delay_alu instid0(VALU_DEP_1) | instskip(NEXT) | instid1(VALU_DEP_1)
	v_fmac_f32_e32 v59, v62, v58
	v_add_f32_e32 v64, v63, v59
	s_delay_alu instid0(VALU_DEP_1) | instskip(SKIP_1) | instid1(VALU_DEP_2)
	v_sub_f32_e32 v65, v61, v64
	v_sub_f32_e32 v57, v64, v63
	;; [unrolled: 1-line block ×3, first 2 shown]
	s_delay_alu instid0(VALU_DEP_2) | instskip(NEXT) | instid1(VALU_DEP_2)
	v_sub_f32_e32 v57, v57, v59
	v_sub_f32_e32 v61, v61, v64
	s_delay_alu instid0(VALU_DEP_1) | instskip(NEXT) | instid1(VALU_DEP_1)
	v_add_f32_e32 v54, v54, v61
	v_add_f32_e32 v54, v57, v54
	s_delay_alu instid0(VALU_DEP_1) | instskip(NEXT) | instid1(VALU_DEP_1)
	v_add_f32_e32 v57, v65, v54
	v_mul_f32_e32 v59, v56, v57
	s_delay_alu instid0(VALU_DEP_1) | instskip(NEXT) | instid1(VALU_DEP_1)
	v_dual_sub_f32 v64, v65, v57 :: v_dual_mul_f32 v61, v60, v59
	v_add_f32_e32 v54, v54, v64
	s_delay_alu instid0(VALU_DEP_2) | instskip(NEXT) | instid1(VALU_DEP_1)
	v_fma_f32 v60, v59, v60, -v61
	v_fmac_f32_e32 v60, v59, v58
	s_delay_alu instid0(VALU_DEP_1) | instskip(NEXT) | instid1(VALU_DEP_1)
	v_add_f32_e32 v58, v61, v60
	v_sub_f32_e32 v63, v57, v58
	v_sub_f32_e32 v61, v58, v61
	s_delay_alu instid0(VALU_DEP_2) | instskip(NEXT) | instid1(VALU_DEP_1)
	v_sub_f32_e32 v57, v57, v63
	v_sub_f32_e32 v57, v57, v58
	s_delay_alu instid0(VALU_DEP_3) | instskip(NEXT) | instid1(VALU_DEP_2)
	v_sub_f32_e32 v58, v61, v60
	v_add_f32_e32 v54, v54, v57
	v_add_f32_e32 v57, v62, v59
	s_delay_alu instid0(VALU_DEP_2) | instskip(NEXT) | instid1(VALU_DEP_2)
	v_add_f32_e32 v54, v58, v54
	v_sub_f32_e32 v58, v57, v62
	s_delay_alu instid0(VALU_DEP_2) | instskip(NEXT) | instid1(VALU_DEP_2)
	v_add_f32_e32 v54, v63, v54
	v_sub_f32_e32 v58, v59, v58
	s_delay_alu instid0(VALU_DEP_2) | instskip(NEXT) | instid1(VALU_DEP_1)
	v_mul_f32_e32 v54, v56, v54
	v_add_f32_e32 v54, v58, v54
	s_delay_alu instid0(VALU_DEP_1) | instskip(NEXT) | instid1(VALU_DEP_1)
	v_add_f32_e32 v56, v57, v54
	v_mul_f32_e32 v58, v56, v56
	s_delay_alu instid0(VALU_DEP_1) | instskip(SKIP_2) | instid1(VALU_DEP_3)
	v_fmaak_f32 v59, s0, v58, 0x3ecc95a3
	v_mul_f32_e32 v60, v56, v58
	v_cmp_eq_f32_e64 s0, 0x7f800000, v55
	v_fmaak_f32 v58, v58, v59, 0x3f2aaada
	v_ldexp_f32 v59, v56, 1
	v_sub_f32_e32 v56, v56, v57
	s_delay_alu instid0(VALU_DEP_4) | instskip(NEXT) | instid1(VALU_DEP_3)
	s_or_b32 s0, s0, s49
	v_mul_f32_e32 v58, v60, v58
	v_mul_f32_e32 v60, 0x3f317218, v53
	s_delay_alu instid0(VALU_DEP_2) | instskip(NEXT) | instid1(VALU_DEP_1)
	v_dual_sub_f32 v54, v54, v56 :: v_dual_add_f32 v57, v59, v58
	v_ldexp_f32 v54, v54, 1
	s_delay_alu instid0(VALU_DEP_2) | instskip(NEXT) | instid1(VALU_DEP_4)
	v_sub_f32_e32 v56, v57, v59
	v_fma_f32 v59, 0x3f317218, v53, -v60
	s_delay_alu instid0(VALU_DEP_1) | instskip(NEXT) | instid1(VALU_DEP_1)
	v_dual_sub_f32 v56, v58, v56 :: v_dual_fmamk_f32 v53, v53, 0xb102e308, v59
	v_add_f32_e32 v54, v54, v56
	s_delay_alu instid0(VALU_DEP_2) | instskip(NEXT) | instid1(VALU_DEP_2)
	v_add_f32_e32 v56, v60, v53
	v_add_f32_e32 v58, v57, v54
	s_delay_alu instid0(VALU_DEP_2) | instskip(NEXT) | instid1(VALU_DEP_2)
	v_sub_f32_e32 v60, v56, v60
	v_add_f32_e32 v59, v56, v58
	v_sub_f32_e32 v57, v58, v57
	s_delay_alu instid0(VALU_DEP_3) | instskip(NEXT) | instid1(VALU_DEP_2)
	v_sub_f32_e32 v53, v53, v60
	v_dual_sub_f32 v61, v59, v56 :: v_dual_sub_f32 v54, v54, v57
	s_delay_alu instid0(VALU_DEP_1) | instskip(NEXT) | instid1(VALU_DEP_2)
	v_sub_f32_e32 v62, v59, v61
	v_dual_sub_f32 v57, v58, v61 :: v_dual_add_f32 v58, v53, v54
	s_delay_alu instid0(VALU_DEP_2) | instskip(NEXT) | instid1(VALU_DEP_1)
	v_sub_f32_e32 v56, v56, v62
	v_dual_add_f32 v56, v57, v56 :: v_dual_sub_f32 v57, v58, v53
	s_delay_alu instid0(VALU_DEP_1) | instskip(NEXT) | instid1(VALU_DEP_2)
	v_add_f32_e32 v56, v58, v56
	v_sub_f32_e32 v58, v58, v57
	v_sub_f32_e32 v54, v54, v57
	s_delay_alu instid0(VALU_DEP_2) | instskip(NEXT) | instid1(VALU_DEP_1)
	v_dual_add_f32 v60, v59, v56 :: v_dual_sub_f32 v53, v53, v58
	v_sub_f32_e32 v57, v60, v59
	s_delay_alu instid0(VALU_DEP_2) | instskip(NEXT) | instid1(VALU_DEP_2)
	v_add_f32_e32 v53, v54, v53
	v_sub_f32_e32 v54, v56, v57
	s_delay_alu instid0(VALU_DEP_1) | instskip(NEXT) | instid1(VALU_DEP_1)
	v_add_f32_e32 v53, v53, v54
	v_add_f32_e32 v53, v60, v53
	s_delay_alu instid0(VALU_DEP_1) | instskip(NEXT) | instid1(VALU_DEP_1)
	v_cndmask_b32_e64 v53, v53, v55, s0
	v_add_f32_e32 v53, v52, v53
.LBB491_115:
	s_or_b32 exec_lo, exec_lo, s1
	s_delay_alu instid0(VALU_DEP_1) | instskip(SKIP_1) | instid1(VALU_DEP_2)
	v_bfe_u32 v52, v53, 16, 1
	v_cmp_o_f32_e64 s0, v53, v53
	v_add3_u32 v52, v53, v52, 0x7fff
	s_delay_alu instid0(VALU_DEP_1) | instskip(NEXT) | instid1(VALU_DEP_1)
	v_lshrrev_b32_e32 v52, 16, v52
	v_cndmask_b32_e64 v52, 0x7fc0, v52, s0
	ds_store_b16 v50, v52 offset:2
.LBB491_116:
	s_or_b32 exec_lo, exec_lo, s48
	v_mul_u32_u24_e32 v50, 42, v0
	v_cmp_ne_u32_e64 s0, 0, v0
	s_waitcnt lgkmcnt(0)
	s_barrier
	buffer_gl0_inv
	s_and_saveexec_b32 s1, s0
	s_cbranch_execz .LBB491_118
; %bb.117:
	v_add_nc_u32_e32 v51, -1, v0
	s_delay_alu instid0(VALU_DEP_1) | instskip(NEXT) | instid1(VALU_DEP_1)
	v_lshrrev_b32_e32 v52, 5, v51
	v_add_lshl_u32 v51, v52, v51, 1
	ds_load_u16 v51, v51
.LBB491_118:
	s_or_b32 exec_lo, exec_lo, s1
	s_and_saveexec_b32 s1, s0
	s_cbranch_execz .LBB491_122
; %bb.119:
	s_waitcnt lgkmcnt(0)
	v_lshlrev_b32_e32 v47, 16, v51
	s_delay_alu instid0(VALU_DEP_1) | instskip(NEXT) | instid1(VALU_DEP_1)
	v_max_f32_e32 v2, v47, v47
	v_min_f32_e32 v48, v2, v49
	v_max_f32_e32 v2, v2, v49
	v_cmp_u_f32_e64 s0, v47, v47
	s_delay_alu instid0(VALU_DEP_1) | instskip(NEXT) | instid1(VALU_DEP_3)
	v_cndmask_b32_e64 v48, v48, v47, s0
	v_cndmask_b32_e64 v2, v2, v47, s0
	s_delay_alu instid0(VALU_DEP_2) | instskip(NEXT) | instid1(VALU_DEP_2)
	v_cndmask_b32_e64 v48, v48, v46, s45
	v_cndmask_b32_e64 v2, v2, v46, s45
	s_delay_alu instid0(VALU_DEP_2) | instskip(NEXT) | instid1(VALU_DEP_2)
	v_cmp_class_f32_e64 s45, v48, 0x1f8
	v_cmp_neq_f32_e64 s0, v48, v2
	s_delay_alu instid0(VALU_DEP_1) | instskip(NEXT) | instid1(SALU_CYCLE_1)
	s_or_b32 s0, s0, s45
	s_and_saveexec_b32 s45, s0
	s_cbranch_execz .LBB491_121
; %bb.120:
	v_sub_f32_e32 v46, v48, v2
	s_delay_alu instid0(VALU_DEP_1) | instskip(NEXT) | instid1(VALU_DEP_1)
	v_mul_f32_e32 v47, 0x3fb8aa3b, v46
	v_fma_f32 v48, 0x3fb8aa3b, v46, -v47
	v_rndne_f32_e32 v49, v47
	s_delay_alu instid0(VALU_DEP_1) | instskip(SKIP_1) | instid1(VALU_DEP_2)
	v_dual_sub_f32 v47, v47, v49 :: v_dual_fmamk_f32 v48, v46, 0x32a5705f, v48
	v_cmp_ngt_f32_e64 s0, 0xc2ce8ed0, v46
	v_add_f32_e32 v47, v47, v48
	v_cvt_i32_f32_e32 v48, v49
	s_delay_alu instid0(VALU_DEP_2) | instskip(SKIP_2) | instid1(VALU_DEP_1)
	v_exp_f32_e32 v47, v47
	s_waitcnt_depctr 0xfff
	v_ldexp_f32 v47, v47, v48
	v_cndmask_b32_e64 v47, 0, v47, s0
	v_cmp_nlt_f32_e64 s0, 0x42b17218, v46
	s_delay_alu instid0(VALU_DEP_1) | instskip(NEXT) | instid1(VALU_DEP_1)
	v_cndmask_b32_e64 v48, 0x7f800000, v47, s0
	v_add_f32_e32 v49, 1.0, v48
	v_cmp_gt_f32_e64 s48, 0x33800000, |v48|
	s_delay_alu instid0(VALU_DEP_2) | instskip(NEXT) | instid1(VALU_DEP_1)
	v_cvt_f64_f32_e32 v[46:47], v49
	v_frexp_exp_i32_f64_e32 v46, v[46:47]
	v_frexp_mant_f32_e32 v47, v49
	s_delay_alu instid0(VALU_DEP_1) | instskip(SKIP_1) | instid1(VALU_DEP_1)
	v_cmp_gt_f32_e64 s0, 0x3f2aaaab, v47
	v_add_f32_e32 v47, -1.0, v49
	v_dual_sub_f32 v52, v47, v49 :: v_dual_sub_f32 v47, v48, v47
	s_delay_alu instid0(VALU_DEP_1) | instskip(NEXT) | instid1(VALU_DEP_1)
	v_add_f32_e32 v52, 1.0, v52
	v_add_f32_e32 v47, v47, v52
	v_subrev_co_ci_u32_e64 v46, s0, 0, v46, s0
	s_mov_b32 s0, 0x3e9b6dac
	s_delay_alu instid0(VALU_DEP_1) | instskip(SKIP_1) | instid1(VALU_DEP_2)
	v_sub_nc_u32_e32 v51, 0, v46
	v_cvt_f32_i32_e32 v46, v46
	v_ldexp_f32 v49, v49, v51
	v_ldexp_f32 v47, v47, v51
	s_delay_alu instid0(VALU_DEP_2) | instskip(NEXT) | instid1(VALU_DEP_1)
	v_add_f32_e32 v53, 1.0, v49
	v_add_f32_e32 v52, -1.0, v53
	s_delay_alu instid0(VALU_DEP_1) | instskip(NEXT) | instid1(VALU_DEP_1)
	v_dual_sub_f32 v52, v49, v52 :: v_dual_add_f32 v51, -1.0, v49
	v_add_f32_e32 v52, v47, v52
	s_delay_alu instid0(VALU_DEP_2) | instskip(NEXT) | instid1(VALU_DEP_1)
	v_add_f32_e32 v54, 1.0, v51
	v_sub_f32_e32 v49, v49, v54
	s_delay_alu instid0(VALU_DEP_1) | instskip(NEXT) | instid1(VALU_DEP_1)
	v_dual_add_f32 v54, v53, v52 :: v_dual_add_f32 v47, v47, v49
	v_rcp_f32_e32 v49, v54
	v_sub_f32_e32 v53, v53, v54
	s_delay_alu instid0(VALU_DEP_1) | instskip(SKIP_2) | instid1(VALU_DEP_1)
	v_dual_add_f32 v55, v51, v47 :: v_dual_add_f32 v52, v52, v53
	s_waitcnt_depctr 0xfff
	v_mul_f32_e32 v56, v55, v49
	v_mul_f32_e32 v57, v54, v56
	s_delay_alu instid0(VALU_DEP_1) | instskip(NEXT) | instid1(VALU_DEP_1)
	v_fma_f32 v53, v56, v54, -v57
	v_fmac_f32_e32 v53, v56, v52
	s_delay_alu instid0(VALU_DEP_1) | instskip(NEXT) | instid1(VALU_DEP_1)
	v_dual_add_f32 v58, v57, v53 :: v_dual_sub_f32 v51, v51, v55
	v_sub_f32_e32 v59, v55, v58
	s_delay_alu instid0(VALU_DEP_2) | instskip(SKIP_1) | instid1(VALU_DEP_3)
	v_add_f32_e32 v47, v47, v51
	v_sub_f32_e32 v51, v58, v57
	v_sub_f32_e32 v55, v55, v59
	s_delay_alu instid0(VALU_DEP_2) | instskip(NEXT) | instid1(VALU_DEP_2)
	v_sub_f32_e32 v51, v51, v53
	v_sub_f32_e32 v55, v55, v58
	s_delay_alu instid0(VALU_DEP_1) | instskip(NEXT) | instid1(VALU_DEP_1)
	v_add_f32_e32 v47, v47, v55
	v_add_f32_e32 v47, v51, v47
	s_delay_alu instid0(VALU_DEP_1) | instskip(NEXT) | instid1(VALU_DEP_1)
	v_add_f32_e32 v51, v59, v47
	v_mul_f32_e32 v53, v49, v51
	s_delay_alu instid0(VALU_DEP_1) | instskip(NEXT) | instid1(VALU_DEP_1)
	v_mul_f32_e32 v55, v54, v53
	v_fma_f32 v54, v53, v54, -v55
	s_delay_alu instid0(VALU_DEP_1) | instskip(SKIP_1) | instid1(VALU_DEP_2)
	v_fmac_f32_e32 v54, v53, v52
	v_sub_f32_e32 v58, v59, v51
	v_add_f32_e32 v52, v55, v54
	s_delay_alu instid0(VALU_DEP_2) | instskip(NEXT) | instid1(VALU_DEP_2)
	v_add_f32_e32 v47, v47, v58
	v_sub_f32_e32 v57, v51, v52
	v_sub_f32_e32 v55, v52, v55
	s_delay_alu instid0(VALU_DEP_2) | instskip(NEXT) | instid1(VALU_DEP_1)
	v_sub_f32_e32 v51, v51, v57
	v_sub_f32_e32 v51, v51, v52
	s_delay_alu instid0(VALU_DEP_3) | instskip(NEXT) | instid1(VALU_DEP_2)
	v_sub_f32_e32 v52, v55, v54
	v_add_f32_e32 v47, v47, v51
	v_add_f32_e32 v51, v56, v53
	s_delay_alu instid0(VALU_DEP_1) | instskip(NEXT) | instid1(VALU_DEP_1)
	v_dual_add_f32 v47, v52, v47 :: v_dual_sub_f32 v52, v51, v56
	v_add_f32_e32 v47, v57, v47
	s_delay_alu instid0(VALU_DEP_2) | instskip(NEXT) | instid1(VALU_DEP_2)
	v_sub_f32_e32 v52, v53, v52
	v_mul_f32_e32 v47, v49, v47
	s_delay_alu instid0(VALU_DEP_1) | instskip(NEXT) | instid1(VALU_DEP_1)
	v_add_f32_e32 v47, v52, v47
	v_add_f32_e32 v49, v51, v47
	s_delay_alu instid0(VALU_DEP_1) | instskip(NEXT) | instid1(VALU_DEP_1)
	v_mul_f32_e32 v52, v49, v49
	v_fmaak_f32 v53, s0, v52, 0x3ecc95a3
	v_mul_f32_e32 v54, v49, v52
	v_cmp_eq_f32_e64 s0, 0x7f800000, v48
	s_delay_alu instid0(VALU_DEP_3) | instskip(SKIP_2) | instid1(VALU_DEP_4)
	v_fmaak_f32 v52, v52, v53, 0x3f2aaada
	v_ldexp_f32 v53, v49, 1
	v_sub_f32_e32 v49, v49, v51
	s_or_b32 s0, s0, s48
	s_delay_alu instid0(VALU_DEP_3) | instskip(NEXT) | instid1(VALU_DEP_2)
	v_mul_f32_e32 v52, v54, v52
	v_dual_mul_f32 v54, 0x3f317218, v46 :: v_dual_sub_f32 v47, v47, v49
	s_delay_alu instid0(VALU_DEP_2) | instskip(NEXT) | instid1(VALU_DEP_2)
	v_add_f32_e32 v51, v53, v52
	v_ldexp_f32 v47, v47, 1
	s_delay_alu instid0(VALU_DEP_2) | instskip(NEXT) | instid1(VALU_DEP_4)
	v_sub_f32_e32 v49, v51, v53
	v_fma_f32 v53, 0x3f317218, v46, -v54
	s_delay_alu instid0(VALU_DEP_1) | instskip(NEXT) | instid1(VALU_DEP_1)
	v_dual_sub_f32 v49, v52, v49 :: v_dual_fmamk_f32 v46, v46, 0xb102e308, v53
	v_add_f32_e32 v47, v47, v49
	s_delay_alu instid0(VALU_DEP_1) | instskip(NEXT) | instid1(VALU_DEP_1)
	v_dual_add_f32 v49, v54, v46 :: v_dual_add_f32 v52, v51, v47
	v_sub_f32_e32 v54, v49, v54
	s_delay_alu instid0(VALU_DEP_2) | instskip(NEXT) | instid1(VALU_DEP_2)
	v_add_f32_e32 v53, v49, v52
	v_dual_sub_f32 v51, v52, v51 :: v_dual_sub_f32 v46, v46, v54
	s_delay_alu instid0(VALU_DEP_2) | instskip(NEXT) | instid1(VALU_DEP_2)
	v_sub_f32_e32 v55, v53, v49
	v_sub_f32_e32 v47, v47, v51
	s_delay_alu instid0(VALU_DEP_2) | instskip(SKIP_1) | instid1(VALU_DEP_2)
	v_sub_f32_e32 v56, v53, v55
	v_sub_f32_e32 v51, v52, v55
	v_dual_add_f32 v52, v46, v47 :: v_dual_sub_f32 v49, v49, v56
	s_delay_alu instid0(VALU_DEP_1) | instskip(NEXT) | instid1(VALU_DEP_2)
	v_add_f32_e32 v49, v51, v49
	v_sub_f32_e32 v51, v52, v46
	s_delay_alu instid0(VALU_DEP_2) | instskip(NEXT) | instid1(VALU_DEP_2)
	v_add_f32_e32 v49, v52, v49
	v_sub_f32_e32 v52, v52, v51
	s_delay_alu instid0(VALU_DEP_2) | instskip(NEXT) | instid1(VALU_DEP_2)
	v_dual_sub_f32 v47, v47, v51 :: v_dual_add_f32 v54, v53, v49
	v_sub_f32_e32 v46, v46, v52
	s_delay_alu instid0(VALU_DEP_1) | instskip(NEXT) | instid1(VALU_DEP_1)
	v_dual_sub_f32 v51, v54, v53 :: v_dual_add_f32 v46, v47, v46
	v_sub_f32_e32 v47, v49, v51
	s_delay_alu instid0(VALU_DEP_1) | instskip(NEXT) | instid1(VALU_DEP_1)
	v_add_f32_e32 v46, v46, v47
	v_add_f32_e32 v46, v54, v46
	s_delay_alu instid0(VALU_DEP_1) | instskip(NEXT) | instid1(VALU_DEP_1)
	v_cndmask_b32_e64 v46, v46, v48, s0
	v_add_f32_e32 v47, v2, v46
.LBB491_121:
	s_or_b32 exec_lo, exec_lo, s45
	s_delay_alu instid0(VALU_DEP_1) | instskip(SKIP_2) | instid1(VALU_DEP_2)
	v_bfe_u32 v2, v47, 16, 1
	v_cmp_o_f32_e64 s0, v47, v47
	;;#ASMSTART
	;;#ASMEND
	v_add3_u32 v2, v47, v2, 0x7fff
	s_delay_alu instid0(VALU_DEP_1) | instskip(NEXT) | instid1(VALU_DEP_1)
	v_lshrrev_b32_e32 v2, 16, v2
	v_cndmask_b32_e64 v2, 0x7fc0, v2, s0
	s_delay_alu instid0(VALU_DEP_1) | instskip(NEXT) | instid1(VALU_DEP_1)
	v_lshlrev_b32_e32 v46, 16, v2
	v_max_f32_e32 v48, v46, v46
	s_delay_alu instid0(VALU_DEP_1)
	v_min_f32_e32 v47, v48, v17
	v_max_f32_e32 v48, v48, v17
.LBB491_122:
	s_or_b32 exec_lo, exec_lo, s1
	v_cmp_u_f32_e64 s0, v46, v46
	s_delay_alu instid0(VALU_DEP_1) | instskip(NEXT) | instid1(VALU_DEP_3)
	v_cndmask_b32_e64 v17, v47, v46, s0
	v_cndmask_b32_e64 v47, v48, v46, s0
	s_delay_alu instid0(VALU_DEP_2) | instskip(NEXT) | instid1(VALU_DEP_2)
	v_cndmask_b32_e64 v17, v17, v13, s23
	v_cndmask_b32_e64 v13, v47, v13, s23
	s_delay_alu instid0(VALU_DEP_2) | instskip(NEXT) | instid1(VALU_DEP_2)
	v_cmp_class_f32_e64 s1, v17, 0x1f8
	v_cmp_neq_f32_e64 s0, v17, v13
	s_delay_alu instid0(VALU_DEP_1) | instskip(NEXT) | instid1(SALU_CYCLE_1)
	s_or_b32 s0, s0, s1
	s_and_saveexec_b32 s1, s0
	s_cbranch_execz .LBB491_124
; %bb.123:
	v_sub_f32_e32 v17, v17, v13
	s_delay_alu instid0(VALU_DEP_1) | instskip(NEXT) | instid1(VALU_DEP_1)
	v_mul_f32_e32 v46, 0x3fb8aa3b, v17
	v_fma_f32 v47, 0x3fb8aa3b, v17, -v46
	v_rndne_f32_e32 v48, v46
	s_delay_alu instid0(VALU_DEP_1) | instskip(SKIP_1) | instid1(VALU_DEP_2)
	v_dual_sub_f32 v46, v46, v48 :: v_dual_fmamk_f32 v47, v17, 0x32a5705f, v47
	v_cmp_ngt_f32_e64 s0, 0xc2ce8ed0, v17
	v_add_f32_e32 v46, v46, v47
	v_cvt_i32_f32_e32 v47, v48
	s_delay_alu instid0(VALU_DEP_2) | instskip(SKIP_2) | instid1(VALU_DEP_1)
	v_exp_f32_e32 v46, v46
	s_waitcnt_depctr 0xfff
	v_ldexp_f32 v46, v46, v47
	v_cndmask_b32_e64 v46, 0, v46, s0
	v_cmp_nlt_f32_e64 s0, 0x42b17218, v17
	s_delay_alu instid0(VALU_DEP_1) | instskip(NEXT) | instid1(VALU_DEP_1)
	v_cndmask_b32_e64 v17, 0x7f800000, v46, s0
	v_add_f32_e32 v48, 1.0, v17
	v_cmp_gt_f32_e64 s23, 0x33800000, |v17|
	s_delay_alu instid0(VALU_DEP_2) | instskip(NEXT) | instid1(VALU_DEP_1)
	v_cvt_f64_f32_e32 v[46:47], v48
	v_frexp_exp_i32_f64_e32 v46, v[46:47]
	v_frexp_mant_f32_e32 v47, v48
	s_delay_alu instid0(VALU_DEP_1) | instskip(SKIP_2) | instid1(VALU_DEP_1)
	v_cmp_gt_f32_e64 s0, 0x3f2aaaab, v47
	v_add_f32_e32 v47, -1.0, v48
	s_waitcnt lgkmcnt(0)
	v_sub_f32_e32 v51, v47, v48
	s_delay_alu instid0(VALU_DEP_3) | instskip(SKIP_1) | instid1(VALU_DEP_1)
	v_subrev_co_ci_u32_e64 v46, s0, 0, v46, s0
	s_mov_b32 s0, 0x3e9b6dac
	v_sub_nc_u32_e32 v49, 0, v46
	v_cvt_f32_i32_e32 v46, v46
	s_delay_alu instid0(VALU_DEP_2) | instskip(SKIP_1) | instid1(VALU_DEP_2)
	v_ldexp_f32 v48, v48, v49
	v_sub_f32_e32 v47, v17, v47
	v_dual_add_f32 v51, 1.0, v51 :: v_dual_add_f32 v52, 1.0, v48
	s_delay_alu instid0(VALU_DEP_1) | instskip(NEXT) | instid1(VALU_DEP_1)
	v_add_f32_e32 v47, v47, v51
	v_ldexp_f32 v47, v47, v49
	v_add_f32_e32 v49, -1.0, v48
	s_delay_alu instid0(VALU_DEP_4) | instskip(NEXT) | instid1(VALU_DEP_2)
	v_add_f32_e32 v51, -1.0, v52
	v_add_f32_e32 v53, 1.0, v49
	s_delay_alu instid0(VALU_DEP_2) | instskip(NEXT) | instid1(VALU_DEP_1)
	v_sub_f32_e32 v51, v48, v51
	v_dual_sub_f32 v48, v48, v53 :: v_dual_add_f32 v51, v47, v51
	s_delay_alu instid0(VALU_DEP_1) | instskip(NEXT) | instid1(VALU_DEP_2)
	v_add_f32_e32 v47, v47, v48
	v_add_f32_e32 v53, v52, v51
	s_delay_alu instid0(VALU_DEP_2) | instskip(NEXT) | instid1(VALU_DEP_2)
	v_add_f32_e32 v54, v49, v47
	v_rcp_f32_e32 v48, v53
	v_sub_f32_e32 v52, v52, v53
	s_delay_alu instid0(VALU_DEP_1) | instskip(SKIP_2) | instid1(VALU_DEP_1)
	v_add_f32_e32 v51, v51, v52
	s_waitcnt_depctr 0xfff
	v_mul_f32_e32 v55, v54, v48
	v_mul_f32_e32 v56, v53, v55
	v_sub_f32_e32 v49, v49, v54
	s_delay_alu instid0(VALU_DEP_2) | instskip(NEXT) | instid1(VALU_DEP_2)
	v_fma_f32 v52, v55, v53, -v56
	v_add_f32_e32 v47, v47, v49
	s_delay_alu instid0(VALU_DEP_2) | instskip(NEXT) | instid1(VALU_DEP_1)
	v_fmac_f32_e32 v52, v55, v51
	v_add_f32_e32 v57, v56, v52
	s_delay_alu instid0(VALU_DEP_1) | instskip(NEXT) | instid1(VALU_DEP_1)
	v_dual_sub_f32 v58, v54, v57 :: v_dual_sub_f32 v49, v57, v56
	v_dual_sub_f32 v54, v54, v58 :: v_dual_sub_f32 v49, v49, v52
	s_delay_alu instid0(VALU_DEP_1) | instskip(NEXT) | instid1(VALU_DEP_1)
	v_sub_f32_e32 v54, v54, v57
	v_add_f32_e32 v47, v47, v54
	s_delay_alu instid0(VALU_DEP_1) | instskip(NEXT) | instid1(VALU_DEP_1)
	v_add_f32_e32 v47, v49, v47
	v_add_f32_e32 v49, v58, v47
	s_delay_alu instid0(VALU_DEP_1) | instskip(NEXT) | instid1(VALU_DEP_1)
	v_mul_f32_e32 v52, v48, v49
	v_dual_sub_f32 v57, v58, v49 :: v_dual_mul_f32 v54, v53, v52
	s_delay_alu instid0(VALU_DEP_1) | instskip(NEXT) | instid1(VALU_DEP_2)
	v_add_f32_e32 v47, v47, v57
	v_fma_f32 v53, v52, v53, -v54
	s_delay_alu instid0(VALU_DEP_1) | instskip(NEXT) | instid1(VALU_DEP_1)
	v_fmac_f32_e32 v53, v52, v51
	v_add_f32_e32 v51, v54, v53
	s_delay_alu instid0(VALU_DEP_1) | instskip(NEXT) | instid1(VALU_DEP_1)
	v_sub_f32_e32 v56, v49, v51
	v_dual_sub_f32 v54, v51, v54 :: v_dual_sub_f32 v49, v49, v56
	s_delay_alu instid0(VALU_DEP_1) | instskip(NEXT) | instid1(VALU_DEP_2)
	v_sub_f32_e32 v49, v49, v51
	v_sub_f32_e32 v51, v54, v53
	s_delay_alu instid0(VALU_DEP_2) | instskip(SKIP_1) | instid1(VALU_DEP_2)
	v_add_f32_e32 v47, v47, v49
	v_add_f32_e32 v49, v55, v52
	;; [unrolled: 1-line block ×3, first 2 shown]
	s_delay_alu instid0(VALU_DEP_2) | instskip(NEXT) | instid1(VALU_DEP_2)
	v_sub_f32_e32 v51, v49, v55
	v_add_f32_e32 v47, v56, v47
	s_delay_alu instid0(VALU_DEP_2) | instskip(NEXT) | instid1(VALU_DEP_2)
	v_sub_f32_e32 v51, v52, v51
	v_mul_f32_e32 v47, v48, v47
	s_delay_alu instid0(VALU_DEP_1) | instskip(NEXT) | instid1(VALU_DEP_1)
	v_add_f32_e32 v47, v51, v47
	v_add_f32_e32 v48, v49, v47
	s_delay_alu instid0(VALU_DEP_1) | instskip(NEXT) | instid1(VALU_DEP_1)
	v_mul_f32_e32 v51, v48, v48
	v_fmaak_f32 v52, s0, v51, 0x3ecc95a3
	v_mul_f32_e32 v53, v48, v51
	v_cmp_eq_f32_e64 s0, 0x7f800000, v17
	s_delay_alu instid0(VALU_DEP_3) | instskip(SKIP_2) | instid1(VALU_DEP_4)
	v_fmaak_f32 v51, v51, v52, 0x3f2aaada
	v_ldexp_f32 v52, v48, 1
	v_sub_f32_e32 v48, v48, v49
	s_or_b32 s0, s0, s23
	s_delay_alu instid0(VALU_DEP_3) | instskip(SKIP_1) | instid1(VALU_DEP_3)
	v_mul_f32_e32 v51, v53, v51
	v_mul_f32_e32 v53, 0x3f317218, v46
	v_sub_f32_e32 v47, v47, v48
	s_delay_alu instid0(VALU_DEP_3) | instskip(NEXT) | instid1(VALU_DEP_2)
	v_add_f32_e32 v49, v52, v51
	v_ldexp_f32 v47, v47, 1
	s_delay_alu instid0(VALU_DEP_2) | instskip(SKIP_1) | instid1(VALU_DEP_2)
	v_sub_f32_e32 v48, v49, v52
	v_fma_f32 v52, 0x3f317218, v46, -v53
	v_sub_f32_e32 v48, v51, v48
	s_delay_alu instid0(VALU_DEP_1) | instskip(NEXT) | instid1(VALU_DEP_1)
	v_dual_fmamk_f32 v46, v46, 0xb102e308, v52 :: v_dual_add_f32 v47, v47, v48
	v_add_f32_e32 v48, v53, v46
	s_delay_alu instid0(VALU_DEP_2) | instskip(NEXT) | instid1(VALU_DEP_2)
	v_add_f32_e32 v51, v49, v47
	v_sub_f32_e32 v53, v48, v53
	s_delay_alu instid0(VALU_DEP_2) | instskip(NEXT) | instid1(VALU_DEP_2)
	v_dual_add_f32 v52, v48, v51 :: v_dual_sub_f32 v49, v51, v49
	v_sub_f32_e32 v46, v46, v53
	s_delay_alu instid0(VALU_DEP_2) | instskip(NEXT) | instid1(VALU_DEP_1)
	v_dual_sub_f32 v54, v52, v48 :: v_dual_sub_f32 v47, v47, v49
	v_sub_f32_e32 v55, v52, v54
	v_sub_f32_e32 v49, v51, v54
	s_delay_alu instid0(VALU_DEP_3) | instskip(NEXT) | instid1(VALU_DEP_3)
	v_add_f32_e32 v51, v46, v47
	v_sub_f32_e32 v48, v48, v55
	s_delay_alu instid0(VALU_DEP_1) | instskip(NEXT) | instid1(VALU_DEP_1)
	v_dual_add_f32 v48, v49, v48 :: v_dual_sub_f32 v49, v51, v46
	v_add_f32_e32 v48, v51, v48
	s_delay_alu instid0(VALU_DEP_2) | instskip(SKIP_1) | instid1(VALU_DEP_2)
	v_sub_f32_e32 v51, v51, v49
	v_sub_f32_e32 v47, v47, v49
	v_dual_add_f32 v53, v52, v48 :: v_dual_sub_f32 v46, v46, v51
	s_delay_alu instid0(VALU_DEP_1) | instskip(NEXT) | instid1(VALU_DEP_1)
	v_dual_sub_f32 v49, v53, v52 :: v_dual_add_f32 v46, v47, v46
	v_sub_f32_e32 v47, v48, v49
	s_delay_alu instid0(VALU_DEP_1) | instskip(NEXT) | instid1(VALU_DEP_1)
	v_add_f32_e32 v46, v46, v47
	v_add_f32_e32 v46, v53, v46
	s_delay_alu instid0(VALU_DEP_1) | instskip(NEXT) | instid1(VALU_DEP_1)
	v_cndmask_b32_e64 v17, v46, v17, s0
	v_add_f32_e32 v46, v13, v17
.LBB491_124:
	s_or_b32 exec_lo, exec_lo, s1
	s_delay_alu instid0(VALU_DEP_1) | instskip(SKIP_1) | instid1(VALU_DEP_2)
	v_bfe_u32 v13, v46, 16, 1
	v_cmp_o_f32_e64 s0, v46, v46
	v_add3_u32 v13, v46, v13, 0x7fff
	s_delay_alu instid0(VALU_DEP_1) | instskip(NEXT) | instid1(VALU_DEP_1)
	v_lshrrev_b32_e32 v13, 16, v13
	v_cndmask_b32_e64 v13, 0x7fc0, v13, s0
	s_delay_alu instid0(VALU_DEP_1) | instskip(NEXT) | instid1(VALU_DEP_1)
	v_lshlrev_b32_e32 v17, 16, v13
	v_max_f32_e32 v46, v17, v17
	s_delay_alu instid0(VALU_DEP_1) | instskip(SKIP_2) | instid1(VALU_DEP_1)
	v_min_f32_e32 v47, v46, v16
	v_max_f32_e32 v16, v46, v16
	v_cmp_u_f32_e64 s0, v17, v17
	v_cndmask_b32_e64 v46, v47, v17, s0
	s_delay_alu instid0(VALU_DEP_3) | instskip(NEXT) | instid1(VALU_DEP_2)
	v_cndmask_b32_e64 v47, v16, v17, s0
	v_cndmask_b32_e64 v16, v46, v14, s24
	s_delay_alu instid0(VALU_DEP_2) | instskip(NEXT) | instid1(VALU_DEP_2)
	v_cndmask_b32_e64 v14, v47, v14, s24
	v_cmp_class_f32_e64 s1, v16, 0x1f8
	s_delay_alu instid0(VALU_DEP_2) | instskip(NEXT) | instid1(VALU_DEP_1)
	v_cmp_neq_f32_e64 s0, v16, v14
	s_or_b32 s0, s0, s1
	s_delay_alu instid0(SALU_CYCLE_1)
	s_and_saveexec_b32 s1, s0
	s_cbranch_execz .LBB491_126
; %bb.125:
	v_sub_f32_e32 v16, v16, v14
	s_delay_alu instid0(VALU_DEP_1) | instskip(NEXT) | instid1(VALU_DEP_1)
	v_mul_f32_e32 v17, 0x3fb8aa3b, v16
	v_fma_f32 v46, 0x3fb8aa3b, v16, -v17
	v_rndne_f32_e32 v47, v17
	s_delay_alu instid0(VALU_DEP_1) | instskip(SKIP_1) | instid1(VALU_DEP_2)
	v_dual_sub_f32 v17, v17, v47 :: v_dual_fmamk_f32 v46, v16, 0x32a5705f, v46
	v_cmp_ngt_f32_e64 s0, 0xc2ce8ed0, v16
	v_add_f32_e32 v17, v17, v46
	v_cvt_i32_f32_e32 v46, v47
	s_delay_alu instid0(VALU_DEP_2) | instskip(SKIP_2) | instid1(VALU_DEP_1)
	v_exp_f32_e32 v17, v17
	s_waitcnt_depctr 0xfff
	v_ldexp_f32 v17, v17, v46
	v_cndmask_b32_e64 v17, 0, v17, s0
	v_cmp_nlt_f32_e64 s0, 0x42b17218, v16
	s_delay_alu instid0(VALU_DEP_1) | instskip(NEXT) | instid1(VALU_DEP_1)
	v_cndmask_b32_e64 v46, 0x7f800000, v17, s0
	v_add_f32_e32 v47, 1.0, v46
	v_cmp_gt_f32_e64 s23, 0x33800000, |v46|
	s_delay_alu instid0(VALU_DEP_2) | instskip(NEXT) | instid1(VALU_DEP_1)
	v_cvt_f64_f32_e32 v[16:17], v47
	v_frexp_exp_i32_f64_e32 v16, v[16:17]
	v_frexp_mant_f32_e32 v17, v47
	s_delay_alu instid0(VALU_DEP_1) | instskip(SKIP_1) | instid1(VALU_DEP_1)
	v_cmp_gt_f32_e64 s0, 0x3f2aaaab, v17
	v_add_f32_e32 v17, -1.0, v47
	v_sub_f32_e32 v49, v17, v47
	v_sub_f32_e32 v17, v46, v17
	s_delay_alu instid0(VALU_DEP_2) | instskip(NEXT) | instid1(VALU_DEP_1)
	v_add_f32_e32 v49, 1.0, v49
	v_add_f32_e32 v17, v17, v49
	v_subrev_co_ci_u32_e64 v16, s0, 0, v16, s0
	s_mov_b32 s0, 0x3e9b6dac
	s_delay_alu instid0(VALU_DEP_1) | instskip(SKIP_1) | instid1(VALU_DEP_2)
	v_sub_nc_u32_e32 v48, 0, v16
	v_cvt_f32_i32_e32 v16, v16
	v_ldexp_f32 v47, v47, v48
	v_ldexp_f32 v17, v17, v48
	s_waitcnt lgkmcnt(0)
	s_delay_alu instid0(VALU_DEP_2) | instskip(SKIP_1) | instid1(VALU_DEP_1)
	v_add_f32_e32 v51, 1.0, v47
	v_add_f32_e32 v48, -1.0, v47
	v_dual_add_f32 v49, -1.0, v51 :: v_dual_add_f32 v52, 1.0, v48
	s_delay_alu instid0(VALU_DEP_1) | instskip(NEXT) | instid1(VALU_DEP_2)
	v_sub_f32_e32 v49, v47, v49
	v_sub_f32_e32 v47, v47, v52
	s_delay_alu instid0(VALU_DEP_2) | instskip(NEXT) | instid1(VALU_DEP_1)
	v_add_f32_e32 v49, v17, v49
	v_add_f32_e32 v52, v51, v49
	s_delay_alu instid0(VALU_DEP_1) | instskip(NEXT) | instid1(VALU_DEP_1)
	v_sub_f32_e32 v51, v51, v52
	v_add_f32_e32 v49, v49, v51
	v_add_f32_e32 v17, v17, v47
	v_rcp_f32_e32 v47, v52
	s_delay_alu instid0(VALU_DEP_1) | instskip(NEXT) | instid1(VALU_DEP_1)
	v_add_f32_e32 v53, v48, v17
	v_sub_f32_e32 v48, v48, v53
	s_waitcnt_depctr 0xfff
	v_mul_f32_e32 v54, v53, v47
	v_add_f32_e32 v17, v17, v48
	s_delay_alu instid0(VALU_DEP_2) | instskip(NEXT) | instid1(VALU_DEP_1)
	v_mul_f32_e32 v55, v52, v54
	v_fma_f32 v51, v54, v52, -v55
	s_delay_alu instid0(VALU_DEP_1) | instskip(NEXT) | instid1(VALU_DEP_1)
	v_fmac_f32_e32 v51, v54, v49
	v_add_f32_e32 v56, v55, v51
	s_delay_alu instid0(VALU_DEP_1) | instskip(NEXT) | instid1(VALU_DEP_1)
	v_dual_sub_f32 v57, v53, v56 :: v_dual_sub_f32 v48, v56, v55
	v_dual_sub_f32 v53, v53, v57 :: v_dual_sub_f32 v48, v48, v51
	s_delay_alu instid0(VALU_DEP_1) | instskip(NEXT) | instid1(VALU_DEP_1)
	v_sub_f32_e32 v53, v53, v56
	v_add_f32_e32 v17, v17, v53
	s_delay_alu instid0(VALU_DEP_1) | instskip(NEXT) | instid1(VALU_DEP_1)
	v_add_f32_e32 v17, v48, v17
	v_add_f32_e32 v48, v57, v17
	s_delay_alu instid0(VALU_DEP_1) | instskip(NEXT) | instid1(VALU_DEP_1)
	v_mul_f32_e32 v51, v47, v48
	v_dual_sub_f32 v56, v57, v48 :: v_dual_mul_f32 v53, v52, v51
	s_delay_alu instid0(VALU_DEP_1) | instskip(NEXT) | instid1(VALU_DEP_2)
	v_add_f32_e32 v17, v17, v56
	v_fma_f32 v52, v51, v52, -v53
	s_delay_alu instid0(VALU_DEP_1) | instskip(NEXT) | instid1(VALU_DEP_1)
	v_fmac_f32_e32 v52, v51, v49
	v_add_f32_e32 v49, v53, v52
	s_delay_alu instid0(VALU_DEP_1) | instskip(NEXT) | instid1(VALU_DEP_1)
	v_sub_f32_e32 v55, v48, v49
	v_dual_sub_f32 v53, v49, v53 :: v_dual_sub_f32 v48, v48, v55
	s_delay_alu instid0(VALU_DEP_1) | instskip(NEXT) | instid1(VALU_DEP_1)
	v_dual_sub_f32 v48, v48, v49 :: v_dual_sub_f32 v49, v53, v52
	v_dual_add_f32 v17, v17, v48 :: v_dual_add_f32 v48, v54, v51
	s_delay_alu instid0(VALU_DEP_1) | instskip(NEXT) | instid1(VALU_DEP_2)
	v_add_f32_e32 v17, v49, v17
	v_sub_f32_e32 v49, v48, v54
	s_delay_alu instid0(VALU_DEP_2) | instskip(NEXT) | instid1(VALU_DEP_2)
	v_add_f32_e32 v17, v55, v17
	v_sub_f32_e32 v49, v51, v49
	s_delay_alu instid0(VALU_DEP_2) | instskip(NEXT) | instid1(VALU_DEP_1)
	v_mul_f32_e32 v17, v47, v17
	v_add_f32_e32 v17, v49, v17
	s_delay_alu instid0(VALU_DEP_1) | instskip(NEXT) | instid1(VALU_DEP_1)
	v_add_f32_e32 v47, v48, v17
	v_mul_f32_e32 v49, v47, v47
	s_delay_alu instid0(VALU_DEP_1) | instskip(SKIP_2) | instid1(VALU_DEP_3)
	v_fmaak_f32 v51, s0, v49, 0x3ecc95a3
	v_mul_f32_e32 v52, v47, v49
	v_cmp_eq_f32_e64 s0, 0x7f800000, v46
	v_fmaak_f32 v49, v49, v51, 0x3f2aaada
	v_ldexp_f32 v51, v47, 1
	v_sub_f32_e32 v47, v47, v48
	s_delay_alu instid0(VALU_DEP_4) | instskip(NEXT) | instid1(VALU_DEP_3)
	s_or_b32 s0, s0, s23
	v_dual_mul_f32 v49, v52, v49 :: v_dual_mul_f32 v52, 0x3f317218, v16
	s_delay_alu instid0(VALU_DEP_1) | instskip(NEXT) | instid1(VALU_DEP_1)
	v_dual_sub_f32 v17, v17, v47 :: v_dual_add_f32 v48, v51, v49
	v_ldexp_f32 v17, v17, 1
	s_delay_alu instid0(VALU_DEP_2) | instskip(NEXT) | instid1(VALU_DEP_4)
	v_sub_f32_e32 v47, v48, v51
	v_fma_f32 v51, 0x3f317218, v16, -v52
	s_delay_alu instid0(VALU_DEP_1) | instskip(NEXT) | instid1(VALU_DEP_1)
	v_dual_sub_f32 v47, v49, v47 :: v_dual_fmamk_f32 v16, v16, 0xb102e308, v51
	v_add_f32_e32 v17, v17, v47
	s_delay_alu instid0(VALU_DEP_2) | instskip(NEXT) | instid1(VALU_DEP_1)
	v_add_f32_e32 v47, v52, v16
	v_dual_add_f32 v49, v48, v17 :: v_dual_sub_f32 v52, v47, v52
	s_delay_alu instid0(VALU_DEP_1) | instskip(NEXT) | instid1(VALU_DEP_1)
	v_dual_add_f32 v51, v47, v49 :: v_dual_sub_f32 v48, v49, v48
	v_dual_sub_f32 v16, v16, v52 :: v_dual_sub_f32 v53, v51, v47
	s_delay_alu instid0(VALU_DEP_1) | instskip(SKIP_1) | instid1(VALU_DEP_2)
	v_dual_sub_f32 v17, v17, v48 :: v_dual_sub_f32 v54, v51, v53
	v_sub_f32_e32 v48, v49, v53
	v_add_f32_e32 v49, v16, v17
	s_delay_alu instid0(VALU_DEP_3) | instskip(NEXT) | instid1(VALU_DEP_1)
	v_sub_f32_e32 v47, v47, v54
	v_dual_add_f32 v47, v48, v47 :: v_dual_sub_f32 v48, v49, v16
	s_delay_alu instid0(VALU_DEP_1) | instskip(NEXT) | instid1(VALU_DEP_2)
	v_add_f32_e32 v47, v49, v47
	v_sub_f32_e32 v49, v49, v48
	s_delay_alu instid0(VALU_DEP_2) | instskip(NEXT) | instid1(VALU_DEP_2)
	v_dual_sub_f32 v17, v17, v48 :: v_dual_add_f32 v52, v51, v47
	v_sub_f32_e32 v16, v16, v49
	s_delay_alu instid0(VALU_DEP_2) | instskip(NEXT) | instid1(VALU_DEP_2)
	v_sub_f32_e32 v48, v52, v51
	v_add_f32_e32 v16, v17, v16
	s_delay_alu instid0(VALU_DEP_2) | instskip(NEXT) | instid1(VALU_DEP_1)
	v_sub_f32_e32 v17, v47, v48
	v_add_f32_e32 v16, v16, v17
	s_delay_alu instid0(VALU_DEP_1) | instskip(NEXT) | instid1(VALU_DEP_1)
	v_add_f32_e32 v16, v52, v16
	v_cndmask_b32_e64 v16, v16, v46, s0
	s_delay_alu instid0(VALU_DEP_1)
	v_add_f32_e32 v17, v14, v16
.LBB491_126:
	s_or_b32 exec_lo, exec_lo, s1
	s_delay_alu instid0(VALU_DEP_1) | instskip(SKIP_1) | instid1(VALU_DEP_2)
	v_bfe_u32 v14, v17, 16, 1
	v_cmp_o_f32_e64 s0, v17, v17
	v_add3_u32 v14, v17, v14, 0x7fff
	s_delay_alu instid0(VALU_DEP_1) | instskip(NEXT) | instid1(VALU_DEP_1)
	v_lshrrev_b32_e32 v14, 16, v14
	v_cndmask_b32_e64 v14, 0x7fc0, v14, s0
	s_delay_alu instid0(VALU_DEP_1) | instskip(NEXT) | instid1(VALU_DEP_1)
	v_lshlrev_b32_e32 v16, 16, v14
	v_max_f32_e32 v17, v16, v16
	v_cmp_u_f32_e64 s0, v16, v16
	s_delay_alu instid0(VALU_DEP_2) | instskip(SKIP_1) | instid1(VALU_DEP_2)
	v_min_f32_e32 v46, v17, v18
	v_max_f32_e32 v17, v17, v18
	v_cndmask_b32_e64 v18, v46, v16, s0
	s_delay_alu instid0(VALU_DEP_2) | instskip(NEXT) | instid1(VALU_DEP_2)
	v_cndmask_b32_e64 v46, v17, v16, s0
	v_cndmask_b32_e64 v17, v18, v3, s25
	s_delay_alu instid0(VALU_DEP_2) | instskip(NEXT) | instid1(VALU_DEP_2)
	v_cndmask_b32_e64 v3, v46, v3, s25
	v_cmp_class_f32_e64 s1, v17, 0x1f8
	s_delay_alu instid0(VALU_DEP_2) | instskip(NEXT) | instid1(VALU_DEP_1)
	v_cmp_neq_f32_e64 s0, v17, v3
	s_or_b32 s0, s0, s1
	s_delay_alu instid0(SALU_CYCLE_1)
	s_and_saveexec_b32 s1, s0
	s_cbranch_execz .LBB491_128
; %bb.127:
	v_sub_f32_e32 v16, v17, v3
	s_delay_alu instid0(VALU_DEP_1) | instskip(SKIP_1) | instid1(VALU_DEP_2)
	v_mul_f32_e32 v17, 0x3fb8aa3b, v16
	v_cmp_ngt_f32_e64 s0, 0xc2ce8ed0, v16
	v_fma_f32 v18, 0x3fb8aa3b, v16, -v17
	v_rndne_f32_e32 v46, v17
	s_delay_alu instid0(VALU_DEP_1) | instskip(NEXT) | instid1(VALU_DEP_1)
	v_dual_fmamk_f32 v18, v16, 0x32a5705f, v18 :: v_dual_sub_f32 v17, v17, v46
	v_add_f32_e32 v17, v17, v18
	v_cvt_i32_f32_e32 v18, v46
	s_delay_alu instid0(VALU_DEP_2) | instskip(SKIP_2) | instid1(VALU_DEP_1)
	v_exp_f32_e32 v17, v17
	s_waitcnt_depctr 0xfff
	v_ldexp_f32 v17, v17, v18
	v_cndmask_b32_e64 v17, 0, v17, s0
	v_cmp_nlt_f32_e64 s0, 0x42b17218, v16
	s_delay_alu instid0(VALU_DEP_1) | instskip(NEXT) | instid1(VALU_DEP_1)
	v_cndmask_b32_e64 v18, 0x7f800000, v17, s0
	v_add_f32_e32 v46, 1.0, v18
	v_cmp_gt_f32_e64 s23, 0x33800000, |v18|
	s_delay_alu instid0(VALU_DEP_2) | instskip(NEXT) | instid1(VALU_DEP_1)
	v_cvt_f64_f32_e32 v[16:17], v46
	v_frexp_exp_i32_f64_e32 v16, v[16:17]
	v_frexp_mant_f32_e32 v17, v46
	s_delay_alu instid0(VALU_DEP_1) | instskip(SKIP_1) | instid1(VALU_DEP_1)
	v_cmp_gt_f32_e64 s0, 0x3f2aaaab, v17
	v_add_f32_e32 v17, -1.0, v46
	v_dual_sub_f32 v48, v17, v46 :: v_dual_sub_f32 v17, v18, v17
	s_delay_alu instid0(VALU_DEP_1) | instskip(NEXT) | instid1(VALU_DEP_4)
	v_add_f32_e32 v48, 1.0, v48
	v_subrev_co_ci_u32_e64 v16, s0, 0, v16, s0
	s_mov_b32 s0, 0x3e9b6dac
	s_delay_alu instid0(VALU_DEP_1) | instskip(SKIP_1) | instid1(VALU_DEP_2)
	v_sub_nc_u32_e32 v47, 0, v16
	v_cvt_f32_i32_e32 v16, v16
	v_ldexp_f32 v46, v46, v47
	s_delay_alu instid0(VALU_DEP_1) | instskip(NEXT) | instid1(VALU_DEP_1)
	v_add_f32_e32 v49, 1.0, v46
	v_dual_add_f32 v17, v17, v48 :: v_dual_add_f32 v48, -1.0, v49
	s_delay_alu instid0(VALU_DEP_1) | instskip(NEXT) | instid1(VALU_DEP_2)
	v_ldexp_f32 v17, v17, v47
	v_dual_sub_f32 v48, v46, v48 :: v_dual_add_f32 v47, -1.0, v46
	s_waitcnt lgkmcnt(0)
	s_delay_alu instid0(VALU_DEP_1) | instskip(NEXT) | instid1(VALU_DEP_1)
	v_dual_add_f32 v48, v17, v48 :: v_dual_add_f32 v51, 1.0, v47
	v_dual_sub_f32 v46, v46, v51 :: v_dual_add_f32 v51, v49, v48
	s_delay_alu instid0(VALU_DEP_1) | instskip(NEXT) | instid1(VALU_DEP_2)
	v_add_f32_e32 v17, v17, v46
	v_rcp_f32_e32 v46, v51
	s_delay_alu instid0(VALU_DEP_1) | instskip(NEXT) | instid1(VALU_DEP_1)
	v_dual_add_f32 v52, v47, v17 :: v_dual_sub_f32 v49, v49, v51
	v_sub_f32_e32 v47, v47, v52
	s_waitcnt_depctr 0xfff
	v_mul_f32_e32 v53, v52, v46
	v_add_f32_e32 v48, v48, v49
	s_delay_alu instid0(VALU_DEP_2) | instskip(NEXT) | instid1(VALU_DEP_1)
	v_dual_mul_f32 v54, v51, v53 :: v_dual_add_f32 v17, v17, v47
	v_fma_f32 v49, v53, v51, -v54
	s_delay_alu instid0(VALU_DEP_1) | instskip(NEXT) | instid1(VALU_DEP_1)
	v_fmac_f32_e32 v49, v53, v48
	v_add_f32_e32 v55, v54, v49
	s_delay_alu instid0(VALU_DEP_1) | instskip(NEXT) | instid1(VALU_DEP_1)
	v_sub_f32_e32 v56, v52, v55
	v_dual_sub_f32 v52, v52, v56 :: v_dual_sub_f32 v47, v55, v54
	s_delay_alu instid0(VALU_DEP_1) | instskip(NEXT) | instid1(VALU_DEP_1)
	v_dual_sub_f32 v52, v52, v55 :: v_dual_sub_f32 v47, v47, v49
	v_add_f32_e32 v17, v17, v52
	s_delay_alu instid0(VALU_DEP_1) | instskip(NEXT) | instid1(VALU_DEP_1)
	v_add_f32_e32 v17, v47, v17
	v_add_f32_e32 v47, v56, v17
	s_delay_alu instid0(VALU_DEP_1) | instskip(NEXT) | instid1(VALU_DEP_1)
	v_mul_f32_e32 v49, v46, v47
	v_dual_sub_f32 v55, v56, v47 :: v_dual_mul_f32 v52, v51, v49
	s_delay_alu instid0(VALU_DEP_1) | instskip(NEXT) | instid1(VALU_DEP_2)
	v_add_f32_e32 v17, v17, v55
	v_fma_f32 v51, v49, v51, -v52
	s_delay_alu instid0(VALU_DEP_1) | instskip(NEXT) | instid1(VALU_DEP_1)
	v_fmac_f32_e32 v51, v49, v48
	v_add_f32_e32 v48, v52, v51
	s_delay_alu instid0(VALU_DEP_1) | instskip(NEXT) | instid1(VALU_DEP_1)
	v_sub_f32_e32 v54, v47, v48
	v_dual_sub_f32 v52, v48, v52 :: v_dual_sub_f32 v47, v47, v54
	s_delay_alu instid0(VALU_DEP_1) | instskip(NEXT) | instid1(VALU_DEP_1)
	v_dual_sub_f32 v47, v47, v48 :: v_dual_sub_f32 v48, v52, v51
	v_add_f32_e32 v17, v17, v47
	v_add_f32_e32 v47, v53, v49
	s_delay_alu instid0(VALU_DEP_2) | instskip(NEXT) | instid1(VALU_DEP_2)
	v_add_f32_e32 v17, v48, v17
	v_sub_f32_e32 v48, v47, v53
	s_delay_alu instid0(VALU_DEP_1) | instskip(NEXT) | instid1(VALU_DEP_1)
	v_dual_add_f32 v17, v54, v17 :: v_dual_sub_f32 v48, v49, v48
	v_mul_f32_e32 v17, v46, v17
	s_delay_alu instid0(VALU_DEP_1) | instskip(NEXT) | instid1(VALU_DEP_1)
	v_add_f32_e32 v17, v48, v17
	v_add_f32_e32 v46, v47, v17
	s_delay_alu instid0(VALU_DEP_1) | instskip(NEXT) | instid1(VALU_DEP_1)
	v_mul_f32_e32 v48, v46, v46
	v_fmaak_f32 v49, s0, v48, 0x3ecc95a3
	v_mul_f32_e32 v51, v46, v48
	v_cmp_eq_f32_e64 s0, 0x7f800000, v18
	s_delay_alu instid0(VALU_DEP_3) | instskip(SKIP_2) | instid1(VALU_DEP_4)
	v_fmaak_f32 v48, v48, v49, 0x3f2aaada
	v_ldexp_f32 v49, v46, 1
	v_sub_f32_e32 v46, v46, v47
	s_or_b32 s0, s0, s23
	s_delay_alu instid0(VALU_DEP_3) | instskip(SKIP_1) | instid1(VALU_DEP_3)
	v_mul_f32_e32 v48, v51, v48
	v_mul_f32_e32 v51, 0x3f317218, v16
	v_sub_f32_e32 v17, v17, v46
	s_delay_alu instid0(VALU_DEP_3) | instskip(NEXT) | instid1(VALU_DEP_2)
	v_add_f32_e32 v47, v49, v48
	v_ldexp_f32 v17, v17, 1
	s_delay_alu instid0(VALU_DEP_2) | instskip(SKIP_1) | instid1(VALU_DEP_2)
	v_sub_f32_e32 v46, v47, v49
	v_fma_f32 v49, 0x3f317218, v16, -v51
	v_sub_f32_e32 v46, v48, v46
	s_delay_alu instid0(VALU_DEP_1) | instskip(NEXT) | instid1(VALU_DEP_1)
	v_dual_fmamk_f32 v16, v16, 0xb102e308, v49 :: v_dual_add_f32 v17, v17, v46
	v_add_f32_e32 v46, v51, v16
	s_delay_alu instid0(VALU_DEP_1) | instskip(NEXT) | instid1(VALU_DEP_1)
	v_dual_add_f32 v48, v47, v17 :: v_dual_sub_f32 v51, v46, v51
	v_dual_add_f32 v49, v46, v48 :: v_dual_sub_f32 v16, v16, v51
	s_delay_alu instid0(VALU_DEP_1) | instskip(NEXT) | instid1(VALU_DEP_1)
	v_sub_f32_e32 v52, v49, v46
	v_sub_f32_e32 v53, v49, v52
	s_delay_alu instid0(VALU_DEP_1) | instskip(NEXT) | instid1(VALU_DEP_1)
	v_dual_sub_f32 v46, v46, v53 :: v_dual_sub_f32 v47, v48, v47
	v_sub_f32_e32 v17, v17, v47
	v_sub_f32_e32 v47, v48, v52
	s_delay_alu instid0(VALU_DEP_2) | instskip(NEXT) | instid1(VALU_DEP_1)
	v_add_f32_e32 v48, v16, v17
	v_dual_add_f32 v46, v47, v46 :: v_dual_sub_f32 v47, v48, v16
	s_delay_alu instid0(VALU_DEP_1) | instskip(NEXT) | instid1(VALU_DEP_1)
	v_add_f32_e32 v46, v48, v46
	v_dual_sub_f32 v48, v48, v47 :: v_dual_add_f32 v51, v49, v46
	s_delay_alu instid0(VALU_DEP_1) | instskip(NEXT) | instid1(VALU_DEP_1)
	v_dual_sub_f32 v17, v17, v47 :: v_dual_sub_f32 v16, v16, v48
	v_dual_sub_f32 v47, v51, v49 :: v_dual_add_f32 v16, v17, v16
	s_delay_alu instid0(VALU_DEP_1) | instskip(NEXT) | instid1(VALU_DEP_1)
	v_sub_f32_e32 v17, v46, v47
	v_add_f32_e32 v16, v16, v17
	s_delay_alu instid0(VALU_DEP_1) | instskip(NEXT) | instid1(VALU_DEP_1)
	v_add_f32_e32 v16, v51, v16
	v_cndmask_b32_e64 v16, v16, v18, s0
	s_delay_alu instid0(VALU_DEP_1)
	v_add_f32_e32 v16, v3, v16
.LBB491_128:
	s_or_b32 exec_lo, exec_lo, s1
	s_delay_alu instid0(VALU_DEP_1) | instskip(SKIP_1) | instid1(VALU_DEP_2)
	v_bfe_u32 v3, v16, 16, 1
	v_cmp_o_f32_e64 s0, v16, v16
	v_add3_u32 v3, v16, v3, 0x7fff
	s_delay_alu instid0(VALU_DEP_1) | instskip(NEXT) | instid1(VALU_DEP_1)
	v_lshrrev_b32_e32 v3, 16, v3
	v_cndmask_b32_e64 v3, 0x7fc0, v3, s0
	s_delay_alu instid0(VALU_DEP_1) | instskip(NEXT) | instid1(VALU_DEP_1)
	v_lshlrev_b32_e32 v16, 16, v3
	v_max_f32_e32 v17, v16, v16
	s_delay_alu instid0(VALU_DEP_1) | instskip(SKIP_2) | instid1(VALU_DEP_1)
	v_min_f32_e32 v18, v17, v20
	v_max_f32_e32 v17, v17, v20
	v_cmp_u_f32_e64 s0, v16, v16
	v_cndmask_b32_e64 v18, v18, v16, s0
	s_delay_alu instid0(VALU_DEP_3) | instskip(NEXT) | instid1(VALU_DEP_2)
	v_cndmask_b32_e64 v20, v17, v16, s0
	v_cndmask_b32_e64 v17, v18, v15, s26
	s_delay_alu instid0(VALU_DEP_2) | instskip(NEXT) | instid1(VALU_DEP_2)
	v_cndmask_b32_e64 v15, v20, v15, s26
	v_cmp_class_f32_e64 s1, v17, 0x1f8
	s_delay_alu instid0(VALU_DEP_2) | instskip(NEXT) | instid1(VALU_DEP_1)
	v_cmp_neq_f32_e64 s0, v17, v15
	s_or_b32 s0, s0, s1
	s_delay_alu instid0(SALU_CYCLE_1)
	s_and_saveexec_b32 s1, s0
	s_cbranch_execz .LBB491_130
; %bb.129:
	v_sub_f32_e32 v16, v17, v15
	s_delay_alu instid0(VALU_DEP_1) | instskip(SKIP_1) | instid1(VALU_DEP_2)
	v_mul_f32_e32 v17, 0x3fb8aa3b, v16
	v_cmp_ngt_f32_e64 s0, 0xc2ce8ed0, v16
	v_fma_f32 v18, 0x3fb8aa3b, v16, -v17
	v_rndne_f32_e32 v20, v17
	s_delay_alu instid0(VALU_DEP_1) | instskip(NEXT) | instid1(VALU_DEP_1)
	v_dual_fmamk_f32 v18, v16, 0x32a5705f, v18 :: v_dual_sub_f32 v17, v17, v20
	v_add_f32_e32 v17, v17, v18
	v_cvt_i32_f32_e32 v18, v20
	s_delay_alu instid0(VALU_DEP_2) | instskip(SKIP_2) | instid1(VALU_DEP_1)
	v_exp_f32_e32 v17, v17
	s_waitcnt_depctr 0xfff
	v_ldexp_f32 v17, v17, v18
	v_cndmask_b32_e64 v17, 0, v17, s0
	v_cmp_nlt_f32_e64 s0, 0x42b17218, v16
	s_delay_alu instid0(VALU_DEP_1) | instskip(NEXT) | instid1(VALU_DEP_1)
	v_cndmask_b32_e64 v18, 0x7f800000, v17, s0
	v_add_f32_e32 v20, 1.0, v18
	v_cmp_gt_f32_e64 s23, 0x33800000, |v18|
	s_delay_alu instid0(VALU_DEP_2) | instskip(NEXT) | instid1(VALU_DEP_1)
	v_cvt_f64_f32_e32 v[16:17], v20
	v_frexp_exp_i32_f64_e32 v16, v[16:17]
	v_frexp_mant_f32_e32 v17, v20
	s_delay_alu instid0(VALU_DEP_1) | instskip(SKIP_1) | instid1(VALU_DEP_1)
	v_cmp_gt_f32_e64 s0, 0x3f2aaaab, v17
	v_add_f32_e32 v17, -1.0, v20
	v_sub_f32_e32 v47, v17, v20
	s_delay_alu instid0(VALU_DEP_1) | instskip(NEXT) | instid1(VALU_DEP_4)
	v_add_f32_e32 v47, 1.0, v47
	v_subrev_co_ci_u32_e64 v16, s0, 0, v16, s0
	s_mov_b32 s0, 0x3e9b6dac
	s_delay_alu instid0(VALU_DEP_1) | instskip(SKIP_1) | instid1(VALU_DEP_2)
	v_sub_nc_u32_e32 v46, 0, v16
	v_cvt_f32_i32_e32 v16, v16
	v_ldexp_f32 v20, v20, v46
	s_delay_alu instid0(VALU_DEP_1) | instskip(NEXT) | instid1(VALU_DEP_1)
	v_dual_sub_f32 v17, v18, v17 :: v_dual_add_f32 v48, 1.0, v20
	v_add_f32_e32 v17, v17, v47
	s_delay_alu instid0(VALU_DEP_1) | instskip(SKIP_1) | instid1(VALU_DEP_4)
	v_ldexp_f32 v17, v17, v46
	v_add_f32_e32 v46, -1.0, v20
	v_add_f32_e32 v47, -1.0, v48
	s_delay_alu instid0(VALU_DEP_2) | instskip(NEXT) | instid1(VALU_DEP_2)
	v_add_f32_e32 v49, 1.0, v46
	v_sub_f32_e32 v47, v20, v47
	s_delay_alu instid0(VALU_DEP_1) | instskip(NEXT) | instid1(VALU_DEP_1)
	v_dual_sub_f32 v20, v20, v49 :: v_dual_add_f32 v47, v17, v47
	v_add_f32_e32 v17, v17, v20
	s_delay_alu instid0(VALU_DEP_2) | instskip(SKIP_1) | instid1(VALU_DEP_2)
	v_add_f32_e32 v49, v48, v47
	s_waitcnt lgkmcnt(0)
	v_add_f32_e32 v51, v46, v17
	s_delay_alu instid0(VALU_DEP_2) | instskip(SKIP_1) | instid1(VALU_DEP_1)
	v_rcp_f32_e32 v20, v49
	v_sub_f32_e32 v48, v48, v49
	v_dual_sub_f32 v46, v46, v51 :: v_dual_add_f32 v47, v47, v48
	s_waitcnt_depctr 0xfff
	v_dual_add_f32 v17, v17, v46 :: v_dual_mul_f32 v52, v51, v20
	s_delay_alu instid0(VALU_DEP_1) | instskip(NEXT) | instid1(VALU_DEP_1)
	v_mul_f32_e32 v53, v49, v52
	v_fma_f32 v48, v52, v49, -v53
	s_delay_alu instid0(VALU_DEP_1) | instskip(NEXT) | instid1(VALU_DEP_1)
	v_fmac_f32_e32 v48, v52, v47
	v_add_f32_e32 v54, v53, v48
	s_delay_alu instid0(VALU_DEP_1) | instskip(NEXT) | instid1(VALU_DEP_1)
	v_dual_sub_f32 v55, v51, v54 :: v_dual_sub_f32 v46, v54, v53
	v_dual_sub_f32 v51, v51, v55 :: v_dual_sub_f32 v46, v46, v48
	s_delay_alu instid0(VALU_DEP_1) | instskip(NEXT) | instid1(VALU_DEP_1)
	v_sub_f32_e32 v51, v51, v54
	v_add_f32_e32 v17, v17, v51
	s_delay_alu instid0(VALU_DEP_1) | instskip(NEXT) | instid1(VALU_DEP_1)
	v_add_f32_e32 v17, v46, v17
	v_add_f32_e32 v46, v55, v17
	s_delay_alu instid0(VALU_DEP_1) | instskip(NEXT) | instid1(VALU_DEP_1)
	v_mul_f32_e32 v48, v20, v46
	v_dual_sub_f32 v54, v55, v46 :: v_dual_mul_f32 v51, v49, v48
	s_delay_alu instid0(VALU_DEP_1) | instskip(NEXT) | instid1(VALU_DEP_2)
	v_add_f32_e32 v17, v17, v54
	v_fma_f32 v49, v48, v49, -v51
	s_delay_alu instid0(VALU_DEP_1) | instskip(NEXT) | instid1(VALU_DEP_1)
	v_fmac_f32_e32 v49, v48, v47
	v_add_f32_e32 v47, v51, v49
	s_delay_alu instid0(VALU_DEP_1) | instskip(NEXT) | instid1(VALU_DEP_1)
	v_sub_f32_e32 v53, v46, v47
	v_dual_sub_f32 v51, v47, v51 :: v_dual_sub_f32 v46, v46, v53
	s_delay_alu instid0(VALU_DEP_1) | instskip(NEXT) | instid1(VALU_DEP_1)
	v_dual_sub_f32 v46, v46, v47 :: v_dual_sub_f32 v47, v51, v49
	v_dual_add_f32 v17, v17, v46 :: v_dual_add_f32 v46, v52, v48
	s_delay_alu instid0(VALU_DEP_1) | instskip(NEXT) | instid1(VALU_DEP_2)
	v_add_f32_e32 v17, v47, v17
	v_sub_f32_e32 v47, v46, v52
	s_delay_alu instid0(VALU_DEP_2) | instskip(NEXT) | instid1(VALU_DEP_2)
	v_add_f32_e32 v17, v53, v17
	v_sub_f32_e32 v47, v48, v47
	s_delay_alu instid0(VALU_DEP_2) | instskip(NEXT) | instid1(VALU_DEP_1)
	v_mul_f32_e32 v17, v20, v17
	v_add_f32_e32 v17, v47, v17
	s_delay_alu instid0(VALU_DEP_1) | instskip(NEXT) | instid1(VALU_DEP_1)
	v_add_f32_e32 v20, v46, v17
	v_mul_f32_e32 v47, v20, v20
	s_delay_alu instid0(VALU_DEP_1) | instskip(SKIP_2) | instid1(VALU_DEP_3)
	v_fmaak_f32 v48, s0, v47, 0x3ecc95a3
	v_mul_f32_e32 v49, v20, v47
	v_cmp_eq_f32_e64 s0, 0x7f800000, v18
	v_fmaak_f32 v47, v47, v48, 0x3f2aaada
	v_ldexp_f32 v48, v20, 1
	v_sub_f32_e32 v20, v20, v46
	s_delay_alu instid0(VALU_DEP_4) | instskip(NEXT) | instid1(VALU_DEP_3)
	s_or_b32 s0, s0, s23
	v_mul_f32_e32 v47, v49, v47
	v_mul_f32_e32 v49, 0x3f317218, v16
	s_delay_alu instid0(VALU_DEP_2) | instskip(NEXT) | instid1(VALU_DEP_1)
	v_dual_sub_f32 v17, v17, v20 :: v_dual_add_f32 v46, v48, v47
	v_ldexp_f32 v17, v17, 1
	s_delay_alu instid0(VALU_DEP_2) | instskip(NEXT) | instid1(VALU_DEP_4)
	v_sub_f32_e32 v20, v46, v48
	v_fma_f32 v48, 0x3f317218, v16, -v49
	s_delay_alu instid0(VALU_DEP_2) | instskip(NEXT) | instid1(VALU_DEP_1)
	v_sub_f32_e32 v20, v47, v20
	v_dual_fmamk_f32 v16, v16, 0xb102e308, v48 :: v_dual_add_f32 v17, v17, v20
	s_delay_alu instid0(VALU_DEP_1) | instskip(NEXT) | instid1(VALU_DEP_1)
	v_dual_add_f32 v20, v49, v16 :: v_dual_add_f32 v47, v46, v17
	v_sub_f32_e32 v49, v20, v49
	s_delay_alu instid0(VALU_DEP_2) | instskip(SKIP_1) | instid1(VALU_DEP_3)
	v_add_f32_e32 v48, v20, v47
	v_sub_f32_e32 v46, v47, v46
	v_sub_f32_e32 v16, v16, v49
	s_delay_alu instid0(VALU_DEP_3) | instskip(NEXT) | instid1(VALU_DEP_1)
	v_sub_f32_e32 v51, v48, v20
	v_dual_sub_f32 v17, v17, v46 :: v_dual_sub_f32 v52, v48, v51
	s_delay_alu instid0(VALU_DEP_1) | instskip(NEXT) | instid1(VALU_DEP_2)
	v_dual_sub_f32 v46, v47, v51 :: v_dual_add_f32 v47, v16, v17
	v_sub_f32_e32 v20, v20, v52
	s_delay_alu instid0(VALU_DEP_1) | instskip(NEXT) | instid1(VALU_DEP_3)
	v_add_f32_e32 v20, v46, v20
	v_sub_f32_e32 v46, v47, v16
	s_delay_alu instid0(VALU_DEP_2) | instskip(NEXT) | instid1(VALU_DEP_2)
	v_add_f32_e32 v20, v47, v20
	v_sub_f32_e32 v47, v47, v46
	v_sub_f32_e32 v17, v17, v46
	s_delay_alu instid0(VALU_DEP_3) | instskip(NEXT) | instid1(VALU_DEP_3)
	v_add_f32_e32 v49, v48, v20
	v_sub_f32_e32 v16, v16, v47
	s_delay_alu instid0(VALU_DEP_2) | instskip(NEXT) | instid1(VALU_DEP_1)
	v_sub_f32_e32 v46, v49, v48
	v_dual_add_f32 v16, v17, v16 :: v_dual_sub_f32 v17, v20, v46
	s_delay_alu instid0(VALU_DEP_1) | instskip(NEXT) | instid1(VALU_DEP_1)
	v_add_f32_e32 v16, v16, v17
	v_add_f32_e32 v16, v49, v16
	s_delay_alu instid0(VALU_DEP_1) | instskip(NEXT) | instid1(VALU_DEP_1)
	v_cndmask_b32_e64 v16, v16, v18, s0
	v_add_f32_e32 v16, v15, v16
.LBB491_130:
	s_or_b32 exec_lo, exec_lo, s1
	s_delay_alu instid0(VALU_DEP_1) | instskip(SKIP_1) | instid1(VALU_DEP_2)
	v_bfe_u32 v15, v16, 16, 1
	v_cmp_o_f32_e64 s0, v16, v16
	v_add3_u32 v15, v16, v15, 0x7fff
	s_delay_alu instid0(VALU_DEP_1) | instskip(NEXT) | instid1(VALU_DEP_1)
	v_lshrrev_b32_e32 v15, 16, v15
	v_cndmask_b32_e64 v15, 0x7fc0, v15, s0
	s_delay_alu instid0(VALU_DEP_1) | instskip(NEXT) | instid1(VALU_DEP_1)
	v_lshlrev_b32_e32 v16, 16, v15
	v_max_f32_e32 v17, v16, v16
	s_delay_alu instid0(VALU_DEP_1) | instskip(SKIP_2) | instid1(VALU_DEP_1)
	v_min_f32_e32 v18, v17, v21
	v_max_f32_e32 v17, v17, v21
	v_cmp_u_f32_e64 s0, v16, v16
	v_cndmask_b32_e64 v18, v18, v16, s0
	s_delay_alu instid0(VALU_DEP_3) | instskip(NEXT) | instid1(VALU_DEP_2)
	v_cndmask_b32_e64 v20, v17, v16, s0
	v_cndmask_b32_e64 v17, v18, v10, s27
	s_delay_alu instid0(VALU_DEP_2) | instskip(NEXT) | instid1(VALU_DEP_2)
	v_cndmask_b32_e64 v10, v20, v10, s27
	v_cmp_class_f32_e64 s1, v17, 0x1f8
	s_delay_alu instid0(VALU_DEP_2) | instskip(NEXT) | instid1(VALU_DEP_1)
	v_cmp_neq_f32_e64 s0, v17, v10
	s_or_b32 s0, s0, s1
	s_delay_alu instid0(SALU_CYCLE_1)
	s_and_saveexec_b32 s1, s0
	s_cbranch_execz .LBB491_132
; %bb.131:
	v_sub_f32_e32 v16, v17, v10
	s_delay_alu instid0(VALU_DEP_1) | instskip(SKIP_1) | instid1(VALU_DEP_2)
	v_mul_f32_e32 v17, 0x3fb8aa3b, v16
	v_cmp_ngt_f32_e64 s0, 0xc2ce8ed0, v16
	v_fma_f32 v18, 0x3fb8aa3b, v16, -v17
	v_rndne_f32_e32 v20, v17
	s_delay_alu instid0(VALU_DEP_1) | instskip(NEXT) | instid1(VALU_DEP_1)
	v_dual_fmamk_f32 v18, v16, 0x32a5705f, v18 :: v_dual_sub_f32 v17, v17, v20
	v_add_f32_e32 v17, v17, v18
	v_cvt_i32_f32_e32 v18, v20
	s_delay_alu instid0(VALU_DEP_2) | instskip(SKIP_2) | instid1(VALU_DEP_1)
	v_exp_f32_e32 v17, v17
	s_waitcnt_depctr 0xfff
	v_ldexp_f32 v17, v17, v18
	v_cndmask_b32_e64 v17, 0, v17, s0
	v_cmp_nlt_f32_e64 s0, 0x42b17218, v16
	s_delay_alu instid0(VALU_DEP_1) | instskip(NEXT) | instid1(VALU_DEP_1)
	v_cndmask_b32_e64 v18, 0x7f800000, v17, s0
	v_add_f32_e32 v20, 1.0, v18
	v_cmp_gt_f32_e64 s23, 0x33800000, |v18|
	s_delay_alu instid0(VALU_DEP_2) | instskip(NEXT) | instid1(VALU_DEP_1)
	v_cvt_f64_f32_e32 v[16:17], v20
	v_frexp_exp_i32_f64_e32 v16, v[16:17]
	v_frexp_mant_f32_e32 v17, v20
	s_delay_alu instid0(VALU_DEP_1) | instskip(SKIP_1) | instid1(VALU_DEP_1)
	v_cmp_gt_f32_e64 s0, 0x3f2aaaab, v17
	v_add_f32_e32 v17, -1.0, v20
	v_dual_sub_f32 v46, v17, v20 :: v_dual_sub_f32 v17, v18, v17
	s_delay_alu instid0(VALU_DEP_3) | instskip(SKIP_1) | instid1(VALU_DEP_1)
	v_subrev_co_ci_u32_e64 v16, s0, 0, v16, s0
	s_mov_b32 s0, 0x3e9b6dac
	v_sub_nc_u32_e32 v21, 0, v16
	v_cvt_f32_i32_e32 v16, v16
	s_delay_alu instid0(VALU_DEP_2) | instskip(NEXT) | instid1(VALU_DEP_1)
	v_ldexp_f32 v20, v20, v21
	v_dual_add_f32 v46, 1.0, v46 :: v_dual_add_f32 v47, 1.0, v20
	s_delay_alu instid0(VALU_DEP_1) | instskip(NEXT) | instid1(VALU_DEP_1)
	v_dual_add_f32 v17, v17, v46 :: v_dual_add_f32 v46, -1.0, v47
	v_ldexp_f32 v17, v17, v21
	s_delay_alu instid0(VALU_DEP_2) | instskip(NEXT) | instid1(VALU_DEP_1)
	v_dual_add_f32 v21, -1.0, v20 :: v_dual_sub_f32 v46, v20, v46
	v_add_f32_e32 v48, 1.0, v21
	s_delay_alu instid0(VALU_DEP_2) | instskip(NEXT) | instid1(VALU_DEP_2)
	v_add_f32_e32 v46, v17, v46
	v_sub_f32_e32 v20, v20, v48
	s_delay_alu instid0(VALU_DEP_1) | instskip(NEXT) | instid1(VALU_DEP_1)
	v_dual_add_f32 v48, v47, v46 :: v_dual_add_f32 v17, v17, v20
	v_rcp_f32_e32 v20, v48
	v_sub_f32_e32 v47, v47, v48
	s_delay_alu instid0(VALU_DEP_1) | instskip(NEXT) | instid1(VALU_DEP_1)
	v_dual_add_f32 v49, v21, v17 :: v_dual_add_f32 v46, v46, v47
	v_sub_f32_e32 v21, v21, v49
	s_waitcnt lgkmcnt(0)
	s_waitcnt_depctr 0xfff
	v_mul_f32_e32 v51, v49, v20
	s_delay_alu instid0(VALU_DEP_1) | instskip(NEXT) | instid1(VALU_DEP_1)
	v_dual_add_f32 v17, v17, v21 :: v_dual_mul_f32 v52, v48, v51
	v_fma_f32 v47, v51, v48, -v52
	s_delay_alu instid0(VALU_DEP_1) | instskip(NEXT) | instid1(VALU_DEP_1)
	v_fmac_f32_e32 v47, v51, v46
	v_add_f32_e32 v53, v52, v47
	s_delay_alu instid0(VALU_DEP_1) | instskip(SKIP_1) | instid1(VALU_DEP_2)
	v_sub_f32_e32 v54, v49, v53
	v_sub_f32_e32 v21, v53, v52
	v_sub_f32_e32 v49, v49, v54
	s_delay_alu instid0(VALU_DEP_2) | instskip(NEXT) | instid1(VALU_DEP_2)
	v_sub_f32_e32 v21, v21, v47
	v_sub_f32_e32 v49, v49, v53
	s_delay_alu instid0(VALU_DEP_1) | instskip(NEXT) | instid1(VALU_DEP_1)
	v_add_f32_e32 v17, v17, v49
	v_add_f32_e32 v17, v21, v17
	s_delay_alu instid0(VALU_DEP_1) | instskip(NEXT) | instid1(VALU_DEP_1)
	v_add_f32_e32 v21, v54, v17
	v_mul_f32_e32 v47, v20, v21
	s_delay_alu instid0(VALU_DEP_1) | instskip(NEXT) | instid1(VALU_DEP_1)
	v_mul_f32_e32 v49, v48, v47
	v_fma_f32 v48, v47, v48, -v49
	s_delay_alu instid0(VALU_DEP_1) | instskip(NEXT) | instid1(VALU_DEP_1)
	v_fmac_f32_e32 v48, v47, v46
	v_add_f32_e32 v46, v49, v48
	s_delay_alu instid0(VALU_DEP_1) | instskip(SKIP_1) | instid1(VALU_DEP_2)
	v_dual_sub_f32 v52, v21, v46 :: v_dual_sub_f32 v49, v46, v49
	v_sub_f32_e32 v53, v54, v21
	v_sub_f32_e32 v21, v21, v52
	s_delay_alu instid0(VALU_DEP_1) | instskip(NEXT) | instid1(VALU_DEP_4)
	v_sub_f32_e32 v21, v21, v46
	v_sub_f32_e32 v46, v49, v48
	s_delay_alu instid0(VALU_DEP_4) | instskip(NEXT) | instid1(VALU_DEP_1)
	v_add_f32_e32 v17, v17, v53
	v_add_f32_e32 v17, v17, v21
	v_add_f32_e32 v21, v51, v47
	s_delay_alu instid0(VALU_DEP_1) | instskip(NEXT) | instid1(VALU_DEP_1)
	v_dual_add_f32 v17, v46, v17 :: v_dual_sub_f32 v46, v21, v51
	v_dual_add_f32 v17, v52, v17 :: v_dual_sub_f32 v46, v47, v46
	s_delay_alu instid0(VALU_DEP_1) | instskip(NEXT) | instid1(VALU_DEP_1)
	v_mul_f32_e32 v17, v20, v17
	v_add_f32_e32 v17, v46, v17
	s_delay_alu instid0(VALU_DEP_1) | instskip(NEXT) | instid1(VALU_DEP_1)
	v_add_f32_e32 v20, v21, v17
	v_mul_f32_e32 v46, v20, v20
	s_delay_alu instid0(VALU_DEP_1) | instskip(SKIP_2) | instid1(VALU_DEP_3)
	v_fmaak_f32 v47, s0, v46, 0x3ecc95a3
	v_mul_f32_e32 v48, v20, v46
	v_cmp_eq_f32_e64 s0, 0x7f800000, v18
	v_fmaak_f32 v46, v46, v47, 0x3f2aaada
	v_ldexp_f32 v47, v20, 1
	s_delay_alu instid0(VALU_DEP_3) | instskip(NEXT) | instid1(VALU_DEP_2)
	s_or_b32 s0, s0, s23
	v_mul_f32_e32 v46, v48, v46
	v_sub_f32_e32 v20, v20, v21
	s_delay_alu instid0(VALU_DEP_2) | instskip(NEXT) | instid1(VALU_DEP_2)
	v_dual_mul_f32 v48, 0x3f317218, v16 :: v_dual_add_f32 v21, v47, v46
	v_sub_f32_e32 v17, v17, v20
	s_delay_alu instid0(VALU_DEP_2) | instskip(NEXT) | instid1(VALU_DEP_3)
	v_sub_f32_e32 v20, v21, v47
	v_fma_f32 v47, 0x3f317218, v16, -v48
	s_delay_alu instid0(VALU_DEP_3) | instskip(NEXT) | instid1(VALU_DEP_3)
	v_ldexp_f32 v17, v17, 1
	v_sub_f32_e32 v20, v46, v20
	s_delay_alu instid0(VALU_DEP_1) | instskip(NEXT) | instid1(VALU_DEP_1)
	v_dual_fmamk_f32 v16, v16, 0xb102e308, v47 :: v_dual_add_f32 v17, v17, v20
	v_add_f32_e32 v20, v48, v16
	s_delay_alu instid0(VALU_DEP_2) | instskip(NEXT) | instid1(VALU_DEP_2)
	v_add_f32_e32 v46, v21, v17
	v_sub_f32_e32 v48, v20, v48
	s_delay_alu instid0(VALU_DEP_2) | instskip(NEXT) | instid1(VALU_DEP_2)
	v_add_f32_e32 v47, v20, v46
	v_sub_f32_e32 v16, v16, v48
	s_delay_alu instid0(VALU_DEP_2) | instskip(SKIP_1) | instid1(VALU_DEP_2)
	v_sub_f32_e32 v49, v47, v20
	v_sub_f32_e32 v21, v46, v21
	;; [unrolled: 1-line block ×3, first 2 shown]
	s_delay_alu instid0(VALU_DEP_2) | instskip(NEXT) | instid1(VALU_DEP_2)
	v_sub_f32_e32 v17, v17, v21
	v_dual_sub_f32 v21, v46, v49 :: v_dual_sub_f32 v20, v20, v51
	s_delay_alu instid0(VALU_DEP_2) | instskip(NEXT) | instid1(VALU_DEP_2)
	v_add_f32_e32 v46, v16, v17
	v_add_f32_e32 v20, v21, v20
	s_delay_alu instid0(VALU_DEP_2) | instskip(NEXT) | instid1(VALU_DEP_2)
	v_sub_f32_e32 v21, v46, v16
	v_add_f32_e32 v20, v46, v20
	s_delay_alu instid0(VALU_DEP_2) | instskip(NEXT) | instid1(VALU_DEP_1)
	v_sub_f32_e32 v46, v46, v21
	v_dual_sub_f32 v17, v17, v21 :: v_dual_sub_f32 v16, v16, v46
	s_delay_alu instid0(VALU_DEP_1) | instskip(NEXT) | instid1(VALU_DEP_4)
	v_add_f32_e32 v16, v17, v16
	v_add_f32_e32 v48, v47, v20
	s_delay_alu instid0(VALU_DEP_1) | instskip(NEXT) | instid1(VALU_DEP_1)
	v_sub_f32_e32 v21, v48, v47
	v_sub_f32_e32 v17, v20, v21
	s_delay_alu instid0(VALU_DEP_1) | instskip(NEXT) | instid1(VALU_DEP_1)
	v_add_f32_e32 v16, v16, v17
	v_add_f32_e32 v16, v48, v16
	s_delay_alu instid0(VALU_DEP_1) | instskip(NEXT) | instid1(VALU_DEP_1)
	v_cndmask_b32_e64 v16, v16, v18, s0
	v_add_f32_e32 v16, v10, v16
.LBB491_132:
	s_or_b32 exec_lo, exec_lo, s1
	s_delay_alu instid0(VALU_DEP_1) | instskip(SKIP_1) | instid1(VALU_DEP_2)
	v_bfe_u32 v10, v16, 16, 1
	v_cmp_o_f32_e64 s0, v16, v16
	v_add3_u32 v10, v16, v10, 0x7fff
	s_delay_alu instid0(VALU_DEP_1) | instskip(NEXT) | instid1(VALU_DEP_1)
	v_lshrrev_b32_e32 v10, 16, v10
	v_cndmask_b32_e64 v10, 0x7fc0, v10, s0
	s_delay_alu instid0(VALU_DEP_1) | instskip(NEXT) | instid1(VALU_DEP_1)
	v_lshlrev_b32_e32 v17, 16, v10
	v_max_f32_e32 v16, v17, v17
	s_delay_alu instid0(VALU_DEP_1) | instskip(SKIP_2) | instid1(VALU_DEP_1)
	v_min_f32_e32 v18, v16, v23
	v_max_f32_e32 v16, v16, v23
	v_cmp_u_f32_e64 s0, v17, v17
	v_cndmask_b32_e64 v18, v18, v17, s0
	s_delay_alu instid0(VALU_DEP_3) | instskip(NEXT) | instid1(VALU_DEP_2)
	v_cndmask_b32_e64 v16, v16, v17, s0
	v_cndmask_b32_e64 v18, v18, v19, s28
	s_delay_alu instid0(VALU_DEP_2) | instskip(NEXT) | instid1(VALU_DEP_2)
	v_cndmask_b32_e64 v16, v16, v19, s28
	v_cmp_class_f32_e64 s1, v18, 0x1f8
	s_delay_alu instid0(VALU_DEP_2) | instskip(NEXT) | instid1(VALU_DEP_1)
	v_cmp_neq_f32_e64 s0, v18, v16
	s_or_b32 s0, s0, s1
	s_delay_alu instid0(SALU_CYCLE_1)
	s_and_saveexec_b32 s1, s0
	s_cbranch_execz .LBB491_134
; %bb.133:
	v_sub_f32_e32 v17, v18, v16
	s_delay_alu instid0(VALU_DEP_1) | instskip(SKIP_1) | instid1(VALU_DEP_2)
	v_mul_f32_e32 v18, 0x3fb8aa3b, v17
	v_cmp_ngt_f32_e64 s0, 0xc2ce8ed0, v17
	v_fma_f32 v19, 0x3fb8aa3b, v17, -v18
	v_rndne_f32_e32 v20, v18
	s_delay_alu instid0(VALU_DEP_1) | instskip(NEXT) | instid1(VALU_DEP_1)
	v_dual_fmamk_f32 v19, v17, 0x32a5705f, v19 :: v_dual_sub_f32 v18, v18, v20
	v_add_f32_e32 v18, v18, v19
	v_cvt_i32_f32_e32 v19, v20
	s_delay_alu instid0(VALU_DEP_2) | instskip(SKIP_2) | instid1(VALU_DEP_1)
	v_exp_f32_e32 v18, v18
	s_waitcnt_depctr 0xfff
	v_ldexp_f32 v18, v18, v19
	v_cndmask_b32_e64 v18, 0, v18, s0
	v_cmp_nlt_f32_e64 s0, 0x42b17218, v17
	s_delay_alu instid0(VALU_DEP_1) | instskip(NEXT) | instid1(VALU_DEP_1)
	v_cndmask_b32_e64 v19, 0x7f800000, v18, s0
	v_add_f32_e32 v20, 1.0, v19
	v_cmp_gt_f32_e64 s23, 0x33800000, |v19|
	s_delay_alu instid0(VALU_DEP_2) | instskip(NEXT) | instid1(VALU_DEP_1)
	v_cvt_f64_f32_e32 v[17:18], v20
	v_frexp_exp_i32_f64_e32 v17, v[17:18]
	v_frexp_mant_f32_e32 v18, v20
	s_delay_alu instid0(VALU_DEP_1) | instskip(SKIP_1) | instid1(VALU_DEP_1)
	v_cmp_gt_f32_e64 s0, 0x3f2aaaab, v18
	v_add_f32_e32 v18, -1.0, v20
	v_dual_sub_f32 v23, v18, v20 :: v_dual_sub_f32 v18, v19, v18
	s_delay_alu instid0(VALU_DEP_1) | instskip(NEXT) | instid1(VALU_DEP_4)
	v_add_f32_e32 v23, 1.0, v23
	v_subrev_co_ci_u32_e64 v17, s0, 0, v17, s0
	s_mov_b32 s0, 0x3e9b6dac
	s_delay_alu instid0(VALU_DEP_1) | instskip(SKIP_1) | instid1(VALU_DEP_2)
	v_sub_nc_u32_e32 v21, 0, v17
	v_cvt_f32_i32_e32 v17, v17
	v_ldexp_f32 v20, v20, v21
	v_add_f32_e32 v18, v18, v23
	s_delay_alu instid0(VALU_DEP_1) | instskip(NEXT) | instid1(VALU_DEP_3)
	v_ldexp_f32 v18, v18, v21
	v_add_f32_e32 v21, -1.0, v20
	s_delay_alu instid0(VALU_DEP_1) | instskip(NEXT) | instid1(VALU_DEP_1)
	v_dual_add_f32 v46, 1.0, v20 :: v_dual_add_f32 v47, 1.0, v21
	v_add_f32_e32 v23, -1.0, v46
	s_delay_alu instid0(VALU_DEP_1) | instskip(NEXT) | instid1(VALU_DEP_3)
	v_sub_f32_e32 v23, v20, v23
	v_sub_f32_e32 v20, v20, v47
	s_delay_alu instid0(VALU_DEP_2) | instskip(NEXT) | instid1(VALU_DEP_2)
	v_add_f32_e32 v23, v18, v23
	v_add_f32_e32 v18, v18, v20
	s_delay_alu instid0(VALU_DEP_1) | instskip(NEXT) | instid1(VALU_DEP_1)
	v_dual_add_f32 v48, v21, v18 :: v_dual_add_f32 v47, v46, v23
	v_rcp_f32_e32 v20, v47
	v_sub_f32_e32 v46, v46, v47
	s_delay_alu instid0(VALU_DEP_1) | instskip(SKIP_3) | instid1(VALU_DEP_1)
	v_add_f32_e32 v23, v23, v46
	s_waitcnt_depctr 0xfff
	v_mul_f32_e32 v49, v48, v20
	s_waitcnt lgkmcnt(0)
	v_mul_f32_e32 v51, v47, v49
	s_delay_alu instid0(VALU_DEP_1) | instskip(NEXT) | instid1(VALU_DEP_1)
	v_fma_f32 v46, v49, v47, -v51
	v_fmac_f32_e32 v46, v49, v23
	s_delay_alu instid0(VALU_DEP_1) | instskip(NEXT) | instid1(VALU_DEP_1)
	v_add_f32_e32 v52, v51, v46
	v_sub_f32_e32 v53, v48, v52
	s_delay_alu instid0(VALU_DEP_1) | instskip(NEXT) | instid1(VALU_DEP_1)
	v_dual_sub_f32 v21, v21, v48 :: v_dual_sub_f32 v48, v48, v53
	v_dual_add_f32 v18, v18, v21 :: v_dual_sub_f32 v21, v52, v51
	s_delay_alu instid0(VALU_DEP_1) | instskip(NEXT) | instid1(VALU_DEP_1)
	v_dual_sub_f32 v48, v48, v52 :: v_dual_sub_f32 v21, v21, v46
	v_add_f32_e32 v18, v18, v48
	s_delay_alu instid0(VALU_DEP_1) | instskip(NEXT) | instid1(VALU_DEP_1)
	v_add_f32_e32 v18, v21, v18
	v_add_f32_e32 v21, v53, v18
	s_delay_alu instid0(VALU_DEP_1) | instskip(NEXT) | instid1(VALU_DEP_1)
	v_mul_f32_e32 v46, v20, v21
	v_mul_f32_e32 v48, v47, v46
	s_delay_alu instid0(VALU_DEP_1) | instskip(NEXT) | instid1(VALU_DEP_1)
	v_fma_f32 v47, v46, v47, -v48
	v_dual_fmac_f32 v47, v46, v23 :: v_dual_sub_f32 v52, v53, v21
	s_delay_alu instid0(VALU_DEP_1) | instskip(NEXT) | instid1(VALU_DEP_1)
	v_dual_add_f32 v23, v48, v47 :: v_dual_add_f32 v18, v18, v52
	v_sub_f32_e32 v51, v21, v23
	s_delay_alu instid0(VALU_DEP_1) | instskip(NEXT) | instid1(VALU_DEP_1)
	v_dual_sub_f32 v21, v21, v51 :: v_dual_sub_f32 v48, v23, v48
	v_sub_f32_e32 v21, v21, v23
	s_delay_alu instid0(VALU_DEP_1) | instskip(SKIP_1) | instid1(VALU_DEP_1)
	v_dual_sub_f32 v23, v48, v47 :: v_dual_add_f32 v18, v18, v21
	v_add_f32_e32 v21, v49, v46
	v_dual_add_f32 v18, v23, v18 :: v_dual_sub_f32 v23, v21, v49
	s_delay_alu instid0(VALU_DEP_1) | instskip(NEXT) | instid1(VALU_DEP_1)
	v_dual_add_f32 v18, v51, v18 :: v_dual_sub_f32 v23, v46, v23
	v_mul_f32_e32 v18, v20, v18
	s_delay_alu instid0(VALU_DEP_1) | instskip(NEXT) | instid1(VALU_DEP_1)
	v_add_f32_e32 v18, v23, v18
	v_add_f32_e32 v20, v21, v18
	s_delay_alu instid0(VALU_DEP_1) | instskip(NEXT) | instid1(VALU_DEP_1)
	v_mul_f32_e32 v23, v20, v20
	v_fmaak_f32 v46, s0, v23, 0x3ecc95a3
	v_mul_f32_e32 v47, v20, v23
	v_cmp_eq_f32_e64 s0, 0x7f800000, v19
	s_delay_alu instid0(VALU_DEP_3) | instskip(SKIP_2) | instid1(VALU_DEP_4)
	v_fmaak_f32 v23, v23, v46, 0x3f2aaada
	v_ldexp_f32 v46, v20, 1
	v_sub_f32_e32 v20, v20, v21
	s_or_b32 s0, s0, s23
	s_delay_alu instid0(VALU_DEP_1) | instskip(NEXT) | instid1(VALU_DEP_1)
	v_dual_sub_f32 v18, v18, v20 :: v_dual_mul_f32 v23, v47, v23
	v_ldexp_f32 v18, v18, 1
	s_delay_alu instid0(VALU_DEP_2) | instskip(NEXT) | instid1(VALU_DEP_1)
	v_add_f32_e32 v21, v46, v23
	v_dual_mul_f32 v47, 0x3f317218, v17 :: v_dual_sub_f32 v20, v21, v46
	s_delay_alu instid0(VALU_DEP_1) | instskip(NEXT) | instid1(VALU_DEP_1)
	v_fma_f32 v46, 0x3f317218, v17, -v47
	v_dual_sub_f32 v20, v23, v20 :: v_dual_fmamk_f32 v17, v17, 0xb102e308, v46
	s_delay_alu instid0(VALU_DEP_1) | instskip(NEXT) | instid1(VALU_DEP_2)
	v_add_f32_e32 v18, v18, v20
	v_add_f32_e32 v20, v47, v17
	s_delay_alu instid0(VALU_DEP_1) | instskip(NEXT) | instid1(VALU_DEP_3)
	v_sub_f32_e32 v47, v20, v47
	v_add_f32_e32 v23, v21, v18
	s_delay_alu instid0(VALU_DEP_2) | instskip(NEXT) | instid1(VALU_DEP_2)
	v_sub_f32_e32 v17, v17, v47
	v_dual_add_f32 v46, v20, v23 :: v_dual_sub_f32 v21, v23, v21
	s_delay_alu instid0(VALU_DEP_1) | instskip(NEXT) | instid1(VALU_DEP_1)
	v_sub_f32_e32 v48, v46, v20
	v_dual_sub_f32 v18, v18, v21 :: v_dual_sub_f32 v21, v23, v48
	v_sub_f32_e32 v49, v46, v48
	s_delay_alu instid0(VALU_DEP_1) | instskip(NEXT) | instid1(VALU_DEP_1)
	v_dual_add_f32 v23, v17, v18 :: v_dual_sub_f32 v20, v20, v49
	v_dual_add_f32 v20, v21, v20 :: v_dual_sub_f32 v21, v23, v17
	s_delay_alu instid0(VALU_DEP_1) | instskip(NEXT) | instid1(VALU_DEP_2)
	v_add_f32_e32 v20, v23, v20
	v_sub_f32_e32 v23, v23, v21
	s_delay_alu instid0(VALU_DEP_1) | instskip(NEXT) | instid1(VALU_DEP_3)
	v_sub_f32_e32 v17, v17, v23
	v_add_f32_e32 v47, v46, v20
	s_delay_alu instid0(VALU_DEP_1) | instskip(NEXT) | instid1(VALU_DEP_1)
	v_dual_sub_f32 v18, v18, v21 :: v_dual_sub_f32 v21, v47, v46
	v_add_f32_e32 v17, v18, v17
	s_delay_alu instid0(VALU_DEP_2) | instskip(NEXT) | instid1(VALU_DEP_1)
	v_sub_f32_e32 v18, v20, v21
	v_add_f32_e32 v17, v17, v18
	s_delay_alu instid0(VALU_DEP_1) | instskip(NEXT) | instid1(VALU_DEP_1)
	v_add_f32_e32 v17, v47, v17
	v_cndmask_b32_e64 v17, v17, v19, s0
	s_delay_alu instid0(VALU_DEP_1)
	v_add_f32_e32 v17, v16, v17
.LBB491_134:
	s_or_b32 exec_lo, exec_lo, s1
	s_delay_alu instid0(VALU_DEP_1) | instskip(SKIP_1) | instid1(VALU_DEP_2)
	v_bfe_u32 v16, v17, 16, 1
	v_cmp_o_f32_e64 s0, v17, v17
	v_add3_u32 v16, v17, v16, 0x7fff
	s_delay_alu instid0(VALU_DEP_1) | instskip(NEXT) | instid1(VALU_DEP_1)
	v_lshrrev_b32_e32 v16, 16, v16
	v_cndmask_b32_e64 v16, 0x7fc0, v16, s0
	s_delay_alu instid0(VALU_DEP_1) | instskip(NEXT) | instid1(VALU_DEP_1)
	v_lshlrev_b32_e32 v17, 16, v16
	v_max_f32_e32 v18, v17, v17
	v_cmp_u_f32_e64 s0, v17, v17
	s_delay_alu instid0(VALU_DEP_2) | instskip(SKIP_1) | instid1(VALU_DEP_2)
	v_min_f32_e32 v19, v18, v24
	v_max_f32_e32 v18, v18, v24
	v_cndmask_b32_e64 v19, v19, v17, s0
	s_delay_alu instid0(VALU_DEP_2) | instskip(NEXT) | instid1(VALU_DEP_2)
	v_cndmask_b32_e64 v20, v18, v17, s0
	v_cndmask_b32_e64 v18, v19, v11, s29
	s_delay_alu instid0(VALU_DEP_2) | instskip(NEXT) | instid1(VALU_DEP_2)
	v_cndmask_b32_e64 v11, v20, v11, s29
	v_cmp_class_f32_e64 s1, v18, 0x1f8
	s_delay_alu instid0(VALU_DEP_2) | instskip(NEXT) | instid1(VALU_DEP_1)
	v_cmp_neq_f32_e64 s0, v18, v11
	s_or_b32 s0, s0, s1
	s_delay_alu instid0(SALU_CYCLE_1)
	s_and_saveexec_b32 s1, s0
	s_cbranch_execz .LBB491_136
; %bb.135:
	v_sub_f32_e32 v17, v18, v11
	s_delay_alu instid0(VALU_DEP_1) | instskip(SKIP_1) | instid1(VALU_DEP_2)
	v_mul_f32_e32 v18, 0x3fb8aa3b, v17
	v_cmp_ngt_f32_e64 s0, 0xc2ce8ed0, v17
	v_fma_f32 v19, 0x3fb8aa3b, v17, -v18
	v_rndne_f32_e32 v20, v18
	s_delay_alu instid0(VALU_DEP_1) | instskip(NEXT) | instid1(VALU_DEP_1)
	v_dual_fmamk_f32 v19, v17, 0x32a5705f, v19 :: v_dual_sub_f32 v18, v18, v20
	v_add_f32_e32 v18, v18, v19
	v_cvt_i32_f32_e32 v19, v20
	s_delay_alu instid0(VALU_DEP_2) | instskip(SKIP_2) | instid1(VALU_DEP_1)
	v_exp_f32_e32 v18, v18
	s_waitcnt_depctr 0xfff
	v_ldexp_f32 v18, v18, v19
	v_cndmask_b32_e64 v18, 0, v18, s0
	v_cmp_nlt_f32_e64 s0, 0x42b17218, v17
	s_delay_alu instid0(VALU_DEP_1) | instskip(NEXT) | instid1(VALU_DEP_1)
	v_cndmask_b32_e64 v19, 0x7f800000, v18, s0
	v_add_f32_e32 v20, 1.0, v19
	v_cmp_gt_f32_e64 s23, 0x33800000, |v19|
	s_delay_alu instid0(VALU_DEP_2) | instskip(NEXT) | instid1(VALU_DEP_1)
	v_cvt_f64_f32_e32 v[17:18], v20
	v_frexp_exp_i32_f64_e32 v17, v[17:18]
	v_frexp_mant_f32_e32 v18, v20
	s_delay_alu instid0(VALU_DEP_1) | instskip(SKIP_1) | instid1(VALU_DEP_1)
	v_cmp_gt_f32_e64 s0, 0x3f2aaaab, v18
	v_add_f32_e32 v18, -1.0, v20
	v_dual_sub_f32 v23, v18, v20 :: v_dual_sub_f32 v18, v19, v18
	s_delay_alu instid0(VALU_DEP_1) | instskip(NEXT) | instid1(VALU_DEP_4)
	v_add_f32_e32 v23, 1.0, v23
	v_subrev_co_ci_u32_e64 v17, s0, 0, v17, s0
	s_mov_b32 s0, 0x3e9b6dac
	s_delay_alu instid0(VALU_DEP_1) | instskip(SKIP_1) | instid1(VALU_DEP_2)
	v_sub_nc_u32_e32 v21, 0, v17
	v_cvt_f32_i32_e32 v17, v17
	v_ldexp_f32 v20, v20, v21
	v_add_f32_e32 v18, v18, v23
	s_delay_alu instid0(VALU_DEP_2) | instskip(NEXT) | instid1(VALU_DEP_2)
	v_add_f32_e32 v24, 1.0, v20
	v_ldexp_f32 v18, v18, v21
	v_add_f32_e32 v21, -1.0, v20
	s_delay_alu instid0(VALU_DEP_3) | instskip(NEXT) | instid1(VALU_DEP_1)
	v_add_f32_e32 v23, -1.0, v24
	v_dual_sub_f32 v23, v20, v23 :: v_dual_add_f32 v46, 1.0, v21
	s_delay_alu instid0(VALU_DEP_1) | instskip(NEXT) | instid1(VALU_DEP_1)
	v_dual_add_f32 v23, v18, v23 :: v_dual_sub_f32 v20, v20, v46
	v_add_f32_e32 v46, v24, v23
	s_delay_alu instid0(VALU_DEP_2) | instskip(NEXT) | instid1(VALU_DEP_1)
	v_add_f32_e32 v18, v18, v20
	v_add_f32_e32 v47, v21, v18
	s_delay_alu instid0(VALU_DEP_1) | instskip(NEXT) | instid1(VALU_DEP_1)
	v_dual_sub_f32 v24, v24, v46 :: v_dual_sub_f32 v21, v21, v47
	v_add_f32_e32 v23, v23, v24
	v_rcp_f32_e32 v20, v46
	s_delay_alu instid0(VALU_DEP_2) | instskip(SKIP_2) | instid1(VALU_DEP_1)
	v_add_f32_e32 v18, v18, v21
	s_waitcnt_depctr 0xfff
	v_mul_f32_e32 v48, v47, v20
	v_mul_f32_e32 v49, v46, v48
	s_delay_alu instid0(VALU_DEP_1) | instskip(NEXT) | instid1(VALU_DEP_1)
	v_fma_f32 v24, v48, v46, -v49
	v_fmac_f32_e32 v24, v48, v23
	s_waitcnt lgkmcnt(0)
	s_delay_alu instid0(VALU_DEP_1) | instskip(NEXT) | instid1(VALU_DEP_1)
	v_add_f32_e32 v51, v49, v24
	v_sub_f32_e32 v21, v51, v49
	s_delay_alu instid0(VALU_DEP_1) | instskip(NEXT) | instid1(VALU_DEP_1)
	v_dual_sub_f32 v52, v47, v51 :: v_dual_sub_f32 v21, v21, v24
	v_sub_f32_e32 v47, v47, v52
	s_delay_alu instid0(VALU_DEP_1) | instskip(NEXT) | instid1(VALU_DEP_1)
	v_sub_f32_e32 v47, v47, v51
	v_add_f32_e32 v18, v18, v47
	s_delay_alu instid0(VALU_DEP_1) | instskip(NEXT) | instid1(VALU_DEP_1)
	v_add_f32_e32 v18, v21, v18
	v_add_f32_e32 v21, v52, v18
	s_delay_alu instid0(VALU_DEP_1) | instskip(SKIP_1) | instid1(VALU_DEP_2)
	v_mul_f32_e32 v24, v20, v21
	v_sub_f32_e32 v51, v52, v21
	v_mul_f32_e32 v47, v46, v24
	s_delay_alu instid0(VALU_DEP_2) | instskip(NEXT) | instid1(VALU_DEP_2)
	v_add_f32_e32 v18, v18, v51
	v_fma_f32 v46, v24, v46, -v47
	s_delay_alu instid0(VALU_DEP_1) | instskip(NEXT) | instid1(VALU_DEP_1)
	v_fmac_f32_e32 v46, v24, v23
	v_add_f32_e32 v23, v47, v46
	s_delay_alu instid0(VALU_DEP_1) | instskip(NEXT) | instid1(VALU_DEP_1)
	v_sub_f32_e32 v49, v21, v23
	v_sub_f32_e32 v21, v21, v49
	s_delay_alu instid0(VALU_DEP_1) | instskip(NEXT) | instid1(VALU_DEP_1)
	v_sub_f32_e32 v21, v21, v23
	v_dual_sub_f32 v47, v23, v47 :: v_dual_add_f32 v18, v18, v21
	v_add_f32_e32 v21, v48, v24
	s_delay_alu instid0(VALU_DEP_2) | instskip(NEXT) | instid1(VALU_DEP_1)
	v_sub_f32_e32 v23, v47, v46
	v_add_f32_e32 v18, v23, v18
	s_delay_alu instid0(VALU_DEP_1) | instskip(NEXT) | instid1(VALU_DEP_1)
	v_add_f32_e32 v18, v49, v18
	v_dual_sub_f32 v23, v21, v48 :: v_dual_mul_f32 v18, v20, v18
	s_delay_alu instid0(VALU_DEP_1) | instskip(NEXT) | instid1(VALU_DEP_1)
	v_sub_f32_e32 v23, v24, v23
	v_add_f32_e32 v18, v23, v18
	s_delay_alu instid0(VALU_DEP_1) | instskip(NEXT) | instid1(VALU_DEP_1)
	v_add_f32_e32 v20, v21, v18
	v_mul_f32_e32 v23, v20, v20
	s_delay_alu instid0(VALU_DEP_1) | instskip(SKIP_2) | instid1(VALU_DEP_3)
	v_fmaak_f32 v24, s0, v23, 0x3ecc95a3
	v_mul_f32_e32 v46, v20, v23
	v_cmp_eq_f32_e64 s0, 0x7f800000, v19
	v_fmaak_f32 v23, v23, v24, 0x3f2aaada
	v_ldexp_f32 v24, v20, 1
	v_sub_f32_e32 v20, v20, v21
	s_delay_alu instid0(VALU_DEP_4) | instskip(NEXT) | instid1(VALU_DEP_3)
	s_or_b32 s0, s0, s23
	v_dual_mul_f32 v23, v46, v23 :: v_dual_mul_f32 v46, 0x3f317218, v17
	s_delay_alu instid0(VALU_DEP_1) | instskip(NEXT) | instid1(VALU_DEP_1)
	v_dual_sub_f32 v18, v18, v20 :: v_dual_add_f32 v21, v24, v23
	v_ldexp_f32 v18, v18, 1
	s_delay_alu instid0(VALU_DEP_2) | instskip(NEXT) | instid1(VALU_DEP_4)
	v_sub_f32_e32 v20, v21, v24
	v_fma_f32 v24, 0x3f317218, v17, -v46
	s_delay_alu instid0(VALU_DEP_1) | instskip(NEXT) | instid1(VALU_DEP_1)
	v_dual_sub_f32 v20, v23, v20 :: v_dual_fmamk_f32 v17, v17, 0xb102e308, v24
	v_add_f32_e32 v18, v18, v20
	s_delay_alu instid0(VALU_DEP_1) | instskip(NEXT) | instid1(VALU_DEP_1)
	v_dual_add_f32 v20, v46, v17 :: v_dual_add_f32 v23, v21, v18
	v_dual_sub_f32 v46, v20, v46 :: v_dual_sub_f32 v21, v23, v21
	s_delay_alu instid0(VALU_DEP_1) | instskip(SKIP_1) | instid1(VALU_DEP_1)
	v_dual_sub_f32 v17, v17, v46 :: v_dual_sub_f32 v18, v18, v21
	v_add_f32_e32 v24, v20, v23
	v_sub_f32_e32 v47, v24, v20
	s_delay_alu instid0(VALU_DEP_1) | instskip(NEXT) | instid1(VALU_DEP_4)
	v_sub_f32_e32 v21, v23, v47
	v_dual_add_f32 v23, v17, v18 :: v_dual_sub_f32 v48, v24, v47
	s_delay_alu instid0(VALU_DEP_1) | instskip(NEXT) | instid1(VALU_DEP_1)
	v_sub_f32_e32 v20, v20, v48
	v_dual_add_f32 v20, v21, v20 :: v_dual_sub_f32 v21, v23, v17
	s_delay_alu instid0(VALU_DEP_1) | instskip(NEXT) | instid1(VALU_DEP_1)
	v_add_f32_e32 v20, v23, v20
	v_dual_sub_f32 v23, v23, v21 :: v_dual_add_f32 v46, v24, v20
	s_delay_alu instid0(VALU_DEP_1) | instskip(NEXT) | instid1(VALU_DEP_2)
	v_dual_sub_f32 v17, v17, v23 :: v_dual_sub_f32 v18, v18, v21
	v_sub_f32_e32 v21, v46, v24
	s_delay_alu instid0(VALU_DEP_2) | instskip(NEXT) | instid1(VALU_DEP_2)
	v_add_f32_e32 v17, v18, v17
	v_sub_f32_e32 v18, v20, v21
	s_delay_alu instid0(VALU_DEP_1) | instskip(NEXT) | instid1(VALU_DEP_1)
	v_add_f32_e32 v17, v17, v18
	v_add_f32_e32 v17, v46, v17
	s_delay_alu instid0(VALU_DEP_1) | instskip(NEXT) | instid1(VALU_DEP_1)
	v_cndmask_b32_e64 v17, v17, v19, s0
	v_add_f32_e32 v17, v11, v17
.LBB491_136:
	s_or_b32 exec_lo, exec_lo, s1
	s_delay_alu instid0(VALU_DEP_1) | instskip(SKIP_1) | instid1(VALU_DEP_2)
	v_bfe_u32 v11, v17, 16, 1
	v_cmp_o_f32_e64 s0, v17, v17
	v_add3_u32 v11, v17, v11, 0x7fff
	s_delay_alu instid0(VALU_DEP_1) | instskip(NEXT) | instid1(VALU_DEP_1)
	v_lshrrev_b32_e32 v11, 16, v11
	v_cndmask_b32_e64 v11, 0x7fc0, v11, s0
	s_delay_alu instid0(VALU_DEP_1) | instskip(NEXT) | instid1(VALU_DEP_1)
	v_lshlrev_b32_e32 v18, 16, v11
	v_max_f32_e32 v17, v18, v18
	s_delay_alu instid0(VALU_DEP_1) | instskip(SKIP_2) | instid1(VALU_DEP_1)
	v_min_f32_e32 v19, v17, v26
	v_max_f32_e32 v17, v17, v26
	v_cmp_u_f32_e64 s0, v18, v18
	v_cndmask_b32_e64 v19, v19, v18, s0
	s_delay_alu instid0(VALU_DEP_3) | instskip(NEXT) | instid1(VALU_DEP_2)
	v_cndmask_b32_e64 v17, v17, v18, s0
	v_cndmask_b32_e64 v19, v19, v22, s30
	s_delay_alu instid0(VALU_DEP_2) | instskip(NEXT) | instid1(VALU_DEP_2)
	v_cndmask_b32_e64 v17, v17, v22, s30
	v_cmp_class_f32_e64 s1, v19, 0x1f8
	s_delay_alu instid0(VALU_DEP_2) | instskip(NEXT) | instid1(VALU_DEP_1)
	v_cmp_neq_f32_e64 s0, v19, v17
	s_or_b32 s0, s0, s1
	s_delay_alu instid0(SALU_CYCLE_1)
	s_and_saveexec_b32 s1, s0
	s_cbranch_execz .LBB491_138
; %bb.137:
	v_sub_f32_e32 v18, v19, v17
	s_delay_alu instid0(VALU_DEP_1) | instskip(SKIP_1) | instid1(VALU_DEP_2)
	v_mul_f32_e32 v19, 0x3fb8aa3b, v18
	v_cmp_ngt_f32_e64 s0, 0xc2ce8ed0, v18
	v_fma_f32 v20, 0x3fb8aa3b, v18, -v19
	v_rndne_f32_e32 v21, v19
	s_delay_alu instid0(VALU_DEP_1) | instskip(NEXT) | instid1(VALU_DEP_1)
	v_dual_fmamk_f32 v20, v18, 0x32a5705f, v20 :: v_dual_sub_f32 v19, v19, v21
	v_add_f32_e32 v19, v19, v20
	v_cvt_i32_f32_e32 v20, v21
	s_delay_alu instid0(VALU_DEP_2) | instskip(SKIP_2) | instid1(VALU_DEP_1)
	v_exp_f32_e32 v19, v19
	s_waitcnt_depctr 0xfff
	v_ldexp_f32 v19, v19, v20
	v_cndmask_b32_e64 v19, 0, v19, s0
	v_cmp_nlt_f32_e64 s0, 0x42b17218, v18
	s_delay_alu instid0(VALU_DEP_1) | instskip(NEXT) | instid1(VALU_DEP_1)
	v_cndmask_b32_e64 v20, 0x7f800000, v19, s0
	v_add_f32_e32 v21, 1.0, v20
	v_cmp_gt_f32_e64 s23, 0x33800000, |v20|
	s_delay_alu instid0(VALU_DEP_2) | instskip(NEXT) | instid1(VALU_DEP_1)
	v_cvt_f64_f32_e32 v[18:19], v21
	v_frexp_exp_i32_f64_e32 v18, v[18:19]
	v_frexp_mant_f32_e32 v19, v21
	s_delay_alu instid0(VALU_DEP_1) | instskip(SKIP_1) | instid1(VALU_DEP_1)
	v_cmp_gt_f32_e64 s0, 0x3f2aaaab, v19
	v_add_f32_e32 v19, -1.0, v21
	v_sub_f32_e32 v23, v19, v21
	v_sub_f32_e32 v19, v20, v19
	s_delay_alu instid0(VALU_DEP_4) | instskip(SKIP_1) | instid1(VALU_DEP_1)
	v_subrev_co_ci_u32_e64 v18, s0, 0, v18, s0
	s_mov_b32 s0, 0x3e9b6dac
	v_sub_nc_u32_e32 v22, 0, v18
	v_cvt_f32_i32_e32 v18, v18
	s_delay_alu instid0(VALU_DEP_2) | instskip(NEXT) | instid1(VALU_DEP_1)
	v_ldexp_f32 v21, v21, v22
	v_dual_add_f32 v24, 1.0, v21 :: v_dual_add_f32 v23, 1.0, v23
	s_delay_alu instid0(VALU_DEP_1) | instskip(NEXT) | instid1(VALU_DEP_2)
	v_add_f32_e32 v19, v19, v23
	v_add_f32_e32 v23, -1.0, v24
	s_delay_alu instid0(VALU_DEP_2) | instskip(NEXT) | instid1(VALU_DEP_2)
	v_ldexp_f32 v19, v19, v22
	v_dual_add_f32 v22, -1.0, v21 :: v_dual_sub_f32 v23, v21, v23
	s_delay_alu instid0(VALU_DEP_1) | instskip(NEXT) | instid1(VALU_DEP_1)
	v_dual_add_f32 v26, 1.0, v22 :: v_dual_add_f32 v23, v19, v23
	v_dual_sub_f32 v21, v21, v26 :: v_dual_add_f32 v26, v24, v23
	s_delay_alu instid0(VALU_DEP_1) | instskip(NEXT) | instid1(VALU_DEP_2)
	v_add_f32_e32 v19, v19, v21
	v_rcp_f32_e32 v21, v26
	v_sub_f32_e32 v24, v24, v26
	s_delay_alu instid0(VALU_DEP_1) | instskip(NEXT) | instid1(VALU_DEP_1)
	v_dual_add_f32 v46, v22, v19 :: v_dual_add_f32 v23, v23, v24
	v_sub_f32_e32 v22, v22, v46
	s_waitcnt_depctr 0xfff
	v_mul_f32_e32 v47, v46, v21
	s_delay_alu instid0(VALU_DEP_1) | instskip(NEXT) | instid1(VALU_DEP_1)
	v_mul_f32_e32 v48, v26, v47
	v_fma_f32 v24, v47, v26, -v48
	s_delay_alu instid0(VALU_DEP_1) | instskip(NEXT) | instid1(VALU_DEP_1)
	v_fmac_f32_e32 v24, v47, v23
	v_add_f32_e32 v49, v48, v24
	s_waitcnt lgkmcnt(0)
	s_delay_alu instid0(VALU_DEP_1) | instskip(NEXT) | instid1(VALU_DEP_1)
	v_sub_f32_e32 v51, v46, v49
	v_dual_sub_f32 v46, v46, v51 :: v_dual_add_f32 v19, v19, v22
	v_sub_f32_e32 v22, v49, v48
	s_delay_alu instid0(VALU_DEP_2) | instskip(NEXT) | instid1(VALU_DEP_1)
	v_sub_f32_e32 v46, v46, v49
	v_dual_sub_f32 v22, v22, v24 :: v_dual_add_f32 v19, v19, v46
	s_delay_alu instid0(VALU_DEP_1) | instskip(NEXT) | instid1(VALU_DEP_1)
	v_add_f32_e32 v19, v22, v19
	v_add_f32_e32 v22, v51, v19
	s_delay_alu instid0(VALU_DEP_1) | instskip(NEXT) | instid1(VALU_DEP_1)
	v_mul_f32_e32 v24, v21, v22
	v_mul_f32_e32 v46, v26, v24
	s_delay_alu instid0(VALU_DEP_1) | instskip(NEXT) | instid1(VALU_DEP_1)
	v_fma_f32 v26, v24, v26, -v46
	v_fmac_f32_e32 v26, v24, v23
	s_delay_alu instid0(VALU_DEP_1) | instskip(NEXT) | instid1(VALU_DEP_1)
	v_add_f32_e32 v23, v46, v26
	v_dual_sub_f32 v48, v22, v23 :: v_dual_sub_f32 v49, v51, v22
	v_sub_f32_e32 v46, v23, v46
	s_delay_alu instid0(VALU_DEP_2) | instskip(NEXT) | instid1(VALU_DEP_1)
	v_dual_sub_f32 v22, v22, v48 :: v_dual_add_f32 v19, v19, v49
	v_sub_f32_e32 v22, v22, v23
	s_delay_alu instid0(VALU_DEP_3) | instskip(NEXT) | instid1(VALU_DEP_2)
	v_sub_f32_e32 v23, v46, v26
	v_add_f32_e32 v19, v19, v22
	v_add_f32_e32 v22, v47, v24
	s_delay_alu instid0(VALU_DEP_2) | instskip(NEXT) | instid1(VALU_DEP_2)
	v_add_f32_e32 v19, v23, v19
	v_sub_f32_e32 v23, v22, v47
	s_delay_alu instid0(VALU_DEP_2) | instskip(NEXT) | instid1(VALU_DEP_2)
	v_add_f32_e32 v19, v48, v19
	v_sub_f32_e32 v23, v24, v23
	s_delay_alu instid0(VALU_DEP_2) | instskip(NEXT) | instid1(VALU_DEP_1)
	v_mul_f32_e32 v19, v21, v19
	v_add_f32_e32 v19, v23, v19
	s_delay_alu instid0(VALU_DEP_1) | instskip(NEXT) | instid1(VALU_DEP_1)
	v_add_f32_e32 v21, v22, v19
	v_mul_f32_e32 v23, v21, v21
	s_delay_alu instid0(VALU_DEP_1) | instskip(SKIP_2) | instid1(VALU_DEP_3)
	v_fmaak_f32 v24, s0, v23, 0x3ecc95a3
	v_mul_f32_e32 v26, v21, v23
	v_cmp_eq_f32_e64 s0, 0x7f800000, v20
	v_fmaak_f32 v23, v23, v24, 0x3f2aaada
	v_ldexp_f32 v24, v21, 1
	s_delay_alu instid0(VALU_DEP_3) | instskip(NEXT) | instid1(VALU_DEP_2)
	s_or_b32 s0, s0, s23
	v_mul_f32_e32 v23, v26, v23
	v_sub_f32_e32 v21, v21, v22
	v_mul_f32_e32 v26, 0x3f317218, v18
	s_delay_alu instid0(VALU_DEP_2) | instskip(NEXT) | instid1(VALU_DEP_1)
	v_dual_add_f32 v22, v24, v23 :: v_dual_sub_f32 v19, v19, v21
	v_sub_f32_e32 v21, v22, v24
	s_delay_alu instid0(VALU_DEP_3) | instskip(NEXT) | instid1(VALU_DEP_3)
	v_fma_f32 v24, 0x3f317218, v18, -v26
	v_ldexp_f32 v19, v19, 1
	s_delay_alu instid0(VALU_DEP_2) | instskip(NEXT) | instid1(VALU_DEP_1)
	v_dual_sub_f32 v21, v23, v21 :: v_dual_fmamk_f32 v18, v18, 0xb102e308, v24
	v_add_f32_e32 v19, v19, v21
	s_delay_alu instid0(VALU_DEP_2) | instskip(NEXT) | instid1(VALU_DEP_1)
	v_add_f32_e32 v21, v26, v18
	v_dual_add_f32 v23, v22, v19 :: v_dual_sub_f32 v26, v21, v26
	s_delay_alu instid0(VALU_DEP_1) | instskip(SKIP_1) | instid1(VALU_DEP_3)
	v_add_f32_e32 v24, v21, v23
	v_sub_f32_e32 v22, v23, v22
	v_sub_f32_e32 v18, v18, v26
	s_delay_alu instid0(VALU_DEP_2) | instskip(NEXT) | instid1(VALU_DEP_1)
	v_dual_sub_f32 v46, v24, v21 :: v_dual_sub_f32 v19, v19, v22
	v_sub_f32_e32 v47, v24, v46
	s_delay_alu instid0(VALU_DEP_2) | instskip(NEXT) | instid1(VALU_DEP_2)
	v_dual_sub_f32 v22, v23, v46 :: v_dual_add_f32 v23, v18, v19
	v_sub_f32_e32 v21, v21, v47
	s_delay_alu instid0(VALU_DEP_1) | instskip(NEXT) | instid1(VALU_DEP_1)
	v_dual_add_f32 v21, v22, v21 :: v_dual_sub_f32 v22, v23, v18
	v_add_f32_e32 v21, v23, v21
	s_delay_alu instid0(VALU_DEP_2) | instskip(NEXT) | instid1(VALU_DEP_2)
	v_sub_f32_e32 v23, v23, v22
	v_dual_sub_f32 v19, v19, v22 :: v_dual_add_f32 v26, v24, v21
	s_delay_alu instid0(VALU_DEP_2) | instskip(NEXT) | instid1(VALU_DEP_2)
	v_sub_f32_e32 v18, v18, v23
	v_sub_f32_e32 v22, v26, v24
	s_delay_alu instid0(VALU_DEP_2) | instskip(NEXT) | instid1(VALU_DEP_2)
	v_add_f32_e32 v18, v19, v18
	v_sub_f32_e32 v19, v21, v22
	s_delay_alu instid0(VALU_DEP_1) | instskip(NEXT) | instid1(VALU_DEP_1)
	v_add_f32_e32 v18, v18, v19
	v_add_f32_e32 v18, v26, v18
	s_delay_alu instid0(VALU_DEP_1) | instskip(NEXT) | instid1(VALU_DEP_1)
	v_cndmask_b32_e64 v18, v18, v20, s0
	v_add_f32_e32 v18, v17, v18
.LBB491_138:
	s_or_b32 exec_lo, exec_lo, s1
	s_delay_alu instid0(VALU_DEP_1) | instskip(SKIP_1) | instid1(VALU_DEP_2)
	v_bfe_u32 v17, v18, 16, 1
	v_cmp_o_f32_e64 s0, v18, v18
	v_add3_u32 v17, v18, v17, 0x7fff
	s_delay_alu instid0(VALU_DEP_1) | instskip(NEXT) | instid1(VALU_DEP_1)
	v_lshrrev_b32_e32 v17, 16, v17
	v_cndmask_b32_e64 v17, 0x7fc0, v17, s0
	s_delay_alu instid0(VALU_DEP_1) | instskip(NEXT) | instid1(VALU_DEP_1)
	v_lshlrev_b32_e32 v18, 16, v17
	v_max_f32_e32 v19, v18, v18
	s_delay_alu instid0(VALU_DEP_1) | instskip(SKIP_2) | instid1(VALU_DEP_1)
	v_min_f32_e32 v20, v19, v27
	v_max_f32_e32 v19, v19, v27
	v_cmp_u_f32_e64 s0, v18, v18
	v_cndmask_b32_e64 v20, v20, v18, s0
	s_delay_alu instid0(VALU_DEP_3) | instskip(NEXT) | instid1(VALU_DEP_2)
	v_cndmask_b32_e64 v21, v19, v18, s0
	v_cndmask_b32_e64 v19, v20, v8, s31
	s_delay_alu instid0(VALU_DEP_2) | instskip(NEXT) | instid1(VALU_DEP_2)
	v_cndmask_b32_e64 v8, v21, v8, s31
	v_cmp_class_f32_e64 s1, v19, 0x1f8
	s_delay_alu instid0(VALU_DEP_2) | instskip(NEXT) | instid1(VALU_DEP_1)
	v_cmp_neq_f32_e64 s0, v19, v8
	s_or_b32 s0, s0, s1
	s_delay_alu instid0(SALU_CYCLE_1)
	s_and_saveexec_b32 s1, s0
	s_cbranch_execz .LBB491_140
; %bb.139:
	v_sub_f32_e32 v18, v19, v8
	s_delay_alu instid0(VALU_DEP_1) | instskip(SKIP_1) | instid1(VALU_DEP_2)
	v_mul_f32_e32 v19, 0x3fb8aa3b, v18
	v_cmp_ngt_f32_e64 s0, 0xc2ce8ed0, v18
	v_fma_f32 v20, 0x3fb8aa3b, v18, -v19
	v_rndne_f32_e32 v21, v19
	s_delay_alu instid0(VALU_DEP_1) | instskip(NEXT) | instid1(VALU_DEP_1)
	v_dual_fmamk_f32 v20, v18, 0x32a5705f, v20 :: v_dual_sub_f32 v19, v19, v21
	v_add_f32_e32 v19, v19, v20
	v_cvt_i32_f32_e32 v20, v21
	s_delay_alu instid0(VALU_DEP_2) | instskip(SKIP_2) | instid1(VALU_DEP_1)
	v_exp_f32_e32 v19, v19
	s_waitcnt_depctr 0xfff
	v_ldexp_f32 v19, v19, v20
	v_cndmask_b32_e64 v19, 0, v19, s0
	v_cmp_nlt_f32_e64 s0, 0x42b17218, v18
	s_delay_alu instid0(VALU_DEP_1) | instskip(NEXT) | instid1(VALU_DEP_1)
	v_cndmask_b32_e64 v20, 0x7f800000, v19, s0
	v_add_f32_e32 v21, 1.0, v20
	v_cmp_gt_f32_e64 s23, 0x33800000, |v20|
	s_delay_alu instid0(VALU_DEP_2) | instskip(NEXT) | instid1(VALU_DEP_1)
	v_cvt_f64_f32_e32 v[18:19], v21
	v_frexp_exp_i32_f64_e32 v18, v[18:19]
	v_frexp_mant_f32_e32 v19, v21
	s_delay_alu instid0(VALU_DEP_1) | instskip(SKIP_1) | instid1(VALU_DEP_1)
	v_cmp_gt_f32_e64 s0, 0x3f2aaaab, v19
	v_add_f32_e32 v19, -1.0, v21
	v_sub_f32_e32 v23, v19, v21
	v_sub_f32_e32 v19, v20, v19
	s_delay_alu instid0(VALU_DEP_2) | instskip(NEXT) | instid1(VALU_DEP_1)
	v_add_f32_e32 v23, 1.0, v23
	v_add_f32_e32 v19, v19, v23
	v_subrev_co_ci_u32_e64 v18, s0, 0, v18, s0
	s_mov_b32 s0, 0x3e9b6dac
	s_delay_alu instid0(VALU_DEP_1) | instskip(SKIP_1) | instid1(VALU_DEP_2)
	v_sub_nc_u32_e32 v22, 0, v18
	v_cvt_f32_i32_e32 v18, v18
	v_ldexp_f32 v21, v21, v22
	v_ldexp_f32 v19, v19, v22
	s_delay_alu instid0(VALU_DEP_2) | instskip(NEXT) | instid1(VALU_DEP_1)
	v_add_f32_e32 v24, 1.0, v21
	v_dual_add_f32 v22, -1.0, v21 :: v_dual_add_f32 v23, -1.0, v24
	s_delay_alu instid0(VALU_DEP_1) | instskip(NEXT) | instid1(VALU_DEP_1)
	v_dual_add_f32 v26, 1.0, v22 :: v_dual_sub_f32 v23, v21, v23
	v_add_f32_e32 v23, v19, v23
	s_delay_alu instid0(VALU_DEP_1) | instskip(NEXT) | instid1(VALU_DEP_1)
	v_dual_sub_f32 v21, v21, v26 :: v_dual_add_f32 v26, v24, v23
	v_sub_f32_e32 v24, v24, v26
	s_delay_alu instid0(VALU_DEP_1) | instskip(NEXT) | instid1(VALU_DEP_3)
	v_add_f32_e32 v23, v23, v24
	v_add_f32_e32 v19, v19, v21
	v_rcp_f32_e32 v21, v26
	s_delay_alu instid0(VALU_DEP_1) | instskip(NEXT) | instid1(VALU_DEP_1)
	v_add_f32_e32 v27, v22, v19
	v_sub_f32_e32 v22, v22, v27
	s_waitcnt_depctr 0xfff
	v_mul_f32_e32 v46, v27, v21
	s_delay_alu instid0(VALU_DEP_1) | instskip(NEXT) | instid1(VALU_DEP_1)
	v_mul_f32_e32 v47, v26, v46
	v_fma_f32 v24, v46, v26, -v47
	s_delay_alu instid0(VALU_DEP_1) | instskip(NEXT) | instid1(VALU_DEP_1)
	v_dual_fmac_f32 v24, v46, v23 :: v_dual_add_f32 v19, v19, v22
	v_add_f32_e32 v48, v47, v24
	s_delay_alu instid0(VALU_DEP_1) | instskip(NEXT) | instid1(VALU_DEP_1)
	v_dual_sub_f32 v22, v48, v47 :: v_dual_sub_f32 v49, v27, v48
	v_dual_sub_f32 v22, v22, v24 :: v_dual_sub_f32 v27, v27, v49
	s_delay_alu instid0(VALU_DEP_1) | instskip(NEXT) | instid1(VALU_DEP_1)
	v_sub_f32_e32 v27, v27, v48
	v_add_f32_e32 v19, v19, v27
	s_delay_alu instid0(VALU_DEP_1) | instskip(NEXT) | instid1(VALU_DEP_1)
	v_add_f32_e32 v19, v22, v19
	v_add_f32_e32 v22, v49, v19
	s_delay_alu instid0(VALU_DEP_1) | instskip(NEXT) | instid1(VALU_DEP_1)
	v_mul_f32_e32 v24, v21, v22
	v_mul_f32_e32 v27, v26, v24
	s_delay_alu instid0(VALU_DEP_1) | instskip(NEXT) | instid1(VALU_DEP_1)
	v_fma_f32 v26, v24, v26, -v27
	v_fmac_f32_e32 v26, v24, v23
	v_sub_f32_e32 v48, v49, v22
	s_delay_alu instid0(VALU_DEP_2) | instskip(NEXT) | instid1(VALU_DEP_2)
	v_add_f32_e32 v23, v27, v26
	v_add_f32_e32 v19, v19, v48
	s_delay_alu instid0(VALU_DEP_2) | instskip(SKIP_1) | instid1(VALU_DEP_2)
	v_sub_f32_e32 v47, v22, v23
	v_sub_f32_e32 v27, v23, v27
	;; [unrolled: 1-line block ×3, first 2 shown]
	s_delay_alu instid0(VALU_DEP_1) | instskip(NEXT) | instid1(VALU_DEP_1)
	v_dual_sub_f32 v22, v22, v23 :: v_dual_sub_f32 v23, v27, v26
	v_dual_add_f32 v19, v19, v22 :: v_dual_add_f32 v22, v46, v24
	s_delay_alu instid0(VALU_DEP_1) | instskip(NEXT) | instid1(VALU_DEP_2)
	v_add_f32_e32 v19, v23, v19
	v_sub_f32_e32 v23, v22, v46
	s_delay_alu instid0(VALU_DEP_2) | instskip(NEXT) | instid1(VALU_DEP_2)
	v_add_f32_e32 v19, v47, v19
	v_sub_f32_e32 v23, v24, v23
	s_delay_alu instid0(VALU_DEP_2) | instskip(NEXT) | instid1(VALU_DEP_1)
	v_mul_f32_e32 v19, v21, v19
	v_add_f32_e32 v19, v23, v19
	s_delay_alu instid0(VALU_DEP_1) | instskip(NEXT) | instid1(VALU_DEP_1)
	v_add_f32_e32 v21, v22, v19
	v_mul_f32_e32 v23, v21, v21
	s_delay_alu instid0(VALU_DEP_1) | instskip(SKIP_2) | instid1(VALU_DEP_3)
	v_fmaak_f32 v24, s0, v23, 0x3ecc95a3
	v_mul_f32_e32 v26, v21, v23
	v_cmp_eq_f32_e64 s0, 0x7f800000, v20
	v_fmaak_f32 v23, v23, v24, 0x3f2aaada
	v_ldexp_f32 v24, v21, 1
	v_sub_f32_e32 v21, v21, v22
	s_delay_alu instid0(VALU_DEP_4) | instskip(NEXT) | instid1(VALU_DEP_3)
	s_or_b32 s0, s0, s23
	v_dual_mul_f32 v23, v26, v23 :: v_dual_mul_f32 v26, 0x3f317218, v18
	s_delay_alu instid0(VALU_DEP_1) | instskip(NEXT) | instid1(VALU_DEP_1)
	v_dual_sub_f32 v19, v19, v21 :: v_dual_add_f32 v22, v24, v23
	v_ldexp_f32 v19, v19, 1
	s_delay_alu instid0(VALU_DEP_2) | instskip(NEXT) | instid1(VALU_DEP_4)
	v_sub_f32_e32 v21, v22, v24
	v_fma_f32 v24, 0x3f317218, v18, -v26
	s_delay_alu instid0(VALU_DEP_1) | instskip(NEXT) | instid1(VALU_DEP_1)
	v_dual_sub_f32 v21, v23, v21 :: v_dual_fmamk_f32 v18, v18, 0xb102e308, v24
	v_add_f32_e32 v19, v19, v21
	s_delay_alu instid0(VALU_DEP_2) | instskip(NEXT) | instid1(VALU_DEP_1)
	v_add_f32_e32 v21, v26, v18
	v_dual_add_f32 v23, v22, v19 :: v_dual_sub_f32 v26, v21, v26
	s_delay_alu instid0(VALU_DEP_1) | instskip(SKIP_1) | instid1(VALU_DEP_2)
	v_add_f32_e32 v24, v21, v23
	v_sub_f32_e32 v22, v23, v22
	v_dual_sub_f32 v18, v18, v26 :: v_dual_sub_f32 v27, v24, v21
	s_delay_alu instid0(VALU_DEP_1) | instskip(SKIP_1) | instid1(VALU_DEP_2)
	v_dual_sub_f32 v19, v19, v22 :: v_dual_sub_f32 v46, v24, v27
	v_sub_f32_e32 v22, v23, v27
	v_add_f32_e32 v23, v18, v19
	s_delay_alu instid0(VALU_DEP_3) | instskip(NEXT) | instid1(VALU_DEP_1)
	v_sub_f32_e32 v21, v21, v46
	v_dual_add_f32 v21, v22, v21 :: v_dual_sub_f32 v22, v23, v18
	s_delay_alu instid0(VALU_DEP_1) | instskip(NEXT) | instid1(VALU_DEP_2)
	v_add_f32_e32 v21, v23, v21
	v_sub_f32_e32 v23, v23, v22
	s_delay_alu instid0(VALU_DEP_2) | instskip(NEXT) | instid1(VALU_DEP_2)
	v_dual_sub_f32 v19, v19, v22 :: v_dual_add_f32 v26, v24, v21
	v_sub_f32_e32 v18, v18, v23
	s_delay_alu instid0(VALU_DEP_2) | instskip(NEXT) | instid1(VALU_DEP_2)
	v_sub_f32_e32 v22, v26, v24
	v_add_f32_e32 v18, v19, v18
	s_delay_alu instid0(VALU_DEP_2) | instskip(NEXT) | instid1(VALU_DEP_1)
	v_sub_f32_e32 v19, v21, v22
	v_add_f32_e32 v18, v18, v19
	s_delay_alu instid0(VALU_DEP_1) | instskip(NEXT) | instid1(VALU_DEP_1)
	v_add_f32_e32 v18, v26, v18
	v_cndmask_b32_e64 v18, v18, v20, s0
	s_delay_alu instid0(VALU_DEP_1)
	v_add_f32_e32 v18, v8, v18
.LBB491_140:
	s_or_b32 exec_lo, exec_lo, s1
	s_delay_alu instid0(VALU_DEP_1) | instskip(SKIP_1) | instid1(VALU_DEP_2)
	v_bfe_u32 v8, v18, 16, 1
	v_cmp_o_f32_e64 s0, v18, v18
	v_add3_u32 v8, v18, v8, 0x7fff
	s_delay_alu instid0(VALU_DEP_1) | instskip(NEXT) | instid1(VALU_DEP_1)
	v_lshrrev_b32_e32 v8, 16, v8
	v_cndmask_b32_e64 v8, 0x7fc0, v8, s0
	s_delay_alu instid0(VALU_DEP_1) | instskip(NEXT) | instid1(VALU_DEP_1)
	v_lshlrev_b32_e32 v19, 16, v8
	v_max_f32_e32 v18, v19, v19
	s_delay_alu instid0(VALU_DEP_1) | instskip(SKIP_2) | instid1(VALU_DEP_1)
	v_min_f32_e32 v20, v18, v29
	v_max_f32_e32 v18, v18, v29
	v_cmp_u_f32_e64 s0, v19, v19
	v_cndmask_b32_e64 v20, v20, v19, s0
	s_delay_alu instid0(VALU_DEP_3) | instskip(NEXT) | instid1(VALU_DEP_2)
	v_cndmask_b32_e64 v18, v18, v19, s0
	v_cndmask_b32_e64 v20, v20, v25, s33
	s_delay_alu instid0(VALU_DEP_2) | instskip(NEXT) | instid1(VALU_DEP_2)
	v_cndmask_b32_e64 v18, v18, v25, s33
	v_cmp_class_f32_e64 s1, v20, 0x1f8
	s_delay_alu instid0(VALU_DEP_2) | instskip(NEXT) | instid1(VALU_DEP_1)
	v_cmp_neq_f32_e64 s0, v20, v18
	s_or_b32 s0, s0, s1
	s_delay_alu instid0(SALU_CYCLE_1)
	s_and_saveexec_b32 s1, s0
	s_cbranch_execz .LBB491_142
; %bb.141:
	v_sub_f32_e32 v19, v20, v18
	s_delay_alu instid0(VALU_DEP_1) | instskip(SKIP_1) | instid1(VALU_DEP_2)
	v_mul_f32_e32 v20, 0x3fb8aa3b, v19
	v_cmp_ngt_f32_e64 s0, 0xc2ce8ed0, v19
	v_fma_f32 v21, 0x3fb8aa3b, v19, -v20
	v_rndne_f32_e32 v22, v20
	s_delay_alu instid0(VALU_DEP_1) | instskip(NEXT) | instid1(VALU_DEP_1)
	v_dual_fmamk_f32 v21, v19, 0x32a5705f, v21 :: v_dual_sub_f32 v20, v20, v22
	v_add_f32_e32 v20, v20, v21
	v_cvt_i32_f32_e32 v21, v22
	s_delay_alu instid0(VALU_DEP_2) | instskip(SKIP_2) | instid1(VALU_DEP_1)
	v_exp_f32_e32 v20, v20
	s_waitcnt_depctr 0xfff
	v_ldexp_f32 v20, v20, v21
	v_cndmask_b32_e64 v20, 0, v20, s0
	v_cmp_nlt_f32_e64 s0, 0x42b17218, v19
	s_delay_alu instid0(VALU_DEP_1) | instskip(NEXT) | instid1(VALU_DEP_1)
	v_cndmask_b32_e64 v21, 0x7f800000, v20, s0
	v_add_f32_e32 v22, 1.0, v21
	v_cmp_gt_f32_e64 s23, 0x33800000, |v21|
	s_delay_alu instid0(VALU_DEP_2) | instskip(NEXT) | instid1(VALU_DEP_1)
	v_cvt_f64_f32_e32 v[19:20], v22
	v_frexp_exp_i32_f64_e32 v19, v[19:20]
	v_frexp_mant_f32_e32 v20, v22
	s_delay_alu instid0(VALU_DEP_1) | instskip(SKIP_1) | instid1(VALU_DEP_1)
	v_cmp_gt_f32_e64 s0, 0x3f2aaaab, v20
	v_add_f32_e32 v20, -1.0, v22
	v_sub_f32_e32 v24, v20, v22
	v_sub_f32_e32 v20, v21, v20
	s_delay_alu instid0(VALU_DEP_4) | instskip(SKIP_1) | instid1(VALU_DEP_1)
	v_subrev_co_ci_u32_e64 v19, s0, 0, v19, s0
	s_mov_b32 s0, 0x3e9b6dac
	v_sub_nc_u32_e32 v23, 0, v19
	v_cvt_f32_i32_e32 v19, v19
	s_delay_alu instid0(VALU_DEP_2) | instskip(NEXT) | instid1(VALU_DEP_1)
	v_ldexp_f32 v22, v22, v23
	v_dual_add_f32 v25, 1.0, v22 :: v_dual_add_f32 v24, 1.0, v24
	s_delay_alu instid0(VALU_DEP_1) | instskip(NEXT) | instid1(VALU_DEP_1)
	v_add_f32_e32 v20, v20, v24
	v_ldexp_f32 v20, v20, v23
	s_delay_alu instid0(VALU_DEP_3) | instskip(NEXT) | instid1(VALU_DEP_1)
	v_dual_add_f32 v23, -1.0, v22 :: v_dual_add_f32 v24, -1.0, v25
	v_add_f32_e32 v26, 1.0, v23
	s_delay_alu instid0(VALU_DEP_2) | instskip(NEXT) | instid1(VALU_DEP_2)
	v_sub_f32_e32 v24, v22, v24
	v_sub_f32_e32 v22, v22, v26
	s_delay_alu instid0(VALU_DEP_2) | instskip(NEXT) | instid1(VALU_DEP_1)
	v_add_f32_e32 v24, v20, v24
	v_add_f32_e32 v26, v25, v24
	s_delay_alu instid0(VALU_DEP_3) | instskip(NEXT) | instid1(VALU_DEP_2)
	v_add_f32_e32 v20, v20, v22
	v_rcp_f32_e32 v22, v26
	s_delay_alu instid0(VALU_DEP_1) | instskip(SKIP_1) | instid1(VALU_DEP_1)
	v_add_f32_e32 v27, v23, v20
	v_sub_f32_e32 v25, v25, v26
	v_dual_sub_f32 v23, v23, v27 :: v_dual_add_f32 v24, v24, v25
	s_waitcnt_depctr 0xfff
	v_dual_mul_f32 v29, v27, v22 :: v_dual_add_f32 v20, v20, v23
	s_delay_alu instid0(VALU_DEP_1) | instskip(NEXT) | instid1(VALU_DEP_1)
	v_mul_f32_e32 v46, v26, v29
	v_fma_f32 v25, v29, v26, -v46
	s_delay_alu instid0(VALU_DEP_1) | instskip(NEXT) | instid1(VALU_DEP_1)
	v_fmac_f32_e32 v25, v29, v24
	v_add_f32_e32 v47, v46, v25
	s_delay_alu instid0(VALU_DEP_1) | instskip(SKIP_1) | instid1(VALU_DEP_2)
	v_sub_f32_e32 v48, v27, v47
	v_sub_f32_e32 v23, v47, v46
	;; [unrolled: 1-line block ×3, first 2 shown]
	s_delay_alu instid0(VALU_DEP_2) | instskip(NEXT) | instid1(VALU_DEP_2)
	v_sub_f32_e32 v23, v23, v25
	v_sub_f32_e32 v27, v27, v47
	s_delay_alu instid0(VALU_DEP_1) | instskip(NEXT) | instid1(VALU_DEP_1)
	v_add_f32_e32 v20, v20, v27
	v_add_f32_e32 v20, v23, v20
	s_delay_alu instid0(VALU_DEP_1) | instskip(NEXT) | instid1(VALU_DEP_1)
	v_add_f32_e32 v23, v48, v20
	v_sub_f32_e32 v47, v48, v23
	v_mul_f32_e32 v25, v22, v23
	s_delay_alu instid0(VALU_DEP_1) | instskip(NEXT) | instid1(VALU_DEP_1)
	v_dual_add_f32 v20, v20, v47 :: v_dual_mul_f32 v27, v26, v25
	v_fma_f32 v26, v25, v26, -v27
	s_delay_alu instid0(VALU_DEP_1) | instskip(NEXT) | instid1(VALU_DEP_1)
	v_fmac_f32_e32 v26, v25, v24
	v_add_f32_e32 v24, v27, v26
	s_delay_alu instid0(VALU_DEP_1) | instskip(NEXT) | instid1(VALU_DEP_1)
	v_dual_sub_f32 v46, v23, v24 :: v_dual_sub_f32 v27, v24, v27
	v_sub_f32_e32 v23, v23, v46
	s_delay_alu instid0(VALU_DEP_1) | instskip(NEXT) | instid1(VALU_DEP_3)
	v_sub_f32_e32 v23, v23, v24
	v_sub_f32_e32 v24, v27, v26
	s_delay_alu instid0(VALU_DEP_2) | instskip(NEXT) | instid1(VALU_DEP_1)
	v_dual_add_f32 v20, v20, v23 :: v_dual_add_f32 v23, v29, v25
	v_add_f32_e32 v20, v24, v20
	s_delay_alu instid0(VALU_DEP_2) | instskip(NEXT) | instid1(VALU_DEP_2)
	v_sub_f32_e32 v24, v23, v29
	v_add_f32_e32 v20, v46, v20
	s_delay_alu instid0(VALU_DEP_2) | instskip(NEXT) | instid1(VALU_DEP_2)
	v_sub_f32_e32 v24, v25, v24
	v_mul_f32_e32 v20, v22, v20
	s_delay_alu instid0(VALU_DEP_1) | instskip(NEXT) | instid1(VALU_DEP_1)
	v_add_f32_e32 v20, v24, v20
	v_add_f32_e32 v22, v23, v20
	s_delay_alu instid0(VALU_DEP_1) | instskip(NEXT) | instid1(VALU_DEP_1)
	v_mul_f32_e32 v24, v22, v22
	v_fmaak_f32 v25, s0, v24, 0x3ecc95a3
	v_mul_f32_e32 v26, v22, v24
	v_cmp_eq_f32_e64 s0, 0x7f800000, v21
	s_delay_alu instid0(VALU_DEP_3) | instskip(SKIP_2) | instid1(VALU_DEP_4)
	v_fmaak_f32 v24, v24, v25, 0x3f2aaada
	v_ldexp_f32 v25, v22, 1
	v_sub_f32_e32 v22, v22, v23
	s_or_b32 s0, s0, s23
	s_delay_alu instid0(VALU_DEP_3) | instskip(NEXT) | instid1(VALU_DEP_1)
	v_mul_f32_e32 v24, v26, v24
	v_dual_sub_f32 v20, v20, v22 :: v_dual_add_f32 v23, v25, v24
	s_delay_alu instid0(VALU_DEP_1) | instskip(NEXT) | instid1(VALU_DEP_2)
	v_ldexp_f32 v20, v20, 1
	v_sub_f32_e32 v22, v23, v25
	s_delay_alu instid0(VALU_DEP_1) | instskip(NEXT) | instid1(VALU_DEP_1)
	v_sub_f32_e32 v22, v24, v22
	v_add_f32_e32 v20, v20, v22
	s_delay_alu instid0(VALU_DEP_1) | instskip(SKIP_1) | instid1(VALU_DEP_2)
	v_add_f32_e32 v24, v23, v20
	v_mul_f32_e32 v26, 0x3f317218, v19
	v_sub_f32_e32 v23, v24, v23
	s_delay_alu instid0(VALU_DEP_2) | instskip(NEXT) | instid1(VALU_DEP_1)
	v_fma_f32 v25, 0x3f317218, v19, -v26
	v_dual_sub_f32 v20, v20, v23 :: v_dual_fmamk_f32 v19, v19, 0xb102e308, v25
	s_delay_alu instid0(VALU_DEP_1) | instskip(NEXT) | instid1(VALU_DEP_1)
	v_add_f32_e32 v22, v26, v19
	v_add_f32_e32 v25, v22, v24
	v_sub_f32_e32 v26, v22, v26
	s_delay_alu instid0(VALU_DEP_2) | instskip(NEXT) | instid1(VALU_DEP_2)
	v_sub_f32_e32 v27, v25, v22
	v_sub_f32_e32 v19, v19, v26
	s_delay_alu instid0(VALU_DEP_2) | instskip(NEXT) | instid1(VALU_DEP_2)
	v_sub_f32_e32 v29, v25, v27
	v_dual_sub_f32 v23, v24, v27 :: v_dual_add_f32 v24, v19, v20
	s_delay_alu instid0(VALU_DEP_2) | instskip(NEXT) | instid1(VALU_DEP_1)
	v_sub_f32_e32 v22, v22, v29
	v_dual_add_f32 v22, v23, v22 :: v_dual_sub_f32 v23, v24, v19
	s_delay_alu instid0(VALU_DEP_1) | instskip(NEXT) | instid1(VALU_DEP_2)
	v_add_f32_e32 v22, v24, v22
	v_sub_f32_e32 v24, v24, v23
	v_sub_f32_e32 v20, v20, v23
	s_delay_alu instid0(VALU_DEP_2) | instskip(NEXT) | instid1(VALU_DEP_1)
	v_dual_add_f32 v26, v25, v22 :: v_dual_sub_f32 v19, v19, v24
	v_sub_f32_e32 v23, v26, v25
	s_delay_alu instid0(VALU_DEP_2) | instskip(NEXT) | instid1(VALU_DEP_2)
	v_add_f32_e32 v19, v20, v19
	v_sub_f32_e32 v20, v22, v23
	s_delay_alu instid0(VALU_DEP_1) | instskip(NEXT) | instid1(VALU_DEP_1)
	v_add_f32_e32 v19, v19, v20
	v_add_f32_e32 v19, v26, v19
	s_delay_alu instid0(VALU_DEP_1) | instskip(NEXT) | instid1(VALU_DEP_1)
	v_cndmask_b32_e64 v19, v19, v21, s0
	v_add_f32_e32 v19, v18, v19
.LBB491_142:
	s_or_b32 exec_lo, exec_lo, s1
	s_delay_alu instid0(VALU_DEP_1) | instskip(SKIP_1) | instid1(VALU_DEP_2)
	v_bfe_u32 v18, v19, 16, 1
	v_cmp_o_f32_e64 s0, v19, v19
	v_add3_u32 v18, v19, v18, 0x7fff
	s_delay_alu instid0(VALU_DEP_1) | instskip(NEXT) | instid1(VALU_DEP_1)
	v_lshrrev_b32_e32 v18, 16, v18
	v_cndmask_b32_e64 v18, 0x7fc0, v18, s0
	s_delay_alu instid0(VALU_DEP_1) | instskip(NEXT) | instid1(VALU_DEP_1)
	v_lshlrev_b32_e32 v19, 16, v18
	v_max_f32_e32 v20, v19, v19
	v_cmp_u_f32_e64 s0, v19, v19
	s_delay_alu instid0(VALU_DEP_2) | instskip(SKIP_1) | instid1(VALU_DEP_2)
	v_min_f32_e32 v21, v20, v30
	v_max_f32_e32 v20, v20, v30
	v_cndmask_b32_e64 v21, v21, v19, s0
	s_delay_alu instid0(VALU_DEP_2) | instskip(NEXT) | instid1(VALU_DEP_2)
	v_cndmask_b32_e64 v22, v20, v19, s0
	v_cndmask_b32_e64 v20, v21, v9, s34
	s_delay_alu instid0(VALU_DEP_2) | instskip(NEXT) | instid1(VALU_DEP_2)
	v_cndmask_b32_e64 v9, v22, v9, s34
	v_cmp_class_f32_e64 s1, v20, 0x1f8
	s_delay_alu instid0(VALU_DEP_2) | instskip(NEXT) | instid1(VALU_DEP_1)
	v_cmp_neq_f32_e64 s0, v20, v9
	s_or_b32 s0, s0, s1
	s_delay_alu instid0(SALU_CYCLE_1)
	s_and_saveexec_b32 s1, s0
	s_cbranch_execz .LBB491_144
; %bb.143:
	v_sub_f32_e32 v19, v20, v9
	s_delay_alu instid0(VALU_DEP_1) | instskip(SKIP_1) | instid1(VALU_DEP_2)
	v_mul_f32_e32 v20, 0x3fb8aa3b, v19
	v_cmp_ngt_f32_e64 s0, 0xc2ce8ed0, v19
	v_fma_f32 v21, 0x3fb8aa3b, v19, -v20
	v_rndne_f32_e32 v22, v20
	s_delay_alu instid0(VALU_DEP_1) | instskip(NEXT) | instid1(VALU_DEP_1)
	v_dual_fmamk_f32 v21, v19, 0x32a5705f, v21 :: v_dual_sub_f32 v20, v20, v22
	v_add_f32_e32 v20, v20, v21
	v_cvt_i32_f32_e32 v21, v22
	s_delay_alu instid0(VALU_DEP_2) | instskip(SKIP_2) | instid1(VALU_DEP_1)
	v_exp_f32_e32 v20, v20
	s_waitcnt_depctr 0xfff
	v_ldexp_f32 v20, v20, v21
	v_cndmask_b32_e64 v20, 0, v20, s0
	v_cmp_nlt_f32_e64 s0, 0x42b17218, v19
	s_delay_alu instid0(VALU_DEP_1) | instskip(NEXT) | instid1(VALU_DEP_1)
	v_cndmask_b32_e64 v21, 0x7f800000, v20, s0
	v_add_f32_e32 v22, 1.0, v21
	v_cmp_gt_f32_e64 s23, 0x33800000, |v21|
	s_delay_alu instid0(VALU_DEP_2) | instskip(NEXT) | instid1(VALU_DEP_1)
	v_cvt_f64_f32_e32 v[19:20], v22
	v_frexp_exp_i32_f64_e32 v19, v[19:20]
	v_frexp_mant_f32_e32 v20, v22
	s_delay_alu instid0(VALU_DEP_1) | instskip(SKIP_1) | instid1(VALU_DEP_1)
	v_cmp_gt_f32_e64 s0, 0x3f2aaaab, v20
	v_add_f32_e32 v20, -1.0, v22
	v_sub_f32_e32 v24, v20, v22
	v_sub_f32_e32 v20, v21, v20
	s_delay_alu instid0(VALU_DEP_4) | instskip(SKIP_1) | instid1(VALU_DEP_1)
	v_subrev_co_ci_u32_e64 v19, s0, 0, v19, s0
	s_mov_b32 s0, 0x3e9b6dac
	v_sub_nc_u32_e32 v23, 0, v19
	v_cvt_f32_i32_e32 v19, v19
	s_delay_alu instid0(VALU_DEP_2) | instskip(NEXT) | instid1(VALU_DEP_1)
	v_ldexp_f32 v22, v22, v23
	v_dual_add_f32 v25, 1.0, v22 :: v_dual_add_f32 v24, 1.0, v24
	s_delay_alu instid0(VALU_DEP_1) | instskip(NEXT) | instid1(VALU_DEP_2)
	v_add_f32_e32 v20, v20, v24
	v_add_f32_e32 v24, -1.0, v25
	s_delay_alu instid0(VALU_DEP_2) | instskip(NEXT) | instid1(VALU_DEP_2)
	v_ldexp_f32 v20, v20, v23
	v_dual_add_f32 v23, -1.0, v22 :: v_dual_sub_f32 v24, v22, v24
	s_delay_alu instid0(VALU_DEP_1) | instskip(NEXT) | instid1(VALU_DEP_2)
	v_add_f32_e32 v26, 1.0, v23
	v_add_f32_e32 v24, v20, v24
	s_delay_alu instid0(VALU_DEP_2) | instskip(NEXT) | instid1(VALU_DEP_2)
	v_sub_f32_e32 v22, v22, v26
	v_add_f32_e32 v26, v25, v24
	s_delay_alu instid0(VALU_DEP_2) | instskip(NEXT) | instid1(VALU_DEP_2)
	v_add_f32_e32 v20, v20, v22
	v_rcp_f32_e32 v22, v26
	v_sub_f32_e32 v25, v25, v26
	s_delay_alu instid0(VALU_DEP_1) | instskip(NEXT) | instid1(VALU_DEP_1)
	v_dual_add_f32 v27, v23, v20 :: v_dual_add_f32 v24, v24, v25
	v_sub_f32_e32 v23, v23, v27
	s_waitcnt_depctr 0xfff
	v_dual_mul_f32 v29, v27, v22 :: v_dual_add_f32 v20, v20, v23
	s_delay_alu instid0(VALU_DEP_1) | instskip(NEXT) | instid1(VALU_DEP_1)
	v_mul_f32_e32 v30, v26, v29
	v_fma_f32 v25, v29, v26, -v30
	s_delay_alu instid0(VALU_DEP_1) | instskip(NEXT) | instid1(VALU_DEP_1)
	v_fmac_f32_e32 v25, v29, v24
	v_add_f32_e32 v46, v30, v25
	s_delay_alu instid0(VALU_DEP_1) | instskip(SKIP_1) | instid1(VALU_DEP_2)
	v_sub_f32_e32 v47, v27, v46
	v_sub_f32_e32 v23, v46, v30
	v_sub_f32_e32 v27, v27, v47
	s_delay_alu instid0(VALU_DEP_2) | instskip(NEXT) | instid1(VALU_DEP_2)
	v_sub_f32_e32 v23, v23, v25
	v_sub_f32_e32 v27, v27, v46
	s_delay_alu instid0(VALU_DEP_1) | instskip(NEXT) | instid1(VALU_DEP_1)
	v_add_f32_e32 v20, v20, v27
	v_add_f32_e32 v20, v23, v20
	s_delay_alu instid0(VALU_DEP_1) | instskip(NEXT) | instid1(VALU_DEP_1)
	v_add_f32_e32 v23, v47, v20
	v_mul_f32_e32 v25, v22, v23
	s_delay_alu instid0(VALU_DEP_1) | instskip(NEXT) | instid1(VALU_DEP_1)
	v_dual_sub_f32 v46, v47, v23 :: v_dual_mul_f32 v27, v26, v25
	v_add_f32_e32 v20, v20, v46
	s_delay_alu instid0(VALU_DEP_2) | instskip(NEXT) | instid1(VALU_DEP_1)
	v_fma_f32 v26, v25, v26, -v27
	v_fmac_f32_e32 v26, v25, v24
	s_delay_alu instid0(VALU_DEP_1) | instskip(NEXT) | instid1(VALU_DEP_1)
	v_add_f32_e32 v24, v27, v26
	v_dual_sub_f32 v30, v23, v24 :: v_dual_sub_f32 v27, v24, v27
	s_delay_alu instid0(VALU_DEP_1) | instskip(NEXT) | instid1(VALU_DEP_1)
	v_sub_f32_e32 v23, v23, v30
	v_sub_f32_e32 v23, v23, v24
	s_delay_alu instid0(VALU_DEP_3) | instskip(NEXT) | instid1(VALU_DEP_2)
	v_sub_f32_e32 v24, v27, v26
	v_dual_add_f32 v20, v20, v23 :: v_dual_add_f32 v23, v29, v25
	s_delay_alu instid0(VALU_DEP_1) | instskip(NEXT) | instid1(VALU_DEP_2)
	v_add_f32_e32 v20, v24, v20
	v_sub_f32_e32 v24, v23, v29
	s_delay_alu instid0(VALU_DEP_2) | instskip(NEXT) | instid1(VALU_DEP_2)
	v_add_f32_e32 v20, v30, v20
	v_sub_f32_e32 v24, v25, v24
	s_delay_alu instid0(VALU_DEP_2) | instskip(NEXT) | instid1(VALU_DEP_1)
	v_mul_f32_e32 v20, v22, v20
	v_add_f32_e32 v20, v24, v20
	s_delay_alu instid0(VALU_DEP_1) | instskip(NEXT) | instid1(VALU_DEP_1)
	v_add_f32_e32 v22, v23, v20
	v_mul_f32_e32 v24, v22, v22
	s_delay_alu instid0(VALU_DEP_1) | instskip(SKIP_2) | instid1(VALU_DEP_3)
	v_fmaak_f32 v25, s0, v24, 0x3ecc95a3
	v_mul_f32_e32 v26, v22, v24
	v_cmp_eq_f32_e64 s0, 0x7f800000, v21
	v_fmaak_f32 v24, v24, v25, 0x3f2aaada
	v_ldexp_f32 v25, v22, 1
	v_sub_f32_e32 v22, v22, v23
	s_delay_alu instid0(VALU_DEP_4) | instskip(NEXT) | instid1(VALU_DEP_3)
	s_or_b32 s0, s0, s23
	v_mul_f32_e32 v24, v26, v24
	v_mul_f32_e32 v26, 0x3f317218, v19
	s_delay_alu instid0(VALU_DEP_2) | instskip(NEXT) | instid1(VALU_DEP_1)
	v_dual_sub_f32 v20, v20, v22 :: v_dual_add_f32 v23, v25, v24
	v_ldexp_f32 v20, v20, 1
	s_delay_alu instid0(VALU_DEP_2) | instskip(NEXT) | instid1(VALU_DEP_4)
	v_sub_f32_e32 v22, v23, v25
	v_fma_f32 v25, 0x3f317218, v19, -v26
	s_delay_alu instid0(VALU_DEP_1) | instskip(NEXT) | instid1(VALU_DEP_1)
	v_dual_sub_f32 v22, v24, v22 :: v_dual_fmamk_f32 v19, v19, 0xb102e308, v25
	v_add_f32_e32 v20, v20, v22
	s_delay_alu instid0(VALU_DEP_2) | instskip(NEXT) | instid1(VALU_DEP_2)
	v_add_f32_e32 v22, v26, v19
	v_add_f32_e32 v24, v23, v20
	s_delay_alu instid0(VALU_DEP_2) | instskip(NEXT) | instid1(VALU_DEP_2)
	v_sub_f32_e32 v26, v22, v26
	v_add_f32_e32 v25, v22, v24
	v_sub_f32_e32 v23, v24, v23
	s_delay_alu instid0(VALU_DEP_3) | instskip(NEXT) | instid1(VALU_DEP_2)
	v_sub_f32_e32 v19, v19, v26
	v_dual_sub_f32 v27, v25, v22 :: v_dual_sub_f32 v20, v20, v23
	s_delay_alu instid0(VALU_DEP_1) | instskip(NEXT) | instid1(VALU_DEP_2)
	v_sub_f32_e32 v29, v25, v27
	v_dual_sub_f32 v23, v24, v27 :: v_dual_add_f32 v24, v19, v20
	s_delay_alu instid0(VALU_DEP_2) | instskip(NEXT) | instid1(VALU_DEP_1)
	v_sub_f32_e32 v22, v22, v29
	v_dual_add_f32 v22, v23, v22 :: v_dual_sub_f32 v23, v24, v19
	s_delay_alu instid0(VALU_DEP_1) | instskip(NEXT) | instid1(VALU_DEP_2)
	v_add_f32_e32 v22, v24, v22
	v_sub_f32_e32 v24, v24, v23
	v_sub_f32_e32 v20, v20, v23
	s_delay_alu instid0(VALU_DEP_2) | instskip(NEXT) | instid1(VALU_DEP_1)
	v_dual_add_f32 v26, v25, v22 :: v_dual_sub_f32 v19, v19, v24
	v_sub_f32_e32 v23, v26, v25
	s_delay_alu instid0(VALU_DEP_2) | instskip(NEXT) | instid1(VALU_DEP_2)
	v_add_f32_e32 v19, v20, v19
	v_sub_f32_e32 v20, v22, v23
	s_delay_alu instid0(VALU_DEP_1) | instskip(NEXT) | instid1(VALU_DEP_1)
	v_add_f32_e32 v19, v19, v20
	v_add_f32_e32 v19, v26, v19
	s_delay_alu instid0(VALU_DEP_1) | instskip(NEXT) | instid1(VALU_DEP_1)
	v_cndmask_b32_e64 v19, v19, v21, s0
	v_add_f32_e32 v19, v9, v19
.LBB491_144:
	s_or_b32 exec_lo, exec_lo, s1
	s_delay_alu instid0(VALU_DEP_1) | instskip(SKIP_1) | instid1(VALU_DEP_2)
	v_bfe_u32 v9, v19, 16, 1
	v_cmp_o_f32_e64 s0, v19, v19
	v_add3_u32 v9, v19, v9, 0x7fff
	s_delay_alu instid0(VALU_DEP_1) | instskip(NEXT) | instid1(VALU_DEP_1)
	v_lshrrev_b32_e32 v9, 16, v9
	v_cndmask_b32_e64 v9, 0x7fc0, v9, s0
	s_delay_alu instid0(VALU_DEP_1) | instskip(NEXT) | instid1(VALU_DEP_1)
	v_lshlrev_b32_e32 v20, 16, v9
	v_max_f32_e32 v19, v20, v20
	s_delay_alu instid0(VALU_DEP_1) | instskip(SKIP_2) | instid1(VALU_DEP_1)
	v_min_f32_e32 v21, v19, v32
	v_max_f32_e32 v19, v19, v32
	v_cmp_u_f32_e64 s0, v20, v20
	v_cndmask_b32_e64 v21, v21, v20, s0
	s_delay_alu instid0(VALU_DEP_3) | instskip(NEXT) | instid1(VALU_DEP_2)
	v_cndmask_b32_e64 v19, v19, v20, s0
	v_cndmask_b32_e64 v21, v21, v28, s35
	s_delay_alu instid0(VALU_DEP_2) | instskip(NEXT) | instid1(VALU_DEP_2)
	v_cndmask_b32_e64 v19, v19, v28, s35
	v_cmp_class_f32_e64 s1, v21, 0x1f8
	s_delay_alu instid0(VALU_DEP_2) | instskip(NEXT) | instid1(VALU_DEP_1)
	v_cmp_neq_f32_e64 s0, v21, v19
	s_or_b32 s0, s0, s1
	s_delay_alu instid0(SALU_CYCLE_1)
	s_and_saveexec_b32 s1, s0
	s_cbranch_execz .LBB491_146
; %bb.145:
	v_sub_f32_e32 v20, v21, v19
	s_delay_alu instid0(VALU_DEP_1) | instskip(SKIP_1) | instid1(VALU_DEP_2)
	v_mul_f32_e32 v21, 0x3fb8aa3b, v20
	v_cmp_ngt_f32_e64 s0, 0xc2ce8ed0, v20
	v_fma_f32 v22, 0x3fb8aa3b, v20, -v21
	v_rndne_f32_e32 v23, v21
	s_delay_alu instid0(VALU_DEP_1) | instskip(NEXT) | instid1(VALU_DEP_1)
	v_dual_fmamk_f32 v22, v20, 0x32a5705f, v22 :: v_dual_sub_f32 v21, v21, v23
	v_add_f32_e32 v21, v21, v22
	v_cvt_i32_f32_e32 v22, v23
	s_delay_alu instid0(VALU_DEP_2) | instskip(SKIP_2) | instid1(VALU_DEP_1)
	v_exp_f32_e32 v21, v21
	s_waitcnt_depctr 0xfff
	v_ldexp_f32 v21, v21, v22
	v_cndmask_b32_e64 v21, 0, v21, s0
	v_cmp_nlt_f32_e64 s0, 0x42b17218, v20
	s_delay_alu instid0(VALU_DEP_1) | instskip(NEXT) | instid1(VALU_DEP_1)
	v_cndmask_b32_e64 v22, 0x7f800000, v21, s0
	v_add_f32_e32 v23, 1.0, v22
	v_cmp_gt_f32_e64 s23, 0x33800000, |v22|
	s_delay_alu instid0(VALU_DEP_2) | instskip(NEXT) | instid1(VALU_DEP_1)
	v_cvt_f64_f32_e32 v[20:21], v23
	v_frexp_exp_i32_f64_e32 v20, v[20:21]
	v_frexp_mant_f32_e32 v21, v23
	s_delay_alu instid0(VALU_DEP_1) | instskip(SKIP_1) | instid1(VALU_DEP_1)
	v_cmp_gt_f32_e64 s0, 0x3f2aaaab, v21
	v_add_f32_e32 v21, -1.0, v23
	v_sub_f32_e32 v25, v21, v23
	v_sub_f32_e32 v21, v22, v21
	s_delay_alu instid0(VALU_DEP_4) | instskip(SKIP_1) | instid1(VALU_DEP_1)
	v_subrev_co_ci_u32_e64 v20, s0, 0, v20, s0
	s_mov_b32 s0, 0x3e9b6dac
	v_sub_nc_u32_e32 v24, 0, v20
	v_cvt_f32_i32_e32 v20, v20
	s_delay_alu instid0(VALU_DEP_2) | instskip(NEXT) | instid1(VALU_DEP_1)
	v_ldexp_f32 v23, v23, v24
	v_dual_add_f32 v26, 1.0, v23 :: v_dual_add_f32 v25, 1.0, v25
	s_delay_alu instid0(VALU_DEP_1) | instskip(NEXT) | instid1(VALU_DEP_1)
	v_add_f32_e32 v21, v21, v25
	v_ldexp_f32 v21, v21, v24
	s_delay_alu instid0(VALU_DEP_3) | instskip(NEXT) | instid1(VALU_DEP_1)
	v_dual_add_f32 v24, -1.0, v23 :: v_dual_add_f32 v25, -1.0, v26
	v_add_f32_e32 v27, 1.0, v24
	s_delay_alu instid0(VALU_DEP_2) | instskip(NEXT) | instid1(VALU_DEP_2)
	v_sub_f32_e32 v25, v23, v25
	v_sub_f32_e32 v23, v23, v27
	s_delay_alu instid0(VALU_DEP_2) | instskip(NEXT) | instid1(VALU_DEP_2)
	v_add_f32_e32 v25, v21, v25
	v_add_f32_e32 v21, v21, v23
	s_delay_alu instid0(VALU_DEP_2) | instskip(NEXT) | instid1(VALU_DEP_2)
	v_add_f32_e32 v27, v26, v25
	v_add_f32_e32 v28, v24, v21
	s_delay_alu instid0(VALU_DEP_2) | instskip(SKIP_1) | instid1(VALU_DEP_1)
	v_rcp_f32_e32 v23, v27
	v_sub_f32_e32 v26, v26, v27
	v_dual_sub_f32 v24, v24, v28 :: v_dual_add_f32 v25, v25, v26
	s_delay_alu instid0(VALU_DEP_1) | instskip(SKIP_2) | instid1(VALU_DEP_1)
	v_add_f32_e32 v21, v21, v24
	s_waitcnt_depctr 0xfff
	v_mul_f32_e32 v29, v28, v23
	v_mul_f32_e32 v30, v27, v29
	s_delay_alu instid0(VALU_DEP_1) | instskip(NEXT) | instid1(VALU_DEP_1)
	v_fma_f32 v26, v29, v27, -v30
	v_fmac_f32_e32 v26, v29, v25
	s_delay_alu instid0(VALU_DEP_1) | instskip(NEXT) | instid1(VALU_DEP_1)
	v_add_f32_e32 v32, v30, v26
	v_sub_f32_e32 v46, v28, v32
	v_sub_f32_e32 v24, v32, v30
	s_delay_alu instid0(VALU_DEP_2) | instskip(NEXT) | instid1(VALU_DEP_2)
	v_sub_f32_e32 v28, v28, v46
	v_sub_f32_e32 v24, v24, v26
	s_delay_alu instid0(VALU_DEP_2) | instskip(NEXT) | instid1(VALU_DEP_1)
	v_sub_f32_e32 v28, v28, v32
	v_add_f32_e32 v21, v21, v28
	s_delay_alu instid0(VALU_DEP_1) | instskip(NEXT) | instid1(VALU_DEP_1)
	v_add_f32_e32 v21, v24, v21
	v_add_f32_e32 v24, v46, v21
	s_delay_alu instid0(VALU_DEP_1) | instskip(SKIP_1) | instid1(VALU_DEP_2)
	v_mul_f32_e32 v26, v23, v24
	v_sub_f32_e32 v32, v46, v24
	v_mul_f32_e32 v28, v27, v26
	s_delay_alu instid0(VALU_DEP_1) | instskip(NEXT) | instid1(VALU_DEP_1)
	v_fma_f32 v27, v26, v27, -v28
	v_fmac_f32_e32 v27, v26, v25
	s_delay_alu instid0(VALU_DEP_1) | instskip(NEXT) | instid1(VALU_DEP_1)
	v_add_f32_e32 v25, v28, v27
	v_sub_f32_e32 v30, v24, v25
	v_sub_f32_e32 v28, v25, v28
	s_delay_alu instid0(VALU_DEP_2) | instskip(NEXT) | instid1(VALU_DEP_1)
	v_dual_sub_f32 v24, v24, v30 :: v_dual_add_f32 v21, v21, v32
	v_sub_f32_e32 v24, v24, v25
	s_delay_alu instid0(VALU_DEP_3) | instskip(NEXT) | instid1(VALU_DEP_2)
	v_sub_f32_e32 v25, v28, v27
	v_add_f32_e32 v21, v21, v24
	v_add_f32_e32 v24, v29, v26
	s_delay_alu instid0(VALU_DEP_2) | instskip(NEXT) | instid1(VALU_DEP_2)
	v_add_f32_e32 v21, v25, v21
	v_sub_f32_e32 v25, v24, v29
	s_delay_alu instid0(VALU_DEP_2) | instskip(NEXT) | instid1(VALU_DEP_2)
	v_add_f32_e32 v21, v30, v21
	v_sub_f32_e32 v25, v26, v25
	s_delay_alu instid0(VALU_DEP_2) | instskip(NEXT) | instid1(VALU_DEP_1)
	v_mul_f32_e32 v21, v23, v21
	v_add_f32_e32 v21, v25, v21
	s_delay_alu instid0(VALU_DEP_1) | instskip(NEXT) | instid1(VALU_DEP_1)
	v_add_f32_e32 v23, v24, v21
	v_mul_f32_e32 v25, v23, v23
	s_delay_alu instid0(VALU_DEP_1) | instskip(SKIP_2) | instid1(VALU_DEP_3)
	v_fmaak_f32 v26, s0, v25, 0x3ecc95a3
	v_mul_f32_e32 v27, v23, v25
	v_cmp_eq_f32_e64 s0, 0x7f800000, v22
	v_fmaak_f32 v25, v25, v26, 0x3f2aaada
	v_ldexp_f32 v26, v23, 1
	s_delay_alu instid0(VALU_DEP_3) | instskip(NEXT) | instid1(VALU_DEP_2)
	s_or_b32 s0, s0, s23
	v_mul_f32_e32 v25, v27, v25
	s_delay_alu instid0(VALU_DEP_1) | instskip(NEXT) | instid1(VALU_DEP_1)
	v_dual_sub_f32 v23, v23, v24 :: v_dual_add_f32 v24, v26, v25
	v_sub_f32_e32 v21, v21, v23
	s_delay_alu instid0(VALU_DEP_2) | instskip(NEXT) | instid1(VALU_DEP_2)
	v_sub_f32_e32 v23, v24, v26
	v_ldexp_f32 v21, v21, 1
	s_delay_alu instid0(VALU_DEP_2) | instskip(NEXT) | instid1(VALU_DEP_1)
	v_sub_f32_e32 v23, v25, v23
	v_add_f32_e32 v21, v21, v23
	s_delay_alu instid0(VALU_DEP_1) | instskip(SKIP_1) | instid1(VALU_DEP_2)
	v_add_f32_e32 v25, v24, v21
	v_mul_f32_e32 v27, 0x3f317218, v20
	v_sub_f32_e32 v24, v25, v24
	s_delay_alu instid0(VALU_DEP_2) | instskip(NEXT) | instid1(VALU_DEP_1)
	v_fma_f32 v26, 0x3f317218, v20, -v27
	v_dual_sub_f32 v21, v21, v24 :: v_dual_fmamk_f32 v20, v20, 0xb102e308, v26
	s_delay_alu instid0(VALU_DEP_1) | instskip(NEXT) | instid1(VALU_DEP_1)
	v_add_f32_e32 v23, v27, v20
	v_add_f32_e32 v26, v23, v25
	v_sub_f32_e32 v27, v23, v27
	s_delay_alu instid0(VALU_DEP_2) | instskip(NEXT) | instid1(VALU_DEP_1)
	v_sub_f32_e32 v28, v26, v23
	v_dual_sub_f32 v20, v20, v27 :: v_dual_sub_f32 v29, v26, v28
	s_delay_alu instid0(VALU_DEP_1) | instskip(NEXT) | instid1(VALU_DEP_2)
	v_dual_sub_f32 v24, v25, v28 :: v_dual_add_f32 v25, v20, v21
	v_sub_f32_e32 v23, v23, v29
	s_delay_alu instid0(VALU_DEP_1) | instskip(NEXT) | instid1(VALU_DEP_1)
	v_dual_add_f32 v23, v24, v23 :: v_dual_sub_f32 v24, v25, v20
	v_add_f32_e32 v23, v25, v23
	s_delay_alu instid0(VALU_DEP_2) | instskip(SKIP_1) | instid1(VALU_DEP_2)
	v_sub_f32_e32 v25, v25, v24
	v_sub_f32_e32 v21, v21, v24
	v_dual_add_f32 v27, v26, v23 :: v_dual_sub_f32 v20, v20, v25
	s_delay_alu instid0(VALU_DEP_1) | instskip(NEXT) | instid1(VALU_DEP_2)
	v_sub_f32_e32 v24, v27, v26
	v_add_f32_e32 v20, v21, v20
	s_delay_alu instid0(VALU_DEP_2) | instskip(NEXT) | instid1(VALU_DEP_1)
	v_sub_f32_e32 v21, v23, v24
	v_add_f32_e32 v20, v20, v21
	s_delay_alu instid0(VALU_DEP_1) | instskip(NEXT) | instid1(VALU_DEP_1)
	v_add_f32_e32 v20, v27, v20
	v_cndmask_b32_e64 v20, v20, v22, s0
	s_delay_alu instid0(VALU_DEP_1)
	v_add_f32_e32 v20, v19, v20
.LBB491_146:
	s_or_b32 exec_lo, exec_lo, s1
	s_delay_alu instid0(VALU_DEP_1) | instskip(SKIP_1) | instid1(VALU_DEP_2)
	v_bfe_u32 v19, v20, 16, 1
	v_cmp_o_f32_e64 s0, v20, v20
	v_add3_u32 v19, v20, v19, 0x7fff
	s_delay_alu instid0(VALU_DEP_1) | instskip(NEXT) | instid1(VALU_DEP_1)
	v_lshrrev_b32_e32 v19, 16, v19
	v_cndmask_b32_e64 v19, 0x7fc0, v19, s0
	s_delay_alu instid0(VALU_DEP_1) | instskip(NEXT) | instid1(VALU_DEP_1)
	v_lshlrev_b32_e32 v20, 16, v19
	v_max_f32_e32 v21, v20, v20
	s_delay_alu instid0(VALU_DEP_1) | instskip(SKIP_2) | instid1(VALU_DEP_1)
	v_min_f32_e32 v22, v21, v33
	v_max_f32_e32 v21, v21, v33
	v_cmp_u_f32_e64 s0, v20, v20
	v_cndmask_b32_e64 v22, v22, v20, s0
	s_delay_alu instid0(VALU_DEP_3) | instskip(NEXT) | instid1(VALU_DEP_2)
	v_cndmask_b32_e64 v23, v21, v20, s0
	v_cndmask_b32_e64 v21, v22, v6, s36
	s_delay_alu instid0(VALU_DEP_2) | instskip(NEXT) | instid1(VALU_DEP_2)
	v_cndmask_b32_e64 v6, v23, v6, s36
	v_cmp_class_f32_e64 s1, v21, 0x1f8
	s_delay_alu instid0(VALU_DEP_2) | instskip(NEXT) | instid1(VALU_DEP_1)
	v_cmp_neq_f32_e64 s0, v21, v6
	s_or_b32 s0, s0, s1
	s_delay_alu instid0(SALU_CYCLE_1)
	s_and_saveexec_b32 s1, s0
	s_cbranch_execz .LBB491_148
; %bb.147:
	v_sub_f32_e32 v20, v21, v6
	s_delay_alu instid0(VALU_DEP_1) | instskip(SKIP_1) | instid1(VALU_DEP_2)
	v_mul_f32_e32 v21, 0x3fb8aa3b, v20
	v_cmp_ngt_f32_e64 s0, 0xc2ce8ed0, v20
	v_fma_f32 v22, 0x3fb8aa3b, v20, -v21
	v_rndne_f32_e32 v23, v21
	s_delay_alu instid0(VALU_DEP_1) | instskip(NEXT) | instid1(VALU_DEP_1)
	v_dual_fmamk_f32 v22, v20, 0x32a5705f, v22 :: v_dual_sub_f32 v21, v21, v23
	v_add_f32_e32 v21, v21, v22
	v_cvt_i32_f32_e32 v22, v23
	s_delay_alu instid0(VALU_DEP_2) | instskip(SKIP_2) | instid1(VALU_DEP_1)
	v_exp_f32_e32 v21, v21
	s_waitcnt_depctr 0xfff
	v_ldexp_f32 v21, v21, v22
	v_cndmask_b32_e64 v21, 0, v21, s0
	v_cmp_nlt_f32_e64 s0, 0x42b17218, v20
	s_delay_alu instid0(VALU_DEP_1) | instskip(NEXT) | instid1(VALU_DEP_1)
	v_cndmask_b32_e64 v22, 0x7f800000, v21, s0
	v_add_f32_e32 v23, 1.0, v22
	v_cmp_gt_f32_e64 s23, 0x33800000, |v22|
	s_delay_alu instid0(VALU_DEP_2) | instskip(NEXT) | instid1(VALU_DEP_1)
	v_cvt_f64_f32_e32 v[20:21], v23
	v_frexp_exp_i32_f64_e32 v20, v[20:21]
	v_frexp_mant_f32_e32 v21, v23
	s_delay_alu instid0(VALU_DEP_1) | instskip(SKIP_1) | instid1(VALU_DEP_1)
	v_cmp_gt_f32_e64 s0, 0x3f2aaaab, v21
	v_add_f32_e32 v21, -1.0, v23
	v_sub_f32_e32 v25, v21, v23
	v_sub_f32_e32 v21, v22, v21
	s_delay_alu instid0(VALU_DEP_4) | instskip(SKIP_1) | instid1(VALU_DEP_1)
	v_subrev_co_ci_u32_e64 v20, s0, 0, v20, s0
	s_mov_b32 s0, 0x3e9b6dac
	v_sub_nc_u32_e32 v24, 0, v20
	v_cvt_f32_i32_e32 v20, v20
	s_delay_alu instid0(VALU_DEP_2) | instskip(NEXT) | instid1(VALU_DEP_1)
	v_ldexp_f32 v23, v23, v24
	v_dual_add_f32 v26, 1.0, v23 :: v_dual_add_f32 v25, 1.0, v25
	s_delay_alu instid0(VALU_DEP_1) | instskip(NEXT) | instid1(VALU_DEP_2)
	v_add_f32_e32 v21, v21, v25
	v_add_f32_e32 v25, -1.0, v26
	s_delay_alu instid0(VALU_DEP_2) | instskip(NEXT) | instid1(VALU_DEP_2)
	v_ldexp_f32 v21, v21, v24
	v_dual_add_f32 v24, -1.0, v23 :: v_dual_sub_f32 v25, v23, v25
	s_delay_alu instid0(VALU_DEP_1) | instskip(NEXT) | instid1(VALU_DEP_2)
	v_add_f32_e32 v27, 1.0, v24
	v_add_f32_e32 v25, v21, v25
	s_delay_alu instid0(VALU_DEP_2) | instskip(NEXT) | instid1(VALU_DEP_2)
	v_sub_f32_e32 v23, v23, v27
	v_add_f32_e32 v27, v26, v25
	s_delay_alu instid0(VALU_DEP_2) | instskip(NEXT) | instid1(VALU_DEP_2)
	v_add_f32_e32 v21, v21, v23
	v_rcp_f32_e32 v23, v27
	v_sub_f32_e32 v26, v26, v27
	s_delay_alu instid0(VALU_DEP_1) | instskip(NEXT) | instid1(VALU_DEP_1)
	v_dual_add_f32 v28, v24, v21 :: v_dual_add_f32 v25, v25, v26
	v_sub_f32_e32 v24, v24, v28
	s_waitcnt_depctr 0xfff
	v_mul_f32_e32 v29, v28, v23
	s_delay_alu instid0(VALU_DEP_1) | instskip(NEXT) | instid1(VALU_DEP_1)
	v_dual_add_f32 v21, v21, v24 :: v_dual_mul_f32 v30, v27, v29
	v_fma_f32 v26, v29, v27, -v30
	s_delay_alu instid0(VALU_DEP_1) | instskip(NEXT) | instid1(VALU_DEP_1)
	v_fmac_f32_e32 v26, v29, v25
	v_add_f32_e32 v32, v30, v26
	s_delay_alu instid0(VALU_DEP_1) | instskip(SKIP_1) | instid1(VALU_DEP_2)
	v_sub_f32_e32 v33, v28, v32
	v_sub_f32_e32 v24, v32, v30
	;; [unrolled: 1-line block ×3, first 2 shown]
	s_delay_alu instid0(VALU_DEP_2) | instskip(NEXT) | instid1(VALU_DEP_2)
	v_sub_f32_e32 v24, v24, v26
	v_sub_f32_e32 v28, v28, v32
	s_delay_alu instid0(VALU_DEP_1) | instskip(NEXT) | instid1(VALU_DEP_1)
	v_add_f32_e32 v21, v21, v28
	v_add_f32_e32 v21, v24, v21
	s_delay_alu instid0(VALU_DEP_1) | instskip(NEXT) | instid1(VALU_DEP_1)
	v_add_f32_e32 v24, v33, v21
	v_sub_f32_e32 v32, v33, v24
	v_mul_f32_e32 v26, v23, v24
	s_delay_alu instid0(VALU_DEP_1) | instskip(NEXT) | instid1(VALU_DEP_1)
	v_mul_f32_e32 v28, v27, v26
	v_fma_f32 v27, v26, v27, -v28
	s_delay_alu instid0(VALU_DEP_1) | instskip(NEXT) | instid1(VALU_DEP_1)
	v_fmac_f32_e32 v27, v26, v25
	v_add_f32_e32 v25, v28, v27
	s_delay_alu instid0(VALU_DEP_1) | instskip(SKIP_1) | instid1(VALU_DEP_2)
	v_sub_f32_e32 v30, v24, v25
	v_sub_f32_e32 v28, v25, v28
	v_dual_sub_f32 v24, v24, v30 :: v_dual_add_f32 v21, v21, v32
	s_delay_alu instid0(VALU_DEP_1) | instskip(NEXT) | instid1(VALU_DEP_3)
	v_sub_f32_e32 v24, v24, v25
	v_sub_f32_e32 v25, v28, v27
	s_delay_alu instid0(VALU_DEP_2) | instskip(SKIP_1) | instid1(VALU_DEP_2)
	v_add_f32_e32 v21, v21, v24
	v_add_f32_e32 v24, v29, v26
	;; [unrolled: 1-line block ×3, first 2 shown]
	s_delay_alu instid0(VALU_DEP_2) | instskip(NEXT) | instid1(VALU_DEP_2)
	v_sub_f32_e32 v25, v24, v29
	v_add_f32_e32 v21, v30, v21
	s_delay_alu instid0(VALU_DEP_2) | instskip(NEXT) | instid1(VALU_DEP_2)
	v_sub_f32_e32 v25, v26, v25
	v_mul_f32_e32 v21, v23, v21
	s_delay_alu instid0(VALU_DEP_1) | instskip(NEXT) | instid1(VALU_DEP_1)
	v_add_f32_e32 v21, v25, v21
	v_add_f32_e32 v23, v24, v21
	s_delay_alu instid0(VALU_DEP_1) | instskip(NEXT) | instid1(VALU_DEP_1)
	v_mul_f32_e32 v25, v23, v23
	v_fmaak_f32 v26, s0, v25, 0x3ecc95a3
	v_mul_f32_e32 v27, v23, v25
	v_cmp_eq_f32_e64 s0, 0x7f800000, v22
	s_delay_alu instid0(VALU_DEP_3) | instskip(SKIP_1) | instid1(VALU_DEP_3)
	v_fmaak_f32 v25, v25, v26, 0x3f2aaada
	v_ldexp_f32 v26, v23, 1
	s_or_b32 s0, s0, s23
	s_delay_alu instid0(VALU_DEP_2) | instskip(NEXT) | instid1(VALU_DEP_1)
	v_mul_f32_e32 v25, v27, v25
	v_dual_sub_f32 v23, v23, v24 :: v_dual_add_f32 v24, v26, v25
	s_delay_alu instid0(VALU_DEP_1) | instskip(NEXT) | instid1(VALU_DEP_2)
	v_sub_f32_e32 v21, v21, v23
	v_sub_f32_e32 v23, v24, v26
	s_delay_alu instid0(VALU_DEP_2) | instskip(NEXT) | instid1(VALU_DEP_2)
	v_ldexp_f32 v21, v21, 1
	v_sub_f32_e32 v23, v25, v23
	s_delay_alu instid0(VALU_DEP_1) | instskip(NEXT) | instid1(VALU_DEP_1)
	v_add_f32_e32 v21, v21, v23
	v_add_f32_e32 v25, v24, v21
	v_mul_f32_e32 v27, 0x3f317218, v20
	s_delay_alu instid0(VALU_DEP_2) | instskip(NEXT) | instid1(VALU_DEP_2)
	v_sub_f32_e32 v24, v25, v24
	v_fma_f32 v26, 0x3f317218, v20, -v27
	s_delay_alu instid0(VALU_DEP_1) | instskip(NEXT) | instid1(VALU_DEP_1)
	v_dual_sub_f32 v21, v21, v24 :: v_dual_fmamk_f32 v20, v20, 0xb102e308, v26
	v_add_f32_e32 v23, v27, v20
	s_delay_alu instid0(VALU_DEP_1) | instskip(SKIP_1) | instid1(VALU_DEP_2)
	v_add_f32_e32 v26, v23, v25
	v_sub_f32_e32 v27, v23, v27
	v_sub_f32_e32 v28, v26, v23
	s_delay_alu instid0(VALU_DEP_1) | instskip(NEXT) | instid1(VALU_DEP_1)
	v_dual_sub_f32 v20, v20, v27 :: v_dual_sub_f32 v29, v26, v28
	v_dual_sub_f32 v24, v25, v28 :: v_dual_add_f32 v25, v20, v21
	s_delay_alu instid0(VALU_DEP_2) | instskip(NEXT) | instid1(VALU_DEP_1)
	v_sub_f32_e32 v23, v23, v29
	v_dual_add_f32 v23, v24, v23 :: v_dual_sub_f32 v24, v25, v20
	s_delay_alu instid0(VALU_DEP_1) | instskip(NEXT) | instid1(VALU_DEP_2)
	v_add_f32_e32 v23, v25, v23
	v_sub_f32_e32 v25, v25, v24
	v_sub_f32_e32 v21, v21, v24
	s_delay_alu instid0(VALU_DEP_2) | instskip(NEXT) | instid1(VALU_DEP_1)
	v_dual_add_f32 v27, v26, v23 :: v_dual_sub_f32 v20, v20, v25
	v_sub_f32_e32 v24, v27, v26
	s_delay_alu instid0(VALU_DEP_2) | instskip(NEXT) | instid1(VALU_DEP_2)
	v_add_f32_e32 v20, v21, v20
	v_sub_f32_e32 v21, v23, v24
	s_delay_alu instid0(VALU_DEP_1) | instskip(NEXT) | instid1(VALU_DEP_1)
	v_add_f32_e32 v20, v20, v21
	v_add_f32_e32 v20, v27, v20
	s_delay_alu instid0(VALU_DEP_1) | instskip(NEXT) | instid1(VALU_DEP_1)
	v_cndmask_b32_e64 v20, v20, v22, s0
	v_add_f32_e32 v20, v6, v20
.LBB491_148:
	s_or_b32 exec_lo, exec_lo, s1
	s_delay_alu instid0(VALU_DEP_1) | instskip(SKIP_1) | instid1(VALU_DEP_2)
	v_bfe_u32 v6, v20, 16, 1
	v_cmp_o_f32_e64 s0, v20, v20
	v_add3_u32 v6, v20, v6, 0x7fff
	s_delay_alu instid0(VALU_DEP_1) | instskip(NEXT) | instid1(VALU_DEP_1)
	v_lshrrev_b32_e32 v6, 16, v6
	v_cndmask_b32_e64 v6, 0x7fc0, v6, s0
	s_delay_alu instid0(VALU_DEP_1) | instskip(NEXT) | instid1(VALU_DEP_1)
	v_lshlrev_b32_e32 v21, 16, v6
	v_max_f32_e32 v20, v21, v21
	s_delay_alu instid0(VALU_DEP_1) | instskip(SKIP_2) | instid1(VALU_DEP_1)
	v_min_f32_e32 v22, v20, v35
	v_max_f32_e32 v20, v20, v35
	v_cmp_u_f32_e64 s0, v21, v21
	v_cndmask_b32_e64 v22, v22, v21, s0
	s_delay_alu instid0(VALU_DEP_3) | instskip(NEXT) | instid1(VALU_DEP_2)
	v_cndmask_b32_e64 v20, v20, v21, s0
	v_cndmask_b32_e64 v22, v22, v31, s37
	s_delay_alu instid0(VALU_DEP_2) | instskip(NEXT) | instid1(VALU_DEP_2)
	v_cndmask_b32_e64 v20, v20, v31, s37
	v_cmp_class_f32_e64 s1, v22, 0x1f8
	s_delay_alu instid0(VALU_DEP_2) | instskip(NEXT) | instid1(VALU_DEP_1)
	v_cmp_neq_f32_e64 s0, v22, v20
	s_or_b32 s0, s0, s1
	s_delay_alu instid0(SALU_CYCLE_1)
	s_and_saveexec_b32 s1, s0
	s_cbranch_execz .LBB491_150
; %bb.149:
	v_sub_f32_e32 v21, v22, v20
	s_delay_alu instid0(VALU_DEP_1) | instskip(SKIP_1) | instid1(VALU_DEP_2)
	v_mul_f32_e32 v22, 0x3fb8aa3b, v21
	v_cmp_ngt_f32_e64 s0, 0xc2ce8ed0, v21
	v_fma_f32 v23, 0x3fb8aa3b, v21, -v22
	v_rndne_f32_e32 v24, v22
	s_delay_alu instid0(VALU_DEP_1) | instskip(NEXT) | instid1(VALU_DEP_1)
	v_dual_fmamk_f32 v23, v21, 0x32a5705f, v23 :: v_dual_sub_f32 v22, v22, v24
	v_add_f32_e32 v22, v22, v23
	v_cvt_i32_f32_e32 v23, v24
	s_delay_alu instid0(VALU_DEP_2) | instskip(SKIP_2) | instid1(VALU_DEP_1)
	v_exp_f32_e32 v22, v22
	s_waitcnt_depctr 0xfff
	v_ldexp_f32 v22, v22, v23
	v_cndmask_b32_e64 v22, 0, v22, s0
	v_cmp_nlt_f32_e64 s0, 0x42b17218, v21
	s_delay_alu instid0(VALU_DEP_1) | instskip(NEXT) | instid1(VALU_DEP_1)
	v_cndmask_b32_e64 v23, 0x7f800000, v22, s0
	v_add_f32_e32 v24, 1.0, v23
	v_cmp_gt_f32_e64 s23, 0x33800000, |v23|
	s_delay_alu instid0(VALU_DEP_2) | instskip(NEXT) | instid1(VALU_DEP_1)
	v_cvt_f64_f32_e32 v[21:22], v24
	v_frexp_exp_i32_f64_e32 v21, v[21:22]
	v_frexp_mant_f32_e32 v22, v24
	s_delay_alu instid0(VALU_DEP_1) | instskip(SKIP_1) | instid1(VALU_DEP_1)
	v_cmp_gt_f32_e64 s0, 0x3f2aaaab, v22
	v_add_f32_e32 v22, -1.0, v24
	v_sub_f32_e32 v26, v22, v24
	v_sub_f32_e32 v22, v23, v22
	s_delay_alu instid0(VALU_DEP_4) | instskip(SKIP_1) | instid1(VALU_DEP_1)
	v_subrev_co_ci_u32_e64 v21, s0, 0, v21, s0
	s_mov_b32 s0, 0x3e9b6dac
	v_sub_nc_u32_e32 v25, 0, v21
	v_cvt_f32_i32_e32 v21, v21
	s_delay_alu instid0(VALU_DEP_2) | instskip(NEXT) | instid1(VALU_DEP_1)
	v_ldexp_f32 v24, v24, v25
	v_dual_add_f32 v27, 1.0, v24 :: v_dual_add_f32 v26, 1.0, v26
	s_delay_alu instid0(VALU_DEP_1) | instskip(NEXT) | instid1(VALU_DEP_2)
	v_add_f32_e32 v22, v22, v26
	v_add_f32_e32 v26, -1.0, v27
	s_delay_alu instid0(VALU_DEP_2) | instskip(NEXT) | instid1(VALU_DEP_2)
	v_ldexp_f32 v22, v22, v25
	v_dual_add_f32 v25, -1.0, v24 :: v_dual_sub_f32 v26, v24, v26
	s_delay_alu instid0(VALU_DEP_1) | instskip(NEXT) | instid1(VALU_DEP_2)
	v_add_f32_e32 v28, 1.0, v25
	v_add_f32_e32 v26, v22, v26
	s_delay_alu instid0(VALU_DEP_2) | instskip(NEXT) | instid1(VALU_DEP_2)
	v_sub_f32_e32 v24, v24, v28
	v_add_f32_e32 v28, v27, v26
	s_delay_alu instid0(VALU_DEP_2) | instskip(NEXT) | instid1(VALU_DEP_2)
	v_add_f32_e32 v22, v22, v24
	v_rcp_f32_e32 v24, v28
	v_sub_f32_e32 v27, v27, v28
	s_delay_alu instid0(VALU_DEP_1) | instskip(NEXT) | instid1(VALU_DEP_1)
	v_dual_add_f32 v29, v25, v22 :: v_dual_add_f32 v26, v26, v27
	v_sub_f32_e32 v25, v25, v29
	s_waitcnt_depctr 0xfff
	v_mul_f32_e32 v30, v29, v24
	s_delay_alu instid0(VALU_DEP_1) | instskip(NEXT) | instid1(VALU_DEP_1)
	v_dual_add_f32 v22, v22, v25 :: v_dual_mul_f32 v31, v28, v30
	v_fma_f32 v27, v30, v28, -v31
	s_delay_alu instid0(VALU_DEP_1) | instskip(NEXT) | instid1(VALU_DEP_1)
	v_fmac_f32_e32 v27, v30, v26
	v_add_f32_e32 v32, v31, v27
	s_delay_alu instid0(VALU_DEP_1) | instskip(SKIP_1) | instid1(VALU_DEP_2)
	v_sub_f32_e32 v33, v29, v32
	v_sub_f32_e32 v25, v32, v31
	;; [unrolled: 1-line block ×3, first 2 shown]
	s_delay_alu instid0(VALU_DEP_2) | instskip(NEXT) | instid1(VALU_DEP_2)
	v_sub_f32_e32 v25, v25, v27
	v_sub_f32_e32 v29, v29, v32
	s_delay_alu instid0(VALU_DEP_1) | instskip(NEXT) | instid1(VALU_DEP_1)
	v_add_f32_e32 v22, v22, v29
	v_add_f32_e32 v22, v25, v22
	s_delay_alu instid0(VALU_DEP_1) | instskip(NEXT) | instid1(VALU_DEP_1)
	v_add_f32_e32 v25, v33, v22
	v_mul_f32_e32 v27, v24, v25
	s_delay_alu instid0(VALU_DEP_1) | instskip(NEXT) | instid1(VALU_DEP_1)
	v_dual_sub_f32 v32, v33, v25 :: v_dual_mul_f32 v29, v28, v27
	v_add_f32_e32 v22, v22, v32
	s_delay_alu instid0(VALU_DEP_2) | instskip(NEXT) | instid1(VALU_DEP_1)
	v_fma_f32 v28, v27, v28, -v29
	v_fmac_f32_e32 v28, v27, v26
	s_delay_alu instid0(VALU_DEP_1) | instskip(NEXT) | instid1(VALU_DEP_1)
	v_add_f32_e32 v26, v29, v28
	v_sub_f32_e32 v31, v25, v26
	v_sub_f32_e32 v29, v26, v29
	s_delay_alu instid0(VALU_DEP_2) | instskip(NEXT) | instid1(VALU_DEP_1)
	v_sub_f32_e32 v25, v25, v31
	v_sub_f32_e32 v25, v25, v26
	s_delay_alu instid0(VALU_DEP_3) | instskip(NEXT) | instid1(VALU_DEP_2)
	v_sub_f32_e32 v26, v29, v28
	v_add_f32_e32 v22, v22, v25
	v_add_f32_e32 v25, v30, v27
	s_delay_alu instid0(VALU_DEP_2) | instskip(NEXT) | instid1(VALU_DEP_2)
	v_add_f32_e32 v22, v26, v22
	v_sub_f32_e32 v26, v25, v30
	s_delay_alu instid0(VALU_DEP_2) | instskip(NEXT) | instid1(VALU_DEP_2)
	v_add_f32_e32 v22, v31, v22
	v_sub_f32_e32 v26, v27, v26
	s_delay_alu instid0(VALU_DEP_2) | instskip(NEXT) | instid1(VALU_DEP_1)
	v_mul_f32_e32 v22, v24, v22
	v_add_f32_e32 v22, v26, v22
	s_delay_alu instid0(VALU_DEP_1) | instskip(NEXT) | instid1(VALU_DEP_1)
	v_add_f32_e32 v24, v25, v22
	v_mul_f32_e32 v26, v24, v24
	s_delay_alu instid0(VALU_DEP_1) | instskip(SKIP_2) | instid1(VALU_DEP_3)
	v_fmaak_f32 v27, s0, v26, 0x3ecc95a3
	v_mul_f32_e32 v28, v24, v26
	v_cmp_eq_f32_e64 s0, 0x7f800000, v23
	v_fmaak_f32 v26, v26, v27, 0x3f2aaada
	v_ldexp_f32 v27, v24, 1
	v_sub_f32_e32 v24, v24, v25
	s_delay_alu instid0(VALU_DEP_4) | instskip(NEXT) | instid1(VALU_DEP_3)
	s_or_b32 s0, s0, s23
	v_mul_f32_e32 v26, v28, v26
	v_mul_f32_e32 v28, 0x3f317218, v21
	s_delay_alu instid0(VALU_DEP_2) | instskip(NEXT) | instid1(VALU_DEP_1)
	v_dual_sub_f32 v22, v22, v24 :: v_dual_add_f32 v25, v27, v26
	v_ldexp_f32 v22, v22, 1
	s_delay_alu instid0(VALU_DEP_2) | instskip(NEXT) | instid1(VALU_DEP_4)
	v_sub_f32_e32 v24, v25, v27
	v_fma_f32 v27, 0x3f317218, v21, -v28
	s_delay_alu instid0(VALU_DEP_1) | instskip(NEXT) | instid1(VALU_DEP_1)
	v_dual_sub_f32 v24, v26, v24 :: v_dual_fmamk_f32 v21, v21, 0xb102e308, v27
	v_add_f32_e32 v22, v22, v24
	s_delay_alu instid0(VALU_DEP_2) | instskip(NEXT) | instid1(VALU_DEP_2)
	v_add_f32_e32 v24, v28, v21
	v_add_f32_e32 v26, v25, v22
	s_delay_alu instid0(VALU_DEP_2) | instskip(NEXT) | instid1(VALU_DEP_2)
	v_sub_f32_e32 v28, v24, v28
	v_add_f32_e32 v27, v24, v26
	v_sub_f32_e32 v25, v26, v25
	s_delay_alu instid0(VALU_DEP_3) | instskip(NEXT) | instid1(VALU_DEP_2)
	v_sub_f32_e32 v21, v21, v28
	v_dual_sub_f32 v29, v27, v24 :: v_dual_sub_f32 v22, v22, v25
	s_delay_alu instid0(VALU_DEP_1) | instskip(NEXT) | instid1(VALU_DEP_2)
	v_sub_f32_e32 v30, v27, v29
	v_dual_sub_f32 v25, v26, v29 :: v_dual_add_f32 v26, v21, v22
	s_delay_alu instid0(VALU_DEP_2) | instskip(NEXT) | instid1(VALU_DEP_1)
	v_sub_f32_e32 v24, v24, v30
	v_dual_add_f32 v24, v25, v24 :: v_dual_sub_f32 v25, v26, v21
	s_delay_alu instid0(VALU_DEP_1) | instskip(NEXT) | instid1(VALU_DEP_2)
	v_add_f32_e32 v24, v26, v24
	v_sub_f32_e32 v26, v26, v25
	v_sub_f32_e32 v22, v22, v25
	s_delay_alu instid0(VALU_DEP_2) | instskip(NEXT) | instid1(VALU_DEP_1)
	v_dual_add_f32 v28, v27, v24 :: v_dual_sub_f32 v21, v21, v26
	v_sub_f32_e32 v25, v28, v27
	s_delay_alu instid0(VALU_DEP_2) | instskip(NEXT) | instid1(VALU_DEP_2)
	v_add_f32_e32 v21, v22, v21
	v_sub_f32_e32 v22, v24, v25
	s_delay_alu instid0(VALU_DEP_1) | instskip(NEXT) | instid1(VALU_DEP_1)
	v_add_f32_e32 v21, v21, v22
	v_add_f32_e32 v21, v28, v21
	s_delay_alu instid0(VALU_DEP_1) | instskip(NEXT) | instid1(VALU_DEP_1)
	v_cndmask_b32_e64 v21, v21, v23, s0
	v_add_f32_e32 v21, v20, v21
.LBB491_150:
	s_or_b32 exec_lo, exec_lo, s1
	s_delay_alu instid0(VALU_DEP_1) | instskip(SKIP_1) | instid1(VALU_DEP_2)
	v_bfe_u32 v20, v21, 16, 1
	v_cmp_o_f32_e64 s0, v21, v21
	v_add3_u32 v20, v21, v20, 0x7fff
	s_delay_alu instid0(VALU_DEP_1) | instskip(NEXT) | instid1(VALU_DEP_1)
	v_lshrrev_b32_e32 v20, 16, v20
	v_cndmask_b32_e64 v20, 0x7fc0, v20, s0
	s_delay_alu instid0(VALU_DEP_1) | instskip(NEXT) | instid1(VALU_DEP_1)
	v_lshlrev_b32_e32 v21, 16, v20
	v_max_f32_e32 v22, v21, v21
	v_cmp_u_f32_e64 s0, v21, v21
	s_delay_alu instid0(VALU_DEP_2) | instskip(SKIP_1) | instid1(VALU_DEP_2)
	v_min_f32_e32 v23, v22, v36
	v_max_f32_e32 v22, v22, v36
	v_cndmask_b32_e64 v23, v23, v21, s0
	s_delay_alu instid0(VALU_DEP_2) | instskip(NEXT) | instid1(VALU_DEP_2)
	v_cndmask_b32_e64 v24, v22, v21, s0
	v_cndmask_b32_e64 v22, v23, v7, s38
	s_delay_alu instid0(VALU_DEP_2) | instskip(NEXT) | instid1(VALU_DEP_2)
	v_cndmask_b32_e64 v7, v24, v7, s38
	v_cmp_class_f32_e64 s1, v22, 0x1f8
	s_delay_alu instid0(VALU_DEP_2) | instskip(NEXT) | instid1(VALU_DEP_1)
	v_cmp_neq_f32_e64 s0, v22, v7
	s_or_b32 s0, s0, s1
	s_delay_alu instid0(SALU_CYCLE_1)
	s_and_saveexec_b32 s1, s0
	s_cbranch_execz .LBB491_152
; %bb.151:
	v_sub_f32_e32 v21, v22, v7
	s_delay_alu instid0(VALU_DEP_1) | instskip(SKIP_1) | instid1(VALU_DEP_2)
	v_mul_f32_e32 v22, 0x3fb8aa3b, v21
	v_cmp_ngt_f32_e64 s0, 0xc2ce8ed0, v21
	v_fma_f32 v23, 0x3fb8aa3b, v21, -v22
	v_rndne_f32_e32 v24, v22
	s_delay_alu instid0(VALU_DEP_1) | instskip(NEXT) | instid1(VALU_DEP_1)
	v_dual_fmamk_f32 v23, v21, 0x32a5705f, v23 :: v_dual_sub_f32 v22, v22, v24
	v_add_f32_e32 v22, v22, v23
	v_cvt_i32_f32_e32 v23, v24
	s_delay_alu instid0(VALU_DEP_2) | instskip(SKIP_2) | instid1(VALU_DEP_1)
	v_exp_f32_e32 v22, v22
	s_waitcnt_depctr 0xfff
	v_ldexp_f32 v22, v22, v23
	v_cndmask_b32_e64 v22, 0, v22, s0
	v_cmp_nlt_f32_e64 s0, 0x42b17218, v21
	s_delay_alu instid0(VALU_DEP_1) | instskip(NEXT) | instid1(VALU_DEP_1)
	v_cndmask_b32_e64 v23, 0x7f800000, v22, s0
	v_add_f32_e32 v24, 1.0, v23
	v_cmp_gt_f32_e64 s23, 0x33800000, |v23|
	s_delay_alu instid0(VALU_DEP_2) | instskip(NEXT) | instid1(VALU_DEP_1)
	v_cvt_f64_f32_e32 v[21:22], v24
	v_frexp_exp_i32_f64_e32 v21, v[21:22]
	v_frexp_mant_f32_e32 v22, v24
	s_delay_alu instid0(VALU_DEP_1) | instskip(SKIP_1) | instid1(VALU_DEP_1)
	v_cmp_gt_f32_e64 s0, 0x3f2aaaab, v22
	v_add_f32_e32 v22, -1.0, v24
	v_sub_f32_e32 v26, v22, v24
	v_sub_f32_e32 v22, v23, v22
	s_delay_alu instid0(VALU_DEP_4) | instskip(SKIP_1) | instid1(VALU_DEP_1)
	v_subrev_co_ci_u32_e64 v21, s0, 0, v21, s0
	s_mov_b32 s0, 0x3e9b6dac
	v_sub_nc_u32_e32 v25, 0, v21
	v_cvt_f32_i32_e32 v21, v21
	s_delay_alu instid0(VALU_DEP_2) | instskip(NEXT) | instid1(VALU_DEP_1)
	v_ldexp_f32 v24, v24, v25
	v_dual_add_f32 v27, 1.0, v24 :: v_dual_add_f32 v26, 1.0, v26
	s_delay_alu instid0(VALU_DEP_1) | instskip(NEXT) | instid1(VALU_DEP_2)
	v_add_f32_e32 v22, v22, v26
	v_add_f32_e32 v26, -1.0, v27
	s_delay_alu instid0(VALU_DEP_2) | instskip(NEXT) | instid1(VALU_DEP_2)
	v_ldexp_f32 v22, v22, v25
	v_dual_add_f32 v25, -1.0, v24 :: v_dual_sub_f32 v26, v24, v26
	s_delay_alu instid0(VALU_DEP_1) | instskip(NEXT) | instid1(VALU_DEP_2)
	v_add_f32_e32 v28, 1.0, v25
	v_add_f32_e32 v26, v22, v26
	s_delay_alu instid0(VALU_DEP_2) | instskip(NEXT) | instid1(VALU_DEP_2)
	v_sub_f32_e32 v24, v24, v28
	v_add_f32_e32 v28, v27, v26
	s_delay_alu instid0(VALU_DEP_2) | instskip(NEXT) | instid1(VALU_DEP_2)
	v_add_f32_e32 v22, v22, v24
	v_rcp_f32_e32 v24, v28
	v_sub_f32_e32 v27, v27, v28
	s_delay_alu instid0(VALU_DEP_1) | instskip(NEXT) | instid1(VALU_DEP_1)
	v_dual_add_f32 v29, v25, v22 :: v_dual_add_f32 v26, v26, v27
	v_sub_f32_e32 v25, v25, v29
	s_waitcnt_depctr 0xfff
	v_mul_f32_e32 v30, v29, v24
	s_delay_alu instid0(VALU_DEP_1) | instskip(NEXT) | instid1(VALU_DEP_1)
	v_dual_add_f32 v22, v22, v25 :: v_dual_mul_f32 v31, v28, v30
	v_fma_f32 v27, v30, v28, -v31
	s_delay_alu instid0(VALU_DEP_1) | instskip(NEXT) | instid1(VALU_DEP_1)
	v_fmac_f32_e32 v27, v30, v26
	v_add_f32_e32 v32, v31, v27
	s_delay_alu instid0(VALU_DEP_1) | instskip(SKIP_1) | instid1(VALU_DEP_2)
	v_sub_f32_e32 v33, v29, v32
	v_sub_f32_e32 v25, v32, v31
	;; [unrolled: 1-line block ×3, first 2 shown]
	s_delay_alu instid0(VALU_DEP_2) | instskip(NEXT) | instid1(VALU_DEP_2)
	v_sub_f32_e32 v25, v25, v27
	v_sub_f32_e32 v29, v29, v32
	s_delay_alu instid0(VALU_DEP_1) | instskip(NEXT) | instid1(VALU_DEP_1)
	v_add_f32_e32 v22, v22, v29
	v_add_f32_e32 v22, v25, v22
	s_delay_alu instid0(VALU_DEP_1) | instskip(NEXT) | instid1(VALU_DEP_1)
	v_add_f32_e32 v25, v33, v22
	v_mul_f32_e32 v27, v24, v25
	s_delay_alu instid0(VALU_DEP_1) | instskip(NEXT) | instid1(VALU_DEP_1)
	v_dual_sub_f32 v32, v33, v25 :: v_dual_mul_f32 v29, v28, v27
	v_add_f32_e32 v22, v22, v32
	s_delay_alu instid0(VALU_DEP_2) | instskip(NEXT) | instid1(VALU_DEP_1)
	v_fma_f32 v28, v27, v28, -v29
	v_fmac_f32_e32 v28, v27, v26
	s_delay_alu instid0(VALU_DEP_1) | instskip(NEXT) | instid1(VALU_DEP_1)
	v_add_f32_e32 v26, v29, v28
	v_sub_f32_e32 v31, v25, v26
	v_sub_f32_e32 v29, v26, v29
	s_delay_alu instid0(VALU_DEP_2) | instskip(NEXT) | instid1(VALU_DEP_1)
	v_sub_f32_e32 v25, v25, v31
	v_sub_f32_e32 v25, v25, v26
	s_delay_alu instid0(VALU_DEP_3) | instskip(NEXT) | instid1(VALU_DEP_2)
	v_sub_f32_e32 v26, v29, v28
	v_add_f32_e32 v22, v22, v25
	v_add_f32_e32 v25, v30, v27
	s_delay_alu instid0(VALU_DEP_2) | instskip(NEXT) | instid1(VALU_DEP_2)
	v_add_f32_e32 v22, v26, v22
	v_sub_f32_e32 v26, v25, v30
	s_delay_alu instid0(VALU_DEP_2) | instskip(NEXT) | instid1(VALU_DEP_2)
	v_add_f32_e32 v22, v31, v22
	v_sub_f32_e32 v26, v27, v26
	s_delay_alu instid0(VALU_DEP_2) | instskip(NEXT) | instid1(VALU_DEP_1)
	v_mul_f32_e32 v22, v24, v22
	v_add_f32_e32 v22, v26, v22
	s_delay_alu instid0(VALU_DEP_1) | instskip(NEXT) | instid1(VALU_DEP_1)
	v_add_f32_e32 v24, v25, v22
	v_mul_f32_e32 v26, v24, v24
	s_delay_alu instid0(VALU_DEP_1) | instskip(SKIP_2) | instid1(VALU_DEP_3)
	v_fmaak_f32 v27, s0, v26, 0x3ecc95a3
	v_mul_f32_e32 v28, v24, v26
	v_cmp_eq_f32_e64 s0, 0x7f800000, v23
	v_fmaak_f32 v26, v26, v27, 0x3f2aaada
	v_ldexp_f32 v27, v24, 1
	v_sub_f32_e32 v24, v24, v25
	s_delay_alu instid0(VALU_DEP_4) | instskip(NEXT) | instid1(VALU_DEP_3)
	s_or_b32 s0, s0, s23
	v_mul_f32_e32 v26, v28, v26
	v_mul_f32_e32 v28, 0x3f317218, v21
	s_delay_alu instid0(VALU_DEP_2) | instskip(NEXT) | instid1(VALU_DEP_1)
	v_dual_sub_f32 v22, v22, v24 :: v_dual_add_f32 v25, v27, v26
	v_ldexp_f32 v22, v22, 1
	s_delay_alu instid0(VALU_DEP_2) | instskip(NEXT) | instid1(VALU_DEP_4)
	v_sub_f32_e32 v24, v25, v27
	v_fma_f32 v27, 0x3f317218, v21, -v28
	s_delay_alu instid0(VALU_DEP_1) | instskip(NEXT) | instid1(VALU_DEP_1)
	v_dual_sub_f32 v24, v26, v24 :: v_dual_fmamk_f32 v21, v21, 0xb102e308, v27
	v_add_f32_e32 v22, v22, v24
	s_delay_alu instid0(VALU_DEP_2) | instskip(NEXT) | instid1(VALU_DEP_2)
	v_add_f32_e32 v24, v28, v21
	v_add_f32_e32 v26, v25, v22
	s_delay_alu instid0(VALU_DEP_2) | instskip(NEXT) | instid1(VALU_DEP_2)
	v_sub_f32_e32 v28, v24, v28
	v_add_f32_e32 v27, v24, v26
	v_sub_f32_e32 v25, v26, v25
	s_delay_alu instid0(VALU_DEP_3) | instskip(NEXT) | instid1(VALU_DEP_2)
	v_sub_f32_e32 v21, v21, v28
	v_dual_sub_f32 v29, v27, v24 :: v_dual_sub_f32 v22, v22, v25
	s_delay_alu instid0(VALU_DEP_1) | instskip(NEXT) | instid1(VALU_DEP_2)
	v_sub_f32_e32 v30, v27, v29
	v_dual_sub_f32 v25, v26, v29 :: v_dual_add_f32 v26, v21, v22
	s_delay_alu instid0(VALU_DEP_2) | instskip(NEXT) | instid1(VALU_DEP_1)
	v_sub_f32_e32 v24, v24, v30
	v_dual_add_f32 v24, v25, v24 :: v_dual_sub_f32 v25, v26, v21
	s_delay_alu instid0(VALU_DEP_1) | instskip(NEXT) | instid1(VALU_DEP_2)
	v_add_f32_e32 v24, v26, v24
	v_sub_f32_e32 v26, v26, v25
	v_sub_f32_e32 v22, v22, v25
	s_delay_alu instid0(VALU_DEP_2) | instskip(NEXT) | instid1(VALU_DEP_1)
	v_dual_add_f32 v28, v27, v24 :: v_dual_sub_f32 v21, v21, v26
	v_sub_f32_e32 v25, v28, v27
	s_delay_alu instid0(VALU_DEP_2) | instskip(NEXT) | instid1(VALU_DEP_2)
	v_add_f32_e32 v21, v22, v21
	v_sub_f32_e32 v22, v24, v25
	s_delay_alu instid0(VALU_DEP_1) | instskip(NEXT) | instid1(VALU_DEP_1)
	v_add_f32_e32 v21, v21, v22
	v_add_f32_e32 v21, v28, v21
	s_delay_alu instid0(VALU_DEP_1) | instskip(NEXT) | instid1(VALU_DEP_1)
	v_cndmask_b32_e64 v21, v21, v23, s0
	v_add_f32_e32 v21, v7, v21
.LBB491_152:
	s_or_b32 exec_lo, exec_lo, s1
	s_delay_alu instid0(VALU_DEP_1) | instskip(SKIP_1) | instid1(VALU_DEP_2)
	v_bfe_u32 v7, v21, 16, 1
	v_cmp_o_f32_e64 s0, v21, v21
	v_add3_u32 v7, v21, v7, 0x7fff
	s_delay_alu instid0(VALU_DEP_1) | instskip(NEXT) | instid1(VALU_DEP_1)
	v_lshrrev_b32_e32 v7, 16, v7
	v_cndmask_b32_e64 v7, 0x7fc0, v7, s0
	s_delay_alu instid0(VALU_DEP_1) | instskip(NEXT) | instid1(VALU_DEP_1)
	v_lshlrev_b32_e32 v22, 16, v7
	v_max_f32_e32 v21, v22, v22
	s_delay_alu instid0(VALU_DEP_1) | instskip(SKIP_2) | instid1(VALU_DEP_1)
	v_min_f32_e32 v23, v21, v38
	v_max_f32_e32 v21, v21, v38
	v_cmp_u_f32_e64 s0, v22, v22
	v_cndmask_b32_e64 v23, v23, v22, s0
	s_delay_alu instid0(VALU_DEP_3) | instskip(NEXT) | instid1(VALU_DEP_2)
	v_cndmask_b32_e64 v21, v21, v22, s0
	v_cndmask_b32_e64 v23, v23, v34, s39
	s_delay_alu instid0(VALU_DEP_2) | instskip(NEXT) | instid1(VALU_DEP_2)
	v_cndmask_b32_e64 v21, v21, v34, s39
	v_cmp_class_f32_e64 s1, v23, 0x1f8
	s_delay_alu instid0(VALU_DEP_2) | instskip(NEXT) | instid1(VALU_DEP_1)
	v_cmp_neq_f32_e64 s0, v23, v21
	s_or_b32 s0, s0, s1
	s_delay_alu instid0(SALU_CYCLE_1)
	s_and_saveexec_b32 s1, s0
	s_cbranch_execz .LBB491_154
; %bb.153:
	v_sub_f32_e32 v22, v23, v21
	s_delay_alu instid0(VALU_DEP_1) | instskip(SKIP_1) | instid1(VALU_DEP_2)
	v_mul_f32_e32 v23, 0x3fb8aa3b, v22
	v_cmp_ngt_f32_e64 s0, 0xc2ce8ed0, v22
	v_fma_f32 v24, 0x3fb8aa3b, v22, -v23
	v_rndne_f32_e32 v25, v23
	s_delay_alu instid0(VALU_DEP_1) | instskip(NEXT) | instid1(VALU_DEP_1)
	v_dual_fmamk_f32 v24, v22, 0x32a5705f, v24 :: v_dual_sub_f32 v23, v23, v25
	v_add_f32_e32 v23, v23, v24
	v_cvt_i32_f32_e32 v24, v25
	s_delay_alu instid0(VALU_DEP_2) | instskip(SKIP_2) | instid1(VALU_DEP_1)
	v_exp_f32_e32 v23, v23
	s_waitcnt_depctr 0xfff
	v_ldexp_f32 v23, v23, v24
	v_cndmask_b32_e64 v23, 0, v23, s0
	v_cmp_nlt_f32_e64 s0, 0x42b17218, v22
	s_delay_alu instid0(VALU_DEP_1) | instskip(NEXT) | instid1(VALU_DEP_1)
	v_cndmask_b32_e64 v24, 0x7f800000, v23, s0
	v_add_f32_e32 v25, 1.0, v24
	v_cmp_gt_f32_e64 s23, 0x33800000, |v24|
	s_delay_alu instid0(VALU_DEP_2) | instskip(NEXT) | instid1(VALU_DEP_1)
	v_cvt_f64_f32_e32 v[22:23], v25
	v_frexp_exp_i32_f64_e32 v22, v[22:23]
	v_frexp_mant_f32_e32 v23, v25
	s_delay_alu instid0(VALU_DEP_1) | instskip(SKIP_1) | instid1(VALU_DEP_1)
	v_cmp_gt_f32_e64 s0, 0x3f2aaaab, v23
	v_add_f32_e32 v23, -1.0, v25
	v_sub_f32_e32 v27, v23, v25
	v_sub_f32_e32 v23, v24, v23
	s_delay_alu instid0(VALU_DEP_4) | instskip(SKIP_1) | instid1(VALU_DEP_1)
	v_subrev_co_ci_u32_e64 v22, s0, 0, v22, s0
	s_mov_b32 s0, 0x3e9b6dac
	v_sub_nc_u32_e32 v26, 0, v22
	v_cvt_f32_i32_e32 v22, v22
	s_delay_alu instid0(VALU_DEP_2) | instskip(NEXT) | instid1(VALU_DEP_1)
	v_ldexp_f32 v25, v25, v26
	v_dual_add_f32 v28, 1.0, v25 :: v_dual_add_f32 v27, 1.0, v27
	s_delay_alu instid0(VALU_DEP_1) | instskip(NEXT) | instid1(VALU_DEP_2)
	v_add_f32_e32 v23, v23, v27
	v_add_f32_e32 v27, -1.0, v28
	s_delay_alu instid0(VALU_DEP_2) | instskip(NEXT) | instid1(VALU_DEP_2)
	v_ldexp_f32 v23, v23, v26
	v_dual_add_f32 v26, -1.0, v25 :: v_dual_sub_f32 v27, v25, v27
	s_delay_alu instid0(VALU_DEP_1) | instskip(NEXT) | instid1(VALU_DEP_2)
	v_add_f32_e32 v29, 1.0, v26
	v_add_f32_e32 v27, v23, v27
	s_delay_alu instid0(VALU_DEP_2) | instskip(NEXT) | instid1(VALU_DEP_2)
	v_sub_f32_e32 v25, v25, v29
	v_add_f32_e32 v29, v28, v27
	s_delay_alu instid0(VALU_DEP_2) | instskip(NEXT) | instid1(VALU_DEP_2)
	v_add_f32_e32 v23, v23, v25
	v_rcp_f32_e32 v25, v29
	v_sub_f32_e32 v28, v28, v29
	s_delay_alu instid0(VALU_DEP_1) | instskip(NEXT) | instid1(VALU_DEP_1)
	v_dual_add_f32 v30, v26, v23 :: v_dual_add_f32 v27, v27, v28
	v_sub_f32_e32 v26, v26, v30
	s_waitcnt_depctr 0xfff
	v_mul_f32_e32 v31, v30, v25
	s_delay_alu instid0(VALU_DEP_1) | instskip(NEXT) | instid1(VALU_DEP_1)
	v_dual_add_f32 v23, v23, v26 :: v_dual_mul_f32 v32, v29, v31
	v_fma_f32 v28, v31, v29, -v32
	s_delay_alu instid0(VALU_DEP_1) | instskip(NEXT) | instid1(VALU_DEP_1)
	v_fmac_f32_e32 v28, v31, v27
	v_add_f32_e32 v33, v32, v28
	s_delay_alu instid0(VALU_DEP_1) | instskip(SKIP_1) | instid1(VALU_DEP_2)
	v_sub_f32_e32 v34, v30, v33
	v_sub_f32_e32 v26, v33, v32
	;; [unrolled: 1-line block ×3, first 2 shown]
	s_delay_alu instid0(VALU_DEP_2) | instskip(NEXT) | instid1(VALU_DEP_2)
	v_sub_f32_e32 v26, v26, v28
	v_sub_f32_e32 v30, v30, v33
	s_delay_alu instid0(VALU_DEP_1) | instskip(NEXT) | instid1(VALU_DEP_1)
	v_add_f32_e32 v23, v23, v30
	v_add_f32_e32 v23, v26, v23
	s_delay_alu instid0(VALU_DEP_1) | instskip(NEXT) | instid1(VALU_DEP_1)
	v_add_f32_e32 v26, v34, v23
	v_mul_f32_e32 v28, v25, v26
	s_delay_alu instid0(VALU_DEP_1) | instskip(NEXT) | instid1(VALU_DEP_1)
	v_dual_sub_f32 v33, v34, v26 :: v_dual_mul_f32 v30, v29, v28
	v_add_f32_e32 v23, v23, v33
	s_delay_alu instid0(VALU_DEP_2) | instskip(NEXT) | instid1(VALU_DEP_1)
	v_fma_f32 v29, v28, v29, -v30
	v_fmac_f32_e32 v29, v28, v27
	s_delay_alu instid0(VALU_DEP_1) | instskip(NEXT) | instid1(VALU_DEP_1)
	v_add_f32_e32 v27, v30, v29
	v_sub_f32_e32 v32, v26, v27
	v_sub_f32_e32 v30, v27, v30
	s_delay_alu instid0(VALU_DEP_2) | instskip(NEXT) | instid1(VALU_DEP_1)
	v_sub_f32_e32 v26, v26, v32
	v_sub_f32_e32 v26, v26, v27
	s_delay_alu instid0(VALU_DEP_3) | instskip(NEXT) | instid1(VALU_DEP_2)
	v_sub_f32_e32 v27, v30, v29
	v_add_f32_e32 v23, v23, v26
	v_add_f32_e32 v26, v31, v28
	s_delay_alu instid0(VALU_DEP_2) | instskip(NEXT) | instid1(VALU_DEP_2)
	v_add_f32_e32 v23, v27, v23
	v_sub_f32_e32 v27, v26, v31
	s_delay_alu instid0(VALU_DEP_2) | instskip(NEXT) | instid1(VALU_DEP_2)
	v_add_f32_e32 v23, v32, v23
	v_sub_f32_e32 v27, v28, v27
	s_delay_alu instid0(VALU_DEP_2) | instskip(NEXT) | instid1(VALU_DEP_1)
	v_mul_f32_e32 v23, v25, v23
	v_add_f32_e32 v23, v27, v23
	s_delay_alu instid0(VALU_DEP_1) | instskip(NEXT) | instid1(VALU_DEP_1)
	v_add_f32_e32 v25, v26, v23
	v_mul_f32_e32 v27, v25, v25
	s_delay_alu instid0(VALU_DEP_1) | instskip(SKIP_2) | instid1(VALU_DEP_3)
	v_fmaak_f32 v28, s0, v27, 0x3ecc95a3
	v_mul_f32_e32 v29, v25, v27
	v_cmp_eq_f32_e64 s0, 0x7f800000, v24
	v_fmaak_f32 v27, v27, v28, 0x3f2aaada
	v_ldexp_f32 v28, v25, 1
	v_sub_f32_e32 v25, v25, v26
	s_delay_alu instid0(VALU_DEP_4) | instskip(NEXT) | instid1(VALU_DEP_3)
	s_or_b32 s0, s0, s23
	v_mul_f32_e32 v27, v29, v27
	v_mul_f32_e32 v29, 0x3f317218, v22
	s_delay_alu instid0(VALU_DEP_2) | instskip(NEXT) | instid1(VALU_DEP_1)
	v_dual_sub_f32 v23, v23, v25 :: v_dual_add_f32 v26, v28, v27
	v_ldexp_f32 v23, v23, 1
	s_delay_alu instid0(VALU_DEP_2) | instskip(NEXT) | instid1(VALU_DEP_4)
	v_sub_f32_e32 v25, v26, v28
	v_fma_f32 v28, 0x3f317218, v22, -v29
	s_delay_alu instid0(VALU_DEP_1) | instskip(NEXT) | instid1(VALU_DEP_1)
	v_dual_sub_f32 v25, v27, v25 :: v_dual_fmamk_f32 v22, v22, 0xb102e308, v28
	v_add_f32_e32 v23, v23, v25
	s_delay_alu instid0(VALU_DEP_2) | instskip(NEXT) | instid1(VALU_DEP_2)
	v_add_f32_e32 v25, v29, v22
	v_add_f32_e32 v27, v26, v23
	s_delay_alu instid0(VALU_DEP_2) | instskip(NEXT) | instid1(VALU_DEP_2)
	v_sub_f32_e32 v29, v25, v29
	v_add_f32_e32 v28, v25, v27
	v_sub_f32_e32 v26, v27, v26
	s_delay_alu instid0(VALU_DEP_3) | instskip(NEXT) | instid1(VALU_DEP_2)
	v_sub_f32_e32 v22, v22, v29
	v_dual_sub_f32 v30, v28, v25 :: v_dual_sub_f32 v23, v23, v26
	s_delay_alu instid0(VALU_DEP_1) | instskip(NEXT) | instid1(VALU_DEP_2)
	v_sub_f32_e32 v31, v28, v30
	v_dual_sub_f32 v26, v27, v30 :: v_dual_add_f32 v27, v22, v23
	s_delay_alu instid0(VALU_DEP_2) | instskip(NEXT) | instid1(VALU_DEP_1)
	v_sub_f32_e32 v25, v25, v31
	v_dual_add_f32 v25, v26, v25 :: v_dual_sub_f32 v26, v27, v22
	s_delay_alu instid0(VALU_DEP_1) | instskip(NEXT) | instid1(VALU_DEP_2)
	v_add_f32_e32 v25, v27, v25
	v_sub_f32_e32 v27, v27, v26
	v_sub_f32_e32 v23, v23, v26
	s_delay_alu instid0(VALU_DEP_2) | instskip(NEXT) | instid1(VALU_DEP_1)
	v_dual_add_f32 v29, v28, v25 :: v_dual_sub_f32 v22, v22, v27
	v_sub_f32_e32 v26, v29, v28
	s_delay_alu instid0(VALU_DEP_2) | instskip(NEXT) | instid1(VALU_DEP_2)
	v_add_f32_e32 v22, v23, v22
	v_sub_f32_e32 v23, v25, v26
	s_delay_alu instid0(VALU_DEP_1) | instskip(NEXT) | instid1(VALU_DEP_1)
	v_add_f32_e32 v22, v22, v23
	v_add_f32_e32 v22, v29, v22
	s_delay_alu instid0(VALU_DEP_1) | instskip(NEXT) | instid1(VALU_DEP_1)
	v_cndmask_b32_e64 v22, v22, v24, s0
	v_add_f32_e32 v22, v21, v22
.LBB491_154:
	s_or_b32 exec_lo, exec_lo, s1
	s_delay_alu instid0(VALU_DEP_1) | instskip(SKIP_1) | instid1(VALU_DEP_2)
	v_bfe_u32 v21, v22, 16, 1
	v_cmp_o_f32_e64 s0, v22, v22
	v_add3_u32 v21, v22, v21, 0x7fff
	s_delay_alu instid0(VALU_DEP_1) | instskip(NEXT) | instid1(VALU_DEP_1)
	v_lshrrev_b32_e32 v21, 16, v21
	v_cndmask_b32_e64 v21, 0x7fc0, v21, s0
	s_delay_alu instid0(VALU_DEP_1) | instskip(NEXT) | instid1(VALU_DEP_1)
	v_lshlrev_b32_e32 v22, 16, v21
	v_max_f32_e32 v23, v22, v22
	s_delay_alu instid0(VALU_DEP_1) | instskip(SKIP_2) | instid1(VALU_DEP_1)
	v_min_f32_e32 v24, v23, v39
	v_max_f32_e32 v23, v23, v39
	v_cmp_u_f32_e64 s0, v22, v22
	v_cndmask_b32_e64 v24, v24, v22, s0
	s_delay_alu instid0(VALU_DEP_3) | instskip(NEXT) | instid1(VALU_DEP_2)
	v_cndmask_b32_e64 v25, v23, v22, s0
	v_cndmask_b32_e64 v23, v24, v4, s40
	s_delay_alu instid0(VALU_DEP_2) | instskip(NEXT) | instid1(VALU_DEP_2)
	v_cndmask_b32_e64 v4, v25, v4, s40
	v_cmp_class_f32_e64 s1, v23, 0x1f8
	s_delay_alu instid0(VALU_DEP_2) | instskip(NEXT) | instid1(VALU_DEP_1)
	v_cmp_neq_f32_e64 s0, v23, v4
	s_or_b32 s0, s0, s1
	s_delay_alu instid0(SALU_CYCLE_1)
	s_and_saveexec_b32 s1, s0
	s_cbranch_execz .LBB491_156
; %bb.155:
	v_sub_f32_e32 v22, v23, v4
	s_delay_alu instid0(VALU_DEP_1) | instskip(SKIP_1) | instid1(VALU_DEP_2)
	v_mul_f32_e32 v23, 0x3fb8aa3b, v22
	v_cmp_ngt_f32_e64 s0, 0xc2ce8ed0, v22
	v_fma_f32 v24, 0x3fb8aa3b, v22, -v23
	v_rndne_f32_e32 v25, v23
	s_delay_alu instid0(VALU_DEP_1) | instskip(NEXT) | instid1(VALU_DEP_1)
	v_dual_fmamk_f32 v24, v22, 0x32a5705f, v24 :: v_dual_sub_f32 v23, v23, v25
	v_add_f32_e32 v23, v23, v24
	v_cvt_i32_f32_e32 v24, v25
	s_delay_alu instid0(VALU_DEP_2) | instskip(SKIP_2) | instid1(VALU_DEP_1)
	v_exp_f32_e32 v23, v23
	s_waitcnt_depctr 0xfff
	v_ldexp_f32 v23, v23, v24
	v_cndmask_b32_e64 v23, 0, v23, s0
	v_cmp_nlt_f32_e64 s0, 0x42b17218, v22
	s_delay_alu instid0(VALU_DEP_1) | instskip(NEXT) | instid1(VALU_DEP_1)
	v_cndmask_b32_e64 v24, 0x7f800000, v23, s0
	v_add_f32_e32 v25, 1.0, v24
	v_cmp_gt_f32_e64 s23, 0x33800000, |v24|
	s_delay_alu instid0(VALU_DEP_2) | instskip(NEXT) | instid1(VALU_DEP_1)
	v_cvt_f64_f32_e32 v[22:23], v25
	v_frexp_exp_i32_f64_e32 v22, v[22:23]
	v_frexp_mant_f32_e32 v23, v25
	s_delay_alu instid0(VALU_DEP_1) | instskip(SKIP_1) | instid1(VALU_DEP_1)
	v_cmp_gt_f32_e64 s0, 0x3f2aaaab, v23
	v_add_f32_e32 v23, -1.0, v25
	v_sub_f32_e32 v27, v23, v25
	v_sub_f32_e32 v23, v24, v23
	s_delay_alu instid0(VALU_DEP_4) | instskip(SKIP_1) | instid1(VALU_DEP_1)
	v_subrev_co_ci_u32_e64 v22, s0, 0, v22, s0
	s_mov_b32 s0, 0x3e9b6dac
	v_sub_nc_u32_e32 v26, 0, v22
	v_cvt_f32_i32_e32 v22, v22
	s_delay_alu instid0(VALU_DEP_2) | instskip(NEXT) | instid1(VALU_DEP_1)
	v_ldexp_f32 v25, v25, v26
	v_dual_add_f32 v28, 1.0, v25 :: v_dual_add_f32 v27, 1.0, v27
	s_delay_alu instid0(VALU_DEP_1) | instskip(NEXT) | instid1(VALU_DEP_2)
	v_add_f32_e32 v23, v23, v27
	v_add_f32_e32 v27, -1.0, v28
	s_delay_alu instid0(VALU_DEP_2) | instskip(NEXT) | instid1(VALU_DEP_2)
	v_ldexp_f32 v23, v23, v26
	v_dual_add_f32 v26, -1.0, v25 :: v_dual_sub_f32 v27, v25, v27
	s_delay_alu instid0(VALU_DEP_1) | instskip(NEXT) | instid1(VALU_DEP_2)
	v_add_f32_e32 v29, 1.0, v26
	v_add_f32_e32 v27, v23, v27
	s_delay_alu instid0(VALU_DEP_2) | instskip(NEXT) | instid1(VALU_DEP_2)
	v_sub_f32_e32 v25, v25, v29
	v_add_f32_e32 v29, v28, v27
	s_delay_alu instid0(VALU_DEP_2) | instskip(NEXT) | instid1(VALU_DEP_2)
	v_add_f32_e32 v23, v23, v25
	v_rcp_f32_e32 v25, v29
	v_sub_f32_e32 v28, v28, v29
	s_delay_alu instid0(VALU_DEP_1) | instskip(NEXT) | instid1(VALU_DEP_1)
	v_dual_add_f32 v30, v26, v23 :: v_dual_add_f32 v27, v27, v28
	v_sub_f32_e32 v26, v26, v30
	s_waitcnt_depctr 0xfff
	v_mul_f32_e32 v31, v30, v25
	s_delay_alu instid0(VALU_DEP_1) | instskip(NEXT) | instid1(VALU_DEP_1)
	v_dual_add_f32 v23, v23, v26 :: v_dual_mul_f32 v32, v29, v31
	v_fma_f32 v28, v31, v29, -v32
	s_delay_alu instid0(VALU_DEP_1) | instskip(NEXT) | instid1(VALU_DEP_1)
	v_fmac_f32_e32 v28, v31, v27
	v_add_f32_e32 v33, v32, v28
	s_delay_alu instid0(VALU_DEP_1) | instskip(SKIP_1) | instid1(VALU_DEP_2)
	v_sub_f32_e32 v34, v30, v33
	v_sub_f32_e32 v26, v33, v32
	;; [unrolled: 1-line block ×3, first 2 shown]
	s_delay_alu instid0(VALU_DEP_2) | instskip(NEXT) | instid1(VALU_DEP_2)
	v_sub_f32_e32 v26, v26, v28
	v_sub_f32_e32 v30, v30, v33
	s_delay_alu instid0(VALU_DEP_1) | instskip(NEXT) | instid1(VALU_DEP_1)
	v_add_f32_e32 v23, v23, v30
	v_add_f32_e32 v23, v26, v23
	s_delay_alu instid0(VALU_DEP_1) | instskip(NEXT) | instid1(VALU_DEP_1)
	v_add_f32_e32 v26, v34, v23
	v_mul_f32_e32 v28, v25, v26
	s_delay_alu instid0(VALU_DEP_1) | instskip(NEXT) | instid1(VALU_DEP_1)
	v_dual_sub_f32 v33, v34, v26 :: v_dual_mul_f32 v30, v29, v28
	v_add_f32_e32 v23, v23, v33
	s_delay_alu instid0(VALU_DEP_2) | instskip(NEXT) | instid1(VALU_DEP_1)
	v_fma_f32 v29, v28, v29, -v30
	v_fmac_f32_e32 v29, v28, v27
	s_delay_alu instid0(VALU_DEP_1) | instskip(NEXT) | instid1(VALU_DEP_1)
	v_add_f32_e32 v27, v30, v29
	v_sub_f32_e32 v32, v26, v27
	v_sub_f32_e32 v30, v27, v30
	s_delay_alu instid0(VALU_DEP_2) | instskip(NEXT) | instid1(VALU_DEP_1)
	v_sub_f32_e32 v26, v26, v32
	v_sub_f32_e32 v26, v26, v27
	s_delay_alu instid0(VALU_DEP_3) | instskip(NEXT) | instid1(VALU_DEP_2)
	v_sub_f32_e32 v27, v30, v29
	v_add_f32_e32 v23, v23, v26
	v_add_f32_e32 v26, v31, v28
	s_delay_alu instid0(VALU_DEP_2) | instskip(NEXT) | instid1(VALU_DEP_2)
	v_add_f32_e32 v23, v27, v23
	v_sub_f32_e32 v27, v26, v31
	s_delay_alu instid0(VALU_DEP_2) | instskip(NEXT) | instid1(VALU_DEP_2)
	v_add_f32_e32 v23, v32, v23
	v_sub_f32_e32 v27, v28, v27
	s_delay_alu instid0(VALU_DEP_2) | instskip(NEXT) | instid1(VALU_DEP_1)
	v_mul_f32_e32 v23, v25, v23
	v_add_f32_e32 v23, v27, v23
	s_delay_alu instid0(VALU_DEP_1) | instskip(NEXT) | instid1(VALU_DEP_1)
	v_add_f32_e32 v25, v26, v23
	v_mul_f32_e32 v27, v25, v25
	s_delay_alu instid0(VALU_DEP_1) | instskip(SKIP_2) | instid1(VALU_DEP_3)
	v_fmaak_f32 v28, s0, v27, 0x3ecc95a3
	v_mul_f32_e32 v29, v25, v27
	v_cmp_eq_f32_e64 s0, 0x7f800000, v24
	v_fmaak_f32 v27, v27, v28, 0x3f2aaada
	v_ldexp_f32 v28, v25, 1
	v_sub_f32_e32 v25, v25, v26
	s_delay_alu instid0(VALU_DEP_4) | instskip(NEXT) | instid1(VALU_DEP_3)
	s_or_b32 s0, s0, s23
	v_mul_f32_e32 v27, v29, v27
	v_mul_f32_e32 v29, 0x3f317218, v22
	s_delay_alu instid0(VALU_DEP_2) | instskip(NEXT) | instid1(VALU_DEP_1)
	v_dual_sub_f32 v23, v23, v25 :: v_dual_add_f32 v26, v28, v27
	v_ldexp_f32 v23, v23, 1
	s_delay_alu instid0(VALU_DEP_2) | instskip(NEXT) | instid1(VALU_DEP_4)
	v_sub_f32_e32 v25, v26, v28
	v_fma_f32 v28, 0x3f317218, v22, -v29
	s_delay_alu instid0(VALU_DEP_1) | instskip(NEXT) | instid1(VALU_DEP_1)
	v_dual_sub_f32 v25, v27, v25 :: v_dual_fmamk_f32 v22, v22, 0xb102e308, v28
	v_add_f32_e32 v23, v23, v25
	s_delay_alu instid0(VALU_DEP_2) | instskip(NEXT) | instid1(VALU_DEP_2)
	v_add_f32_e32 v25, v29, v22
	v_add_f32_e32 v27, v26, v23
	s_delay_alu instid0(VALU_DEP_2) | instskip(NEXT) | instid1(VALU_DEP_2)
	v_sub_f32_e32 v29, v25, v29
	v_add_f32_e32 v28, v25, v27
	v_sub_f32_e32 v26, v27, v26
	s_delay_alu instid0(VALU_DEP_3) | instskip(NEXT) | instid1(VALU_DEP_2)
	v_sub_f32_e32 v22, v22, v29
	v_dual_sub_f32 v30, v28, v25 :: v_dual_sub_f32 v23, v23, v26
	s_delay_alu instid0(VALU_DEP_1) | instskip(NEXT) | instid1(VALU_DEP_2)
	v_sub_f32_e32 v31, v28, v30
	v_dual_sub_f32 v26, v27, v30 :: v_dual_add_f32 v27, v22, v23
	s_delay_alu instid0(VALU_DEP_2) | instskip(NEXT) | instid1(VALU_DEP_1)
	v_sub_f32_e32 v25, v25, v31
	v_dual_add_f32 v25, v26, v25 :: v_dual_sub_f32 v26, v27, v22
	s_delay_alu instid0(VALU_DEP_1) | instskip(NEXT) | instid1(VALU_DEP_2)
	v_add_f32_e32 v25, v27, v25
	v_sub_f32_e32 v27, v27, v26
	v_sub_f32_e32 v23, v23, v26
	s_delay_alu instid0(VALU_DEP_2) | instskip(NEXT) | instid1(VALU_DEP_1)
	v_dual_add_f32 v29, v28, v25 :: v_dual_sub_f32 v22, v22, v27
	v_sub_f32_e32 v26, v29, v28
	s_delay_alu instid0(VALU_DEP_2) | instskip(NEXT) | instid1(VALU_DEP_2)
	v_add_f32_e32 v22, v23, v22
	v_sub_f32_e32 v23, v25, v26
	s_delay_alu instid0(VALU_DEP_1) | instskip(NEXT) | instid1(VALU_DEP_1)
	v_add_f32_e32 v22, v22, v23
	v_add_f32_e32 v22, v29, v22
	s_delay_alu instid0(VALU_DEP_1) | instskip(NEXT) | instid1(VALU_DEP_1)
	v_cndmask_b32_e64 v22, v22, v24, s0
	v_add_f32_e32 v22, v4, v22
.LBB491_156:
	s_or_b32 exec_lo, exec_lo, s1
	s_delay_alu instid0(VALU_DEP_1) | instskip(SKIP_1) | instid1(VALU_DEP_2)
	v_bfe_u32 v4, v22, 16, 1
	v_cmp_o_f32_e64 s0, v22, v22
	v_add3_u32 v4, v22, v4, 0x7fff
	s_delay_alu instid0(VALU_DEP_1) | instskip(NEXT) | instid1(VALU_DEP_1)
	v_lshrrev_b32_e32 v4, 16, v4
	v_cndmask_b32_e64 v4, 0x7fc0, v4, s0
	s_delay_alu instid0(VALU_DEP_1) | instskip(NEXT) | instid1(VALU_DEP_1)
	v_lshlrev_b32_e32 v23, 16, v4
	v_max_f32_e32 v22, v23, v23
	s_delay_alu instid0(VALU_DEP_1) | instskip(SKIP_2) | instid1(VALU_DEP_1)
	v_min_f32_e32 v24, v22, v41
	v_max_f32_e32 v22, v22, v41
	v_cmp_u_f32_e64 s0, v23, v23
	v_cndmask_b32_e64 v24, v24, v23, s0
	s_delay_alu instid0(VALU_DEP_3) | instskip(NEXT) | instid1(VALU_DEP_2)
	v_cndmask_b32_e64 v22, v22, v23, s0
	v_cndmask_b32_e64 v24, v24, v37, s41
	s_delay_alu instid0(VALU_DEP_2) | instskip(NEXT) | instid1(VALU_DEP_2)
	v_cndmask_b32_e64 v22, v22, v37, s41
	v_cmp_class_f32_e64 s1, v24, 0x1f8
	s_delay_alu instid0(VALU_DEP_2) | instskip(NEXT) | instid1(VALU_DEP_1)
	v_cmp_neq_f32_e64 s0, v24, v22
	s_or_b32 s0, s0, s1
	s_delay_alu instid0(SALU_CYCLE_1)
	s_and_saveexec_b32 s1, s0
	s_cbranch_execz .LBB491_158
; %bb.157:
	v_sub_f32_e32 v23, v24, v22
	s_delay_alu instid0(VALU_DEP_1) | instskip(SKIP_1) | instid1(VALU_DEP_2)
	v_mul_f32_e32 v24, 0x3fb8aa3b, v23
	v_cmp_ngt_f32_e64 s0, 0xc2ce8ed0, v23
	v_fma_f32 v25, 0x3fb8aa3b, v23, -v24
	v_rndne_f32_e32 v26, v24
	s_delay_alu instid0(VALU_DEP_1) | instskip(NEXT) | instid1(VALU_DEP_1)
	v_dual_fmamk_f32 v25, v23, 0x32a5705f, v25 :: v_dual_sub_f32 v24, v24, v26
	v_add_f32_e32 v24, v24, v25
	v_cvt_i32_f32_e32 v25, v26
	s_delay_alu instid0(VALU_DEP_2) | instskip(SKIP_2) | instid1(VALU_DEP_1)
	v_exp_f32_e32 v24, v24
	s_waitcnt_depctr 0xfff
	v_ldexp_f32 v24, v24, v25
	v_cndmask_b32_e64 v24, 0, v24, s0
	v_cmp_nlt_f32_e64 s0, 0x42b17218, v23
	s_delay_alu instid0(VALU_DEP_1) | instskip(NEXT) | instid1(VALU_DEP_1)
	v_cndmask_b32_e64 v25, 0x7f800000, v24, s0
	v_add_f32_e32 v26, 1.0, v25
	v_cmp_gt_f32_e64 s23, 0x33800000, |v25|
	s_delay_alu instid0(VALU_DEP_2) | instskip(NEXT) | instid1(VALU_DEP_1)
	v_cvt_f64_f32_e32 v[23:24], v26
	v_frexp_exp_i32_f64_e32 v23, v[23:24]
	v_frexp_mant_f32_e32 v24, v26
	s_delay_alu instid0(VALU_DEP_1) | instskip(SKIP_1) | instid1(VALU_DEP_1)
	v_cmp_gt_f32_e64 s0, 0x3f2aaaab, v24
	v_add_f32_e32 v24, -1.0, v26
	v_sub_f32_e32 v28, v24, v26
	v_sub_f32_e32 v24, v25, v24
	s_delay_alu instid0(VALU_DEP_4) | instskip(SKIP_1) | instid1(VALU_DEP_1)
	v_subrev_co_ci_u32_e64 v23, s0, 0, v23, s0
	s_mov_b32 s0, 0x3e9b6dac
	v_sub_nc_u32_e32 v27, 0, v23
	v_cvt_f32_i32_e32 v23, v23
	s_delay_alu instid0(VALU_DEP_2) | instskip(NEXT) | instid1(VALU_DEP_1)
	v_ldexp_f32 v26, v26, v27
	v_dual_add_f32 v29, 1.0, v26 :: v_dual_add_f32 v28, 1.0, v28
	s_delay_alu instid0(VALU_DEP_1) | instskip(NEXT) | instid1(VALU_DEP_2)
	v_add_f32_e32 v24, v24, v28
	v_add_f32_e32 v28, -1.0, v29
	s_delay_alu instid0(VALU_DEP_2) | instskip(NEXT) | instid1(VALU_DEP_2)
	v_ldexp_f32 v24, v24, v27
	v_dual_add_f32 v27, -1.0, v26 :: v_dual_sub_f32 v28, v26, v28
	s_delay_alu instid0(VALU_DEP_1) | instskip(NEXT) | instid1(VALU_DEP_2)
	v_add_f32_e32 v30, 1.0, v27
	v_add_f32_e32 v28, v24, v28
	s_delay_alu instid0(VALU_DEP_2) | instskip(NEXT) | instid1(VALU_DEP_2)
	v_sub_f32_e32 v26, v26, v30
	v_add_f32_e32 v30, v29, v28
	s_delay_alu instid0(VALU_DEP_2) | instskip(NEXT) | instid1(VALU_DEP_2)
	v_add_f32_e32 v24, v24, v26
	v_rcp_f32_e32 v26, v30
	v_sub_f32_e32 v29, v29, v30
	s_delay_alu instid0(VALU_DEP_1) | instskip(NEXT) | instid1(VALU_DEP_1)
	v_dual_add_f32 v31, v27, v24 :: v_dual_add_f32 v28, v28, v29
	v_sub_f32_e32 v27, v27, v31
	s_waitcnt_depctr 0xfff
	v_mul_f32_e32 v32, v31, v26
	s_delay_alu instid0(VALU_DEP_1) | instskip(NEXT) | instid1(VALU_DEP_1)
	v_dual_add_f32 v24, v24, v27 :: v_dual_mul_f32 v33, v30, v32
	v_fma_f32 v29, v32, v30, -v33
	s_delay_alu instid0(VALU_DEP_1) | instskip(NEXT) | instid1(VALU_DEP_1)
	v_fmac_f32_e32 v29, v32, v28
	v_add_f32_e32 v34, v33, v29
	s_delay_alu instid0(VALU_DEP_1) | instskip(SKIP_1) | instid1(VALU_DEP_2)
	v_sub_f32_e32 v35, v31, v34
	v_sub_f32_e32 v27, v34, v33
	;; [unrolled: 1-line block ×3, first 2 shown]
	s_delay_alu instid0(VALU_DEP_2) | instskip(NEXT) | instid1(VALU_DEP_2)
	v_sub_f32_e32 v27, v27, v29
	v_sub_f32_e32 v31, v31, v34
	s_delay_alu instid0(VALU_DEP_1) | instskip(NEXT) | instid1(VALU_DEP_1)
	v_add_f32_e32 v24, v24, v31
	v_add_f32_e32 v24, v27, v24
	s_delay_alu instid0(VALU_DEP_1) | instskip(NEXT) | instid1(VALU_DEP_1)
	v_add_f32_e32 v27, v35, v24
	v_mul_f32_e32 v29, v26, v27
	s_delay_alu instid0(VALU_DEP_1) | instskip(NEXT) | instid1(VALU_DEP_1)
	v_dual_sub_f32 v34, v35, v27 :: v_dual_mul_f32 v31, v30, v29
	v_add_f32_e32 v24, v24, v34
	s_delay_alu instid0(VALU_DEP_2) | instskip(NEXT) | instid1(VALU_DEP_1)
	v_fma_f32 v30, v29, v30, -v31
	v_fmac_f32_e32 v30, v29, v28
	s_delay_alu instid0(VALU_DEP_1) | instskip(NEXT) | instid1(VALU_DEP_1)
	v_add_f32_e32 v28, v31, v30
	v_sub_f32_e32 v33, v27, v28
	v_sub_f32_e32 v31, v28, v31
	s_delay_alu instid0(VALU_DEP_2) | instskip(NEXT) | instid1(VALU_DEP_1)
	v_sub_f32_e32 v27, v27, v33
	v_sub_f32_e32 v27, v27, v28
	s_delay_alu instid0(VALU_DEP_3) | instskip(NEXT) | instid1(VALU_DEP_2)
	v_sub_f32_e32 v28, v31, v30
	v_add_f32_e32 v24, v24, v27
	v_add_f32_e32 v27, v32, v29
	s_delay_alu instid0(VALU_DEP_2) | instskip(NEXT) | instid1(VALU_DEP_2)
	v_add_f32_e32 v24, v28, v24
	v_sub_f32_e32 v28, v27, v32
	s_delay_alu instid0(VALU_DEP_2) | instskip(NEXT) | instid1(VALU_DEP_2)
	v_add_f32_e32 v24, v33, v24
	v_sub_f32_e32 v28, v29, v28
	s_delay_alu instid0(VALU_DEP_2) | instskip(NEXT) | instid1(VALU_DEP_1)
	v_mul_f32_e32 v24, v26, v24
	v_add_f32_e32 v24, v28, v24
	s_delay_alu instid0(VALU_DEP_1) | instskip(NEXT) | instid1(VALU_DEP_1)
	v_add_f32_e32 v26, v27, v24
	v_mul_f32_e32 v28, v26, v26
	s_delay_alu instid0(VALU_DEP_1) | instskip(SKIP_2) | instid1(VALU_DEP_3)
	v_fmaak_f32 v29, s0, v28, 0x3ecc95a3
	v_mul_f32_e32 v30, v26, v28
	v_cmp_eq_f32_e64 s0, 0x7f800000, v25
	v_fmaak_f32 v28, v28, v29, 0x3f2aaada
	v_ldexp_f32 v29, v26, 1
	v_sub_f32_e32 v26, v26, v27
	s_delay_alu instid0(VALU_DEP_4) | instskip(NEXT) | instid1(VALU_DEP_3)
	s_or_b32 s0, s0, s23
	v_mul_f32_e32 v28, v30, v28
	v_mul_f32_e32 v30, 0x3f317218, v23
	s_delay_alu instid0(VALU_DEP_2) | instskip(NEXT) | instid1(VALU_DEP_1)
	v_dual_sub_f32 v24, v24, v26 :: v_dual_add_f32 v27, v29, v28
	v_ldexp_f32 v24, v24, 1
	s_delay_alu instid0(VALU_DEP_2) | instskip(NEXT) | instid1(VALU_DEP_4)
	v_sub_f32_e32 v26, v27, v29
	v_fma_f32 v29, 0x3f317218, v23, -v30
	s_delay_alu instid0(VALU_DEP_1) | instskip(NEXT) | instid1(VALU_DEP_1)
	v_dual_sub_f32 v26, v28, v26 :: v_dual_fmamk_f32 v23, v23, 0xb102e308, v29
	v_add_f32_e32 v24, v24, v26
	s_delay_alu instid0(VALU_DEP_2) | instskip(NEXT) | instid1(VALU_DEP_2)
	v_add_f32_e32 v26, v30, v23
	v_add_f32_e32 v28, v27, v24
	s_delay_alu instid0(VALU_DEP_2) | instskip(NEXT) | instid1(VALU_DEP_2)
	v_sub_f32_e32 v30, v26, v30
	v_add_f32_e32 v29, v26, v28
	v_sub_f32_e32 v27, v28, v27
	s_delay_alu instid0(VALU_DEP_3) | instskip(NEXT) | instid1(VALU_DEP_2)
	v_sub_f32_e32 v23, v23, v30
	v_dual_sub_f32 v31, v29, v26 :: v_dual_sub_f32 v24, v24, v27
	s_delay_alu instid0(VALU_DEP_1) | instskip(NEXT) | instid1(VALU_DEP_2)
	v_sub_f32_e32 v32, v29, v31
	v_dual_sub_f32 v27, v28, v31 :: v_dual_add_f32 v28, v23, v24
	s_delay_alu instid0(VALU_DEP_2) | instskip(NEXT) | instid1(VALU_DEP_1)
	v_sub_f32_e32 v26, v26, v32
	v_dual_add_f32 v26, v27, v26 :: v_dual_sub_f32 v27, v28, v23
	s_delay_alu instid0(VALU_DEP_1) | instskip(NEXT) | instid1(VALU_DEP_2)
	v_add_f32_e32 v26, v28, v26
	v_sub_f32_e32 v28, v28, v27
	v_sub_f32_e32 v24, v24, v27
	s_delay_alu instid0(VALU_DEP_2) | instskip(NEXT) | instid1(VALU_DEP_1)
	v_dual_add_f32 v30, v29, v26 :: v_dual_sub_f32 v23, v23, v28
	v_sub_f32_e32 v27, v30, v29
	s_delay_alu instid0(VALU_DEP_2) | instskip(NEXT) | instid1(VALU_DEP_2)
	v_add_f32_e32 v23, v24, v23
	v_sub_f32_e32 v24, v26, v27
	s_delay_alu instid0(VALU_DEP_1) | instskip(NEXT) | instid1(VALU_DEP_1)
	v_add_f32_e32 v23, v23, v24
	v_add_f32_e32 v23, v30, v23
	s_delay_alu instid0(VALU_DEP_1) | instskip(NEXT) | instid1(VALU_DEP_1)
	v_cndmask_b32_e64 v23, v23, v25, s0
	v_add_f32_e32 v23, v22, v23
.LBB491_158:
	s_or_b32 exec_lo, exec_lo, s1
	s_delay_alu instid0(VALU_DEP_1) | instskip(SKIP_1) | instid1(VALU_DEP_2)
	v_bfe_u32 v22, v23, 16, 1
	v_cmp_o_f32_e64 s0, v23, v23
	v_add3_u32 v22, v23, v22, 0x7fff
	s_delay_alu instid0(VALU_DEP_1) | instskip(NEXT) | instid1(VALU_DEP_1)
	v_lshrrev_b32_e32 v22, 16, v22
	v_cndmask_b32_e64 v22, 0x7fc0, v22, s0
	s_delay_alu instid0(VALU_DEP_1) | instskip(NEXT) | instid1(VALU_DEP_1)
	v_lshlrev_b32_e32 v23, 16, v22
	v_max_f32_e32 v24, v23, v23
	s_delay_alu instid0(VALU_DEP_1) | instskip(SKIP_2) | instid1(VALU_DEP_1)
	v_min_f32_e32 v25, v24, v43
	v_max_f32_e32 v24, v24, v43
	v_cmp_u_f32_e64 s0, v23, v23
	v_cndmask_b32_e64 v25, v25, v23, s0
	s_delay_alu instid0(VALU_DEP_3) | instskip(NEXT) | instid1(VALU_DEP_2)
	v_cndmask_b32_e64 v26, v24, v23, s0
	v_cndmask_b32_e64 v24, v25, v5, s42
	s_delay_alu instid0(VALU_DEP_2) | instskip(NEXT) | instid1(VALU_DEP_2)
	v_cndmask_b32_e64 v5, v26, v5, s42
	v_cmp_class_f32_e64 s1, v24, 0x1f8
	s_delay_alu instid0(VALU_DEP_2) | instskip(NEXT) | instid1(VALU_DEP_1)
	v_cmp_neq_f32_e64 s0, v24, v5
	s_or_b32 s0, s0, s1
	s_delay_alu instid0(SALU_CYCLE_1)
	s_and_saveexec_b32 s1, s0
	s_cbranch_execz .LBB491_160
; %bb.159:
	v_sub_f32_e32 v23, v24, v5
	s_delay_alu instid0(VALU_DEP_1) | instskip(SKIP_1) | instid1(VALU_DEP_2)
	v_mul_f32_e32 v24, 0x3fb8aa3b, v23
	v_cmp_ngt_f32_e64 s0, 0xc2ce8ed0, v23
	v_fma_f32 v25, 0x3fb8aa3b, v23, -v24
	v_rndne_f32_e32 v26, v24
	s_delay_alu instid0(VALU_DEP_1) | instskip(NEXT) | instid1(VALU_DEP_1)
	v_dual_fmamk_f32 v25, v23, 0x32a5705f, v25 :: v_dual_sub_f32 v24, v24, v26
	v_add_f32_e32 v24, v24, v25
	v_cvt_i32_f32_e32 v25, v26
	s_delay_alu instid0(VALU_DEP_2) | instskip(SKIP_2) | instid1(VALU_DEP_1)
	v_exp_f32_e32 v24, v24
	s_waitcnt_depctr 0xfff
	v_ldexp_f32 v24, v24, v25
	v_cndmask_b32_e64 v24, 0, v24, s0
	v_cmp_nlt_f32_e64 s0, 0x42b17218, v23
	s_delay_alu instid0(VALU_DEP_1) | instskip(NEXT) | instid1(VALU_DEP_1)
	v_cndmask_b32_e64 v25, 0x7f800000, v24, s0
	v_add_f32_e32 v26, 1.0, v25
	v_cmp_gt_f32_e64 s23, 0x33800000, |v25|
	s_delay_alu instid0(VALU_DEP_2) | instskip(NEXT) | instid1(VALU_DEP_1)
	v_cvt_f64_f32_e32 v[23:24], v26
	v_frexp_exp_i32_f64_e32 v23, v[23:24]
	v_frexp_mant_f32_e32 v24, v26
	s_delay_alu instid0(VALU_DEP_1) | instskip(SKIP_1) | instid1(VALU_DEP_1)
	v_cmp_gt_f32_e64 s0, 0x3f2aaaab, v24
	v_add_f32_e32 v24, -1.0, v26
	v_sub_f32_e32 v28, v24, v26
	v_sub_f32_e32 v24, v25, v24
	s_delay_alu instid0(VALU_DEP_4) | instskip(SKIP_1) | instid1(VALU_DEP_1)
	v_subrev_co_ci_u32_e64 v23, s0, 0, v23, s0
	s_mov_b32 s0, 0x3e9b6dac
	v_sub_nc_u32_e32 v27, 0, v23
	v_cvt_f32_i32_e32 v23, v23
	s_delay_alu instid0(VALU_DEP_2) | instskip(NEXT) | instid1(VALU_DEP_1)
	v_ldexp_f32 v26, v26, v27
	v_dual_add_f32 v29, 1.0, v26 :: v_dual_add_f32 v28, 1.0, v28
	s_delay_alu instid0(VALU_DEP_1) | instskip(NEXT) | instid1(VALU_DEP_2)
	v_add_f32_e32 v24, v24, v28
	v_add_f32_e32 v28, -1.0, v29
	s_delay_alu instid0(VALU_DEP_2) | instskip(NEXT) | instid1(VALU_DEP_2)
	v_ldexp_f32 v24, v24, v27
	v_dual_add_f32 v27, -1.0, v26 :: v_dual_sub_f32 v28, v26, v28
	s_delay_alu instid0(VALU_DEP_1) | instskip(NEXT) | instid1(VALU_DEP_2)
	v_add_f32_e32 v30, 1.0, v27
	v_add_f32_e32 v28, v24, v28
	s_delay_alu instid0(VALU_DEP_2) | instskip(NEXT) | instid1(VALU_DEP_2)
	v_sub_f32_e32 v26, v26, v30
	v_add_f32_e32 v30, v29, v28
	s_delay_alu instid0(VALU_DEP_2) | instskip(NEXT) | instid1(VALU_DEP_2)
	v_add_f32_e32 v24, v24, v26
	v_rcp_f32_e32 v26, v30
	v_sub_f32_e32 v29, v29, v30
	s_delay_alu instid0(VALU_DEP_1) | instskip(NEXT) | instid1(VALU_DEP_1)
	v_dual_add_f32 v31, v27, v24 :: v_dual_add_f32 v28, v28, v29
	v_sub_f32_e32 v27, v27, v31
	s_waitcnt_depctr 0xfff
	v_mul_f32_e32 v32, v31, v26
	s_delay_alu instid0(VALU_DEP_1) | instskip(NEXT) | instid1(VALU_DEP_1)
	v_dual_add_f32 v24, v24, v27 :: v_dual_mul_f32 v33, v30, v32
	v_fma_f32 v29, v32, v30, -v33
	s_delay_alu instid0(VALU_DEP_1) | instskip(NEXT) | instid1(VALU_DEP_1)
	v_fmac_f32_e32 v29, v32, v28
	v_add_f32_e32 v34, v33, v29
	s_delay_alu instid0(VALU_DEP_1) | instskip(SKIP_1) | instid1(VALU_DEP_2)
	v_sub_f32_e32 v35, v31, v34
	v_sub_f32_e32 v27, v34, v33
	;; [unrolled: 1-line block ×3, first 2 shown]
	s_delay_alu instid0(VALU_DEP_2) | instskip(NEXT) | instid1(VALU_DEP_2)
	v_sub_f32_e32 v27, v27, v29
	v_sub_f32_e32 v31, v31, v34
	s_delay_alu instid0(VALU_DEP_1) | instskip(NEXT) | instid1(VALU_DEP_1)
	v_add_f32_e32 v24, v24, v31
	v_add_f32_e32 v24, v27, v24
	s_delay_alu instid0(VALU_DEP_1) | instskip(NEXT) | instid1(VALU_DEP_1)
	v_add_f32_e32 v27, v35, v24
	v_mul_f32_e32 v29, v26, v27
	s_delay_alu instid0(VALU_DEP_1) | instskip(NEXT) | instid1(VALU_DEP_1)
	v_dual_sub_f32 v34, v35, v27 :: v_dual_mul_f32 v31, v30, v29
	v_add_f32_e32 v24, v24, v34
	s_delay_alu instid0(VALU_DEP_2) | instskip(NEXT) | instid1(VALU_DEP_1)
	v_fma_f32 v30, v29, v30, -v31
	v_fmac_f32_e32 v30, v29, v28
	s_delay_alu instid0(VALU_DEP_1) | instskip(NEXT) | instid1(VALU_DEP_1)
	v_add_f32_e32 v28, v31, v30
	v_sub_f32_e32 v33, v27, v28
	v_sub_f32_e32 v31, v28, v31
	s_delay_alu instid0(VALU_DEP_2) | instskip(NEXT) | instid1(VALU_DEP_1)
	v_sub_f32_e32 v27, v27, v33
	v_sub_f32_e32 v27, v27, v28
	s_delay_alu instid0(VALU_DEP_3) | instskip(NEXT) | instid1(VALU_DEP_2)
	v_sub_f32_e32 v28, v31, v30
	v_add_f32_e32 v24, v24, v27
	v_add_f32_e32 v27, v32, v29
	s_delay_alu instid0(VALU_DEP_2) | instskip(NEXT) | instid1(VALU_DEP_2)
	v_add_f32_e32 v24, v28, v24
	v_sub_f32_e32 v28, v27, v32
	s_delay_alu instid0(VALU_DEP_2) | instskip(NEXT) | instid1(VALU_DEP_2)
	v_add_f32_e32 v24, v33, v24
	v_sub_f32_e32 v28, v29, v28
	s_delay_alu instid0(VALU_DEP_2) | instskip(NEXT) | instid1(VALU_DEP_1)
	v_mul_f32_e32 v24, v26, v24
	v_add_f32_e32 v24, v28, v24
	s_delay_alu instid0(VALU_DEP_1) | instskip(NEXT) | instid1(VALU_DEP_1)
	v_add_f32_e32 v26, v27, v24
	v_mul_f32_e32 v28, v26, v26
	s_delay_alu instid0(VALU_DEP_1) | instskip(SKIP_2) | instid1(VALU_DEP_3)
	v_fmaak_f32 v29, s0, v28, 0x3ecc95a3
	v_mul_f32_e32 v30, v26, v28
	v_cmp_eq_f32_e64 s0, 0x7f800000, v25
	v_fmaak_f32 v28, v28, v29, 0x3f2aaada
	v_ldexp_f32 v29, v26, 1
	v_sub_f32_e32 v26, v26, v27
	s_delay_alu instid0(VALU_DEP_4) | instskip(NEXT) | instid1(VALU_DEP_3)
	s_or_b32 s0, s0, s23
	v_mul_f32_e32 v28, v30, v28
	v_mul_f32_e32 v30, 0x3f317218, v23
	s_delay_alu instid0(VALU_DEP_2) | instskip(NEXT) | instid1(VALU_DEP_1)
	v_dual_sub_f32 v24, v24, v26 :: v_dual_add_f32 v27, v29, v28
	v_ldexp_f32 v24, v24, 1
	s_delay_alu instid0(VALU_DEP_2) | instskip(NEXT) | instid1(VALU_DEP_4)
	v_sub_f32_e32 v26, v27, v29
	v_fma_f32 v29, 0x3f317218, v23, -v30
	s_delay_alu instid0(VALU_DEP_1) | instskip(NEXT) | instid1(VALU_DEP_1)
	v_dual_sub_f32 v26, v28, v26 :: v_dual_fmamk_f32 v23, v23, 0xb102e308, v29
	v_add_f32_e32 v24, v24, v26
	s_delay_alu instid0(VALU_DEP_2) | instskip(NEXT) | instid1(VALU_DEP_2)
	v_add_f32_e32 v26, v30, v23
	v_add_f32_e32 v28, v27, v24
	s_delay_alu instid0(VALU_DEP_2) | instskip(NEXT) | instid1(VALU_DEP_2)
	v_sub_f32_e32 v30, v26, v30
	v_add_f32_e32 v29, v26, v28
	v_sub_f32_e32 v27, v28, v27
	s_delay_alu instid0(VALU_DEP_3) | instskip(NEXT) | instid1(VALU_DEP_2)
	v_sub_f32_e32 v23, v23, v30
	v_dual_sub_f32 v31, v29, v26 :: v_dual_sub_f32 v24, v24, v27
	s_delay_alu instid0(VALU_DEP_1) | instskip(NEXT) | instid1(VALU_DEP_2)
	v_sub_f32_e32 v32, v29, v31
	v_dual_sub_f32 v27, v28, v31 :: v_dual_add_f32 v28, v23, v24
	s_delay_alu instid0(VALU_DEP_2) | instskip(NEXT) | instid1(VALU_DEP_1)
	v_sub_f32_e32 v26, v26, v32
	v_dual_add_f32 v26, v27, v26 :: v_dual_sub_f32 v27, v28, v23
	s_delay_alu instid0(VALU_DEP_1) | instskip(NEXT) | instid1(VALU_DEP_2)
	v_add_f32_e32 v26, v28, v26
	v_sub_f32_e32 v28, v28, v27
	v_sub_f32_e32 v24, v24, v27
	s_delay_alu instid0(VALU_DEP_2) | instskip(NEXT) | instid1(VALU_DEP_1)
	v_dual_add_f32 v30, v29, v26 :: v_dual_sub_f32 v23, v23, v28
	v_sub_f32_e32 v27, v30, v29
	s_delay_alu instid0(VALU_DEP_2) | instskip(NEXT) | instid1(VALU_DEP_2)
	v_add_f32_e32 v23, v24, v23
	v_sub_f32_e32 v24, v26, v27
	s_delay_alu instid0(VALU_DEP_1) | instskip(NEXT) | instid1(VALU_DEP_1)
	v_add_f32_e32 v23, v23, v24
	v_add_f32_e32 v23, v30, v23
	s_delay_alu instid0(VALU_DEP_1) | instskip(NEXT) | instid1(VALU_DEP_1)
	v_cndmask_b32_e64 v23, v23, v25, s0
	v_add_f32_e32 v23, v5, v23
.LBB491_160:
	s_or_b32 exec_lo, exec_lo, s1
	s_delay_alu instid0(VALU_DEP_1) | instskip(SKIP_1) | instid1(VALU_DEP_2)
	v_bfe_u32 v5, v23, 16, 1
	v_cmp_o_f32_e64 s0, v23, v23
	v_add3_u32 v5, v23, v5, 0x7fff
	s_delay_alu instid0(VALU_DEP_1) | instskip(NEXT) | instid1(VALU_DEP_1)
	v_lshrrev_b32_e32 v5, 16, v5
	v_cndmask_b32_e64 v5, 0x7fc0, v5, s0
	s_delay_alu instid0(VALU_DEP_1) | instskip(NEXT) | instid1(VALU_DEP_1)
	v_lshlrev_b32_e32 v24, 16, v5
	v_max_f32_e32 v23, v24, v24
	s_delay_alu instid0(VALU_DEP_1) | instskip(SKIP_2) | instid1(VALU_DEP_1)
	v_min_f32_e32 v25, v23, v44
	v_max_f32_e32 v23, v23, v44
	v_cmp_u_f32_e64 s0, v24, v24
	v_cndmask_b32_e64 v25, v25, v24, s0
	s_delay_alu instid0(VALU_DEP_3) | instskip(NEXT) | instid1(VALU_DEP_2)
	v_cndmask_b32_e64 v23, v23, v24, s0
	v_cndmask_b32_e64 v25, v25, v40, s43
	s_delay_alu instid0(VALU_DEP_2) | instskip(NEXT) | instid1(VALU_DEP_2)
	v_cndmask_b32_e64 v23, v23, v40, s43
	v_cmp_class_f32_e64 s1, v25, 0x1f8
	s_delay_alu instid0(VALU_DEP_2) | instskip(NEXT) | instid1(VALU_DEP_1)
	v_cmp_neq_f32_e64 s0, v25, v23
	s_or_b32 s0, s0, s1
	s_delay_alu instid0(SALU_CYCLE_1)
	s_and_saveexec_b32 s1, s0
	s_cbranch_execz .LBB491_162
; %bb.161:
	v_sub_f32_e32 v24, v25, v23
	s_delay_alu instid0(VALU_DEP_1) | instskip(SKIP_1) | instid1(VALU_DEP_2)
	v_mul_f32_e32 v25, 0x3fb8aa3b, v24
	v_cmp_ngt_f32_e64 s0, 0xc2ce8ed0, v24
	v_fma_f32 v26, 0x3fb8aa3b, v24, -v25
	v_rndne_f32_e32 v27, v25
	s_delay_alu instid0(VALU_DEP_1) | instskip(NEXT) | instid1(VALU_DEP_1)
	v_dual_fmamk_f32 v26, v24, 0x32a5705f, v26 :: v_dual_sub_f32 v25, v25, v27
	v_add_f32_e32 v25, v25, v26
	v_cvt_i32_f32_e32 v26, v27
	s_delay_alu instid0(VALU_DEP_2) | instskip(SKIP_2) | instid1(VALU_DEP_1)
	v_exp_f32_e32 v25, v25
	s_waitcnt_depctr 0xfff
	v_ldexp_f32 v25, v25, v26
	v_cndmask_b32_e64 v25, 0, v25, s0
	v_cmp_nlt_f32_e64 s0, 0x42b17218, v24
	s_delay_alu instid0(VALU_DEP_1) | instskip(NEXT) | instid1(VALU_DEP_1)
	v_cndmask_b32_e64 v26, 0x7f800000, v25, s0
	v_add_f32_e32 v27, 1.0, v26
	v_cmp_gt_f32_e64 s23, 0x33800000, |v26|
	s_delay_alu instid0(VALU_DEP_2) | instskip(NEXT) | instid1(VALU_DEP_1)
	v_cvt_f64_f32_e32 v[24:25], v27
	v_frexp_exp_i32_f64_e32 v24, v[24:25]
	v_frexp_mant_f32_e32 v25, v27
	s_delay_alu instid0(VALU_DEP_1) | instskip(SKIP_1) | instid1(VALU_DEP_1)
	v_cmp_gt_f32_e64 s0, 0x3f2aaaab, v25
	v_add_f32_e32 v25, -1.0, v27
	v_sub_f32_e32 v29, v25, v27
	v_sub_f32_e32 v25, v26, v25
	s_delay_alu instid0(VALU_DEP_4) | instskip(SKIP_1) | instid1(VALU_DEP_1)
	v_subrev_co_ci_u32_e64 v24, s0, 0, v24, s0
	s_mov_b32 s0, 0x3e9b6dac
	v_sub_nc_u32_e32 v28, 0, v24
	v_cvt_f32_i32_e32 v24, v24
	s_delay_alu instid0(VALU_DEP_2) | instskip(NEXT) | instid1(VALU_DEP_1)
	v_ldexp_f32 v27, v27, v28
	v_dual_add_f32 v30, 1.0, v27 :: v_dual_add_f32 v29, 1.0, v29
	s_delay_alu instid0(VALU_DEP_1) | instskip(NEXT) | instid1(VALU_DEP_2)
	v_add_f32_e32 v25, v25, v29
	v_add_f32_e32 v29, -1.0, v30
	s_delay_alu instid0(VALU_DEP_2) | instskip(NEXT) | instid1(VALU_DEP_2)
	v_ldexp_f32 v25, v25, v28
	v_dual_add_f32 v28, -1.0, v27 :: v_dual_sub_f32 v29, v27, v29
	s_delay_alu instid0(VALU_DEP_1) | instskip(NEXT) | instid1(VALU_DEP_2)
	v_add_f32_e32 v31, 1.0, v28
	v_add_f32_e32 v29, v25, v29
	s_delay_alu instid0(VALU_DEP_2) | instskip(NEXT) | instid1(VALU_DEP_2)
	v_sub_f32_e32 v27, v27, v31
	v_add_f32_e32 v31, v30, v29
	s_delay_alu instid0(VALU_DEP_2) | instskip(NEXT) | instid1(VALU_DEP_2)
	v_add_f32_e32 v25, v25, v27
	v_rcp_f32_e32 v27, v31
	v_sub_f32_e32 v30, v30, v31
	s_delay_alu instid0(VALU_DEP_1) | instskip(NEXT) | instid1(VALU_DEP_1)
	v_dual_add_f32 v32, v28, v25 :: v_dual_add_f32 v29, v29, v30
	v_sub_f32_e32 v28, v28, v32
	s_waitcnt_depctr 0xfff
	v_mul_f32_e32 v33, v32, v27
	s_delay_alu instid0(VALU_DEP_1) | instskip(NEXT) | instid1(VALU_DEP_1)
	v_dual_add_f32 v25, v25, v28 :: v_dual_mul_f32 v34, v31, v33
	v_fma_f32 v30, v33, v31, -v34
	s_delay_alu instid0(VALU_DEP_1) | instskip(NEXT) | instid1(VALU_DEP_1)
	v_fmac_f32_e32 v30, v33, v29
	v_add_f32_e32 v35, v34, v30
	s_delay_alu instid0(VALU_DEP_1) | instskip(SKIP_1) | instid1(VALU_DEP_2)
	v_sub_f32_e32 v36, v32, v35
	v_sub_f32_e32 v28, v35, v34
	;; [unrolled: 1-line block ×3, first 2 shown]
	s_delay_alu instid0(VALU_DEP_2) | instskip(NEXT) | instid1(VALU_DEP_2)
	v_sub_f32_e32 v28, v28, v30
	v_sub_f32_e32 v32, v32, v35
	s_delay_alu instid0(VALU_DEP_1) | instskip(NEXT) | instid1(VALU_DEP_1)
	v_add_f32_e32 v25, v25, v32
	v_add_f32_e32 v25, v28, v25
	s_delay_alu instid0(VALU_DEP_1) | instskip(NEXT) | instid1(VALU_DEP_1)
	v_add_f32_e32 v28, v36, v25
	v_mul_f32_e32 v30, v27, v28
	s_delay_alu instid0(VALU_DEP_1) | instskip(NEXT) | instid1(VALU_DEP_1)
	v_dual_sub_f32 v35, v36, v28 :: v_dual_mul_f32 v32, v31, v30
	v_add_f32_e32 v25, v25, v35
	s_delay_alu instid0(VALU_DEP_2) | instskip(NEXT) | instid1(VALU_DEP_1)
	v_fma_f32 v31, v30, v31, -v32
	v_fmac_f32_e32 v31, v30, v29
	s_delay_alu instid0(VALU_DEP_1) | instskip(NEXT) | instid1(VALU_DEP_1)
	v_add_f32_e32 v29, v32, v31
	v_sub_f32_e32 v34, v28, v29
	v_sub_f32_e32 v32, v29, v32
	s_delay_alu instid0(VALU_DEP_2) | instskip(NEXT) | instid1(VALU_DEP_1)
	v_sub_f32_e32 v28, v28, v34
	v_sub_f32_e32 v28, v28, v29
	s_delay_alu instid0(VALU_DEP_3) | instskip(NEXT) | instid1(VALU_DEP_2)
	v_sub_f32_e32 v29, v32, v31
	v_add_f32_e32 v25, v25, v28
	v_add_f32_e32 v28, v33, v30
	s_delay_alu instid0(VALU_DEP_2) | instskip(NEXT) | instid1(VALU_DEP_2)
	v_add_f32_e32 v25, v29, v25
	v_sub_f32_e32 v29, v28, v33
	s_delay_alu instid0(VALU_DEP_2) | instskip(NEXT) | instid1(VALU_DEP_2)
	v_add_f32_e32 v25, v34, v25
	v_sub_f32_e32 v29, v30, v29
	s_delay_alu instid0(VALU_DEP_2) | instskip(NEXT) | instid1(VALU_DEP_1)
	v_mul_f32_e32 v25, v27, v25
	v_add_f32_e32 v25, v29, v25
	s_delay_alu instid0(VALU_DEP_1) | instskip(NEXT) | instid1(VALU_DEP_1)
	v_add_f32_e32 v27, v28, v25
	v_mul_f32_e32 v29, v27, v27
	s_delay_alu instid0(VALU_DEP_1) | instskip(SKIP_2) | instid1(VALU_DEP_3)
	v_fmaak_f32 v30, s0, v29, 0x3ecc95a3
	v_mul_f32_e32 v31, v27, v29
	v_cmp_eq_f32_e64 s0, 0x7f800000, v26
	v_fmaak_f32 v29, v29, v30, 0x3f2aaada
	v_ldexp_f32 v30, v27, 1
	v_sub_f32_e32 v27, v27, v28
	s_delay_alu instid0(VALU_DEP_4) | instskip(NEXT) | instid1(VALU_DEP_3)
	s_or_b32 s0, s0, s23
	v_mul_f32_e32 v29, v31, v29
	v_mul_f32_e32 v31, 0x3f317218, v24
	s_delay_alu instid0(VALU_DEP_2) | instskip(NEXT) | instid1(VALU_DEP_1)
	v_dual_sub_f32 v25, v25, v27 :: v_dual_add_f32 v28, v30, v29
	v_ldexp_f32 v25, v25, 1
	s_delay_alu instid0(VALU_DEP_2) | instskip(NEXT) | instid1(VALU_DEP_4)
	v_sub_f32_e32 v27, v28, v30
	v_fma_f32 v30, 0x3f317218, v24, -v31
	s_delay_alu instid0(VALU_DEP_1) | instskip(NEXT) | instid1(VALU_DEP_1)
	v_dual_sub_f32 v27, v29, v27 :: v_dual_fmamk_f32 v24, v24, 0xb102e308, v30
	v_add_f32_e32 v25, v25, v27
	s_delay_alu instid0(VALU_DEP_2) | instskip(NEXT) | instid1(VALU_DEP_2)
	v_add_f32_e32 v27, v31, v24
	v_add_f32_e32 v29, v28, v25
	s_delay_alu instid0(VALU_DEP_2) | instskip(NEXT) | instid1(VALU_DEP_2)
	v_sub_f32_e32 v31, v27, v31
	v_add_f32_e32 v30, v27, v29
	v_sub_f32_e32 v28, v29, v28
	s_delay_alu instid0(VALU_DEP_3) | instskip(NEXT) | instid1(VALU_DEP_2)
	v_sub_f32_e32 v24, v24, v31
	v_dual_sub_f32 v32, v30, v27 :: v_dual_sub_f32 v25, v25, v28
	s_delay_alu instid0(VALU_DEP_1) | instskip(NEXT) | instid1(VALU_DEP_2)
	v_sub_f32_e32 v33, v30, v32
	v_dual_sub_f32 v28, v29, v32 :: v_dual_add_f32 v29, v24, v25
	s_delay_alu instid0(VALU_DEP_2) | instskip(NEXT) | instid1(VALU_DEP_1)
	v_sub_f32_e32 v27, v27, v33
	v_dual_add_f32 v27, v28, v27 :: v_dual_sub_f32 v28, v29, v24
	s_delay_alu instid0(VALU_DEP_1) | instskip(NEXT) | instid1(VALU_DEP_2)
	v_add_f32_e32 v27, v29, v27
	v_sub_f32_e32 v29, v29, v28
	v_sub_f32_e32 v25, v25, v28
	s_delay_alu instid0(VALU_DEP_2) | instskip(NEXT) | instid1(VALU_DEP_1)
	v_dual_add_f32 v31, v30, v27 :: v_dual_sub_f32 v24, v24, v29
	v_sub_f32_e32 v28, v31, v30
	s_delay_alu instid0(VALU_DEP_2) | instskip(NEXT) | instid1(VALU_DEP_2)
	v_add_f32_e32 v24, v25, v24
	v_sub_f32_e32 v25, v27, v28
	s_delay_alu instid0(VALU_DEP_1) | instskip(NEXT) | instid1(VALU_DEP_1)
	v_add_f32_e32 v24, v24, v25
	v_add_f32_e32 v24, v31, v24
	s_delay_alu instid0(VALU_DEP_1) | instskip(NEXT) | instid1(VALU_DEP_1)
	v_cndmask_b32_e64 v24, v24, v26, s0
	v_add_f32_e32 v24, v23, v24
.LBB491_162:
	s_or_b32 exec_lo, exec_lo, s1
	s_delay_alu instid0(VALU_DEP_1) | instskip(SKIP_1) | instid1(VALU_DEP_2)
	v_bfe_u32 v23, v24, 16, 1
	v_cmp_o_f32_e64 s0, v24, v24
	v_add3_u32 v23, v24, v23, 0x7fff
	s_delay_alu instid0(VALU_DEP_1) | instskip(NEXT) | instid1(VALU_DEP_1)
	v_lshrrev_b32_e32 v23, 16, v23
	v_cndmask_b32_e64 v23, 0x7fc0, v23, s0
	s_delay_alu instid0(VALU_DEP_1) | instskip(NEXT) | instid1(VALU_DEP_1)
	v_lshlrev_b32_e32 v25, 16, v23
	v_max_f32_e32 v24, v25, v25
	s_delay_alu instid0(VALU_DEP_1) | instskip(SKIP_2) | instid1(VALU_DEP_1)
	v_min_f32_e32 v26, v24, v45
	v_max_f32_e32 v24, v24, v45
	v_cmp_u_f32_e64 s0, v25, v25
	v_cndmask_b32_e64 v26, v26, v25, s0
	s_delay_alu instid0(VALU_DEP_3) | instskip(NEXT) | instid1(VALU_DEP_2)
	v_cndmask_b32_e64 v24, v24, v25, s0
	v_cndmask_b32_e64 v26, v26, v42, s44
	s_delay_alu instid0(VALU_DEP_2) | instskip(NEXT) | instid1(VALU_DEP_2)
	v_cndmask_b32_e64 v24, v24, v42, s44
	v_cmp_class_f32_e64 s1, v26, 0x1f8
	s_delay_alu instid0(VALU_DEP_2) | instskip(NEXT) | instid1(VALU_DEP_1)
	v_cmp_neq_f32_e64 s0, v26, v24
	s_or_b32 s0, s0, s1
	s_delay_alu instid0(SALU_CYCLE_1)
	s_and_saveexec_b32 s1, s0
	s_cbranch_execz .LBB491_164
; %bb.163:
	v_sub_f32_e32 v25, v26, v24
	s_delay_alu instid0(VALU_DEP_1) | instskip(SKIP_1) | instid1(VALU_DEP_2)
	v_mul_f32_e32 v26, 0x3fb8aa3b, v25
	v_cmp_ngt_f32_e64 s0, 0xc2ce8ed0, v25
	v_fma_f32 v27, 0x3fb8aa3b, v25, -v26
	v_rndne_f32_e32 v28, v26
	s_delay_alu instid0(VALU_DEP_1) | instskip(NEXT) | instid1(VALU_DEP_1)
	v_dual_fmamk_f32 v27, v25, 0x32a5705f, v27 :: v_dual_sub_f32 v26, v26, v28
	v_add_f32_e32 v26, v26, v27
	v_cvt_i32_f32_e32 v27, v28
	s_delay_alu instid0(VALU_DEP_2) | instskip(SKIP_2) | instid1(VALU_DEP_1)
	v_exp_f32_e32 v26, v26
	s_waitcnt_depctr 0xfff
	v_ldexp_f32 v26, v26, v27
	v_cndmask_b32_e64 v26, 0, v26, s0
	v_cmp_nlt_f32_e64 s0, 0x42b17218, v25
	s_delay_alu instid0(VALU_DEP_1) | instskip(NEXT) | instid1(VALU_DEP_1)
	v_cndmask_b32_e64 v27, 0x7f800000, v26, s0
	v_add_f32_e32 v28, 1.0, v27
	v_cmp_gt_f32_e64 s23, 0x33800000, |v27|
	s_delay_alu instid0(VALU_DEP_2) | instskip(NEXT) | instid1(VALU_DEP_1)
	v_cvt_f64_f32_e32 v[25:26], v28
	v_frexp_exp_i32_f64_e32 v25, v[25:26]
	v_frexp_mant_f32_e32 v26, v28
	s_delay_alu instid0(VALU_DEP_1) | instskip(SKIP_1) | instid1(VALU_DEP_1)
	v_cmp_gt_f32_e64 s0, 0x3f2aaaab, v26
	v_add_f32_e32 v26, -1.0, v28
	v_sub_f32_e32 v30, v26, v28
	v_sub_f32_e32 v26, v27, v26
	s_delay_alu instid0(VALU_DEP_4) | instskip(SKIP_1) | instid1(VALU_DEP_1)
	v_subrev_co_ci_u32_e64 v25, s0, 0, v25, s0
	s_mov_b32 s0, 0x3e9b6dac
	v_sub_nc_u32_e32 v29, 0, v25
	v_cvt_f32_i32_e32 v25, v25
	s_delay_alu instid0(VALU_DEP_2) | instskip(NEXT) | instid1(VALU_DEP_1)
	v_ldexp_f32 v28, v28, v29
	v_dual_add_f32 v31, 1.0, v28 :: v_dual_add_f32 v30, 1.0, v30
	s_delay_alu instid0(VALU_DEP_1) | instskip(NEXT) | instid1(VALU_DEP_2)
	v_add_f32_e32 v26, v26, v30
	v_add_f32_e32 v30, -1.0, v31
	s_delay_alu instid0(VALU_DEP_2) | instskip(NEXT) | instid1(VALU_DEP_2)
	v_ldexp_f32 v26, v26, v29
	v_dual_add_f32 v29, -1.0, v28 :: v_dual_sub_f32 v30, v28, v30
	s_delay_alu instid0(VALU_DEP_1) | instskip(NEXT) | instid1(VALU_DEP_2)
	v_add_f32_e32 v32, 1.0, v29
	v_add_f32_e32 v30, v26, v30
	s_delay_alu instid0(VALU_DEP_2) | instskip(NEXT) | instid1(VALU_DEP_2)
	v_sub_f32_e32 v28, v28, v32
	v_add_f32_e32 v32, v31, v30
	s_delay_alu instid0(VALU_DEP_2) | instskip(NEXT) | instid1(VALU_DEP_2)
	v_add_f32_e32 v26, v26, v28
	v_rcp_f32_e32 v28, v32
	v_sub_f32_e32 v31, v31, v32
	s_delay_alu instid0(VALU_DEP_1) | instskip(NEXT) | instid1(VALU_DEP_1)
	v_dual_add_f32 v33, v29, v26 :: v_dual_add_f32 v30, v30, v31
	v_sub_f32_e32 v29, v29, v33
	s_waitcnt_depctr 0xfff
	v_mul_f32_e32 v34, v33, v28
	s_delay_alu instid0(VALU_DEP_1) | instskip(NEXT) | instid1(VALU_DEP_1)
	v_dual_add_f32 v26, v26, v29 :: v_dual_mul_f32 v35, v32, v34
	v_fma_f32 v31, v34, v32, -v35
	s_delay_alu instid0(VALU_DEP_1) | instskip(NEXT) | instid1(VALU_DEP_1)
	v_fmac_f32_e32 v31, v34, v30
	v_add_f32_e32 v36, v35, v31
	s_delay_alu instid0(VALU_DEP_1) | instskip(SKIP_1) | instid1(VALU_DEP_2)
	v_sub_f32_e32 v37, v33, v36
	v_sub_f32_e32 v29, v36, v35
	;; [unrolled: 1-line block ×3, first 2 shown]
	s_delay_alu instid0(VALU_DEP_2) | instskip(NEXT) | instid1(VALU_DEP_2)
	v_sub_f32_e32 v29, v29, v31
	v_sub_f32_e32 v33, v33, v36
	s_delay_alu instid0(VALU_DEP_1) | instskip(NEXT) | instid1(VALU_DEP_1)
	v_add_f32_e32 v26, v26, v33
	v_add_f32_e32 v26, v29, v26
	s_delay_alu instid0(VALU_DEP_1) | instskip(NEXT) | instid1(VALU_DEP_1)
	v_add_f32_e32 v29, v37, v26
	v_mul_f32_e32 v31, v28, v29
	s_delay_alu instid0(VALU_DEP_1) | instskip(NEXT) | instid1(VALU_DEP_1)
	v_dual_sub_f32 v36, v37, v29 :: v_dual_mul_f32 v33, v32, v31
	v_add_f32_e32 v26, v26, v36
	s_delay_alu instid0(VALU_DEP_2) | instskip(NEXT) | instid1(VALU_DEP_1)
	v_fma_f32 v32, v31, v32, -v33
	v_fmac_f32_e32 v32, v31, v30
	s_delay_alu instid0(VALU_DEP_1) | instskip(NEXT) | instid1(VALU_DEP_1)
	v_add_f32_e32 v30, v33, v32
	v_sub_f32_e32 v35, v29, v30
	v_sub_f32_e32 v33, v30, v33
	s_delay_alu instid0(VALU_DEP_2) | instskip(NEXT) | instid1(VALU_DEP_1)
	v_sub_f32_e32 v29, v29, v35
	v_sub_f32_e32 v29, v29, v30
	s_delay_alu instid0(VALU_DEP_3) | instskip(NEXT) | instid1(VALU_DEP_2)
	v_sub_f32_e32 v30, v33, v32
	v_add_f32_e32 v26, v26, v29
	v_add_f32_e32 v29, v34, v31
	s_delay_alu instid0(VALU_DEP_2) | instskip(NEXT) | instid1(VALU_DEP_2)
	v_add_f32_e32 v26, v30, v26
	v_sub_f32_e32 v30, v29, v34
	s_delay_alu instid0(VALU_DEP_2) | instskip(NEXT) | instid1(VALU_DEP_2)
	v_add_f32_e32 v26, v35, v26
	v_sub_f32_e32 v30, v31, v30
	s_delay_alu instid0(VALU_DEP_2) | instskip(NEXT) | instid1(VALU_DEP_1)
	v_mul_f32_e32 v26, v28, v26
	v_add_f32_e32 v26, v30, v26
	s_delay_alu instid0(VALU_DEP_1) | instskip(NEXT) | instid1(VALU_DEP_1)
	v_add_f32_e32 v28, v29, v26
	v_mul_f32_e32 v30, v28, v28
	s_delay_alu instid0(VALU_DEP_1) | instskip(SKIP_2) | instid1(VALU_DEP_3)
	v_fmaak_f32 v31, s0, v30, 0x3ecc95a3
	v_mul_f32_e32 v32, v28, v30
	v_cmp_eq_f32_e64 s0, 0x7f800000, v27
	v_fmaak_f32 v30, v30, v31, 0x3f2aaada
	v_ldexp_f32 v31, v28, 1
	v_sub_f32_e32 v28, v28, v29
	s_delay_alu instid0(VALU_DEP_4) | instskip(NEXT) | instid1(VALU_DEP_3)
	s_or_b32 s0, s0, s23
	v_mul_f32_e32 v30, v32, v30
	v_mul_f32_e32 v32, 0x3f317218, v25
	s_delay_alu instid0(VALU_DEP_2) | instskip(NEXT) | instid1(VALU_DEP_1)
	v_dual_sub_f32 v26, v26, v28 :: v_dual_add_f32 v29, v31, v30
	v_ldexp_f32 v26, v26, 1
	s_delay_alu instid0(VALU_DEP_2) | instskip(NEXT) | instid1(VALU_DEP_4)
	v_sub_f32_e32 v28, v29, v31
	v_fma_f32 v31, 0x3f317218, v25, -v32
	s_delay_alu instid0(VALU_DEP_1) | instskip(NEXT) | instid1(VALU_DEP_1)
	v_dual_sub_f32 v28, v30, v28 :: v_dual_fmamk_f32 v25, v25, 0xb102e308, v31
	v_add_f32_e32 v26, v26, v28
	s_delay_alu instid0(VALU_DEP_2) | instskip(NEXT) | instid1(VALU_DEP_2)
	v_add_f32_e32 v28, v32, v25
	v_add_f32_e32 v30, v29, v26
	s_delay_alu instid0(VALU_DEP_2) | instskip(NEXT) | instid1(VALU_DEP_2)
	v_sub_f32_e32 v32, v28, v32
	v_add_f32_e32 v31, v28, v30
	v_sub_f32_e32 v29, v30, v29
	s_delay_alu instid0(VALU_DEP_3) | instskip(NEXT) | instid1(VALU_DEP_2)
	v_sub_f32_e32 v25, v25, v32
	v_dual_sub_f32 v33, v31, v28 :: v_dual_sub_f32 v26, v26, v29
	s_delay_alu instid0(VALU_DEP_1) | instskip(NEXT) | instid1(VALU_DEP_2)
	v_sub_f32_e32 v34, v31, v33
	v_dual_sub_f32 v29, v30, v33 :: v_dual_add_f32 v30, v25, v26
	s_delay_alu instid0(VALU_DEP_2) | instskip(NEXT) | instid1(VALU_DEP_1)
	v_sub_f32_e32 v28, v28, v34
	v_dual_add_f32 v28, v29, v28 :: v_dual_sub_f32 v29, v30, v25
	s_delay_alu instid0(VALU_DEP_1) | instskip(NEXT) | instid1(VALU_DEP_2)
	v_add_f32_e32 v28, v30, v28
	v_sub_f32_e32 v30, v30, v29
	v_sub_f32_e32 v26, v26, v29
	s_delay_alu instid0(VALU_DEP_2) | instskip(NEXT) | instid1(VALU_DEP_1)
	v_dual_add_f32 v32, v31, v28 :: v_dual_sub_f32 v25, v25, v30
	v_sub_f32_e32 v29, v32, v31
	s_delay_alu instid0(VALU_DEP_2) | instskip(NEXT) | instid1(VALU_DEP_2)
	v_add_f32_e32 v25, v26, v25
	v_sub_f32_e32 v26, v28, v29
	s_delay_alu instid0(VALU_DEP_1) | instskip(NEXT) | instid1(VALU_DEP_1)
	v_add_f32_e32 v25, v25, v26
	v_add_f32_e32 v25, v32, v25
	s_delay_alu instid0(VALU_DEP_1) | instskip(NEXT) | instid1(VALU_DEP_1)
	v_cndmask_b32_e64 v25, v25, v27, s0
	v_add_f32_e32 v25, v24, v25
.LBB491_164:
	s_or_b32 exec_lo, exec_lo, s1
	s_delay_alu instid0(VALU_DEP_1)
	v_bfe_u32 v24, v25, 16, 1
	v_perm_b32 v2, v13, v2, 0x5040100
	v_cmp_o_f32_e64 s0, v25, v25
	v_add_nc_u32_e32 v26, v12, v50
	v_perm_b32 v3, v3, v14, 0x5040100
	v_add3_u32 v24, v25, v24, 0x7fff
	v_perm_b32 v11, v11, v16, 0x5040100
	v_perm_b32 v10, v10, v15, 0x5040100
	;; [unrolled: 1-line block ×4, first 2 shown]
	v_lshrrev_b32_e32 v13, 16, v24
	v_perm_b32 v7, v7, v20, 0x5040100
	v_perm_b32 v6, v6, v19, 0x5040100
	v_perm_b32 v5, v5, v22, 0x5040100
	v_perm_b32 v4, v4, v21, 0x5040100
	v_cndmask_b32_e64 v13, 0x7fc0, v13, s0
	s_waitcnt lgkmcnt(0)
	s_barrier
	buffer_gl0_inv
	v_lshlrev_b64 v[0:1], 1, v[0:1]
	v_perm_b32 v13, v13, v23, 0x5040100
	ds_store_2addr_b32 v26, v2, v3 offset1:1
	ds_store_2addr_b32 v26, v10, v11 offset0:2 offset1:3
	ds_store_2addr_b32 v26, v8, v9 offset0:4 offset1:5
	;; [unrolled: 1-line block ×4, first 2 shown]
	ds_store_b32 v26, v13 offset:40
	s_waitcnt lgkmcnt(0)
	s_barrier
	buffer_gl0_inv
	ds_load_u16 v23, v12 offset:128
	ds_load_u16 v22, v12 offset:256
	ds_load_u16 v21, v12 offset:384
	ds_load_u16 v20, v12 offset:512
	ds_load_u16 v19, v12 offset:640
	ds_load_u16 v18, v12 offset:768
	ds_load_u16 v17, v12 offset:896
	ds_load_u16 v16, v12 offset:1024
	ds_load_u16 v15, v12 offset:1152
	ds_load_u16 v14, v12 offset:1280
	ds_load_u16 v13, v12 offset:1408
	ds_load_u16 v11, v12 offset:1536
	ds_load_u16 v10, v12 offset:1664
	ds_load_u16 v9, v12 offset:1792
	ds_load_u16 v8, v12 offset:1920
	ds_load_u16 v7, v12 offset:2048
	ds_load_u16 v6, v12 offset:2176
	ds_load_u16 v5, v12 offset:2304
	ds_load_u16 v4, v12 offset:2432
	ds_load_u16 v3, v12 offset:2560
	ds_load_u16 v2, v12 offset:2688
	v_add_co_u32 v0, s0, s46, v0
	s_delay_alu instid0(VALU_DEP_1)
	v_add_co_ci_u32_e64 v1, s0, s47, v1, s0
	s_and_saveexec_b32 s0, vcc_lo
	s_cbranch_execnz .LBB491_187
; %bb.165:
	s_or_b32 exec_lo, exec_lo, s0
	s_and_saveexec_b32 s0, s2
	s_cbranch_execnz .LBB491_188
.LBB491_166:
	s_or_b32 exec_lo, exec_lo, s0
	s_and_saveexec_b32 s0, s3
	s_cbranch_execnz .LBB491_189
.LBB491_167:
	s_or_b32 exec_lo, exec_lo, s0
	s_and_saveexec_b32 s0, s4
	s_cbranch_execnz .LBB491_190
.LBB491_168:
	s_or_b32 exec_lo, exec_lo, s0
	s_and_saveexec_b32 s0, s5
	s_cbranch_execnz .LBB491_191
.LBB491_169:
	s_or_b32 exec_lo, exec_lo, s0
	s_and_saveexec_b32 s0, s6
	s_cbranch_execnz .LBB491_192
.LBB491_170:
	s_or_b32 exec_lo, exec_lo, s0
	s_and_saveexec_b32 s0, s7
	s_cbranch_execnz .LBB491_193
.LBB491_171:
	s_or_b32 exec_lo, exec_lo, s0
	s_and_saveexec_b32 s0, s8
	s_cbranch_execnz .LBB491_194
.LBB491_172:
	s_or_b32 exec_lo, exec_lo, s0
	s_and_saveexec_b32 s0, s9
	s_cbranch_execnz .LBB491_195
.LBB491_173:
	s_or_b32 exec_lo, exec_lo, s0
	s_and_saveexec_b32 s0, s10
	s_cbranch_execnz .LBB491_196
.LBB491_174:
	s_or_b32 exec_lo, exec_lo, s0
	s_and_saveexec_b32 s0, s11
	s_cbranch_execnz .LBB491_197
.LBB491_175:
	s_or_b32 exec_lo, exec_lo, s0
	s_and_saveexec_b32 s0, s12
	s_cbranch_execnz .LBB491_198
.LBB491_176:
	s_or_b32 exec_lo, exec_lo, s0
	s_and_saveexec_b32 s0, s13
	s_cbranch_execnz .LBB491_199
.LBB491_177:
	s_or_b32 exec_lo, exec_lo, s0
	s_and_saveexec_b32 s0, s14
	s_cbranch_execnz .LBB491_200
.LBB491_178:
	s_or_b32 exec_lo, exec_lo, s0
	s_and_saveexec_b32 s0, s15
	s_cbranch_execnz .LBB491_201
.LBB491_179:
	s_or_b32 exec_lo, exec_lo, s0
	s_and_saveexec_b32 s0, s16
	s_cbranch_execnz .LBB491_202
.LBB491_180:
	s_or_b32 exec_lo, exec_lo, s0
	s_and_saveexec_b32 s0, s17
	s_cbranch_execnz .LBB491_203
.LBB491_181:
	s_or_b32 exec_lo, exec_lo, s0
	s_and_saveexec_b32 s0, s18
	s_cbranch_execnz .LBB491_204
.LBB491_182:
	s_or_b32 exec_lo, exec_lo, s0
	s_and_saveexec_b32 s0, s19
	s_cbranch_execnz .LBB491_205
.LBB491_183:
	s_or_b32 exec_lo, exec_lo, s0
	s_and_saveexec_b32 s0, s20
	s_cbranch_execnz .LBB491_206
.LBB491_184:
	s_or_b32 exec_lo, exec_lo, s0
	s_and_saveexec_b32 s0, s21
	s_cbranch_execnz .LBB491_207
.LBB491_185:
	s_or_b32 exec_lo, exec_lo, s0
	s_and_saveexec_b32 s0, s22
	s_cbranch_execnz .LBB491_208
.LBB491_186:
	s_nop 0
	s_sendmsg sendmsg(MSG_DEALLOC_VGPRS)
	s_endpgm
.LBB491_187:
	ds_load_u16 v12, v12
	s_waitcnt lgkmcnt(0)
	global_store_b16 v[0:1], v12, off
	s_or_b32 exec_lo, exec_lo, s0
	s_and_saveexec_b32 s0, s2
	s_cbranch_execz .LBB491_166
.LBB491_188:
	s_waitcnt lgkmcnt(20)
	global_store_b16 v[0:1], v23, off offset:128
	s_or_b32 exec_lo, exec_lo, s0
	s_and_saveexec_b32 s0, s3
	s_cbranch_execz .LBB491_167
.LBB491_189:
	s_waitcnt lgkmcnt(19)
	global_store_b16 v[0:1], v22, off offset:256
	s_or_b32 exec_lo, exec_lo, s0
	s_and_saveexec_b32 s0, s4
	s_cbranch_execz .LBB491_168
.LBB491_190:
	s_waitcnt lgkmcnt(18)
	global_store_b16 v[0:1], v21, off offset:384
	s_or_b32 exec_lo, exec_lo, s0
	s_and_saveexec_b32 s0, s5
	s_cbranch_execz .LBB491_169
.LBB491_191:
	s_waitcnt lgkmcnt(17)
	global_store_b16 v[0:1], v20, off offset:512
	s_or_b32 exec_lo, exec_lo, s0
	s_and_saveexec_b32 s0, s6
	s_cbranch_execz .LBB491_170
.LBB491_192:
	s_waitcnt lgkmcnt(16)
	global_store_b16 v[0:1], v19, off offset:640
	s_or_b32 exec_lo, exec_lo, s0
	s_and_saveexec_b32 s0, s7
	s_cbranch_execz .LBB491_171
.LBB491_193:
	s_waitcnt lgkmcnt(15)
	global_store_b16 v[0:1], v18, off offset:768
	s_or_b32 exec_lo, exec_lo, s0
	s_and_saveexec_b32 s0, s8
	s_cbranch_execz .LBB491_172
.LBB491_194:
	s_waitcnt lgkmcnt(14)
	global_store_b16 v[0:1], v17, off offset:896
	s_or_b32 exec_lo, exec_lo, s0
	s_and_saveexec_b32 s0, s9
	s_cbranch_execz .LBB491_173
.LBB491_195:
	s_waitcnt lgkmcnt(13)
	global_store_b16 v[0:1], v16, off offset:1024
	s_or_b32 exec_lo, exec_lo, s0
	s_and_saveexec_b32 s0, s10
	s_cbranch_execz .LBB491_174
.LBB491_196:
	s_waitcnt lgkmcnt(12)
	global_store_b16 v[0:1], v15, off offset:1152
	s_or_b32 exec_lo, exec_lo, s0
	s_and_saveexec_b32 s0, s11
	s_cbranch_execz .LBB491_175
.LBB491_197:
	s_waitcnt lgkmcnt(11)
	global_store_b16 v[0:1], v14, off offset:1280
	s_or_b32 exec_lo, exec_lo, s0
	s_and_saveexec_b32 s0, s12
	s_cbranch_execz .LBB491_176
.LBB491_198:
	s_waitcnt lgkmcnt(10)
	global_store_b16 v[0:1], v13, off offset:1408
	s_or_b32 exec_lo, exec_lo, s0
	s_and_saveexec_b32 s0, s13
	s_cbranch_execz .LBB491_177
.LBB491_199:
	s_waitcnt lgkmcnt(9)
	global_store_b16 v[0:1], v11, off offset:1536
	s_or_b32 exec_lo, exec_lo, s0
	s_and_saveexec_b32 s0, s14
	s_cbranch_execz .LBB491_178
.LBB491_200:
	s_waitcnt lgkmcnt(8)
	global_store_b16 v[0:1], v10, off offset:1664
	s_or_b32 exec_lo, exec_lo, s0
	s_and_saveexec_b32 s0, s15
	s_cbranch_execz .LBB491_179
.LBB491_201:
	s_waitcnt lgkmcnt(7)
	global_store_b16 v[0:1], v9, off offset:1792
	s_or_b32 exec_lo, exec_lo, s0
	s_and_saveexec_b32 s0, s16
	s_cbranch_execz .LBB491_180
.LBB491_202:
	s_waitcnt lgkmcnt(6)
	global_store_b16 v[0:1], v8, off offset:1920
	s_or_b32 exec_lo, exec_lo, s0
	s_and_saveexec_b32 s0, s17
	s_cbranch_execz .LBB491_181
.LBB491_203:
	s_waitcnt lgkmcnt(5)
	global_store_b16 v[0:1], v7, off offset:2048
	s_or_b32 exec_lo, exec_lo, s0
	s_and_saveexec_b32 s0, s18
	s_cbranch_execz .LBB491_182
.LBB491_204:
	s_waitcnt lgkmcnt(4)
	global_store_b16 v[0:1], v6, off offset:2176
	s_or_b32 exec_lo, exec_lo, s0
	s_and_saveexec_b32 s0, s19
	s_cbranch_execz .LBB491_183
.LBB491_205:
	s_waitcnt lgkmcnt(3)
	global_store_b16 v[0:1], v5, off offset:2304
	s_or_b32 exec_lo, exec_lo, s0
	s_and_saveexec_b32 s0, s20
	s_cbranch_execz .LBB491_184
.LBB491_206:
	s_waitcnt lgkmcnt(2)
	global_store_b16 v[0:1], v4, off offset:2432
	s_or_b32 exec_lo, exec_lo, s0
	s_and_saveexec_b32 s0, s21
	s_cbranch_execz .LBB491_185
.LBB491_207:
	s_waitcnt lgkmcnt(1)
	global_store_b16 v[0:1], v3, off offset:2560
	s_or_b32 exec_lo, exec_lo, s0
	s_and_saveexec_b32 s0, s22
	s_cbranch_execz .LBB491_186
.LBB491_208:
	s_waitcnt lgkmcnt(0)
	global_store_b16 v[0:1], v2, off offset:2688
	s_nop 0
	s_sendmsg sendmsg(MSG_DEALLOC_VGPRS)
	s_endpgm
	.section	.rodata,"a",@progbits
	.p2align	6, 0x0
	.amdhsa_kernel _ZN7rocprim17ROCPRIM_400000_NS6detail17trampoline_kernelINS0_14default_configENS1_20scan_config_selectorIN3c108BFloat16EEEZZNS1_9scan_implILNS1_25lookback_scan_determinismE0ELb0ELb0ES3_PKS6_PS6_S6_ZZZN2at6native31launch_logcumsumexp_cuda_kernelERKNSD_10TensorBaseESH_lENKUlvE_clEvENKUlvE4_clEvEUlS6_S6_E_S6_EEDaPvRmT3_T4_T5_mT6_P12ihipStream_tbENKUlT_T0_E_clISt17integral_constantIbLb1EESY_EEDaST_SU_EUlST_E0_NS1_11comp_targetILNS1_3genE9ELNS1_11target_archE1100ELNS1_3gpuE3ELNS1_3repE0EEENS1_30default_config_static_selectorELNS0_4arch9wavefront6targetE0EEEvT1_
		.amdhsa_group_segment_fixed_size 2816
		.amdhsa_private_segment_fixed_size 0
		.amdhsa_kernarg_size 32
		.amdhsa_user_sgpr_count 15
		.amdhsa_user_sgpr_dispatch_ptr 0
		.amdhsa_user_sgpr_queue_ptr 0
		.amdhsa_user_sgpr_kernarg_segment_ptr 1
		.amdhsa_user_sgpr_dispatch_id 0
		.amdhsa_user_sgpr_private_segment_size 0
		.amdhsa_wavefront_size32 1
		.amdhsa_uses_dynamic_stack 0
		.amdhsa_enable_private_segment 0
		.amdhsa_system_sgpr_workgroup_id_x 1
		.amdhsa_system_sgpr_workgroup_id_y 0
		.amdhsa_system_sgpr_workgroup_id_z 0
		.amdhsa_system_sgpr_workgroup_info 0
		.amdhsa_system_vgpr_workitem_id 0
		.amdhsa_next_free_vgpr 70
		.amdhsa_next_free_sgpr 52
		.amdhsa_reserve_vcc 1
		.amdhsa_float_round_mode_32 0
		.amdhsa_float_round_mode_16_64 0
		.amdhsa_float_denorm_mode_32 3
		.amdhsa_float_denorm_mode_16_64 3
		.amdhsa_dx10_clamp 1
		.amdhsa_ieee_mode 1
		.amdhsa_fp16_overflow 0
		.amdhsa_workgroup_processor_mode 1
		.amdhsa_memory_ordered 1
		.amdhsa_forward_progress 0
		.amdhsa_shared_vgpr_count 0
		.amdhsa_exception_fp_ieee_invalid_op 0
		.amdhsa_exception_fp_denorm_src 0
		.amdhsa_exception_fp_ieee_div_zero 0
		.amdhsa_exception_fp_ieee_overflow 0
		.amdhsa_exception_fp_ieee_underflow 0
		.amdhsa_exception_fp_ieee_inexact 0
		.amdhsa_exception_int_div_zero 0
	.end_amdhsa_kernel
	.section	.text._ZN7rocprim17ROCPRIM_400000_NS6detail17trampoline_kernelINS0_14default_configENS1_20scan_config_selectorIN3c108BFloat16EEEZZNS1_9scan_implILNS1_25lookback_scan_determinismE0ELb0ELb0ES3_PKS6_PS6_S6_ZZZN2at6native31launch_logcumsumexp_cuda_kernelERKNSD_10TensorBaseESH_lENKUlvE_clEvENKUlvE4_clEvEUlS6_S6_E_S6_EEDaPvRmT3_T4_T5_mT6_P12ihipStream_tbENKUlT_T0_E_clISt17integral_constantIbLb1EESY_EEDaST_SU_EUlST_E0_NS1_11comp_targetILNS1_3genE9ELNS1_11target_archE1100ELNS1_3gpuE3ELNS1_3repE0EEENS1_30default_config_static_selectorELNS0_4arch9wavefront6targetE0EEEvT1_,"axG",@progbits,_ZN7rocprim17ROCPRIM_400000_NS6detail17trampoline_kernelINS0_14default_configENS1_20scan_config_selectorIN3c108BFloat16EEEZZNS1_9scan_implILNS1_25lookback_scan_determinismE0ELb0ELb0ES3_PKS6_PS6_S6_ZZZN2at6native31launch_logcumsumexp_cuda_kernelERKNSD_10TensorBaseESH_lENKUlvE_clEvENKUlvE4_clEvEUlS6_S6_E_S6_EEDaPvRmT3_T4_T5_mT6_P12ihipStream_tbENKUlT_T0_E_clISt17integral_constantIbLb1EESY_EEDaST_SU_EUlST_E0_NS1_11comp_targetILNS1_3genE9ELNS1_11target_archE1100ELNS1_3gpuE3ELNS1_3repE0EEENS1_30default_config_static_selectorELNS0_4arch9wavefront6targetE0EEEvT1_,comdat
.Lfunc_end491:
	.size	_ZN7rocprim17ROCPRIM_400000_NS6detail17trampoline_kernelINS0_14default_configENS1_20scan_config_selectorIN3c108BFloat16EEEZZNS1_9scan_implILNS1_25lookback_scan_determinismE0ELb0ELb0ES3_PKS6_PS6_S6_ZZZN2at6native31launch_logcumsumexp_cuda_kernelERKNSD_10TensorBaseESH_lENKUlvE_clEvENKUlvE4_clEvEUlS6_S6_E_S6_EEDaPvRmT3_T4_T5_mT6_P12ihipStream_tbENKUlT_T0_E_clISt17integral_constantIbLb1EESY_EEDaST_SU_EUlST_E0_NS1_11comp_targetILNS1_3genE9ELNS1_11target_archE1100ELNS1_3gpuE3ELNS1_3repE0EEENS1_30default_config_static_selectorELNS0_4arch9wavefront6targetE0EEEvT1_, .Lfunc_end491-_ZN7rocprim17ROCPRIM_400000_NS6detail17trampoline_kernelINS0_14default_configENS1_20scan_config_selectorIN3c108BFloat16EEEZZNS1_9scan_implILNS1_25lookback_scan_determinismE0ELb0ELb0ES3_PKS6_PS6_S6_ZZZN2at6native31launch_logcumsumexp_cuda_kernelERKNSD_10TensorBaseESH_lENKUlvE_clEvENKUlvE4_clEvEUlS6_S6_E_S6_EEDaPvRmT3_T4_T5_mT6_P12ihipStream_tbENKUlT_T0_E_clISt17integral_constantIbLb1EESY_EEDaST_SU_EUlST_E0_NS1_11comp_targetILNS1_3genE9ELNS1_11target_archE1100ELNS1_3gpuE3ELNS1_3repE0EEENS1_30default_config_static_selectorELNS0_4arch9wavefront6targetE0EEEvT1_
                                        ; -- End function
	.section	.AMDGPU.csdata,"",@progbits
; Kernel info:
; codeLenInByte = 53412
; NumSgprs: 54
; NumVgprs: 70
; ScratchSize: 0
; MemoryBound: 0
; FloatMode: 240
; IeeeMode: 1
; LDSByteSize: 2816 bytes/workgroup (compile time only)
; SGPRBlocks: 6
; VGPRBlocks: 8
; NumSGPRsForWavesPerEU: 54
; NumVGPRsForWavesPerEU: 70
; Occupancy: 16
; WaveLimiterHint : 0
; COMPUTE_PGM_RSRC2:SCRATCH_EN: 0
; COMPUTE_PGM_RSRC2:USER_SGPR: 15
; COMPUTE_PGM_RSRC2:TRAP_HANDLER: 0
; COMPUTE_PGM_RSRC2:TGID_X_EN: 1
; COMPUTE_PGM_RSRC2:TGID_Y_EN: 0
; COMPUTE_PGM_RSRC2:TGID_Z_EN: 0
; COMPUTE_PGM_RSRC2:TIDIG_COMP_CNT: 0
	.section	.text._ZN7rocprim17ROCPRIM_400000_NS6detail17trampoline_kernelINS0_14default_configENS1_20scan_config_selectorIN3c108BFloat16EEEZZNS1_9scan_implILNS1_25lookback_scan_determinismE0ELb0ELb0ES3_PKS6_PS6_S6_ZZZN2at6native31launch_logcumsumexp_cuda_kernelERKNSD_10TensorBaseESH_lENKUlvE_clEvENKUlvE4_clEvEUlS6_S6_E_S6_EEDaPvRmT3_T4_T5_mT6_P12ihipStream_tbENKUlT_T0_E_clISt17integral_constantIbLb1EESY_EEDaST_SU_EUlST_E0_NS1_11comp_targetILNS1_3genE8ELNS1_11target_archE1030ELNS1_3gpuE2ELNS1_3repE0EEENS1_30default_config_static_selectorELNS0_4arch9wavefront6targetE0EEEvT1_,"axG",@progbits,_ZN7rocprim17ROCPRIM_400000_NS6detail17trampoline_kernelINS0_14default_configENS1_20scan_config_selectorIN3c108BFloat16EEEZZNS1_9scan_implILNS1_25lookback_scan_determinismE0ELb0ELb0ES3_PKS6_PS6_S6_ZZZN2at6native31launch_logcumsumexp_cuda_kernelERKNSD_10TensorBaseESH_lENKUlvE_clEvENKUlvE4_clEvEUlS6_S6_E_S6_EEDaPvRmT3_T4_T5_mT6_P12ihipStream_tbENKUlT_T0_E_clISt17integral_constantIbLb1EESY_EEDaST_SU_EUlST_E0_NS1_11comp_targetILNS1_3genE8ELNS1_11target_archE1030ELNS1_3gpuE2ELNS1_3repE0EEENS1_30default_config_static_selectorELNS0_4arch9wavefront6targetE0EEEvT1_,comdat
	.globl	_ZN7rocprim17ROCPRIM_400000_NS6detail17trampoline_kernelINS0_14default_configENS1_20scan_config_selectorIN3c108BFloat16EEEZZNS1_9scan_implILNS1_25lookback_scan_determinismE0ELb0ELb0ES3_PKS6_PS6_S6_ZZZN2at6native31launch_logcumsumexp_cuda_kernelERKNSD_10TensorBaseESH_lENKUlvE_clEvENKUlvE4_clEvEUlS6_S6_E_S6_EEDaPvRmT3_T4_T5_mT6_P12ihipStream_tbENKUlT_T0_E_clISt17integral_constantIbLb1EESY_EEDaST_SU_EUlST_E0_NS1_11comp_targetILNS1_3genE8ELNS1_11target_archE1030ELNS1_3gpuE2ELNS1_3repE0EEENS1_30default_config_static_selectorELNS0_4arch9wavefront6targetE0EEEvT1_ ; -- Begin function _ZN7rocprim17ROCPRIM_400000_NS6detail17trampoline_kernelINS0_14default_configENS1_20scan_config_selectorIN3c108BFloat16EEEZZNS1_9scan_implILNS1_25lookback_scan_determinismE0ELb0ELb0ES3_PKS6_PS6_S6_ZZZN2at6native31launch_logcumsumexp_cuda_kernelERKNSD_10TensorBaseESH_lENKUlvE_clEvENKUlvE4_clEvEUlS6_S6_E_S6_EEDaPvRmT3_T4_T5_mT6_P12ihipStream_tbENKUlT_T0_E_clISt17integral_constantIbLb1EESY_EEDaST_SU_EUlST_E0_NS1_11comp_targetILNS1_3genE8ELNS1_11target_archE1030ELNS1_3gpuE2ELNS1_3repE0EEENS1_30default_config_static_selectorELNS0_4arch9wavefront6targetE0EEEvT1_
	.p2align	8
	.type	_ZN7rocprim17ROCPRIM_400000_NS6detail17trampoline_kernelINS0_14default_configENS1_20scan_config_selectorIN3c108BFloat16EEEZZNS1_9scan_implILNS1_25lookback_scan_determinismE0ELb0ELb0ES3_PKS6_PS6_S6_ZZZN2at6native31launch_logcumsumexp_cuda_kernelERKNSD_10TensorBaseESH_lENKUlvE_clEvENKUlvE4_clEvEUlS6_S6_E_S6_EEDaPvRmT3_T4_T5_mT6_P12ihipStream_tbENKUlT_T0_E_clISt17integral_constantIbLb1EESY_EEDaST_SU_EUlST_E0_NS1_11comp_targetILNS1_3genE8ELNS1_11target_archE1030ELNS1_3gpuE2ELNS1_3repE0EEENS1_30default_config_static_selectorELNS0_4arch9wavefront6targetE0EEEvT1_,@function
_ZN7rocprim17ROCPRIM_400000_NS6detail17trampoline_kernelINS0_14default_configENS1_20scan_config_selectorIN3c108BFloat16EEEZZNS1_9scan_implILNS1_25lookback_scan_determinismE0ELb0ELb0ES3_PKS6_PS6_S6_ZZZN2at6native31launch_logcumsumexp_cuda_kernelERKNSD_10TensorBaseESH_lENKUlvE_clEvENKUlvE4_clEvEUlS6_S6_E_S6_EEDaPvRmT3_T4_T5_mT6_P12ihipStream_tbENKUlT_T0_E_clISt17integral_constantIbLb1EESY_EEDaST_SU_EUlST_E0_NS1_11comp_targetILNS1_3genE8ELNS1_11target_archE1030ELNS1_3gpuE2ELNS1_3repE0EEENS1_30default_config_static_selectorELNS0_4arch9wavefront6targetE0EEEvT1_: ; @_ZN7rocprim17ROCPRIM_400000_NS6detail17trampoline_kernelINS0_14default_configENS1_20scan_config_selectorIN3c108BFloat16EEEZZNS1_9scan_implILNS1_25lookback_scan_determinismE0ELb0ELb0ES3_PKS6_PS6_S6_ZZZN2at6native31launch_logcumsumexp_cuda_kernelERKNSD_10TensorBaseESH_lENKUlvE_clEvENKUlvE4_clEvEUlS6_S6_E_S6_EEDaPvRmT3_T4_T5_mT6_P12ihipStream_tbENKUlT_T0_E_clISt17integral_constantIbLb1EESY_EEDaST_SU_EUlST_E0_NS1_11comp_targetILNS1_3genE8ELNS1_11target_archE1030ELNS1_3gpuE2ELNS1_3repE0EEENS1_30default_config_static_selectorELNS0_4arch9wavefront6targetE0EEEvT1_
; %bb.0:
	.section	.rodata,"a",@progbits
	.p2align	6, 0x0
	.amdhsa_kernel _ZN7rocprim17ROCPRIM_400000_NS6detail17trampoline_kernelINS0_14default_configENS1_20scan_config_selectorIN3c108BFloat16EEEZZNS1_9scan_implILNS1_25lookback_scan_determinismE0ELb0ELb0ES3_PKS6_PS6_S6_ZZZN2at6native31launch_logcumsumexp_cuda_kernelERKNSD_10TensorBaseESH_lENKUlvE_clEvENKUlvE4_clEvEUlS6_S6_E_S6_EEDaPvRmT3_T4_T5_mT6_P12ihipStream_tbENKUlT_T0_E_clISt17integral_constantIbLb1EESY_EEDaST_SU_EUlST_E0_NS1_11comp_targetILNS1_3genE8ELNS1_11target_archE1030ELNS1_3gpuE2ELNS1_3repE0EEENS1_30default_config_static_selectorELNS0_4arch9wavefront6targetE0EEEvT1_
		.amdhsa_group_segment_fixed_size 0
		.amdhsa_private_segment_fixed_size 0
		.amdhsa_kernarg_size 32
		.amdhsa_user_sgpr_count 15
		.amdhsa_user_sgpr_dispatch_ptr 0
		.amdhsa_user_sgpr_queue_ptr 0
		.amdhsa_user_sgpr_kernarg_segment_ptr 1
		.amdhsa_user_sgpr_dispatch_id 0
		.amdhsa_user_sgpr_private_segment_size 0
		.amdhsa_wavefront_size32 1
		.amdhsa_uses_dynamic_stack 0
		.amdhsa_enable_private_segment 0
		.amdhsa_system_sgpr_workgroup_id_x 1
		.amdhsa_system_sgpr_workgroup_id_y 0
		.amdhsa_system_sgpr_workgroup_id_z 0
		.amdhsa_system_sgpr_workgroup_info 0
		.amdhsa_system_vgpr_workitem_id 0
		.amdhsa_next_free_vgpr 1
		.amdhsa_next_free_sgpr 1
		.amdhsa_reserve_vcc 0
		.amdhsa_float_round_mode_32 0
		.amdhsa_float_round_mode_16_64 0
		.amdhsa_float_denorm_mode_32 3
		.amdhsa_float_denorm_mode_16_64 3
		.amdhsa_dx10_clamp 1
		.amdhsa_ieee_mode 1
		.amdhsa_fp16_overflow 0
		.amdhsa_workgroup_processor_mode 1
		.amdhsa_memory_ordered 1
		.amdhsa_forward_progress 0
		.amdhsa_shared_vgpr_count 0
		.amdhsa_exception_fp_ieee_invalid_op 0
		.amdhsa_exception_fp_denorm_src 0
		.amdhsa_exception_fp_ieee_div_zero 0
		.amdhsa_exception_fp_ieee_overflow 0
		.amdhsa_exception_fp_ieee_underflow 0
		.amdhsa_exception_fp_ieee_inexact 0
		.amdhsa_exception_int_div_zero 0
	.end_amdhsa_kernel
	.section	.text._ZN7rocprim17ROCPRIM_400000_NS6detail17trampoline_kernelINS0_14default_configENS1_20scan_config_selectorIN3c108BFloat16EEEZZNS1_9scan_implILNS1_25lookback_scan_determinismE0ELb0ELb0ES3_PKS6_PS6_S6_ZZZN2at6native31launch_logcumsumexp_cuda_kernelERKNSD_10TensorBaseESH_lENKUlvE_clEvENKUlvE4_clEvEUlS6_S6_E_S6_EEDaPvRmT3_T4_T5_mT6_P12ihipStream_tbENKUlT_T0_E_clISt17integral_constantIbLb1EESY_EEDaST_SU_EUlST_E0_NS1_11comp_targetILNS1_3genE8ELNS1_11target_archE1030ELNS1_3gpuE2ELNS1_3repE0EEENS1_30default_config_static_selectorELNS0_4arch9wavefront6targetE0EEEvT1_,"axG",@progbits,_ZN7rocprim17ROCPRIM_400000_NS6detail17trampoline_kernelINS0_14default_configENS1_20scan_config_selectorIN3c108BFloat16EEEZZNS1_9scan_implILNS1_25lookback_scan_determinismE0ELb0ELb0ES3_PKS6_PS6_S6_ZZZN2at6native31launch_logcumsumexp_cuda_kernelERKNSD_10TensorBaseESH_lENKUlvE_clEvENKUlvE4_clEvEUlS6_S6_E_S6_EEDaPvRmT3_T4_T5_mT6_P12ihipStream_tbENKUlT_T0_E_clISt17integral_constantIbLb1EESY_EEDaST_SU_EUlST_E0_NS1_11comp_targetILNS1_3genE8ELNS1_11target_archE1030ELNS1_3gpuE2ELNS1_3repE0EEENS1_30default_config_static_selectorELNS0_4arch9wavefront6targetE0EEEvT1_,comdat
.Lfunc_end492:
	.size	_ZN7rocprim17ROCPRIM_400000_NS6detail17trampoline_kernelINS0_14default_configENS1_20scan_config_selectorIN3c108BFloat16EEEZZNS1_9scan_implILNS1_25lookback_scan_determinismE0ELb0ELb0ES3_PKS6_PS6_S6_ZZZN2at6native31launch_logcumsumexp_cuda_kernelERKNSD_10TensorBaseESH_lENKUlvE_clEvENKUlvE4_clEvEUlS6_S6_E_S6_EEDaPvRmT3_T4_T5_mT6_P12ihipStream_tbENKUlT_T0_E_clISt17integral_constantIbLb1EESY_EEDaST_SU_EUlST_E0_NS1_11comp_targetILNS1_3genE8ELNS1_11target_archE1030ELNS1_3gpuE2ELNS1_3repE0EEENS1_30default_config_static_selectorELNS0_4arch9wavefront6targetE0EEEvT1_, .Lfunc_end492-_ZN7rocprim17ROCPRIM_400000_NS6detail17trampoline_kernelINS0_14default_configENS1_20scan_config_selectorIN3c108BFloat16EEEZZNS1_9scan_implILNS1_25lookback_scan_determinismE0ELb0ELb0ES3_PKS6_PS6_S6_ZZZN2at6native31launch_logcumsumexp_cuda_kernelERKNSD_10TensorBaseESH_lENKUlvE_clEvENKUlvE4_clEvEUlS6_S6_E_S6_EEDaPvRmT3_T4_T5_mT6_P12ihipStream_tbENKUlT_T0_E_clISt17integral_constantIbLb1EESY_EEDaST_SU_EUlST_E0_NS1_11comp_targetILNS1_3genE8ELNS1_11target_archE1030ELNS1_3gpuE2ELNS1_3repE0EEENS1_30default_config_static_selectorELNS0_4arch9wavefront6targetE0EEEvT1_
                                        ; -- End function
	.section	.AMDGPU.csdata,"",@progbits
; Kernel info:
; codeLenInByte = 0
; NumSgprs: 0
; NumVgprs: 0
; ScratchSize: 0
; MemoryBound: 0
; FloatMode: 240
; IeeeMode: 1
; LDSByteSize: 0 bytes/workgroup (compile time only)
; SGPRBlocks: 0
; VGPRBlocks: 0
; NumSGPRsForWavesPerEU: 1
; NumVGPRsForWavesPerEU: 1
; Occupancy: 16
; WaveLimiterHint : 0
; COMPUTE_PGM_RSRC2:SCRATCH_EN: 0
; COMPUTE_PGM_RSRC2:USER_SGPR: 15
; COMPUTE_PGM_RSRC2:TRAP_HANDLER: 0
; COMPUTE_PGM_RSRC2:TGID_X_EN: 1
; COMPUTE_PGM_RSRC2:TGID_Y_EN: 0
; COMPUTE_PGM_RSRC2:TGID_Z_EN: 0
; COMPUTE_PGM_RSRC2:TIDIG_COMP_CNT: 0
	.section	.text._ZN7rocprim17ROCPRIM_400000_NS6detail31init_lookback_scan_state_kernelINS1_19lookback_scan_stateIN3c108BFloat16ELb1ELb1EEENS1_16block_id_wrapperIjLb0EEEEEvT_jT0_jPNS9_10value_typeE,"axG",@progbits,_ZN7rocprim17ROCPRIM_400000_NS6detail31init_lookback_scan_state_kernelINS1_19lookback_scan_stateIN3c108BFloat16ELb1ELb1EEENS1_16block_id_wrapperIjLb0EEEEEvT_jT0_jPNS9_10value_typeE,comdat
	.protected	_ZN7rocprim17ROCPRIM_400000_NS6detail31init_lookback_scan_state_kernelINS1_19lookback_scan_stateIN3c108BFloat16ELb1ELb1EEENS1_16block_id_wrapperIjLb0EEEEEvT_jT0_jPNS9_10value_typeE ; -- Begin function _ZN7rocprim17ROCPRIM_400000_NS6detail31init_lookback_scan_state_kernelINS1_19lookback_scan_stateIN3c108BFloat16ELb1ELb1EEENS1_16block_id_wrapperIjLb0EEEEEvT_jT0_jPNS9_10value_typeE
	.globl	_ZN7rocprim17ROCPRIM_400000_NS6detail31init_lookback_scan_state_kernelINS1_19lookback_scan_stateIN3c108BFloat16ELb1ELb1EEENS1_16block_id_wrapperIjLb0EEEEEvT_jT0_jPNS9_10value_typeE
	.p2align	8
	.type	_ZN7rocprim17ROCPRIM_400000_NS6detail31init_lookback_scan_state_kernelINS1_19lookback_scan_stateIN3c108BFloat16ELb1ELb1EEENS1_16block_id_wrapperIjLb0EEEEEvT_jT0_jPNS9_10value_typeE,@function
_ZN7rocprim17ROCPRIM_400000_NS6detail31init_lookback_scan_state_kernelINS1_19lookback_scan_stateIN3c108BFloat16ELb1ELb1EEENS1_16block_id_wrapperIjLb0EEEEEvT_jT0_jPNS9_10value_typeE: ; @_ZN7rocprim17ROCPRIM_400000_NS6detail31init_lookback_scan_state_kernelINS1_19lookback_scan_stateIN3c108BFloat16ELb1ELb1EEENS1_16block_id_wrapperIjLb0EEEEEvT_jT0_jPNS9_10value_typeE
; %bb.0:
	s_clause 0x3
	s_load_b32 s7, s[0:1], 0x2c
	s_load_b64 s[4:5], s[0:1], 0x18
	s_load_b64 s[2:3], s[0:1], 0x0
	s_load_b32 s6, s[0:1], 0x8
	s_waitcnt lgkmcnt(0)
	s_and_b32 s7, s7, 0xffff
	s_cmp_eq_u64 s[4:5], 0
	v_mad_u64_u32 v[1:2], null, s15, s7, v[0:1]
	s_cbranch_scc1 .LBB493_9
; %bb.1:
	s_load_b32 s0, s[0:1], 0x10
	s_waitcnt lgkmcnt(0)
	s_cmp_lt_u32 s0, s6
	s_cselect_b32 s1, s0, 0
	s_delay_alu instid0(VALU_DEP_1) | instid1(SALU_CYCLE_1)
	v_cmp_eq_u32_e32 vcc_lo, s1, v1
	s_mov_b32 s1, 0
	s_and_saveexec_b32 s7, vcc_lo
	s_cbranch_execz .LBB493_8
; %bb.2:
	s_add_i32 s0, s0, 32
	v_mov_b32_e32 v0, 0
	s_lshl_b64 s[0:1], s[0:1], 2
	s_delay_alu instid0(SALU_CYCLE_1) | instskip(SKIP_4) | instid1(VALU_DEP_1)
	s_add_u32 s0, s2, s0
	s_addc_u32 s1, s3, s1
	global_load_b32 v2, v0, s[0:1] glc
	s_waitcnt vmcnt(0)
	v_and_b32_e32 v3, 0xff0000, v2
	v_cmp_ne_u32_e32 vcc_lo, 0, v3
	s_cbranch_vccnz .LBB493_7
; %bb.3:
	s_mov_b32 s8, 1
.LBB493_4:                              ; =>This Loop Header: Depth=1
                                        ;     Child Loop BB493_5 Depth 2
	s_delay_alu instid0(SALU_CYCLE_1)
	s_max_u32 s9, s8, 1
.LBB493_5:                              ;   Parent Loop BB493_4 Depth=1
                                        ; =>  This Inner Loop Header: Depth=2
	s_delay_alu instid0(SALU_CYCLE_1)
	s_add_i32 s9, s9, -1
	s_sleep 1
	s_cmp_eq_u32 s9, 0
	s_cbranch_scc0 .LBB493_5
; %bb.6:                                ;   in Loop: Header=BB493_4 Depth=1
	global_load_b32 v2, v0, s[0:1] glc
	s_cmp_lt_u32 s8, 32
	s_cselect_b32 s9, -1, 0
	s_delay_alu instid0(SALU_CYCLE_1) | instskip(SKIP_3) | instid1(VALU_DEP_1)
	s_cmp_lg_u32 s9, 0
	s_addc_u32 s8, s8, 0
	s_waitcnt vmcnt(0)
	v_and_b32_e32 v3, 0xff0000, v2
	v_cmp_ne_u32_e32 vcc_lo, 0, v3
	s_cbranch_vccz .LBB493_4
.LBB493_7:
	v_mov_b32_e32 v0, 0
	global_store_b16 v0, v2, s[4:5]
.LBB493_8:
	s_or_b32 exec_lo, exec_lo, s7
.LBB493_9:
	s_delay_alu instid0(SALU_CYCLE_1) | instskip(NEXT) | instid1(VALU_DEP_1)
	s_mov_b32 s0, exec_lo
	v_cmpx_gt_u32_e64 s6, v1
	s_cbranch_execz .LBB493_11
; %bb.10:
	v_dual_mov_b32 v3, 0 :: v_dual_add_nc_u32 v2, 32, v1
	s_delay_alu instid0(VALU_DEP_1) | instskip(NEXT) | instid1(VALU_DEP_1)
	v_lshlrev_b64 v[4:5], 2, v[2:3]
	v_add_co_u32 v4, vcc_lo, s2, v4
	s_delay_alu instid0(VALU_DEP_2)
	v_add_co_ci_u32_e32 v5, vcc_lo, s3, v5, vcc_lo
	global_store_b32 v[4:5], v3, off
.LBB493_11:
	s_or_b32 exec_lo, exec_lo, s0
	s_delay_alu instid0(SALU_CYCLE_1)
	s_mov_b32 s0, exec_lo
	v_cmpx_gt_u32_e32 32, v1
	s_cbranch_execz .LBB493_13
; %bb.12:
	v_mov_b32_e32 v2, 0
	s_delay_alu instid0(VALU_DEP_1) | instskip(SKIP_1) | instid1(VALU_DEP_2)
	v_lshlrev_b64 v[0:1], 2, v[1:2]
	v_mov_b32_e32 v2, 0xff0000
	v_add_co_u32 v0, vcc_lo, s2, v0
	s_delay_alu instid0(VALU_DEP_3)
	v_add_co_ci_u32_e32 v1, vcc_lo, s3, v1, vcc_lo
	global_store_b32 v[0:1], v2, off
.LBB493_13:
	s_nop 0
	s_sendmsg sendmsg(MSG_DEALLOC_VGPRS)
	s_endpgm
	.section	.rodata,"a",@progbits
	.p2align	6, 0x0
	.amdhsa_kernel _ZN7rocprim17ROCPRIM_400000_NS6detail31init_lookback_scan_state_kernelINS1_19lookback_scan_stateIN3c108BFloat16ELb1ELb1EEENS1_16block_id_wrapperIjLb0EEEEEvT_jT0_jPNS9_10value_typeE
		.amdhsa_group_segment_fixed_size 0
		.amdhsa_private_segment_fixed_size 0
		.amdhsa_kernarg_size 288
		.amdhsa_user_sgpr_count 15
		.amdhsa_user_sgpr_dispatch_ptr 0
		.amdhsa_user_sgpr_queue_ptr 0
		.amdhsa_user_sgpr_kernarg_segment_ptr 1
		.amdhsa_user_sgpr_dispatch_id 0
		.amdhsa_user_sgpr_private_segment_size 0
		.amdhsa_wavefront_size32 1
		.amdhsa_uses_dynamic_stack 0
		.amdhsa_enable_private_segment 0
		.amdhsa_system_sgpr_workgroup_id_x 1
		.amdhsa_system_sgpr_workgroup_id_y 0
		.amdhsa_system_sgpr_workgroup_id_z 0
		.amdhsa_system_sgpr_workgroup_info 0
		.amdhsa_system_vgpr_workitem_id 0
		.amdhsa_next_free_vgpr 6
		.amdhsa_next_free_sgpr 16
		.amdhsa_reserve_vcc 1
		.amdhsa_float_round_mode_32 0
		.amdhsa_float_round_mode_16_64 0
		.amdhsa_float_denorm_mode_32 3
		.amdhsa_float_denorm_mode_16_64 3
		.amdhsa_dx10_clamp 1
		.amdhsa_ieee_mode 1
		.amdhsa_fp16_overflow 0
		.amdhsa_workgroup_processor_mode 1
		.amdhsa_memory_ordered 1
		.amdhsa_forward_progress 0
		.amdhsa_shared_vgpr_count 0
		.amdhsa_exception_fp_ieee_invalid_op 0
		.amdhsa_exception_fp_denorm_src 0
		.amdhsa_exception_fp_ieee_div_zero 0
		.amdhsa_exception_fp_ieee_overflow 0
		.amdhsa_exception_fp_ieee_underflow 0
		.amdhsa_exception_fp_ieee_inexact 0
		.amdhsa_exception_int_div_zero 0
	.end_amdhsa_kernel
	.section	.text._ZN7rocprim17ROCPRIM_400000_NS6detail31init_lookback_scan_state_kernelINS1_19lookback_scan_stateIN3c108BFloat16ELb1ELb1EEENS1_16block_id_wrapperIjLb0EEEEEvT_jT0_jPNS9_10value_typeE,"axG",@progbits,_ZN7rocprim17ROCPRIM_400000_NS6detail31init_lookback_scan_state_kernelINS1_19lookback_scan_stateIN3c108BFloat16ELb1ELb1EEENS1_16block_id_wrapperIjLb0EEEEEvT_jT0_jPNS9_10value_typeE,comdat
.Lfunc_end493:
	.size	_ZN7rocprim17ROCPRIM_400000_NS6detail31init_lookback_scan_state_kernelINS1_19lookback_scan_stateIN3c108BFloat16ELb1ELb1EEENS1_16block_id_wrapperIjLb0EEEEEvT_jT0_jPNS9_10value_typeE, .Lfunc_end493-_ZN7rocprim17ROCPRIM_400000_NS6detail31init_lookback_scan_state_kernelINS1_19lookback_scan_stateIN3c108BFloat16ELb1ELb1EEENS1_16block_id_wrapperIjLb0EEEEEvT_jT0_jPNS9_10value_typeE
                                        ; -- End function
	.section	.AMDGPU.csdata,"",@progbits
; Kernel info:
; codeLenInByte = 396
; NumSgprs: 18
; NumVgprs: 6
; ScratchSize: 0
; MemoryBound: 0
; FloatMode: 240
; IeeeMode: 1
; LDSByteSize: 0 bytes/workgroup (compile time only)
; SGPRBlocks: 2
; VGPRBlocks: 0
; NumSGPRsForWavesPerEU: 18
; NumVGPRsForWavesPerEU: 6
; Occupancy: 16
; WaveLimiterHint : 0
; COMPUTE_PGM_RSRC2:SCRATCH_EN: 0
; COMPUTE_PGM_RSRC2:USER_SGPR: 15
; COMPUTE_PGM_RSRC2:TRAP_HANDLER: 0
; COMPUTE_PGM_RSRC2:TGID_X_EN: 1
; COMPUTE_PGM_RSRC2:TGID_Y_EN: 0
; COMPUTE_PGM_RSRC2:TGID_Z_EN: 0
; COMPUTE_PGM_RSRC2:TIDIG_COMP_CNT: 0
	.section	.text._ZN7rocprim17ROCPRIM_400000_NS6detail17trampoline_kernelINS0_14default_configENS1_20scan_config_selectorIN3c108BFloat16EEEZZNS1_9scan_implILNS1_25lookback_scan_determinismE0ELb0ELb0ES3_PKS6_PS6_S6_ZZZN2at6native31launch_logcumsumexp_cuda_kernelERKNSD_10TensorBaseESH_lENKUlvE_clEvENKUlvE4_clEvEUlS6_S6_E_S6_EEDaPvRmT3_T4_T5_mT6_P12ihipStream_tbENKUlT_T0_E_clISt17integral_constantIbLb1EESX_IbLb0EEEEDaST_SU_EUlST_E_NS1_11comp_targetILNS1_3genE0ELNS1_11target_archE4294967295ELNS1_3gpuE0ELNS1_3repE0EEENS1_30default_config_static_selectorELNS0_4arch9wavefront6targetE0EEEvT1_,"axG",@progbits,_ZN7rocprim17ROCPRIM_400000_NS6detail17trampoline_kernelINS0_14default_configENS1_20scan_config_selectorIN3c108BFloat16EEEZZNS1_9scan_implILNS1_25lookback_scan_determinismE0ELb0ELb0ES3_PKS6_PS6_S6_ZZZN2at6native31launch_logcumsumexp_cuda_kernelERKNSD_10TensorBaseESH_lENKUlvE_clEvENKUlvE4_clEvEUlS6_S6_E_S6_EEDaPvRmT3_T4_T5_mT6_P12ihipStream_tbENKUlT_T0_E_clISt17integral_constantIbLb1EESX_IbLb0EEEEDaST_SU_EUlST_E_NS1_11comp_targetILNS1_3genE0ELNS1_11target_archE4294967295ELNS1_3gpuE0ELNS1_3repE0EEENS1_30default_config_static_selectorELNS0_4arch9wavefront6targetE0EEEvT1_,comdat
	.globl	_ZN7rocprim17ROCPRIM_400000_NS6detail17trampoline_kernelINS0_14default_configENS1_20scan_config_selectorIN3c108BFloat16EEEZZNS1_9scan_implILNS1_25lookback_scan_determinismE0ELb0ELb0ES3_PKS6_PS6_S6_ZZZN2at6native31launch_logcumsumexp_cuda_kernelERKNSD_10TensorBaseESH_lENKUlvE_clEvENKUlvE4_clEvEUlS6_S6_E_S6_EEDaPvRmT3_T4_T5_mT6_P12ihipStream_tbENKUlT_T0_E_clISt17integral_constantIbLb1EESX_IbLb0EEEEDaST_SU_EUlST_E_NS1_11comp_targetILNS1_3genE0ELNS1_11target_archE4294967295ELNS1_3gpuE0ELNS1_3repE0EEENS1_30default_config_static_selectorELNS0_4arch9wavefront6targetE0EEEvT1_ ; -- Begin function _ZN7rocprim17ROCPRIM_400000_NS6detail17trampoline_kernelINS0_14default_configENS1_20scan_config_selectorIN3c108BFloat16EEEZZNS1_9scan_implILNS1_25lookback_scan_determinismE0ELb0ELb0ES3_PKS6_PS6_S6_ZZZN2at6native31launch_logcumsumexp_cuda_kernelERKNSD_10TensorBaseESH_lENKUlvE_clEvENKUlvE4_clEvEUlS6_S6_E_S6_EEDaPvRmT3_T4_T5_mT6_P12ihipStream_tbENKUlT_T0_E_clISt17integral_constantIbLb1EESX_IbLb0EEEEDaST_SU_EUlST_E_NS1_11comp_targetILNS1_3genE0ELNS1_11target_archE4294967295ELNS1_3gpuE0ELNS1_3repE0EEENS1_30default_config_static_selectorELNS0_4arch9wavefront6targetE0EEEvT1_
	.p2align	8
	.type	_ZN7rocprim17ROCPRIM_400000_NS6detail17trampoline_kernelINS0_14default_configENS1_20scan_config_selectorIN3c108BFloat16EEEZZNS1_9scan_implILNS1_25lookback_scan_determinismE0ELb0ELb0ES3_PKS6_PS6_S6_ZZZN2at6native31launch_logcumsumexp_cuda_kernelERKNSD_10TensorBaseESH_lENKUlvE_clEvENKUlvE4_clEvEUlS6_S6_E_S6_EEDaPvRmT3_T4_T5_mT6_P12ihipStream_tbENKUlT_T0_E_clISt17integral_constantIbLb1EESX_IbLb0EEEEDaST_SU_EUlST_E_NS1_11comp_targetILNS1_3genE0ELNS1_11target_archE4294967295ELNS1_3gpuE0ELNS1_3repE0EEENS1_30default_config_static_selectorELNS0_4arch9wavefront6targetE0EEEvT1_,@function
_ZN7rocprim17ROCPRIM_400000_NS6detail17trampoline_kernelINS0_14default_configENS1_20scan_config_selectorIN3c108BFloat16EEEZZNS1_9scan_implILNS1_25lookback_scan_determinismE0ELb0ELb0ES3_PKS6_PS6_S6_ZZZN2at6native31launch_logcumsumexp_cuda_kernelERKNSD_10TensorBaseESH_lENKUlvE_clEvENKUlvE4_clEvEUlS6_S6_E_S6_EEDaPvRmT3_T4_T5_mT6_P12ihipStream_tbENKUlT_T0_E_clISt17integral_constantIbLb1EESX_IbLb0EEEEDaST_SU_EUlST_E_NS1_11comp_targetILNS1_3genE0ELNS1_11target_archE4294967295ELNS1_3gpuE0ELNS1_3repE0EEENS1_30default_config_static_selectorELNS0_4arch9wavefront6targetE0EEEvT1_: ; @_ZN7rocprim17ROCPRIM_400000_NS6detail17trampoline_kernelINS0_14default_configENS1_20scan_config_selectorIN3c108BFloat16EEEZZNS1_9scan_implILNS1_25lookback_scan_determinismE0ELb0ELb0ES3_PKS6_PS6_S6_ZZZN2at6native31launch_logcumsumexp_cuda_kernelERKNSD_10TensorBaseESH_lENKUlvE_clEvENKUlvE4_clEvEUlS6_S6_E_S6_EEDaPvRmT3_T4_T5_mT6_P12ihipStream_tbENKUlT_T0_E_clISt17integral_constantIbLb1EESX_IbLb0EEEEDaST_SU_EUlST_E_NS1_11comp_targetILNS1_3genE0ELNS1_11target_archE4294967295ELNS1_3gpuE0ELNS1_3repE0EEENS1_30default_config_static_selectorELNS0_4arch9wavefront6targetE0EEEvT1_
; %bb.0:
	.section	.rodata,"a",@progbits
	.p2align	6, 0x0
	.amdhsa_kernel _ZN7rocprim17ROCPRIM_400000_NS6detail17trampoline_kernelINS0_14default_configENS1_20scan_config_selectorIN3c108BFloat16EEEZZNS1_9scan_implILNS1_25lookback_scan_determinismE0ELb0ELb0ES3_PKS6_PS6_S6_ZZZN2at6native31launch_logcumsumexp_cuda_kernelERKNSD_10TensorBaseESH_lENKUlvE_clEvENKUlvE4_clEvEUlS6_S6_E_S6_EEDaPvRmT3_T4_T5_mT6_P12ihipStream_tbENKUlT_T0_E_clISt17integral_constantIbLb1EESX_IbLb0EEEEDaST_SU_EUlST_E_NS1_11comp_targetILNS1_3genE0ELNS1_11target_archE4294967295ELNS1_3gpuE0ELNS1_3repE0EEENS1_30default_config_static_selectorELNS0_4arch9wavefront6targetE0EEEvT1_
		.amdhsa_group_segment_fixed_size 0
		.amdhsa_private_segment_fixed_size 0
		.amdhsa_kernarg_size 96
		.amdhsa_user_sgpr_count 15
		.amdhsa_user_sgpr_dispatch_ptr 0
		.amdhsa_user_sgpr_queue_ptr 0
		.amdhsa_user_sgpr_kernarg_segment_ptr 1
		.amdhsa_user_sgpr_dispatch_id 0
		.amdhsa_user_sgpr_private_segment_size 0
		.amdhsa_wavefront_size32 1
		.amdhsa_uses_dynamic_stack 0
		.amdhsa_enable_private_segment 0
		.amdhsa_system_sgpr_workgroup_id_x 1
		.amdhsa_system_sgpr_workgroup_id_y 0
		.amdhsa_system_sgpr_workgroup_id_z 0
		.amdhsa_system_sgpr_workgroup_info 0
		.amdhsa_system_vgpr_workitem_id 0
		.amdhsa_next_free_vgpr 1
		.amdhsa_next_free_sgpr 1
		.amdhsa_reserve_vcc 0
		.amdhsa_float_round_mode_32 0
		.amdhsa_float_round_mode_16_64 0
		.amdhsa_float_denorm_mode_32 3
		.amdhsa_float_denorm_mode_16_64 3
		.amdhsa_dx10_clamp 1
		.amdhsa_ieee_mode 1
		.amdhsa_fp16_overflow 0
		.amdhsa_workgroup_processor_mode 1
		.amdhsa_memory_ordered 1
		.amdhsa_forward_progress 0
		.amdhsa_shared_vgpr_count 0
		.amdhsa_exception_fp_ieee_invalid_op 0
		.amdhsa_exception_fp_denorm_src 0
		.amdhsa_exception_fp_ieee_div_zero 0
		.amdhsa_exception_fp_ieee_overflow 0
		.amdhsa_exception_fp_ieee_underflow 0
		.amdhsa_exception_fp_ieee_inexact 0
		.amdhsa_exception_int_div_zero 0
	.end_amdhsa_kernel
	.section	.text._ZN7rocprim17ROCPRIM_400000_NS6detail17trampoline_kernelINS0_14default_configENS1_20scan_config_selectorIN3c108BFloat16EEEZZNS1_9scan_implILNS1_25lookback_scan_determinismE0ELb0ELb0ES3_PKS6_PS6_S6_ZZZN2at6native31launch_logcumsumexp_cuda_kernelERKNSD_10TensorBaseESH_lENKUlvE_clEvENKUlvE4_clEvEUlS6_S6_E_S6_EEDaPvRmT3_T4_T5_mT6_P12ihipStream_tbENKUlT_T0_E_clISt17integral_constantIbLb1EESX_IbLb0EEEEDaST_SU_EUlST_E_NS1_11comp_targetILNS1_3genE0ELNS1_11target_archE4294967295ELNS1_3gpuE0ELNS1_3repE0EEENS1_30default_config_static_selectorELNS0_4arch9wavefront6targetE0EEEvT1_,"axG",@progbits,_ZN7rocprim17ROCPRIM_400000_NS6detail17trampoline_kernelINS0_14default_configENS1_20scan_config_selectorIN3c108BFloat16EEEZZNS1_9scan_implILNS1_25lookback_scan_determinismE0ELb0ELb0ES3_PKS6_PS6_S6_ZZZN2at6native31launch_logcumsumexp_cuda_kernelERKNSD_10TensorBaseESH_lENKUlvE_clEvENKUlvE4_clEvEUlS6_S6_E_S6_EEDaPvRmT3_T4_T5_mT6_P12ihipStream_tbENKUlT_T0_E_clISt17integral_constantIbLb1EESX_IbLb0EEEEDaST_SU_EUlST_E_NS1_11comp_targetILNS1_3genE0ELNS1_11target_archE4294967295ELNS1_3gpuE0ELNS1_3repE0EEENS1_30default_config_static_selectorELNS0_4arch9wavefront6targetE0EEEvT1_,comdat
.Lfunc_end494:
	.size	_ZN7rocprim17ROCPRIM_400000_NS6detail17trampoline_kernelINS0_14default_configENS1_20scan_config_selectorIN3c108BFloat16EEEZZNS1_9scan_implILNS1_25lookback_scan_determinismE0ELb0ELb0ES3_PKS6_PS6_S6_ZZZN2at6native31launch_logcumsumexp_cuda_kernelERKNSD_10TensorBaseESH_lENKUlvE_clEvENKUlvE4_clEvEUlS6_S6_E_S6_EEDaPvRmT3_T4_T5_mT6_P12ihipStream_tbENKUlT_T0_E_clISt17integral_constantIbLb1EESX_IbLb0EEEEDaST_SU_EUlST_E_NS1_11comp_targetILNS1_3genE0ELNS1_11target_archE4294967295ELNS1_3gpuE0ELNS1_3repE0EEENS1_30default_config_static_selectorELNS0_4arch9wavefront6targetE0EEEvT1_, .Lfunc_end494-_ZN7rocprim17ROCPRIM_400000_NS6detail17trampoline_kernelINS0_14default_configENS1_20scan_config_selectorIN3c108BFloat16EEEZZNS1_9scan_implILNS1_25lookback_scan_determinismE0ELb0ELb0ES3_PKS6_PS6_S6_ZZZN2at6native31launch_logcumsumexp_cuda_kernelERKNSD_10TensorBaseESH_lENKUlvE_clEvENKUlvE4_clEvEUlS6_S6_E_S6_EEDaPvRmT3_T4_T5_mT6_P12ihipStream_tbENKUlT_T0_E_clISt17integral_constantIbLb1EESX_IbLb0EEEEDaST_SU_EUlST_E_NS1_11comp_targetILNS1_3genE0ELNS1_11target_archE4294967295ELNS1_3gpuE0ELNS1_3repE0EEENS1_30default_config_static_selectorELNS0_4arch9wavefront6targetE0EEEvT1_
                                        ; -- End function
	.section	.AMDGPU.csdata,"",@progbits
; Kernel info:
; codeLenInByte = 0
; NumSgprs: 0
; NumVgprs: 0
; ScratchSize: 0
; MemoryBound: 0
; FloatMode: 240
; IeeeMode: 1
; LDSByteSize: 0 bytes/workgroup (compile time only)
; SGPRBlocks: 0
; VGPRBlocks: 0
; NumSGPRsForWavesPerEU: 1
; NumVGPRsForWavesPerEU: 1
; Occupancy: 16
; WaveLimiterHint : 0
; COMPUTE_PGM_RSRC2:SCRATCH_EN: 0
; COMPUTE_PGM_RSRC2:USER_SGPR: 15
; COMPUTE_PGM_RSRC2:TRAP_HANDLER: 0
; COMPUTE_PGM_RSRC2:TGID_X_EN: 1
; COMPUTE_PGM_RSRC2:TGID_Y_EN: 0
; COMPUTE_PGM_RSRC2:TGID_Z_EN: 0
; COMPUTE_PGM_RSRC2:TIDIG_COMP_CNT: 0
	.section	.text._ZN7rocprim17ROCPRIM_400000_NS6detail17trampoline_kernelINS0_14default_configENS1_20scan_config_selectorIN3c108BFloat16EEEZZNS1_9scan_implILNS1_25lookback_scan_determinismE0ELb0ELb0ES3_PKS6_PS6_S6_ZZZN2at6native31launch_logcumsumexp_cuda_kernelERKNSD_10TensorBaseESH_lENKUlvE_clEvENKUlvE4_clEvEUlS6_S6_E_S6_EEDaPvRmT3_T4_T5_mT6_P12ihipStream_tbENKUlT_T0_E_clISt17integral_constantIbLb1EESX_IbLb0EEEEDaST_SU_EUlST_E_NS1_11comp_targetILNS1_3genE5ELNS1_11target_archE942ELNS1_3gpuE9ELNS1_3repE0EEENS1_30default_config_static_selectorELNS0_4arch9wavefront6targetE0EEEvT1_,"axG",@progbits,_ZN7rocprim17ROCPRIM_400000_NS6detail17trampoline_kernelINS0_14default_configENS1_20scan_config_selectorIN3c108BFloat16EEEZZNS1_9scan_implILNS1_25lookback_scan_determinismE0ELb0ELb0ES3_PKS6_PS6_S6_ZZZN2at6native31launch_logcumsumexp_cuda_kernelERKNSD_10TensorBaseESH_lENKUlvE_clEvENKUlvE4_clEvEUlS6_S6_E_S6_EEDaPvRmT3_T4_T5_mT6_P12ihipStream_tbENKUlT_T0_E_clISt17integral_constantIbLb1EESX_IbLb0EEEEDaST_SU_EUlST_E_NS1_11comp_targetILNS1_3genE5ELNS1_11target_archE942ELNS1_3gpuE9ELNS1_3repE0EEENS1_30default_config_static_selectorELNS0_4arch9wavefront6targetE0EEEvT1_,comdat
	.globl	_ZN7rocprim17ROCPRIM_400000_NS6detail17trampoline_kernelINS0_14default_configENS1_20scan_config_selectorIN3c108BFloat16EEEZZNS1_9scan_implILNS1_25lookback_scan_determinismE0ELb0ELb0ES3_PKS6_PS6_S6_ZZZN2at6native31launch_logcumsumexp_cuda_kernelERKNSD_10TensorBaseESH_lENKUlvE_clEvENKUlvE4_clEvEUlS6_S6_E_S6_EEDaPvRmT3_T4_T5_mT6_P12ihipStream_tbENKUlT_T0_E_clISt17integral_constantIbLb1EESX_IbLb0EEEEDaST_SU_EUlST_E_NS1_11comp_targetILNS1_3genE5ELNS1_11target_archE942ELNS1_3gpuE9ELNS1_3repE0EEENS1_30default_config_static_selectorELNS0_4arch9wavefront6targetE0EEEvT1_ ; -- Begin function _ZN7rocprim17ROCPRIM_400000_NS6detail17trampoline_kernelINS0_14default_configENS1_20scan_config_selectorIN3c108BFloat16EEEZZNS1_9scan_implILNS1_25lookback_scan_determinismE0ELb0ELb0ES3_PKS6_PS6_S6_ZZZN2at6native31launch_logcumsumexp_cuda_kernelERKNSD_10TensorBaseESH_lENKUlvE_clEvENKUlvE4_clEvEUlS6_S6_E_S6_EEDaPvRmT3_T4_T5_mT6_P12ihipStream_tbENKUlT_T0_E_clISt17integral_constantIbLb1EESX_IbLb0EEEEDaST_SU_EUlST_E_NS1_11comp_targetILNS1_3genE5ELNS1_11target_archE942ELNS1_3gpuE9ELNS1_3repE0EEENS1_30default_config_static_selectorELNS0_4arch9wavefront6targetE0EEEvT1_
	.p2align	8
	.type	_ZN7rocprim17ROCPRIM_400000_NS6detail17trampoline_kernelINS0_14default_configENS1_20scan_config_selectorIN3c108BFloat16EEEZZNS1_9scan_implILNS1_25lookback_scan_determinismE0ELb0ELb0ES3_PKS6_PS6_S6_ZZZN2at6native31launch_logcumsumexp_cuda_kernelERKNSD_10TensorBaseESH_lENKUlvE_clEvENKUlvE4_clEvEUlS6_S6_E_S6_EEDaPvRmT3_T4_T5_mT6_P12ihipStream_tbENKUlT_T0_E_clISt17integral_constantIbLb1EESX_IbLb0EEEEDaST_SU_EUlST_E_NS1_11comp_targetILNS1_3genE5ELNS1_11target_archE942ELNS1_3gpuE9ELNS1_3repE0EEENS1_30default_config_static_selectorELNS0_4arch9wavefront6targetE0EEEvT1_,@function
_ZN7rocprim17ROCPRIM_400000_NS6detail17trampoline_kernelINS0_14default_configENS1_20scan_config_selectorIN3c108BFloat16EEEZZNS1_9scan_implILNS1_25lookback_scan_determinismE0ELb0ELb0ES3_PKS6_PS6_S6_ZZZN2at6native31launch_logcumsumexp_cuda_kernelERKNSD_10TensorBaseESH_lENKUlvE_clEvENKUlvE4_clEvEUlS6_S6_E_S6_EEDaPvRmT3_T4_T5_mT6_P12ihipStream_tbENKUlT_T0_E_clISt17integral_constantIbLb1EESX_IbLb0EEEEDaST_SU_EUlST_E_NS1_11comp_targetILNS1_3genE5ELNS1_11target_archE942ELNS1_3gpuE9ELNS1_3repE0EEENS1_30default_config_static_selectorELNS0_4arch9wavefront6targetE0EEEvT1_: ; @_ZN7rocprim17ROCPRIM_400000_NS6detail17trampoline_kernelINS0_14default_configENS1_20scan_config_selectorIN3c108BFloat16EEEZZNS1_9scan_implILNS1_25lookback_scan_determinismE0ELb0ELb0ES3_PKS6_PS6_S6_ZZZN2at6native31launch_logcumsumexp_cuda_kernelERKNSD_10TensorBaseESH_lENKUlvE_clEvENKUlvE4_clEvEUlS6_S6_E_S6_EEDaPvRmT3_T4_T5_mT6_P12ihipStream_tbENKUlT_T0_E_clISt17integral_constantIbLb1EESX_IbLb0EEEEDaST_SU_EUlST_E_NS1_11comp_targetILNS1_3genE5ELNS1_11target_archE942ELNS1_3gpuE9ELNS1_3repE0EEENS1_30default_config_static_selectorELNS0_4arch9wavefront6targetE0EEEvT1_
; %bb.0:
	.section	.rodata,"a",@progbits
	.p2align	6, 0x0
	.amdhsa_kernel _ZN7rocprim17ROCPRIM_400000_NS6detail17trampoline_kernelINS0_14default_configENS1_20scan_config_selectorIN3c108BFloat16EEEZZNS1_9scan_implILNS1_25lookback_scan_determinismE0ELb0ELb0ES3_PKS6_PS6_S6_ZZZN2at6native31launch_logcumsumexp_cuda_kernelERKNSD_10TensorBaseESH_lENKUlvE_clEvENKUlvE4_clEvEUlS6_S6_E_S6_EEDaPvRmT3_T4_T5_mT6_P12ihipStream_tbENKUlT_T0_E_clISt17integral_constantIbLb1EESX_IbLb0EEEEDaST_SU_EUlST_E_NS1_11comp_targetILNS1_3genE5ELNS1_11target_archE942ELNS1_3gpuE9ELNS1_3repE0EEENS1_30default_config_static_selectorELNS0_4arch9wavefront6targetE0EEEvT1_
		.amdhsa_group_segment_fixed_size 0
		.amdhsa_private_segment_fixed_size 0
		.amdhsa_kernarg_size 96
		.amdhsa_user_sgpr_count 15
		.amdhsa_user_sgpr_dispatch_ptr 0
		.amdhsa_user_sgpr_queue_ptr 0
		.amdhsa_user_sgpr_kernarg_segment_ptr 1
		.amdhsa_user_sgpr_dispatch_id 0
		.amdhsa_user_sgpr_private_segment_size 0
		.amdhsa_wavefront_size32 1
		.amdhsa_uses_dynamic_stack 0
		.amdhsa_enable_private_segment 0
		.amdhsa_system_sgpr_workgroup_id_x 1
		.amdhsa_system_sgpr_workgroup_id_y 0
		.amdhsa_system_sgpr_workgroup_id_z 0
		.amdhsa_system_sgpr_workgroup_info 0
		.amdhsa_system_vgpr_workitem_id 0
		.amdhsa_next_free_vgpr 1
		.amdhsa_next_free_sgpr 1
		.amdhsa_reserve_vcc 0
		.amdhsa_float_round_mode_32 0
		.amdhsa_float_round_mode_16_64 0
		.amdhsa_float_denorm_mode_32 3
		.amdhsa_float_denorm_mode_16_64 3
		.amdhsa_dx10_clamp 1
		.amdhsa_ieee_mode 1
		.amdhsa_fp16_overflow 0
		.amdhsa_workgroup_processor_mode 1
		.amdhsa_memory_ordered 1
		.amdhsa_forward_progress 0
		.amdhsa_shared_vgpr_count 0
		.amdhsa_exception_fp_ieee_invalid_op 0
		.amdhsa_exception_fp_denorm_src 0
		.amdhsa_exception_fp_ieee_div_zero 0
		.amdhsa_exception_fp_ieee_overflow 0
		.amdhsa_exception_fp_ieee_underflow 0
		.amdhsa_exception_fp_ieee_inexact 0
		.amdhsa_exception_int_div_zero 0
	.end_amdhsa_kernel
	.section	.text._ZN7rocprim17ROCPRIM_400000_NS6detail17trampoline_kernelINS0_14default_configENS1_20scan_config_selectorIN3c108BFloat16EEEZZNS1_9scan_implILNS1_25lookback_scan_determinismE0ELb0ELb0ES3_PKS6_PS6_S6_ZZZN2at6native31launch_logcumsumexp_cuda_kernelERKNSD_10TensorBaseESH_lENKUlvE_clEvENKUlvE4_clEvEUlS6_S6_E_S6_EEDaPvRmT3_T4_T5_mT6_P12ihipStream_tbENKUlT_T0_E_clISt17integral_constantIbLb1EESX_IbLb0EEEEDaST_SU_EUlST_E_NS1_11comp_targetILNS1_3genE5ELNS1_11target_archE942ELNS1_3gpuE9ELNS1_3repE0EEENS1_30default_config_static_selectorELNS0_4arch9wavefront6targetE0EEEvT1_,"axG",@progbits,_ZN7rocprim17ROCPRIM_400000_NS6detail17trampoline_kernelINS0_14default_configENS1_20scan_config_selectorIN3c108BFloat16EEEZZNS1_9scan_implILNS1_25lookback_scan_determinismE0ELb0ELb0ES3_PKS6_PS6_S6_ZZZN2at6native31launch_logcumsumexp_cuda_kernelERKNSD_10TensorBaseESH_lENKUlvE_clEvENKUlvE4_clEvEUlS6_S6_E_S6_EEDaPvRmT3_T4_T5_mT6_P12ihipStream_tbENKUlT_T0_E_clISt17integral_constantIbLb1EESX_IbLb0EEEEDaST_SU_EUlST_E_NS1_11comp_targetILNS1_3genE5ELNS1_11target_archE942ELNS1_3gpuE9ELNS1_3repE0EEENS1_30default_config_static_selectorELNS0_4arch9wavefront6targetE0EEEvT1_,comdat
.Lfunc_end495:
	.size	_ZN7rocprim17ROCPRIM_400000_NS6detail17trampoline_kernelINS0_14default_configENS1_20scan_config_selectorIN3c108BFloat16EEEZZNS1_9scan_implILNS1_25lookback_scan_determinismE0ELb0ELb0ES3_PKS6_PS6_S6_ZZZN2at6native31launch_logcumsumexp_cuda_kernelERKNSD_10TensorBaseESH_lENKUlvE_clEvENKUlvE4_clEvEUlS6_S6_E_S6_EEDaPvRmT3_T4_T5_mT6_P12ihipStream_tbENKUlT_T0_E_clISt17integral_constantIbLb1EESX_IbLb0EEEEDaST_SU_EUlST_E_NS1_11comp_targetILNS1_3genE5ELNS1_11target_archE942ELNS1_3gpuE9ELNS1_3repE0EEENS1_30default_config_static_selectorELNS0_4arch9wavefront6targetE0EEEvT1_, .Lfunc_end495-_ZN7rocprim17ROCPRIM_400000_NS6detail17trampoline_kernelINS0_14default_configENS1_20scan_config_selectorIN3c108BFloat16EEEZZNS1_9scan_implILNS1_25lookback_scan_determinismE0ELb0ELb0ES3_PKS6_PS6_S6_ZZZN2at6native31launch_logcumsumexp_cuda_kernelERKNSD_10TensorBaseESH_lENKUlvE_clEvENKUlvE4_clEvEUlS6_S6_E_S6_EEDaPvRmT3_T4_T5_mT6_P12ihipStream_tbENKUlT_T0_E_clISt17integral_constantIbLb1EESX_IbLb0EEEEDaST_SU_EUlST_E_NS1_11comp_targetILNS1_3genE5ELNS1_11target_archE942ELNS1_3gpuE9ELNS1_3repE0EEENS1_30default_config_static_selectorELNS0_4arch9wavefront6targetE0EEEvT1_
                                        ; -- End function
	.section	.AMDGPU.csdata,"",@progbits
; Kernel info:
; codeLenInByte = 0
; NumSgprs: 0
; NumVgprs: 0
; ScratchSize: 0
; MemoryBound: 0
; FloatMode: 240
; IeeeMode: 1
; LDSByteSize: 0 bytes/workgroup (compile time only)
; SGPRBlocks: 0
; VGPRBlocks: 0
; NumSGPRsForWavesPerEU: 1
; NumVGPRsForWavesPerEU: 1
; Occupancy: 16
; WaveLimiterHint : 0
; COMPUTE_PGM_RSRC2:SCRATCH_EN: 0
; COMPUTE_PGM_RSRC2:USER_SGPR: 15
; COMPUTE_PGM_RSRC2:TRAP_HANDLER: 0
; COMPUTE_PGM_RSRC2:TGID_X_EN: 1
; COMPUTE_PGM_RSRC2:TGID_Y_EN: 0
; COMPUTE_PGM_RSRC2:TGID_Z_EN: 0
; COMPUTE_PGM_RSRC2:TIDIG_COMP_CNT: 0
	.section	.text._ZN7rocprim17ROCPRIM_400000_NS6detail17trampoline_kernelINS0_14default_configENS1_20scan_config_selectorIN3c108BFloat16EEEZZNS1_9scan_implILNS1_25lookback_scan_determinismE0ELb0ELb0ES3_PKS6_PS6_S6_ZZZN2at6native31launch_logcumsumexp_cuda_kernelERKNSD_10TensorBaseESH_lENKUlvE_clEvENKUlvE4_clEvEUlS6_S6_E_S6_EEDaPvRmT3_T4_T5_mT6_P12ihipStream_tbENKUlT_T0_E_clISt17integral_constantIbLb1EESX_IbLb0EEEEDaST_SU_EUlST_E_NS1_11comp_targetILNS1_3genE4ELNS1_11target_archE910ELNS1_3gpuE8ELNS1_3repE0EEENS1_30default_config_static_selectorELNS0_4arch9wavefront6targetE0EEEvT1_,"axG",@progbits,_ZN7rocprim17ROCPRIM_400000_NS6detail17trampoline_kernelINS0_14default_configENS1_20scan_config_selectorIN3c108BFloat16EEEZZNS1_9scan_implILNS1_25lookback_scan_determinismE0ELb0ELb0ES3_PKS6_PS6_S6_ZZZN2at6native31launch_logcumsumexp_cuda_kernelERKNSD_10TensorBaseESH_lENKUlvE_clEvENKUlvE4_clEvEUlS6_S6_E_S6_EEDaPvRmT3_T4_T5_mT6_P12ihipStream_tbENKUlT_T0_E_clISt17integral_constantIbLb1EESX_IbLb0EEEEDaST_SU_EUlST_E_NS1_11comp_targetILNS1_3genE4ELNS1_11target_archE910ELNS1_3gpuE8ELNS1_3repE0EEENS1_30default_config_static_selectorELNS0_4arch9wavefront6targetE0EEEvT1_,comdat
	.globl	_ZN7rocprim17ROCPRIM_400000_NS6detail17trampoline_kernelINS0_14default_configENS1_20scan_config_selectorIN3c108BFloat16EEEZZNS1_9scan_implILNS1_25lookback_scan_determinismE0ELb0ELb0ES3_PKS6_PS6_S6_ZZZN2at6native31launch_logcumsumexp_cuda_kernelERKNSD_10TensorBaseESH_lENKUlvE_clEvENKUlvE4_clEvEUlS6_S6_E_S6_EEDaPvRmT3_T4_T5_mT6_P12ihipStream_tbENKUlT_T0_E_clISt17integral_constantIbLb1EESX_IbLb0EEEEDaST_SU_EUlST_E_NS1_11comp_targetILNS1_3genE4ELNS1_11target_archE910ELNS1_3gpuE8ELNS1_3repE0EEENS1_30default_config_static_selectorELNS0_4arch9wavefront6targetE0EEEvT1_ ; -- Begin function _ZN7rocprim17ROCPRIM_400000_NS6detail17trampoline_kernelINS0_14default_configENS1_20scan_config_selectorIN3c108BFloat16EEEZZNS1_9scan_implILNS1_25lookback_scan_determinismE0ELb0ELb0ES3_PKS6_PS6_S6_ZZZN2at6native31launch_logcumsumexp_cuda_kernelERKNSD_10TensorBaseESH_lENKUlvE_clEvENKUlvE4_clEvEUlS6_S6_E_S6_EEDaPvRmT3_T4_T5_mT6_P12ihipStream_tbENKUlT_T0_E_clISt17integral_constantIbLb1EESX_IbLb0EEEEDaST_SU_EUlST_E_NS1_11comp_targetILNS1_3genE4ELNS1_11target_archE910ELNS1_3gpuE8ELNS1_3repE0EEENS1_30default_config_static_selectorELNS0_4arch9wavefront6targetE0EEEvT1_
	.p2align	8
	.type	_ZN7rocprim17ROCPRIM_400000_NS6detail17trampoline_kernelINS0_14default_configENS1_20scan_config_selectorIN3c108BFloat16EEEZZNS1_9scan_implILNS1_25lookback_scan_determinismE0ELb0ELb0ES3_PKS6_PS6_S6_ZZZN2at6native31launch_logcumsumexp_cuda_kernelERKNSD_10TensorBaseESH_lENKUlvE_clEvENKUlvE4_clEvEUlS6_S6_E_S6_EEDaPvRmT3_T4_T5_mT6_P12ihipStream_tbENKUlT_T0_E_clISt17integral_constantIbLb1EESX_IbLb0EEEEDaST_SU_EUlST_E_NS1_11comp_targetILNS1_3genE4ELNS1_11target_archE910ELNS1_3gpuE8ELNS1_3repE0EEENS1_30default_config_static_selectorELNS0_4arch9wavefront6targetE0EEEvT1_,@function
_ZN7rocprim17ROCPRIM_400000_NS6detail17trampoline_kernelINS0_14default_configENS1_20scan_config_selectorIN3c108BFloat16EEEZZNS1_9scan_implILNS1_25lookback_scan_determinismE0ELb0ELb0ES3_PKS6_PS6_S6_ZZZN2at6native31launch_logcumsumexp_cuda_kernelERKNSD_10TensorBaseESH_lENKUlvE_clEvENKUlvE4_clEvEUlS6_S6_E_S6_EEDaPvRmT3_T4_T5_mT6_P12ihipStream_tbENKUlT_T0_E_clISt17integral_constantIbLb1EESX_IbLb0EEEEDaST_SU_EUlST_E_NS1_11comp_targetILNS1_3genE4ELNS1_11target_archE910ELNS1_3gpuE8ELNS1_3repE0EEENS1_30default_config_static_selectorELNS0_4arch9wavefront6targetE0EEEvT1_: ; @_ZN7rocprim17ROCPRIM_400000_NS6detail17trampoline_kernelINS0_14default_configENS1_20scan_config_selectorIN3c108BFloat16EEEZZNS1_9scan_implILNS1_25lookback_scan_determinismE0ELb0ELb0ES3_PKS6_PS6_S6_ZZZN2at6native31launch_logcumsumexp_cuda_kernelERKNSD_10TensorBaseESH_lENKUlvE_clEvENKUlvE4_clEvEUlS6_S6_E_S6_EEDaPvRmT3_T4_T5_mT6_P12ihipStream_tbENKUlT_T0_E_clISt17integral_constantIbLb1EESX_IbLb0EEEEDaST_SU_EUlST_E_NS1_11comp_targetILNS1_3genE4ELNS1_11target_archE910ELNS1_3gpuE8ELNS1_3repE0EEENS1_30default_config_static_selectorELNS0_4arch9wavefront6targetE0EEEvT1_
; %bb.0:
	.section	.rodata,"a",@progbits
	.p2align	6, 0x0
	.amdhsa_kernel _ZN7rocprim17ROCPRIM_400000_NS6detail17trampoline_kernelINS0_14default_configENS1_20scan_config_selectorIN3c108BFloat16EEEZZNS1_9scan_implILNS1_25lookback_scan_determinismE0ELb0ELb0ES3_PKS6_PS6_S6_ZZZN2at6native31launch_logcumsumexp_cuda_kernelERKNSD_10TensorBaseESH_lENKUlvE_clEvENKUlvE4_clEvEUlS6_S6_E_S6_EEDaPvRmT3_T4_T5_mT6_P12ihipStream_tbENKUlT_T0_E_clISt17integral_constantIbLb1EESX_IbLb0EEEEDaST_SU_EUlST_E_NS1_11comp_targetILNS1_3genE4ELNS1_11target_archE910ELNS1_3gpuE8ELNS1_3repE0EEENS1_30default_config_static_selectorELNS0_4arch9wavefront6targetE0EEEvT1_
		.amdhsa_group_segment_fixed_size 0
		.amdhsa_private_segment_fixed_size 0
		.amdhsa_kernarg_size 96
		.amdhsa_user_sgpr_count 15
		.amdhsa_user_sgpr_dispatch_ptr 0
		.amdhsa_user_sgpr_queue_ptr 0
		.amdhsa_user_sgpr_kernarg_segment_ptr 1
		.amdhsa_user_sgpr_dispatch_id 0
		.amdhsa_user_sgpr_private_segment_size 0
		.amdhsa_wavefront_size32 1
		.amdhsa_uses_dynamic_stack 0
		.amdhsa_enable_private_segment 0
		.amdhsa_system_sgpr_workgroup_id_x 1
		.amdhsa_system_sgpr_workgroup_id_y 0
		.amdhsa_system_sgpr_workgroup_id_z 0
		.amdhsa_system_sgpr_workgroup_info 0
		.amdhsa_system_vgpr_workitem_id 0
		.amdhsa_next_free_vgpr 1
		.amdhsa_next_free_sgpr 1
		.amdhsa_reserve_vcc 0
		.amdhsa_float_round_mode_32 0
		.amdhsa_float_round_mode_16_64 0
		.amdhsa_float_denorm_mode_32 3
		.amdhsa_float_denorm_mode_16_64 3
		.amdhsa_dx10_clamp 1
		.amdhsa_ieee_mode 1
		.amdhsa_fp16_overflow 0
		.amdhsa_workgroup_processor_mode 1
		.amdhsa_memory_ordered 1
		.amdhsa_forward_progress 0
		.amdhsa_shared_vgpr_count 0
		.amdhsa_exception_fp_ieee_invalid_op 0
		.amdhsa_exception_fp_denorm_src 0
		.amdhsa_exception_fp_ieee_div_zero 0
		.amdhsa_exception_fp_ieee_overflow 0
		.amdhsa_exception_fp_ieee_underflow 0
		.amdhsa_exception_fp_ieee_inexact 0
		.amdhsa_exception_int_div_zero 0
	.end_amdhsa_kernel
	.section	.text._ZN7rocprim17ROCPRIM_400000_NS6detail17trampoline_kernelINS0_14default_configENS1_20scan_config_selectorIN3c108BFloat16EEEZZNS1_9scan_implILNS1_25lookback_scan_determinismE0ELb0ELb0ES3_PKS6_PS6_S6_ZZZN2at6native31launch_logcumsumexp_cuda_kernelERKNSD_10TensorBaseESH_lENKUlvE_clEvENKUlvE4_clEvEUlS6_S6_E_S6_EEDaPvRmT3_T4_T5_mT6_P12ihipStream_tbENKUlT_T0_E_clISt17integral_constantIbLb1EESX_IbLb0EEEEDaST_SU_EUlST_E_NS1_11comp_targetILNS1_3genE4ELNS1_11target_archE910ELNS1_3gpuE8ELNS1_3repE0EEENS1_30default_config_static_selectorELNS0_4arch9wavefront6targetE0EEEvT1_,"axG",@progbits,_ZN7rocprim17ROCPRIM_400000_NS6detail17trampoline_kernelINS0_14default_configENS1_20scan_config_selectorIN3c108BFloat16EEEZZNS1_9scan_implILNS1_25lookback_scan_determinismE0ELb0ELb0ES3_PKS6_PS6_S6_ZZZN2at6native31launch_logcumsumexp_cuda_kernelERKNSD_10TensorBaseESH_lENKUlvE_clEvENKUlvE4_clEvEUlS6_S6_E_S6_EEDaPvRmT3_T4_T5_mT6_P12ihipStream_tbENKUlT_T0_E_clISt17integral_constantIbLb1EESX_IbLb0EEEEDaST_SU_EUlST_E_NS1_11comp_targetILNS1_3genE4ELNS1_11target_archE910ELNS1_3gpuE8ELNS1_3repE0EEENS1_30default_config_static_selectorELNS0_4arch9wavefront6targetE0EEEvT1_,comdat
.Lfunc_end496:
	.size	_ZN7rocprim17ROCPRIM_400000_NS6detail17trampoline_kernelINS0_14default_configENS1_20scan_config_selectorIN3c108BFloat16EEEZZNS1_9scan_implILNS1_25lookback_scan_determinismE0ELb0ELb0ES3_PKS6_PS6_S6_ZZZN2at6native31launch_logcumsumexp_cuda_kernelERKNSD_10TensorBaseESH_lENKUlvE_clEvENKUlvE4_clEvEUlS6_S6_E_S6_EEDaPvRmT3_T4_T5_mT6_P12ihipStream_tbENKUlT_T0_E_clISt17integral_constantIbLb1EESX_IbLb0EEEEDaST_SU_EUlST_E_NS1_11comp_targetILNS1_3genE4ELNS1_11target_archE910ELNS1_3gpuE8ELNS1_3repE0EEENS1_30default_config_static_selectorELNS0_4arch9wavefront6targetE0EEEvT1_, .Lfunc_end496-_ZN7rocprim17ROCPRIM_400000_NS6detail17trampoline_kernelINS0_14default_configENS1_20scan_config_selectorIN3c108BFloat16EEEZZNS1_9scan_implILNS1_25lookback_scan_determinismE0ELb0ELb0ES3_PKS6_PS6_S6_ZZZN2at6native31launch_logcumsumexp_cuda_kernelERKNSD_10TensorBaseESH_lENKUlvE_clEvENKUlvE4_clEvEUlS6_S6_E_S6_EEDaPvRmT3_T4_T5_mT6_P12ihipStream_tbENKUlT_T0_E_clISt17integral_constantIbLb1EESX_IbLb0EEEEDaST_SU_EUlST_E_NS1_11comp_targetILNS1_3genE4ELNS1_11target_archE910ELNS1_3gpuE8ELNS1_3repE0EEENS1_30default_config_static_selectorELNS0_4arch9wavefront6targetE0EEEvT1_
                                        ; -- End function
	.section	.AMDGPU.csdata,"",@progbits
; Kernel info:
; codeLenInByte = 0
; NumSgprs: 0
; NumVgprs: 0
; ScratchSize: 0
; MemoryBound: 0
; FloatMode: 240
; IeeeMode: 1
; LDSByteSize: 0 bytes/workgroup (compile time only)
; SGPRBlocks: 0
; VGPRBlocks: 0
; NumSGPRsForWavesPerEU: 1
; NumVGPRsForWavesPerEU: 1
; Occupancy: 16
; WaveLimiterHint : 0
; COMPUTE_PGM_RSRC2:SCRATCH_EN: 0
; COMPUTE_PGM_RSRC2:USER_SGPR: 15
; COMPUTE_PGM_RSRC2:TRAP_HANDLER: 0
; COMPUTE_PGM_RSRC2:TGID_X_EN: 1
; COMPUTE_PGM_RSRC2:TGID_Y_EN: 0
; COMPUTE_PGM_RSRC2:TGID_Z_EN: 0
; COMPUTE_PGM_RSRC2:TIDIG_COMP_CNT: 0
	.section	.text._ZN7rocprim17ROCPRIM_400000_NS6detail17trampoline_kernelINS0_14default_configENS1_20scan_config_selectorIN3c108BFloat16EEEZZNS1_9scan_implILNS1_25lookback_scan_determinismE0ELb0ELb0ES3_PKS6_PS6_S6_ZZZN2at6native31launch_logcumsumexp_cuda_kernelERKNSD_10TensorBaseESH_lENKUlvE_clEvENKUlvE4_clEvEUlS6_S6_E_S6_EEDaPvRmT3_T4_T5_mT6_P12ihipStream_tbENKUlT_T0_E_clISt17integral_constantIbLb1EESX_IbLb0EEEEDaST_SU_EUlST_E_NS1_11comp_targetILNS1_3genE3ELNS1_11target_archE908ELNS1_3gpuE7ELNS1_3repE0EEENS1_30default_config_static_selectorELNS0_4arch9wavefront6targetE0EEEvT1_,"axG",@progbits,_ZN7rocprim17ROCPRIM_400000_NS6detail17trampoline_kernelINS0_14default_configENS1_20scan_config_selectorIN3c108BFloat16EEEZZNS1_9scan_implILNS1_25lookback_scan_determinismE0ELb0ELb0ES3_PKS6_PS6_S6_ZZZN2at6native31launch_logcumsumexp_cuda_kernelERKNSD_10TensorBaseESH_lENKUlvE_clEvENKUlvE4_clEvEUlS6_S6_E_S6_EEDaPvRmT3_T4_T5_mT6_P12ihipStream_tbENKUlT_T0_E_clISt17integral_constantIbLb1EESX_IbLb0EEEEDaST_SU_EUlST_E_NS1_11comp_targetILNS1_3genE3ELNS1_11target_archE908ELNS1_3gpuE7ELNS1_3repE0EEENS1_30default_config_static_selectorELNS0_4arch9wavefront6targetE0EEEvT1_,comdat
	.globl	_ZN7rocprim17ROCPRIM_400000_NS6detail17trampoline_kernelINS0_14default_configENS1_20scan_config_selectorIN3c108BFloat16EEEZZNS1_9scan_implILNS1_25lookback_scan_determinismE0ELb0ELb0ES3_PKS6_PS6_S6_ZZZN2at6native31launch_logcumsumexp_cuda_kernelERKNSD_10TensorBaseESH_lENKUlvE_clEvENKUlvE4_clEvEUlS6_S6_E_S6_EEDaPvRmT3_T4_T5_mT6_P12ihipStream_tbENKUlT_T0_E_clISt17integral_constantIbLb1EESX_IbLb0EEEEDaST_SU_EUlST_E_NS1_11comp_targetILNS1_3genE3ELNS1_11target_archE908ELNS1_3gpuE7ELNS1_3repE0EEENS1_30default_config_static_selectorELNS0_4arch9wavefront6targetE0EEEvT1_ ; -- Begin function _ZN7rocprim17ROCPRIM_400000_NS6detail17trampoline_kernelINS0_14default_configENS1_20scan_config_selectorIN3c108BFloat16EEEZZNS1_9scan_implILNS1_25lookback_scan_determinismE0ELb0ELb0ES3_PKS6_PS6_S6_ZZZN2at6native31launch_logcumsumexp_cuda_kernelERKNSD_10TensorBaseESH_lENKUlvE_clEvENKUlvE4_clEvEUlS6_S6_E_S6_EEDaPvRmT3_T4_T5_mT6_P12ihipStream_tbENKUlT_T0_E_clISt17integral_constantIbLb1EESX_IbLb0EEEEDaST_SU_EUlST_E_NS1_11comp_targetILNS1_3genE3ELNS1_11target_archE908ELNS1_3gpuE7ELNS1_3repE0EEENS1_30default_config_static_selectorELNS0_4arch9wavefront6targetE0EEEvT1_
	.p2align	8
	.type	_ZN7rocprim17ROCPRIM_400000_NS6detail17trampoline_kernelINS0_14default_configENS1_20scan_config_selectorIN3c108BFloat16EEEZZNS1_9scan_implILNS1_25lookback_scan_determinismE0ELb0ELb0ES3_PKS6_PS6_S6_ZZZN2at6native31launch_logcumsumexp_cuda_kernelERKNSD_10TensorBaseESH_lENKUlvE_clEvENKUlvE4_clEvEUlS6_S6_E_S6_EEDaPvRmT3_T4_T5_mT6_P12ihipStream_tbENKUlT_T0_E_clISt17integral_constantIbLb1EESX_IbLb0EEEEDaST_SU_EUlST_E_NS1_11comp_targetILNS1_3genE3ELNS1_11target_archE908ELNS1_3gpuE7ELNS1_3repE0EEENS1_30default_config_static_selectorELNS0_4arch9wavefront6targetE0EEEvT1_,@function
_ZN7rocprim17ROCPRIM_400000_NS6detail17trampoline_kernelINS0_14default_configENS1_20scan_config_selectorIN3c108BFloat16EEEZZNS1_9scan_implILNS1_25lookback_scan_determinismE0ELb0ELb0ES3_PKS6_PS6_S6_ZZZN2at6native31launch_logcumsumexp_cuda_kernelERKNSD_10TensorBaseESH_lENKUlvE_clEvENKUlvE4_clEvEUlS6_S6_E_S6_EEDaPvRmT3_T4_T5_mT6_P12ihipStream_tbENKUlT_T0_E_clISt17integral_constantIbLb1EESX_IbLb0EEEEDaST_SU_EUlST_E_NS1_11comp_targetILNS1_3genE3ELNS1_11target_archE908ELNS1_3gpuE7ELNS1_3repE0EEENS1_30default_config_static_selectorELNS0_4arch9wavefront6targetE0EEEvT1_: ; @_ZN7rocprim17ROCPRIM_400000_NS6detail17trampoline_kernelINS0_14default_configENS1_20scan_config_selectorIN3c108BFloat16EEEZZNS1_9scan_implILNS1_25lookback_scan_determinismE0ELb0ELb0ES3_PKS6_PS6_S6_ZZZN2at6native31launch_logcumsumexp_cuda_kernelERKNSD_10TensorBaseESH_lENKUlvE_clEvENKUlvE4_clEvEUlS6_S6_E_S6_EEDaPvRmT3_T4_T5_mT6_P12ihipStream_tbENKUlT_T0_E_clISt17integral_constantIbLb1EESX_IbLb0EEEEDaST_SU_EUlST_E_NS1_11comp_targetILNS1_3genE3ELNS1_11target_archE908ELNS1_3gpuE7ELNS1_3repE0EEENS1_30default_config_static_selectorELNS0_4arch9wavefront6targetE0EEEvT1_
; %bb.0:
	.section	.rodata,"a",@progbits
	.p2align	6, 0x0
	.amdhsa_kernel _ZN7rocprim17ROCPRIM_400000_NS6detail17trampoline_kernelINS0_14default_configENS1_20scan_config_selectorIN3c108BFloat16EEEZZNS1_9scan_implILNS1_25lookback_scan_determinismE0ELb0ELb0ES3_PKS6_PS6_S6_ZZZN2at6native31launch_logcumsumexp_cuda_kernelERKNSD_10TensorBaseESH_lENKUlvE_clEvENKUlvE4_clEvEUlS6_S6_E_S6_EEDaPvRmT3_T4_T5_mT6_P12ihipStream_tbENKUlT_T0_E_clISt17integral_constantIbLb1EESX_IbLb0EEEEDaST_SU_EUlST_E_NS1_11comp_targetILNS1_3genE3ELNS1_11target_archE908ELNS1_3gpuE7ELNS1_3repE0EEENS1_30default_config_static_selectorELNS0_4arch9wavefront6targetE0EEEvT1_
		.amdhsa_group_segment_fixed_size 0
		.amdhsa_private_segment_fixed_size 0
		.amdhsa_kernarg_size 96
		.amdhsa_user_sgpr_count 15
		.amdhsa_user_sgpr_dispatch_ptr 0
		.amdhsa_user_sgpr_queue_ptr 0
		.amdhsa_user_sgpr_kernarg_segment_ptr 1
		.amdhsa_user_sgpr_dispatch_id 0
		.amdhsa_user_sgpr_private_segment_size 0
		.amdhsa_wavefront_size32 1
		.amdhsa_uses_dynamic_stack 0
		.amdhsa_enable_private_segment 0
		.amdhsa_system_sgpr_workgroup_id_x 1
		.amdhsa_system_sgpr_workgroup_id_y 0
		.amdhsa_system_sgpr_workgroup_id_z 0
		.amdhsa_system_sgpr_workgroup_info 0
		.amdhsa_system_vgpr_workitem_id 0
		.amdhsa_next_free_vgpr 1
		.amdhsa_next_free_sgpr 1
		.amdhsa_reserve_vcc 0
		.amdhsa_float_round_mode_32 0
		.amdhsa_float_round_mode_16_64 0
		.amdhsa_float_denorm_mode_32 3
		.amdhsa_float_denorm_mode_16_64 3
		.amdhsa_dx10_clamp 1
		.amdhsa_ieee_mode 1
		.amdhsa_fp16_overflow 0
		.amdhsa_workgroup_processor_mode 1
		.amdhsa_memory_ordered 1
		.amdhsa_forward_progress 0
		.amdhsa_shared_vgpr_count 0
		.amdhsa_exception_fp_ieee_invalid_op 0
		.amdhsa_exception_fp_denorm_src 0
		.amdhsa_exception_fp_ieee_div_zero 0
		.amdhsa_exception_fp_ieee_overflow 0
		.amdhsa_exception_fp_ieee_underflow 0
		.amdhsa_exception_fp_ieee_inexact 0
		.amdhsa_exception_int_div_zero 0
	.end_amdhsa_kernel
	.section	.text._ZN7rocprim17ROCPRIM_400000_NS6detail17trampoline_kernelINS0_14default_configENS1_20scan_config_selectorIN3c108BFloat16EEEZZNS1_9scan_implILNS1_25lookback_scan_determinismE0ELb0ELb0ES3_PKS6_PS6_S6_ZZZN2at6native31launch_logcumsumexp_cuda_kernelERKNSD_10TensorBaseESH_lENKUlvE_clEvENKUlvE4_clEvEUlS6_S6_E_S6_EEDaPvRmT3_T4_T5_mT6_P12ihipStream_tbENKUlT_T0_E_clISt17integral_constantIbLb1EESX_IbLb0EEEEDaST_SU_EUlST_E_NS1_11comp_targetILNS1_3genE3ELNS1_11target_archE908ELNS1_3gpuE7ELNS1_3repE0EEENS1_30default_config_static_selectorELNS0_4arch9wavefront6targetE0EEEvT1_,"axG",@progbits,_ZN7rocprim17ROCPRIM_400000_NS6detail17trampoline_kernelINS0_14default_configENS1_20scan_config_selectorIN3c108BFloat16EEEZZNS1_9scan_implILNS1_25lookback_scan_determinismE0ELb0ELb0ES3_PKS6_PS6_S6_ZZZN2at6native31launch_logcumsumexp_cuda_kernelERKNSD_10TensorBaseESH_lENKUlvE_clEvENKUlvE4_clEvEUlS6_S6_E_S6_EEDaPvRmT3_T4_T5_mT6_P12ihipStream_tbENKUlT_T0_E_clISt17integral_constantIbLb1EESX_IbLb0EEEEDaST_SU_EUlST_E_NS1_11comp_targetILNS1_3genE3ELNS1_11target_archE908ELNS1_3gpuE7ELNS1_3repE0EEENS1_30default_config_static_selectorELNS0_4arch9wavefront6targetE0EEEvT1_,comdat
.Lfunc_end497:
	.size	_ZN7rocprim17ROCPRIM_400000_NS6detail17trampoline_kernelINS0_14default_configENS1_20scan_config_selectorIN3c108BFloat16EEEZZNS1_9scan_implILNS1_25lookback_scan_determinismE0ELb0ELb0ES3_PKS6_PS6_S6_ZZZN2at6native31launch_logcumsumexp_cuda_kernelERKNSD_10TensorBaseESH_lENKUlvE_clEvENKUlvE4_clEvEUlS6_S6_E_S6_EEDaPvRmT3_T4_T5_mT6_P12ihipStream_tbENKUlT_T0_E_clISt17integral_constantIbLb1EESX_IbLb0EEEEDaST_SU_EUlST_E_NS1_11comp_targetILNS1_3genE3ELNS1_11target_archE908ELNS1_3gpuE7ELNS1_3repE0EEENS1_30default_config_static_selectorELNS0_4arch9wavefront6targetE0EEEvT1_, .Lfunc_end497-_ZN7rocprim17ROCPRIM_400000_NS6detail17trampoline_kernelINS0_14default_configENS1_20scan_config_selectorIN3c108BFloat16EEEZZNS1_9scan_implILNS1_25lookback_scan_determinismE0ELb0ELb0ES3_PKS6_PS6_S6_ZZZN2at6native31launch_logcumsumexp_cuda_kernelERKNSD_10TensorBaseESH_lENKUlvE_clEvENKUlvE4_clEvEUlS6_S6_E_S6_EEDaPvRmT3_T4_T5_mT6_P12ihipStream_tbENKUlT_T0_E_clISt17integral_constantIbLb1EESX_IbLb0EEEEDaST_SU_EUlST_E_NS1_11comp_targetILNS1_3genE3ELNS1_11target_archE908ELNS1_3gpuE7ELNS1_3repE0EEENS1_30default_config_static_selectorELNS0_4arch9wavefront6targetE0EEEvT1_
                                        ; -- End function
	.section	.AMDGPU.csdata,"",@progbits
; Kernel info:
; codeLenInByte = 0
; NumSgprs: 0
; NumVgprs: 0
; ScratchSize: 0
; MemoryBound: 0
; FloatMode: 240
; IeeeMode: 1
; LDSByteSize: 0 bytes/workgroup (compile time only)
; SGPRBlocks: 0
; VGPRBlocks: 0
; NumSGPRsForWavesPerEU: 1
; NumVGPRsForWavesPerEU: 1
; Occupancy: 16
; WaveLimiterHint : 0
; COMPUTE_PGM_RSRC2:SCRATCH_EN: 0
; COMPUTE_PGM_RSRC2:USER_SGPR: 15
; COMPUTE_PGM_RSRC2:TRAP_HANDLER: 0
; COMPUTE_PGM_RSRC2:TGID_X_EN: 1
; COMPUTE_PGM_RSRC2:TGID_Y_EN: 0
; COMPUTE_PGM_RSRC2:TGID_Z_EN: 0
; COMPUTE_PGM_RSRC2:TIDIG_COMP_CNT: 0
	.section	.text._ZN7rocprim17ROCPRIM_400000_NS6detail17trampoline_kernelINS0_14default_configENS1_20scan_config_selectorIN3c108BFloat16EEEZZNS1_9scan_implILNS1_25lookback_scan_determinismE0ELb0ELb0ES3_PKS6_PS6_S6_ZZZN2at6native31launch_logcumsumexp_cuda_kernelERKNSD_10TensorBaseESH_lENKUlvE_clEvENKUlvE4_clEvEUlS6_S6_E_S6_EEDaPvRmT3_T4_T5_mT6_P12ihipStream_tbENKUlT_T0_E_clISt17integral_constantIbLb1EESX_IbLb0EEEEDaST_SU_EUlST_E_NS1_11comp_targetILNS1_3genE2ELNS1_11target_archE906ELNS1_3gpuE6ELNS1_3repE0EEENS1_30default_config_static_selectorELNS0_4arch9wavefront6targetE0EEEvT1_,"axG",@progbits,_ZN7rocprim17ROCPRIM_400000_NS6detail17trampoline_kernelINS0_14default_configENS1_20scan_config_selectorIN3c108BFloat16EEEZZNS1_9scan_implILNS1_25lookback_scan_determinismE0ELb0ELb0ES3_PKS6_PS6_S6_ZZZN2at6native31launch_logcumsumexp_cuda_kernelERKNSD_10TensorBaseESH_lENKUlvE_clEvENKUlvE4_clEvEUlS6_S6_E_S6_EEDaPvRmT3_T4_T5_mT6_P12ihipStream_tbENKUlT_T0_E_clISt17integral_constantIbLb1EESX_IbLb0EEEEDaST_SU_EUlST_E_NS1_11comp_targetILNS1_3genE2ELNS1_11target_archE906ELNS1_3gpuE6ELNS1_3repE0EEENS1_30default_config_static_selectorELNS0_4arch9wavefront6targetE0EEEvT1_,comdat
	.globl	_ZN7rocprim17ROCPRIM_400000_NS6detail17trampoline_kernelINS0_14default_configENS1_20scan_config_selectorIN3c108BFloat16EEEZZNS1_9scan_implILNS1_25lookback_scan_determinismE0ELb0ELb0ES3_PKS6_PS6_S6_ZZZN2at6native31launch_logcumsumexp_cuda_kernelERKNSD_10TensorBaseESH_lENKUlvE_clEvENKUlvE4_clEvEUlS6_S6_E_S6_EEDaPvRmT3_T4_T5_mT6_P12ihipStream_tbENKUlT_T0_E_clISt17integral_constantIbLb1EESX_IbLb0EEEEDaST_SU_EUlST_E_NS1_11comp_targetILNS1_3genE2ELNS1_11target_archE906ELNS1_3gpuE6ELNS1_3repE0EEENS1_30default_config_static_selectorELNS0_4arch9wavefront6targetE0EEEvT1_ ; -- Begin function _ZN7rocprim17ROCPRIM_400000_NS6detail17trampoline_kernelINS0_14default_configENS1_20scan_config_selectorIN3c108BFloat16EEEZZNS1_9scan_implILNS1_25lookback_scan_determinismE0ELb0ELb0ES3_PKS6_PS6_S6_ZZZN2at6native31launch_logcumsumexp_cuda_kernelERKNSD_10TensorBaseESH_lENKUlvE_clEvENKUlvE4_clEvEUlS6_S6_E_S6_EEDaPvRmT3_T4_T5_mT6_P12ihipStream_tbENKUlT_T0_E_clISt17integral_constantIbLb1EESX_IbLb0EEEEDaST_SU_EUlST_E_NS1_11comp_targetILNS1_3genE2ELNS1_11target_archE906ELNS1_3gpuE6ELNS1_3repE0EEENS1_30default_config_static_selectorELNS0_4arch9wavefront6targetE0EEEvT1_
	.p2align	8
	.type	_ZN7rocprim17ROCPRIM_400000_NS6detail17trampoline_kernelINS0_14default_configENS1_20scan_config_selectorIN3c108BFloat16EEEZZNS1_9scan_implILNS1_25lookback_scan_determinismE0ELb0ELb0ES3_PKS6_PS6_S6_ZZZN2at6native31launch_logcumsumexp_cuda_kernelERKNSD_10TensorBaseESH_lENKUlvE_clEvENKUlvE4_clEvEUlS6_S6_E_S6_EEDaPvRmT3_T4_T5_mT6_P12ihipStream_tbENKUlT_T0_E_clISt17integral_constantIbLb1EESX_IbLb0EEEEDaST_SU_EUlST_E_NS1_11comp_targetILNS1_3genE2ELNS1_11target_archE906ELNS1_3gpuE6ELNS1_3repE0EEENS1_30default_config_static_selectorELNS0_4arch9wavefront6targetE0EEEvT1_,@function
_ZN7rocprim17ROCPRIM_400000_NS6detail17trampoline_kernelINS0_14default_configENS1_20scan_config_selectorIN3c108BFloat16EEEZZNS1_9scan_implILNS1_25lookback_scan_determinismE0ELb0ELb0ES3_PKS6_PS6_S6_ZZZN2at6native31launch_logcumsumexp_cuda_kernelERKNSD_10TensorBaseESH_lENKUlvE_clEvENKUlvE4_clEvEUlS6_S6_E_S6_EEDaPvRmT3_T4_T5_mT6_P12ihipStream_tbENKUlT_T0_E_clISt17integral_constantIbLb1EESX_IbLb0EEEEDaST_SU_EUlST_E_NS1_11comp_targetILNS1_3genE2ELNS1_11target_archE906ELNS1_3gpuE6ELNS1_3repE0EEENS1_30default_config_static_selectorELNS0_4arch9wavefront6targetE0EEEvT1_: ; @_ZN7rocprim17ROCPRIM_400000_NS6detail17trampoline_kernelINS0_14default_configENS1_20scan_config_selectorIN3c108BFloat16EEEZZNS1_9scan_implILNS1_25lookback_scan_determinismE0ELb0ELb0ES3_PKS6_PS6_S6_ZZZN2at6native31launch_logcumsumexp_cuda_kernelERKNSD_10TensorBaseESH_lENKUlvE_clEvENKUlvE4_clEvEUlS6_S6_E_S6_EEDaPvRmT3_T4_T5_mT6_P12ihipStream_tbENKUlT_T0_E_clISt17integral_constantIbLb1EESX_IbLb0EEEEDaST_SU_EUlST_E_NS1_11comp_targetILNS1_3genE2ELNS1_11target_archE906ELNS1_3gpuE6ELNS1_3repE0EEENS1_30default_config_static_selectorELNS0_4arch9wavefront6targetE0EEEvT1_
; %bb.0:
	.section	.rodata,"a",@progbits
	.p2align	6, 0x0
	.amdhsa_kernel _ZN7rocprim17ROCPRIM_400000_NS6detail17trampoline_kernelINS0_14default_configENS1_20scan_config_selectorIN3c108BFloat16EEEZZNS1_9scan_implILNS1_25lookback_scan_determinismE0ELb0ELb0ES3_PKS6_PS6_S6_ZZZN2at6native31launch_logcumsumexp_cuda_kernelERKNSD_10TensorBaseESH_lENKUlvE_clEvENKUlvE4_clEvEUlS6_S6_E_S6_EEDaPvRmT3_T4_T5_mT6_P12ihipStream_tbENKUlT_T0_E_clISt17integral_constantIbLb1EESX_IbLb0EEEEDaST_SU_EUlST_E_NS1_11comp_targetILNS1_3genE2ELNS1_11target_archE906ELNS1_3gpuE6ELNS1_3repE0EEENS1_30default_config_static_selectorELNS0_4arch9wavefront6targetE0EEEvT1_
		.amdhsa_group_segment_fixed_size 0
		.amdhsa_private_segment_fixed_size 0
		.amdhsa_kernarg_size 96
		.amdhsa_user_sgpr_count 15
		.amdhsa_user_sgpr_dispatch_ptr 0
		.amdhsa_user_sgpr_queue_ptr 0
		.amdhsa_user_sgpr_kernarg_segment_ptr 1
		.amdhsa_user_sgpr_dispatch_id 0
		.amdhsa_user_sgpr_private_segment_size 0
		.amdhsa_wavefront_size32 1
		.amdhsa_uses_dynamic_stack 0
		.amdhsa_enable_private_segment 0
		.amdhsa_system_sgpr_workgroup_id_x 1
		.amdhsa_system_sgpr_workgroup_id_y 0
		.amdhsa_system_sgpr_workgroup_id_z 0
		.amdhsa_system_sgpr_workgroup_info 0
		.amdhsa_system_vgpr_workitem_id 0
		.amdhsa_next_free_vgpr 1
		.amdhsa_next_free_sgpr 1
		.amdhsa_reserve_vcc 0
		.amdhsa_float_round_mode_32 0
		.amdhsa_float_round_mode_16_64 0
		.amdhsa_float_denorm_mode_32 3
		.amdhsa_float_denorm_mode_16_64 3
		.amdhsa_dx10_clamp 1
		.amdhsa_ieee_mode 1
		.amdhsa_fp16_overflow 0
		.amdhsa_workgroup_processor_mode 1
		.amdhsa_memory_ordered 1
		.amdhsa_forward_progress 0
		.amdhsa_shared_vgpr_count 0
		.amdhsa_exception_fp_ieee_invalid_op 0
		.amdhsa_exception_fp_denorm_src 0
		.amdhsa_exception_fp_ieee_div_zero 0
		.amdhsa_exception_fp_ieee_overflow 0
		.amdhsa_exception_fp_ieee_underflow 0
		.amdhsa_exception_fp_ieee_inexact 0
		.amdhsa_exception_int_div_zero 0
	.end_amdhsa_kernel
	.section	.text._ZN7rocprim17ROCPRIM_400000_NS6detail17trampoline_kernelINS0_14default_configENS1_20scan_config_selectorIN3c108BFloat16EEEZZNS1_9scan_implILNS1_25lookback_scan_determinismE0ELb0ELb0ES3_PKS6_PS6_S6_ZZZN2at6native31launch_logcumsumexp_cuda_kernelERKNSD_10TensorBaseESH_lENKUlvE_clEvENKUlvE4_clEvEUlS6_S6_E_S6_EEDaPvRmT3_T4_T5_mT6_P12ihipStream_tbENKUlT_T0_E_clISt17integral_constantIbLb1EESX_IbLb0EEEEDaST_SU_EUlST_E_NS1_11comp_targetILNS1_3genE2ELNS1_11target_archE906ELNS1_3gpuE6ELNS1_3repE0EEENS1_30default_config_static_selectorELNS0_4arch9wavefront6targetE0EEEvT1_,"axG",@progbits,_ZN7rocprim17ROCPRIM_400000_NS6detail17trampoline_kernelINS0_14default_configENS1_20scan_config_selectorIN3c108BFloat16EEEZZNS1_9scan_implILNS1_25lookback_scan_determinismE0ELb0ELb0ES3_PKS6_PS6_S6_ZZZN2at6native31launch_logcumsumexp_cuda_kernelERKNSD_10TensorBaseESH_lENKUlvE_clEvENKUlvE4_clEvEUlS6_S6_E_S6_EEDaPvRmT3_T4_T5_mT6_P12ihipStream_tbENKUlT_T0_E_clISt17integral_constantIbLb1EESX_IbLb0EEEEDaST_SU_EUlST_E_NS1_11comp_targetILNS1_3genE2ELNS1_11target_archE906ELNS1_3gpuE6ELNS1_3repE0EEENS1_30default_config_static_selectorELNS0_4arch9wavefront6targetE0EEEvT1_,comdat
.Lfunc_end498:
	.size	_ZN7rocprim17ROCPRIM_400000_NS6detail17trampoline_kernelINS0_14default_configENS1_20scan_config_selectorIN3c108BFloat16EEEZZNS1_9scan_implILNS1_25lookback_scan_determinismE0ELb0ELb0ES3_PKS6_PS6_S6_ZZZN2at6native31launch_logcumsumexp_cuda_kernelERKNSD_10TensorBaseESH_lENKUlvE_clEvENKUlvE4_clEvEUlS6_S6_E_S6_EEDaPvRmT3_T4_T5_mT6_P12ihipStream_tbENKUlT_T0_E_clISt17integral_constantIbLb1EESX_IbLb0EEEEDaST_SU_EUlST_E_NS1_11comp_targetILNS1_3genE2ELNS1_11target_archE906ELNS1_3gpuE6ELNS1_3repE0EEENS1_30default_config_static_selectorELNS0_4arch9wavefront6targetE0EEEvT1_, .Lfunc_end498-_ZN7rocprim17ROCPRIM_400000_NS6detail17trampoline_kernelINS0_14default_configENS1_20scan_config_selectorIN3c108BFloat16EEEZZNS1_9scan_implILNS1_25lookback_scan_determinismE0ELb0ELb0ES3_PKS6_PS6_S6_ZZZN2at6native31launch_logcumsumexp_cuda_kernelERKNSD_10TensorBaseESH_lENKUlvE_clEvENKUlvE4_clEvEUlS6_S6_E_S6_EEDaPvRmT3_T4_T5_mT6_P12ihipStream_tbENKUlT_T0_E_clISt17integral_constantIbLb1EESX_IbLb0EEEEDaST_SU_EUlST_E_NS1_11comp_targetILNS1_3genE2ELNS1_11target_archE906ELNS1_3gpuE6ELNS1_3repE0EEENS1_30default_config_static_selectorELNS0_4arch9wavefront6targetE0EEEvT1_
                                        ; -- End function
	.section	.AMDGPU.csdata,"",@progbits
; Kernel info:
; codeLenInByte = 0
; NumSgprs: 0
; NumVgprs: 0
; ScratchSize: 0
; MemoryBound: 0
; FloatMode: 240
; IeeeMode: 1
; LDSByteSize: 0 bytes/workgroup (compile time only)
; SGPRBlocks: 0
; VGPRBlocks: 0
; NumSGPRsForWavesPerEU: 1
; NumVGPRsForWavesPerEU: 1
; Occupancy: 16
; WaveLimiterHint : 0
; COMPUTE_PGM_RSRC2:SCRATCH_EN: 0
; COMPUTE_PGM_RSRC2:USER_SGPR: 15
; COMPUTE_PGM_RSRC2:TRAP_HANDLER: 0
; COMPUTE_PGM_RSRC2:TGID_X_EN: 1
; COMPUTE_PGM_RSRC2:TGID_Y_EN: 0
; COMPUTE_PGM_RSRC2:TGID_Z_EN: 0
; COMPUTE_PGM_RSRC2:TIDIG_COMP_CNT: 0
	.section	.text._ZN7rocprim17ROCPRIM_400000_NS6detail17trampoline_kernelINS0_14default_configENS1_20scan_config_selectorIN3c108BFloat16EEEZZNS1_9scan_implILNS1_25lookback_scan_determinismE0ELb0ELb0ES3_PKS6_PS6_S6_ZZZN2at6native31launch_logcumsumexp_cuda_kernelERKNSD_10TensorBaseESH_lENKUlvE_clEvENKUlvE4_clEvEUlS6_S6_E_S6_EEDaPvRmT3_T4_T5_mT6_P12ihipStream_tbENKUlT_T0_E_clISt17integral_constantIbLb1EESX_IbLb0EEEEDaST_SU_EUlST_E_NS1_11comp_targetILNS1_3genE10ELNS1_11target_archE1201ELNS1_3gpuE5ELNS1_3repE0EEENS1_30default_config_static_selectorELNS0_4arch9wavefront6targetE0EEEvT1_,"axG",@progbits,_ZN7rocprim17ROCPRIM_400000_NS6detail17trampoline_kernelINS0_14default_configENS1_20scan_config_selectorIN3c108BFloat16EEEZZNS1_9scan_implILNS1_25lookback_scan_determinismE0ELb0ELb0ES3_PKS6_PS6_S6_ZZZN2at6native31launch_logcumsumexp_cuda_kernelERKNSD_10TensorBaseESH_lENKUlvE_clEvENKUlvE4_clEvEUlS6_S6_E_S6_EEDaPvRmT3_T4_T5_mT6_P12ihipStream_tbENKUlT_T0_E_clISt17integral_constantIbLb1EESX_IbLb0EEEEDaST_SU_EUlST_E_NS1_11comp_targetILNS1_3genE10ELNS1_11target_archE1201ELNS1_3gpuE5ELNS1_3repE0EEENS1_30default_config_static_selectorELNS0_4arch9wavefront6targetE0EEEvT1_,comdat
	.globl	_ZN7rocprim17ROCPRIM_400000_NS6detail17trampoline_kernelINS0_14default_configENS1_20scan_config_selectorIN3c108BFloat16EEEZZNS1_9scan_implILNS1_25lookback_scan_determinismE0ELb0ELb0ES3_PKS6_PS6_S6_ZZZN2at6native31launch_logcumsumexp_cuda_kernelERKNSD_10TensorBaseESH_lENKUlvE_clEvENKUlvE4_clEvEUlS6_S6_E_S6_EEDaPvRmT3_T4_T5_mT6_P12ihipStream_tbENKUlT_T0_E_clISt17integral_constantIbLb1EESX_IbLb0EEEEDaST_SU_EUlST_E_NS1_11comp_targetILNS1_3genE10ELNS1_11target_archE1201ELNS1_3gpuE5ELNS1_3repE0EEENS1_30default_config_static_selectorELNS0_4arch9wavefront6targetE0EEEvT1_ ; -- Begin function _ZN7rocprim17ROCPRIM_400000_NS6detail17trampoline_kernelINS0_14default_configENS1_20scan_config_selectorIN3c108BFloat16EEEZZNS1_9scan_implILNS1_25lookback_scan_determinismE0ELb0ELb0ES3_PKS6_PS6_S6_ZZZN2at6native31launch_logcumsumexp_cuda_kernelERKNSD_10TensorBaseESH_lENKUlvE_clEvENKUlvE4_clEvEUlS6_S6_E_S6_EEDaPvRmT3_T4_T5_mT6_P12ihipStream_tbENKUlT_T0_E_clISt17integral_constantIbLb1EESX_IbLb0EEEEDaST_SU_EUlST_E_NS1_11comp_targetILNS1_3genE10ELNS1_11target_archE1201ELNS1_3gpuE5ELNS1_3repE0EEENS1_30default_config_static_selectorELNS0_4arch9wavefront6targetE0EEEvT1_
	.p2align	8
	.type	_ZN7rocprim17ROCPRIM_400000_NS6detail17trampoline_kernelINS0_14default_configENS1_20scan_config_selectorIN3c108BFloat16EEEZZNS1_9scan_implILNS1_25lookback_scan_determinismE0ELb0ELb0ES3_PKS6_PS6_S6_ZZZN2at6native31launch_logcumsumexp_cuda_kernelERKNSD_10TensorBaseESH_lENKUlvE_clEvENKUlvE4_clEvEUlS6_S6_E_S6_EEDaPvRmT3_T4_T5_mT6_P12ihipStream_tbENKUlT_T0_E_clISt17integral_constantIbLb1EESX_IbLb0EEEEDaST_SU_EUlST_E_NS1_11comp_targetILNS1_3genE10ELNS1_11target_archE1201ELNS1_3gpuE5ELNS1_3repE0EEENS1_30default_config_static_selectorELNS0_4arch9wavefront6targetE0EEEvT1_,@function
_ZN7rocprim17ROCPRIM_400000_NS6detail17trampoline_kernelINS0_14default_configENS1_20scan_config_selectorIN3c108BFloat16EEEZZNS1_9scan_implILNS1_25lookback_scan_determinismE0ELb0ELb0ES3_PKS6_PS6_S6_ZZZN2at6native31launch_logcumsumexp_cuda_kernelERKNSD_10TensorBaseESH_lENKUlvE_clEvENKUlvE4_clEvEUlS6_S6_E_S6_EEDaPvRmT3_T4_T5_mT6_P12ihipStream_tbENKUlT_T0_E_clISt17integral_constantIbLb1EESX_IbLb0EEEEDaST_SU_EUlST_E_NS1_11comp_targetILNS1_3genE10ELNS1_11target_archE1201ELNS1_3gpuE5ELNS1_3repE0EEENS1_30default_config_static_selectorELNS0_4arch9wavefront6targetE0EEEvT1_: ; @_ZN7rocprim17ROCPRIM_400000_NS6detail17trampoline_kernelINS0_14default_configENS1_20scan_config_selectorIN3c108BFloat16EEEZZNS1_9scan_implILNS1_25lookback_scan_determinismE0ELb0ELb0ES3_PKS6_PS6_S6_ZZZN2at6native31launch_logcumsumexp_cuda_kernelERKNSD_10TensorBaseESH_lENKUlvE_clEvENKUlvE4_clEvEUlS6_S6_E_S6_EEDaPvRmT3_T4_T5_mT6_P12ihipStream_tbENKUlT_T0_E_clISt17integral_constantIbLb1EESX_IbLb0EEEEDaST_SU_EUlST_E_NS1_11comp_targetILNS1_3genE10ELNS1_11target_archE1201ELNS1_3gpuE5ELNS1_3repE0EEENS1_30default_config_static_selectorELNS0_4arch9wavefront6targetE0EEEvT1_
; %bb.0:
	.section	.rodata,"a",@progbits
	.p2align	6, 0x0
	.amdhsa_kernel _ZN7rocprim17ROCPRIM_400000_NS6detail17trampoline_kernelINS0_14default_configENS1_20scan_config_selectorIN3c108BFloat16EEEZZNS1_9scan_implILNS1_25lookback_scan_determinismE0ELb0ELb0ES3_PKS6_PS6_S6_ZZZN2at6native31launch_logcumsumexp_cuda_kernelERKNSD_10TensorBaseESH_lENKUlvE_clEvENKUlvE4_clEvEUlS6_S6_E_S6_EEDaPvRmT3_T4_T5_mT6_P12ihipStream_tbENKUlT_T0_E_clISt17integral_constantIbLb1EESX_IbLb0EEEEDaST_SU_EUlST_E_NS1_11comp_targetILNS1_3genE10ELNS1_11target_archE1201ELNS1_3gpuE5ELNS1_3repE0EEENS1_30default_config_static_selectorELNS0_4arch9wavefront6targetE0EEEvT1_
		.amdhsa_group_segment_fixed_size 0
		.amdhsa_private_segment_fixed_size 0
		.amdhsa_kernarg_size 96
		.amdhsa_user_sgpr_count 15
		.amdhsa_user_sgpr_dispatch_ptr 0
		.amdhsa_user_sgpr_queue_ptr 0
		.amdhsa_user_sgpr_kernarg_segment_ptr 1
		.amdhsa_user_sgpr_dispatch_id 0
		.amdhsa_user_sgpr_private_segment_size 0
		.amdhsa_wavefront_size32 1
		.amdhsa_uses_dynamic_stack 0
		.amdhsa_enable_private_segment 0
		.amdhsa_system_sgpr_workgroup_id_x 1
		.amdhsa_system_sgpr_workgroup_id_y 0
		.amdhsa_system_sgpr_workgroup_id_z 0
		.amdhsa_system_sgpr_workgroup_info 0
		.amdhsa_system_vgpr_workitem_id 0
		.amdhsa_next_free_vgpr 1
		.amdhsa_next_free_sgpr 1
		.amdhsa_reserve_vcc 0
		.amdhsa_float_round_mode_32 0
		.amdhsa_float_round_mode_16_64 0
		.amdhsa_float_denorm_mode_32 3
		.amdhsa_float_denorm_mode_16_64 3
		.amdhsa_dx10_clamp 1
		.amdhsa_ieee_mode 1
		.amdhsa_fp16_overflow 0
		.amdhsa_workgroup_processor_mode 1
		.amdhsa_memory_ordered 1
		.amdhsa_forward_progress 0
		.amdhsa_shared_vgpr_count 0
		.amdhsa_exception_fp_ieee_invalid_op 0
		.amdhsa_exception_fp_denorm_src 0
		.amdhsa_exception_fp_ieee_div_zero 0
		.amdhsa_exception_fp_ieee_overflow 0
		.amdhsa_exception_fp_ieee_underflow 0
		.amdhsa_exception_fp_ieee_inexact 0
		.amdhsa_exception_int_div_zero 0
	.end_amdhsa_kernel
	.section	.text._ZN7rocprim17ROCPRIM_400000_NS6detail17trampoline_kernelINS0_14default_configENS1_20scan_config_selectorIN3c108BFloat16EEEZZNS1_9scan_implILNS1_25lookback_scan_determinismE0ELb0ELb0ES3_PKS6_PS6_S6_ZZZN2at6native31launch_logcumsumexp_cuda_kernelERKNSD_10TensorBaseESH_lENKUlvE_clEvENKUlvE4_clEvEUlS6_S6_E_S6_EEDaPvRmT3_T4_T5_mT6_P12ihipStream_tbENKUlT_T0_E_clISt17integral_constantIbLb1EESX_IbLb0EEEEDaST_SU_EUlST_E_NS1_11comp_targetILNS1_3genE10ELNS1_11target_archE1201ELNS1_3gpuE5ELNS1_3repE0EEENS1_30default_config_static_selectorELNS0_4arch9wavefront6targetE0EEEvT1_,"axG",@progbits,_ZN7rocprim17ROCPRIM_400000_NS6detail17trampoline_kernelINS0_14default_configENS1_20scan_config_selectorIN3c108BFloat16EEEZZNS1_9scan_implILNS1_25lookback_scan_determinismE0ELb0ELb0ES3_PKS6_PS6_S6_ZZZN2at6native31launch_logcumsumexp_cuda_kernelERKNSD_10TensorBaseESH_lENKUlvE_clEvENKUlvE4_clEvEUlS6_S6_E_S6_EEDaPvRmT3_T4_T5_mT6_P12ihipStream_tbENKUlT_T0_E_clISt17integral_constantIbLb1EESX_IbLb0EEEEDaST_SU_EUlST_E_NS1_11comp_targetILNS1_3genE10ELNS1_11target_archE1201ELNS1_3gpuE5ELNS1_3repE0EEENS1_30default_config_static_selectorELNS0_4arch9wavefront6targetE0EEEvT1_,comdat
.Lfunc_end499:
	.size	_ZN7rocprim17ROCPRIM_400000_NS6detail17trampoline_kernelINS0_14default_configENS1_20scan_config_selectorIN3c108BFloat16EEEZZNS1_9scan_implILNS1_25lookback_scan_determinismE0ELb0ELb0ES3_PKS6_PS6_S6_ZZZN2at6native31launch_logcumsumexp_cuda_kernelERKNSD_10TensorBaseESH_lENKUlvE_clEvENKUlvE4_clEvEUlS6_S6_E_S6_EEDaPvRmT3_T4_T5_mT6_P12ihipStream_tbENKUlT_T0_E_clISt17integral_constantIbLb1EESX_IbLb0EEEEDaST_SU_EUlST_E_NS1_11comp_targetILNS1_3genE10ELNS1_11target_archE1201ELNS1_3gpuE5ELNS1_3repE0EEENS1_30default_config_static_selectorELNS0_4arch9wavefront6targetE0EEEvT1_, .Lfunc_end499-_ZN7rocprim17ROCPRIM_400000_NS6detail17trampoline_kernelINS0_14default_configENS1_20scan_config_selectorIN3c108BFloat16EEEZZNS1_9scan_implILNS1_25lookback_scan_determinismE0ELb0ELb0ES3_PKS6_PS6_S6_ZZZN2at6native31launch_logcumsumexp_cuda_kernelERKNSD_10TensorBaseESH_lENKUlvE_clEvENKUlvE4_clEvEUlS6_S6_E_S6_EEDaPvRmT3_T4_T5_mT6_P12ihipStream_tbENKUlT_T0_E_clISt17integral_constantIbLb1EESX_IbLb0EEEEDaST_SU_EUlST_E_NS1_11comp_targetILNS1_3genE10ELNS1_11target_archE1201ELNS1_3gpuE5ELNS1_3repE0EEENS1_30default_config_static_selectorELNS0_4arch9wavefront6targetE0EEEvT1_
                                        ; -- End function
	.section	.AMDGPU.csdata,"",@progbits
; Kernel info:
; codeLenInByte = 0
; NumSgprs: 0
; NumVgprs: 0
; ScratchSize: 0
; MemoryBound: 0
; FloatMode: 240
; IeeeMode: 1
; LDSByteSize: 0 bytes/workgroup (compile time only)
; SGPRBlocks: 0
; VGPRBlocks: 0
; NumSGPRsForWavesPerEU: 1
; NumVGPRsForWavesPerEU: 1
; Occupancy: 16
; WaveLimiterHint : 0
; COMPUTE_PGM_RSRC2:SCRATCH_EN: 0
; COMPUTE_PGM_RSRC2:USER_SGPR: 15
; COMPUTE_PGM_RSRC2:TRAP_HANDLER: 0
; COMPUTE_PGM_RSRC2:TGID_X_EN: 1
; COMPUTE_PGM_RSRC2:TGID_Y_EN: 0
; COMPUTE_PGM_RSRC2:TGID_Z_EN: 0
; COMPUTE_PGM_RSRC2:TIDIG_COMP_CNT: 0
	.section	.text._ZN7rocprim17ROCPRIM_400000_NS6detail17trampoline_kernelINS0_14default_configENS1_20scan_config_selectorIN3c108BFloat16EEEZZNS1_9scan_implILNS1_25lookback_scan_determinismE0ELb0ELb0ES3_PKS6_PS6_S6_ZZZN2at6native31launch_logcumsumexp_cuda_kernelERKNSD_10TensorBaseESH_lENKUlvE_clEvENKUlvE4_clEvEUlS6_S6_E_S6_EEDaPvRmT3_T4_T5_mT6_P12ihipStream_tbENKUlT_T0_E_clISt17integral_constantIbLb1EESX_IbLb0EEEEDaST_SU_EUlST_E_NS1_11comp_targetILNS1_3genE10ELNS1_11target_archE1200ELNS1_3gpuE4ELNS1_3repE0EEENS1_30default_config_static_selectorELNS0_4arch9wavefront6targetE0EEEvT1_,"axG",@progbits,_ZN7rocprim17ROCPRIM_400000_NS6detail17trampoline_kernelINS0_14default_configENS1_20scan_config_selectorIN3c108BFloat16EEEZZNS1_9scan_implILNS1_25lookback_scan_determinismE0ELb0ELb0ES3_PKS6_PS6_S6_ZZZN2at6native31launch_logcumsumexp_cuda_kernelERKNSD_10TensorBaseESH_lENKUlvE_clEvENKUlvE4_clEvEUlS6_S6_E_S6_EEDaPvRmT3_T4_T5_mT6_P12ihipStream_tbENKUlT_T0_E_clISt17integral_constantIbLb1EESX_IbLb0EEEEDaST_SU_EUlST_E_NS1_11comp_targetILNS1_3genE10ELNS1_11target_archE1200ELNS1_3gpuE4ELNS1_3repE0EEENS1_30default_config_static_selectorELNS0_4arch9wavefront6targetE0EEEvT1_,comdat
	.globl	_ZN7rocprim17ROCPRIM_400000_NS6detail17trampoline_kernelINS0_14default_configENS1_20scan_config_selectorIN3c108BFloat16EEEZZNS1_9scan_implILNS1_25lookback_scan_determinismE0ELb0ELb0ES3_PKS6_PS6_S6_ZZZN2at6native31launch_logcumsumexp_cuda_kernelERKNSD_10TensorBaseESH_lENKUlvE_clEvENKUlvE4_clEvEUlS6_S6_E_S6_EEDaPvRmT3_T4_T5_mT6_P12ihipStream_tbENKUlT_T0_E_clISt17integral_constantIbLb1EESX_IbLb0EEEEDaST_SU_EUlST_E_NS1_11comp_targetILNS1_3genE10ELNS1_11target_archE1200ELNS1_3gpuE4ELNS1_3repE0EEENS1_30default_config_static_selectorELNS0_4arch9wavefront6targetE0EEEvT1_ ; -- Begin function _ZN7rocprim17ROCPRIM_400000_NS6detail17trampoline_kernelINS0_14default_configENS1_20scan_config_selectorIN3c108BFloat16EEEZZNS1_9scan_implILNS1_25lookback_scan_determinismE0ELb0ELb0ES3_PKS6_PS6_S6_ZZZN2at6native31launch_logcumsumexp_cuda_kernelERKNSD_10TensorBaseESH_lENKUlvE_clEvENKUlvE4_clEvEUlS6_S6_E_S6_EEDaPvRmT3_T4_T5_mT6_P12ihipStream_tbENKUlT_T0_E_clISt17integral_constantIbLb1EESX_IbLb0EEEEDaST_SU_EUlST_E_NS1_11comp_targetILNS1_3genE10ELNS1_11target_archE1200ELNS1_3gpuE4ELNS1_3repE0EEENS1_30default_config_static_selectorELNS0_4arch9wavefront6targetE0EEEvT1_
	.p2align	8
	.type	_ZN7rocprim17ROCPRIM_400000_NS6detail17trampoline_kernelINS0_14default_configENS1_20scan_config_selectorIN3c108BFloat16EEEZZNS1_9scan_implILNS1_25lookback_scan_determinismE0ELb0ELb0ES3_PKS6_PS6_S6_ZZZN2at6native31launch_logcumsumexp_cuda_kernelERKNSD_10TensorBaseESH_lENKUlvE_clEvENKUlvE4_clEvEUlS6_S6_E_S6_EEDaPvRmT3_T4_T5_mT6_P12ihipStream_tbENKUlT_T0_E_clISt17integral_constantIbLb1EESX_IbLb0EEEEDaST_SU_EUlST_E_NS1_11comp_targetILNS1_3genE10ELNS1_11target_archE1200ELNS1_3gpuE4ELNS1_3repE0EEENS1_30default_config_static_selectorELNS0_4arch9wavefront6targetE0EEEvT1_,@function
_ZN7rocprim17ROCPRIM_400000_NS6detail17trampoline_kernelINS0_14default_configENS1_20scan_config_selectorIN3c108BFloat16EEEZZNS1_9scan_implILNS1_25lookback_scan_determinismE0ELb0ELb0ES3_PKS6_PS6_S6_ZZZN2at6native31launch_logcumsumexp_cuda_kernelERKNSD_10TensorBaseESH_lENKUlvE_clEvENKUlvE4_clEvEUlS6_S6_E_S6_EEDaPvRmT3_T4_T5_mT6_P12ihipStream_tbENKUlT_T0_E_clISt17integral_constantIbLb1EESX_IbLb0EEEEDaST_SU_EUlST_E_NS1_11comp_targetILNS1_3genE10ELNS1_11target_archE1200ELNS1_3gpuE4ELNS1_3repE0EEENS1_30default_config_static_selectorELNS0_4arch9wavefront6targetE0EEEvT1_: ; @_ZN7rocprim17ROCPRIM_400000_NS6detail17trampoline_kernelINS0_14default_configENS1_20scan_config_selectorIN3c108BFloat16EEEZZNS1_9scan_implILNS1_25lookback_scan_determinismE0ELb0ELb0ES3_PKS6_PS6_S6_ZZZN2at6native31launch_logcumsumexp_cuda_kernelERKNSD_10TensorBaseESH_lENKUlvE_clEvENKUlvE4_clEvEUlS6_S6_E_S6_EEDaPvRmT3_T4_T5_mT6_P12ihipStream_tbENKUlT_T0_E_clISt17integral_constantIbLb1EESX_IbLb0EEEEDaST_SU_EUlST_E_NS1_11comp_targetILNS1_3genE10ELNS1_11target_archE1200ELNS1_3gpuE4ELNS1_3repE0EEENS1_30default_config_static_selectorELNS0_4arch9wavefront6targetE0EEEvT1_
; %bb.0:
	.section	.rodata,"a",@progbits
	.p2align	6, 0x0
	.amdhsa_kernel _ZN7rocprim17ROCPRIM_400000_NS6detail17trampoline_kernelINS0_14default_configENS1_20scan_config_selectorIN3c108BFloat16EEEZZNS1_9scan_implILNS1_25lookback_scan_determinismE0ELb0ELb0ES3_PKS6_PS6_S6_ZZZN2at6native31launch_logcumsumexp_cuda_kernelERKNSD_10TensorBaseESH_lENKUlvE_clEvENKUlvE4_clEvEUlS6_S6_E_S6_EEDaPvRmT3_T4_T5_mT6_P12ihipStream_tbENKUlT_T0_E_clISt17integral_constantIbLb1EESX_IbLb0EEEEDaST_SU_EUlST_E_NS1_11comp_targetILNS1_3genE10ELNS1_11target_archE1200ELNS1_3gpuE4ELNS1_3repE0EEENS1_30default_config_static_selectorELNS0_4arch9wavefront6targetE0EEEvT1_
		.amdhsa_group_segment_fixed_size 0
		.amdhsa_private_segment_fixed_size 0
		.amdhsa_kernarg_size 96
		.amdhsa_user_sgpr_count 15
		.amdhsa_user_sgpr_dispatch_ptr 0
		.amdhsa_user_sgpr_queue_ptr 0
		.amdhsa_user_sgpr_kernarg_segment_ptr 1
		.amdhsa_user_sgpr_dispatch_id 0
		.amdhsa_user_sgpr_private_segment_size 0
		.amdhsa_wavefront_size32 1
		.amdhsa_uses_dynamic_stack 0
		.amdhsa_enable_private_segment 0
		.amdhsa_system_sgpr_workgroup_id_x 1
		.amdhsa_system_sgpr_workgroup_id_y 0
		.amdhsa_system_sgpr_workgroup_id_z 0
		.amdhsa_system_sgpr_workgroup_info 0
		.amdhsa_system_vgpr_workitem_id 0
		.amdhsa_next_free_vgpr 1
		.amdhsa_next_free_sgpr 1
		.amdhsa_reserve_vcc 0
		.amdhsa_float_round_mode_32 0
		.amdhsa_float_round_mode_16_64 0
		.amdhsa_float_denorm_mode_32 3
		.amdhsa_float_denorm_mode_16_64 3
		.amdhsa_dx10_clamp 1
		.amdhsa_ieee_mode 1
		.amdhsa_fp16_overflow 0
		.amdhsa_workgroup_processor_mode 1
		.amdhsa_memory_ordered 1
		.amdhsa_forward_progress 0
		.amdhsa_shared_vgpr_count 0
		.amdhsa_exception_fp_ieee_invalid_op 0
		.amdhsa_exception_fp_denorm_src 0
		.amdhsa_exception_fp_ieee_div_zero 0
		.amdhsa_exception_fp_ieee_overflow 0
		.amdhsa_exception_fp_ieee_underflow 0
		.amdhsa_exception_fp_ieee_inexact 0
		.amdhsa_exception_int_div_zero 0
	.end_amdhsa_kernel
	.section	.text._ZN7rocprim17ROCPRIM_400000_NS6detail17trampoline_kernelINS0_14default_configENS1_20scan_config_selectorIN3c108BFloat16EEEZZNS1_9scan_implILNS1_25lookback_scan_determinismE0ELb0ELb0ES3_PKS6_PS6_S6_ZZZN2at6native31launch_logcumsumexp_cuda_kernelERKNSD_10TensorBaseESH_lENKUlvE_clEvENKUlvE4_clEvEUlS6_S6_E_S6_EEDaPvRmT3_T4_T5_mT6_P12ihipStream_tbENKUlT_T0_E_clISt17integral_constantIbLb1EESX_IbLb0EEEEDaST_SU_EUlST_E_NS1_11comp_targetILNS1_3genE10ELNS1_11target_archE1200ELNS1_3gpuE4ELNS1_3repE0EEENS1_30default_config_static_selectorELNS0_4arch9wavefront6targetE0EEEvT1_,"axG",@progbits,_ZN7rocprim17ROCPRIM_400000_NS6detail17trampoline_kernelINS0_14default_configENS1_20scan_config_selectorIN3c108BFloat16EEEZZNS1_9scan_implILNS1_25lookback_scan_determinismE0ELb0ELb0ES3_PKS6_PS6_S6_ZZZN2at6native31launch_logcumsumexp_cuda_kernelERKNSD_10TensorBaseESH_lENKUlvE_clEvENKUlvE4_clEvEUlS6_S6_E_S6_EEDaPvRmT3_T4_T5_mT6_P12ihipStream_tbENKUlT_T0_E_clISt17integral_constantIbLb1EESX_IbLb0EEEEDaST_SU_EUlST_E_NS1_11comp_targetILNS1_3genE10ELNS1_11target_archE1200ELNS1_3gpuE4ELNS1_3repE0EEENS1_30default_config_static_selectorELNS0_4arch9wavefront6targetE0EEEvT1_,comdat
.Lfunc_end500:
	.size	_ZN7rocprim17ROCPRIM_400000_NS6detail17trampoline_kernelINS0_14default_configENS1_20scan_config_selectorIN3c108BFloat16EEEZZNS1_9scan_implILNS1_25lookback_scan_determinismE0ELb0ELb0ES3_PKS6_PS6_S6_ZZZN2at6native31launch_logcumsumexp_cuda_kernelERKNSD_10TensorBaseESH_lENKUlvE_clEvENKUlvE4_clEvEUlS6_S6_E_S6_EEDaPvRmT3_T4_T5_mT6_P12ihipStream_tbENKUlT_T0_E_clISt17integral_constantIbLb1EESX_IbLb0EEEEDaST_SU_EUlST_E_NS1_11comp_targetILNS1_3genE10ELNS1_11target_archE1200ELNS1_3gpuE4ELNS1_3repE0EEENS1_30default_config_static_selectorELNS0_4arch9wavefront6targetE0EEEvT1_, .Lfunc_end500-_ZN7rocprim17ROCPRIM_400000_NS6detail17trampoline_kernelINS0_14default_configENS1_20scan_config_selectorIN3c108BFloat16EEEZZNS1_9scan_implILNS1_25lookback_scan_determinismE0ELb0ELb0ES3_PKS6_PS6_S6_ZZZN2at6native31launch_logcumsumexp_cuda_kernelERKNSD_10TensorBaseESH_lENKUlvE_clEvENKUlvE4_clEvEUlS6_S6_E_S6_EEDaPvRmT3_T4_T5_mT6_P12ihipStream_tbENKUlT_T0_E_clISt17integral_constantIbLb1EESX_IbLb0EEEEDaST_SU_EUlST_E_NS1_11comp_targetILNS1_3genE10ELNS1_11target_archE1200ELNS1_3gpuE4ELNS1_3repE0EEENS1_30default_config_static_selectorELNS0_4arch9wavefront6targetE0EEEvT1_
                                        ; -- End function
	.section	.AMDGPU.csdata,"",@progbits
; Kernel info:
; codeLenInByte = 0
; NumSgprs: 0
; NumVgprs: 0
; ScratchSize: 0
; MemoryBound: 0
; FloatMode: 240
; IeeeMode: 1
; LDSByteSize: 0 bytes/workgroup (compile time only)
; SGPRBlocks: 0
; VGPRBlocks: 0
; NumSGPRsForWavesPerEU: 1
; NumVGPRsForWavesPerEU: 1
; Occupancy: 16
; WaveLimiterHint : 0
; COMPUTE_PGM_RSRC2:SCRATCH_EN: 0
; COMPUTE_PGM_RSRC2:USER_SGPR: 15
; COMPUTE_PGM_RSRC2:TRAP_HANDLER: 0
; COMPUTE_PGM_RSRC2:TGID_X_EN: 1
; COMPUTE_PGM_RSRC2:TGID_Y_EN: 0
; COMPUTE_PGM_RSRC2:TGID_Z_EN: 0
; COMPUTE_PGM_RSRC2:TIDIG_COMP_CNT: 0
	.text
	.p2align	2                               ; -- Begin function _ZZZN7rocprim17ROCPRIM_400000_NS6detail9scan_implILNS1_25lookback_scan_determinismE0ELb0ELb0ENS0_14default_configEPKN3c108BFloat16EPS6_S6_ZZZN2at6native31launch_logcumsumexp_cuda_kernelERKNSA_10TensorBaseESE_lENKUlvE_clEvENKUlvE4_clEvEUlS6_S6_E_S6_EEDaPvRmT3_T4_T5_mT6_P12ihipStream_tbENKUlT_T0_E_clISt17integral_constantIbLb1EESU_IbLb0EEEEDaSQ_SR_ENKUlSQ_E_clINS1_13target_configIS4_NS1_20scan_config_selectorIS6_EENS1_11comp_targetILNS1_3genE9ELNS1_11target_archE1100ELNS1_3gpuE3ELNS1_3repE0EEELNS0_4arch9wavefront6targetE0EEEEEDaSQ_
	.type	_ZZZN7rocprim17ROCPRIM_400000_NS6detail9scan_implILNS1_25lookback_scan_determinismE0ELb0ELb0ENS0_14default_configEPKN3c108BFloat16EPS6_S6_ZZZN2at6native31launch_logcumsumexp_cuda_kernelERKNSA_10TensorBaseESE_lENKUlvE_clEvENKUlvE4_clEvEUlS6_S6_E_S6_EEDaPvRmT3_T4_T5_mT6_P12ihipStream_tbENKUlT_T0_E_clISt17integral_constantIbLb1EESU_IbLb0EEEEDaSQ_SR_ENKUlSQ_E_clINS1_13target_configIS4_NS1_20scan_config_selectorIS6_EENS1_11comp_targetILNS1_3genE9ELNS1_11target_archE1100ELNS1_3gpuE3ELNS1_3repE0EEELNS0_4arch9wavefront6targetE0EEEEEDaSQ_,@function
_ZZZN7rocprim17ROCPRIM_400000_NS6detail9scan_implILNS1_25lookback_scan_determinismE0ELb0ELb0ENS0_14default_configEPKN3c108BFloat16EPS6_S6_ZZZN2at6native31launch_logcumsumexp_cuda_kernelERKNSA_10TensorBaseESE_lENKUlvE_clEvENKUlvE4_clEvEUlS6_S6_E_S6_EEDaPvRmT3_T4_T5_mT6_P12ihipStream_tbENKUlT_T0_E_clISt17integral_constantIbLb1EESU_IbLb0EEEEDaSQ_SR_ENKUlSQ_E_clINS1_13target_configIS4_NS1_20scan_config_selectorIS6_EENS1_11comp_targetILNS1_3genE9ELNS1_11target_archE1100ELNS1_3gpuE3ELNS1_3repE0EEELNS0_4arch9wavefront6targetE0EEEEEDaSQ_: ; @_ZZZN7rocprim17ROCPRIM_400000_NS6detail9scan_implILNS1_25lookback_scan_determinismE0ELb0ELb0ENS0_14default_configEPKN3c108BFloat16EPS6_S6_ZZZN2at6native31launch_logcumsumexp_cuda_kernelERKNSA_10TensorBaseESE_lENKUlvE_clEvENKUlvE4_clEvEUlS6_S6_E_S6_EEDaPvRmT3_T4_T5_mT6_P12ihipStream_tbENKUlT_T0_E_clISt17integral_constantIbLb1EESU_IbLb0EEEEDaSQ_SR_ENKUlSQ_E_clINS1_13target_configIS4_NS1_20scan_config_selectorIS6_EENS1_11comp_targetILNS1_3genE9ELNS1_11target_archE1100ELNS1_3gpuE3ELNS1_3repE0EEELNS0_4arch9wavefront6targetE0EEEEEDaSQ_
; %bb.0:
	s_waitcnt vmcnt(0) expcnt(0) lgkmcnt(0)
	s_or_saveexec_b32 s0, -1
	scratch_store_b32 off, v40, s32         ; 4-byte Folded Spill
	s_mov_b32 exec_lo, s0
	v_writelane_b32 v40, s30, 0
	v_writelane_b32 v40, s31, 1
	s_clause 0x4
	flat_load_b96 v[14:16], v[0:1] offset:40
	flat_load_b128 v[18:21], v[0:1]
	flat_load_b128 v[10:13], v[0:1] offset:16
	flat_load_b128 v[2:5], v[0:1] offset:56
	;; [unrolled: 1-line block ×3, first 2 shown]
	s_mov_b32 s1, 0
	s_mul_i32 s0, s12, 0x580
	v_and_b32_e32 v0, 0x3ff, v31
	s_lshl_b64 s[28:29], s[0:1], 1
	s_delay_alu instid0(VALU_DEP_1) | instskip(SKIP_4) | instid1(VALU_DEP_2)
	v_lshlrev_b32_e32 v24, 1, v0
	s_waitcnt vmcnt(4) lgkmcnt(4)
	v_add_nc_u32_e32 v1, -1, v16
	s_waitcnt vmcnt(3) lgkmcnt(3)
	v_lshlrev_b64 v[16:17], 1, v[20:21]
	v_mul_lo_u32 v20, 0x580, v1
	v_cmp_ne_u32_e64 s0, s12, v1
	s_delay_alu instid0(VALU_DEP_3) | instskip(NEXT) | instid1(VALU_DEP_4)
	v_add_co_u32 v18, vcc_lo, v18, v16
	v_add_co_ci_u32_e32 v19, vcc_lo, v19, v17, vcc_lo
	s_delay_alu instid0(VALU_DEP_2) | instskip(NEXT) | instid1(VALU_DEP_2)
	v_add_co_u32 v18, vcc_lo, v18, s28
	v_add_co_ci_u32_e32 v19, vcc_lo, s29, v19, vcc_lo
	s_waitcnt vmcnt(2) lgkmcnt(2)
	v_sub_co_u32 v22, vcc_lo, v12, v20
	v_subrev_co_ci_u32_e32 v23, vcc_lo, 0, v13, vcc_lo
	s_and_saveexec_b32 s1, s0
	s_delay_alu instid0(SALU_CYCLE_1)
	s_xor_b32 s1, exec_lo, s1
	s_cbranch_execz .LBB501_2
; %bb.1:
	v_add_co_u32 v12, vcc_lo, v18, v24
	v_add_co_ci_u32_e32 v13, vcc_lo, 0, v19, vcc_lo
	s_clause 0x15
	flat_load_u16 v1, v[12:13]
	flat_load_u16 v18, v[12:13] offset:128
	flat_load_u16 v19, v[12:13] offset:256
	;; [unrolled: 1-line block ×21, first 2 shown]
	s_waitcnt vmcnt(21) lgkmcnt(21)
	ds_store_b16 v24, v1
	s_waitcnt vmcnt(20) lgkmcnt(21)
	ds_store_b16 v24, v18 offset:128
	s_waitcnt vmcnt(19) lgkmcnt(21)
	ds_store_b16 v24, v19 offset:256
	;; [unrolled: 2-line block ×21, first 2 shown]
	s_waitcnt lgkmcnt(0)
	s_waitcnt_vscnt null, 0x0
	s_barrier
                                        ; implicit-def: $vgpr18
.LBB501_2:
	s_and_not1_saveexec_b32 s1, s1
	s_cbranch_execz .LBB501_48
; %bb.3:
	flat_load_u16 v1, v[18:19]
	s_mov_b32 s2, exec_lo
	s_waitcnt vmcnt(0) lgkmcnt(0)
	v_mov_b32_e32 v12, v1
	v_cmpx_lt_u32_e64 v0, v22
	s_cbranch_execz .LBB501_5
; %bb.4:
	v_add_co_u32 v12, vcc_lo, v18, v24
	v_add_co_ci_u32_e32 v13, vcc_lo, 0, v19, vcc_lo
	flat_load_u16 v12, v[12:13]
.LBB501_5:
	s_or_b32 exec_lo, exec_lo, s2
	v_add_nc_u32_e32 v13, 64, v0
	s_delay_alu instid0(VALU_DEP_1)
	v_cmp_lt_u32_e32 vcc_lo, v13, v22
	v_mov_b32_e32 v13, v1
	s_and_saveexec_b32 s2, vcc_lo
	s_cbranch_execz .LBB501_7
; %bb.6:
	v_add_co_u32 v20, vcc_lo, v18, v24
	v_add_co_ci_u32_e32 v21, vcc_lo, 0, v19, vcc_lo
	flat_load_u16 v13, v[20:21] offset:128
.LBB501_7:
	s_or_b32 exec_lo, exec_lo, s2
	v_add_nc_u32_e32 v20, 0x80, v0
	s_delay_alu instid0(VALU_DEP_1)
	v_cmp_lt_u32_e32 vcc_lo, v20, v22
	v_mov_b32_e32 v20, v1
	s_and_saveexec_b32 s2, vcc_lo
	s_cbranch_execz .LBB501_9
; %bb.8:
	v_add_co_u32 v20, vcc_lo, v18, v24
	v_add_co_ci_u32_e32 v21, vcc_lo, 0, v19, vcc_lo
	flat_load_u16 v20, v[20:21] offset:256
.LBB501_9:
	;; [unrolled: 12-line block ×15, first 2 shown]
	s_or_b32 exec_lo, exec_lo, s2
	v_or_b32_e32 v37, 0x400, v0
	s_delay_alu instid0(VALU_DEP_1)
	v_cmp_lt_u32_e32 vcc_lo, v37, v22
	v_mov_b32_e32 v37, v1
	s_and_saveexec_b32 s2, vcc_lo
	s_cbranch_execz .LBB501_37
; %bb.36:
	v_add_co_u32 v37, vcc_lo, v18, v24
	v_add_co_ci_u32_e32 v38, vcc_lo, 0, v19, vcc_lo
	flat_load_u16 v37, v[37:38] offset:2048
.LBB501_37:
	s_or_b32 exec_lo, exec_lo, s2
	v_add_nc_u32_e32 v38, 0x440, v0
	s_delay_alu instid0(VALU_DEP_1)
	v_cmp_lt_u32_e32 vcc_lo, v38, v22
	v_mov_b32_e32 v38, v1
	s_and_saveexec_b32 s2, vcc_lo
	s_cbranch_execz .LBB501_39
; %bb.38:
	v_add_co_u32 v38, vcc_lo, v18, v24
	v_add_co_ci_u32_e32 v39, vcc_lo, 0, v19, vcc_lo
	flat_load_u16 v38, v[38:39] offset:2176
.LBB501_39:
	s_or_b32 exec_lo, exec_lo, s2
	v_add_nc_u32_e32 v39, 0x480, v0
	;; [unrolled: 12-line block ×5, first 2 shown]
	s_mov_b32 s2, exec_lo
	s_delay_alu instid0(VALU_DEP_1)
	v_cmpx_lt_u32_e64 v50, v22
	s_cbranch_execz .LBB501_47
; %bb.46:
	v_add_co_u32 v18, vcc_lo, v18, v24
	v_add_co_ci_u32_e32 v19, vcc_lo, 0, v19, vcc_lo
	flat_load_u16 v1, v[18:19] offset:2688
.LBB501_47:
	s_or_b32 exec_lo, exec_lo, s2
	s_waitcnt vmcnt(0) lgkmcnt(0)
	ds_store_b16 v24, v12
	ds_store_b16 v24, v13 offset:128
	ds_store_b16 v24, v20 offset:256
	;; [unrolled: 1-line block ×21, first 2 shown]
	s_waitcnt lgkmcnt(0)
	s_waitcnt_vscnt null, 0x0
	s_barrier
.LBB501_48:
	s_or_b32 exec_lo, exec_lo, s1
	v_mul_u32_u24_e32 v25, 22, v0
	s_waitcnt vmcnt(0) lgkmcnt(0)
	s_waitcnt_vscnt null, 0x0
	buffer_gl0_inv
	s_cmp_lg_u32 s12, 0
	v_lshlrev_b32_e32 v1, 1, v25
	ds_load_2addr_b32 v[12:13], v1 offset1:1
	ds_load_2addr_b32 v[18:19], v1 offset0:2 offset1:3
	ds_load_2addr_b32 v[20:21], v1 offset0:4 offset1:5
	ds_load_2addr_b32 v[26:27], v1 offset0:6 offset1:7
	ds_load_2addr_b32 v[54:55], v1 offset0:8 offset1:9
	ds_load_b32 v64, v1 offset:40
	s_waitcnt lgkmcnt(0)
	s_barrier
	buffer_gl0_inv
	v_lshrrev_b32_e32 v65, 16, v12
	v_lshrrev_b32_e32 v52, 16, v13
	v_and_b32_e32 v53, 0xffff, v13
	v_lshrrev_b32_e32 v50, 16, v18
	v_lshrrev_b32_e32 v48, 16, v19
	v_and_b32_e32 v51, 0xffff, v18
	v_and_b32_e32 v49, 0xffff, v19
	v_lshrrev_b32_e32 v38, 16, v20
	v_lshrrev_b32_e32 v36, 16, v21
	v_and_b32_e32 v39, 0xffff, v20
	;; [unrolled: 4-line block ×4, first 2 shown]
	v_and_b32_e32 v29, 0xffff, v55
	v_lshrrev_b32_e32 v26, 16, v64
	v_and_b32_e32 v27, 0xffff, v64
	v_lshlrev_b32_e32 v13, 16, v65
	s_cbranch_scc0 .LBB501_237
; %bb.49:
	s_delay_alu instid0(VALU_DEP_1) | instskip(SKIP_2) | instid1(VALU_DEP_2)
	v_max_f32_e32 v55, v13, v13
	v_lshlrev_b32_e32 v135, 16, v12
	v_cmp_u_f32_e64 s1, v13, v13
	v_max_f32_e32 v144, v135, v135
	s_delay_alu instid0(VALU_DEP_1) | instskip(SKIP_2) | instid1(VALU_DEP_1)
	v_min_f32_e32 v18, v144, v55
	v_max_f32_e32 v19, v144, v55
	v_cmp_u_f32_e64 s23, v135, v135
	v_cndmask_b32_e64 v18, v18, v135, s23
	s_delay_alu instid0(VALU_DEP_3) | instskip(NEXT) | instid1(VALU_DEP_2)
	v_cndmask_b32_e64 v19, v19, v135, s23
	v_cndmask_b32_e64 v20, v18, v13, s1
	s_delay_alu instid0(VALU_DEP_2) | instskip(SKIP_1) | instid1(VALU_DEP_3)
	v_cndmask_b32_e64 v18, v19, v13, s1
	v_mov_b32_e32 v19, v135
	v_cmp_class_f32_e64 s2, v20, 0x1f8
	s_delay_alu instid0(VALU_DEP_3) | instskip(NEXT) | instid1(VALU_DEP_2)
	v_cmp_neq_f32_e32 vcc_lo, v20, v18
	s_or_b32 s3, vcc_lo, s2
	s_delay_alu instid0(SALU_CYCLE_1)
	s_and_saveexec_b32 s2, s3
	s_cbranch_execz .LBB501_51
; %bb.50:
	v_sub_f32_e32 v19, v20, v18
	s_mov_b32 s3, 0x3e9b6dac
	s_delay_alu instid0(VALU_DEP_1) | instskip(SKIP_1) | instid1(VALU_DEP_2)
	v_mul_f32_e32 v20, 0x3fb8aa3b, v19
	v_cmp_ngt_f32_e32 vcc_lo, 0xc2ce8ed0, v19
	v_fma_f32 v21, 0x3fb8aa3b, v19, -v20
	v_rndne_f32_e32 v54, v20
	s_delay_alu instid0(VALU_DEP_1) | instskip(NEXT) | instid1(VALU_DEP_1)
	v_dual_fmamk_f32 v21, v19, 0x32a5705f, v21 :: v_dual_sub_f32 v20, v20, v54
	v_add_f32_e32 v20, v20, v21
	v_cvt_i32_f32_e32 v21, v54
	s_delay_alu instid0(VALU_DEP_2) | instskip(SKIP_2) | instid1(VALU_DEP_1)
	v_exp_f32_e32 v20, v20
	s_waitcnt_depctr 0xfff
	v_ldexp_f32 v20, v20, v21
	v_cndmask_b32_e32 v20, 0, v20, vcc_lo
	v_cmp_nlt_f32_e32 vcc_lo, 0x42b17218, v19
	s_delay_alu instid0(VALU_DEP_2) | instskip(NEXT) | instid1(VALU_DEP_1)
	v_cndmask_b32_e32 v21, 0x7f800000, v20, vcc_lo
	v_add_f32_e32 v54, 1.0, v21
	s_delay_alu instid0(VALU_DEP_1) | instskip(NEXT) | instid1(VALU_DEP_1)
	v_cvt_f64_f32_e32 v[19:20], v54
	v_frexp_exp_i32_f64_e32 v19, v[19:20]
	v_frexp_mant_f32_e32 v20, v54
	s_delay_alu instid0(VALU_DEP_1) | instskip(SKIP_1) | instid1(VALU_DEP_1)
	v_cmp_gt_f32_e32 vcc_lo, 0x3f2aaaab, v20
	v_add_f32_e32 v20, -1.0, v54
	v_dual_sub_f32 v65, v20, v54 :: v_dual_sub_f32 v20, v21, v20
	s_delay_alu instid0(VALU_DEP_1) | instskip(NEXT) | instid1(VALU_DEP_1)
	v_add_f32_e32 v65, 1.0, v65
	v_add_f32_e32 v20, v20, v65
	v_subrev_co_ci_u32_e32 v19, vcc_lo, 0, v19, vcc_lo
	v_cmp_eq_f32_e32 vcc_lo, 0x7f800000, v21
	s_delay_alu instid0(VALU_DEP_2) | instskip(SKIP_1) | instid1(VALU_DEP_2)
	v_sub_nc_u32_e32 v64, 0, v19
	v_cvt_f32_i32_e32 v19, v19
	v_ldexp_f32 v54, v54, v64
	v_ldexp_f32 v20, v20, v64
	s_delay_alu instid0(VALU_DEP_2) | instskip(NEXT) | instid1(VALU_DEP_1)
	v_add_f32_e32 v66, 1.0, v54
	v_add_f32_e32 v65, -1.0, v66
	s_delay_alu instid0(VALU_DEP_1) | instskip(NEXT) | instid1(VALU_DEP_1)
	v_dual_sub_f32 v65, v54, v65 :: v_dual_add_f32 v64, -1.0, v54
	v_add_f32_e32 v65, v20, v65
	s_delay_alu instid0(VALU_DEP_2) | instskip(NEXT) | instid1(VALU_DEP_1)
	v_add_f32_e32 v67, 1.0, v64
	v_sub_f32_e32 v54, v54, v67
	s_delay_alu instid0(VALU_DEP_1) | instskip(NEXT) | instid1(VALU_DEP_1)
	v_dual_add_f32 v67, v66, v65 :: v_dual_add_f32 v20, v20, v54
	v_rcp_f32_e32 v54, v67
	v_sub_f32_e32 v66, v66, v67
	s_delay_alu instid0(VALU_DEP_1) | instskip(SKIP_2) | instid1(VALU_DEP_1)
	v_dual_add_f32 v68, v64, v20 :: v_dual_add_f32 v65, v65, v66
	s_waitcnt_depctr 0xfff
	v_mul_f32_e32 v69, v68, v54
	v_mul_f32_e32 v70, v67, v69
	s_delay_alu instid0(VALU_DEP_1) | instskip(NEXT) | instid1(VALU_DEP_1)
	v_fma_f32 v66, v69, v67, -v70
	v_fmac_f32_e32 v66, v69, v65
	s_delay_alu instid0(VALU_DEP_1) | instskip(NEXT) | instid1(VALU_DEP_1)
	v_dual_add_f32 v71, v70, v66 :: v_dual_sub_f32 v64, v64, v68
	v_sub_f32_e32 v80, v68, v71
	s_delay_alu instid0(VALU_DEP_2) | instskip(SKIP_1) | instid1(VALU_DEP_3)
	v_add_f32_e32 v20, v20, v64
	v_sub_f32_e32 v64, v71, v70
	v_sub_f32_e32 v68, v68, v80
	s_delay_alu instid0(VALU_DEP_2) | instskip(NEXT) | instid1(VALU_DEP_2)
	v_sub_f32_e32 v64, v64, v66
	v_sub_f32_e32 v68, v68, v71
	s_delay_alu instid0(VALU_DEP_1) | instskip(NEXT) | instid1(VALU_DEP_1)
	v_add_f32_e32 v20, v20, v68
	v_add_f32_e32 v20, v64, v20
	s_delay_alu instid0(VALU_DEP_1) | instskip(NEXT) | instid1(VALU_DEP_1)
	v_add_f32_e32 v64, v80, v20
	v_mul_f32_e32 v66, v54, v64
	s_delay_alu instid0(VALU_DEP_1) | instskip(NEXT) | instid1(VALU_DEP_1)
	v_mul_f32_e32 v68, v67, v66
	v_fma_f32 v67, v66, v67, -v68
	s_delay_alu instid0(VALU_DEP_1) | instskip(SKIP_1) | instid1(VALU_DEP_2)
	v_fmac_f32_e32 v67, v66, v65
	v_sub_f32_e32 v71, v80, v64
	v_add_f32_e32 v65, v68, v67
	s_delay_alu instid0(VALU_DEP_2) | instskip(NEXT) | instid1(VALU_DEP_2)
	v_add_f32_e32 v20, v20, v71
	v_sub_f32_e32 v70, v64, v65
	v_sub_f32_e32 v68, v65, v68
	s_delay_alu instid0(VALU_DEP_2) | instskip(NEXT) | instid1(VALU_DEP_1)
	v_sub_f32_e32 v64, v64, v70
	v_sub_f32_e32 v64, v64, v65
	s_delay_alu instid0(VALU_DEP_3) | instskip(NEXT) | instid1(VALU_DEP_2)
	v_sub_f32_e32 v65, v68, v67
	v_add_f32_e32 v20, v20, v64
	v_add_f32_e32 v64, v69, v66
	s_delay_alu instid0(VALU_DEP_1) | instskip(NEXT) | instid1(VALU_DEP_1)
	v_dual_add_f32 v20, v65, v20 :: v_dual_sub_f32 v65, v64, v69
	v_add_f32_e32 v20, v70, v20
	s_delay_alu instid0(VALU_DEP_2) | instskip(NEXT) | instid1(VALU_DEP_2)
	v_sub_f32_e32 v65, v66, v65
	v_mul_f32_e32 v20, v54, v20
	s_delay_alu instid0(VALU_DEP_1) | instskip(NEXT) | instid1(VALU_DEP_1)
	v_add_f32_e32 v20, v65, v20
	v_add_f32_e32 v54, v64, v20
	s_delay_alu instid0(VALU_DEP_1) | instskip(NEXT) | instid1(VALU_DEP_1)
	v_mul_f32_e32 v65, v54, v54
	v_fmaak_f32 v66, s3, v65, 0x3ecc95a3
	v_mul_f32_e32 v67, v54, v65
	v_cmp_gt_f32_e64 s3, 0x33800000, |v21|
	s_delay_alu instid0(VALU_DEP_3) | instskip(SKIP_2) | instid1(VALU_DEP_4)
	v_fmaak_f32 v65, v65, v66, 0x3f2aaada
	v_ldexp_f32 v66, v54, 1
	v_sub_f32_e32 v54, v54, v64
	s_or_b32 vcc_lo, vcc_lo, s3
	s_delay_alu instid0(VALU_DEP_3) | instskip(NEXT) | instid1(VALU_DEP_2)
	v_mul_f32_e32 v65, v67, v65
	v_dual_mul_f32 v67, 0x3f317218, v19 :: v_dual_sub_f32 v20, v20, v54
	s_delay_alu instid0(VALU_DEP_2) | instskip(NEXT) | instid1(VALU_DEP_2)
	v_add_f32_e32 v64, v66, v65
	v_ldexp_f32 v20, v20, 1
	s_delay_alu instid0(VALU_DEP_2) | instskip(NEXT) | instid1(VALU_DEP_4)
	v_sub_f32_e32 v54, v64, v66
	v_fma_f32 v66, 0x3f317218, v19, -v67
	s_delay_alu instid0(VALU_DEP_1) | instskip(NEXT) | instid1(VALU_DEP_1)
	v_dual_sub_f32 v54, v65, v54 :: v_dual_fmamk_f32 v19, v19, 0xb102e308, v66
	v_add_f32_e32 v20, v20, v54
	s_delay_alu instid0(VALU_DEP_1) | instskip(NEXT) | instid1(VALU_DEP_1)
	v_dual_add_f32 v54, v67, v19 :: v_dual_add_f32 v65, v64, v20
	v_sub_f32_e32 v67, v54, v67
	s_delay_alu instid0(VALU_DEP_2) | instskip(NEXT) | instid1(VALU_DEP_2)
	v_add_f32_e32 v66, v54, v65
	v_dual_sub_f32 v64, v65, v64 :: v_dual_sub_f32 v19, v19, v67
	s_delay_alu instid0(VALU_DEP_2) | instskip(NEXT) | instid1(VALU_DEP_2)
	v_sub_f32_e32 v68, v66, v54
	v_sub_f32_e32 v20, v20, v64
	s_delay_alu instid0(VALU_DEP_2) | instskip(SKIP_1) | instid1(VALU_DEP_2)
	v_sub_f32_e32 v69, v66, v68
	v_sub_f32_e32 v64, v65, v68
	v_dual_add_f32 v65, v19, v20 :: v_dual_sub_f32 v54, v54, v69
	s_delay_alu instid0(VALU_DEP_1) | instskip(NEXT) | instid1(VALU_DEP_2)
	v_add_f32_e32 v54, v64, v54
	v_sub_f32_e32 v64, v65, v19
	s_delay_alu instid0(VALU_DEP_2) | instskip(NEXT) | instid1(VALU_DEP_2)
	v_add_f32_e32 v54, v65, v54
	v_sub_f32_e32 v65, v65, v64
	s_delay_alu instid0(VALU_DEP_2) | instskip(NEXT) | instid1(VALU_DEP_2)
	v_dual_sub_f32 v20, v20, v64 :: v_dual_add_f32 v67, v66, v54
	v_sub_f32_e32 v19, v19, v65
	s_delay_alu instid0(VALU_DEP_1) | instskip(NEXT) | instid1(VALU_DEP_1)
	v_dual_sub_f32 v64, v67, v66 :: v_dual_add_f32 v19, v20, v19
	v_sub_f32_e32 v20, v54, v64
	s_delay_alu instid0(VALU_DEP_1) | instskip(NEXT) | instid1(VALU_DEP_1)
	v_add_f32_e32 v19, v19, v20
	v_add_f32_e32 v19, v67, v19
	s_delay_alu instid0(VALU_DEP_1) | instskip(NEXT) | instid1(VALU_DEP_1)
	v_cndmask_b32_e32 v19, v19, v21, vcc_lo
	v_add_f32_e32 v19, v18, v19
.LBB501_51:
	s_or_b32 exec_lo, exec_lo, s2
	s_delay_alu instid0(VALU_DEP_1) | instskip(SKIP_1) | instid1(VALU_DEP_2)
	v_bfe_u32 v18, v19, 16, 1
	v_cmp_o_f32_e32 vcc_lo, v19, v19
	v_add3_u32 v18, v19, v18, 0x7fff
	s_delay_alu instid0(VALU_DEP_1) | instskip(NEXT) | instid1(VALU_DEP_1)
	v_and_b32_e32 v18, 0xffff0000, v18
	v_dual_cndmask_b32 v19, 0x7fc00000, v18 :: v_dual_lshlrev_b32 v54, 16, v53
	s_delay_alu instid0(VALU_DEP_1) | instskip(SKIP_1) | instid1(VALU_DEP_3)
	v_max_f32_e32 v66, v54, v54
	v_cmp_u_f32_e64 s2, v54, v54
	v_max_f32_e32 v18, v19, v19
	v_cmp_u_f32_e32 vcc_lo, v19, v19
	s_delay_alu instid0(VALU_DEP_2) | instskip(SKIP_1) | instid1(VALU_DEP_2)
	v_min_f32_e32 v20, v18, v66
	v_max_f32_e32 v18, v18, v66
	v_cndmask_b32_e32 v20, v20, v19, vcc_lo
	s_delay_alu instid0(VALU_DEP_2) | instskip(NEXT) | instid1(VALU_DEP_2)
	v_cndmask_b32_e32 v18, v18, v19, vcc_lo
	v_cndmask_b32_e64 v20, v20, v54, s2
	s_delay_alu instid0(VALU_DEP_2) | instskip(NEXT) | instid1(VALU_DEP_2)
	v_cndmask_b32_e64 v18, v18, v54, s2
	v_cmp_class_f32_e64 s3, v20, 0x1f8
	s_delay_alu instid0(VALU_DEP_2) | instskip(NEXT) | instid1(VALU_DEP_2)
	v_cmp_neq_f32_e32 vcc_lo, v20, v18
	s_or_b32 s4, vcc_lo, s3
	s_delay_alu instid0(SALU_CYCLE_1)
	s_and_saveexec_b32 s3, s4
	s_cbranch_execz .LBB501_53
; %bb.52:
	v_sub_f32_e32 v19, v20, v18
	s_mov_b32 s4, 0x3e9b6dac
	s_delay_alu instid0(VALU_DEP_1) | instskip(SKIP_1) | instid1(VALU_DEP_2)
	v_mul_f32_e32 v20, 0x3fb8aa3b, v19
	v_cmp_ngt_f32_e32 vcc_lo, 0xc2ce8ed0, v19
	v_fma_f32 v21, 0x3fb8aa3b, v19, -v20
	v_rndne_f32_e32 v64, v20
	s_delay_alu instid0(VALU_DEP_1) | instskip(NEXT) | instid1(VALU_DEP_1)
	v_dual_fmamk_f32 v21, v19, 0x32a5705f, v21 :: v_dual_sub_f32 v20, v20, v64
	v_add_f32_e32 v20, v20, v21
	v_cvt_i32_f32_e32 v21, v64
	s_delay_alu instid0(VALU_DEP_2) | instskip(SKIP_2) | instid1(VALU_DEP_1)
	v_exp_f32_e32 v20, v20
	s_waitcnt_depctr 0xfff
	v_ldexp_f32 v20, v20, v21
	v_cndmask_b32_e32 v20, 0, v20, vcc_lo
	v_cmp_nlt_f32_e32 vcc_lo, 0x42b17218, v19
	s_delay_alu instid0(VALU_DEP_2) | instskip(NEXT) | instid1(VALU_DEP_1)
	v_cndmask_b32_e32 v21, 0x7f800000, v20, vcc_lo
	v_add_f32_e32 v64, 1.0, v21
	s_delay_alu instid0(VALU_DEP_1) | instskip(NEXT) | instid1(VALU_DEP_1)
	v_cvt_f64_f32_e32 v[19:20], v64
	v_frexp_exp_i32_f64_e32 v19, v[19:20]
	v_frexp_mant_f32_e32 v20, v64
	s_delay_alu instid0(VALU_DEP_1) | instskip(SKIP_1) | instid1(VALU_DEP_1)
	v_cmp_gt_f32_e32 vcc_lo, 0x3f2aaaab, v20
	v_add_f32_e32 v20, -1.0, v64
	v_sub_f32_e32 v67, v20, v64
	s_delay_alu instid0(VALU_DEP_1) | instskip(NEXT) | instid1(VALU_DEP_1)
	v_dual_sub_f32 v20, v21, v20 :: v_dual_add_f32 v67, 1.0, v67
	v_add_f32_e32 v20, v20, v67
	v_subrev_co_ci_u32_e32 v19, vcc_lo, 0, v19, vcc_lo
	v_cmp_eq_f32_e32 vcc_lo, 0x7f800000, v21
	s_delay_alu instid0(VALU_DEP_2) | instskip(SKIP_1) | instid1(VALU_DEP_2)
	v_sub_nc_u32_e32 v65, 0, v19
	v_cvt_f32_i32_e32 v19, v19
	v_ldexp_f32 v64, v64, v65
	v_ldexp_f32 v20, v20, v65
	s_delay_alu instid0(VALU_DEP_2) | instskip(NEXT) | instid1(VALU_DEP_1)
	v_add_f32_e32 v65, -1.0, v64
	v_dual_add_f32 v68, 1.0, v64 :: v_dual_add_f32 v69, 1.0, v65
	s_delay_alu instid0(VALU_DEP_1) | instskip(NEXT) | instid1(VALU_DEP_1)
	v_add_f32_e32 v67, -1.0, v68
	v_sub_f32_e32 v67, v64, v67
	s_delay_alu instid0(VALU_DEP_3) | instskip(NEXT) | instid1(VALU_DEP_2)
	v_sub_f32_e32 v64, v64, v69
	v_add_f32_e32 v67, v20, v67
	s_delay_alu instid0(VALU_DEP_2) | instskip(NEXT) | instid1(VALU_DEP_1)
	v_add_f32_e32 v20, v20, v64
	v_add_f32_e32 v70, v65, v20
	s_delay_alu instid0(VALU_DEP_1) | instskip(NEXT) | instid1(VALU_DEP_4)
	v_sub_f32_e32 v65, v65, v70
	v_add_f32_e32 v69, v68, v67
	s_delay_alu instid0(VALU_DEP_1) | instskip(SKIP_1) | instid1(VALU_DEP_1)
	v_rcp_f32_e32 v64, v69
	v_sub_f32_e32 v68, v68, v69
	v_add_f32_e32 v67, v67, v68
	s_waitcnt_depctr 0xfff
	v_mul_f32_e32 v71, v70, v64
	s_delay_alu instid0(VALU_DEP_1) | instskip(NEXT) | instid1(VALU_DEP_1)
	v_mul_f32_e32 v80, v69, v71
	v_fma_f32 v68, v71, v69, -v80
	s_delay_alu instid0(VALU_DEP_1) | instskip(SKIP_1) | instid1(VALU_DEP_2)
	v_fmac_f32_e32 v68, v71, v67
	v_add_f32_e32 v20, v20, v65
	v_add_f32_e32 v81, v80, v68
	s_delay_alu instid0(VALU_DEP_1) | instskip(NEXT) | instid1(VALU_DEP_1)
	v_dual_sub_f32 v82, v70, v81 :: v_dual_sub_f32 v65, v81, v80
	v_dual_sub_f32 v70, v70, v82 :: v_dual_sub_f32 v65, v65, v68
	s_delay_alu instid0(VALU_DEP_1) | instskip(NEXT) | instid1(VALU_DEP_1)
	v_sub_f32_e32 v70, v70, v81
	v_add_f32_e32 v20, v20, v70
	s_delay_alu instid0(VALU_DEP_1) | instskip(NEXT) | instid1(VALU_DEP_1)
	v_add_f32_e32 v20, v65, v20
	v_add_f32_e32 v65, v82, v20
	s_delay_alu instid0(VALU_DEP_1) | instskip(NEXT) | instid1(VALU_DEP_1)
	v_mul_f32_e32 v68, v64, v65
	v_dual_sub_f32 v81, v82, v65 :: v_dual_mul_f32 v70, v69, v68
	s_delay_alu instid0(VALU_DEP_1) | instskip(NEXT) | instid1(VALU_DEP_1)
	v_fma_f32 v69, v68, v69, -v70
	v_fmac_f32_e32 v69, v68, v67
	s_delay_alu instid0(VALU_DEP_1) | instskip(NEXT) | instid1(VALU_DEP_1)
	v_add_f32_e32 v67, v70, v69
	v_sub_f32_e32 v80, v65, v67
	s_delay_alu instid0(VALU_DEP_1) | instskip(NEXT) | instid1(VALU_DEP_1)
	v_dual_sub_f32 v70, v67, v70 :: v_dual_sub_f32 v65, v65, v80
	v_sub_f32_e32 v65, v65, v67
	s_delay_alu instid0(VALU_DEP_2) | instskip(SKIP_1) | instid1(VALU_DEP_1)
	v_sub_f32_e32 v67, v70, v69
	v_add_f32_e32 v20, v20, v81
	v_dual_add_f32 v20, v20, v65 :: v_dual_add_f32 v65, v71, v68
	s_delay_alu instid0(VALU_DEP_1) | instskip(NEXT) | instid1(VALU_DEP_1)
	v_dual_add_f32 v20, v67, v20 :: v_dual_sub_f32 v67, v65, v71
	v_add_f32_e32 v20, v80, v20
	s_delay_alu instid0(VALU_DEP_2) | instskip(NEXT) | instid1(VALU_DEP_2)
	v_sub_f32_e32 v67, v68, v67
	v_mul_f32_e32 v20, v64, v20
	s_delay_alu instid0(VALU_DEP_1) | instskip(NEXT) | instid1(VALU_DEP_1)
	v_add_f32_e32 v20, v67, v20
	v_add_f32_e32 v64, v65, v20
	s_delay_alu instid0(VALU_DEP_1) | instskip(NEXT) | instid1(VALU_DEP_1)
	v_mul_f32_e32 v67, v64, v64
	v_fmaak_f32 v68, s4, v67, 0x3ecc95a3
	v_mul_f32_e32 v69, v64, v67
	v_cmp_gt_f32_e64 s4, 0x33800000, |v21|
	s_delay_alu instid0(VALU_DEP_3) | instskip(SKIP_2) | instid1(VALU_DEP_4)
	v_fmaak_f32 v67, v67, v68, 0x3f2aaada
	v_ldexp_f32 v68, v64, 1
	v_sub_f32_e32 v64, v64, v65
	s_or_b32 vcc_lo, vcc_lo, s4
	s_delay_alu instid0(VALU_DEP_3) | instskip(SKIP_1) | instid1(VALU_DEP_2)
	v_mul_f32_e32 v67, v69, v67
	v_mul_f32_e32 v69, 0x3f317218, v19
	v_add_f32_e32 v65, v68, v67
	v_sub_f32_e32 v20, v20, v64
	s_delay_alu instid0(VALU_DEP_2) | instskip(NEXT) | instid1(VALU_DEP_4)
	v_sub_f32_e32 v64, v65, v68
	v_fma_f32 v68, 0x3f317218, v19, -v69
	s_delay_alu instid0(VALU_DEP_3) | instskip(NEXT) | instid1(VALU_DEP_3)
	v_ldexp_f32 v20, v20, 1
	v_sub_f32_e32 v64, v67, v64
	s_delay_alu instid0(VALU_DEP_1) | instskip(NEXT) | instid1(VALU_DEP_1)
	v_dual_fmamk_f32 v19, v19, 0xb102e308, v68 :: v_dual_add_f32 v20, v20, v64
	v_add_f32_e32 v64, v69, v19
	s_delay_alu instid0(VALU_DEP_1) | instskip(NEXT) | instid1(VALU_DEP_1)
	v_sub_f32_e32 v69, v64, v69
	v_sub_f32_e32 v19, v19, v69
	s_delay_alu instid0(VALU_DEP_4) | instskip(NEXT) | instid1(VALU_DEP_1)
	v_add_f32_e32 v67, v65, v20
	v_dual_add_f32 v68, v64, v67 :: v_dual_sub_f32 v65, v67, v65
	s_delay_alu instid0(VALU_DEP_1) | instskip(NEXT) | instid1(VALU_DEP_1)
	v_sub_f32_e32 v70, v68, v64
	v_dual_sub_f32 v20, v20, v65 :: v_dual_sub_f32 v65, v67, v70
	v_sub_f32_e32 v71, v68, v70
	s_delay_alu instid0(VALU_DEP_1) | instskip(NEXT) | instid1(VALU_DEP_1)
	v_dual_add_f32 v67, v19, v20 :: v_dual_sub_f32 v64, v64, v71
	v_dual_add_f32 v64, v65, v64 :: v_dual_sub_f32 v65, v67, v19
	s_delay_alu instid0(VALU_DEP_1) | instskip(NEXT) | instid1(VALU_DEP_2)
	v_add_f32_e32 v64, v67, v64
	v_sub_f32_e32 v67, v67, v65
	s_delay_alu instid0(VALU_DEP_2) | instskip(NEXT) | instid1(VALU_DEP_2)
	v_add_f32_e32 v69, v68, v64
	v_dual_sub_f32 v19, v19, v67 :: v_dual_sub_f32 v20, v20, v65
	s_delay_alu instid0(VALU_DEP_2) | instskip(NEXT) | instid1(VALU_DEP_2)
	v_sub_f32_e32 v65, v69, v68
	v_add_f32_e32 v19, v20, v19
	s_delay_alu instid0(VALU_DEP_2) | instskip(NEXT) | instid1(VALU_DEP_1)
	v_sub_f32_e32 v20, v64, v65
	v_add_f32_e32 v19, v19, v20
	s_delay_alu instid0(VALU_DEP_1) | instskip(NEXT) | instid1(VALU_DEP_1)
	v_add_f32_e32 v19, v69, v19
	v_cndmask_b32_e32 v19, v19, v21, vcc_lo
	s_delay_alu instid0(VALU_DEP_1)
	v_add_f32_e32 v19, v18, v19
.LBB501_53:
	s_or_b32 exec_lo, exec_lo, s3
	s_delay_alu instid0(VALU_DEP_1) | instskip(SKIP_1) | instid1(VALU_DEP_2)
	v_bfe_u32 v18, v19, 16, 1
	v_cmp_o_f32_e32 vcc_lo, v19, v19
	v_add3_u32 v18, v19, v18, 0x7fff
	s_delay_alu instid0(VALU_DEP_1) | instskip(NEXT) | instid1(VALU_DEP_1)
	v_and_b32_e32 v18, 0xffff0000, v18
	v_dual_cndmask_b32 v19, 0x7fc00000, v18 :: v_dual_lshlrev_b32 v64, 16, v52
	s_delay_alu instid0(VALU_DEP_1) | instskip(SKIP_1) | instid1(VALU_DEP_3)
	v_max_f32_e32 v68, v64, v64
	v_cmp_u_f32_e64 s3, v64, v64
	v_max_f32_e32 v18, v19, v19
	v_cmp_u_f32_e32 vcc_lo, v19, v19
	s_delay_alu instid0(VALU_DEP_2) | instskip(SKIP_1) | instid1(VALU_DEP_2)
	v_min_f32_e32 v20, v18, v68
	v_max_f32_e32 v18, v18, v68
	v_cndmask_b32_e32 v20, v20, v19, vcc_lo
	s_delay_alu instid0(VALU_DEP_2) | instskip(NEXT) | instid1(VALU_DEP_2)
	v_cndmask_b32_e32 v18, v18, v19, vcc_lo
	v_cndmask_b32_e64 v20, v20, v64, s3
	s_delay_alu instid0(VALU_DEP_2) | instskip(NEXT) | instid1(VALU_DEP_2)
	v_cndmask_b32_e64 v18, v18, v64, s3
	v_cmp_class_f32_e64 s4, v20, 0x1f8
	s_delay_alu instid0(VALU_DEP_2) | instskip(NEXT) | instid1(VALU_DEP_2)
	v_cmp_neq_f32_e32 vcc_lo, v20, v18
	s_or_b32 s5, vcc_lo, s4
	s_delay_alu instid0(SALU_CYCLE_1)
	s_and_saveexec_b32 s4, s5
	s_cbranch_execz .LBB501_55
; %bb.54:
	v_sub_f32_e32 v19, v20, v18
	s_mov_b32 s5, 0x3e9b6dac
	s_delay_alu instid0(VALU_DEP_1) | instskip(SKIP_1) | instid1(VALU_DEP_2)
	v_mul_f32_e32 v20, 0x3fb8aa3b, v19
	v_cmp_ngt_f32_e32 vcc_lo, 0xc2ce8ed0, v19
	v_fma_f32 v21, 0x3fb8aa3b, v19, -v20
	v_rndne_f32_e32 v65, v20
	s_delay_alu instid0(VALU_DEP_1) | instskip(NEXT) | instid1(VALU_DEP_1)
	v_dual_fmamk_f32 v21, v19, 0x32a5705f, v21 :: v_dual_sub_f32 v20, v20, v65
	v_add_f32_e32 v20, v20, v21
	v_cvt_i32_f32_e32 v21, v65
	s_delay_alu instid0(VALU_DEP_2) | instskip(SKIP_2) | instid1(VALU_DEP_1)
	v_exp_f32_e32 v20, v20
	s_waitcnt_depctr 0xfff
	v_ldexp_f32 v20, v20, v21
	v_cndmask_b32_e32 v20, 0, v20, vcc_lo
	v_cmp_nlt_f32_e32 vcc_lo, 0x42b17218, v19
	s_delay_alu instid0(VALU_DEP_2) | instskip(NEXT) | instid1(VALU_DEP_1)
	v_cndmask_b32_e32 v21, 0x7f800000, v20, vcc_lo
	v_add_f32_e32 v65, 1.0, v21
	s_delay_alu instid0(VALU_DEP_1) | instskip(NEXT) | instid1(VALU_DEP_1)
	v_cvt_f64_f32_e32 v[19:20], v65
	v_frexp_exp_i32_f64_e32 v19, v[19:20]
	v_frexp_mant_f32_e32 v20, v65
	s_delay_alu instid0(VALU_DEP_1) | instskip(SKIP_1) | instid1(VALU_DEP_1)
	v_cmp_gt_f32_e32 vcc_lo, 0x3f2aaaab, v20
	v_add_f32_e32 v20, -1.0, v65
	v_dual_sub_f32 v69, v20, v65 :: v_dual_sub_f32 v20, v21, v20
	s_delay_alu instid0(VALU_DEP_1) | instskip(SKIP_2) | instid1(VALU_DEP_2)
	v_add_f32_e32 v69, 1.0, v69
	v_subrev_co_ci_u32_e32 v19, vcc_lo, 0, v19, vcc_lo
	v_cmp_eq_f32_e32 vcc_lo, 0x7f800000, v21
	v_sub_nc_u32_e32 v67, 0, v19
	v_cvt_f32_i32_e32 v19, v19
	s_delay_alu instid0(VALU_DEP_2) | instskip(SKIP_1) | instid1(VALU_DEP_1)
	v_ldexp_f32 v65, v65, v67
	v_add_f32_e32 v20, v20, v69
	v_ldexp_f32 v20, v20, v67
	s_delay_alu instid0(VALU_DEP_3) | instskip(NEXT) | instid1(VALU_DEP_1)
	v_add_f32_e32 v67, -1.0, v65
	v_dual_add_f32 v70, 1.0, v65 :: v_dual_add_f32 v71, 1.0, v67
	s_delay_alu instid0(VALU_DEP_1) | instskip(NEXT) | instid1(VALU_DEP_1)
	v_add_f32_e32 v69, -1.0, v70
	v_sub_f32_e32 v69, v65, v69
	s_delay_alu instid0(VALU_DEP_3) | instskip(NEXT) | instid1(VALU_DEP_2)
	v_sub_f32_e32 v65, v65, v71
	v_add_f32_e32 v69, v20, v69
	s_delay_alu instid0(VALU_DEP_1) | instskip(NEXT) | instid1(VALU_DEP_1)
	v_add_f32_e32 v71, v70, v69
	v_sub_f32_e32 v70, v70, v71
	s_delay_alu instid0(VALU_DEP_4) | instskip(SKIP_1) | instid1(VALU_DEP_1)
	v_add_f32_e32 v20, v20, v65
	v_rcp_f32_e32 v65, v71
	v_dual_add_f32 v69, v69, v70 :: v_dual_add_f32 v80, v67, v20
	s_delay_alu instid0(VALU_DEP_1) | instskip(SKIP_3) | instid1(VALU_DEP_2)
	v_sub_f32_e32 v67, v67, v80
	s_waitcnt_depctr 0xfff
	v_mul_f32_e32 v81, v80, v65
	v_add_f32_e32 v20, v20, v67
	v_mul_f32_e32 v82, v71, v81
	s_delay_alu instid0(VALU_DEP_1) | instskip(NEXT) | instid1(VALU_DEP_1)
	v_fma_f32 v70, v81, v71, -v82
	v_fmac_f32_e32 v70, v81, v69
	s_delay_alu instid0(VALU_DEP_1) | instskip(NEXT) | instid1(VALU_DEP_1)
	v_add_f32_e32 v83, v82, v70
	v_sub_f32_e32 v84, v80, v83
	s_delay_alu instid0(VALU_DEP_1) | instskip(NEXT) | instid1(VALU_DEP_1)
	v_dual_sub_f32 v80, v80, v84 :: v_dual_sub_f32 v67, v83, v82
	v_dual_sub_f32 v80, v80, v83 :: v_dual_sub_f32 v67, v67, v70
	s_delay_alu instid0(VALU_DEP_1) | instskip(NEXT) | instid1(VALU_DEP_1)
	v_add_f32_e32 v20, v20, v80
	v_add_f32_e32 v20, v67, v20
	s_delay_alu instid0(VALU_DEP_1) | instskip(NEXT) | instid1(VALU_DEP_1)
	v_add_f32_e32 v67, v84, v20
	v_mul_f32_e32 v70, v65, v67
	s_delay_alu instid0(VALU_DEP_1) | instskip(NEXT) | instid1(VALU_DEP_1)
	v_dual_sub_f32 v83, v84, v67 :: v_dual_mul_f32 v80, v71, v70
	v_add_f32_e32 v20, v20, v83
	s_delay_alu instid0(VALU_DEP_2) | instskip(NEXT) | instid1(VALU_DEP_1)
	v_fma_f32 v71, v70, v71, -v80
	v_fmac_f32_e32 v71, v70, v69
	s_delay_alu instid0(VALU_DEP_1) | instskip(NEXT) | instid1(VALU_DEP_1)
	v_add_f32_e32 v69, v80, v71
	v_sub_f32_e32 v82, v67, v69
	s_delay_alu instid0(VALU_DEP_1) | instskip(NEXT) | instid1(VALU_DEP_1)
	v_dual_sub_f32 v67, v67, v82 :: v_dual_sub_f32 v80, v69, v80
	v_sub_f32_e32 v67, v67, v69
	s_delay_alu instid0(VALU_DEP_2) | instskip(NEXT) | instid1(VALU_DEP_2)
	v_sub_f32_e32 v69, v80, v71
	v_dual_add_f32 v20, v20, v67 :: v_dual_add_f32 v67, v81, v70
	s_delay_alu instid0(VALU_DEP_1) | instskip(NEXT) | instid1(VALU_DEP_1)
	v_dual_add_f32 v20, v69, v20 :: v_dual_sub_f32 v69, v67, v81
	v_add_f32_e32 v20, v82, v20
	s_delay_alu instid0(VALU_DEP_1) | instskip(NEXT) | instid1(VALU_DEP_1)
	v_dual_sub_f32 v69, v70, v69 :: v_dual_mul_f32 v20, v65, v20
	v_add_f32_e32 v20, v69, v20
	s_delay_alu instid0(VALU_DEP_1) | instskip(NEXT) | instid1(VALU_DEP_1)
	v_add_f32_e32 v65, v67, v20
	v_mul_f32_e32 v69, v65, v65
	s_delay_alu instid0(VALU_DEP_1) | instskip(SKIP_2) | instid1(VALU_DEP_3)
	v_fmaak_f32 v70, s5, v69, 0x3ecc95a3
	v_mul_f32_e32 v71, v65, v69
	v_cmp_gt_f32_e64 s5, 0x33800000, |v21|
	v_fmaak_f32 v69, v69, v70, 0x3f2aaada
	v_ldexp_f32 v70, v65, 1
	v_sub_f32_e32 v65, v65, v67
	s_delay_alu instid0(VALU_DEP_4) | instskip(NEXT) | instid1(VALU_DEP_3)
	s_or_b32 vcc_lo, vcc_lo, s5
	v_mul_f32_e32 v69, v71, v69
	s_delay_alu instid0(VALU_DEP_2) | instskip(NEXT) | instid1(VALU_DEP_2)
	v_sub_f32_e32 v20, v20, v65
	v_add_f32_e32 v67, v70, v69
	s_delay_alu instid0(VALU_DEP_2) | instskip(NEXT) | instid1(VALU_DEP_2)
	v_ldexp_f32 v20, v20, 1
	v_sub_f32_e32 v65, v67, v70
	s_delay_alu instid0(VALU_DEP_1) | instskip(NEXT) | instid1(VALU_DEP_1)
	v_sub_f32_e32 v65, v69, v65
	v_dual_mul_f32 v71, 0x3f317218, v19 :: v_dual_add_f32 v20, v20, v65
	s_delay_alu instid0(VALU_DEP_1) | instskip(NEXT) | instid1(VALU_DEP_2)
	v_fma_f32 v70, 0x3f317218, v19, -v71
	v_add_f32_e32 v69, v67, v20
	s_delay_alu instid0(VALU_DEP_2) | instskip(NEXT) | instid1(VALU_DEP_1)
	v_fmamk_f32 v19, v19, 0xb102e308, v70
	v_add_f32_e32 v65, v71, v19
	s_delay_alu instid0(VALU_DEP_1) | instskip(NEXT) | instid1(VALU_DEP_1)
	v_add_f32_e32 v70, v65, v69
	v_dual_sub_f32 v71, v65, v71 :: v_dual_sub_f32 v80, v70, v65
	v_sub_f32_e32 v67, v69, v67
	s_delay_alu instid0(VALU_DEP_2) | instskip(NEXT) | instid1(VALU_DEP_2)
	v_sub_f32_e32 v19, v19, v71
	v_dual_sub_f32 v81, v70, v80 :: v_dual_sub_f32 v20, v20, v67
	v_sub_f32_e32 v67, v69, v80
	s_delay_alu instid0(VALU_DEP_2) | instskip(NEXT) | instid1(VALU_DEP_3)
	v_sub_f32_e32 v65, v65, v81
	v_add_f32_e32 v69, v19, v20
	s_delay_alu instid0(VALU_DEP_2) | instskip(NEXT) | instid1(VALU_DEP_2)
	v_add_f32_e32 v65, v67, v65
	v_sub_f32_e32 v67, v69, v19
	s_delay_alu instid0(VALU_DEP_2) | instskip(NEXT) | instid1(VALU_DEP_2)
	v_add_f32_e32 v65, v69, v65
	v_sub_f32_e32 v69, v69, v67
	s_delay_alu instid0(VALU_DEP_2) | instskip(NEXT) | instid1(VALU_DEP_2)
	v_dual_sub_f32 v20, v20, v67 :: v_dual_add_f32 v71, v70, v65
	v_sub_f32_e32 v19, v19, v69
	s_delay_alu instid0(VALU_DEP_2) | instskip(NEXT) | instid1(VALU_DEP_2)
	v_sub_f32_e32 v67, v71, v70
	v_add_f32_e32 v19, v20, v19
	s_delay_alu instid0(VALU_DEP_2) | instskip(NEXT) | instid1(VALU_DEP_1)
	v_sub_f32_e32 v20, v65, v67
	v_add_f32_e32 v19, v19, v20
	s_delay_alu instid0(VALU_DEP_1) | instskip(NEXT) | instid1(VALU_DEP_1)
	v_add_f32_e32 v19, v71, v19
	v_cndmask_b32_e32 v19, v19, v21, vcc_lo
	s_delay_alu instid0(VALU_DEP_1)
	v_add_f32_e32 v19, v18, v19
.LBB501_55:
	s_or_b32 exec_lo, exec_lo, s4
	s_delay_alu instid0(VALU_DEP_1) | instskip(SKIP_1) | instid1(VALU_DEP_2)
	v_bfe_u32 v18, v19, 16, 1
	v_cmp_o_f32_e32 vcc_lo, v19, v19
	v_add3_u32 v18, v19, v18, 0x7fff
	s_delay_alu instid0(VALU_DEP_1) | instskip(NEXT) | instid1(VALU_DEP_1)
	v_and_b32_e32 v18, 0xffff0000, v18
	v_cndmask_b32_e32 v19, 0x7fc00000, v18, vcc_lo
	s_delay_alu instid0(VALU_DEP_1) | instskip(SKIP_1) | instid1(VALU_DEP_1)
	v_max_f32_e32 v18, v19, v19
	v_lshlrev_b32_e32 v65, 16, v51
	v_max_f32_e32 v70, v65, v65
	v_cmp_u_f32_e32 vcc_lo, v19, v19
	s_delay_alu instid0(VALU_DEP_2) | instskip(SKIP_2) | instid1(VALU_DEP_3)
	v_min_f32_e32 v20, v18, v70
	v_max_f32_e32 v18, v18, v70
	v_cmp_u_f32_e64 s4, v65, v65
	v_cndmask_b32_e32 v20, v20, v19, vcc_lo
	s_delay_alu instid0(VALU_DEP_3) | instskip(NEXT) | instid1(VALU_DEP_2)
	v_cndmask_b32_e32 v18, v18, v19, vcc_lo
	v_cndmask_b32_e64 v20, v20, v65, s4
	s_delay_alu instid0(VALU_DEP_2) | instskip(NEXT) | instid1(VALU_DEP_2)
	v_cndmask_b32_e64 v18, v18, v65, s4
	v_cmp_class_f32_e64 s5, v20, 0x1f8
	s_delay_alu instid0(VALU_DEP_2) | instskip(NEXT) | instid1(VALU_DEP_2)
	v_cmp_neq_f32_e32 vcc_lo, v20, v18
	s_or_b32 s6, vcc_lo, s5
	s_delay_alu instid0(SALU_CYCLE_1)
	s_and_saveexec_b32 s5, s6
	s_cbranch_execz .LBB501_57
; %bb.56:
	v_sub_f32_e32 v19, v20, v18
	s_mov_b32 s6, 0x3e9b6dac
	s_delay_alu instid0(VALU_DEP_1) | instskip(SKIP_1) | instid1(VALU_DEP_2)
	v_mul_f32_e32 v20, 0x3fb8aa3b, v19
	v_cmp_ngt_f32_e32 vcc_lo, 0xc2ce8ed0, v19
	v_fma_f32 v21, 0x3fb8aa3b, v19, -v20
	v_rndne_f32_e32 v67, v20
	s_delay_alu instid0(VALU_DEP_1) | instskip(NEXT) | instid1(VALU_DEP_1)
	v_dual_fmamk_f32 v21, v19, 0x32a5705f, v21 :: v_dual_sub_f32 v20, v20, v67
	v_add_f32_e32 v20, v20, v21
	v_cvt_i32_f32_e32 v21, v67
	s_delay_alu instid0(VALU_DEP_2) | instskip(SKIP_2) | instid1(VALU_DEP_1)
	v_exp_f32_e32 v20, v20
	s_waitcnt_depctr 0xfff
	v_ldexp_f32 v20, v20, v21
	v_cndmask_b32_e32 v20, 0, v20, vcc_lo
	v_cmp_nlt_f32_e32 vcc_lo, 0x42b17218, v19
	s_delay_alu instid0(VALU_DEP_2) | instskip(NEXT) | instid1(VALU_DEP_1)
	v_cndmask_b32_e32 v21, 0x7f800000, v20, vcc_lo
	v_add_f32_e32 v67, 1.0, v21
	s_delay_alu instid0(VALU_DEP_1) | instskip(NEXT) | instid1(VALU_DEP_1)
	v_cvt_f64_f32_e32 v[19:20], v67
	v_frexp_exp_i32_f64_e32 v19, v[19:20]
	v_frexp_mant_f32_e32 v20, v67
	s_delay_alu instid0(VALU_DEP_1) | instskip(SKIP_1) | instid1(VALU_DEP_1)
	v_cmp_gt_f32_e32 vcc_lo, 0x3f2aaaab, v20
	v_add_f32_e32 v20, -1.0, v67
	v_dual_sub_f32 v71, v20, v67 :: v_dual_sub_f32 v20, v21, v20
	s_delay_alu instid0(VALU_DEP_1) | instskip(NEXT) | instid1(VALU_DEP_1)
	v_add_f32_e32 v71, 1.0, v71
	v_add_f32_e32 v20, v20, v71
	v_subrev_co_ci_u32_e32 v19, vcc_lo, 0, v19, vcc_lo
	v_cmp_eq_f32_e32 vcc_lo, 0x7f800000, v21
	s_delay_alu instid0(VALU_DEP_2) | instskip(SKIP_1) | instid1(VALU_DEP_2)
	v_sub_nc_u32_e32 v69, 0, v19
	v_cvt_f32_i32_e32 v19, v19
	v_ldexp_f32 v67, v67, v69
	v_ldexp_f32 v20, v20, v69
	s_delay_alu instid0(VALU_DEP_2) | instskip(NEXT) | instid1(VALU_DEP_1)
	v_add_f32_e32 v69, -1.0, v67
	v_dual_add_f32 v80, 1.0, v67 :: v_dual_add_f32 v81, 1.0, v69
	s_delay_alu instid0(VALU_DEP_1) | instskip(NEXT) | instid1(VALU_DEP_1)
	v_add_f32_e32 v71, -1.0, v80
	v_sub_f32_e32 v71, v67, v71
	s_delay_alu instid0(VALU_DEP_3) | instskip(NEXT) | instid1(VALU_DEP_2)
	v_sub_f32_e32 v67, v67, v81
	v_add_f32_e32 v71, v20, v71
	s_delay_alu instid0(VALU_DEP_1) | instskip(NEXT) | instid1(VALU_DEP_1)
	v_add_f32_e32 v81, v80, v71
	v_sub_f32_e32 v80, v80, v81
	s_delay_alu instid0(VALU_DEP_4) | instskip(SKIP_1) | instid1(VALU_DEP_2)
	v_add_f32_e32 v20, v20, v67
	v_rcp_f32_e32 v67, v81
	v_add_f32_e32 v71, v71, v80
	s_delay_alu instid0(VALU_DEP_2) | instskip(NEXT) | instid1(VALU_DEP_1)
	v_add_f32_e32 v82, v69, v20
	v_sub_f32_e32 v69, v69, v82
	s_waitcnt_depctr 0xfff
	v_dual_mul_f32 v83, v82, v67 :: v_dual_add_f32 v20, v20, v69
	s_delay_alu instid0(VALU_DEP_1) | instskip(NEXT) | instid1(VALU_DEP_1)
	v_mul_f32_e32 v84, v81, v83
	v_fma_f32 v80, v83, v81, -v84
	s_delay_alu instid0(VALU_DEP_1) | instskip(NEXT) | instid1(VALU_DEP_1)
	v_fmac_f32_e32 v80, v83, v71
	v_add_f32_e32 v85, v84, v80
	s_delay_alu instid0(VALU_DEP_1) | instskip(NEXT) | instid1(VALU_DEP_1)
	v_dual_sub_f32 v86, v82, v85 :: v_dual_sub_f32 v69, v85, v84
	v_sub_f32_e32 v82, v82, v86
	s_delay_alu instid0(VALU_DEP_1) | instskip(NEXT) | instid1(VALU_DEP_1)
	v_dual_sub_f32 v82, v82, v85 :: v_dual_sub_f32 v69, v69, v80
	v_add_f32_e32 v20, v20, v82
	s_delay_alu instid0(VALU_DEP_1) | instskip(NEXT) | instid1(VALU_DEP_1)
	v_add_f32_e32 v20, v69, v20
	v_add_f32_e32 v69, v86, v20
	s_delay_alu instid0(VALU_DEP_1) | instskip(NEXT) | instid1(VALU_DEP_1)
	v_mul_f32_e32 v80, v67, v69
	v_dual_sub_f32 v85, v86, v69 :: v_dual_mul_f32 v82, v81, v80
	s_delay_alu instid0(VALU_DEP_1) | instskip(NEXT) | instid1(VALU_DEP_1)
	v_fma_f32 v81, v80, v81, -v82
	v_fmac_f32_e32 v81, v80, v71
	s_delay_alu instid0(VALU_DEP_3) | instskip(NEXT) | instid1(VALU_DEP_2)
	v_add_f32_e32 v20, v20, v85
	v_add_f32_e32 v71, v82, v81
	s_delay_alu instid0(VALU_DEP_1) | instskip(SKIP_1) | instid1(VALU_DEP_1)
	v_sub_f32_e32 v82, v71, v82
	v_sub_f32_e32 v84, v69, v71
	;; [unrolled: 1-line block ×3, first 2 shown]
	s_delay_alu instid0(VALU_DEP_1) | instskip(NEXT) | instid1(VALU_DEP_4)
	v_sub_f32_e32 v69, v69, v71
	v_sub_f32_e32 v71, v82, v81
	s_delay_alu instid0(VALU_DEP_2) | instskip(NEXT) | instid1(VALU_DEP_1)
	v_dual_add_f32 v20, v20, v69 :: v_dual_add_f32 v69, v83, v80
	v_dual_add_f32 v20, v71, v20 :: v_dual_sub_f32 v71, v69, v83
	s_delay_alu instid0(VALU_DEP_1) | instskip(NEXT) | instid1(VALU_DEP_1)
	v_add_f32_e32 v20, v84, v20
	v_dual_sub_f32 v71, v80, v71 :: v_dual_mul_f32 v20, v67, v20
	s_delay_alu instid0(VALU_DEP_1) | instskip(NEXT) | instid1(VALU_DEP_1)
	v_add_f32_e32 v20, v71, v20
	v_add_f32_e32 v67, v69, v20
	s_delay_alu instid0(VALU_DEP_1) | instskip(NEXT) | instid1(VALU_DEP_1)
	v_mul_f32_e32 v71, v67, v67
	v_fmaak_f32 v80, s6, v71, 0x3ecc95a3
	v_mul_f32_e32 v81, v67, v71
	v_cmp_gt_f32_e64 s6, 0x33800000, |v21|
	s_delay_alu instid0(VALU_DEP_3) | instskip(SKIP_2) | instid1(VALU_DEP_4)
	v_fmaak_f32 v71, v71, v80, 0x3f2aaada
	v_ldexp_f32 v80, v67, 1
	v_sub_f32_e32 v67, v67, v69
	s_or_b32 vcc_lo, vcc_lo, s6
	s_delay_alu instid0(VALU_DEP_3) | instskip(SKIP_1) | instid1(VALU_DEP_3)
	v_mul_f32_e32 v71, v81, v71
	v_mul_f32_e32 v81, 0x3f317218, v19
	v_sub_f32_e32 v20, v20, v67
	s_delay_alu instid0(VALU_DEP_3) | instskip(NEXT) | instid1(VALU_DEP_2)
	v_add_f32_e32 v69, v80, v71
	v_ldexp_f32 v20, v20, 1
	s_delay_alu instid0(VALU_DEP_2) | instskip(SKIP_1) | instid1(VALU_DEP_2)
	v_sub_f32_e32 v67, v69, v80
	v_fma_f32 v80, 0x3f317218, v19, -v81
	v_sub_f32_e32 v67, v71, v67
	s_delay_alu instid0(VALU_DEP_1) | instskip(NEXT) | instid1(VALU_DEP_1)
	v_dual_fmamk_f32 v19, v19, 0xb102e308, v80 :: v_dual_add_f32 v20, v20, v67
	v_add_f32_e32 v67, v81, v19
	s_delay_alu instid0(VALU_DEP_2) | instskip(NEXT) | instid1(VALU_DEP_2)
	v_add_f32_e32 v71, v69, v20
	v_sub_f32_e32 v81, v67, v81
	s_delay_alu instid0(VALU_DEP_2) | instskip(NEXT) | instid1(VALU_DEP_1)
	v_add_f32_e32 v80, v67, v71
	v_dual_sub_f32 v19, v19, v81 :: v_dual_sub_f32 v82, v80, v67
	v_sub_f32_e32 v69, v71, v69
	s_delay_alu instid0(VALU_DEP_2) | instskip(NEXT) | instid1(VALU_DEP_2)
	v_sub_f32_e32 v83, v80, v82
	v_dual_sub_f32 v20, v20, v69 :: v_dual_sub_f32 v69, v71, v82
	s_delay_alu instid0(VALU_DEP_2) | instskip(NEXT) | instid1(VALU_DEP_2)
	v_sub_f32_e32 v67, v67, v83
	v_add_f32_e32 v71, v19, v20
	s_delay_alu instid0(VALU_DEP_2) | instskip(NEXT) | instid1(VALU_DEP_2)
	v_add_f32_e32 v67, v69, v67
	v_sub_f32_e32 v69, v71, v19
	s_delay_alu instid0(VALU_DEP_2) | instskip(NEXT) | instid1(VALU_DEP_2)
	v_add_f32_e32 v67, v71, v67
	v_sub_f32_e32 v71, v71, v69
	v_sub_f32_e32 v20, v20, v69
	s_delay_alu instid0(VALU_DEP_3) | instskip(NEXT) | instid1(VALU_DEP_3)
	v_add_f32_e32 v81, v80, v67
	v_sub_f32_e32 v19, v19, v71
	s_delay_alu instid0(VALU_DEP_2) | instskip(NEXT) | instid1(VALU_DEP_1)
	v_sub_f32_e32 v69, v81, v80
	v_dual_add_f32 v19, v20, v19 :: v_dual_sub_f32 v20, v67, v69
	s_delay_alu instid0(VALU_DEP_1) | instskip(NEXT) | instid1(VALU_DEP_1)
	v_add_f32_e32 v19, v19, v20
	v_add_f32_e32 v19, v81, v19
	s_delay_alu instid0(VALU_DEP_1) | instskip(NEXT) | instid1(VALU_DEP_1)
	v_cndmask_b32_e32 v19, v19, v21, vcc_lo
	v_add_f32_e32 v19, v18, v19
.LBB501_57:
	s_or_b32 exec_lo, exec_lo, s5
	s_delay_alu instid0(VALU_DEP_1) | instskip(SKIP_1) | instid1(VALU_DEP_2)
	v_bfe_u32 v18, v19, 16, 1
	v_cmp_o_f32_e32 vcc_lo, v19, v19
	v_add3_u32 v18, v19, v18, 0x7fff
	s_delay_alu instid0(VALU_DEP_1) | instskip(NEXT) | instid1(VALU_DEP_1)
	v_and_b32_e32 v18, 0xffff0000, v18
	v_cndmask_b32_e32 v19, 0x7fc00000, v18, vcc_lo
	s_delay_alu instid0(VALU_DEP_1) | instskip(NEXT) | instid1(VALU_DEP_1)
	v_dual_max_f32 v18, v19, v19 :: v_dual_lshlrev_b32 v67, 16, v50
	v_max_f32_e32 v80, v67, v67
	v_cmp_u_f32_e32 vcc_lo, v19, v19
	v_cmp_u_f32_e64 s5, v67, v67
	s_delay_alu instid0(VALU_DEP_3) | instskip(SKIP_1) | instid1(VALU_DEP_2)
	v_min_f32_e32 v20, v18, v80
	v_max_f32_e32 v18, v18, v80
	v_cndmask_b32_e32 v20, v20, v19, vcc_lo
	s_delay_alu instid0(VALU_DEP_2) | instskip(NEXT) | instid1(VALU_DEP_2)
	v_cndmask_b32_e32 v18, v18, v19, vcc_lo
	v_cndmask_b32_e64 v20, v20, v67, s5
	s_delay_alu instid0(VALU_DEP_2) | instskip(NEXT) | instid1(VALU_DEP_2)
	v_cndmask_b32_e64 v18, v18, v67, s5
	v_cmp_class_f32_e64 s6, v20, 0x1f8
	s_delay_alu instid0(VALU_DEP_2) | instskip(NEXT) | instid1(VALU_DEP_2)
	v_cmp_neq_f32_e32 vcc_lo, v20, v18
	s_or_b32 s7, vcc_lo, s6
	s_delay_alu instid0(SALU_CYCLE_1)
	s_and_saveexec_b32 s6, s7
	s_cbranch_execz .LBB501_59
; %bb.58:
	v_sub_f32_e32 v19, v20, v18
	s_mov_b32 s7, 0x3e9b6dac
	s_delay_alu instid0(VALU_DEP_1) | instskip(SKIP_1) | instid1(VALU_DEP_2)
	v_mul_f32_e32 v20, 0x3fb8aa3b, v19
	v_cmp_ngt_f32_e32 vcc_lo, 0xc2ce8ed0, v19
	v_fma_f32 v21, 0x3fb8aa3b, v19, -v20
	v_rndne_f32_e32 v69, v20
	s_delay_alu instid0(VALU_DEP_1) | instskip(NEXT) | instid1(VALU_DEP_1)
	v_dual_fmamk_f32 v21, v19, 0x32a5705f, v21 :: v_dual_sub_f32 v20, v20, v69
	v_add_f32_e32 v20, v20, v21
	v_cvt_i32_f32_e32 v21, v69
	s_delay_alu instid0(VALU_DEP_2) | instskip(SKIP_2) | instid1(VALU_DEP_1)
	v_exp_f32_e32 v20, v20
	s_waitcnt_depctr 0xfff
	v_ldexp_f32 v20, v20, v21
	v_cndmask_b32_e32 v20, 0, v20, vcc_lo
	v_cmp_nlt_f32_e32 vcc_lo, 0x42b17218, v19
	s_delay_alu instid0(VALU_DEP_2) | instskip(NEXT) | instid1(VALU_DEP_1)
	v_cndmask_b32_e32 v21, 0x7f800000, v20, vcc_lo
	v_add_f32_e32 v69, 1.0, v21
	s_delay_alu instid0(VALU_DEP_1) | instskip(NEXT) | instid1(VALU_DEP_1)
	v_cvt_f64_f32_e32 v[19:20], v69
	v_frexp_exp_i32_f64_e32 v19, v[19:20]
	v_frexp_mant_f32_e32 v20, v69
	s_delay_alu instid0(VALU_DEP_1) | instskip(SKIP_1) | instid1(VALU_DEP_1)
	v_cmp_gt_f32_e32 vcc_lo, 0x3f2aaaab, v20
	v_add_f32_e32 v20, -1.0, v69
	v_dual_sub_f32 v81, v20, v69 :: v_dual_sub_f32 v20, v21, v20
	s_delay_alu instid0(VALU_DEP_1) | instskip(SKIP_2) | instid1(VALU_DEP_2)
	v_add_f32_e32 v81, 1.0, v81
	v_subrev_co_ci_u32_e32 v19, vcc_lo, 0, v19, vcc_lo
	v_cmp_eq_f32_e32 vcc_lo, 0x7f800000, v21
	v_sub_nc_u32_e32 v71, 0, v19
	v_cvt_f32_i32_e32 v19, v19
	s_delay_alu instid0(VALU_DEP_2) | instskip(SKIP_1) | instid1(VALU_DEP_1)
	v_ldexp_f32 v69, v69, v71
	v_add_f32_e32 v20, v20, v81
	v_ldexp_f32 v20, v20, v71
	s_delay_alu instid0(VALU_DEP_3) | instskip(NEXT) | instid1(VALU_DEP_1)
	v_add_f32_e32 v71, -1.0, v69
	v_dual_add_f32 v82, 1.0, v69 :: v_dual_add_f32 v83, 1.0, v71
	s_delay_alu instid0(VALU_DEP_1) | instskip(NEXT) | instid1(VALU_DEP_1)
	v_add_f32_e32 v81, -1.0, v82
	v_sub_f32_e32 v81, v69, v81
	s_delay_alu instid0(VALU_DEP_3) | instskip(NEXT) | instid1(VALU_DEP_2)
	v_sub_f32_e32 v69, v69, v83
	v_add_f32_e32 v81, v20, v81
	s_delay_alu instid0(VALU_DEP_1) | instskip(NEXT) | instid1(VALU_DEP_1)
	v_add_f32_e32 v83, v82, v81
	v_sub_f32_e32 v82, v82, v83
	s_delay_alu instid0(VALU_DEP_4) | instskip(SKIP_1) | instid1(VALU_DEP_1)
	v_add_f32_e32 v20, v20, v69
	v_rcp_f32_e32 v69, v83
	v_dual_add_f32 v81, v81, v82 :: v_dual_add_f32 v84, v71, v20
	s_delay_alu instid0(VALU_DEP_1) | instskip(SKIP_3) | instid1(VALU_DEP_2)
	v_sub_f32_e32 v71, v71, v84
	s_waitcnt_depctr 0xfff
	v_mul_f32_e32 v85, v84, v69
	v_add_f32_e32 v20, v20, v71
	v_mul_f32_e32 v86, v83, v85
	s_delay_alu instid0(VALU_DEP_1) | instskip(NEXT) | instid1(VALU_DEP_1)
	v_fma_f32 v82, v85, v83, -v86
	v_fmac_f32_e32 v82, v85, v81
	s_delay_alu instid0(VALU_DEP_1) | instskip(NEXT) | instid1(VALU_DEP_1)
	v_add_f32_e32 v87, v86, v82
	v_sub_f32_e32 v96, v84, v87
	s_delay_alu instid0(VALU_DEP_1) | instskip(NEXT) | instid1(VALU_DEP_1)
	v_dual_sub_f32 v84, v84, v96 :: v_dual_sub_f32 v71, v87, v86
	v_dual_sub_f32 v84, v84, v87 :: v_dual_sub_f32 v71, v71, v82
	s_delay_alu instid0(VALU_DEP_1) | instskip(NEXT) | instid1(VALU_DEP_1)
	v_add_f32_e32 v20, v20, v84
	v_add_f32_e32 v20, v71, v20
	s_delay_alu instid0(VALU_DEP_1) | instskip(NEXT) | instid1(VALU_DEP_1)
	v_add_f32_e32 v71, v96, v20
	v_mul_f32_e32 v82, v69, v71
	s_delay_alu instid0(VALU_DEP_1) | instskip(NEXT) | instid1(VALU_DEP_1)
	v_dual_sub_f32 v87, v96, v71 :: v_dual_mul_f32 v84, v83, v82
	v_add_f32_e32 v20, v20, v87
	s_delay_alu instid0(VALU_DEP_2) | instskip(NEXT) | instid1(VALU_DEP_1)
	v_fma_f32 v83, v82, v83, -v84
	v_fmac_f32_e32 v83, v82, v81
	s_delay_alu instid0(VALU_DEP_1) | instskip(NEXT) | instid1(VALU_DEP_1)
	v_add_f32_e32 v81, v84, v83
	v_sub_f32_e32 v86, v71, v81
	s_delay_alu instid0(VALU_DEP_1) | instskip(NEXT) | instid1(VALU_DEP_1)
	v_dual_sub_f32 v71, v71, v86 :: v_dual_sub_f32 v84, v81, v84
	v_sub_f32_e32 v71, v71, v81
	s_delay_alu instid0(VALU_DEP_2) | instskip(NEXT) | instid1(VALU_DEP_2)
	v_sub_f32_e32 v81, v84, v83
	v_dual_add_f32 v20, v20, v71 :: v_dual_add_f32 v71, v85, v82
	s_delay_alu instid0(VALU_DEP_1) | instskip(NEXT) | instid1(VALU_DEP_1)
	v_dual_add_f32 v20, v81, v20 :: v_dual_sub_f32 v81, v71, v85
	v_add_f32_e32 v20, v86, v20
	s_delay_alu instid0(VALU_DEP_1) | instskip(NEXT) | instid1(VALU_DEP_1)
	v_dual_sub_f32 v81, v82, v81 :: v_dual_mul_f32 v20, v69, v20
	v_add_f32_e32 v20, v81, v20
	s_delay_alu instid0(VALU_DEP_1) | instskip(NEXT) | instid1(VALU_DEP_1)
	v_add_f32_e32 v69, v71, v20
	v_mul_f32_e32 v81, v69, v69
	s_delay_alu instid0(VALU_DEP_1) | instskip(SKIP_2) | instid1(VALU_DEP_3)
	v_fmaak_f32 v82, s7, v81, 0x3ecc95a3
	v_mul_f32_e32 v83, v69, v81
	v_cmp_gt_f32_e64 s7, 0x33800000, |v21|
	v_fmaak_f32 v81, v81, v82, 0x3f2aaada
	v_ldexp_f32 v82, v69, 1
	v_sub_f32_e32 v69, v69, v71
	s_delay_alu instid0(VALU_DEP_4) | instskip(NEXT) | instid1(VALU_DEP_3)
	s_or_b32 vcc_lo, vcc_lo, s7
	v_mul_f32_e32 v81, v83, v81
	s_delay_alu instid0(VALU_DEP_2) | instskip(NEXT) | instid1(VALU_DEP_2)
	v_sub_f32_e32 v20, v20, v69
	v_add_f32_e32 v71, v82, v81
	s_delay_alu instid0(VALU_DEP_2) | instskip(NEXT) | instid1(VALU_DEP_2)
	v_ldexp_f32 v20, v20, 1
	v_sub_f32_e32 v69, v71, v82
	s_delay_alu instid0(VALU_DEP_1) | instskip(NEXT) | instid1(VALU_DEP_1)
	v_sub_f32_e32 v69, v81, v69
	v_dual_mul_f32 v83, 0x3f317218, v19 :: v_dual_add_f32 v20, v20, v69
	s_delay_alu instid0(VALU_DEP_1) | instskip(NEXT) | instid1(VALU_DEP_2)
	v_fma_f32 v82, 0x3f317218, v19, -v83
	v_add_f32_e32 v81, v71, v20
	s_delay_alu instid0(VALU_DEP_2) | instskip(NEXT) | instid1(VALU_DEP_1)
	v_fmamk_f32 v19, v19, 0xb102e308, v82
	v_add_f32_e32 v69, v83, v19
	s_delay_alu instid0(VALU_DEP_1) | instskip(NEXT) | instid1(VALU_DEP_1)
	v_add_f32_e32 v82, v69, v81
	v_dual_sub_f32 v83, v69, v83 :: v_dual_sub_f32 v84, v82, v69
	v_sub_f32_e32 v71, v81, v71
	s_delay_alu instid0(VALU_DEP_2) | instskip(NEXT) | instid1(VALU_DEP_2)
	v_sub_f32_e32 v19, v19, v83
	v_dual_sub_f32 v85, v82, v84 :: v_dual_sub_f32 v20, v20, v71
	v_sub_f32_e32 v71, v81, v84
	s_delay_alu instid0(VALU_DEP_2) | instskip(NEXT) | instid1(VALU_DEP_3)
	v_sub_f32_e32 v69, v69, v85
	v_add_f32_e32 v81, v19, v20
	s_delay_alu instid0(VALU_DEP_2) | instskip(NEXT) | instid1(VALU_DEP_2)
	v_add_f32_e32 v69, v71, v69
	v_sub_f32_e32 v71, v81, v19
	s_delay_alu instid0(VALU_DEP_2) | instskip(NEXT) | instid1(VALU_DEP_2)
	v_add_f32_e32 v69, v81, v69
	v_sub_f32_e32 v81, v81, v71
	s_delay_alu instid0(VALU_DEP_2) | instskip(NEXT) | instid1(VALU_DEP_2)
	v_dual_sub_f32 v20, v20, v71 :: v_dual_add_f32 v83, v82, v69
	v_sub_f32_e32 v19, v19, v81
	s_delay_alu instid0(VALU_DEP_2) | instskip(NEXT) | instid1(VALU_DEP_2)
	v_sub_f32_e32 v71, v83, v82
	v_add_f32_e32 v19, v20, v19
	s_delay_alu instid0(VALU_DEP_2) | instskip(NEXT) | instid1(VALU_DEP_1)
	v_sub_f32_e32 v20, v69, v71
	v_add_f32_e32 v19, v19, v20
	s_delay_alu instid0(VALU_DEP_1) | instskip(NEXT) | instid1(VALU_DEP_1)
	v_add_f32_e32 v19, v83, v19
	v_cndmask_b32_e32 v19, v19, v21, vcc_lo
	s_delay_alu instid0(VALU_DEP_1)
	v_add_f32_e32 v19, v18, v19
.LBB501_59:
	s_or_b32 exec_lo, exec_lo, s6
	s_delay_alu instid0(VALU_DEP_1) | instskip(SKIP_1) | instid1(VALU_DEP_2)
	v_bfe_u32 v18, v19, 16, 1
	v_cmp_o_f32_e32 vcc_lo, v19, v19
	v_add3_u32 v18, v19, v18, 0x7fff
	s_delay_alu instid0(VALU_DEP_1) | instskip(NEXT) | instid1(VALU_DEP_1)
	v_and_b32_e32 v18, 0xffff0000, v18
	v_cndmask_b32_e32 v19, 0x7fc00000, v18, vcc_lo
	s_delay_alu instid0(VALU_DEP_1) | instskip(NEXT) | instid1(VALU_DEP_1)
	v_dual_max_f32 v18, v19, v19 :: v_dual_lshlrev_b32 v69, 16, v49
	v_max_f32_e32 v82, v69, v69
	v_cmp_u_f32_e32 vcc_lo, v19, v19
	v_cmp_u_f32_e64 s6, v69, v69
	s_delay_alu instid0(VALU_DEP_3) | instskip(SKIP_1) | instid1(VALU_DEP_2)
	v_min_f32_e32 v20, v18, v82
	v_max_f32_e32 v18, v18, v82
	v_cndmask_b32_e32 v20, v20, v19, vcc_lo
	s_delay_alu instid0(VALU_DEP_2) | instskip(NEXT) | instid1(VALU_DEP_2)
	v_cndmask_b32_e32 v18, v18, v19, vcc_lo
	v_cndmask_b32_e64 v20, v20, v69, s6
	s_delay_alu instid0(VALU_DEP_2) | instskip(NEXT) | instid1(VALU_DEP_2)
	v_cndmask_b32_e64 v18, v18, v69, s6
	v_cmp_class_f32_e64 s7, v20, 0x1f8
	s_delay_alu instid0(VALU_DEP_2) | instskip(NEXT) | instid1(VALU_DEP_2)
	v_cmp_neq_f32_e32 vcc_lo, v20, v18
	s_or_b32 s8, vcc_lo, s7
	s_delay_alu instid0(SALU_CYCLE_1)
	s_and_saveexec_b32 s7, s8
	s_cbranch_execz .LBB501_61
; %bb.60:
	v_sub_f32_e32 v19, v20, v18
	s_mov_b32 s8, 0x3e9b6dac
	s_delay_alu instid0(VALU_DEP_1) | instskip(SKIP_1) | instid1(VALU_DEP_2)
	v_mul_f32_e32 v20, 0x3fb8aa3b, v19
	v_cmp_ngt_f32_e32 vcc_lo, 0xc2ce8ed0, v19
	v_fma_f32 v21, 0x3fb8aa3b, v19, -v20
	v_rndne_f32_e32 v71, v20
	s_delay_alu instid0(VALU_DEP_1) | instskip(NEXT) | instid1(VALU_DEP_1)
	v_dual_fmamk_f32 v21, v19, 0x32a5705f, v21 :: v_dual_sub_f32 v20, v20, v71
	v_add_f32_e32 v20, v20, v21
	v_cvt_i32_f32_e32 v21, v71
	s_delay_alu instid0(VALU_DEP_2) | instskip(SKIP_2) | instid1(VALU_DEP_1)
	v_exp_f32_e32 v20, v20
	s_waitcnt_depctr 0xfff
	v_ldexp_f32 v20, v20, v21
	v_cndmask_b32_e32 v20, 0, v20, vcc_lo
	v_cmp_nlt_f32_e32 vcc_lo, 0x42b17218, v19
	s_delay_alu instid0(VALU_DEP_2) | instskip(NEXT) | instid1(VALU_DEP_1)
	v_cndmask_b32_e32 v21, 0x7f800000, v20, vcc_lo
	v_add_f32_e32 v71, 1.0, v21
	s_delay_alu instid0(VALU_DEP_1) | instskip(NEXT) | instid1(VALU_DEP_1)
	v_cvt_f64_f32_e32 v[19:20], v71
	v_frexp_exp_i32_f64_e32 v19, v[19:20]
	v_frexp_mant_f32_e32 v20, v71
	s_delay_alu instid0(VALU_DEP_1) | instskip(SKIP_1) | instid1(VALU_DEP_1)
	v_cmp_gt_f32_e32 vcc_lo, 0x3f2aaaab, v20
	v_add_f32_e32 v20, -1.0, v71
	v_dual_sub_f32 v83, v20, v71 :: v_dual_sub_f32 v20, v21, v20
	s_delay_alu instid0(VALU_DEP_1) | instskip(NEXT) | instid1(VALU_DEP_1)
	v_add_f32_e32 v83, 1.0, v83
	v_add_f32_e32 v20, v20, v83
	v_subrev_co_ci_u32_e32 v19, vcc_lo, 0, v19, vcc_lo
	v_cmp_eq_f32_e32 vcc_lo, 0x7f800000, v21
	s_delay_alu instid0(VALU_DEP_2) | instskip(SKIP_1) | instid1(VALU_DEP_2)
	v_sub_nc_u32_e32 v81, 0, v19
	v_cvt_f32_i32_e32 v19, v19
	v_ldexp_f32 v71, v71, v81
	v_ldexp_f32 v20, v20, v81
	s_delay_alu instid0(VALU_DEP_2) | instskip(NEXT) | instid1(VALU_DEP_1)
	v_add_f32_e32 v81, -1.0, v71
	v_dual_add_f32 v84, 1.0, v71 :: v_dual_add_f32 v85, 1.0, v81
	s_delay_alu instid0(VALU_DEP_1) | instskip(NEXT) | instid1(VALU_DEP_1)
	v_add_f32_e32 v83, -1.0, v84
	v_sub_f32_e32 v83, v71, v83
	s_delay_alu instid0(VALU_DEP_3) | instskip(NEXT) | instid1(VALU_DEP_2)
	v_sub_f32_e32 v71, v71, v85
	v_add_f32_e32 v83, v20, v83
	s_delay_alu instid0(VALU_DEP_1) | instskip(NEXT) | instid1(VALU_DEP_1)
	v_add_f32_e32 v85, v84, v83
	v_sub_f32_e32 v84, v84, v85
	s_delay_alu instid0(VALU_DEP_4) | instskip(SKIP_1) | instid1(VALU_DEP_2)
	v_add_f32_e32 v20, v20, v71
	v_rcp_f32_e32 v71, v85
	v_add_f32_e32 v83, v83, v84
	s_delay_alu instid0(VALU_DEP_2) | instskip(NEXT) | instid1(VALU_DEP_1)
	v_add_f32_e32 v86, v81, v20
	v_sub_f32_e32 v81, v81, v86
	s_waitcnt_depctr 0xfff
	v_dual_mul_f32 v87, v86, v71 :: v_dual_add_f32 v20, v20, v81
	s_delay_alu instid0(VALU_DEP_1) | instskip(NEXT) | instid1(VALU_DEP_1)
	v_mul_f32_e32 v96, v85, v87
	v_fma_f32 v84, v87, v85, -v96
	s_delay_alu instid0(VALU_DEP_1) | instskip(NEXT) | instid1(VALU_DEP_1)
	v_fmac_f32_e32 v84, v87, v83
	v_add_f32_e32 v97, v96, v84
	s_delay_alu instid0(VALU_DEP_1) | instskip(NEXT) | instid1(VALU_DEP_1)
	v_dual_sub_f32 v98, v86, v97 :: v_dual_sub_f32 v81, v97, v96
	v_sub_f32_e32 v86, v86, v98
	s_delay_alu instid0(VALU_DEP_1) | instskip(NEXT) | instid1(VALU_DEP_1)
	v_dual_sub_f32 v86, v86, v97 :: v_dual_sub_f32 v81, v81, v84
	v_add_f32_e32 v20, v20, v86
	s_delay_alu instid0(VALU_DEP_1) | instskip(NEXT) | instid1(VALU_DEP_1)
	v_add_f32_e32 v20, v81, v20
	v_add_f32_e32 v81, v98, v20
	s_delay_alu instid0(VALU_DEP_1) | instskip(NEXT) | instid1(VALU_DEP_1)
	v_mul_f32_e32 v84, v71, v81
	v_dual_sub_f32 v97, v98, v81 :: v_dual_mul_f32 v86, v85, v84
	s_delay_alu instid0(VALU_DEP_1) | instskip(NEXT) | instid1(VALU_DEP_1)
	v_fma_f32 v85, v84, v85, -v86
	v_fmac_f32_e32 v85, v84, v83
	s_delay_alu instid0(VALU_DEP_3) | instskip(NEXT) | instid1(VALU_DEP_2)
	v_add_f32_e32 v20, v20, v97
	v_add_f32_e32 v83, v86, v85
	s_delay_alu instid0(VALU_DEP_1) | instskip(SKIP_1) | instid1(VALU_DEP_1)
	v_sub_f32_e32 v86, v83, v86
	v_sub_f32_e32 v96, v81, v83
	;; [unrolled: 1-line block ×3, first 2 shown]
	s_delay_alu instid0(VALU_DEP_1) | instskip(NEXT) | instid1(VALU_DEP_4)
	v_sub_f32_e32 v81, v81, v83
	v_sub_f32_e32 v83, v86, v85
	s_delay_alu instid0(VALU_DEP_2) | instskip(NEXT) | instid1(VALU_DEP_1)
	v_dual_add_f32 v20, v20, v81 :: v_dual_add_f32 v81, v87, v84
	v_dual_add_f32 v20, v83, v20 :: v_dual_sub_f32 v83, v81, v87
	s_delay_alu instid0(VALU_DEP_1) | instskip(NEXT) | instid1(VALU_DEP_1)
	v_add_f32_e32 v20, v96, v20
	v_dual_sub_f32 v83, v84, v83 :: v_dual_mul_f32 v20, v71, v20
	s_delay_alu instid0(VALU_DEP_1) | instskip(NEXT) | instid1(VALU_DEP_1)
	v_add_f32_e32 v20, v83, v20
	v_add_f32_e32 v71, v81, v20
	s_delay_alu instid0(VALU_DEP_1) | instskip(NEXT) | instid1(VALU_DEP_1)
	v_mul_f32_e32 v83, v71, v71
	v_fmaak_f32 v84, s8, v83, 0x3ecc95a3
	v_mul_f32_e32 v85, v71, v83
	v_cmp_gt_f32_e64 s8, 0x33800000, |v21|
	s_delay_alu instid0(VALU_DEP_3) | instskip(SKIP_2) | instid1(VALU_DEP_4)
	v_fmaak_f32 v83, v83, v84, 0x3f2aaada
	v_ldexp_f32 v84, v71, 1
	v_sub_f32_e32 v71, v71, v81
	s_or_b32 vcc_lo, vcc_lo, s8
	s_delay_alu instid0(VALU_DEP_3) | instskip(SKIP_1) | instid1(VALU_DEP_3)
	v_mul_f32_e32 v83, v85, v83
	v_mul_f32_e32 v85, 0x3f317218, v19
	v_sub_f32_e32 v20, v20, v71
	s_delay_alu instid0(VALU_DEP_3) | instskip(NEXT) | instid1(VALU_DEP_2)
	v_add_f32_e32 v81, v84, v83
	v_ldexp_f32 v20, v20, 1
	s_delay_alu instid0(VALU_DEP_2) | instskip(SKIP_1) | instid1(VALU_DEP_2)
	v_sub_f32_e32 v71, v81, v84
	v_fma_f32 v84, 0x3f317218, v19, -v85
	v_sub_f32_e32 v71, v83, v71
	s_delay_alu instid0(VALU_DEP_1) | instskip(NEXT) | instid1(VALU_DEP_1)
	v_dual_fmamk_f32 v19, v19, 0xb102e308, v84 :: v_dual_add_f32 v20, v20, v71
	v_add_f32_e32 v71, v85, v19
	s_delay_alu instid0(VALU_DEP_2) | instskip(NEXT) | instid1(VALU_DEP_2)
	v_add_f32_e32 v83, v81, v20
	v_sub_f32_e32 v85, v71, v85
	s_delay_alu instid0(VALU_DEP_2) | instskip(NEXT) | instid1(VALU_DEP_1)
	v_add_f32_e32 v84, v71, v83
	v_dual_sub_f32 v19, v19, v85 :: v_dual_sub_f32 v86, v84, v71
	v_sub_f32_e32 v81, v83, v81
	s_delay_alu instid0(VALU_DEP_2) | instskip(NEXT) | instid1(VALU_DEP_2)
	v_sub_f32_e32 v87, v84, v86
	v_dual_sub_f32 v20, v20, v81 :: v_dual_sub_f32 v81, v83, v86
	s_delay_alu instid0(VALU_DEP_2) | instskip(NEXT) | instid1(VALU_DEP_2)
	v_sub_f32_e32 v71, v71, v87
	v_add_f32_e32 v83, v19, v20
	s_delay_alu instid0(VALU_DEP_2) | instskip(NEXT) | instid1(VALU_DEP_2)
	v_add_f32_e32 v71, v81, v71
	v_sub_f32_e32 v81, v83, v19
	s_delay_alu instid0(VALU_DEP_2) | instskip(NEXT) | instid1(VALU_DEP_2)
	v_add_f32_e32 v71, v83, v71
	v_sub_f32_e32 v83, v83, v81
	v_sub_f32_e32 v20, v20, v81
	s_delay_alu instid0(VALU_DEP_3) | instskip(NEXT) | instid1(VALU_DEP_3)
	v_add_f32_e32 v85, v84, v71
	v_sub_f32_e32 v19, v19, v83
	s_delay_alu instid0(VALU_DEP_2) | instskip(NEXT) | instid1(VALU_DEP_1)
	v_sub_f32_e32 v81, v85, v84
	v_dual_add_f32 v19, v20, v19 :: v_dual_sub_f32 v20, v71, v81
	s_delay_alu instid0(VALU_DEP_1) | instskip(NEXT) | instid1(VALU_DEP_1)
	v_add_f32_e32 v19, v19, v20
	v_add_f32_e32 v19, v85, v19
	s_delay_alu instid0(VALU_DEP_1) | instskip(NEXT) | instid1(VALU_DEP_1)
	v_cndmask_b32_e32 v19, v19, v21, vcc_lo
	v_add_f32_e32 v19, v18, v19
.LBB501_61:
	s_or_b32 exec_lo, exec_lo, s7
	s_delay_alu instid0(VALU_DEP_1) | instskip(SKIP_1) | instid1(VALU_DEP_2)
	v_bfe_u32 v18, v19, 16, 1
	v_cmp_o_f32_e32 vcc_lo, v19, v19
	v_add3_u32 v18, v19, v18, 0x7fff
	s_delay_alu instid0(VALU_DEP_1) | instskip(NEXT) | instid1(VALU_DEP_1)
	v_and_b32_e32 v18, 0xffff0000, v18
	v_cndmask_b32_e32 v19, 0x7fc00000, v18, vcc_lo
	s_delay_alu instid0(VALU_DEP_1) | instskip(NEXT) | instid1(VALU_DEP_1)
	v_dual_max_f32 v18, v19, v19 :: v_dual_lshlrev_b32 v71, 16, v48
	v_max_f32_e32 v84, v71, v71
	v_cmp_u_f32_e32 vcc_lo, v19, v19
	v_cmp_u_f32_e64 s7, v71, v71
	s_delay_alu instid0(VALU_DEP_3) | instskip(SKIP_1) | instid1(VALU_DEP_2)
	v_min_f32_e32 v20, v18, v84
	v_max_f32_e32 v18, v18, v84
	v_cndmask_b32_e32 v20, v20, v19, vcc_lo
	s_delay_alu instid0(VALU_DEP_2) | instskip(NEXT) | instid1(VALU_DEP_2)
	v_cndmask_b32_e32 v18, v18, v19, vcc_lo
	v_cndmask_b32_e64 v20, v20, v71, s7
	s_delay_alu instid0(VALU_DEP_2) | instskip(NEXT) | instid1(VALU_DEP_2)
	v_cndmask_b32_e64 v18, v18, v71, s7
	v_cmp_class_f32_e64 s8, v20, 0x1f8
	s_delay_alu instid0(VALU_DEP_2) | instskip(NEXT) | instid1(VALU_DEP_2)
	v_cmp_neq_f32_e32 vcc_lo, v20, v18
	s_or_b32 s9, vcc_lo, s8
	s_delay_alu instid0(SALU_CYCLE_1)
	s_and_saveexec_b32 s8, s9
	s_cbranch_execz .LBB501_63
; %bb.62:
	v_sub_f32_e32 v19, v20, v18
	s_mov_b32 s9, 0x3e9b6dac
	s_delay_alu instid0(VALU_DEP_1) | instskip(SKIP_1) | instid1(VALU_DEP_2)
	v_mul_f32_e32 v20, 0x3fb8aa3b, v19
	v_cmp_ngt_f32_e32 vcc_lo, 0xc2ce8ed0, v19
	v_fma_f32 v21, 0x3fb8aa3b, v19, -v20
	v_rndne_f32_e32 v81, v20
	s_delay_alu instid0(VALU_DEP_1) | instskip(NEXT) | instid1(VALU_DEP_1)
	v_dual_fmamk_f32 v21, v19, 0x32a5705f, v21 :: v_dual_sub_f32 v20, v20, v81
	v_add_f32_e32 v20, v20, v21
	v_cvt_i32_f32_e32 v21, v81
	s_delay_alu instid0(VALU_DEP_2) | instskip(SKIP_2) | instid1(VALU_DEP_1)
	v_exp_f32_e32 v20, v20
	s_waitcnt_depctr 0xfff
	v_ldexp_f32 v20, v20, v21
	v_cndmask_b32_e32 v20, 0, v20, vcc_lo
	v_cmp_nlt_f32_e32 vcc_lo, 0x42b17218, v19
	s_delay_alu instid0(VALU_DEP_2) | instskip(NEXT) | instid1(VALU_DEP_1)
	v_cndmask_b32_e32 v21, 0x7f800000, v20, vcc_lo
	v_add_f32_e32 v81, 1.0, v21
	s_delay_alu instid0(VALU_DEP_1) | instskip(NEXT) | instid1(VALU_DEP_1)
	v_cvt_f64_f32_e32 v[19:20], v81
	v_frexp_exp_i32_f64_e32 v19, v[19:20]
	v_frexp_mant_f32_e32 v20, v81
	s_delay_alu instid0(VALU_DEP_1) | instskip(SKIP_1) | instid1(VALU_DEP_1)
	v_cmp_gt_f32_e32 vcc_lo, 0x3f2aaaab, v20
	v_add_f32_e32 v20, -1.0, v81
	v_dual_sub_f32 v85, v20, v81 :: v_dual_sub_f32 v20, v21, v20
	s_delay_alu instid0(VALU_DEP_1) | instskip(SKIP_2) | instid1(VALU_DEP_2)
	v_add_f32_e32 v85, 1.0, v85
	v_subrev_co_ci_u32_e32 v19, vcc_lo, 0, v19, vcc_lo
	v_cmp_eq_f32_e32 vcc_lo, 0x7f800000, v21
	v_sub_nc_u32_e32 v83, 0, v19
	v_cvt_f32_i32_e32 v19, v19
	s_delay_alu instid0(VALU_DEP_2) | instskip(SKIP_1) | instid1(VALU_DEP_1)
	v_ldexp_f32 v81, v81, v83
	v_add_f32_e32 v20, v20, v85
	v_ldexp_f32 v20, v20, v83
	s_delay_alu instid0(VALU_DEP_3) | instskip(NEXT) | instid1(VALU_DEP_1)
	v_add_f32_e32 v83, -1.0, v81
	v_dual_add_f32 v86, 1.0, v81 :: v_dual_add_f32 v87, 1.0, v83
	s_delay_alu instid0(VALU_DEP_1) | instskip(NEXT) | instid1(VALU_DEP_1)
	v_add_f32_e32 v85, -1.0, v86
	v_sub_f32_e32 v85, v81, v85
	s_delay_alu instid0(VALU_DEP_3) | instskip(NEXT) | instid1(VALU_DEP_2)
	v_sub_f32_e32 v81, v81, v87
	v_add_f32_e32 v85, v20, v85
	s_delay_alu instid0(VALU_DEP_1) | instskip(NEXT) | instid1(VALU_DEP_1)
	v_add_f32_e32 v87, v86, v85
	v_sub_f32_e32 v86, v86, v87
	s_delay_alu instid0(VALU_DEP_4) | instskip(SKIP_1) | instid1(VALU_DEP_1)
	v_add_f32_e32 v20, v20, v81
	v_rcp_f32_e32 v81, v87
	v_dual_add_f32 v85, v85, v86 :: v_dual_add_f32 v96, v83, v20
	s_delay_alu instid0(VALU_DEP_1) | instskip(SKIP_3) | instid1(VALU_DEP_2)
	v_sub_f32_e32 v83, v83, v96
	s_waitcnt_depctr 0xfff
	v_mul_f32_e32 v97, v96, v81
	v_add_f32_e32 v20, v20, v83
	v_mul_f32_e32 v98, v87, v97
	s_delay_alu instid0(VALU_DEP_1) | instskip(NEXT) | instid1(VALU_DEP_1)
	v_fma_f32 v86, v97, v87, -v98
	v_fmac_f32_e32 v86, v97, v85
	s_delay_alu instid0(VALU_DEP_1) | instskip(NEXT) | instid1(VALU_DEP_1)
	v_add_f32_e32 v99, v98, v86
	v_sub_f32_e32 v100, v96, v99
	s_delay_alu instid0(VALU_DEP_1) | instskip(NEXT) | instid1(VALU_DEP_1)
	v_dual_sub_f32 v96, v96, v100 :: v_dual_sub_f32 v83, v99, v98
	v_dual_sub_f32 v96, v96, v99 :: v_dual_sub_f32 v83, v83, v86
	s_delay_alu instid0(VALU_DEP_1) | instskip(NEXT) | instid1(VALU_DEP_1)
	v_add_f32_e32 v20, v20, v96
	v_add_f32_e32 v20, v83, v20
	s_delay_alu instid0(VALU_DEP_1) | instskip(NEXT) | instid1(VALU_DEP_1)
	v_add_f32_e32 v83, v100, v20
	v_mul_f32_e32 v86, v81, v83
	s_delay_alu instid0(VALU_DEP_1) | instskip(NEXT) | instid1(VALU_DEP_1)
	v_dual_sub_f32 v99, v100, v83 :: v_dual_mul_f32 v96, v87, v86
	v_add_f32_e32 v20, v20, v99
	s_delay_alu instid0(VALU_DEP_2) | instskip(NEXT) | instid1(VALU_DEP_1)
	v_fma_f32 v87, v86, v87, -v96
	v_fmac_f32_e32 v87, v86, v85
	s_delay_alu instid0(VALU_DEP_1) | instskip(NEXT) | instid1(VALU_DEP_1)
	v_add_f32_e32 v85, v96, v87
	v_sub_f32_e32 v98, v83, v85
	s_delay_alu instid0(VALU_DEP_1) | instskip(NEXT) | instid1(VALU_DEP_1)
	v_dual_sub_f32 v83, v83, v98 :: v_dual_sub_f32 v96, v85, v96
	v_sub_f32_e32 v83, v83, v85
	s_delay_alu instid0(VALU_DEP_2) | instskip(NEXT) | instid1(VALU_DEP_2)
	v_sub_f32_e32 v85, v96, v87
	v_dual_add_f32 v20, v20, v83 :: v_dual_add_f32 v83, v97, v86
	s_delay_alu instid0(VALU_DEP_1) | instskip(NEXT) | instid1(VALU_DEP_1)
	v_dual_add_f32 v20, v85, v20 :: v_dual_sub_f32 v85, v83, v97
	v_add_f32_e32 v20, v98, v20
	s_delay_alu instid0(VALU_DEP_1) | instskip(NEXT) | instid1(VALU_DEP_1)
	v_dual_sub_f32 v85, v86, v85 :: v_dual_mul_f32 v20, v81, v20
	v_add_f32_e32 v20, v85, v20
	s_delay_alu instid0(VALU_DEP_1) | instskip(NEXT) | instid1(VALU_DEP_1)
	v_add_f32_e32 v81, v83, v20
	v_mul_f32_e32 v85, v81, v81
	s_delay_alu instid0(VALU_DEP_1) | instskip(SKIP_2) | instid1(VALU_DEP_3)
	v_fmaak_f32 v86, s9, v85, 0x3ecc95a3
	v_mul_f32_e32 v87, v81, v85
	v_cmp_gt_f32_e64 s9, 0x33800000, |v21|
	v_fmaak_f32 v85, v85, v86, 0x3f2aaada
	v_ldexp_f32 v86, v81, 1
	v_sub_f32_e32 v81, v81, v83
	s_delay_alu instid0(VALU_DEP_4) | instskip(NEXT) | instid1(VALU_DEP_3)
	s_or_b32 vcc_lo, vcc_lo, s9
	v_mul_f32_e32 v85, v87, v85
	s_delay_alu instid0(VALU_DEP_2) | instskip(NEXT) | instid1(VALU_DEP_2)
	v_sub_f32_e32 v20, v20, v81
	v_add_f32_e32 v83, v86, v85
	s_delay_alu instid0(VALU_DEP_2) | instskip(NEXT) | instid1(VALU_DEP_2)
	v_ldexp_f32 v20, v20, 1
	v_sub_f32_e32 v81, v83, v86
	s_delay_alu instid0(VALU_DEP_1) | instskip(NEXT) | instid1(VALU_DEP_1)
	v_sub_f32_e32 v81, v85, v81
	v_dual_mul_f32 v87, 0x3f317218, v19 :: v_dual_add_f32 v20, v20, v81
	s_delay_alu instid0(VALU_DEP_1) | instskip(NEXT) | instid1(VALU_DEP_2)
	v_fma_f32 v86, 0x3f317218, v19, -v87
	v_add_f32_e32 v85, v83, v20
	s_delay_alu instid0(VALU_DEP_2) | instskip(NEXT) | instid1(VALU_DEP_1)
	v_fmamk_f32 v19, v19, 0xb102e308, v86
	v_add_f32_e32 v81, v87, v19
	s_delay_alu instid0(VALU_DEP_1) | instskip(NEXT) | instid1(VALU_DEP_1)
	v_add_f32_e32 v86, v81, v85
	v_dual_sub_f32 v87, v81, v87 :: v_dual_sub_f32 v96, v86, v81
	v_sub_f32_e32 v83, v85, v83
	s_delay_alu instid0(VALU_DEP_2) | instskip(NEXT) | instid1(VALU_DEP_2)
	v_sub_f32_e32 v19, v19, v87
	v_dual_sub_f32 v97, v86, v96 :: v_dual_sub_f32 v20, v20, v83
	v_sub_f32_e32 v83, v85, v96
	s_delay_alu instid0(VALU_DEP_2) | instskip(NEXT) | instid1(VALU_DEP_3)
	v_sub_f32_e32 v81, v81, v97
	v_add_f32_e32 v85, v19, v20
	s_delay_alu instid0(VALU_DEP_2) | instskip(NEXT) | instid1(VALU_DEP_2)
	v_add_f32_e32 v81, v83, v81
	v_sub_f32_e32 v83, v85, v19
	s_delay_alu instid0(VALU_DEP_2) | instskip(NEXT) | instid1(VALU_DEP_2)
	v_add_f32_e32 v81, v85, v81
	v_sub_f32_e32 v85, v85, v83
	s_delay_alu instid0(VALU_DEP_2) | instskip(NEXT) | instid1(VALU_DEP_2)
	v_dual_sub_f32 v20, v20, v83 :: v_dual_add_f32 v87, v86, v81
	v_sub_f32_e32 v19, v19, v85
	s_delay_alu instid0(VALU_DEP_2) | instskip(NEXT) | instid1(VALU_DEP_2)
	v_sub_f32_e32 v83, v87, v86
	v_add_f32_e32 v19, v20, v19
	s_delay_alu instid0(VALU_DEP_2) | instskip(NEXT) | instid1(VALU_DEP_1)
	v_sub_f32_e32 v20, v81, v83
	v_add_f32_e32 v19, v19, v20
	s_delay_alu instid0(VALU_DEP_1) | instskip(NEXT) | instid1(VALU_DEP_1)
	v_add_f32_e32 v19, v87, v19
	v_cndmask_b32_e32 v19, v19, v21, vcc_lo
	s_delay_alu instid0(VALU_DEP_1)
	v_add_f32_e32 v19, v18, v19
.LBB501_63:
	s_or_b32 exec_lo, exec_lo, s8
	s_delay_alu instid0(VALU_DEP_1) | instskip(SKIP_1) | instid1(VALU_DEP_2)
	v_bfe_u32 v18, v19, 16, 1
	v_cmp_o_f32_e32 vcc_lo, v19, v19
	v_add3_u32 v18, v19, v18, 0x7fff
	s_delay_alu instid0(VALU_DEP_1) | instskip(NEXT) | instid1(VALU_DEP_1)
	v_and_b32_e32 v18, 0xffff0000, v18
	v_cndmask_b32_e32 v19, 0x7fc00000, v18, vcc_lo
	s_delay_alu instid0(VALU_DEP_1) | instskip(SKIP_1) | instid1(VALU_DEP_1)
	v_max_f32_e32 v18, v19, v19
	v_lshlrev_b32_e32 v81, 16, v39
	v_max_f32_e32 v86, v81, v81
	v_cmp_u_f32_e32 vcc_lo, v19, v19
	s_delay_alu instid0(VALU_DEP_2) | instskip(SKIP_2) | instid1(VALU_DEP_3)
	v_min_f32_e32 v20, v18, v86
	v_max_f32_e32 v18, v18, v86
	v_cmp_u_f32_e64 s8, v81, v81
	v_cndmask_b32_e32 v20, v20, v19, vcc_lo
	s_delay_alu instid0(VALU_DEP_3) | instskip(NEXT) | instid1(VALU_DEP_2)
	v_cndmask_b32_e32 v18, v18, v19, vcc_lo
	v_cndmask_b32_e64 v20, v20, v81, s8
	s_delay_alu instid0(VALU_DEP_2) | instskip(NEXT) | instid1(VALU_DEP_2)
	v_cndmask_b32_e64 v18, v18, v81, s8
	v_cmp_class_f32_e64 s9, v20, 0x1f8
	s_delay_alu instid0(VALU_DEP_2) | instskip(NEXT) | instid1(VALU_DEP_2)
	v_cmp_neq_f32_e32 vcc_lo, v20, v18
	s_or_b32 s10, vcc_lo, s9
	s_delay_alu instid0(SALU_CYCLE_1)
	s_and_saveexec_b32 s9, s10
	s_cbranch_execz .LBB501_65
; %bb.64:
	v_sub_f32_e32 v19, v20, v18
	s_mov_b32 s10, 0x3e9b6dac
	s_delay_alu instid0(VALU_DEP_1) | instskip(SKIP_1) | instid1(VALU_DEP_2)
	v_mul_f32_e32 v20, 0x3fb8aa3b, v19
	v_cmp_ngt_f32_e32 vcc_lo, 0xc2ce8ed0, v19
	v_fma_f32 v21, 0x3fb8aa3b, v19, -v20
	v_rndne_f32_e32 v83, v20
	s_delay_alu instid0(VALU_DEP_1) | instskip(NEXT) | instid1(VALU_DEP_1)
	v_dual_fmamk_f32 v21, v19, 0x32a5705f, v21 :: v_dual_sub_f32 v20, v20, v83
	v_add_f32_e32 v20, v20, v21
	v_cvt_i32_f32_e32 v21, v83
	s_delay_alu instid0(VALU_DEP_2) | instskip(SKIP_2) | instid1(VALU_DEP_1)
	v_exp_f32_e32 v20, v20
	s_waitcnt_depctr 0xfff
	v_ldexp_f32 v20, v20, v21
	v_cndmask_b32_e32 v20, 0, v20, vcc_lo
	v_cmp_nlt_f32_e32 vcc_lo, 0x42b17218, v19
	s_delay_alu instid0(VALU_DEP_2) | instskip(NEXT) | instid1(VALU_DEP_1)
	v_cndmask_b32_e32 v21, 0x7f800000, v20, vcc_lo
	v_add_f32_e32 v83, 1.0, v21
	s_delay_alu instid0(VALU_DEP_1) | instskip(NEXT) | instid1(VALU_DEP_1)
	v_cvt_f64_f32_e32 v[19:20], v83
	v_frexp_exp_i32_f64_e32 v19, v[19:20]
	v_frexp_mant_f32_e32 v20, v83
	s_delay_alu instid0(VALU_DEP_1) | instskip(SKIP_1) | instid1(VALU_DEP_1)
	v_cmp_gt_f32_e32 vcc_lo, 0x3f2aaaab, v20
	v_add_f32_e32 v20, -1.0, v83
	v_dual_sub_f32 v87, v20, v83 :: v_dual_sub_f32 v20, v21, v20
	s_delay_alu instid0(VALU_DEP_1) | instskip(NEXT) | instid1(VALU_DEP_1)
	v_add_f32_e32 v87, 1.0, v87
	v_add_f32_e32 v20, v20, v87
	v_subrev_co_ci_u32_e32 v19, vcc_lo, 0, v19, vcc_lo
	v_cmp_eq_f32_e32 vcc_lo, 0x7f800000, v21
	s_delay_alu instid0(VALU_DEP_2) | instskip(SKIP_1) | instid1(VALU_DEP_2)
	v_sub_nc_u32_e32 v85, 0, v19
	v_cvt_f32_i32_e32 v19, v19
	v_ldexp_f32 v83, v83, v85
	v_ldexp_f32 v20, v20, v85
	s_delay_alu instid0(VALU_DEP_2) | instskip(NEXT) | instid1(VALU_DEP_1)
	v_add_f32_e32 v85, -1.0, v83
	v_dual_add_f32 v96, 1.0, v83 :: v_dual_add_f32 v97, 1.0, v85
	s_delay_alu instid0(VALU_DEP_1) | instskip(NEXT) | instid1(VALU_DEP_1)
	v_add_f32_e32 v87, -1.0, v96
	v_sub_f32_e32 v87, v83, v87
	s_delay_alu instid0(VALU_DEP_3) | instskip(NEXT) | instid1(VALU_DEP_2)
	v_sub_f32_e32 v83, v83, v97
	v_add_f32_e32 v87, v20, v87
	s_delay_alu instid0(VALU_DEP_1) | instskip(NEXT) | instid1(VALU_DEP_1)
	v_add_f32_e32 v97, v96, v87
	v_sub_f32_e32 v96, v96, v97
	s_delay_alu instid0(VALU_DEP_4) | instskip(SKIP_1) | instid1(VALU_DEP_2)
	v_add_f32_e32 v20, v20, v83
	v_rcp_f32_e32 v83, v97
	v_add_f32_e32 v87, v87, v96
	s_delay_alu instid0(VALU_DEP_2) | instskip(NEXT) | instid1(VALU_DEP_1)
	v_add_f32_e32 v98, v85, v20
	v_sub_f32_e32 v85, v85, v98
	s_waitcnt_depctr 0xfff
	v_dual_mul_f32 v99, v98, v83 :: v_dual_add_f32 v20, v20, v85
	s_delay_alu instid0(VALU_DEP_1) | instskip(NEXT) | instid1(VALU_DEP_1)
	v_mul_f32_e32 v100, v97, v99
	v_fma_f32 v96, v99, v97, -v100
	s_delay_alu instid0(VALU_DEP_1) | instskip(NEXT) | instid1(VALU_DEP_1)
	v_fmac_f32_e32 v96, v99, v87
	v_add_f32_e32 v101, v100, v96
	s_delay_alu instid0(VALU_DEP_1) | instskip(NEXT) | instid1(VALU_DEP_1)
	v_dual_sub_f32 v102, v98, v101 :: v_dual_sub_f32 v85, v101, v100
	v_sub_f32_e32 v98, v98, v102
	s_delay_alu instid0(VALU_DEP_1) | instskip(NEXT) | instid1(VALU_DEP_1)
	v_dual_sub_f32 v98, v98, v101 :: v_dual_sub_f32 v85, v85, v96
	v_add_f32_e32 v20, v20, v98
	s_delay_alu instid0(VALU_DEP_1) | instskip(NEXT) | instid1(VALU_DEP_1)
	v_add_f32_e32 v20, v85, v20
	v_add_f32_e32 v85, v102, v20
	s_delay_alu instid0(VALU_DEP_1) | instskip(NEXT) | instid1(VALU_DEP_1)
	v_mul_f32_e32 v96, v83, v85
	v_dual_sub_f32 v101, v102, v85 :: v_dual_mul_f32 v98, v97, v96
	s_delay_alu instid0(VALU_DEP_1) | instskip(NEXT) | instid1(VALU_DEP_1)
	v_fma_f32 v97, v96, v97, -v98
	v_fmac_f32_e32 v97, v96, v87
	s_delay_alu instid0(VALU_DEP_3) | instskip(NEXT) | instid1(VALU_DEP_2)
	v_add_f32_e32 v20, v20, v101
	v_add_f32_e32 v87, v98, v97
	s_delay_alu instid0(VALU_DEP_1) | instskip(SKIP_1) | instid1(VALU_DEP_1)
	v_sub_f32_e32 v98, v87, v98
	v_sub_f32_e32 v100, v85, v87
	;; [unrolled: 1-line block ×3, first 2 shown]
	s_delay_alu instid0(VALU_DEP_1) | instskip(NEXT) | instid1(VALU_DEP_4)
	v_sub_f32_e32 v85, v85, v87
	v_sub_f32_e32 v87, v98, v97
	s_delay_alu instid0(VALU_DEP_2) | instskip(NEXT) | instid1(VALU_DEP_1)
	v_dual_add_f32 v20, v20, v85 :: v_dual_add_f32 v85, v99, v96
	v_dual_add_f32 v20, v87, v20 :: v_dual_sub_f32 v87, v85, v99
	s_delay_alu instid0(VALU_DEP_1) | instskip(NEXT) | instid1(VALU_DEP_1)
	v_add_f32_e32 v20, v100, v20
	v_dual_sub_f32 v87, v96, v87 :: v_dual_mul_f32 v20, v83, v20
	s_delay_alu instid0(VALU_DEP_1) | instskip(NEXT) | instid1(VALU_DEP_1)
	v_add_f32_e32 v20, v87, v20
	v_add_f32_e32 v83, v85, v20
	s_delay_alu instid0(VALU_DEP_1) | instskip(NEXT) | instid1(VALU_DEP_1)
	v_mul_f32_e32 v87, v83, v83
	v_fmaak_f32 v96, s10, v87, 0x3ecc95a3
	v_mul_f32_e32 v97, v83, v87
	v_cmp_gt_f32_e64 s10, 0x33800000, |v21|
	s_delay_alu instid0(VALU_DEP_3) | instskip(SKIP_2) | instid1(VALU_DEP_4)
	v_fmaak_f32 v87, v87, v96, 0x3f2aaada
	v_ldexp_f32 v96, v83, 1
	v_sub_f32_e32 v83, v83, v85
	s_or_b32 vcc_lo, vcc_lo, s10
	s_delay_alu instid0(VALU_DEP_3) | instskip(SKIP_1) | instid1(VALU_DEP_3)
	v_mul_f32_e32 v87, v97, v87
	v_mul_f32_e32 v97, 0x3f317218, v19
	v_sub_f32_e32 v20, v20, v83
	s_delay_alu instid0(VALU_DEP_3) | instskip(NEXT) | instid1(VALU_DEP_2)
	v_add_f32_e32 v85, v96, v87
	v_ldexp_f32 v20, v20, 1
	s_delay_alu instid0(VALU_DEP_2) | instskip(SKIP_1) | instid1(VALU_DEP_2)
	v_sub_f32_e32 v83, v85, v96
	v_fma_f32 v96, 0x3f317218, v19, -v97
	v_sub_f32_e32 v83, v87, v83
	s_delay_alu instid0(VALU_DEP_1) | instskip(NEXT) | instid1(VALU_DEP_1)
	v_dual_fmamk_f32 v19, v19, 0xb102e308, v96 :: v_dual_add_f32 v20, v20, v83
	v_add_f32_e32 v83, v97, v19
	s_delay_alu instid0(VALU_DEP_2) | instskip(NEXT) | instid1(VALU_DEP_2)
	v_add_f32_e32 v87, v85, v20
	v_sub_f32_e32 v97, v83, v97
	s_delay_alu instid0(VALU_DEP_2) | instskip(NEXT) | instid1(VALU_DEP_1)
	v_add_f32_e32 v96, v83, v87
	v_dual_sub_f32 v19, v19, v97 :: v_dual_sub_f32 v98, v96, v83
	v_sub_f32_e32 v85, v87, v85
	s_delay_alu instid0(VALU_DEP_2) | instskip(NEXT) | instid1(VALU_DEP_2)
	v_sub_f32_e32 v99, v96, v98
	v_dual_sub_f32 v20, v20, v85 :: v_dual_sub_f32 v85, v87, v98
	s_delay_alu instid0(VALU_DEP_2) | instskip(NEXT) | instid1(VALU_DEP_2)
	v_sub_f32_e32 v83, v83, v99
	v_add_f32_e32 v87, v19, v20
	s_delay_alu instid0(VALU_DEP_2) | instskip(NEXT) | instid1(VALU_DEP_2)
	v_add_f32_e32 v83, v85, v83
	v_sub_f32_e32 v85, v87, v19
	s_delay_alu instid0(VALU_DEP_2) | instskip(NEXT) | instid1(VALU_DEP_2)
	v_add_f32_e32 v83, v87, v83
	v_sub_f32_e32 v87, v87, v85
	v_sub_f32_e32 v20, v20, v85
	s_delay_alu instid0(VALU_DEP_3) | instskip(NEXT) | instid1(VALU_DEP_3)
	v_add_f32_e32 v97, v96, v83
	v_sub_f32_e32 v19, v19, v87
	s_delay_alu instid0(VALU_DEP_2) | instskip(NEXT) | instid1(VALU_DEP_1)
	v_sub_f32_e32 v85, v97, v96
	v_dual_add_f32 v19, v20, v19 :: v_dual_sub_f32 v20, v83, v85
	s_delay_alu instid0(VALU_DEP_1) | instskip(NEXT) | instid1(VALU_DEP_1)
	v_add_f32_e32 v19, v19, v20
	v_add_f32_e32 v19, v97, v19
	s_delay_alu instid0(VALU_DEP_1) | instskip(NEXT) | instid1(VALU_DEP_1)
	v_cndmask_b32_e32 v19, v19, v21, vcc_lo
	v_add_f32_e32 v19, v18, v19
.LBB501_65:
	s_or_b32 exec_lo, exec_lo, s9
	s_delay_alu instid0(VALU_DEP_1) | instskip(SKIP_1) | instid1(VALU_DEP_2)
	v_bfe_u32 v18, v19, 16, 1
	v_cmp_o_f32_e32 vcc_lo, v19, v19
	v_add3_u32 v18, v19, v18, 0x7fff
	s_delay_alu instid0(VALU_DEP_1) | instskip(NEXT) | instid1(VALU_DEP_1)
	v_and_b32_e32 v18, 0xffff0000, v18
	v_cndmask_b32_e32 v19, 0x7fc00000, v18, vcc_lo
	s_delay_alu instid0(VALU_DEP_1) | instskip(NEXT) | instid1(VALU_DEP_1)
	v_dual_max_f32 v18, v19, v19 :: v_dual_lshlrev_b32 v83, 16, v38
	v_max_f32_e32 v96, v83, v83
	v_cmp_u_f32_e32 vcc_lo, v19, v19
	v_cmp_u_f32_e64 s9, v83, v83
	s_delay_alu instid0(VALU_DEP_3) | instskip(SKIP_1) | instid1(VALU_DEP_2)
	v_min_f32_e32 v20, v18, v96
	v_max_f32_e32 v18, v18, v96
	v_cndmask_b32_e32 v20, v20, v19, vcc_lo
	s_delay_alu instid0(VALU_DEP_2) | instskip(NEXT) | instid1(VALU_DEP_2)
	v_cndmask_b32_e32 v18, v18, v19, vcc_lo
	v_cndmask_b32_e64 v20, v20, v83, s9
	s_delay_alu instid0(VALU_DEP_2) | instskip(NEXT) | instid1(VALU_DEP_2)
	v_cndmask_b32_e64 v18, v18, v83, s9
	v_cmp_class_f32_e64 s10, v20, 0x1f8
	s_delay_alu instid0(VALU_DEP_2) | instskip(NEXT) | instid1(VALU_DEP_2)
	v_cmp_neq_f32_e32 vcc_lo, v20, v18
	s_or_b32 s11, vcc_lo, s10
	s_delay_alu instid0(SALU_CYCLE_1)
	s_and_saveexec_b32 s10, s11
	s_cbranch_execz .LBB501_67
; %bb.66:
	v_sub_f32_e32 v19, v20, v18
	s_mov_b32 s11, 0x3e9b6dac
	s_delay_alu instid0(VALU_DEP_1) | instskip(SKIP_1) | instid1(VALU_DEP_2)
	v_mul_f32_e32 v20, 0x3fb8aa3b, v19
	v_cmp_ngt_f32_e32 vcc_lo, 0xc2ce8ed0, v19
	v_fma_f32 v21, 0x3fb8aa3b, v19, -v20
	v_rndne_f32_e32 v85, v20
	s_delay_alu instid0(VALU_DEP_1) | instskip(NEXT) | instid1(VALU_DEP_1)
	v_dual_fmamk_f32 v21, v19, 0x32a5705f, v21 :: v_dual_sub_f32 v20, v20, v85
	v_add_f32_e32 v20, v20, v21
	v_cvt_i32_f32_e32 v21, v85
	s_delay_alu instid0(VALU_DEP_2) | instskip(SKIP_2) | instid1(VALU_DEP_1)
	v_exp_f32_e32 v20, v20
	s_waitcnt_depctr 0xfff
	v_ldexp_f32 v20, v20, v21
	v_cndmask_b32_e32 v20, 0, v20, vcc_lo
	v_cmp_nlt_f32_e32 vcc_lo, 0x42b17218, v19
	s_delay_alu instid0(VALU_DEP_2) | instskip(NEXT) | instid1(VALU_DEP_1)
	v_cndmask_b32_e32 v21, 0x7f800000, v20, vcc_lo
	v_add_f32_e32 v85, 1.0, v21
	s_delay_alu instid0(VALU_DEP_1) | instskip(NEXT) | instid1(VALU_DEP_1)
	v_cvt_f64_f32_e32 v[19:20], v85
	v_frexp_exp_i32_f64_e32 v19, v[19:20]
	v_frexp_mant_f32_e32 v20, v85
	s_delay_alu instid0(VALU_DEP_1) | instskip(SKIP_1) | instid1(VALU_DEP_1)
	v_cmp_gt_f32_e32 vcc_lo, 0x3f2aaaab, v20
	v_add_f32_e32 v20, -1.0, v85
	v_dual_sub_f32 v97, v20, v85 :: v_dual_sub_f32 v20, v21, v20
	s_delay_alu instid0(VALU_DEP_1) | instskip(SKIP_2) | instid1(VALU_DEP_2)
	v_add_f32_e32 v97, 1.0, v97
	v_subrev_co_ci_u32_e32 v19, vcc_lo, 0, v19, vcc_lo
	v_cmp_eq_f32_e32 vcc_lo, 0x7f800000, v21
	v_sub_nc_u32_e32 v87, 0, v19
	v_cvt_f32_i32_e32 v19, v19
	s_delay_alu instid0(VALU_DEP_2) | instskip(SKIP_1) | instid1(VALU_DEP_1)
	v_ldexp_f32 v85, v85, v87
	v_add_f32_e32 v20, v20, v97
	v_ldexp_f32 v20, v20, v87
	s_delay_alu instid0(VALU_DEP_3) | instskip(NEXT) | instid1(VALU_DEP_1)
	v_add_f32_e32 v87, -1.0, v85
	v_dual_add_f32 v98, 1.0, v85 :: v_dual_add_f32 v99, 1.0, v87
	s_delay_alu instid0(VALU_DEP_1) | instskip(NEXT) | instid1(VALU_DEP_1)
	v_add_f32_e32 v97, -1.0, v98
	v_sub_f32_e32 v97, v85, v97
	s_delay_alu instid0(VALU_DEP_3) | instskip(NEXT) | instid1(VALU_DEP_2)
	v_sub_f32_e32 v85, v85, v99
	v_add_f32_e32 v97, v20, v97
	s_delay_alu instid0(VALU_DEP_1) | instskip(NEXT) | instid1(VALU_DEP_1)
	v_add_f32_e32 v99, v98, v97
	v_sub_f32_e32 v98, v98, v99
	s_delay_alu instid0(VALU_DEP_4) | instskip(SKIP_1) | instid1(VALU_DEP_1)
	v_add_f32_e32 v20, v20, v85
	v_rcp_f32_e32 v85, v99
	v_dual_add_f32 v97, v97, v98 :: v_dual_add_f32 v100, v87, v20
	s_delay_alu instid0(VALU_DEP_1) | instskip(SKIP_3) | instid1(VALU_DEP_2)
	v_sub_f32_e32 v87, v87, v100
	s_waitcnt_depctr 0xfff
	v_mul_f32_e32 v101, v100, v85
	v_add_f32_e32 v20, v20, v87
	v_mul_f32_e32 v102, v99, v101
	s_delay_alu instid0(VALU_DEP_1) | instskip(NEXT) | instid1(VALU_DEP_1)
	v_fma_f32 v98, v101, v99, -v102
	v_fmac_f32_e32 v98, v101, v97
	s_delay_alu instid0(VALU_DEP_1) | instskip(NEXT) | instid1(VALU_DEP_1)
	v_add_f32_e32 v103, v102, v98
	v_sub_f32_e32 v112, v100, v103
	s_delay_alu instid0(VALU_DEP_1) | instskip(NEXT) | instid1(VALU_DEP_1)
	v_dual_sub_f32 v100, v100, v112 :: v_dual_sub_f32 v87, v103, v102
	v_dual_sub_f32 v100, v100, v103 :: v_dual_sub_f32 v87, v87, v98
	s_delay_alu instid0(VALU_DEP_1) | instskip(NEXT) | instid1(VALU_DEP_1)
	v_add_f32_e32 v20, v20, v100
	v_add_f32_e32 v20, v87, v20
	s_delay_alu instid0(VALU_DEP_1) | instskip(NEXT) | instid1(VALU_DEP_1)
	v_add_f32_e32 v87, v112, v20
	v_mul_f32_e32 v98, v85, v87
	s_delay_alu instid0(VALU_DEP_1) | instskip(NEXT) | instid1(VALU_DEP_1)
	v_dual_sub_f32 v103, v112, v87 :: v_dual_mul_f32 v100, v99, v98
	v_add_f32_e32 v20, v20, v103
	s_delay_alu instid0(VALU_DEP_2) | instskip(NEXT) | instid1(VALU_DEP_1)
	v_fma_f32 v99, v98, v99, -v100
	v_fmac_f32_e32 v99, v98, v97
	s_delay_alu instid0(VALU_DEP_1) | instskip(NEXT) | instid1(VALU_DEP_1)
	v_add_f32_e32 v97, v100, v99
	v_sub_f32_e32 v102, v87, v97
	s_delay_alu instid0(VALU_DEP_1) | instskip(NEXT) | instid1(VALU_DEP_1)
	v_dual_sub_f32 v87, v87, v102 :: v_dual_sub_f32 v100, v97, v100
	v_sub_f32_e32 v87, v87, v97
	s_delay_alu instid0(VALU_DEP_2) | instskip(NEXT) | instid1(VALU_DEP_2)
	v_sub_f32_e32 v97, v100, v99
	v_dual_add_f32 v20, v20, v87 :: v_dual_add_f32 v87, v101, v98
	s_delay_alu instid0(VALU_DEP_1) | instskip(NEXT) | instid1(VALU_DEP_1)
	v_dual_add_f32 v20, v97, v20 :: v_dual_sub_f32 v97, v87, v101
	v_add_f32_e32 v20, v102, v20
	s_delay_alu instid0(VALU_DEP_1) | instskip(NEXT) | instid1(VALU_DEP_1)
	v_dual_sub_f32 v97, v98, v97 :: v_dual_mul_f32 v20, v85, v20
	v_add_f32_e32 v20, v97, v20
	s_delay_alu instid0(VALU_DEP_1) | instskip(NEXT) | instid1(VALU_DEP_1)
	v_add_f32_e32 v85, v87, v20
	v_mul_f32_e32 v97, v85, v85
	s_delay_alu instid0(VALU_DEP_1) | instskip(SKIP_2) | instid1(VALU_DEP_3)
	v_fmaak_f32 v98, s11, v97, 0x3ecc95a3
	v_mul_f32_e32 v99, v85, v97
	v_cmp_gt_f32_e64 s11, 0x33800000, |v21|
	v_fmaak_f32 v97, v97, v98, 0x3f2aaada
	v_ldexp_f32 v98, v85, 1
	v_sub_f32_e32 v85, v85, v87
	s_delay_alu instid0(VALU_DEP_4) | instskip(NEXT) | instid1(VALU_DEP_3)
	s_or_b32 vcc_lo, vcc_lo, s11
	v_mul_f32_e32 v97, v99, v97
	s_delay_alu instid0(VALU_DEP_2) | instskip(NEXT) | instid1(VALU_DEP_2)
	v_sub_f32_e32 v20, v20, v85
	v_add_f32_e32 v87, v98, v97
	s_delay_alu instid0(VALU_DEP_2) | instskip(NEXT) | instid1(VALU_DEP_2)
	v_ldexp_f32 v20, v20, 1
	v_sub_f32_e32 v85, v87, v98
	s_delay_alu instid0(VALU_DEP_1) | instskip(NEXT) | instid1(VALU_DEP_1)
	v_sub_f32_e32 v85, v97, v85
	v_dual_mul_f32 v99, 0x3f317218, v19 :: v_dual_add_f32 v20, v20, v85
	s_delay_alu instid0(VALU_DEP_1) | instskip(NEXT) | instid1(VALU_DEP_2)
	v_fma_f32 v98, 0x3f317218, v19, -v99
	v_add_f32_e32 v97, v87, v20
	s_delay_alu instid0(VALU_DEP_2) | instskip(NEXT) | instid1(VALU_DEP_1)
	v_fmamk_f32 v19, v19, 0xb102e308, v98
	v_add_f32_e32 v85, v99, v19
	s_delay_alu instid0(VALU_DEP_1) | instskip(NEXT) | instid1(VALU_DEP_1)
	v_add_f32_e32 v98, v85, v97
	v_dual_sub_f32 v99, v85, v99 :: v_dual_sub_f32 v100, v98, v85
	v_sub_f32_e32 v87, v97, v87
	s_delay_alu instid0(VALU_DEP_2) | instskip(NEXT) | instid1(VALU_DEP_2)
	v_sub_f32_e32 v19, v19, v99
	v_dual_sub_f32 v101, v98, v100 :: v_dual_sub_f32 v20, v20, v87
	v_sub_f32_e32 v87, v97, v100
	s_delay_alu instid0(VALU_DEP_2) | instskip(NEXT) | instid1(VALU_DEP_3)
	v_sub_f32_e32 v85, v85, v101
	v_add_f32_e32 v97, v19, v20
	s_delay_alu instid0(VALU_DEP_2) | instskip(NEXT) | instid1(VALU_DEP_2)
	v_add_f32_e32 v85, v87, v85
	v_sub_f32_e32 v87, v97, v19
	s_delay_alu instid0(VALU_DEP_2) | instskip(NEXT) | instid1(VALU_DEP_2)
	v_add_f32_e32 v85, v97, v85
	v_sub_f32_e32 v97, v97, v87
	s_delay_alu instid0(VALU_DEP_2) | instskip(NEXT) | instid1(VALU_DEP_2)
	v_dual_sub_f32 v20, v20, v87 :: v_dual_add_f32 v99, v98, v85
	v_sub_f32_e32 v19, v19, v97
	s_delay_alu instid0(VALU_DEP_2) | instskip(NEXT) | instid1(VALU_DEP_2)
	v_sub_f32_e32 v87, v99, v98
	v_add_f32_e32 v19, v20, v19
	s_delay_alu instid0(VALU_DEP_2) | instskip(NEXT) | instid1(VALU_DEP_1)
	v_sub_f32_e32 v20, v85, v87
	v_add_f32_e32 v19, v19, v20
	s_delay_alu instid0(VALU_DEP_1) | instskip(NEXT) | instid1(VALU_DEP_1)
	v_add_f32_e32 v19, v99, v19
	v_cndmask_b32_e32 v19, v19, v21, vcc_lo
	s_delay_alu instid0(VALU_DEP_1)
	v_add_f32_e32 v19, v18, v19
.LBB501_67:
	s_or_b32 exec_lo, exec_lo, s10
	s_delay_alu instid0(VALU_DEP_1) | instskip(SKIP_1) | instid1(VALU_DEP_2)
	v_bfe_u32 v18, v19, 16, 1
	v_cmp_o_f32_e32 vcc_lo, v19, v19
	v_add3_u32 v18, v19, v18, 0x7fff
	s_delay_alu instid0(VALU_DEP_1) | instskip(NEXT) | instid1(VALU_DEP_1)
	v_and_b32_e32 v18, 0xffff0000, v18
	v_cndmask_b32_e32 v19, 0x7fc00000, v18, vcc_lo
	s_delay_alu instid0(VALU_DEP_1) | instskip(NEXT) | instid1(VALU_DEP_1)
	v_dual_max_f32 v18, v19, v19 :: v_dual_lshlrev_b32 v85, 16, v37
	v_max_f32_e32 v98, v85, v85
	v_cmp_u_f32_e32 vcc_lo, v19, v19
	v_cmp_u_f32_e64 s10, v85, v85
	s_delay_alu instid0(VALU_DEP_3) | instskip(SKIP_1) | instid1(VALU_DEP_2)
	v_min_f32_e32 v20, v18, v98
	v_max_f32_e32 v18, v18, v98
	v_cndmask_b32_e32 v20, v20, v19, vcc_lo
	s_delay_alu instid0(VALU_DEP_2) | instskip(NEXT) | instid1(VALU_DEP_2)
	v_cndmask_b32_e32 v18, v18, v19, vcc_lo
	v_cndmask_b32_e64 v20, v20, v85, s10
	s_delay_alu instid0(VALU_DEP_2) | instskip(NEXT) | instid1(VALU_DEP_2)
	v_cndmask_b32_e64 v18, v18, v85, s10
	v_cmp_class_f32_e64 s11, v20, 0x1f8
	s_delay_alu instid0(VALU_DEP_2) | instskip(NEXT) | instid1(VALU_DEP_2)
	v_cmp_neq_f32_e32 vcc_lo, v20, v18
	s_or_b32 s13, vcc_lo, s11
	s_delay_alu instid0(SALU_CYCLE_1)
	s_and_saveexec_b32 s11, s13
	s_cbranch_execz .LBB501_69
; %bb.68:
	v_sub_f32_e32 v19, v20, v18
	s_mov_b32 s13, 0x3e9b6dac
	s_delay_alu instid0(VALU_DEP_1) | instskip(SKIP_1) | instid1(VALU_DEP_2)
	v_mul_f32_e32 v20, 0x3fb8aa3b, v19
	v_cmp_ngt_f32_e32 vcc_lo, 0xc2ce8ed0, v19
	v_fma_f32 v21, 0x3fb8aa3b, v19, -v20
	v_rndne_f32_e32 v87, v20
	s_delay_alu instid0(VALU_DEP_1) | instskip(NEXT) | instid1(VALU_DEP_1)
	v_dual_fmamk_f32 v21, v19, 0x32a5705f, v21 :: v_dual_sub_f32 v20, v20, v87
	v_add_f32_e32 v20, v20, v21
	v_cvt_i32_f32_e32 v21, v87
	s_delay_alu instid0(VALU_DEP_2) | instskip(SKIP_2) | instid1(VALU_DEP_1)
	v_exp_f32_e32 v20, v20
	s_waitcnt_depctr 0xfff
	v_ldexp_f32 v20, v20, v21
	v_cndmask_b32_e32 v20, 0, v20, vcc_lo
	v_cmp_nlt_f32_e32 vcc_lo, 0x42b17218, v19
	s_delay_alu instid0(VALU_DEP_2) | instskip(NEXT) | instid1(VALU_DEP_1)
	v_cndmask_b32_e32 v21, 0x7f800000, v20, vcc_lo
	v_add_f32_e32 v87, 1.0, v21
	s_delay_alu instid0(VALU_DEP_1) | instskip(NEXT) | instid1(VALU_DEP_1)
	v_cvt_f64_f32_e32 v[19:20], v87
	v_frexp_exp_i32_f64_e32 v19, v[19:20]
	v_frexp_mant_f32_e32 v20, v87
	s_delay_alu instid0(VALU_DEP_1) | instskip(SKIP_1) | instid1(VALU_DEP_1)
	v_cmp_gt_f32_e32 vcc_lo, 0x3f2aaaab, v20
	v_add_f32_e32 v20, -1.0, v87
	v_dual_sub_f32 v99, v20, v87 :: v_dual_sub_f32 v20, v21, v20
	s_delay_alu instid0(VALU_DEP_1) | instskip(NEXT) | instid1(VALU_DEP_1)
	v_add_f32_e32 v99, 1.0, v99
	v_add_f32_e32 v20, v20, v99
	v_subrev_co_ci_u32_e32 v19, vcc_lo, 0, v19, vcc_lo
	v_cmp_eq_f32_e32 vcc_lo, 0x7f800000, v21
	s_delay_alu instid0(VALU_DEP_2) | instskip(SKIP_1) | instid1(VALU_DEP_2)
	v_sub_nc_u32_e32 v97, 0, v19
	v_cvt_f32_i32_e32 v19, v19
	v_ldexp_f32 v87, v87, v97
	v_ldexp_f32 v20, v20, v97
	s_delay_alu instid0(VALU_DEP_2) | instskip(NEXT) | instid1(VALU_DEP_1)
	v_add_f32_e32 v97, -1.0, v87
	v_dual_add_f32 v100, 1.0, v87 :: v_dual_add_f32 v101, 1.0, v97
	s_delay_alu instid0(VALU_DEP_1) | instskip(NEXT) | instid1(VALU_DEP_1)
	v_add_f32_e32 v99, -1.0, v100
	v_sub_f32_e32 v99, v87, v99
	s_delay_alu instid0(VALU_DEP_3) | instskip(NEXT) | instid1(VALU_DEP_2)
	v_sub_f32_e32 v87, v87, v101
	v_add_f32_e32 v99, v20, v99
	s_delay_alu instid0(VALU_DEP_1) | instskip(NEXT) | instid1(VALU_DEP_1)
	v_add_f32_e32 v101, v100, v99
	v_sub_f32_e32 v100, v100, v101
	s_delay_alu instid0(VALU_DEP_4) | instskip(SKIP_1) | instid1(VALU_DEP_2)
	v_add_f32_e32 v20, v20, v87
	v_rcp_f32_e32 v87, v101
	v_add_f32_e32 v99, v99, v100
	s_delay_alu instid0(VALU_DEP_2) | instskip(NEXT) | instid1(VALU_DEP_1)
	v_add_f32_e32 v102, v97, v20
	v_sub_f32_e32 v97, v97, v102
	s_waitcnt_depctr 0xfff
	v_dual_mul_f32 v103, v102, v87 :: v_dual_add_f32 v20, v20, v97
	s_delay_alu instid0(VALU_DEP_1) | instskip(NEXT) | instid1(VALU_DEP_1)
	v_mul_f32_e32 v112, v101, v103
	v_fma_f32 v100, v103, v101, -v112
	s_delay_alu instid0(VALU_DEP_1) | instskip(NEXT) | instid1(VALU_DEP_1)
	v_fmac_f32_e32 v100, v103, v99
	v_add_f32_e32 v113, v112, v100
	s_delay_alu instid0(VALU_DEP_1) | instskip(NEXT) | instid1(VALU_DEP_1)
	v_dual_sub_f32 v114, v102, v113 :: v_dual_sub_f32 v97, v113, v112
	v_sub_f32_e32 v102, v102, v114
	s_delay_alu instid0(VALU_DEP_1) | instskip(NEXT) | instid1(VALU_DEP_1)
	v_dual_sub_f32 v102, v102, v113 :: v_dual_sub_f32 v97, v97, v100
	v_add_f32_e32 v20, v20, v102
	s_delay_alu instid0(VALU_DEP_1) | instskip(NEXT) | instid1(VALU_DEP_1)
	v_add_f32_e32 v20, v97, v20
	v_add_f32_e32 v97, v114, v20
	s_delay_alu instid0(VALU_DEP_1) | instskip(NEXT) | instid1(VALU_DEP_1)
	v_mul_f32_e32 v100, v87, v97
	v_dual_sub_f32 v113, v114, v97 :: v_dual_mul_f32 v102, v101, v100
	s_delay_alu instid0(VALU_DEP_1) | instskip(NEXT) | instid1(VALU_DEP_1)
	v_fma_f32 v101, v100, v101, -v102
	v_fmac_f32_e32 v101, v100, v99
	s_delay_alu instid0(VALU_DEP_3) | instskip(NEXT) | instid1(VALU_DEP_2)
	v_add_f32_e32 v20, v20, v113
	v_add_f32_e32 v99, v102, v101
	s_delay_alu instid0(VALU_DEP_1) | instskip(SKIP_1) | instid1(VALU_DEP_1)
	v_sub_f32_e32 v102, v99, v102
	v_sub_f32_e32 v112, v97, v99
	;; [unrolled: 1-line block ×3, first 2 shown]
	s_delay_alu instid0(VALU_DEP_1) | instskip(NEXT) | instid1(VALU_DEP_4)
	v_sub_f32_e32 v97, v97, v99
	v_sub_f32_e32 v99, v102, v101
	s_delay_alu instid0(VALU_DEP_2) | instskip(NEXT) | instid1(VALU_DEP_1)
	v_dual_add_f32 v20, v20, v97 :: v_dual_add_f32 v97, v103, v100
	v_dual_add_f32 v20, v99, v20 :: v_dual_sub_f32 v99, v97, v103
	s_delay_alu instid0(VALU_DEP_1) | instskip(NEXT) | instid1(VALU_DEP_1)
	v_add_f32_e32 v20, v112, v20
	v_dual_sub_f32 v99, v100, v99 :: v_dual_mul_f32 v20, v87, v20
	s_delay_alu instid0(VALU_DEP_1) | instskip(NEXT) | instid1(VALU_DEP_1)
	v_add_f32_e32 v20, v99, v20
	v_add_f32_e32 v87, v97, v20
	s_delay_alu instid0(VALU_DEP_1) | instskip(NEXT) | instid1(VALU_DEP_1)
	v_mul_f32_e32 v99, v87, v87
	v_fmaak_f32 v100, s13, v99, 0x3ecc95a3
	v_mul_f32_e32 v101, v87, v99
	v_cmp_gt_f32_e64 s13, 0x33800000, |v21|
	s_delay_alu instid0(VALU_DEP_3) | instskip(SKIP_2) | instid1(VALU_DEP_4)
	v_fmaak_f32 v99, v99, v100, 0x3f2aaada
	v_ldexp_f32 v100, v87, 1
	v_sub_f32_e32 v87, v87, v97
	s_or_b32 vcc_lo, vcc_lo, s13
	s_delay_alu instid0(VALU_DEP_3) | instskip(SKIP_1) | instid1(VALU_DEP_3)
	v_mul_f32_e32 v99, v101, v99
	v_mul_f32_e32 v101, 0x3f317218, v19
	v_sub_f32_e32 v20, v20, v87
	s_delay_alu instid0(VALU_DEP_3) | instskip(NEXT) | instid1(VALU_DEP_2)
	v_add_f32_e32 v97, v100, v99
	v_ldexp_f32 v20, v20, 1
	s_delay_alu instid0(VALU_DEP_2) | instskip(SKIP_1) | instid1(VALU_DEP_2)
	v_sub_f32_e32 v87, v97, v100
	v_fma_f32 v100, 0x3f317218, v19, -v101
	v_sub_f32_e32 v87, v99, v87
	s_delay_alu instid0(VALU_DEP_1) | instskip(NEXT) | instid1(VALU_DEP_1)
	v_dual_fmamk_f32 v19, v19, 0xb102e308, v100 :: v_dual_add_f32 v20, v20, v87
	v_add_f32_e32 v87, v101, v19
	s_delay_alu instid0(VALU_DEP_2) | instskip(NEXT) | instid1(VALU_DEP_2)
	v_add_f32_e32 v99, v97, v20
	v_sub_f32_e32 v101, v87, v101
	s_delay_alu instid0(VALU_DEP_2) | instskip(NEXT) | instid1(VALU_DEP_1)
	v_add_f32_e32 v100, v87, v99
	v_dual_sub_f32 v19, v19, v101 :: v_dual_sub_f32 v102, v100, v87
	v_sub_f32_e32 v97, v99, v97
	s_delay_alu instid0(VALU_DEP_2) | instskip(NEXT) | instid1(VALU_DEP_2)
	v_sub_f32_e32 v103, v100, v102
	v_dual_sub_f32 v20, v20, v97 :: v_dual_sub_f32 v97, v99, v102
	s_delay_alu instid0(VALU_DEP_2) | instskip(NEXT) | instid1(VALU_DEP_2)
	v_sub_f32_e32 v87, v87, v103
	v_add_f32_e32 v99, v19, v20
	s_delay_alu instid0(VALU_DEP_2) | instskip(NEXT) | instid1(VALU_DEP_2)
	v_add_f32_e32 v87, v97, v87
	v_sub_f32_e32 v97, v99, v19
	s_delay_alu instid0(VALU_DEP_2) | instskip(NEXT) | instid1(VALU_DEP_2)
	v_add_f32_e32 v87, v99, v87
	v_sub_f32_e32 v99, v99, v97
	v_sub_f32_e32 v20, v20, v97
	s_delay_alu instid0(VALU_DEP_3) | instskip(NEXT) | instid1(VALU_DEP_3)
	v_add_f32_e32 v101, v100, v87
	v_sub_f32_e32 v19, v19, v99
	s_delay_alu instid0(VALU_DEP_2) | instskip(NEXT) | instid1(VALU_DEP_1)
	v_sub_f32_e32 v97, v101, v100
	v_dual_add_f32 v19, v20, v19 :: v_dual_sub_f32 v20, v87, v97
	s_delay_alu instid0(VALU_DEP_1) | instskip(NEXT) | instid1(VALU_DEP_1)
	v_add_f32_e32 v19, v19, v20
	v_add_f32_e32 v19, v101, v19
	s_delay_alu instid0(VALU_DEP_1) | instskip(NEXT) | instid1(VALU_DEP_1)
	v_cndmask_b32_e32 v19, v19, v21, vcc_lo
	v_add_f32_e32 v19, v18, v19
.LBB501_69:
	s_or_b32 exec_lo, exec_lo, s11
	s_delay_alu instid0(VALU_DEP_1) | instskip(SKIP_1) | instid1(VALU_DEP_2)
	v_bfe_u32 v18, v19, 16, 1
	v_cmp_o_f32_e32 vcc_lo, v19, v19
	v_add3_u32 v18, v19, v18, 0x7fff
	s_delay_alu instid0(VALU_DEP_1) | instskip(NEXT) | instid1(VALU_DEP_1)
	v_and_b32_e32 v18, 0xffff0000, v18
	v_cndmask_b32_e32 v19, 0x7fc00000, v18, vcc_lo
	s_delay_alu instid0(VALU_DEP_1) | instskip(NEXT) | instid1(VALU_DEP_1)
	v_dual_max_f32 v18, v19, v19 :: v_dual_lshlrev_b32 v87, 16, v36
	v_max_f32_e32 v100, v87, v87
	v_cmp_u_f32_e32 vcc_lo, v19, v19
	v_cmp_u_f32_e64 s11, v87, v87
	s_delay_alu instid0(VALU_DEP_3) | instskip(SKIP_1) | instid1(VALU_DEP_2)
	v_min_f32_e32 v20, v18, v100
	v_max_f32_e32 v18, v18, v100
	v_cndmask_b32_e32 v20, v20, v19, vcc_lo
	s_delay_alu instid0(VALU_DEP_2) | instskip(NEXT) | instid1(VALU_DEP_2)
	v_cndmask_b32_e32 v18, v18, v19, vcc_lo
	v_cndmask_b32_e64 v20, v20, v87, s11
	s_delay_alu instid0(VALU_DEP_2) | instskip(NEXT) | instid1(VALU_DEP_2)
	v_cndmask_b32_e64 v18, v18, v87, s11
	v_cmp_class_f32_e64 s13, v20, 0x1f8
	s_delay_alu instid0(VALU_DEP_2) | instskip(NEXT) | instid1(VALU_DEP_2)
	v_cmp_neq_f32_e32 vcc_lo, v20, v18
	s_or_b32 s14, vcc_lo, s13
	s_delay_alu instid0(SALU_CYCLE_1)
	s_and_saveexec_b32 s13, s14
	s_cbranch_execz .LBB501_71
; %bb.70:
	v_sub_f32_e32 v19, v20, v18
	s_mov_b32 s14, 0x3e9b6dac
	s_delay_alu instid0(VALU_DEP_1) | instskip(SKIP_1) | instid1(VALU_DEP_2)
	v_mul_f32_e32 v20, 0x3fb8aa3b, v19
	v_cmp_ngt_f32_e32 vcc_lo, 0xc2ce8ed0, v19
	v_fma_f32 v21, 0x3fb8aa3b, v19, -v20
	v_rndne_f32_e32 v97, v20
	s_delay_alu instid0(VALU_DEP_1) | instskip(NEXT) | instid1(VALU_DEP_1)
	v_dual_fmamk_f32 v21, v19, 0x32a5705f, v21 :: v_dual_sub_f32 v20, v20, v97
	v_add_f32_e32 v20, v20, v21
	v_cvt_i32_f32_e32 v21, v97
	s_delay_alu instid0(VALU_DEP_2) | instskip(SKIP_2) | instid1(VALU_DEP_1)
	v_exp_f32_e32 v20, v20
	s_waitcnt_depctr 0xfff
	v_ldexp_f32 v20, v20, v21
	v_cndmask_b32_e32 v20, 0, v20, vcc_lo
	v_cmp_nlt_f32_e32 vcc_lo, 0x42b17218, v19
	s_delay_alu instid0(VALU_DEP_2) | instskip(NEXT) | instid1(VALU_DEP_1)
	v_cndmask_b32_e32 v21, 0x7f800000, v20, vcc_lo
	v_add_f32_e32 v97, 1.0, v21
	s_delay_alu instid0(VALU_DEP_1) | instskip(NEXT) | instid1(VALU_DEP_1)
	v_cvt_f64_f32_e32 v[19:20], v97
	v_frexp_exp_i32_f64_e32 v19, v[19:20]
	v_frexp_mant_f32_e32 v20, v97
	s_delay_alu instid0(VALU_DEP_1) | instskip(SKIP_1) | instid1(VALU_DEP_1)
	v_cmp_gt_f32_e32 vcc_lo, 0x3f2aaaab, v20
	v_add_f32_e32 v20, -1.0, v97
	v_dual_sub_f32 v101, v20, v97 :: v_dual_sub_f32 v20, v21, v20
	s_delay_alu instid0(VALU_DEP_1) | instskip(SKIP_2) | instid1(VALU_DEP_2)
	v_add_f32_e32 v101, 1.0, v101
	v_subrev_co_ci_u32_e32 v19, vcc_lo, 0, v19, vcc_lo
	v_cmp_eq_f32_e32 vcc_lo, 0x7f800000, v21
	v_sub_nc_u32_e32 v99, 0, v19
	v_cvt_f32_i32_e32 v19, v19
	s_delay_alu instid0(VALU_DEP_2) | instskip(SKIP_1) | instid1(VALU_DEP_1)
	v_ldexp_f32 v97, v97, v99
	v_add_f32_e32 v20, v20, v101
	v_ldexp_f32 v20, v20, v99
	s_delay_alu instid0(VALU_DEP_3) | instskip(NEXT) | instid1(VALU_DEP_1)
	v_add_f32_e32 v99, -1.0, v97
	v_dual_add_f32 v102, 1.0, v97 :: v_dual_add_f32 v103, 1.0, v99
	s_delay_alu instid0(VALU_DEP_1) | instskip(NEXT) | instid1(VALU_DEP_1)
	v_add_f32_e32 v101, -1.0, v102
	v_sub_f32_e32 v101, v97, v101
	s_delay_alu instid0(VALU_DEP_3) | instskip(NEXT) | instid1(VALU_DEP_2)
	v_sub_f32_e32 v97, v97, v103
	v_add_f32_e32 v101, v20, v101
	s_delay_alu instid0(VALU_DEP_1) | instskip(NEXT) | instid1(VALU_DEP_1)
	v_add_f32_e32 v103, v102, v101
	v_sub_f32_e32 v102, v102, v103
	s_delay_alu instid0(VALU_DEP_4) | instskip(SKIP_1) | instid1(VALU_DEP_1)
	v_add_f32_e32 v20, v20, v97
	v_rcp_f32_e32 v97, v103
	v_dual_add_f32 v101, v101, v102 :: v_dual_add_f32 v112, v99, v20
	s_delay_alu instid0(VALU_DEP_1) | instskip(SKIP_3) | instid1(VALU_DEP_2)
	v_sub_f32_e32 v99, v99, v112
	s_waitcnt_depctr 0xfff
	v_mul_f32_e32 v113, v112, v97
	v_add_f32_e32 v20, v20, v99
	v_mul_f32_e32 v114, v103, v113
	s_delay_alu instid0(VALU_DEP_1) | instskip(NEXT) | instid1(VALU_DEP_1)
	v_fma_f32 v102, v113, v103, -v114
	v_fmac_f32_e32 v102, v113, v101
	s_delay_alu instid0(VALU_DEP_1) | instskip(NEXT) | instid1(VALU_DEP_1)
	v_add_f32_e32 v115, v114, v102
	v_sub_f32_e32 v116, v112, v115
	s_delay_alu instid0(VALU_DEP_1) | instskip(NEXT) | instid1(VALU_DEP_1)
	v_dual_sub_f32 v112, v112, v116 :: v_dual_sub_f32 v99, v115, v114
	v_dual_sub_f32 v112, v112, v115 :: v_dual_sub_f32 v99, v99, v102
	s_delay_alu instid0(VALU_DEP_1) | instskip(NEXT) | instid1(VALU_DEP_1)
	v_add_f32_e32 v20, v20, v112
	v_add_f32_e32 v20, v99, v20
	s_delay_alu instid0(VALU_DEP_1) | instskip(NEXT) | instid1(VALU_DEP_1)
	v_add_f32_e32 v99, v116, v20
	v_mul_f32_e32 v102, v97, v99
	s_delay_alu instid0(VALU_DEP_1) | instskip(NEXT) | instid1(VALU_DEP_1)
	v_dual_sub_f32 v115, v116, v99 :: v_dual_mul_f32 v112, v103, v102
	v_add_f32_e32 v20, v20, v115
	s_delay_alu instid0(VALU_DEP_2) | instskip(NEXT) | instid1(VALU_DEP_1)
	v_fma_f32 v103, v102, v103, -v112
	v_fmac_f32_e32 v103, v102, v101
	s_delay_alu instid0(VALU_DEP_1) | instskip(NEXT) | instid1(VALU_DEP_1)
	v_add_f32_e32 v101, v112, v103
	v_sub_f32_e32 v114, v99, v101
	s_delay_alu instid0(VALU_DEP_1) | instskip(NEXT) | instid1(VALU_DEP_1)
	v_dual_sub_f32 v99, v99, v114 :: v_dual_sub_f32 v112, v101, v112
	v_sub_f32_e32 v99, v99, v101
	s_delay_alu instid0(VALU_DEP_2) | instskip(NEXT) | instid1(VALU_DEP_2)
	v_sub_f32_e32 v101, v112, v103
	v_dual_add_f32 v20, v20, v99 :: v_dual_add_f32 v99, v113, v102
	s_delay_alu instid0(VALU_DEP_1) | instskip(NEXT) | instid1(VALU_DEP_1)
	v_dual_add_f32 v20, v101, v20 :: v_dual_sub_f32 v101, v99, v113
	v_add_f32_e32 v20, v114, v20
	s_delay_alu instid0(VALU_DEP_1) | instskip(NEXT) | instid1(VALU_DEP_1)
	v_dual_sub_f32 v101, v102, v101 :: v_dual_mul_f32 v20, v97, v20
	v_add_f32_e32 v20, v101, v20
	s_delay_alu instid0(VALU_DEP_1) | instskip(NEXT) | instid1(VALU_DEP_1)
	v_add_f32_e32 v97, v99, v20
	v_mul_f32_e32 v101, v97, v97
	s_delay_alu instid0(VALU_DEP_1) | instskip(SKIP_2) | instid1(VALU_DEP_3)
	v_fmaak_f32 v102, s14, v101, 0x3ecc95a3
	v_mul_f32_e32 v103, v97, v101
	v_cmp_gt_f32_e64 s14, 0x33800000, |v21|
	v_fmaak_f32 v101, v101, v102, 0x3f2aaada
	v_ldexp_f32 v102, v97, 1
	v_sub_f32_e32 v97, v97, v99
	s_delay_alu instid0(VALU_DEP_4) | instskip(NEXT) | instid1(VALU_DEP_3)
	s_or_b32 vcc_lo, vcc_lo, s14
	v_mul_f32_e32 v101, v103, v101
	s_delay_alu instid0(VALU_DEP_2) | instskip(NEXT) | instid1(VALU_DEP_2)
	v_sub_f32_e32 v20, v20, v97
	v_add_f32_e32 v99, v102, v101
	s_delay_alu instid0(VALU_DEP_2) | instskip(NEXT) | instid1(VALU_DEP_2)
	v_ldexp_f32 v20, v20, 1
	v_sub_f32_e32 v97, v99, v102
	s_delay_alu instid0(VALU_DEP_1) | instskip(NEXT) | instid1(VALU_DEP_1)
	v_sub_f32_e32 v97, v101, v97
	v_dual_mul_f32 v103, 0x3f317218, v19 :: v_dual_add_f32 v20, v20, v97
	s_delay_alu instid0(VALU_DEP_1) | instskip(NEXT) | instid1(VALU_DEP_2)
	v_fma_f32 v102, 0x3f317218, v19, -v103
	v_add_f32_e32 v101, v99, v20
	s_delay_alu instid0(VALU_DEP_2) | instskip(NEXT) | instid1(VALU_DEP_1)
	v_fmamk_f32 v19, v19, 0xb102e308, v102
	v_add_f32_e32 v97, v103, v19
	s_delay_alu instid0(VALU_DEP_1) | instskip(NEXT) | instid1(VALU_DEP_1)
	v_add_f32_e32 v102, v97, v101
	v_dual_sub_f32 v103, v97, v103 :: v_dual_sub_f32 v112, v102, v97
	v_sub_f32_e32 v99, v101, v99
	s_delay_alu instid0(VALU_DEP_2) | instskip(NEXT) | instid1(VALU_DEP_2)
	v_sub_f32_e32 v19, v19, v103
	v_dual_sub_f32 v113, v102, v112 :: v_dual_sub_f32 v20, v20, v99
	v_sub_f32_e32 v99, v101, v112
	s_delay_alu instid0(VALU_DEP_2) | instskip(NEXT) | instid1(VALU_DEP_3)
	v_sub_f32_e32 v97, v97, v113
	v_add_f32_e32 v101, v19, v20
	s_delay_alu instid0(VALU_DEP_2) | instskip(NEXT) | instid1(VALU_DEP_2)
	v_add_f32_e32 v97, v99, v97
	v_sub_f32_e32 v99, v101, v19
	s_delay_alu instid0(VALU_DEP_2) | instskip(NEXT) | instid1(VALU_DEP_2)
	v_add_f32_e32 v97, v101, v97
	v_sub_f32_e32 v101, v101, v99
	s_delay_alu instid0(VALU_DEP_2) | instskip(NEXT) | instid1(VALU_DEP_2)
	v_dual_sub_f32 v20, v20, v99 :: v_dual_add_f32 v103, v102, v97
	v_sub_f32_e32 v19, v19, v101
	s_delay_alu instid0(VALU_DEP_2) | instskip(NEXT) | instid1(VALU_DEP_2)
	v_sub_f32_e32 v99, v103, v102
	v_add_f32_e32 v19, v20, v19
	s_delay_alu instid0(VALU_DEP_2) | instskip(NEXT) | instid1(VALU_DEP_1)
	v_sub_f32_e32 v20, v97, v99
	v_add_f32_e32 v19, v19, v20
	s_delay_alu instid0(VALU_DEP_1) | instskip(NEXT) | instid1(VALU_DEP_1)
	v_add_f32_e32 v19, v103, v19
	v_cndmask_b32_e32 v19, v19, v21, vcc_lo
	s_delay_alu instid0(VALU_DEP_1)
	v_add_f32_e32 v19, v18, v19
.LBB501_71:
	s_or_b32 exec_lo, exec_lo, s13
	s_delay_alu instid0(VALU_DEP_1) | instskip(SKIP_1) | instid1(VALU_DEP_2)
	v_bfe_u32 v18, v19, 16, 1
	v_cmp_o_f32_e32 vcc_lo, v19, v19
	v_add3_u32 v18, v19, v18, 0x7fff
	s_delay_alu instid0(VALU_DEP_1) | instskip(NEXT) | instid1(VALU_DEP_1)
	v_and_b32_e32 v18, 0xffff0000, v18
	v_cndmask_b32_e32 v19, 0x7fc00000, v18, vcc_lo
	s_delay_alu instid0(VALU_DEP_1) | instskip(SKIP_1) | instid1(VALU_DEP_1)
	v_max_f32_e32 v18, v19, v19
	v_lshlrev_b32_e32 v97, 16, v35
	v_max_f32_e32 v102, v97, v97
	v_cmp_u_f32_e32 vcc_lo, v19, v19
	s_delay_alu instid0(VALU_DEP_2) | instskip(SKIP_2) | instid1(VALU_DEP_3)
	v_min_f32_e32 v20, v18, v102
	v_max_f32_e32 v18, v18, v102
	v_cmp_u_f32_e64 s13, v97, v97
	v_cndmask_b32_e32 v20, v20, v19, vcc_lo
	s_delay_alu instid0(VALU_DEP_3) | instskip(NEXT) | instid1(VALU_DEP_2)
	v_cndmask_b32_e32 v18, v18, v19, vcc_lo
	v_cndmask_b32_e64 v20, v20, v97, s13
	s_delay_alu instid0(VALU_DEP_2) | instskip(NEXT) | instid1(VALU_DEP_2)
	v_cndmask_b32_e64 v18, v18, v97, s13
	v_cmp_class_f32_e64 s14, v20, 0x1f8
	s_delay_alu instid0(VALU_DEP_2) | instskip(NEXT) | instid1(VALU_DEP_2)
	v_cmp_neq_f32_e32 vcc_lo, v20, v18
	s_or_b32 s15, vcc_lo, s14
	s_delay_alu instid0(SALU_CYCLE_1)
	s_and_saveexec_b32 s14, s15
	s_cbranch_execz .LBB501_73
; %bb.72:
	v_sub_f32_e32 v19, v20, v18
	s_mov_b32 s15, 0x3e9b6dac
	s_delay_alu instid0(VALU_DEP_1) | instskip(SKIP_1) | instid1(VALU_DEP_2)
	v_mul_f32_e32 v20, 0x3fb8aa3b, v19
	v_cmp_ngt_f32_e32 vcc_lo, 0xc2ce8ed0, v19
	v_fma_f32 v21, 0x3fb8aa3b, v19, -v20
	v_rndne_f32_e32 v99, v20
	s_delay_alu instid0(VALU_DEP_1) | instskip(NEXT) | instid1(VALU_DEP_1)
	v_dual_fmamk_f32 v21, v19, 0x32a5705f, v21 :: v_dual_sub_f32 v20, v20, v99
	v_add_f32_e32 v20, v20, v21
	v_cvt_i32_f32_e32 v21, v99
	s_delay_alu instid0(VALU_DEP_2) | instskip(SKIP_2) | instid1(VALU_DEP_1)
	v_exp_f32_e32 v20, v20
	s_waitcnt_depctr 0xfff
	v_ldexp_f32 v20, v20, v21
	v_cndmask_b32_e32 v20, 0, v20, vcc_lo
	v_cmp_nlt_f32_e32 vcc_lo, 0x42b17218, v19
	s_delay_alu instid0(VALU_DEP_2) | instskip(NEXT) | instid1(VALU_DEP_1)
	v_cndmask_b32_e32 v21, 0x7f800000, v20, vcc_lo
	v_add_f32_e32 v99, 1.0, v21
	s_delay_alu instid0(VALU_DEP_1) | instskip(NEXT) | instid1(VALU_DEP_1)
	v_cvt_f64_f32_e32 v[19:20], v99
	v_frexp_exp_i32_f64_e32 v19, v[19:20]
	v_frexp_mant_f32_e32 v20, v99
	s_delay_alu instid0(VALU_DEP_1) | instskip(SKIP_1) | instid1(VALU_DEP_1)
	v_cmp_gt_f32_e32 vcc_lo, 0x3f2aaaab, v20
	v_add_f32_e32 v20, -1.0, v99
	v_dual_sub_f32 v103, v20, v99 :: v_dual_sub_f32 v20, v21, v20
	s_delay_alu instid0(VALU_DEP_1) | instskip(NEXT) | instid1(VALU_DEP_1)
	v_add_f32_e32 v103, 1.0, v103
	v_add_f32_e32 v20, v20, v103
	v_subrev_co_ci_u32_e32 v19, vcc_lo, 0, v19, vcc_lo
	v_cmp_eq_f32_e32 vcc_lo, 0x7f800000, v21
	s_delay_alu instid0(VALU_DEP_2) | instskip(SKIP_1) | instid1(VALU_DEP_2)
	v_sub_nc_u32_e32 v101, 0, v19
	v_cvt_f32_i32_e32 v19, v19
	v_ldexp_f32 v99, v99, v101
	v_ldexp_f32 v20, v20, v101
	s_delay_alu instid0(VALU_DEP_2) | instskip(NEXT) | instid1(VALU_DEP_1)
	v_add_f32_e32 v101, -1.0, v99
	v_dual_add_f32 v112, 1.0, v99 :: v_dual_add_f32 v113, 1.0, v101
	s_delay_alu instid0(VALU_DEP_1) | instskip(NEXT) | instid1(VALU_DEP_1)
	v_add_f32_e32 v103, -1.0, v112
	v_sub_f32_e32 v103, v99, v103
	s_delay_alu instid0(VALU_DEP_3) | instskip(NEXT) | instid1(VALU_DEP_2)
	v_sub_f32_e32 v99, v99, v113
	v_add_f32_e32 v103, v20, v103
	s_delay_alu instid0(VALU_DEP_1) | instskip(NEXT) | instid1(VALU_DEP_1)
	v_add_f32_e32 v113, v112, v103
	v_sub_f32_e32 v112, v112, v113
	s_delay_alu instid0(VALU_DEP_4) | instskip(SKIP_1) | instid1(VALU_DEP_2)
	v_add_f32_e32 v20, v20, v99
	v_rcp_f32_e32 v99, v113
	v_add_f32_e32 v103, v103, v112
	s_delay_alu instid0(VALU_DEP_2) | instskip(NEXT) | instid1(VALU_DEP_1)
	v_add_f32_e32 v114, v101, v20
	v_sub_f32_e32 v101, v101, v114
	s_waitcnt_depctr 0xfff
	v_dual_mul_f32 v115, v114, v99 :: v_dual_add_f32 v20, v20, v101
	s_delay_alu instid0(VALU_DEP_1) | instskip(NEXT) | instid1(VALU_DEP_1)
	v_mul_f32_e32 v116, v113, v115
	v_fma_f32 v112, v115, v113, -v116
	s_delay_alu instid0(VALU_DEP_1) | instskip(NEXT) | instid1(VALU_DEP_1)
	v_fmac_f32_e32 v112, v115, v103
	v_add_f32_e32 v117, v116, v112
	s_delay_alu instid0(VALU_DEP_1) | instskip(NEXT) | instid1(VALU_DEP_1)
	v_dual_sub_f32 v118, v114, v117 :: v_dual_sub_f32 v101, v117, v116
	v_sub_f32_e32 v114, v114, v118
	s_delay_alu instid0(VALU_DEP_1) | instskip(NEXT) | instid1(VALU_DEP_1)
	v_dual_sub_f32 v114, v114, v117 :: v_dual_sub_f32 v101, v101, v112
	v_add_f32_e32 v20, v20, v114
	s_delay_alu instid0(VALU_DEP_1) | instskip(NEXT) | instid1(VALU_DEP_1)
	v_add_f32_e32 v20, v101, v20
	v_add_f32_e32 v101, v118, v20
	s_delay_alu instid0(VALU_DEP_1) | instskip(NEXT) | instid1(VALU_DEP_1)
	v_mul_f32_e32 v112, v99, v101
	v_dual_sub_f32 v117, v118, v101 :: v_dual_mul_f32 v114, v113, v112
	s_delay_alu instid0(VALU_DEP_1) | instskip(NEXT) | instid1(VALU_DEP_1)
	v_fma_f32 v113, v112, v113, -v114
	v_fmac_f32_e32 v113, v112, v103
	s_delay_alu instid0(VALU_DEP_3) | instskip(NEXT) | instid1(VALU_DEP_2)
	v_add_f32_e32 v20, v20, v117
	v_add_f32_e32 v103, v114, v113
	s_delay_alu instid0(VALU_DEP_1) | instskip(SKIP_1) | instid1(VALU_DEP_1)
	v_sub_f32_e32 v114, v103, v114
	v_sub_f32_e32 v116, v101, v103
	;; [unrolled: 1-line block ×3, first 2 shown]
	s_delay_alu instid0(VALU_DEP_1) | instskip(NEXT) | instid1(VALU_DEP_4)
	v_sub_f32_e32 v101, v101, v103
	v_sub_f32_e32 v103, v114, v113
	s_delay_alu instid0(VALU_DEP_2) | instskip(NEXT) | instid1(VALU_DEP_1)
	v_dual_add_f32 v20, v20, v101 :: v_dual_add_f32 v101, v115, v112
	v_dual_add_f32 v20, v103, v20 :: v_dual_sub_f32 v103, v101, v115
	s_delay_alu instid0(VALU_DEP_1) | instskip(NEXT) | instid1(VALU_DEP_1)
	v_add_f32_e32 v20, v116, v20
	v_dual_sub_f32 v103, v112, v103 :: v_dual_mul_f32 v20, v99, v20
	s_delay_alu instid0(VALU_DEP_1) | instskip(NEXT) | instid1(VALU_DEP_1)
	v_add_f32_e32 v20, v103, v20
	v_add_f32_e32 v99, v101, v20
	s_delay_alu instid0(VALU_DEP_1) | instskip(NEXT) | instid1(VALU_DEP_1)
	v_mul_f32_e32 v103, v99, v99
	v_fmaak_f32 v112, s15, v103, 0x3ecc95a3
	v_mul_f32_e32 v113, v99, v103
	v_cmp_gt_f32_e64 s15, 0x33800000, |v21|
	s_delay_alu instid0(VALU_DEP_3) | instskip(SKIP_2) | instid1(VALU_DEP_4)
	v_fmaak_f32 v103, v103, v112, 0x3f2aaada
	v_ldexp_f32 v112, v99, 1
	v_sub_f32_e32 v99, v99, v101
	s_or_b32 vcc_lo, vcc_lo, s15
	s_delay_alu instid0(VALU_DEP_3) | instskip(SKIP_1) | instid1(VALU_DEP_3)
	v_mul_f32_e32 v103, v113, v103
	v_mul_f32_e32 v113, 0x3f317218, v19
	v_sub_f32_e32 v20, v20, v99
	s_delay_alu instid0(VALU_DEP_3) | instskip(NEXT) | instid1(VALU_DEP_2)
	v_add_f32_e32 v101, v112, v103
	v_ldexp_f32 v20, v20, 1
	s_delay_alu instid0(VALU_DEP_2) | instskip(SKIP_1) | instid1(VALU_DEP_2)
	v_sub_f32_e32 v99, v101, v112
	v_fma_f32 v112, 0x3f317218, v19, -v113
	v_sub_f32_e32 v99, v103, v99
	s_delay_alu instid0(VALU_DEP_1) | instskip(NEXT) | instid1(VALU_DEP_1)
	v_dual_fmamk_f32 v19, v19, 0xb102e308, v112 :: v_dual_add_f32 v20, v20, v99
	v_add_f32_e32 v99, v113, v19
	s_delay_alu instid0(VALU_DEP_2) | instskip(NEXT) | instid1(VALU_DEP_2)
	v_add_f32_e32 v103, v101, v20
	v_sub_f32_e32 v113, v99, v113
	s_delay_alu instid0(VALU_DEP_2) | instskip(NEXT) | instid1(VALU_DEP_1)
	v_add_f32_e32 v112, v99, v103
	v_dual_sub_f32 v19, v19, v113 :: v_dual_sub_f32 v114, v112, v99
	v_sub_f32_e32 v101, v103, v101
	s_delay_alu instid0(VALU_DEP_2) | instskip(NEXT) | instid1(VALU_DEP_2)
	v_sub_f32_e32 v115, v112, v114
	v_dual_sub_f32 v20, v20, v101 :: v_dual_sub_f32 v101, v103, v114
	s_delay_alu instid0(VALU_DEP_2) | instskip(NEXT) | instid1(VALU_DEP_2)
	v_sub_f32_e32 v99, v99, v115
	v_add_f32_e32 v103, v19, v20
	s_delay_alu instid0(VALU_DEP_2) | instskip(NEXT) | instid1(VALU_DEP_2)
	v_add_f32_e32 v99, v101, v99
	v_sub_f32_e32 v101, v103, v19
	s_delay_alu instid0(VALU_DEP_2) | instskip(NEXT) | instid1(VALU_DEP_2)
	v_add_f32_e32 v99, v103, v99
	v_sub_f32_e32 v103, v103, v101
	v_sub_f32_e32 v20, v20, v101
	s_delay_alu instid0(VALU_DEP_3) | instskip(NEXT) | instid1(VALU_DEP_3)
	v_add_f32_e32 v113, v112, v99
	v_sub_f32_e32 v19, v19, v103
	s_delay_alu instid0(VALU_DEP_2) | instskip(NEXT) | instid1(VALU_DEP_1)
	v_sub_f32_e32 v101, v113, v112
	v_dual_add_f32 v19, v20, v19 :: v_dual_sub_f32 v20, v99, v101
	s_delay_alu instid0(VALU_DEP_1) | instskip(NEXT) | instid1(VALU_DEP_1)
	v_add_f32_e32 v19, v19, v20
	v_add_f32_e32 v19, v113, v19
	s_delay_alu instid0(VALU_DEP_1) | instskip(NEXT) | instid1(VALU_DEP_1)
	v_cndmask_b32_e32 v19, v19, v21, vcc_lo
	v_add_f32_e32 v19, v18, v19
.LBB501_73:
	s_or_b32 exec_lo, exec_lo, s14
	s_delay_alu instid0(VALU_DEP_1) | instskip(SKIP_1) | instid1(VALU_DEP_2)
	v_bfe_u32 v18, v19, 16, 1
	v_cmp_o_f32_e32 vcc_lo, v19, v19
	v_add3_u32 v18, v19, v18, 0x7fff
	s_delay_alu instid0(VALU_DEP_1) | instskip(NEXT) | instid1(VALU_DEP_1)
	v_and_b32_e32 v18, 0xffff0000, v18
	v_cndmask_b32_e32 v19, 0x7fc00000, v18, vcc_lo
	s_delay_alu instid0(VALU_DEP_1) | instskip(NEXT) | instid1(VALU_DEP_1)
	v_dual_max_f32 v18, v19, v19 :: v_dual_lshlrev_b32 v99, 16, v34
	v_max_f32_e32 v112, v99, v99
	v_cmp_u_f32_e32 vcc_lo, v19, v19
	v_cmp_u_f32_e64 s14, v99, v99
	s_delay_alu instid0(VALU_DEP_3) | instskip(SKIP_1) | instid1(VALU_DEP_2)
	v_min_f32_e32 v20, v18, v112
	v_max_f32_e32 v18, v18, v112
	v_cndmask_b32_e32 v20, v20, v19, vcc_lo
	s_delay_alu instid0(VALU_DEP_2) | instskip(NEXT) | instid1(VALU_DEP_2)
	v_cndmask_b32_e32 v18, v18, v19, vcc_lo
	v_cndmask_b32_e64 v20, v20, v99, s14
	s_delay_alu instid0(VALU_DEP_2) | instskip(NEXT) | instid1(VALU_DEP_2)
	v_cndmask_b32_e64 v18, v18, v99, s14
	v_cmp_class_f32_e64 s15, v20, 0x1f8
	s_delay_alu instid0(VALU_DEP_2) | instskip(NEXT) | instid1(VALU_DEP_2)
	v_cmp_neq_f32_e32 vcc_lo, v20, v18
	s_or_b32 s16, vcc_lo, s15
	s_delay_alu instid0(SALU_CYCLE_1)
	s_and_saveexec_b32 s15, s16
	s_cbranch_execz .LBB501_75
; %bb.74:
	v_sub_f32_e32 v19, v20, v18
	s_mov_b32 s16, 0x3e9b6dac
	s_delay_alu instid0(VALU_DEP_1) | instskip(SKIP_1) | instid1(VALU_DEP_2)
	v_mul_f32_e32 v20, 0x3fb8aa3b, v19
	v_cmp_ngt_f32_e32 vcc_lo, 0xc2ce8ed0, v19
	v_fma_f32 v21, 0x3fb8aa3b, v19, -v20
	v_rndne_f32_e32 v101, v20
	s_delay_alu instid0(VALU_DEP_1) | instskip(NEXT) | instid1(VALU_DEP_1)
	v_dual_fmamk_f32 v21, v19, 0x32a5705f, v21 :: v_dual_sub_f32 v20, v20, v101
	v_add_f32_e32 v20, v20, v21
	v_cvt_i32_f32_e32 v21, v101
	s_delay_alu instid0(VALU_DEP_2) | instskip(SKIP_2) | instid1(VALU_DEP_1)
	v_exp_f32_e32 v20, v20
	s_waitcnt_depctr 0xfff
	v_ldexp_f32 v20, v20, v21
	v_cndmask_b32_e32 v20, 0, v20, vcc_lo
	v_cmp_nlt_f32_e32 vcc_lo, 0x42b17218, v19
	s_delay_alu instid0(VALU_DEP_2) | instskip(NEXT) | instid1(VALU_DEP_1)
	v_cndmask_b32_e32 v21, 0x7f800000, v20, vcc_lo
	v_add_f32_e32 v101, 1.0, v21
	s_delay_alu instid0(VALU_DEP_1) | instskip(NEXT) | instid1(VALU_DEP_1)
	v_cvt_f64_f32_e32 v[19:20], v101
	v_frexp_exp_i32_f64_e32 v19, v[19:20]
	v_frexp_mant_f32_e32 v20, v101
	s_delay_alu instid0(VALU_DEP_1) | instskip(SKIP_1) | instid1(VALU_DEP_1)
	v_cmp_gt_f32_e32 vcc_lo, 0x3f2aaaab, v20
	v_add_f32_e32 v20, -1.0, v101
	v_dual_sub_f32 v113, v20, v101 :: v_dual_sub_f32 v20, v21, v20
	s_delay_alu instid0(VALU_DEP_1) | instskip(SKIP_2) | instid1(VALU_DEP_2)
	v_add_f32_e32 v113, 1.0, v113
	v_subrev_co_ci_u32_e32 v19, vcc_lo, 0, v19, vcc_lo
	v_cmp_eq_f32_e32 vcc_lo, 0x7f800000, v21
	v_sub_nc_u32_e32 v103, 0, v19
	v_cvt_f32_i32_e32 v19, v19
	s_delay_alu instid0(VALU_DEP_2) | instskip(SKIP_1) | instid1(VALU_DEP_1)
	v_ldexp_f32 v101, v101, v103
	v_add_f32_e32 v20, v20, v113
	v_ldexp_f32 v20, v20, v103
	s_delay_alu instid0(VALU_DEP_3) | instskip(NEXT) | instid1(VALU_DEP_1)
	v_add_f32_e32 v103, -1.0, v101
	v_dual_add_f32 v114, 1.0, v101 :: v_dual_add_f32 v115, 1.0, v103
	s_delay_alu instid0(VALU_DEP_1) | instskip(NEXT) | instid1(VALU_DEP_1)
	v_add_f32_e32 v113, -1.0, v114
	v_sub_f32_e32 v113, v101, v113
	s_delay_alu instid0(VALU_DEP_3) | instskip(NEXT) | instid1(VALU_DEP_2)
	v_sub_f32_e32 v101, v101, v115
	v_add_f32_e32 v113, v20, v113
	s_delay_alu instid0(VALU_DEP_1) | instskip(NEXT) | instid1(VALU_DEP_1)
	v_add_f32_e32 v115, v114, v113
	v_sub_f32_e32 v114, v114, v115
	s_delay_alu instid0(VALU_DEP_4) | instskip(SKIP_1) | instid1(VALU_DEP_1)
	v_add_f32_e32 v20, v20, v101
	v_rcp_f32_e32 v101, v115
	v_dual_add_f32 v113, v113, v114 :: v_dual_add_f32 v116, v103, v20
	s_delay_alu instid0(VALU_DEP_1) | instskip(SKIP_3) | instid1(VALU_DEP_2)
	v_sub_f32_e32 v103, v103, v116
	s_waitcnt_depctr 0xfff
	v_mul_f32_e32 v117, v116, v101
	v_add_f32_e32 v20, v20, v103
	v_mul_f32_e32 v118, v115, v117
	s_delay_alu instid0(VALU_DEP_1) | instskip(NEXT) | instid1(VALU_DEP_1)
	v_fma_f32 v114, v117, v115, -v118
	v_fmac_f32_e32 v114, v117, v113
	s_delay_alu instid0(VALU_DEP_1) | instskip(NEXT) | instid1(VALU_DEP_1)
	v_add_f32_e32 v119, v118, v114
	v_sub_f32_e32 v128, v116, v119
	s_delay_alu instid0(VALU_DEP_1) | instskip(NEXT) | instid1(VALU_DEP_1)
	v_dual_sub_f32 v116, v116, v128 :: v_dual_sub_f32 v103, v119, v118
	v_dual_sub_f32 v116, v116, v119 :: v_dual_sub_f32 v103, v103, v114
	s_delay_alu instid0(VALU_DEP_1) | instskip(NEXT) | instid1(VALU_DEP_1)
	v_add_f32_e32 v20, v20, v116
	v_add_f32_e32 v20, v103, v20
	s_delay_alu instid0(VALU_DEP_1) | instskip(NEXT) | instid1(VALU_DEP_1)
	v_add_f32_e32 v103, v128, v20
	v_mul_f32_e32 v114, v101, v103
	s_delay_alu instid0(VALU_DEP_1) | instskip(NEXT) | instid1(VALU_DEP_1)
	v_dual_sub_f32 v119, v128, v103 :: v_dual_mul_f32 v116, v115, v114
	v_add_f32_e32 v20, v20, v119
	s_delay_alu instid0(VALU_DEP_2) | instskip(NEXT) | instid1(VALU_DEP_1)
	v_fma_f32 v115, v114, v115, -v116
	v_fmac_f32_e32 v115, v114, v113
	s_delay_alu instid0(VALU_DEP_1) | instskip(NEXT) | instid1(VALU_DEP_1)
	v_add_f32_e32 v113, v116, v115
	v_sub_f32_e32 v118, v103, v113
	s_delay_alu instid0(VALU_DEP_1) | instskip(NEXT) | instid1(VALU_DEP_1)
	v_dual_sub_f32 v103, v103, v118 :: v_dual_sub_f32 v116, v113, v116
	v_sub_f32_e32 v103, v103, v113
	s_delay_alu instid0(VALU_DEP_2) | instskip(NEXT) | instid1(VALU_DEP_2)
	v_sub_f32_e32 v113, v116, v115
	v_dual_add_f32 v20, v20, v103 :: v_dual_add_f32 v103, v117, v114
	s_delay_alu instid0(VALU_DEP_1) | instskip(NEXT) | instid1(VALU_DEP_1)
	v_dual_add_f32 v20, v113, v20 :: v_dual_sub_f32 v113, v103, v117
	v_add_f32_e32 v20, v118, v20
	s_delay_alu instid0(VALU_DEP_1) | instskip(NEXT) | instid1(VALU_DEP_1)
	v_dual_sub_f32 v113, v114, v113 :: v_dual_mul_f32 v20, v101, v20
	v_add_f32_e32 v20, v113, v20
	s_delay_alu instid0(VALU_DEP_1) | instskip(NEXT) | instid1(VALU_DEP_1)
	v_add_f32_e32 v101, v103, v20
	v_mul_f32_e32 v113, v101, v101
	s_delay_alu instid0(VALU_DEP_1) | instskip(SKIP_2) | instid1(VALU_DEP_3)
	v_fmaak_f32 v114, s16, v113, 0x3ecc95a3
	v_mul_f32_e32 v115, v101, v113
	v_cmp_gt_f32_e64 s16, 0x33800000, |v21|
	v_fmaak_f32 v113, v113, v114, 0x3f2aaada
	v_ldexp_f32 v114, v101, 1
	v_sub_f32_e32 v101, v101, v103
	s_delay_alu instid0(VALU_DEP_4) | instskip(NEXT) | instid1(VALU_DEP_3)
	s_or_b32 vcc_lo, vcc_lo, s16
	v_mul_f32_e32 v113, v115, v113
	s_delay_alu instid0(VALU_DEP_2) | instskip(NEXT) | instid1(VALU_DEP_2)
	v_sub_f32_e32 v20, v20, v101
	v_add_f32_e32 v103, v114, v113
	s_delay_alu instid0(VALU_DEP_2) | instskip(NEXT) | instid1(VALU_DEP_2)
	v_ldexp_f32 v20, v20, 1
	v_sub_f32_e32 v101, v103, v114
	s_delay_alu instid0(VALU_DEP_1) | instskip(NEXT) | instid1(VALU_DEP_1)
	v_sub_f32_e32 v101, v113, v101
	v_dual_mul_f32 v115, 0x3f317218, v19 :: v_dual_add_f32 v20, v20, v101
	s_delay_alu instid0(VALU_DEP_1) | instskip(NEXT) | instid1(VALU_DEP_2)
	v_fma_f32 v114, 0x3f317218, v19, -v115
	v_add_f32_e32 v113, v103, v20
	s_delay_alu instid0(VALU_DEP_2) | instskip(NEXT) | instid1(VALU_DEP_1)
	v_fmamk_f32 v19, v19, 0xb102e308, v114
	v_add_f32_e32 v101, v115, v19
	s_delay_alu instid0(VALU_DEP_1) | instskip(NEXT) | instid1(VALU_DEP_1)
	v_add_f32_e32 v114, v101, v113
	v_dual_sub_f32 v115, v101, v115 :: v_dual_sub_f32 v116, v114, v101
	v_sub_f32_e32 v103, v113, v103
	s_delay_alu instid0(VALU_DEP_2) | instskip(NEXT) | instid1(VALU_DEP_2)
	v_sub_f32_e32 v19, v19, v115
	v_dual_sub_f32 v117, v114, v116 :: v_dual_sub_f32 v20, v20, v103
	v_sub_f32_e32 v103, v113, v116
	s_delay_alu instid0(VALU_DEP_2) | instskip(NEXT) | instid1(VALU_DEP_3)
	v_sub_f32_e32 v101, v101, v117
	v_add_f32_e32 v113, v19, v20
	s_delay_alu instid0(VALU_DEP_2) | instskip(NEXT) | instid1(VALU_DEP_2)
	v_add_f32_e32 v101, v103, v101
	v_sub_f32_e32 v103, v113, v19
	s_delay_alu instid0(VALU_DEP_2) | instskip(NEXT) | instid1(VALU_DEP_2)
	v_add_f32_e32 v101, v113, v101
	v_sub_f32_e32 v113, v113, v103
	s_delay_alu instid0(VALU_DEP_2) | instskip(NEXT) | instid1(VALU_DEP_2)
	v_dual_sub_f32 v20, v20, v103 :: v_dual_add_f32 v115, v114, v101
	v_sub_f32_e32 v19, v19, v113
	s_delay_alu instid0(VALU_DEP_2) | instskip(NEXT) | instid1(VALU_DEP_2)
	v_sub_f32_e32 v103, v115, v114
	v_add_f32_e32 v19, v20, v19
	s_delay_alu instid0(VALU_DEP_2) | instskip(NEXT) | instid1(VALU_DEP_1)
	v_sub_f32_e32 v20, v101, v103
	v_add_f32_e32 v19, v19, v20
	s_delay_alu instid0(VALU_DEP_1) | instskip(NEXT) | instid1(VALU_DEP_1)
	v_add_f32_e32 v19, v115, v19
	v_cndmask_b32_e32 v19, v19, v21, vcc_lo
	s_delay_alu instid0(VALU_DEP_1)
	v_add_f32_e32 v19, v18, v19
.LBB501_75:
	s_or_b32 exec_lo, exec_lo, s15
	s_delay_alu instid0(VALU_DEP_1) | instskip(SKIP_1) | instid1(VALU_DEP_2)
	v_bfe_u32 v18, v19, 16, 1
	v_cmp_o_f32_e32 vcc_lo, v19, v19
	v_add3_u32 v18, v19, v18, 0x7fff
	s_delay_alu instid0(VALU_DEP_1) | instskip(NEXT) | instid1(VALU_DEP_1)
	v_and_b32_e32 v18, 0xffff0000, v18
	v_cndmask_b32_e32 v19, 0x7fc00000, v18, vcc_lo
	s_delay_alu instid0(VALU_DEP_1) | instskip(NEXT) | instid1(VALU_DEP_1)
	v_dual_max_f32 v18, v19, v19 :: v_dual_lshlrev_b32 v101, 16, v33
	v_max_f32_e32 v114, v101, v101
	v_cmp_u_f32_e32 vcc_lo, v19, v19
	v_cmp_u_f32_e64 s15, v101, v101
	s_delay_alu instid0(VALU_DEP_3) | instskip(SKIP_1) | instid1(VALU_DEP_2)
	v_min_f32_e32 v20, v18, v114
	v_max_f32_e32 v18, v18, v114
	v_cndmask_b32_e32 v20, v20, v19, vcc_lo
	s_delay_alu instid0(VALU_DEP_2) | instskip(NEXT) | instid1(VALU_DEP_2)
	v_cndmask_b32_e32 v18, v18, v19, vcc_lo
	v_cndmask_b32_e64 v20, v20, v101, s15
	s_delay_alu instid0(VALU_DEP_2) | instskip(NEXT) | instid1(VALU_DEP_2)
	v_cndmask_b32_e64 v18, v18, v101, s15
	v_cmp_class_f32_e64 s16, v20, 0x1f8
	s_delay_alu instid0(VALU_DEP_2) | instskip(NEXT) | instid1(VALU_DEP_2)
	v_cmp_neq_f32_e32 vcc_lo, v20, v18
	s_or_b32 s17, vcc_lo, s16
	s_delay_alu instid0(SALU_CYCLE_1)
	s_and_saveexec_b32 s16, s17
	s_cbranch_execz .LBB501_77
; %bb.76:
	v_sub_f32_e32 v19, v20, v18
	s_mov_b32 s17, 0x3e9b6dac
	s_delay_alu instid0(VALU_DEP_1) | instskip(SKIP_1) | instid1(VALU_DEP_2)
	v_mul_f32_e32 v20, 0x3fb8aa3b, v19
	v_cmp_ngt_f32_e32 vcc_lo, 0xc2ce8ed0, v19
	v_fma_f32 v21, 0x3fb8aa3b, v19, -v20
	v_rndne_f32_e32 v103, v20
	s_delay_alu instid0(VALU_DEP_1) | instskip(NEXT) | instid1(VALU_DEP_1)
	v_dual_fmamk_f32 v21, v19, 0x32a5705f, v21 :: v_dual_sub_f32 v20, v20, v103
	v_add_f32_e32 v20, v20, v21
	v_cvt_i32_f32_e32 v21, v103
	s_delay_alu instid0(VALU_DEP_2) | instskip(SKIP_2) | instid1(VALU_DEP_1)
	v_exp_f32_e32 v20, v20
	s_waitcnt_depctr 0xfff
	v_ldexp_f32 v20, v20, v21
	v_cndmask_b32_e32 v20, 0, v20, vcc_lo
	v_cmp_nlt_f32_e32 vcc_lo, 0x42b17218, v19
	s_delay_alu instid0(VALU_DEP_2) | instskip(NEXT) | instid1(VALU_DEP_1)
	v_cndmask_b32_e32 v21, 0x7f800000, v20, vcc_lo
	v_add_f32_e32 v103, 1.0, v21
	s_delay_alu instid0(VALU_DEP_1) | instskip(NEXT) | instid1(VALU_DEP_1)
	v_cvt_f64_f32_e32 v[19:20], v103
	v_frexp_exp_i32_f64_e32 v19, v[19:20]
	v_frexp_mant_f32_e32 v20, v103
	s_delay_alu instid0(VALU_DEP_1) | instskip(SKIP_1) | instid1(VALU_DEP_1)
	v_cmp_gt_f32_e32 vcc_lo, 0x3f2aaaab, v20
	v_add_f32_e32 v20, -1.0, v103
	v_dual_sub_f32 v115, v20, v103 :: v_dual_sub_f32 v20, v21, v20
	s_delay_alu instid0(VALU_DEP_1) | instskip(NEXT) | instid1(VALU_DEP_1)
	v_add_f32_e32 v115, 1.0, v115
	v_add_f32_e32 v20, v20, v115
	v_subrev_co_ci_u32_e32 v19, vcc_lo, 0, v19, vcc_lo
	v_cmp_eq_f32_e32 vcc_lo, 0x7f800000, v21
	s_delay_alu instid0(VALU_DEP_2) | instskip(SKIP_1) | instid1(VALU_DEP_2)
	v_sub_nc_u32_e32 v113, 0, v19
	v_cvt_f32_i32_e32 v19, v19
	v_ldexp_f32 v103, v103, v113
	v_ldexp_f32 v20, v20, v113
	s_delay_alu instid0(VALU_DEP_2) | instskip(NEXT) | instid1(VALU_DEP_1)
	v_add_f32_e32 v113, -1.0, v103
	v_dual_add_f32 v116, 1.0, v103 :: v_dual_add_f32 v117, 1.0, v113
	s_delay_alu instid0(VALU_DEP_1) | instskip(NEXT) | instid1(VALU_DEP_1)
	v_add_f32_e32 v115, -1.0, v116
	v_sub_f32_e32 v115, v103, v115
	s_delay_alu instid0(VALU_DEP_3) | instskip(NEXT) | instid1(VALU_DEP_2)
	v_sub_f32_e32 v103, v103, v117
	v_add_f32_e32 v115, v20, v115
	s_delay_alu instid0(VALU_DEP_1) | instskip(NEXT) | instid1(VALU_DEP_1)
	v_add_f32_e32 v117, v116, v115
	v_sub_f32_e32 v116, v116, v117
	s_delay_alu instid0(VALU_DEP_4) | instskip(SKIP_1) | instid1(VALU_DEP_2)
	v_add_f32_e32 v20, v20, v103
	v_rcp_f32_e32 v103, v117
	v_add_f32_e32 v115, v115, v116
	s_delay_alu instid0(VALU_DEP_2) | instskip(NEXT) | instid1(VALU_DEP_1)
	v_add_f32_e32 v118, v113, v20
	v_sub_f32_e32 v113, v113, v118
	s_waitcnt_depctr 0xfff
	v_dual_mul_f32 v119, v118, v103 :: v_dual_add_f32 v20, v20, v113
	s_delay_alu instid0(VALU_DEP_1) | instskip(NEXT) | instid1(VALU_DEP_1)
	v_mul_f32_e32 v128, v117, v119
	v_fma_f32 v116, v119, v117, -v128
	s_delay_alu instid0(VALU_DEP_1) | instskip(NEXT) | instid1(VALU_DEP_1)
	v_fmac_f32_e32 v116, v119, v115
	v_add_f32_e32 v129, v128, v116
	s_delay_alu instid0(VALU_DEP_1) | instskip(NEXT) | instid1(VALU_DEP_1)
	v_dual_sub_f32 v130, v118, v129 :: v_dual_sub_f32 v113, v129, v128
	v_sub_f32_e32 v118, v118, v130
	s_delay_alu instid0(VALU_DEP_1) | instskip(NEXT) | instid1(VALU_DEP_1)
	v_dual_sub_f32 v118, v118, v129 :: v_dual_sub_f32 v113, v113, v116
	v_add_f32_e32 v20, v20, v118
	s_delay_alu instid0(VALU_DEP_1) | instskip(NEXT) | instid1(VALU_DEP_1)
	v_add_f32_e32 v20, v113, v20
	v_add_f32_e32 v113, v130, v20
	s_delay_alu instid0(VALU_DEP_1) | instskip(NEXT) | instid1(VALU_DEP_1)
	v_mul_f32_e32 v116, v103, v113
	v_dual_sub_f32 v129, v130, v113 :: v_dual_mul_f32 v118, v117, v116
	s_delay_alu instid0(VALU_DEP_1) | instskip(NEXT) | instid1(VALU_DEP_1)
	v_fma_f32 v117, v116, v117, -v118
	v_fmac_f32_e32 v117, v116, v115
	s_delay_alu instid0(VALU_DEP_3) | instskip(NEXT) | instid1(VALU_DEP_2)
	v_add_f32_e32 v20, v20, v129
	v_add_f32_e32 v115, v118, v117
	s_delay_alu instid0(VALU_DEP_1) | instskip(SKIP_1) | instid1(VALU_DEP_1)
	v_sub_f32_e32 v118, v115, v118
	v_sub_f32_e32 v128, v113, v115
	;; [unrolled: 1-line block ×3, first 2 shown]
	s_delay_alu instid0(VALU_DEP_1) | instskip(NEXT) | instid1(VALU_DEP_4)
	v_sub_f32_e32 v113, v113, v115
	v_sub_f32_e32 v115, v118, v117
	s_delay_alu instid0(VALU_DEP_2) | instskip(NEXT) | instid1(VALU_DEP_1)
	v_dual_add_f32 v20, v20, v113 :: v_dual_add_f32 v113, v119, v116
	v_dual_add_f32 v20, v115, v20 :: v_dual_sub_f32 v115, v113, v119
	s_delay_alu instid0(VALU_DEP_1) | instskip(NEXT) | instid1(VALU_DEP_1)
	v_add_f32_e32 v20, v128, v20
	v_dual_sub_f32 v115, v116, v115 :: v_dual_mul_f32 v20, v103, v20
	s_delay_alu instid0(VALU_DEP_1) | instskip(NEXT) | instid1(VALU_DEP_1)
	v_add_f32_e32 v20, v115, v20
	v_add_f32_e32 v103, v113, v20
	s_delay_alu instid0(VALU_DEP_1) | instskip(NEXT) | instid1(VALU_DEP_1)
	v_mul_f32_e32 v115, v103, v103
	v_fmaak_f32 v116, s17, v115, 0x3ecc95a3
	v_mul_f32_e32 v117, v103, v115
	v_cmp_gt_f32_e64 s17, 0x33800000, |v21|
	s_delay_alu instid0(VALU_DEP_3) | instskip(SKIP_2) | instid1(VALU_DEP_4)
	v_fmaak_f32 v115, v115, v116, 0x3f2aaada
	v_ldexp_f32 v116, v103, 1
	v_sub_f32_e32 v103, v103, v113
	s_or_b32 vcc_lo, vcc_lo, s17
	s_delay_alu instid0(VALU_DEP_3) | instskip(SKIP_1) | instid1(VALU_DEP_3)
	v_mul_f32_e32 v115, v117, v115
	v_mul_f32_e32 v117, 0x3f317218, v19
	v_sub_f32_e32 v20, v20, v103
	s_delay_alu instid0(VALU_DEP_3) | instskip(NEXT) | instid1(VALU_DEP_2)
	v_add_f32_e32 v113, v116, v115
	v_ldexp_f32 v20, v20, 1
	s_delay_alu instid0(VALU_DEP_2) | instskip(SKIP_1) | instid1(VALU_DEP_2)
	v_sub_f32_e32 v103, v113, v116
	v_fma_f32 v116, 0x3f317218, v19, -v117
	v_sub_f32_e32 v103, v115, v103
	s_delay_alu instid0(VALU_DEP_1) | instskip(NEXT) | instid1(VALU_DEP_1)
	v_dual_fmamk_f32 v19, v19, 0xb102e308, v116 :: v_dual_add_f32 v20, v20, v103
	v_add_f32_e32 v103, v117, v19
	s_delay_alu instid0(VALU_DEP_2) | instskip(NEXT) | instid1(VALU_DEP_2)
	v_add_f32_e32 v115, v113, v20
	v_sub_f32_e32 v117, v103, v117
	s_delay_alu instid0(VALU_DEP_2) | instskip(NEXT) | instid1(VALU_DEP_1)
	v_add_f32_e32 v116, v103, v115
	v_dual_sub_f32 v19, v19, v117 :: v_dual_sub_f32 v118, v116, v103
	v_sub_f32_e32 v113, v115, v113
	s_delay_alu instid0(VALU_DEP_2) | instskip(NEXT) | instid1(VALU_DEP_2)
	v_sub_f32_e32 v119, v116, v118
	v_dual_sub_f32 v20, v20, v113 :: v_dual_sub_f32 v113, v115, v118
	s_delay_alu instid0(VALU_DEP_2) | instskip(NEXT) | instid1(VALU_DEP_2)
	v_sub_f32_e32 v103, v103, v119
	v_add_f32_e32 v115, v19, v20
	s_delay_alu instid0(VALU_DEP_2) | instskip(NEXT) | instid1(VALU_DEP_2)
	v_add_f32_e32 v103, v113, v103
	v_sub_f32_e32 v113, v115, v19
	s_delay_alu instid0(VALU_DEP_2) | instskip(NEXT) | instid1(VALU_DEP_2)
	v_add_f32_e32 v103, v115, v103
	v_sub_f32_e32 v115, v115, v113
	v_sub_f32_e32 v20, v20, v113
	s_delay_alu instid0(VALU_DEP_3) | instskip(NEXT) | instid1(VALU_DEP_3)
	v_add_f32_e32 v117, v116, v103
	v_sub_f32_e32 v19, v19, v115
	s_delay_alu instid0(VALU_DEP_2) | instskip(NEXT) | instid1(VALU_DEP_1)
	v_sub_f32_e32 v113, v117, v116
	v_dual_add_f32 v19, v20, v19 :: v_dual_sub_f32 v20, v103, v113
	s_delay_alu instid0(VALU_DEP_1) | instskip(NEXT) | instid1(VALU_DEP_1)
	v_add_f32_e32 v19, v19, v20
	v_add_f32_e32 v19, v117, v19
	s_delay_alu instid0(VALU_DEP_1) | instskip(NEXT) | instid1(VALU_DEP_1)
	v_cndmask_b32_e32 v19, v19, v21, vcc_lo
	v_add_f32_e32 v19, v18, v19
.LBB501_77:
	s_or_b32 exec_lo, exec_lo, s16
	s_delay_alu instid0(VALU_DEP_1) | instskip(SKIP_1) | instid1(VALU_DEP_2)
	v_bfe_u32 v18, v19, 16, 1
	v_cmp_o_f32_e32 vcc_lo, v19, v19
	v_add3_u32 v18, v19, v18, 0x7fff
	s_delay_alu instid0(VALU_DEP_1) | instskip(NEXT) | instid1(VALU_DEP_1)
	v_and_b32_e32 v18, 0xffff0000, v18
	v_cndmask_b32_e32 v19, 0x7fc00000, v18, vcc_lo
	s_delay_alu instid0(VALU_DEP_1) | instskip(NEXT) | instid1(VALU_DEP_1)
	v_dual_max_f32 v18, v19, v19 :: v_dual_lshlrev_b32 v103, 16, v32
	v_max_f32_e32 v116, v103, v103
	v_cmp_u_f32_e32 vcc_lo, v19, v19
	v_cmp_u_f32_e64 s16, v103, v103
	s_delay_alu instid0(VALU_DEP_3) | instskip(SKIP_1) | instid1(VALU_DEP_2)
	v_min_f32_e32 v20, v18, v116
	v_max_f32_e32 v18, v18, v116
	v_cndmask_b32_e32 v20, v20, v19, vcc_lo
	s_delay_alu instid0(VALU_DEP_2) | instskip(NEXT) | instid1(VALU_DEP_2)
	v_cndmask_b32_e32 v18, v18, v19, vcc_lo
	v_cndmask_b32_e64 v20, v20, v103, s16
	s_delay_alu instid0(VALU_DEP_2) | instskip(NEXT) | instid1(VALU_DEP_2)
	v_cndmask_b32_e64 v18, v18, v103, s16
	v_cmp_class_f32_e64 s17, v20, 0x1f8
	s_delay_alu instid0(VALU_DEP_2) | instskip(NEXT) | instid1(VALU_DEP_2)
	v_cmp_neq_f32_e32 vcc_lo, v20, v18
	s_or_b32 s18, vcc_lo, s17
	s_delay_alu instid0(SALU_CYCLE_1)
	s_and_saveexec_b32 s17, s18
	s_cbranch_execz .LBB501_79
; %bb.78:
	v_sub_f32_e32 v19, v20, v18
	s_mov_b32 s18, 0x3e9b6dac
	s_delay_alu instid0(VALU_DEP_1) | instskip(SKIP_1) | instid1(VALU_DEP_2)
	v_mul_f32_e32 v20, 0x3fb8aa3b, v19
	v_cmp_ngt_f32_e32 vcc_lo, 0xc2ce8ed0, v19
	v_fma_f32 v21, 0x3fb8aa3b, v19, -v20
	v_rndne_f32_e32 v113, v20
	s_delay_alu instid0(VALU_DEP_1) | instskip(NEXT) | instid1(VALU_DEP_1)
	v_dual_fmamk_f32 v21, v19, 0x32a5705f, v21 :: v_dual_sub_f32 v20, v20, v113
	v_add_f32_e32 v20, v20, v21
	v_cvt_i32_f32_e32 v21, v113
	s_delay_alu instid0(VALU_DEP_2) | instskip(SKIP_2) | instid1(VALU_DEP_1)
	v_exp_f32_e32 v20, v20
	s_waitcnt_depctr 0xfff
	v_ldexp_f32 v20, v20, v21
	v_cndmask_b32_e32 v20, 0, v20, vcc_lo
	v_cmp_nlt_f32_e32 vcc_lo, 0x42b17218, v19
	s_delay_alu instid0(VALU_DEP_2) | instskip(NEXT) | instid1(VALU_DEP_1)
	v_cndmask_b32_e32 v21, 0x7f800000, v20, vcc_lo
	v_add_f32_e32 v113, 1.0, v21
	s_delay_alu instid0(VALU_DEP_1) | instskip(NEXT) | instid1(VALU_DEP_1)
	v_cvt_f64_f32_e32 v[19:20], v113
	v_frexp_exp_i32_f64_e32 v19, v[19:20]
	v_frexp_mant_f32_e32 v20, v113
	s_delay_alu instid0(VALU_DEP_1) | instskip(SKIP_1) | instid1(VALU_DEP_1)
	v_cmp_gt_f32_e32 vcc_lo, 0x3f2aaaab, v20
	v_add_f32_e32 v20, -1.0, v113
	v_dual_sub_f32 v117, v20, v113 :: v_dual_sub_f32 v20, v21, v20
	s_delay_alu instid0(VALU_DEP_1) | instskip(SKIP_2) | instid1(VALU_DEP_2)
	v_add_f32_e32 v117, 1.0, v117
	v_subrev_co_ci_u32_e32 v19, vcc_lo, 0, v19, vcc_lo
	v_cmp_eq_f32_e32 vcc_lo, 0x7f800000, v21
	v_sub_nc_u32_e32 v115, 0, v19
	v_cvt_f32_i32_e32 v19, v19
	s_delay_alu instid0(VALU_DEP_2) | instskip(SKIP_1) | instid1(VALU_DEP_1)
	v_ldexp_f32 v113, v113, v115
	v_add_f32_e32 v20, v20, v117
	v_ldexp_f32 v20, v20, v115
	s_delay_alu instid0(VALU_DEP_3) | instskip(NEXT) | instid1(VALU_DEP_1)
	v_add_f32_e32 v115, -1.0, v113
	v_dual_add_f32 v118, 1.0, v113 :: v_dual_add_f32 v119, 1.0, v115
	s_delay_alu instid0(VALU_DEP_1) | instskip(NEXT) | instid1(VALU_DEP_1)
	v_add_f32_e32 v117, -1.0, v118
	v_sub_f32_e32 v117, v113, v117
	s_delay_alu instid0(VALU_DEP_3) | instskip(NEXT) | instid1(VALU_DEP_2)
	v_sub_f32_e32 v113, v113, v119
	v_add_f32_e32 v117, v20, v117
	s_delay_alu instid0(VALU_DEP_1) | instskip(NEXT) | instid1(VALU_DEP_1)
	v_add_f32_e32 v119, v118, v117
	v_sub_f32_e32 v118, v118, v119
	s_delay_alu instid0(VALU_DEP_4) | instskip(SKIP_1) | instid1(VALU_DEP_1)
	v_add_f32_e32 v20, v20, v113
	v_rcp_f32_e32 v113, v119
	v_dual_add_f32 v117, v117, v118 :: v_dual_add_f32 v128, v115, v20
	s_delay_alu instid0(VALU_DEP_1) | instskip(SKIP_3) | instid1(VALU_DEP_2)
	v_sub_f32_e32 v115, v115, v128
	s_waitcnt_depctr 0xfff
	v_mul_f32_e32 v129, v128, v113
	v_add_f32_e32 v20, v20, v115
	v_mul_f32_e32 v130, v119, v129
	s_delay_alu instid0(VALU_DEP_1) | instskip(NEXT) | instid1(VALU_DEP_1)
	v_fma_f32 v118, v129, v119, -v130
	v_fmac_f32_e32 v118, v129, v117
	s_delay_alu instid0(VALU_DEP_1) | instskip(NEXT) | instid1(VALU_DEP_1)
	v_add_f32_e32 v131, v130, v118
	v_sub_f32_e32 v132, v128, v131
	s_delay_alu instid0(VALU_DEP_1) | instskip(NEXT) | instid1(VALU_DEP_1)
	v_dual_sub_f32 v128, v128, v132 :: v_dual_sub_f32 v115, v131, v130
	v_dual_sub_f32 v128, v128, v131 :: v_dual_sub_f32 v115, v115, v118
	s_delay_alu instid0(VALU_DEP_1) | instskip(NEXT) | instid1(VALU_DEP_1)
	v_add_f32_e32 v20, v20, v128
	v_add_f32_e32 v20, v115, v20
	s_delay_alu instid0(VALU_DEP_1) | instskip(NEXT) | instid1(VALU_DEP_1)
	v_add_f32_e32 v115, v132, v20
	v_mul_f32_e32 v118, v113, v115
	s_delay_alu instid0(VALU_DEP_1) | instskip(NEXT) | instid1(VALU_DEP_1)
	v_dual_sub_f32 v131, v132, v115 :: v_dual_mul_f32 v128, v119, v118
	v_add_f32_e32 v20, v20, v131
	s_delay_alu instid0(VALU_DEP_2) | instskip(NEXT) | instid1(VALU_DEP_1)
	v_fma_f32 v119, v118, v119, -v128
	v_fmac_f32_e32 v119, v118, v117
	s_delay_alu instid0(VALU_DEP_1) | instskip(NEXT) | instid1(VALU_DEP_1)
	v_add_f32_e32 v117, v128, v119
	v_sub_f32_e32 v130, v115, v117
	s_delay_alu instid0(VALU_DEP_1) | instskip(NEXT) | instid1(VALU_DEP_1)
	v_dual_sub_f32 v115, v115, v130 :: v_dual_sub_f32 v128, v117, v128
	v_sub_f32_e32 v115, v115, v117
	s_delay_alu instid0(VALU_DEP_2) | instskip(NEXT) | instid1(VALU_DEP_2)
	v_sub_f32_e32 v117, v128, v119
	v_dual_add_f32 v20, v20, v115 :: v_dual_add_f32 v115, v129, v118
	s_delay_alu instid0(VALU_DEP_1) | instskip(NEXT) | instid1(VALU_DEP_1)
	v_dual_add_f32 v20, v117, v20 :: v_dual_sub_f32 v117, v115, v129
	v_add_f32_e32 v20, v130, v20
	s_delay_alu instid0(VALU_DEP_1) | instskip(NEXT) | instid1(VALU_DEP_1)
	v_dual_sub_f32 v117, v118, v117 :: v_dual_mul_f32 v20, v113, v20
	v_add_f32_e32 v20, v117, v20
	s_delay_alu instid0(VALU_DEP_1) | instskip(NEXT) | instid1(VALU_DEP_1)
	v_add_f32_e32 v113, v115, v20
	v_mul_f32_e32 v117, v113, v113
	s_delay_alu instid0(VALU_DEP_1) | instskip(SKIP_2) | instid1(VALU_DEP_3)
	v_fmaak_f32 v118, s18, v117, 0x3ecc95a3
	v_mul_f32_e32 v119, v113, v117
	v_cmp_gt_f32_e64 s18, 0x33800000, |v21|
	v_fmaak_f32 v117, v117, v118, 0x3f2aaada
	v_ldexp_f32 v118, v113, 1
	v_sub_f32_e32 v113, v113, v115
	s_delay_alu instid0(VALU_DEP_4) | instskip(NEXT) | instid1(VALU_DEP_3)
	s_or_b32 vcc_lo, vcc_lo, s18
	v_mul_f32_e32 v117, v119, v117
	s_delay_alu instid0(VALU_DEP_2) | instskip(NEXT) | instid1(VALU_DEP_2)
	v_sub_f32_e32 v20, v20, v113
	v_add_f32_e32 v115, v118, v117
	s_delay_alu instid0(VALU_DEP_2) | instskip(NEXT) | instid1(VALU_DEP_2)
	v_ldexp_f32 v20, v20, 1
	v_sub_f32_e32 v113, v115, v118
	s_delay_alu instid0(VALU_DEP_1) | instskip(NEXT) | instid1(VALU_DEP_1)
	v_sub_f32_e32 v113, v117, v113
	v_dual_mul_f32 v119, 0x3f317218, v19 :: v_dual_add_f32 v20, v20, v113
	s_delay_alu instid0(VALU_DEP_1) | instskip(NEXT) | instid1(VALU_DEP_2)
	v_fma_f32 v118, 0x3f317218, v19, -v119
	v_add_f32_e32 v117, v115, v20
	s_delay_alu instid0(VALU_DEP_2) | instskip(NEXT) | instid1(VALU_DEP_1)
	v_fmamk_f32 v19, v19, 0xb102e308, v118
	v_add_f32_e32 v113, v119, v19
	s_delay_alu instid0(VALU_DEP_1) | instskip(NEXT) | instid1(VALU_DEP_1)
	v_add_f32_e32 v118, v113, v117
	v_dual_sub_f32 v119, v113, v119 :: v_dual_sub_f32 v128, v118, v113
	v_sub_f32_e32 v115, v117, v115
	s_delay_alu instid0(VALU_DEP_2) | instskip(NEXT) | instid1(VALU_DEP_2)
	v_sub_f32_e32 v19, v19, v119
	v_dual_sub_f32 v129, v118, v128 :: v_dual_sub_f32 v20, v20, v115
	v_sub_f32_e32 v115, v117, v128
	s_delay_alu instid0(VALU_DEP_2) | instskip(NEXT) | instid1(VALU_DEP_3)
	v_sub_f32_e32 v113, v113, v129
	v_add_f32_e32 v117, v19, v20
	s_delay_alu instid0(VALU_DEP_2) | instskip(NEXT) | instid1(VALU_DEP_2)
	v_add_f32_e32 v113, v115, v113
	v_sub_f32_e32 v115, v117, v19
	s_delay_alu instid0(VALU_DEP_2) | instskip(NEXT) | instid1(VALU_DEP_2)
	v_add_f32_e32 v113, v117, v113
	v_sub_f32_e32 v117, v117, v115
	s_delay_alu instid0(VALU_DEP_2) | instskip(NEXT) | instid1(VALU_DEP_2)
	v_dual_sub_f32 v20, v20, v115 :: v_dual_add_f32 v119, v118, v113
	v_sub_f32_e32 v19, v19, v117
	s_delay_alu instid0(VALU_DEP_2) | instskip(NEXT) | instid1(VALU_DEP_2)
	v_sub_f32_e32 v115, v119, v118
	v_add_f32_e32 v19, v20, v19
	s_delay_alu instid0(VALU_DEP_2) | instskip(NEXT) | instid1(VALU_DEP_1)
	v_sub_f32_e32 v20, v113, v115
	v_add_f32_e32 v19, v19, v20
	s_delay_alu instid0(VALU_DEP_1) | instskip(NEXT) | instid1(VALU_DEP_1)
	v_add_f32_e32 v19, v119, v19
	v_cndmask_b32_e32 v19, v19, v21, vcc_lo
	s_delay_alu instid0(VALU_DEP_1)
	v_add_f32_e32 v19, v18, v19
.LBB501_79:
	s_or_b32 exec_lo, exec_lo, s17
	s_delay_alu instid0(VALU_DEP_1) | instskip(SKIP_1) | instid1(VALU_DEP_2)
	v_bfe_u32 v18, v19, 16, 1
	v_cmp_o_f32_e32 vcc_lo, v19, v19
	v_add3_u32 v18, v19, v18, 0x7fff
	s_delay_alu instid0(VALU_DEP_1) | instskip(NEXT) | instid1(VALU_DEP_1)
	v_and_b32_e32 v18, 0xffff0000, v18
	v_cndmask_b32_e32 v19, 0x7fc00000, v18, vcc_lo
	s_delay_alu instid0(VALU_DEP_1) | instskip(SKIP_1) | instid1(VALU_DEP_1)
	v_max_f32_e32 v18, v19, v19
	v_lshlrev_b32_e32 v113, 16, v31
	v_max_f32_e32 v118, v113, v113
	v_cmp_u_f32_e32 vcc_lo, v19, v19
	s_delay_alu instid0(VALU_DEP_2) | instskip(SKIP_2) | instid1(VALU_DEP_3)
	v_min_f32_e32 v20, v18, v118
	v_max_f32_e32 v18, v18, v118
	v_cmp_u_f32_e64 s17, v113, v113
	v_cndmask_b32_e32 v20, v20, v19, vcc_lo
	s_delay_alu instid0(VALU_DEP_3) | instskip(NEXT) | instid1(VALU_DEP_2)
	v_cndmask_b32_e32 v18, v18, v19, vcc_lo
	v_cndmask_b32_e64 v20, v20, v113, s17
	s_delay_alu instid0(VALU_DEP_2) | instskip(NEXT) | instid1(VALU_DEP_2)
	v_cndmask_b32_e64 v18, v18, v113, s17
	v_cmp_class_f32_e64 s18, v20, 0x1f8
	s_delay_alu instid0(VALU_DEP_2) | instskip(NEXT) | instid1(VALU_DEP_2)
	v_cmp_neq_f32_e32 vcc_lo, v20, v18
	s_or_b32 s19, vcc_lo, s18
	s_delay_alu instid0(SALU_CYCLE_1)
	s_and_saveexec_b32 s18, s19
	s_cbranch_execz .LBB501_81
; %bb.80:
	v_sub_f32_e32 v19, v20, v18
	s_mov_b32 s19, 0x3e9b6dac
	s_delay_alu instid0(VALU_DEP_1) | instskip(SKIP_1) | instid1(VALU_DEP_2)
	v_mul_f32_e32 v20, 0x3fb8aa3b, v19
	v_cmp_ngt_f32_e32 vcc_lo, 0xc2ce8ed0, v19
	v_fma_f32 v21, 0x3fb8aa3b, v19, -v20
	v_rndne_f32_e32 v115, v20
	s_delay_alu instid0(VALU_DEP_1) | instskip(NEXT) | instid1(VALU_DEP_1)
	v_dual_fmamk_f32 v21, v19, 0x32a5705f, v21 :: v_dual_sub_f32 v20, v20, v115
	v_add_f32_e32 v20, v20, v21
	v_cvt_i32_f32_e32 v21, v115
	s_delay_alu instid0(VALU_DEP_2) | instskip(SKIP_2) | instid1(VALU_DEP_1)
	v_exp_f32_e32 v20, v20
	s_waitcnt_depctr 0xfff
	v_ldexp_f32 v20, v20, v21
	v_cndmask_b32_e32 v20, 0, v20, vcc_lo
	v_cmp_nlt_f32_e32 vcc_lo, 0x42b17218, v19
	s_delay_alu instid0(VALU_DEP_2) | instskip(NEXT) | instid1(VALU_DEP_1)
	v_cndmask_b32_e32 v21, 0x7f800000, v20, vcc_lo
	v_add_f32_e32 v115, 1.0, v21
	s_delay_alu instid0(VALU_DEP_1) | instskip(NEXT) | instid1(VALU_DEP_1)
	v_cvt_f64_f32_e32 v[19:20], v115
	v_frexp_exp_i32_f64_e32 v19, v[19:20]
	v_frexp_mant_f32_e32 v20, v115
	s_delay_alu instid0(VALU_DEP_1) | instskip(SKIP_1) | instid1(VALU_DEP_1)
	v_cmp_gt_f32_e32 vcc_lo, 0x3f2aaaab, v20
	v_add_f32_e32 v20, -1.0, v115
	v_dual_sub_f32 v119, v20, v115 :: v_dual_sub_f32 v20, v21, v20
	s_delay_alu instid0(VALU_DEP_1) | instskip(NEXT) | instid1(VALU_DEP_1)
	v_add_f32_e32 v119, 1.0, v119
	v_add_f32_e32 v20, v20, v119
	v_subrev_co_ci_u32_e32 v19, vcc_lo, 0, v19, vcc_lo
	v_cmp_eq_f32_e32 vcc_lo, 0x7f800000, v21
	s_delay_alu instid0(VALU_DEP_2) | instskip(SKIP_1) | instid1(VALU_DEP_2)
	v_sub_nc_u32_e32 v117, 0, v19
	v_cvt_f32_i32_e32 v19, v19
	v_ldexp_f32 v115, v115, v117
	v_ldexp_f32 v20, v20, v117
	s_delay_alu instid0(VALU_DEP_2) | instskip(NEXT) | instid1(VALU_DEP_1)
	v_add_f32_e32 v117, -1.0, v115
	v_dual_add_f32 v128, 1.0, v115 :: v_dual_add_f32 v129, 1.0, v117
	s_delay_alu instid0(VALU_DEP_1) | instskip(NEXT) | instid1(VALU_DEP_1)
	v_add_f32_e32 v119, -1.0, v128
	v_sub_f32_e32 v119, v115, v119
	s_delay_alu instid0(VALU_DEP_3) | instskip(NEXT) | instid1(VALU_DEP_2)
	v_sub_f32_e32 v115, v115, v129
	v_add_f32_e32 v119, v20, v119
	s_delay_alu instid0(VALU_DEP_1) | instskip(NEXT) | instid1(VALU_DEP_1)
	v_add_f32_e32 v129, v128, v119
	v_sub_f32_e32 v128, v128, v129
	s_delay_alu instid0(VALU_DEP_4) | instskip(SKIP_1) | instid1(VALU_DEP_2)
	v_add_f32_e32 v20, v20, v115
	v_rcp_f32_e32 v115, v129
	v_add_f32_e32 v119, v119, v128
	s_delay_alu instid0(VALU_DEP_2) | instskip(NEXT) | instid1(VALU_DEP_1)
	v_add_f32_e32 v130, v117, v20
	v_sub_f32_e32 v117, v117, v130
	s_waitcnt_depctr 0xfff
	v_dual_mul_f32 v131, v130, v115 :: v_dual_add_f32 v20, v20, v117
	s_delay_alu instid0(VALU_DEP_1) | instskip(NEXT) | instid1(VALU_DEP_1)
	v_mul_f32_e32 v132, v129, v131
	v_fma_f32 v128, v131, v129, -v132
	s_delay_alu instid0(VALU_DEP_1) | instskip(NEXT) | instid1(VALU_DEP_1)
	v_fmac_f32_e32 v128, v131, v119
	v_add_f32_e32 v133, v132, v128
	s_delay_alu instid0(VALU_DEP_1) | instskip(NEXT) | instid1(VALU_DEP_1)
	v_dual_sub_f32 v134, v130, v133 :: v_dual_sub_f32 v117, v133, v132
	v_sub_f32_e32 v130, v130, v134
	s_delay_alu instid0(VALU_DEP_1) | instskip(NEXT) | instid1(VALU_DEP_1)
	v_dual_sub_f32 v130, v130, v133 :: v_dual_sub_f32 v117, v117, v128
	v_add_f32_e32 v20, v20, v130
	s_delay_alu instid0(VALU_DEP_1) | instskip(NEXT) | instid1(VALU_DEP_1)
	v_add_f32_e32 v20, v117, v20
	v_add_f32_e32 v117, v134, v20
	s_delay_alu instid0(VALU_DEP_1) | instskip(NEXT) | instid1(VALU_DEP_1)
	v_mul_f32_e32 v128, v115, v117
	v_dual_sub_f32 v133, v134, v117 :: v_dual_mul_f32 v130, v129, v128
	s_delay_alu instid0(VALU_DEP_1) | instskip(NEXT) | instid1(VALU_DEP_1)
	v_fma_f32 v129, v128, v129, -v130
	v_fmac_f32_e32 v129, v128, v119
	s_delay_alu instid0(VALU_DEP_3) | instskip(NEXT) | instid1(VALU_DEP_2)
	v_add_f32_e32 v20, v20, v133
	v_add_f32_e32 v119, v130, v129
	s_delay_alu instid0(VALU_DEP_1) | instskip(SKIP_1) | instid1(VALU_DEP_1)
	v_sub_f32_e32 v130, v119, v130
	v_sub_f32_e32 v132, v117, v119
	;; [unrolled: 1-line block ×3, first 2 shown]
	s_delay_alu instid0(VALU_DEP_1) | instskip(NEXT) | instid1(VALU_DEP_4)
	v_sub_f32_e32 v117, v117, v119
	v_sub_f32_e32 v119, v130, v129
	s_delay_alu instid0(VALU_DEP_2) | instskip(NEXT) | instid1(VALU_DEP_1)
	v_dual_add_f32 v20, v20, v117 :: v_dual_add_f32 v117, v131, v128
	v_dual_add_f32 v20, v119, v20 :: v_dual_sub_f32 v119, v117, v131
	s_delay_alu instid0(VALU_DEP_1) | instskip(NEXT) | instid1(VALU_DEP_1)
	v_add_f32_e32 v20, v132, v20
	v_dual_sub_f32 v119, v128, v119 :: v_dual_mul_f32 v20, v115, v20
	s_delay_alu instid0(VALU_DEP_1) | instskip(NEXT) | instid1(VALU_DEP_1)
	v_add_f32_e32 v20, v119, v20
	v_add_f32_e32 v115, v117, v20
	s_delay_alu instid0(VALU_DEP_1) | instskip(NEXT) | instid1(VALU_DEP_1)
	v_mul_f32_e32 v119, v115, v115
	v_fmaak_f32 v128, s19, v119, 0x3ecc95a3
	v_mul_f32_e32 v129, v115, v119
	v_cmp_gt_f32_e64 s19, 0x33800000, |v21|
	s_delay_alu instid0(VALU_DEP_3) | instskip(SKIP_2) | instid1(VALU_DEP_4)
	v_fmaak_f32 v119, v119, v128, 0x3f2aaada
	v_ldexp_f32 v128, v115, 1
	v_sub_f32_e32 v115, v115, v117
	s_or_b32 vcc_lo, vcc_lo, s19
	s_delay_alu instid0(VALU_DEP_3) | instskip(SKIP_1) | instid1(VALU_DEP_3)
	v_mul_f32_e32 v119, v129, v119
	v_mul_f32_e32 v129, 0x3f317218, v19
	v_sub_f32_e32 v20, v20, v115
	s_delay_alu instid0(VALU_DEP_3) | instskip(NEXT) | instid1(VALU_DEP_2)
	v_add_f32_e32 v117, v128, v119
	v_ldexp_f32 v20, v20, 1
	s_delay_alu instid0(VALU_DEP_2) | instskip(SKIP_1) | instid1(VALU_DEP_2)
	v_sub_f32_e32 v115, v117, v128
	v_fma_f32 v128, 0x3f317218, v19, -v129
	v_sub_f32_e32 v115, v119, v115
	s_delay_alu instid0(VALU_DEP_1) | instskip(NEXT) | instid1(VALU_DEP_1)
	v_dual_fmamk_f32 v19, v19, 0xb102e308, v128 :: v_dual_add_f32 v20, v20, v115
	v_add_f32_e32 v115, v129, v19
	s_delay_alu instid0(VALU_DEP_2) | instskip(NEXT) | instid1(VALU_DEP_2)
	v_add_f32_e32 v119, v117, v20
	v_sub_f32_e32 v129, v115, v129
	s_delay_alu instid0(VALU_DEP_2) | instskip(NEXT) | instid1(VALU_DEP_1)
	v_add_f32_e32 v128, v115, v119
	v_dual_sub_f32 v19, v19, v129 :: v_dual_sub_f32 v130, v128, v115
	v_sub_f32_e32 v117, v119, v117
	s_delay_alu instid0(VALU_DEP_2) | instskip(NEXT) | instid1(VALU_DEP_2)
	v_sub_f32_e32 v131, v128, v130
	v_dual_sub_f32 v20, v20, v117 :: v_dual_sub_f32 v117, v119, v130
	s_delay_alu instid0(VALU_DEP_2) | instskip(NEXT) | instid1(VALU_DEP_2)
	v_sub_f32_e32 v115, v115, v131
	v_add_f32_e32 v119, v19, v20
	s_delay_alu instid0(VALU_DEP_2) | instskip(NEXT) | instid1(VALU_DEP_2)
	v_add_f32_e32 v115, v117, v115
	v_sub_f32_e32 v117, v119, v19
	s_delay_alu instid0(VALU_DEP_2) | instskip(NEXT) | instid1(VALU_DEP_2)
	v_add_f32_e32 v115, v119, v115
	v_sub_f32_e32 v119, v119, v117
	v_sub_f32_e32 v20, v20, v117
	s_delay_alu instid0(VALU_DEP_3) | instskip(NEXT) | instid1(VALU_DEP_3)
	v_add_f32_e32 v129, v128, v115
	v_sub_f32_e32 v19, v19, v119
	s_delay_alu instid0(VALU_DEP_2) | instskip(NEXT) | instid1(VALU_DEP_1)
	v_sub_f32_e32 v117, v129, v128
	v_dual_add_f32 v19, v20, v19 :: v_dual_sub_f32 v20, v115, v117
	s_delay_alu instid0(VALU_DEP_1) | instskip(NEXT) | instid1(VALU_DEP_1)
	v_add_f32_e32 v19, v19, v20
	v_add_f32_e32 v19, v129, v19
	s_delay_alu instid0(VALU_DEP_1) | instskip(NEXT) | instid1(VALU_DEP_1)
	v_cndmask_b32_e32 v19, v19, v21, vcc_lo
	v_add_f32_e32 v19, v18, v19
.LBB501_81:
	s_or_b32 exec_lo, exec_lo, s18
	s_delay_alu instid0(VALU_DEP_1) | instskip(SKIP_1) | instid1(VALU_DEP_2)
	v_bfe_u32 v18, v19, 16, 1
	v_cmp_o_f32_e32 vcc_lo, v19, v19
	v_add3_u32 v18, v19, v18, 0x7fff
	s_delay_alu instid0(VALU_DEP_1) | instskip(NEXT) | instid1(VALU_DEP_1)
	v_and_b32_e32 v18, 0xffff0000, v18
	v_cndmask_b32_e32 v19, 0x7fc00000, v18, vcc_lo
	s_delay_alu instid0(VALU_DEP_1) | instskip(NEXT) | instid1(VALU_DEP_1)
	v_dual_max_f32 v18, v19, v19 :: v_dual_lshlrev_b32 v115, 16, v30
	v_max_f32_e32 v128, v115, v115
	v_cmp_u_f32_e32 vcc_lo, v19, v19
	v_cmp_u_f32_e64 s18, v115, v115
	s_delay_alu instid0(VALU_DEP_3) | instskip(SKIP_1) | instid1(VALU_DEP_2)
	v_min_f32_e32 v20, v18, v128
	v_max_f32_e32 v18, v18, v128
	v_cndmask_b32_e32 v20, v20, v19, vcc_lo
	s_delay_alu instid0(VALU_DEP_2) | instskip(NEXT) | instid1(VALU_DEP_2)
	v_cndmask_b32_e32 v18, v18, v19, vcc_lo
	v_cndmask_b32_e64 v20, v20, v115, s18
	s_delay_alu instid0(VALU_DEP_2) | instskip(NEXT) | instid1(VALU_DEP_2)
	v_cndmask_b32_e64 v18, v18, v115, s18
	v_cmp_class_f32_e64 s19, v20, 0x1f8
	s_delay_alu instid0(VALU_DEP_2) | instskip(NEXT) | instid1(VALU_DEP_2)
	v_cmp_neq_f32_e32 vcc_lo, v20, v18
	s_or_b32 s20, vcc_lo, s19
	s_delay_alu instid0(SALU_CYCLE_1)
	s_and_saveexec_b32 s19, s20
	s_cbranch_execz .LBB501_83
; %bb.82:
	v_sub_f32_e32 v19, v20, v18
	s_mov_b32 s20, 0x3e9b6dac
	s_delay_alu instid0(VALU_DEP_1) | instskip(SKIP_1) | instid1(VALU_DEP_2)
	v_mul_f32_e32 v20, 0x3fb8aa3b, v19
	v_cmp_ngt_f32_e32 vcc_lo, 0xc2ce8ed0, v19
	v_fma_f32 v21, 0x3fb8aa3b, v19, -v20
	v_rndne_f32_e32 v117, v20
	s_delay_alu instid0(VALU_DEP_1) | instskip(NEXT) | instid1(VALU_DEP_1)
	v_dual_fmamk_f32 v21, v19, 0x32a5705f, v21 :: v_dual_sub_f32 v20, v20, v117
	v_add_f32_e32 v20, v20, v21
	v_cvt_i32_f32_e32 v21, v117
	s_delay_alu instid0(VALU_DEP_2) | instskip(SKIP_2) | instid1(VALU_DEP_1)
	v_exp_f32_e32 v20, v20
	s_waitcnt_depctr 0xfff
	v_ldexp_f32 v20, v20, v21
	v_cndmask_b32_e32 v20, 0, v20, vcc_lo
	v_cmp_nlt_f32_e32 vcc_lo, 0x42b17218, v19
	s_delay_alu instid0(VALU_DEP_2) | instskip(NEXT) | instid1(VALU_DEP_1)
	v_cndmask_b32_e32 v21, 0x7f800000, v20, vcc_lo
	v_add_f32_e32 v117, 1.0, v21
	s_delay_alu instid0(VALU_DEP_1) | instskip(NEXT) | instid1(VALU_DEP_1)
	v_cvt_f64_f32_e32 v[19:20], v117
	v_frexp_exp_i32_f64_e32 v19, v[19:20]
	v_frexp_mant_f32_e32 v20, v117
	s_delay_alu instid0(VALU_DEP_1) | instskip(SKIP_1) | instid1(VALU_DEP_1)
	v_cmp_gt_f32_e32 vcc_lo, 0x3f2aaaab, v20
	v_add_f32_e32 v20, -1.0, v117
	v_dual_sub_f32 v129, v20, v117 :: v_dual_sub_f32 v20, v21, v20
	s_delay_alu instid0(VALU_DEP_1) | instskip(SKIP_2) | instid1(VALU_DEP_2)
	v_add_f32_e32 v129, 1.0, v129
	v_subrev_co_ci_u32_e32 v19, vcc_lo, 0, v19, vcc_lo
	v_cmp_eq_f32_e32 vcc_lo, 0x7f800000, v21
	v_sub_nc_u32_e32 v119, 0, v19
	v_cvt_f32_i32_e32 v19, v19
	s_delay_alu instid0(VALU_DEP_2) | instskip(SKIP_1) | instid1(VALU_DEP_1)
	v_ldexp_f32 v117, v117, v119
	v_add_f32_e32 v20, v20, v129
	v_ldexp_f32 v20, v20, v119
	s_delay_alu instid0(VALU_DEP_3) | instskip(NEXT) | instid1(VALU_DEP_1)
	v_add_f32_e32 v119, -1.0, v117
	v_dual_add_f32 v130, 1.0, v117 :: v_dual_add_f32 v131, 1.0, v119
	s_delay_alu instid0(VALU_DEP_1) | instskip(NEXT) | instid1(VALU_DEP_1)
	v_add_f32_e32 v129, -1.0, v130
	v_sub_f32_e32 v129, v117, v129
	s_delay_alu instid0(VALU_DEP_3) | instskip(NEXT) | instid1(VALU_DEP_2)
	v_sub_f32_e32 v117, v117, v131
	v_add_f32_e32 v129, v20, v129
	s_delay_alu instid0(VALU_DEP_2) | instskip(NEXT) | instid1(VALU_DEP_2)
	v_add_f32_e32 v20, v20, v117
	v_add_f32_e32 v131, v130, v129
	s_delay_alu instid0(VALU_DEP_1) | instskip(NEXT) | instid1(VALU_DEP_1)
	v_sub_f32_e32 v130, v130, v131
	v_dual_add_f32 v129, v129, v130 :: v_dual_add_f32 v132, v119, v20
	s_delay_alu instid0(VALU_DEP_1) | instskip(NEXT) | instid1(VALU_DEP_1)
	v_sub_f32_e32 v119, v119, v132
	v_add_f32_e32 v20, v20, v119
	v_rcp_f32_e32 v117, v131
	s_waitcnt_depctr 0xfff
	v_mul_f32_e32 v133, v132, v117
	s_delay_alu instid0(VALU_DEP_1) | instskip(NEXT) | instid1(VALU_DEP_1)
	v_mul_f32_e32 v134, v131, v133
	v_fma_f32 v130, v133, v131, -v134
	s_delay_alu instid0(VALU_DEP_1) | instskip(NEXT) | instid1(VALU_DEP_1)
	v_fmac_f32_e32 v130, v133, v129
	v_add_f32_e32 v145, v134, v130
	s_delay_alu instid0(VALU_DEP_1) | instskip(NEXT) | instid1(VALU_DEP_1)
	v_sub_f32_e32 v146, v132, v145
	v_sub_f32_e32 v132, v132, v146
	s_delay_alu instid0(VALU_DEP_1) | instskip(NEXT) | instid1(VALU_DEP_1)
	v_sub_f32_e32 v132, v132, v145
	v_dual_add_f32 v20, v20, v132 :: v_dual_sub_f32 v119, v145, v134
	s_delay_alu instid0(VALU_DEP_1) | instskip(NEXT) | instid1(VALU_DEP_1)
	v_sub_f32_e32 v119, v119, v130
	v_add_f32_e32 v20, v119, v20
	s_delay_alu instid0(VALU_DEP_1) | instskip(NEXT) | instid1(VALU_DEP_1)
	v_add_f32_e32 v119, v146, v20
	v_mul_f32_e32 v130, v117, v119
	s_delay_alu instid0(VALU_DEP_1) | instskip(NEXT) | instid1(VALU_DEP_1)
	v_dual_sub_f32 v145, v146, v119 :: v_dual_mul_f32 v132, v131, v130
	v_add_f32_e32 v20, v20, v145
	s_delay_alu instid0(VALU_DEP_2) | instskip(NEXT) | instid1(VALU_DEP_1)
	v_fma_f32 v131, v130, v131, -v132
	v_fmac_f32_e32 v131, v130, v129
	s_delay_alu instid0(VALU_DEP_1) | instskip(NEXT) | instid1(VALU_DEP_1)
	v_add_f32_e32 v129, v132, v131
	v_sub_f32_e32 v134, v119, v129
	s_delay_alu instid0(VALU_DEP_1) | instskip(NEXT) | instid1(VALU_DEP_1)
	v_dual_sub_f32 v132, v129, v132 :: v_dual_sub_f32 v119, v119, v134
	v_sub_f32_e32 v119, v119, v129
	s_delay_alu instid0(VALU_DEP_2) | instskip(NEXT) | instid1(VALU_DEP_2)
	v_sub_f32_e32 v129, v132, v131
	v_dual_add_f32 v20, v20, v119 :: v_dual_add_f32 v119, v133, v130
	s_delay_alu instid0(VALU_DEP_1) | instskip(NEXT) | instid1(VALU_DEP_1)
	v_add_f32_e32 v20, v129, v20
	v_dual_add_f32 v20, v134, v20 :: v_dual_sub_f32 v129, v119, v133
	s_delay_alu instid0(VALU_DEP_1) | instskip(NEXT) | instid1(VALU_DEP_1)
	v_dual_mul_f32 v20, v117, v20 :: v_dual_sub_f32 v129, v130, v129
	v_add_f32_e32 v20, v129, v20
	s_delay_alu instid0(VALU_DEP_1) | instskip(NEXT) | instid1(VALU_DEP_1)
	v_add_f32_e32 v117, v119, v20
	v_mul_f32_e32 v129, v117, v117
	s_delay_alu instid0(VALU_DEP_1) | instskip(SKIP_2) | instid1(VALU_DEP_3)
	v_fmaak_f32 v130, s20, v129, 0x3ecc95a3
	v_mul_f32_e32 v131, v117, v129
	v_cmp_gt_f32_e64 s20, 0x33800000, |v21|
	v_fmaak_f32 v129, v129, v130, 0x3f2aaada
	v_ldexp_f32 v130, v117, 1
	v_sub_f32_e32 v117, v117, v119
	s_delay_alu instid0(VALU_DEP_4) | instskip(NEXT) | instid1(VALU_DEP_3)
	s_or_b32 vcc_lo, vcc_lo, s20
	v_mul_f32_e32 v129, v131, v129
	s_delay_alu instid0(VALU_DEP_2) | instskip(NEXT) | instid1(VALU_DEP_2)
	v_sub_f32_e32 v20, v20, v117
	v_add_f32_e32 v119, v130, v129
	s_delay_alu instid0(VALU_DEP_2) | instskip(NEXT) | instid1(VALU_DEP_2)
	v_ldexp_f32 v20, v20, 1
	v_sub_f32_e32 v117, v119, v130
	s_delay_alu instid0(VALU_DEP_1) | instskip(NEXT) | instid1(VALU_DEP_1)
	v_sub_f32_e32 v117, v129, v117
	v_dual_mul_f32 v131, 0x3f317218, v19 :: v_dual_add_f32 v20, v20, v117
	s_delay_alu instid0(VALU_DEP_1) | instskip(NEXT) | instid1(VALU_DEP_2)
	v_fma_f32 v130, 0x3f317218, v19, -v131
	v_add_f32_e32 v129, v119, v20
	s_delay_alu instid0(VALU_DEP_2) | instskip(NEXT) | instid1(VALU_DEP_1)
	v_fmamk_f32 v19, v19, 0xb102e308, v130
	v_add_f32_e32 v117, v131, v19
	s_delay_alu instid0(VALU_DEP_1) | instskip(NEXT) | instid1(VALU_DEP_1)
	v_add_f32_e32 v130, v117, v129
	v_dual_sub_f32 v131, v117, v131 :: v_dual_sub_f32 v132, v130, v117
	v_sub_f32_e32 v119, v129, v119
	s_delay_alu instid0(VALU_DEP_2) | instskip(NEXT) | instid1(VALU_DEP_2)
	v_sub_f32_e32 v19, v19, v131
	v_dual_sub_f32 v133, v130, v132 :: v_dual_sub_f32 v20, v20, v119
	v_sub_f32_e32 v119, v129, v132
	s_delay_alu instid0(VALU_DEP_2) | instskip(NEXT) | instid1(VALU_DEP_3)
	v_sub_f32_e32 v117, v117, v133
	v_add_f32_e32 v129, v19, v20
	s_delay_alu instid0(VALU_DEP_2) | instskip(NEXT) | instid1(VALU_DEP_2)
	v_add_f32_e32 v117, v119, v117
	v_sub_f32_e32 v119, v129, v19
	s_delay_alu instid0(VALU_DEP_2) | instskip(NEXT) | instid1(VALU_DEP_2)
	v_add_f32_e32 v117, v129, v117
	v_sub_f32_e32 v129, v129, v119
	s_delay_alu instid0(VALU_DEP_2) | instskip(NEXT) | instid1(VALU_DEP_2)
	v_dual_sub_f32 v20, v20, v119 :: v_dual_add_f32 v131, v130, v117
	v_sub_f32_e32 v19, v19, v129
	s_delay_alu instid0(VALU_DEP_2) | instskip(NEXT) | instid1(VALU_DEP_2)
	v_sub_f32_e32 v119, v131, v130
	v_add_f32_e32 v19, v20, v19
	s_delay_alu instid0(VALU_DEP_2) | instskip(NEXT) | instid1(VALU_DEP_1)
	v_sub_f32_e32 v20, v117, v119
	v_add_f32_e32 v19, v19, v20
	s_delay_alu instid0(VALU_DEP_1) | instskip(NEXT) | instid1(VALU_DEP_1)
	v_add_f32_e32 v19, v131, v19
	v_cndmask_b32_e32 v19, v19, v21, vcc_lo
	s_delay_alu instid0(VALU_DEP_1)
	v_add_f32_e32 v19, v18, v19
.LBB501_83:
	s_or_b32 exec_lo, exec_lo, s19
	s_delay_alu instid0(VALU_DEP_1) | instskip(SKIP_1) | instid1(VALU_DEP_2)
	v_bfe_u32 v18, v19, 16, 1
	v_cmp_o_f32_e32 vcc_lo, v19, v19
	v_add3_u32 v18, v19, v18, 0x7fff
	s_delay_alu instid0(VALU_DEP_1) | instskip(NEXT) | instid1(VALU_DEP_1)
	v_and_b32_e32 v18, 0xffff0000, v18
	v_cndmask_b32_e32 v19, 0x7fc00000, v18, vcc_lo
	s_delay_alu instid0(VALU_DEP_1) | instskip(NEXT) | instid1(VALU_DEP_1)
	v_dual_max_f32 v18, v19, v19 :: v_dual_lshlrev_b32 v117, 16, v29
	v_max_f32_e32 v130, v117, v117
	v_cmp_u_f32_e32 vcc_lo, v19, v19
	v_cmp_u_f32_e64 s19, v117, v117
	s_delay_alu instid0(VALU_DEP_3) | instskip(SKIP_1) | instid1(VALU_DEP_2)
	v_min_f32_e32 v20, v18, v130
	v_max_f32_e32 v18, v18, v130
	v_cndmask_b32_e32 v20, v20, v19, vcc_lo
	s_delay_alu instid0(VALU_DEP_2) | instskip(NEXT) | instid1(VALU_DEP_2)
	v_cndmask_b32_e32 v18, v18, v19, vcc_lo
	v_cndmask_b32_e64 v20, v20, v117, s19
	s_delay_alu instid0(VALU_DEP_2) | instskip(NEXT) | instid1(VALU_DEP_2)
	v_cndmask_b32_e64 v18, v18, v117, s19
	v_cmp_class_f32_e64 s20, v20, 0x1f8
	s_delay_alu instid0(VALU_DEP_2) | instskip(NEXT) | instid1(VALU_DEP_2)
	v_cmp_neq_f32_e32 vcc_lo, v20, v18
	s_or_b32 s21, vcc_lo, s20
	s_delay_alu instid0(SALU_CYCLE_1)
	s_and_saveexec_b32 s20, s21
	s_cbranch_execz .LBB501_85
; %bb.84:
	v_sub_f32_e32 v19, v20, v18
	s_mov_b32 s21, 0x3e9b6dac
	s_delay_alu instid0(VALU_DEP_1) | instskip(SKIP_1) | instid1(VALU_DEP_2)
	v_mul_f32_e32 v20, 0x3fb8aa3b, v19
	v_cmp_ngt_f32_e32 vcc_lo, 0xc2ce8ed0, v19
	v_fma_f32 v21, 0x3fb8aa3b, v19, -v20
	v_rndne_f32_e32 v119, v20
	s_delay_alu instid0(VALU_DEP_1) | instskip(NEXT) | instid1(VALU_DEP_1)
	v_dual_fmamk_f32 v21, v19, 0x32a5705f, v21 :: v_dual_sub_f32 v20, v20, v119
	v_add_f32_e32 v20, v20, v21
	v_cvt_i32_f32_e32 v21, v119
	s_delay_alu instid0(VALU_DEP_2) | instskip(SKIP_2) | instid1(VALU_DEP_1)
	v_exp_f32_e32 v20, v20
	s_waitcnt_depctr 0xfff
	v_ldexp_f32 v20, v20, v21
	v_cndmask_b32_e32 v20, 0, v20, vcc_lo
	v_cmp_nlt_f32_e32 vcc_lo, 0x42b17218, v19
	s_delay_alu instid0(VALU_DEP_2) | instskip(NEXT) | instid1(VALU_DEP_1)
	v_cndmask_b32_e32 v21, 0x7f800000, v20, vcc_lo
	v_add_f32_e32 v119, 1.0, v21
	s_delay_alu instid0(VALU_DEP_1) | instskip(NEXT) | instid1(VALU_DEP_1)
	v_cvt_f64_f32_e32 v[19:20], v119
	v_frexp_exp_i32_f64_e32 v19, v[19:20]
	v_frexp_mant_f32_e32 v20, v119
	s_delay_alu instid0(VALU_DEP_1) | instskip(SKIP_1) | instid1(VALU_DEP_1)
	v_cmp_gt_f32_e32 vcc_lo, 0x3f2aaaab, v20
	v_add_f32_e32 v20, -1.0, v119
	v_dual_sub_f32 v131, v20, v119 :: v_dual_sub_f32 v20, v21, v20
	s_delay_alu instid0(VALU_DEP_1) | instskip(NEXT) | instid1(VALU_DEP_1)
	v_add_f32_e32 v131, 1.0, v131
	v_add_f32_e32 v20, v20, v131
	v_subrev_co_ci_u32_e32 v19, vcc_lo, 0, v19, vcc_lo
	v_cmp_eq_f32_e32 vcc_lo, 0x7f800000, v21
	s_delay_alu instid0(VALU_DEP_2) | instskip(SKIP_1) | instid1(VALU_DEP_2)
	v_sub_nc_u32_e32 v129, 0, v19
	v_cvt_f32_i32_e32 v19, v19
	v_ldexp_f32 v119, v119, v129
	v_ldexp_f32 v20, v20, v129
	s_delay_alu instid0(VALU_DEP_2) | instskip(NEXT) | instid1(VALU_DEP_1)
	v_add_f32_e32 v129, -1.0, v119
	v_dual_add_f32 v132, 1.0, v119 :: v_dual_add_f32 v133, 1.0, v129
	s_delay_alu instid0(VALU_DEP_1) | instskip(NEXT) | instid1(VALU_DEP_1)
	v_add_f32_e32 v131, -1.0, v132
	v_sub_f32_e32 v131, v119, v131
	s_delay_alu instid0(VALU_DEP_3) | instskip(NEXT) | instid1(VALU_DEP_2)
	v_sub_f32_e32 v119, v119, v133
	v_add_f32_e32 v131, v20, v131
	s_delay_alu instid0(VALU_DEP_1) | instskip(NEXT) | instid1(VALU_DEP_1)
	v_add_f32_e32 v133, v132, v131
	v_sub_f32_e32 v132, v132, v133
	s_delay_alu instid0(VALU_DEP_4) | instskip(SKIP_1) | instid1(VALU_DEP_1)
	v_add_f32_e32 v20, v20, v119
	v_rcp_f32_e32 v119, v133
	v_add_f32_e32 v134, v129, v20
	s_delay_alu instid0(VALU_DEP_1) | instskip(SKIP_2) | instid1(VALU_DEP_1)
	v_sub_f32_e32 v129, v129, v134
	s_waitcnt_depctr 0xfff
	v_mul_f32_e32 v145, v134, v119
	v_dual_mul_f32 v146, v133, v145 :: v_dual_add_f32 v131, v131, v132
	v_add_f32_e32 v20, v20, v129
	s_delay_alu instid0(VALU_DEP_2) | instskip(NEXT) | instid1(VALU_DEP_1)
	v_fma_f32 v132, v145, v133, -v146
	v_fmac_f32_e32 v132, v145, v131
	s_delay_alu instid0(VALU_DEP_1) | instskip(NEXT) | instid1(VALU_DEP_1)
	v_add_f32_e32 v147, v146, v132
	v_sub_f32_e32 v148, v134, v147
	s_delay_alu instid0(VALU_DEP_1) | instskip(NEXT) | instid1(VALU_DEP_1)
	v_sub_f32_e32 v134, v134, v148
	v_sub_f32_e32 v134, v134, v147
	s_delay_alu instid0(VALU_DEP_1) | instskip(SKIP_1) | instid1(VALU_DEP_1)
	v_add_f32_e32 v20, v20, v134
	v_sub_f32_e32 v129, v147, v146
	v_sub_f32_e32 v129, v129, v132
	s_delay_alu instid0(VALU_DEP_1) | instskip(NEXT) | instid1(VALU_DEP_1)
	v_add_f32_e32 v20, v129, v20
	v_add_f32_e32 v129, v148, v20
	s_delay_alu instid0(VALU_DEP_1) | instskip(NEXT) | instid1(VALU_DEP_1)
	v_mul_f32_e32 v132, v119, v129
	v_mul_f32_e32 v134, v133, v132
	s_delay_alu instid0(VALU_DEP_1) | instskip(NEXT) | instid1(VALU_DEP_1)
	v_fma_f32 v133, v132, v133, -v134
	v_fmac_f32_e32 v133, v132, v131
	s_delay_alu instid0(VALU_DEP_1) | instskip(NEXT) | instid1(VALU_DEP_1)
	v_add_f32_e32 v131, v134, v133
	v_sub_f32_e32 v134, v131, v134
	v_dual_sub_f32 v146, v129, v131 :: v_dual_sub_f32 v147, v148, v129
	s_delay_alu instid0(VALU_DEP_1) | instskip(NEXT) | instid1(VALU_DEP_1)
	v_dual_sub_f32 v129, v129, v146 :: v_dual_add_f32 v20, v20, v147
	v_sub_f32_e32 v129, v129, v131
	s_delay_alu instid0(VALU_DEP_4) | instskip(NEXT) | instid1(VALU_DEP_2)
	v_sub_f32_e32 v131, v134, v133
	v_dual_add_f32 v20, v20, v129 :: v_dual_add_f32 v129, v145, v132
	s_delay_alu instid0(VALU_DEP_1) | instskip(NEXT) | instid1(VALU_DEP_1)
	v_dual_add_f32 v20, v131, v20 :: v_dual_sub_f32 v131, v129, v145
	v_dual_add_f32 v20, v146, v20 :: v_dual_sub_f32 v131, v132, v131
	s_delay_alu instid0(VALU_DEP_1) | instskip(NEXT) | instid1(VALU_DEP_1)
	v_mul_f32_e32 v20, v119, v20
	v_add_f32_e32 v20, v131, v20
	s_delay_alu instid0(VALU_DEP_1) | instskip(NEXT) | instid1(VALU_DEP_1)
	v_add_f32_e32 v119, v129, v20
	v_mul_f32_e32 v131, v119, v119
	s_delay_alu instid0(VALU_DEP_1) | instskip(SKIP_2) | instid1(VALU_DEP_3)
	v_fmaak_f32 v132, s21, v131, 0x3ecc95a3
	v_mul_f32_e32 v133, v119, v131
	v_cmp_gt_f32_e64 s21, 0x33800000, |v21|
	v_fmaak_f32 v131, v131, v132, 0x3f2aaada
	v_ldexp_f32 v132, v119, 1
	v_sub_f32_e32 v119, v119, v129
	s_delay_alu instid0(VALU_DEP_4) | instskip(NEXT) | instid1(VALU_DEP_3)
	s_or_b32 vcc_lo, vcc_lo, s21
	v_mul_f32_e32 v131, v133, v131
	v_mul_f32_e32 v133, 0x3f317218, v19
	s_delay_alu instid0(VALU_DEP_3) | instskip(NEXT) | instid1(VALU_DEP_3)
	v_sub_f32_e32 v20, v20, v119
	v_add_f32_e32 v129, v132, v131
	s_delay_alu instid0(VALU_DEP_2) | instskip(NEXT) | instid1(VALU_DEP_2)
	v_ldexp_f32 v20, v20, 1
	v_sub_f32_e32 v119, v129, v132
	v_fma_f32 v132, 0x3f317218, v19, -v133
	s_delay_alu instid0(VALU_DEP_2) | instskip(NEXT) | instid1(VALU_DEP_1)
	v_sub_f32_e32 v119, v131, v119
	v_dual_fmamk_f32 v19, v19, 0xb102e308, v132 :: v_dual_add_f32 v20, v20, v119
	s_delay_alu instid0(VALU_DEP_1) | instskip(NEXT) | instid1(VALU_DEP_2)
	v_add_f32_e32 v119, v133, v19
	v_add_f32_e32 v131, v129, v20
	s_delay_alu instid0(VALU_DEP_2) | instskip(NEXT) | instid1(VALU_DEP_2)
	v_sub_f32_e32 v133, v119, v133
	v_add_f32_e32 v132, v119, v131
	s_delay_alu instid0(VALU_DEP_1) | instskip(SKIP_1) | instid1(VALU_DEP_2)
	v_dual_sub_f32 v19, v19, v133 :: v_dual_sub_f32 v134, v132, v119
	v_sub_f32_e32 v129, v131, v129
	v_sub_f32_e32 v145, v132, v134
	s_delay_alu instid0(VALU_DEP_2) | instskip(NEXT) | instid1(VALU_DEP_2)
	v_dual_sub_f32 v20, v20, v129 :: v_dual_sub_f32 v129, v131, v134
	v_sub_f32_e32 v119, v119, v145
	s_delay_alu instid0(VALU_DEP_2) | instskip(NEXT) | instid1(VALU_DEP_2)
	v_add_f32_e32 v131, v19, v20
	v_add_f32_e32 v119, v129, v119
	s_delay_alu instid0(VALU_DEP_2) | instskip(NEXT) | instid1(VALU_DEP_2)
	v_sub_f32_e32 v129, v131, v19
	v_add_f32_e32 v119, v131, v119
	s_delay_alu instid0(VALU_DEP_2) | instskip(SKIP_1) | instid1(VALU_DEP_3)
	v_sub_f32_e32 v131, v131, v129
	v_sub_f32_e32 v20, v20, v129
	v_add_f32_e32 v133, v132, v119
	s_delay_alu instid0(VALU_DEP_3) | instskip(NEXT) | instid1(VALU_DEP_2)
	v_sub_f32_e32 v19, v19, v131
	v_sub_f32_e32 v129, v133, v132
	s_delay_alu instid0(VALU_DEP_1) | instskip(NEXT) | instid1(VALU_DEP_1)
	v_dual_add_f32 v19, v20, v19 :: v_dual_sub_f32 v20, v119, v129
	v_add_f32_e32 v19, v19, v20
	s_delay_alu instid0(VALU_DEP_1) | instskip(NEXT) | instid1(VALU_DEP_1)
	v_add_f32_e32 v19, v133, v19
	v_cndmask_b32_e32 v19, v19, v21, vcc_lo
	s_delay_alu instid0(VALU_DEP_1)
	v_add_f32_e32 v19, v18, v19
.LBB501_85:
	s_or_b32 exec_lo, exec_lo, s20
	s_delay_alu instid0(VALU_DEP_1) | instskip(SKIP_1) | instid1(VALU_DEP_2)
	v_bfe_u32 v18, v19, 16, 1
	v_cmp_o_f32_e32 vcc_lo, v19, v19
	v_add3_u32 v18, v19, v18, 0x7fff
	s_delay_alu instid0(VALU_DEP_1) | instskip(NEXT) | instid1(VALU_DEP_1)
	v_and_b32_e32 v18, 0xffff0000, v18
	v_cndmask_b32_e32 v19, 0x7fc00000, v18, vcc_lo
	s_delay_alu instid0(VALU_DEP_1) | instskip(NEXT) | instid1(VALU_DEP_1)
	v_dual_max_f32 v18, v19, v19 :: v_dual_lshlrev_b32 v119, 16, v28
	v_max_f32_e32 v132, v119, v119
	v_cmp_u_f32_e32 vcc_lo, v19, v19
	v_cmp_u_f32_e64 s20, v119, v119
	s_delay_alu instid0(VALU_DEP_3) | instskip(SKIP_1) | instid1(VALU_DEP_2)
	v_min_f32_e32 v20, v18, v132
	v_max_f32_e32 v18, v18, v132
	v_cndmask_b32_e32 v20, v20, v19, vcc_lo
	s_delay_alu instid0(VALU_DEP_2) | instskip(NEXT) | instid1(VALU_DEP_2)
	v_cndmask_b32_e32 v18, v18, v19, vcc_lo
	v_cndmask_b32_e64 v20, v20, v119, s20
	s_delay_alu instid0(VALU_DEP_2) | instskip(NEXT) | instid1(VALU_DEP_2)
	v_cndmask_b32_e64 v18, v18, v119, s20
	v_cmp_class_f32_e64 s21, v20, 0x1f8
	s_delay_alu instid0(VALU_DEP_2) | instskip(NEXT) | instid1(VALU_DEP_2)
	v_cmp_neq_f32_e32 vcc_lo, v20, v18
	s_or_b32 s22, vcc_lo, s21
	s_delay_alu instid0(SALU_CYCLE_1)
	s_and_saveexec_b32 s21, s22
	s_cbranch_execz .LBB501_87
; %bb.86:
	v_sub_f32_e32 v19, v20, v18
	s_mov_b32 s22, 0x3e9b6dac
	s_delay_alu instid0(VALU_DEP_1) | instskip(SKIP_1) | instid1(VALU_DEP_2)
	v_mul_f32_e32 v20, 0x3fb8aa3b, v19
	v_cmp_ngt_f32_e32 vcc_lo, 0xc2ce8ed0, v19
	v_fma_f32 v21, 0x3fb8aa3b, v19, -v20
	v_rndne_f32_e32 v129, v20
	s_delay_alu instid0(VALU_DEP_1) | instskip(NEXT) | instid1(VALU_DEP_1)
	v_dual_fmamk_f32 v21, v19, 0x32a5705f, v21 :: v_dual_sub_f32 v20, v20, v129
	v_add_f32_e32 v20, v20, v21
	v_cvt_i32_f32_e32 v21, v129
	s_delay_alu instid0(VALU_DEP_2) | instskip(SKIP_2) | instid1(VALU_DEP_1)
	v_exp_f32_e32 v20, v20
	s_waitcnt_depctr 0xfff
	v_ldexp_f32 v20, v20, v21
	v_cndmask_b32_e32 v20, 0, v20, vcc_lo
	v_cmp_nlt_f32_e32 vcc_lo, 0x42b17218, v19
	s_delay_alu instid0(VALU_DEP_2) | instskip(NEXT) | instid1(VALU_DEP_1)
	v_cndmask_b32_e32 v21, 0x7f800000, v20, vcc_lo
	v_add_f32_e32 v129, 1.0, v21
	s_delay_alu instid0(VALU_DEP_1) | instskip(NEXT) | instid1(VALU_DEP_1)
	v_cvt_f64_f32_e32 v[19:20], v129
	v_frexp_exp_i32_f64_e32 v19, v[19:20]
	v_frexp_mant_f32_e32 v20, v129
	s_delay_alu instid0(VALU_DEP_1) | instskip(SKIP_1) | instid1(VALU_DEP_1)
	v_cmp_gt_f32_e32 vcc_lo, 0x3f2aaaab, v20
	v_add_f32_e32 v20, -1.0, v129
	v_dual_sub_f32 v133, v20, v129 :: v_dual_sub_f32 v20, v21, v20
	s_delay_alu instid0(VALU_DEP_1) | instskip(NEXT) | instid1(VALU_DEP_1)
	v_add_f32_e32 v133, 1.0, v133
	v_add_f32_e32 v20, v20, v133
	v_subrev_co_ci_u32_e32 v19, vcc_lo, 0, v19, vcc_lo
	v_cmp_eq_f32_e32 vcc_lo, 0x7f800000, v21
	s_delay_alu instid0(VALU_DEP_2) | instskip(SKIP_1) | instid1(VALU_DEP_2)
	v_sub_nc_u32_e32 v131, 0, v19
	v_cvt_f32_i32_e32 v19, v19
	v_ldexp_f32 v129, v129, v131
	v_ldexp_f32 v20, v20, v131
	s_delay_alu instid0(VALU_DEP_2) | instskip(NEXT) | instid1(VALU_DEP_1)
	v_add_f32_e32 v131, -1.0, v129
	v_dual_add_f32 v134, 1.0, v129 :: v_dual_add_f32 v145, 1.0, v131
	s_delay_alu instid0(VALU_DEP_1) | instskip(NEXT) | instid1(VALU_DEP_1)
	v_add_f32_e32 v133, -1.0, v134
	v_sub_f32_e32 v133, v129, v133
	s_delay_alu instid0(VALU_DEP_3) | instskip(NEXT) | instid1(VALU_DEP_2)
	v_sub_f32_e32 v129, v129, v145
	v_add_f32_e32 v133, v20, v133
	s_delay_alu instid0(VALU_DEP_2) | instskip(NEXT) | instid1(VALU_DEP_1)
	v_add_f32_e32 v20, v20, v129
	v_dual_add_f32 v145, v134, v133 :: v_dual_add_f32 v146, v131, v20
	s_delay_alu instid0(VALU_DEP_1) | instskip(SKIP_2) | instid1(VALU_DEP_1)
	v_rcp_f32_e32 v129, v145
	s_waitcnt_depctr 0xfff
	v_mul_f32_e32 v147, v146, v129
	v_mul_f32_e32 v148, v145, v147
	v_dual_sub_f32 v134, v134, v145 :: v_dual_sub_f32 v131, v131, v146
	s_delay_alu instid0(VALU_DEP_1) | instskip(NEXT) | instid1(VALU_DEP_3)
	v_add_f32_e32 v133, v133, v134
	v_fma_f32 v134, v147, v145, -v148
	s_delay_alu instid0(VALU_DEP_3) | instskip(NEXT) | instid1(VALU_DEP_2)
	v_add_f32_e32 v20, v20, v131
	v_fmac_f32_e32 v134, v147, v133
	s_delay_alu instid0(VALU_DEP_1) | instskip(NEXT) | instid1(VALU_DEP_1)
	v_add_f32_e32 v149, v148, v134
	v_dual_sub_f32 v131, v149, v148 :: v_dual_sub_f32 v150, v146, v149
	s_delay_alu instid0(VALU_DEP_1) | instskip(NEXT) | instid1(VALU_DEP_2)
	v_sub_f32_e32 v131, v131, v134
	v_sub_f32_e32 v146, v146, v150
	s_delay_alu instid0(VALU_DEP_1) | instskip(NEXT) | instid1(VALU_DEP_1)
	v_sub_f32_e32 v146, v146, v149
	v_add_f32_e32 v20, v20, v146
	s_delay_alu instid0(VALU_DEP_1) | instskip(NEXT) | instid1(VALU_DEP_1)
	v_add_f32_e32 v20, v131, v20
	v_add_f32_e32 v131, v150, v20
	s_delay_alu instid0(VALU_DEP_1) | instskip(NEXT) | instid1(VALU_DEP_1)
	v_mul_f32_e32 v134, v129, v131
	v_mul_f32_e32 v146, v145, v134
	s_delay_alu instid0(VALU_DEP_1) | instskip(NEXT) | instid1(VALU_DEP_1)
	v_fma_f32 v145, v134, v145, -v146
	v_fmac_f32_e32 v145, v134, v133
	v_sub_f32_e32 v149, v150, v131
	s_delay_alu instid0(VALU_DEP_1) | instskip(NEXT) | instid1(VALU_DEP_3)
	v_add_f32_e32 v20, v20, v149
	v_add_f32_e32 v133, v146, v145
	s_delay_alu instid0(VALU_DEP_1) | instskip(NEXT) | instid1(VALU_DEP_1)
	v_sub_f32_e32 v148, v131, v133
	v_sub_f32_e32 v131, v131, v148
	s_delay_alu instid0(VALU_DEP_1) | instskip(NEXT) | instid1(VALU_DEP_1)
	v_sub_f32_e32 v131, v131, v133
	v_add_f32_e32 v20, v20, v131
	v_sub_f32_e32 v146, v133, v146
	v_add_f32_e32 v131, v147, v134
	s_delay_alu instid0(VALU_DEP_2) | instskip(NEXT) | instid1(VALU_DEP_1)
	v_sub_f32_e32 v133, v146, v145
	v_add_f32_e32 v20, v133, v20
	s_delay_alu instid0(VALU_DEP_1) | instskip(NEXT) | instid1(VALU_DEP_1)
	v_dual_add_f32 v20, v148, v20 :: v_dual_sub_f32 v133, v131, v147
	v_dual_mul_f32 v20, v129, v20 :: v_dual_sub_f32 v133, v134, v133
	s_delay_alu instid0(VALU_DEP_1) | instskip(NEXT) | instid1(VALU_DEP_1)
	v_add_f32_e32 v20, v133, v20
	v_add_f32_e32 v129, v131, v20
	s_delay_alu instid0(VALU_DEP_1) | instskip(NEXT) | instid1(VALU_DEP_1)
	v_mul_f32_e32 v133, v129, v129
	v_fmaak_f32 v134, s22, v133, 0x3ecc95a3
	v_mul_f32_e32 v145, v129, v133
	v_cmp_gt_f32_e64 s22, 0x33800000, |v21|
	s_delay_alu instid0(VALU_DEP_3) | instskip(SKIP_2) | instid1(VALU_DEP_4)
	v_fmaak_f32 v133, v133, v134, 0x3f2aaada
	v_ldexp_f32 v134, v129, 1
	v_sub_f32_e32 v129, v129, v131
	s_or_b32 vcc_lo, vcc_lo, s22
	s_delay_alu instid0(VALU_DEP_3) | instskip(NEXT) | instid1(VALU_DEP_1)
	v_mul_f32_e32 v133, v145, v133
	v_add_f32_e32 v131, v134, v133
	s_delay_alu instid0(VALU_DEP_1) | instskip(NEXT) | instid1(VALU_DEP_1)
	v_dual_sub_f32 v20, v20, v129 :: v_dual_sub_f32 v129, v131, v134
	v_ldexp_f32 v20, v20, 1
	s_delay_alu instid0(VALU_DEP_2) | instskip(NEXT) | instid1(VALU_DEP_1)
	v_sub_f32_e32 v129, v133, v129
	v_dual_mul_f32 v145, 0x3f317218, v19 :: v_dual_add_f32 v20, v20, v129
	s_delay_alu instid0(VALU_DEP_1) | instskip(NEXT) | instid1(VALU_DEP_2)
	v_fma_f32 v134, 0x3f317218, v19, -v145
	v_add_f32_e32 v133, v131, v20
	s_delay_alu instid0(VALU_DEP_2) | instskip(NEXT) | instid1(VALU_DEP_1)
	v_fmamk_f32 v19, v19, 0xb102e308, v134
	v_add_f32_e32 v129, v145, v19
	s_delay_alu instid0(VALU_DEP_1) | instskip(SKIP_1) | instid1(VALU_DEP_2)
	v_add_f32_e32 v134, v129, v133
	v_sub_f32_e32 v145, v129, v145
	v_dual_sub_f32 v146, v134, v129 :: v_dual_sub_f32 v131, v133, v131
	s_delay_alu instid0(VALU_DEP_2) | instskip(NEXT) | instid1(VALU_DEP_2)
	v_sub_f32_e32 v19, v19, v145
	v_dual_sub_f32 v147, v134, v146 :: v_dual_sub_f32 v20, v20, v131
	v_sub_f32_e32 v131, v133, v146
	s_delay_alu instid0(VALU_DEP_2) | instskip(NEXT) | instid1(VALU_DEP_3)
	v_sub_f32_e32 v129, v129, v147
	v_add_f32_e32 v133, v19, v20
	s_delay_alu instid0(VALU_DEP_2) | instskip(NEXT) | instid1(VALU_DEP_2)
	v_add_f32_e32 v129, v131, v129
	v_sub_f32_e32 v131, v133, v19
	s_delay_alu instid0(VALU_DEP_2) | instskip(NEXT) | instid1(VALU_DEP_2)
	v_add_f32_e32 v129, v133, v129
	v_sub_f32_e32 v133, v133, v131
	s_delay_alu instid0(VALU_DEP_2) | instskip(NEXT) | instid1(VALU_DEP_2)
	v_dual_sub_f32 v20, v20, v131 :: v_dual_add_f32 v145, v134, v129
	v_sub_f32_e32 v19, v19, v133
	s_delay_alu instid0(VALU_DEP_2) | instskip(NEXT) | instid1(VALU_DEP_2)
	v_sub_f32_e32 v131, v145, v134
	v_add_f32_e32 v19, v20, v19
	s_delay_alu instid0(VALU_DEP_2) | instskip(NEXT) | instid1(VALU_DEP_1)
	v_sub_f32_e32 v20, v129, v131
	v_add_f32_e32 v19, v19, v20
	s_delay_alu instid0(VALU_DEP_1) | instskip(NEXT) | instid1(VALU_DEP_1)
	v_add_f32_e32 v19, v145, v19
	v_cndmask_b32_e32 v19, v19, v21, vcc_lo
	s_delay_alu instid0(VALU_DEP_1)
	v_add_f32_e32 v19, v18, v19
.LBB501_87:
	s_or_b32 exec_lo, exec_lo, s21
	s_delay_alu instid0(VALU_DEP_1) | instskip(SKIP_2) | instid1(VALU_DEP_3)
	v_bfe_u32 v18, v19, 16, 1
	v_lshlrev_b32_e32 v129, 16, v27
	v_cmp_o_f32_e32 vcc_lo, v19, v19
	v_add3_u32 v18, v19, v18, 0x7fff
	s_delay_alu instid0(VALU_DEP_1) | instskip(NEXT) | instid1(VALU_DEP_1)
	v_dual_max_f32 v133, v129, v129 :: v_dual_and_b32 v18, 0xffff0000, v18
	v_cndmask_b32_e32 v19, 0x7fc00000, v18, vcc_lo
	s_delay_alu instid0(VALU_DEP_1) | instskip(NEXT) | instid1(VALU_DEP_1)
	v_max_f32_e32 v18, v19, v19
	v_min_f32_e32 v20, v18, v133
	v_max_f32_e32 v18, v18, v133
	v_cmp_u_f32_e32 vcc_lo, v19, v19
	v_cmp_u_f32_e64 s21, v129, v129
	s_delay_alu instid0(VALU_DEP_4) | instskip(NEXT) | instid1(VALU_DEP_4)
	v_cndmask_b32_e32 v20, v20, v19, vcc_lo
	v_cndmask_b32_e32 v18, v18, v19, vcc_lo
	s_delay_alu instid0(VALU_DEP_2) | instskip(NEXT) | instid1(VALU_DEP_2)
	v_cndmask_b32_e64 v20, v20, v129, s21
	v_cndmask_b32_e64 v18, v18, v129, s21
	s_delay_alu instid0(VALU_DEP_2) | instskip(NEXT) | instid1(VALU_DEP_2)
	v_cmp_class_f32_e64 s22, v20, 0x1f8
	v_cmp_neq_f32_e32 vcc_lo, v20, v18
	s_delay_alu instid0(VALU_DEP_2) | instskip(NEXT) | instid1(SALU_CYCLE_1)
	s_or_b32 s24, vcc_lo, s22
	s_and_saveexec_b32 s22, s24
	s_cbranch_execz .LBB501_89
; %bb.88:
	v_sub_f32_e32 v19, v20, v18
	s_mov_b32 s24, 0x3e9b6dac
	s_delay_alu instid0(VALU_DEP_1) | instskip(SKIP_1) | instid1(VALU_DEP_2)
	v_mul_f32_e32 v20, 0x3fb8aa3b, v19
	v_cmp_ngt_f32_e32 vcc_lo, 0xc2ce8ed0, v19
	v_fma_f32 v21, 0x3fb8aa3b, v19, -v20
	v_rndne_f32_e32 v131, v20
	s_delay_alu instid0(VALU_DEP_1) | instskip(NEXT) | instid1(VALU_DEP_1)
	v_dual_fmamk_f32 v21, v19, 0x32a5705f, v21 :: v_dual_sub_f32 v20, v20, v131
	v_add_f32_e32 v20, v20, v21
	v_cvt_i32_f32_e32 v21, v131
	s_delay_alu instid0(VALU_DEP_2) | instskip(SKIP_2) | instid1(VALU_DEP_1)
	v_exp_f32_e32 v20, v20
	s_waitcnt_depctr 0xfff
	v_ldexp_f32 v20, v20, v21
	v_cndmask_b32_e32 v20, 0, v20, vcc_lo
	v_cmp_nlt_f32_e32 vcc_lo, 0x42b17218, v19
	s_delay_alu instid0(VALU_DEP_2) | instskip(NEXT) | instid1(VALU_DEP_1)
	v_cndmask_b32_e32 v21, 0x7f800000, v20, vcc_lo
	v_add_f32_e32 v131, 1.0, v21
	s_delay_alu instid0(VALU_DEP_1) | instskip(NEXT) | instid1(VALU_DEP_1)
	v_cvt_f64_f32_e32 v[19:20], v131
	v_frexp_exp_i32_f64_e32 v19, v[19:20]
	v_frexp_mant_f32_e32 v20, v131
	s_delay_alu instid0(VALU_DEP_1) | instskip(SKIP_1) | instid1(VALU_DEP_1)
	v_cmp_gt_f32_e32 vcc_lo, 0x3f2aaaab, v20
	v_add_f32_e32 v20, -1.0, v131
	v_dual_sub_f32 v145, v20, v131 :: v_dual_sub_f32 v20, v21, v20
	v_subrev_co_ci_u32_e32 v19, vcc_lo, 0, v19, vcc_lo
	v_cmp_eq_f32_e32 vcc_lo, 0x7f800000, v21
	s_delay_alu instid0(VALU_DEP_2) | instskip(SKIP_1) | instid1(VALU_DEP_2)
	v_sub_nc_u32_e32 v134, 0, v19
	v_cvt_f32_i32_e32 v19, v19
	v_ldexp_f32 v131, v131, v134
	s_delay_alu instid0(VALU_DEP_1) | instskip(NEXT) | instid1(VALU_DEP_1)
	v_dual_add_f32 v145, 1.0, v145 :: v_dual_add_f32 v146, 1.0, v131
	v_dual_add_f32 v20, v20, v145 :: v_dual_add_f32 v145, -1.0, v146
	s_delay_alu instid0(VALU_DEP_1) | instskip(NEXT) | instid1(VALU_DEP_2)
	v_ldexp_f32 v20, v20, v134
	v_dual_add_f32 v134, -1.0, v131 :: v_dual_sub_f32 v145, v131, v145
	s_delay_alu instid0(VALU_DEP_1) | instskip(NEXT) | instid1(VALU_DEP_2)
	v_add_f32_e32 v147, 1.0, v134
	v_add_f32_e32 v145, v20, v145
	s_delay_alu instid0(VALU_DEP_2) | instskip(NEXT) | instid1(VALU_DEP_1)
	v_sub_f32_e32 v131, v131, v147
	v_add_f32_e32 v20, v20, v131
	s_delay_alu instid0(VALU_DEP_1) | instskip(NEXT) | instid1(VALU_DEP_4)
	v_add_f32_e32 v148, v134, v20
	v_add_f32_e32 v147, v146, v145
	s_delay_alu instid0(VALU_DEP_2) | instskip(NEXT) | instid1(VALU_DEP_2)
	v_sub_f32_e32 v134, v134, v148
	v_rcp_f32_e32 v131, v147
	v_sub_f32_e32 v146, v146, v147
	s_delay_alu instid0(VALU_DEP_1) | instskip(NEXT) | instid1(VALU_DEP_3)
	v_add_f32_e32 v145, v145, v146
	v_add_f32_e32 v20, v20, v134
	s_waitcnt_depctr 0xfff
	v_mul_f32_e32 v149, v148, v131
	s_delay_alu instid0(VALU_DEP_1) | instskip(NEXT) | instid1(VALU_DEP_1)
	v_mul_f32_e32 v150, v147, v149
	v_fma_f32 v146, v149, v147, -v150
	s_delay_alu instid0(VALU_DEP_1) | instskip(NEXT) | instid1(VALU_DEP_1)
	v_fmac_f32_e32 v146, v149, v145
	v_add_f32_e32 v151, v150, v146
	s_delay_alu instid0(VALU_DEP_1) | instskip(NEXT) | instid1(VALU_DEP_1)
	v_sub_f32_e32 v160, v148, v151
	v_sub_f32_e32 v148, v148, v160
	;; [unrolled: 1-line block ×3, first 2 shown]
	s_delay_alu instid0(VALU_DEP_2) | instskip(NEXT) | instid1(VALU_DEP_2)
	v_sub_f32_e32 v148, v148, v151
	v_sub_f32_e32 v134, v134, v146
	s_delay_alu instid0(VALU_DEP_2) | instskip(NEXT) | instid1(VALU_DEP_1)
	v_add_f32_e32 v20, v20, v148
	v_add_f32_e32 v20, v134, v20
	s_delay_alu instid0(VALU_DEP_1) | instskip(NEXT) | instid1(VALU_DEP_1)
	v_add_f32_e32 v134, v160, v20
	v_mul_f32_e32 v146, v131, v134
	v_sub_f32_e32 v151, v160, v134
	s_delay_alu instid0(VALU_DEP_2) | instskip(NEXT) | instid1(VALU_DEP_2)
	v_mul_f32_e32 v148, v147, v146
	v_add_f32_e32 v20, v20, v151
	s_delay_alu instid0(VALU_DEP_2) | instskip(NEXT) | instid1(VALU_DEP_1)
	v_fma_f32 v147, v146, v147, -v148
	v_fmac_f32_e32 v147, v146, v145
	s_delay_alu instid0(VALU_DEP_1) | instskip(NEXT) | instid1(VALU_DEP_1)
	v_add_f32_e32 v145, v148, v147
	v_sub_f32_e32 v150, v134, v145
	v_sub_f32_e32 v148, v145, v148
	s_delay_alu instid0(VALU_DEP_2) | instskip(NEXT) | instid1(VALU_DEP_1)
	v_sub_f32_e32 v134, v134, v150
	v_dual_sub_f32 v134, v134, v145 :: v_dual_sub_f32 v145, v148, v147
	s_delay_alu instid0(VALU_DEP_1) | instskip(SKIP_1) | instid1(VALU_DEP_1)
	v_add_f32_e32 v20, v20, v134
	v_add_f32_e32 v134, v149, v146
	v_dual_add_f32 v20, v145, v20 :: v_dual_sub_f32 v145, v134, v149
	s_delay_alu instid0(VALU_DEP_1) | instskip(NEXT) | instid1(VALU_DEP_1)
	v_add_f32_e32 v20, v150, v20
	v_dual_sub_f32 v145, v146, v145 :: v_dual_mul_f32 v20, v131, v20
	s_delay_alu instid0(VALU_DEP_1) | instskip(NEXT) | instid1(VALU_DEP_1)
	v_add_f32_e32 v20, v145, v20
	v_add_f32_e32 v131, v134, v20
	s_delay_alu instid0(VALU_DEP_1) | instskip(NEXT) | instid1(VALU_DEP_1)
	v_mul_f32_e32 v145, v131, v131
	v_fmaak_f32 v146, s24, v145, 0x3ecc95a3
	v_mul_f32_e32 v147, v131, v145
	v_cmp_gt_f32_e64 s24, 0x33800000, |v21|
	s_delay_alu instid0(VALU_DEP_3) | instskip(SKIP_2) | instid1(VALU_DEP_4)
	v_fmaak_f32 v145, v145, v146, 0x3f2aaada
	v_ldexp_f32 v146, v131, 1
	v_sub_f32_e32 v131, v131, v134
	s_or_b32 vcc_lo, vcc_lo, s24
	s_delay_alu instid0(VALU_DEP_3) | instskip(SKIP_1) | instid1(VALU_DEP_3)
	v_mul_f32_e32 v145, v147, v145
	v_mul_f32_e32 v147, 0x3f317218, v19
	v_sub_f32_e32 v20, v20, v131
	s_delay_alu instid0(VALU_DEP_3) | instskip(NEXT) | instid1(VALU_DEP_2)
	v_add_f32_e32 v134, v146, v145
	v_ldexp_f32 v20, v20, 1
	s_delay_alu instid0(VALU_DEP_2) | instskip(SKIP_1) | instid1(VALU_DEP_2)
	v_sub_f32_e32 v131, v134, v146
	v_fma_f32 v146, 0x3f317218, v19, -v147
	v_sub_f32_e32 v131, v145, v131
	s_delay_alu instid0(VALU_DEP_1) | instskip(NEXT) | instid1(VALU_DEP_1)
	v_dual_fmamk_f32 v19, v19, 0xb102e308, v146 :: v_dual_add_f32 v20, v20, v131
	v_add_f32_e32 v131, v147, v19
	s_delay_alu instid0(VALU_DEP_2) | instskip(NEXT) | instid1(VALU_DEP_2)
	v_add_f32_e32 v145, v134, v20
	v_sub_f32_e32 v147, v131, v147
	s_delay_alu instid0(VALU_DEP_2) | instskip(NEXT) | instid1(VALU_DEP_2)
	v_add_f32_e32 v146, v131, v145
	v_dual_sub_f32 v19, v19, v147 :: v_dual_sub_f32 v134, v145, v134
	s_delay_alu instid0(VALU_DEP_2) | instskip(NEXT) | instid1(VALU_DEP_1)
	v_sub_f32_e32 v148, v146, v131
	v_dual_sub_f32 v20, v20, v134 :: v_dual_sub_f32 v149, v146, v148
	v_sub_f32_e32 v134, v145, v148
	s_delay_alu instid0(VALU_DEP_2) | instskip(NEXT) | instid1(VALU_DEP_3)
	v_add_f32_e32 v145, v19, v20
	v_sub_f32_e32 v131, v131, v149
	s_delay_alu instid0(VALU_DEP_1) | instskip(NEXT) | instid1(VALU_DEP_3)
	v_add_f32_e32 v131, v134, v131
	v_sub_f32_e32 v134, v145, v19
	s_delay_alu instid0(VALU_DEP_2) | instskip(NEXT) | instid1(VALU_DEP_2)
	v_add_f32_e32 v131, v145, v131
	v_sub_f32_e32 v145, v145, v134
	s_delay_alu instid0(VALU_DEP_2) | instskip(NEXT) | instid1(VALU_DEP_2)
	v_dual_sub_f32 v20, v20, v134 :: v_dual_add_f32 v147, v146, v131
	v_sub_f32_e32 v19, v19, v145
	s_delay_alu instid0(VALU_DEP_1) | instskip(NEXT) | instid1(VALU_DEP_1)
	v_dual_sub_f32 v134, v147, v146 :: v_dual_add_f32 v19, v20, v19
	v_sub_f32_e32 v20, v131, v134
	s_delay_alu instid0(VALU_DEP_1) | instskip(NEXT) | instid1(VALU_DEP_1)
	v_add_f32_e32 v19, v19, v20
	v_add_f32_e32 v19, v147, v19
	s_delay_alu instid0(VALU_DEP_1) | instskip(NEXT) | instid1(VALU_DEP_1)
	v_cndmask_b32_e32 v19, v19, v21, vcc_lo
	v_add_f32_e32 v19, v18, v19
.LBB501_89:
	s_or_b32 exec_lo, exec_lo, s22
	s_delay_alu instid0(VALU_DEP_1) | instskip(SKIP_1) | instid1(VALU_DEP_2)
	v_bfe_u32 v18, v19, 16, 1
	v_cmp_o_f32_e32 vcc_lo, v19, v19
	v_add3_u32 v18, v19, v18, 0x7fff
	s_delay_alu instid0(VALU_DEP_1) | instskip(NEXT) | instid1(VALU_DEP_1)
	v_and_b32_e32 v18, 0xffff0000, v18
	v_cndmask_b32_e32 v19, 0x7fc00000, v18, vcc_lo
	s_delay_alu instid0(VALU_DEP_1) | instskip(NEXT) | instid1(VALU_DEP_1)
	v_dual_max_f32 v18, v19, v19 :: v_dual_lshlrev_b32 v131, 16, v26
	v_max_f32_e32 v134, v131, v131
	v_cmp_u_f32_e32 vcc_lo, v19, v19
	v_cmp_u_f32_e64 s22, v131, v131
	s_delay_alu instid0(VALU_DEP_3) | instskip(SKIP_1) | instid1(VALU_DEP_2)
	v_min_f32_e32 v20, v18, v134
	v_max_f32_e32 v18, v18, v134
	v_cndmask_b32_e32 v20, v20, v19, vcc_lo
	s_delay_alu instid0(VALU_DEP_2) | instskip(NEXT) | instid1(VALU_DEP_2)
	v_cndmask_b32_e32 v18, v18, v19, vcc_lo
	v_cndmask_b32_e64 v20, v20, v131, s22
	s_delay_alu instid0(VALU_DEP_2) | instskip(NEXT) | instid1(VALU_DEP_2)
	v_cndmask_b32_e64 v18, v18, v131, s22
	v_cmp_class_f32_e64 s24, v20, 0x1f8
	s_delay_alu instid0(VALU_DEP_2) | instskip(NEXT) | instid1(VALU_DEP_2)
	v_cmp_neq_f32_e32 vcc_lo, v20, v18
	s_or_b32 s25, vcc_lo, s24
	s_delay_alu instid0(SALU_CYCLE_1)
	s_and_saveexec_b32 s24, s25
	s_cbranch_execz .LBB501_91
; %bb.90:
	v_sub_f32_e32 v19, v20, v18
	s_mov_b32 s25, 0x3e9b6dac
	s_delay_alu instid0(VALU_DEP_1) | instskip(SKIP_1) | instid1(VALU_DEP_2)
	v_mul_f32_e32 v20, 0x3fb8aa3b, v19
	v_cmp_ngt_f32_e32 vcc_lo, 0xc2ce8ed0, v19
	v_fma_f32 v21, 0x3fb8aa3b, v19, -v20
	v_rndne_f32_e32 v145, v20
	s_delay_alu instid0(VALU_DEP_1) | instskip(NEXT) | instid1(VALU_DEP_1)
	v_dual_fmamk_f32 v21, v19, 0x32a5705f, v21 :: v_dual_sub_f32 v20, v20, v145
	v_add_f32_e32 v20, v20, v21
	v_cvt_i32_f32_e32 v21, v145
	s_delay_alu instid0(VALU_DEP_2) | instskip(SKIP_2) | instid1(VALU_DEP_1)
	v_exp_f32_e32 v20, v20
	s_waitcnt_depctr 0xfff
	v_ldexp_f32 v20, v20, v21
	v_cndmask_b32_e32 v20, 0, v20, vcc_lo
	v_cmp_nlt_f32_e32 vcc_lo, 0x42b17218, v19
	s_delay_alu instid0(VALU_DEP_2) | instskip(NEXT) | instid1(VALU_DEP_1)
	v_cndmask_b32_e32 v21, 0x7f800000, v20, vcc_lo
	v_add_f32_e32 v145, 1.0, v21
	s_delay_alu instid0(VALU_DEP_1) | instskip(NEXT) | instid1(VALU_DEP_1)
	v_cvt_f64_f32_e32 v[19:20], v145
	v_frexp_exp_i32_f64_e32 v19, v[19:20]
	v_frexp_mant_f32_e32 v20, v145
	s_delay_alu instid0(VALU_DEP_1) | instskip(SKIP_1) | instid1(VALU_DEP_1)
	v_cmp_gt_f32_e32 vcc_lo, 0x3f2aaaab, v20
	v_add_f32_e32 v20, -1.0, v145
	v_dual_sub_f32 v147, v20, v145 :: v_dual_sub_f32 v20, v21, v20
	s_delay_alu instid0(VALU_DEP_1) | instskip(SKIP_2) | instid1(VALU_DEP_2)
	v_add_f32_e32 v147, 1.0, v147
	v_subrev_co_ci_u32_e32 v19, vcc_lo, 0, v19, vcc_lo
	v_cmp_eq_f32_e32 vcc_lo, 0x7f800000, v21
	v_sub_nc_u32_e32 v146, 0, v19
	v_cvt_f32_i32_e32 v19, v19
	s_delay_alu instid0(VALU_DEP_2) | instskip(NEXT) | instid1(VALU_DEP_1)
	v_ldexp_f32 v145, v145, v146
	v_add_f32_e32 v148, 1.0, v145
	s_delay_alu instid0(VALU_DEP_1) | instskip(NEXT) | instid1(VALU_DEP_1)
	v_dual_add_f32 v20, v20, v147 :: v_dual_add_f32 v147, -1.0, v148
	v_ldexp_f32 v20, v20, v146
	s_delay_alu instid0(VALU_DEP_2) | instskip(NEXT) | instid1(VALU_DEP_1)
	v_dual_sub_f32 v147, v145, v147 :: v_dual_add_f32 v146, -1.0, v145
	v_add_f32_e32 v147, v20, v147
	s_delay_alu instid0(VALU_DEP_2) | instskip(NEXT) | instid1(VALU_DEP_1)
	v_add_f32_e32 v149, 1.0, v146
	v_sub_f32_e32 v145, v145, v149
	s_delay_alu instid0(VALU_DEP_1) | instskip(NEXT) | instid1(VALU_DEP_1)
	v_add_f32_e32 v20, v20, v145
	v_dual_add_f32 v150, v146, v20 :: v_dual_add_f32 v149, v148, v147
	s_delay_alu instid0(VALU_DEP_1) | instskip(NEXT) | instid1(VALU_DEP_2)
	v_sub_f32_e32 v146, v146, v150
	v_rcp_f32_e32 v145, v149
	v_sub_f32_e32 v148, v148, v149
	s_delay_alu instid0(VALU_DEP_1) | instskip(SKIP_2) | instid1(VALU_DEP_1)
	v_dual_add_f32 v20, v20, v146 :: v_dual_add_f32 v147, v147, v148
	s_waitcnt_depctr 0xfff
	v_mul_f32_e32 v151, v150, v145
	v_mul_f32_e32 v160, v149, v151
	s_delay_alu instid0(VALU_DEP_1) | instskip(NEXT) | instid1(VALU_DEP_1)
	v_fma_f32 v148, v151, v149, -v160
	v_fmac_f32_e32 v148, v151, v147
	s_delay_alu instid0(VALU_DEP_1) | instskip(NEXT) | instid1(VALU_DEP_1)
	v_add_f32_e32 v161, v160, v148
	v_sub_f32_e32 v162, v150, v161
	s_delay_alu instid0(VALU_DEP_1) | instskip(SKIP_1) | instid1(VALU_DEP_2)
	v_sub_f32_e32 v150, v150, v162
	v_sub_f32_e32 v146, v161, v160
	;; [unrolled: 1-line block ×3, first 2 shown]
	s_delay_alu instid0(VALU_DEP_2) | instskip(NEXT) | instid1(VALU_DEP_2)
	v_sub_f32_e32 v146, v146, v148
	v_add_f32_e32 v20, v20, v150
	s_delay_alu instid0(VALU_DEP_1) | instskip(NEXT) | instid1(VALU_DEP_1)
	v_add_f32_e32 v20, v146, v20
	v_add_f32_e32 v146, v162, v20
	s_delay_alu instid0(VALU_DEP_1) | instskip(NEXT) | instid1(VALU_DEP_1)
	v_mul_f32_e32 v148, v145, v146
	v_dual_sub_f32 v161, v162, v146 :: v_dual_mul_f32 v150, v149, v148
	s_delay_alu instid0(VALU_DEP_1) | instskip(NEXT) | instid1(VALU_DEP_2)
	v_add_f32_e32 v20, v20, v161
	v_fma_f32 v149, v148, v149, -v150
	s_delay_alu instid0(VALU_DEP_1) | instskip(NEXT) | instid1(VALU_DEP_1)
	v_fmac_f32_e32 v149, v148, v147
	v_add_f32_e32 v147, v150, v149
	s_delay_alu instid0(VALU_DEP_1) | instskip(SKIP_1) | instid1(VALU_DEP_2)
	v_sub_f32_e32 v160, v146, v147
	v_sub_f32_e32 v150, v147, v150
	;; [unrolled: 1-line block ×3, first 2 shown]
	s_delay_alu instid0(VALU_DEP_1) | instskip(NEXT) | instid1(VALU_DEP_1)
	v_sub_f32_e32 v146, v146, v147
	v_dual_sub_f32 v147, v150, v149 :: v_dual_add_f32 v20, v20, v146
	v_add_f32_e32 v146, v151, v148
	s_delay_alu instid0(VALU_DEP_1) | instskip(NEXT) | instid1(VALU_DEP_1)
	v_dual_add_f32 v20, v147, v20 :: v_dual_sub_f32 v147, v146, v151
	v_add_f32_e32 v20, v160, v20
	s_delay_alu instid0(VALU_DEP_1) | instskip(NEXT) | instid1(VALU_DEP_1)
	v_dual_sub_f32 v147, v148, v147 :: v_dual_mul_f32 v20, v145, v20
	v_add_f32_e32 v20, v147, v20
	s_delay_alu instid0(VALU_DEP_1) | instskip(NEXT) | instid1(VALU_DEP_1)
	v_add_f32_e32 v145, v146, v20
	v_mul_f32_e32 v147, v145, v145
	s_delay_alu instid0(VALU_DEP_1) | instskip(SKIP_2) | instid1(VALU_DEP_3)
	v_fmaak_f32 v148, s25, v147, 0x3ecc95a3
	v_mul_f32_e32 v149, v145, v147
	v_cmp_gt_f32_e64 s25, 0x33800000, |v21|
	v_fmaak_f32 v147, v147, v148, 0x3f2aaada
	v_ldexp_f32 v148, v145, 1
	v_sub_f32_e32 v145, v145, v146
	s_delay_alu instid0(VALU_DEP_4) | instskip(NEXT) | instid1(VALU_DEP_3)
	s_or_b32 vcc_lo, vcc_lo, s25
	v_mul_f32_e32 v147, v149, v147
	s_delay_alu instid0(VALU_DEP_2) | instskip(NEXT) | instid1(VALU_DEP_2)
	v_dual_mul_f32 v149, 0x3f317218, v19 :: v_dual_sub_f32 v20, v20, v145
	v_add_f32_e32 v146, v148, v147
	s_delay_alu instid0(VALU_DEP_2) | instskip(NEXT) | instid1(VALU_DEP_2)
	v_ldexp_f32 v20, v20, 1
	v_sub_f32_e32 v145, v146, v148
	s_delay_alu instid0(VALU_DEP_4) | instskip(NEXT) | instid1(VALU_DEP_2)
	v_fma_f32 v148, 0x3f317218, v19, -v149
	v_sub_f32_e32 v145, v147, v145
	s_delay_alu instid0(VALU_DEP_1) | instskip(NEXT) | instid1(VALU_DEP_1)
	v_dual_fmamk_f32 v19, v19, 0xb102e308, v148 :: v_dual_add_f32 v20, v20, v145
	v_add_f32_e32 v145, v149, v19
	s_delay_alu instid0(VALU_DEP_2) | instskip(NEXT) | instid1(VALU_DEP_2)
	v_add_f32_e32 v147, v146, v20
	v_sub_f32_e32 v149, v145, v149
	s_delay_alu instid0(VALU_DEP_2) | instskip(SKIP_1) | instid1(VALU_DEP_3)
	v_add_f32_e32 v148, v145, v147
	v_sub_f32_e32 v146, v147, v146
	v_sub_f32_e32 v19, v19, v149
	s_delay_alu instid0(VALU_DEP_3) | instskip(NEXT) | instid1(VALU_DEP_3)
	v_sub_f32_e32 v150, v148, v145
	v_sub_f32_e32 v20, v20, v146
	s_delay_alu instid0(VALU_DEP_2) | instskip(SKIP_1) | instid1(VALU_DEP_3)
	v_sub_f32_e32 v151, v148, v150
	v_sub_f32_e32 v146, v147, v150
	v_add_f32_e32 v147, v19, v20
	s_delay_alu instid0(VALU_DEP_3) | instskip(NEXT) | instid1(VALU_DEP_1)
	v_sub_f32_e32 v145, v145, v151
	v_dual_add_f32 v145, v146, v145 :: v_dual_sub_f32 v146, v147, v19
	s_delay_alu instid0(VALU_DEP_1) | instskip(NEXT) | instid1(VALU_DEP_2)
	v_add_f32_e32 v145, v147, v145
	v_sub_f32_e32 v147, v147, v146
	v_sub_f32_e32 v20, v20, v146
	s_delay_alu instid0(VALU_DEP_3) | instskip(NEXT) | instid1(VALU_DEP_1)
	v_add_f32_e32 v149, v148, v145
	v_dual_sub_f32 v19, v19, v147 :: v_dual_sub_f32 v146, v149, v148
	s_delay_alu instid0(VALU_DEP_1) | instskip(NEXT) | instid1(VALU_DEP_1)
	v_dual_add_f32 v19, v20, v19 :: v_dual_sub_f32 v20, v145, v146
	v_add_f32_e32 v19, v19, v20
	s_delay_alu instid0(VALU_DEP_1) | instskip(NEXT) | instid1(VALU_DEP_1)
	v_add_f32_e32 v19, v149, v19
	v_cndmask_b32_e32 v19, v19, v21, vcc_lo
	s_delay_alu instid0(VALU_DEP_1)
	v_add_f32_e32 v19, v18, v19
.LBB501_91:
	s_or_b32 exec_lo, exec_lo, s24
	s_delay_alu instid0(VALU_DEP_1) | instskip(SKIP_2) | instid1(VALU_DEP_3)
	v_bfe_u32 v18, v19, 16, 1
	v_lshrrev_b32_e32 v20, 5, v0
	v_cmp_o_f32_e32 vcc_lo, v19, v19
	v_add3_u32 v18, v19, v18, 0x7fff
	s_delay_alu instid0(VALU_DEP_3) | instskip(NEXT) | instid1(VALU_DEP_2)
	v_add_lshl_u32 v20, v20, v0, 1
	v_lshrrev_b32_e32 v18, 16, v18
	s_delay_alu instid0(VALU_DEP_1)
	v_cndmask_b32_e32 v145, 0x7fc0, v18, vcc_lo
	v_cmp_gt_u32_e32 vcc_lo, 32, v0
	ds_store_b16 v20, v145
	s_waitcnt lgkmcnt(0)
	s_barrier
	buffer_gl0_inv
	s_and_saveexec_b32 s26, vcc_lo
	s_cbranch_execz .LBB501_119
; %bb.92:
	v_lshrrev_b32_e32 v18, 3, v0
	s_delay_alu instid0(VALU_DEP_1) | instskip(NEXT) | instid1(VALU_DEP_1)
	v_and_b32_e32 v18, 0x7e, v18
	v_lshl_or_b32 v18, v0, 2, v18
	ds_load_u16 v19, v18 offset:2
	ds_load_u16 v20, v18
	s_waitcnt lgkmcnt(1)
	v_lshlrev_b32_e32 v21, 16, v19
	s_waitcnt lgkmcnt(0)
	s_delay_alu instid0(VALU_DEP_1) | instskip(NEXT) | instid1(VALU_DEP_1)
	v_dual_max_f32 v146, v21, v21 :: v_dual_lshlrev_b32 v19, 16, v20
	v_max_f32_e32 v20, v19, v19
	v_cmp_u_f32_e64 s24, v19, v19
	s_delay_alu instid0(VALU_DEP_2) | instskip(SKIP_2) | instid1(VALU_DEP_3)
	v_min_f32_e32 v147, v20, v146
	v_max_f32_e32 v146, v20, v146
	v_cmp_u_f32_e64 s25, v21, v21
	v_cndmask_b32_e64 v147, v147, v19, s24
	s_delay_alu instid0(VALU_DEP_3) | instskip(NEXT) | instid1(VALU_DEP_2)
	v_cndmask_b32_e64 v146, v146, v19, s24
	v_cndmask_b32_e64 v147, v147, v21, s25
	s_delay_alu instid0(VALU_DEP_2) | instskip(SKIP_1) | instid1(VALU_DEP_3)
	v_cndmask_b32_e64 v21, v146, v21, s25
	v_mov_b32_e32 v146, v19
	v_cmp_class_f32_e64 s27, v147, 0x1f8
	s_delay_alu instid0(VALU_DEP_3) | instskip(NEXT) | instid1(VALU_DEP_1)
	v_cmp_neq_f32_e64 s25, v147, v21
	s_or_b32 s25, s25, s27
	s_delay_alu instid0(SALU_CYCLE_1)
	s_and_saveexec_b32 s27, s25
	s_cbranch_execz .LBB501_94
; %bb.93:
	v_sub_f32_e32 v146, v147, v21
	s_delay_alu instid0(VALU_DEP_1) | instskip(SKIP_1) | instid1(VALU_DEP_2)
	v_mul_f32_e32 v147, 0x3fb8aa3b, v146
	v_cmp_ngt_f32_e64 s25, 0xc2ce8ed0, v146
	v_fma_f32 v148, 0x3fb8aa3b, v146, -v147
	v_rndne_f32_e32 v149, v147
	s_delay_alu instid0(VALU_DEP_1) | instskip(NEXT) | instid1(VALU_DEP_1)
	v_dual_fmamk_f32 v148, v146, 0x32a5705f, v148 :: v_dual_sub_f32 v147, v147, v149
	v_add_f32_e32 v147, v147, v148
	v_cvt_i32_f32_e32 v148, v149
	s_delay_alu instid0(VALU_DEP_2) | instskip(SKIP_2) | instid1(VALU_DEP_1)
	v_exp_f32_e32 v147, v147
	s_waitcnt_depctr 0xfff
	v_ldexp_f32 v147, v147, v148
	v_cndmask_b32_e64 v147, 0, v147, s25
	v_cmp_nlt_f32_e64 s25, 0x42b17218, v146
	s_delay_alu instid0(VALU_DEP_1) | instskip(NEXT) | instid1(VALU_DEP_1)
	v_cndmask_b32_e64 v148, 0x7f800000, v147, s25
	v_add_f32_e32 v149, 1.0, v148
	v_cmp_gt_f32_e64 vcc_hi, 0x33800000, |v148|
	s_delay_alu instid0(VALU_DEP_2) | instskip(NEXT) | instid1(VALU_DEP_1)
	v_cvt_f64_f32_e32 v[146:147], v149
	v_frexp_exp_i32_f64_e32 v146, v[146:147]
	v_frexp_mant_f32_e32 v147, v149
	s_delay_alu instid0(VALU_DEP_1) | instskip(SKIP_1) | instid1(VALU_DEP_1)
	v_cmp_gt_f32_e64 s25, 0x3f2aaaab, v147
	v_add_f32_e32 v147, -1.0, v149
	v_sub_f32_e32 v151, v147, v149
	v_sub_f32_e32 v147, v148, v147
	s_delay_alu instid0(VALU_DEP_4) | instskip(SKIP_1) | instid1(VALU_DEP_1)
	v_subrev_co_ci_u32_e64 v146, s25, 0, v146, s25
	s_mov_b32 s25, 0x3e9b6dac
	v_sub_nc_u32_e32 v150, 0, v146
	v_cvt_f32_i32_e32 v146, v146
	s_delay_alu instid0(VALU_DEP_2) | instskip(NEXT) | instid1(VALU_DEP_1)
	v_ldexp_f32 v149, v149, v150
	v_dual_add_f32 v160, 1.0, v149 :: v_dual_add_f32 v151, 1.0, v151
	s_delay_alu instid0(VALU_DEP_1) | instskip(NEXT) | instid1(VALU_DEP_2)
	v_add_f32_e32 v147, v147, v151
	v_add_f32_e32 v151, -1.0, v160
	s_delay_alu instid0(VALU_DEP_2) | instskip(NEXT) | instid1(VALU_DEP_2)
	v_ldexp_f32 v147, v147, v150
	v_dual_add_f32 v150, -1.0, v149 :: v_dual_sub_f32 v151, v149, v151
	s_delay_alu instid0(VALU_DEP_1) | instskip(NEXT) | instid1(VALU_DEP_2)
	v_add_f32_e32 v161, 1.0, v150
	v_add_f32_e32 v151, v147, v151
	s_delay_alu instid0(VALU_DEP_2) | instskip(NEXT) | instid1(VALU_DEP_2)
	v_sub_f32_e32 v149, v149, v161
	v_add_f32_e32 v161, v160, v151
	s_delay_alu instid0(VALU_DEP_2) | instskip(NEXT) | instid1(VALU_DEP_2)
	v_add_f32_e32 v147, v147, v149
	v_rcp_f32_e32 v149, v161
	v_sub_f32_e32 v160, v160, v161
	s_delay_alu instid0(VALU_DEP_1) | instskip(NEXT) | instid1(VALU_DEP_1)
	v_dual_add_f32 v162, v150, v147 :: v_dual_add_f32 v151, v151, v160
	v_sub_f32_e32 v150, v150, v162
	s_waitcnt_depctr 0xfff
	v_mul_f32_e32 v163, v162, v149
	s_delay_alu instid0(VALU_DEP_1) | instskip(NEXT) | instid1(VALU_DEP_1)
	v_dual_add_f32 v147, v147, v150 :: v_dual_mul_f32 v164, v161, v163
	v_fma_f32 v160, v163, v161, -v164
	s_delay_alu instid0(VALU_DEP_1) | instskip(NEXT) | instid1(VALU_DEP_1)
	v_fmac_f32_e32 v160, v163, v151
	v_add_f32_e32 v165, v164, v160
	s_delay_alu instid0(VALU_DEP_1) | instskip(SKIP_1) | instid1(VALU_DEP_2)
	v_sub_f32_e32 v166, v162, v165
	v_sub_f32_e32 v150, v165, v164
	;; [unrolled: 1-line block ×3, first 2 shown]
	s_delay_alu instid0(VALU_DEP_2) | instskip(NEXT) | instid1(VALU_DEP_2)
	v_sub_f32_e32 v150, v150, v160
	v_sub_f32_e32 v162, v162, v165
	s_delay_alu instid0(VALU_DEP_1) | instskip(NEXT) | instid1(VALU_DEP_1)
	v_add_f32_e32 v147, v147, v162
	v_add_f32_e32 v147, v150, v147
	s_delay_alu instid0(VALU_DEP_1) | instskip(NEXT) | instid1(VALU_DEP_1)
	v_add_f32_e32 v150, v166, v147
	v_mul_f32_e32 v160, v149, v150
	s_delay_alu instid0(VALU_DEP_1) | instskip(NEXT) | instid1(VALU_DEP_1)
	v_dual_sub_f32 v165, v166, v150 :: v_dual_mul_f32 v162, v161, v160
	v_add_f32_e32 v147, v147, v165
	s_delay_alu instid0(VALU_DEP_2) | instskip(NEXT) | instid1(VALU_DEP_1)
	v_fma_f32 v161, v160, v161, -v162
	v_fmac_f32_e32 v161, v160, v151
	s_delay_alu instid0(VALU_DEP_1) | instskip(NEXT) | instid1(VALU_DEP_1)
	v_add_f32_e32 v151, v162, v161
	v_sub_f32_e32 v164, v150, v151
	v_sub_f32_e32 v162, v151, v162
	s_delay_alu instid0(VALU_DEP_2) | instskip(NEXT) | instid1(VALU_DEP_1)
	v_sub_f32_e32 v150, v150, v164
	v_sub_f32_e32 v150, v150, v151
	s_delay_alu instid0(VALU_DEP_3) | instskip(NEXT) | instid1(VALU_DEP_2)
	v_sub_f32_e32 v151, v162, v161
	v_add_f32_e32 v147, v147, v150
	v_add_f32_e32 v150, v163, v160
	s_delay_alu instid0(VALU_DEP_2) | instskip(NEXT) | instid1(VALU_DEP_2)
	v_add_f32_e32 v147, v151, v147
	v_sub_f32_e32 v151, v150, v163
	s_delay_alu instid0(VALU_DEP_2) | instskip(NEXT) | instid1(VALU_DEP_2)
	v_add_f32_e32 v147, v164, v147
	v_sub_f32_e32 v151, v160, v151
	s_delay_alu instid0(VALU_DEP_2) | instskip(NEXT) | instid1(VALU_DEP_1)
	v_mul_f32_e32 v147, v149, v147
	v_add_f32_e32 v147, v151, v147
	s_delay_alu instid0(VALU_DEP_1) | instskip(NEXT) | instid1(VALU_DEP_1)
	v_add_f32_e32 v149, v150, v147
	v_mul_f32_e32 v151, v149, v149
	s_delay_alu instid0(VALU_DEP_1) | instskip(SKIP_2) | instid1(VALU_DEP_3)
	v_fmaak_f32 v160, s25, v151, 0x3ecc95a3
	v_mul_f32_e32 v161, v149, v151
	v_cmp_eq_f32_e64 s25, 0x7f800000, v148
	v_fmaak_f32 v151, v151, v160, 0x3f2aaada
	v_ldexp_f32 v160, v149, 1
	v_sub_f32_e32 v149, v149, v150
	s_delay_alu instid0(VALU_DEP_4) | instskip(NEXT) | instid1(VALU_DEP_3)
	s_or_b32 s25, s25, vcc_hi
	v_mul_f32_e32 v151, v161, v151
	v_mul_f32_e32 v161, 0x3f317218, v146
	s_delay_alu instid0(VALU_DEP_2) | instskip(NEXT) | instid1(VALU_DEP_1)
	v_dual_sub_f32 v147, v147, v149 :: v_dual_add_f32 v150, v160, v151
	v_ldexp_f32 v147, v147, 1
	s_delay_alu instid0(VALU_DEP_2) | instskip(NEXT) | instid1(VALU_DEP_4)
	v_sub_f32_e32 v149, v150, v160
	v_fma_f32 v160, 0x3f317218, v146, -v161
	s_delay_alu instid0(VALU_DEP_1) | instskip(NEXT) | instid1(VALU_DEP_1)
	v_dual_sub_f32 v149, v151, v149 :: v_dual_fmamk_f32 v146, v146, 0xb102e308, v160
	v_add_f32_e32 v147, v147, v149
	s_delay_alu instid0(VALU_DEP_2) | instskip(NEXT) | instid1(VALU_DEP_2)
	v_add_f32_e32 v149, v161, v146
	v_add_f32_e32 v151, v150, v147
	s_delay_alu instid0(VALU_DEP_2) | instskip(NEXT) | instid1(VALU_DEP_2)
	v_sub_f32_e32 v161, v149, v161
	v_add_f32_e32 v160, v149, v151
	v_sub_f32_e32 v150, v151, v150
	s_delay_alu instid0(VALU_DEP_3) | instskip(NEXT) | instid1(VALU_DEP_2)
	v_sub_f32_e32 v146, v146, v161
	v_dual_sub_f32 v162, v160, v149 :: v_dual_sub_f32 v147, v147, v150
	s_delay_alu instid0(VALU_DEP_1) | instskip(NEXT) | instid1(VALU_DEP_2)
	v_sub_f32_e32 v163, v160, v162
	v_dual_sub_f32 v150, v151, v162 :: v_dual_add_f32 v151, v146, v147
	s_delay_alu instid0(VALU_DEP_2) | instskip(NEXT) | instid1(VALU_DEP_1)
	v_sub_f32_e32 v149, v149, v163
	v_dual_add_f32 v149, v150, v149 :: v_dual_sub_f32 v150, v151, v146
	s_delay_alu instid0(VALU_DEP_1) | instskip(NEXT) | instid1(VALU_DEP_2)
	v_add_f32_e32 v149, v151, v149
	v_sub_f32_e32 v151, v151, v150
	v_sub_f32_e32 v147, v147, v150
	s_delay_alu instid0(VALU_DEP_2) | instskip(NEXT) | instid1(VALU_DEP_1)
	v_dual_add_f32 v161, v160, v149 :: v_dual_sub_f32 v146, v146, v151
	v_sub_f32_e32 v150, v161, v160
	s_delay_alu instid0(VALU_DEP_2) | instskip(NEXT) | instid1(VALU_DEP_2)
	v_add_f32_e32 v146, v147, v146
	v_sub_f32_e32 v147, v149, v150
	s_delay_alu instid0(VALU_DEP_1) | instskip(NEXT) | instid1(VALU_DEP_1)
	v_add_f32_e32 v146, v146, v147
	v_add_f32_e32 v146, v161, v146
	s_delay_alu instid0(VALU_DEP_1) | instskip(NEXT) | instid1(VALU_DEP_1)
	v_cndmask_b32_e64 v146, v146, v148, s25
	v_add_f32_e32 v146, v21, v146
.LBB501_94:
	s_or_b32 exec_lo, exec_lo, s27
	s_delay_alu instid0(VALU_DEP_1) | instskip(SKIP_2) | instid1(VALU_DEP_2)
	v_bfe_u32 v21, v146, 16, 1
	v_cmp_o_f32_e64 s25, v146, v146
	s_mov_b32 s27, exec_lo
	v_add3_u32 v21, v146, v21, 0x7fff
	s_delay_alu instid0(VALU_DEP_1) | instskip(NEXT) | instid1(VALU_DEP_1)
	v_lshrrev_b32_e32 v21, 16, v21
	v_cndmask_b32_e64 v147, 0x7fc0, v21, s25
	v_mbcnt_lo_u32_b32 v21, -1, 0
	s_delay_alu instid0(VALU_DEP_2) | instskip(NEXT) | instid1(VALU_DEP_2)
	v_and_b32_e32 v148, 0xffff, v147
	v_and_b32_e32 v146, 15, v21
	s_delay_alu instid0(VALU_DEP_2) | instskip(NEXT) | instid1(VALU_DEP_2)
	v_mov_b32_dpp v149, v148 row_shr:1 row_mask:0xf bank_mask:0xf
	v_cmpx_ne_u32_e32 0, v146
	s_cbranch_execz .LBB501_98
; %bb.95:
	v_lshlrev_b32_e32 v147, 16, v148
	s_delay_alu instid0(VALU_DEP_1) | instskip(NEXT) | instid1(VALU_DEP_1)
	v_dual_max_f32 v149, v147, v147 :: v_dual_lshlrev_b32 v148, 16, v149
	v_max_f32_e32 v150, v148, v148
	v_cmp_u_f32_e64 s25, v148, v148
	s_delay_alu instid0(VALU_DEP_2) | instskip(SKIP_1) | instid1(VALU_DEP_2)
	v_min_f32_e32 v151, v150, v149
	v_max_f32_e32 v149, v150, v149
	v_cndmask_b32_e64 v150, v151, v148, s25
	s_delay_alu instid0(VALU_DEP_2) | instskip(SKIP_1) | instid1(VALU_DEP_1)
	v_cndmask_b32_e64 v151, v149, v148, s25
	v_cmp_u_f32_e64 s25, v147, v147
	v_cndmask_b32_e64 v149, v150, v147, s25
	s_delay_alu instid0(VALU_DEP_3) | instskip(NEXT) | instid1(VALU_DEP_2)
	v_cndmask_b32_e64 v147, v151, v147, s25
	v_cmp_class_f32_e64 vcc_hi, v149, 0x1f8
	s_delay_alu instid0(VALU_DEP_2) | instskip(NEXT) | instid1(VALU_DEP_1)
	v_cmp_neq_f32_e64 s25, v149, v147
	s_or_b32 s25, s25, vcc_hi
	s_delay_alu instid0(SALU_CYCLE_1)
	s_and_saveexec_b32 vcc_hi, s25
	s_cbranch_execz .LBB501_97
; %bb.96:
	v_sub_f32_e32 v148, v149, v147
	s_delay_alu instid0(VALU_DEP_1) | instskip(SKIP_1) | instid1(VALU_DEP_2)
	v_mul_f32_e32 v149, 0x3fb8aa3b, v148
	v_cmp_ngt_f32_e64 s25, 0xc2ce8ed0, v148
	v_fma_f32 v150, 0x3fb8aa3b, v148, -v149
	v_rndne_f32_e32 v151, v149
	s_delay_alu instid0(VALU_DEP_1) | instskip(NEXT) | instid1(VALU_DEP_1)
	v_dual_fmamk_f32 v150, v148, 0x32a5705f, v150 :: v_dual_sub_f32 v149, v149, v151
	v_add_f32_e32 v149, v149, v150
	v_cvt_i32_f32_e32 v150, v151
	s_delay_alu instid0(VALU_DEP_2) | instskip(SKIP_2) | instid1(VALU_DEP_1)
	v_exp_f32_e32 v149, v149
	s_waitcnt_depctr 0xfff
	v_ldexp_f32 v149, v149, v150
	v_cndmask_b32_e64 v149, 0, v149, s25
	v_cmp_nlt_f32_e64 s25, 0x42b17218, v148
	s_delay_alu instid0(VALU_DEP_1) | instskip(NEXT) | instid1(VALU_DEP_1)
	v_cndmask_b32_e64 v150, 0x7f800000, v149, s25
	v_add_f32_e32 v151, 1.0, v150
	v_cmp_gt_f32_e64 s30, 0x33800000, |v150|
	s_delay_alu instid0(VALU_DEP_2) | instskip(NEXT) | instid1(VALU_DEP_1)
	v_cvt_f64_f32_e32 v[148:149], v151
	v_frexp_exp_i32_f64_e32 v148, v[148:149]
	v_frexp_mant_f32_e32 v149, v151
	s_delay_alu instid0(VALU_DEP_1) | instskip(SKIP_1) | instid1(VALU_DEP_1)
	v_cmp_gt_f32_e64 s25, 0x3f2aaaab, v149
	v_add_f32_e32 v149, -1.0, v151
	v_sub_f32_e32 v161, v149, v151
	v_sub_f32_e32 v149, v150, v149
	s_delay_alu instid0(VALU_DEP_4) | instskip(SKIP_1) | instid1(VALU_DEP_1)
	v_subrev_co_ci_u32_e64 v148, s25, 0, v148, s25
	s_mov_b32 s25, 0x3e9b6dac
	v_sub_nc_u32_e32 v160, 0, v148
	v_cvt_f32_i32_e32 v148, v148
	s_delay_alu instid0(VALU_DEP_2) | instskip(NEXT) | instid1(VALU_DEP_1)
	v_ldexp_f32 v151, v151, v160
	v_dual_add_f32 v162, 1.0, v151 :: v_dual_add_f32 v161, 1.0, v161
	s_delay_alu instid0(VALU_DEP_1) | instskip(NEXT) | instid1(VALU_DEP_2)
	v_add_f32_e32 v149, v149, v161
	v_add_f32_e32 v161, -1.0, v162
	s_delay_alu instid0(VALU_DEP_2) | instskip(NEXT) | instid1(VALU_DEP_2)
	v_ldexp_f32 v149, v149, v160
	v_dual_add_f32 v160, -1.0, v151 :: v_dual_sub_f32 v161, v151, v161
	s_delay_alu instid0(VALU_DEP_1) | instskip(NEXT) | instid1(VALU_DEP_2)
	v_add_f32_e32 v163, 1.0, v160
	v_add_f32_e32 v161, v149, v161
	s_delay_alu instid0(VALU_DEP_2) | instskip(NEXT) | instid1(VALU_DEP_2)
	v_sub_f32_e32 v151, v151, v163
	v_add_f32_e32 v163, v162, v161
	s_delay_alu instid0(VALU_DEP_2) | instskip(NEXT) | instid1(VALU_DEP_2)
	v_add_f32_e32 v149, v149, v151
	v_rcp_f32_e32 v151, v163
	v_sub_f32_e32 v162, v162, v163
	s_delay_alu instid0(VALU_DEP_1) | instskip(NEXT) | instid1(VALU_DEP_1)
	v_dual_add_f32 v164, v160, v149 :: v_dual_add_f32 v161, v161, v162
	v_sub_f32_e32 v160, v160, v164
	s_waitcnt_depctr 0xfff
	v_mul_f32_e32 v165, v164, v151
	s_delay_alu instid0(VALU_DEP_1) | instskip(NEXT) | instid1(VALU_DEP_1)
	v_dual_add_f32 v149, v149, v160 :: v_dual_mul_f32 v166, v163, v165
	v_fma_f32 v162, v165, v163, -v166
	s_delay_alu instid0(VALU_DEP_1) | instskip(NEXT) | instid1(VALU_DEP_1)
	v_fmac_f32_e32 v162, v165, v161
	v_add_f32_e32 v167, v166, v162
	s_delay_alu instid0(VALU_DEP_1) | instskip(SKIP_1) | instid1(VALU_DEP_2)
	v_sub_f32_e32 v176, v164, v167
	v_sub_f32_e32 v160, v167, v166
	;; [unrolled: 1-line block ×3, first 2 shown]
	s_delay_alu instid0(VALU_DEP_2) | instskip(NEXT) | instid1(VALU_DEP_2)
	v_sub_f32_e32 v160, v160, v162
	v_sub_f32_e32 v164, v164, v167
	s_delay_alu instid0(VALU_DEP_1) | instskip(NEXT) | instid1(VALU_DEP_1)
	v_add_f32_e32 v149, v149, v164
	v_add_f32_e32 v149, v160, v149
	s_delay_alu instid0(VALU_DEP_1) | instskip(NEXT) | instid1(VALU_DEP_1)
	v_add_f32_e32 v160, v176, v149
	v_mul_f32_e32 v162, v151, v160
	s_delay_alu instid0(VALU_DEP_1) | instskip(NEXT) | instid1(VALU_DEP_1)
	v_dual_sub_f32 v167, v176, v160 :: v_dual_mul_f32 v164, v163, v162
	v_add_f32_e32 v149, v149, v167
	s_delay_alu instid0(VALU_DEP_2) | instskip(NEXT) | instid1(VALU_DEP_1)
	v_fma_f32 v163, v162, v163, -v164
	v_fmac_f32_e32 v163, v162, v161
	s_delay_alu instid0(VALU_DEP_1) | instskip(NEXT) | instid1(VALU_DEP_1)
	v_add_f32_e32 v161, v164, v163
	v_sub_f32_e32 v166, v160, v161
	v_sub_f32_e32 v164, v161, v164
	s_delay_alu instid0(VALU_DEP_2) | instskip(NEXT) | instid1(VALU_DEP_1)
	v_sub_f32_e32 v160, v160, v166
	v_sub_f32_e32 v160, v160, v161
	s_delay_alu instid0(VALU_DEP_3) | instskip(NEXT) | instid1(VALU_DEP_2)
	v_sub_f32_e32 v161, v164, v163
	v_add_f32_e32 v149, v149, v160
	v_add_f32_e32 v160, v165, v162
	s_delay_alu instid0(VALU_DEP_2) | instskip(NEXT) | instid1(VALU_DEP_2)
	v_add_f32_e32 v149, v161, v149
	v_sub_f32_e32 v161, v160, v165
	s_delay_alu instid0(VALU_DEP_2) | instskip(NEXT) | instid1(VALU_DEP_2)
	v_add_f32_e32 v149, v166, v149
	v_sub_f32_e32 v161, v162, v161
	s_delay_alu instid0(VALU_DEP_2) | instskip(NEXT) | instid1(VALU_DEP_1)
	v_mul_f32_e32 v149, v151, v149
	v_add_f32_e32 v149, v161, v149
	s_delay_alu instid0(VALU_DEP_1) | instskip(NEXT) | instid1(VALU_DEP_1)
	v_add_f32_e32 v151, v160, v149
	v_mul_f32_e32 v161, v151, v151
	s_delay_alu instid0(VALU_DEP_1) | instskip(SKIP_2) | instid1(VALU_DEP_3)
	v_fmaak_f32 v162, s25, v161, 0x3ecc95a3
	v_mul_f32_e32 v163, v151, v161
	v_cmp_eq_f32_e64 s25, 0x7f800000, v150
	v_fmaak_f32 v161, v161, v162, 0x3f2aaada
	v_ldexp_f32 v162, v151, 1
	v_sub_f32_e32 v151, v151, v160
	s_delay_alu instid0(VALU_DEP_4) | instskip(NEXT) | instid1(VALU_DEP_3)
	s_or_b32 s25, s25, s30
	v_mul_f32_e32 v161, v163, v161
	v_mul_f32_e32 v163, 0x3f317218, v148
	s_delay_alu instid0(VALU_DEP_2) | instskip(NEXT) | instid1(VALU_DEP_1)
	v_dual_sub_f32 v149, v149, v151 :: v_dual_add_f32 v160, v162, v161
	v_ldexp_f32 v149, v149, 1
	s_delay_alu instid0(VALU_DEP_2) | instskip(NEXT) | instid1(VALU_DEP_4)
	v_sub_f32_e32 v151, v160, v162
	v_fma_f32 v162, 0x3f317218, v148, -v163
	s_delay_alu instid0(VALU_DEP_1) | instskip(NEXT) | instid1(VALU_DEP_1)
	v_dual_sub_f32 v151, v161, v151 :: v_dual_fmamk_f32 v148, v148, 0xb102e308, v162
	v_add_f32_e32 v149, v149, v151
	s_delay_alu instid0(VALU_DEP_2) | instskip(NEXT) | instid1(VALU_DEP_2)
	v_add_f32_e32 v151, v163, v148
	v_add_f32_e32 v161, v160, v149
	s_delay_alu instid0(VALU_DEP_2) | instskip(NEXT) | instid1(VALU_DEP_2)
	v_sub_f32_e32 v163, v151, v163
	v_add_f32_e32 v162, v151, v161
	v_sub_f32_e32 v160, v161, v160
	s_delay_alu instid0(VALU_DEP_3) | instskip(NEXT) | instid1(VALU_DEP_2)
	v_sub_f32_e32 v148, v148, v163
	v_dual_sub_f32 v164, v162, v151 :: v_dual_sub_f32 v149, v149, v160
	s_delay_alu instid0(VALU_DEP_1) | instskip(NEXT) | instid1(VALU_DEP_2)
	v_sub_f32_e32 v165, v162, v164
	v_dual_sub_f32 v160, v161, v164 :: v_dual_add_f32 v161, v148, v149
	s_delay_alu instid0(VALU_DEP_2) | instskip(NEXT) | instid1(VALU_DEP_1)
	v_sub_f32_e32 v151, v151, v165
	v_dual_add_f32 v151, v160, v151 :: v_dual_sub_f32 v160, v161, v148
	s_delay_alu instid0(VALU_DEP_1) | instskip(NEXT) | instid1(VALU_DEP_2)
	v_add_f32_e32 v151, v161, v151
	v_sub_f32_e32 v161, v161, v160
	v_sub_f32_e32 v149, v149, v160
	s_delay_alu instid0(VALU_DEP_2) | instskip(NEXT) | instid1(VALU_DEP_1)
	v_dual_add_f32 v163, v162, v151 :: v_dual_sub_f32 v148, v148, v161
	v_sub_f32_e32 v160, v163, v162
	s_delay_alu instid0(VALU_DEP_2) | instskip(NEXT) | instid1(VALU_DEP_2)
	v_add_f32_e32 v148, v149, v148
	v_sub_f32_e32 v149, v151, v160
	s_delay_alu instid0(VALU_DEP_1) | instskip(NEXT) | instid1(VALU_DEP_1)
	v_add_f32_e32 v148, v148, v149
	v_add_f32_e32 v148, v163, v148
	s_delay_alu instid0(VALU_DEP_1) | instskip(NEXT) | instid1(VALU_DEP_1)
	v_cndmask_b32_e64 v148, v148, v150, s25
	v_add_f32_e32 v148, v147, v148
.LBB501_97:
	s_or_b32 exec_lo, exec_lo, vcc_hi
	s_delay_alu instid0(VALU_DEP_1) | instskip(SKIP_1) | instid1(VALU_DEP_2)
	v_bfe_u32 v147, v148, 16, 1
	v_cmp_o_f32_e64 s25, v148, v148
	v_add3_u32 v147, v148, v147, 0x7fff
	s_delay_alu instid0(VALU_DEP_1) | instskip(NEXT) | instid1(VALU_DEP_1)
	v_lshrrev_b32_e32 v147, 16, v147
	v_cndmask_b32_e64 v147, 0x7fc0, v147, s25
	s_delay_alu instid0(VALU_DEP_1)
	v_and_b32_e32 v148, 0xffff, v147
.LBB501_98:
	s_or_b32 exec_lo, exec_lo, s27
	s_delay_alu instid0(VALU_DEP_1)
	v_mov_b32_dpp v149, v148 row_shr:2 row_mask:0xf bank_mask:0xf
	s_mov_b32 s27, exec_lo
	v_cmpx_lt_u32_e32 1, v146
	s_cbranch_execz .LBB501_102
; %bb.99:
	v_lshlrev_b32_e32 v147, 16, v148
	s_delay_alu instid0(VALU_DEP_1) | instskip(NEXT) | instid1(VALU_DEP_1)
	v_dual_max_f32 v149, v147, v147 :: v_dual_lshlrev_b32 v148, 16, v149
	v_max_f32_e32 v150, v148, v148
	v_cmp_u_f32_e64 s25, v148, v148
	s_delay_alu instid0(VALU_DEP_2) | instskip(SKIP_1) | instid1(VALU_DEP_2)
	v_min_f32_e32 v151, v150, v149
	v_max_f32_e32 v149, v150, v149
	v_cndmask_b32_e64 v150, v151, v148, s25
	s_delay_alu instid0(VALU_DEP_2) | instskip(SKIP_1) | instid1(VALU_DEP_1)
	v_cndmask_b32_e64 v151, v149, v148, s25
	v_cmp_u_f32_e64 s25, v147, v147
	v_cndmask_b32_e64 v149, v150, v147, s25
	s_delay_alu instid0(VALU_DEP_3) | instskip(NEXT) | instid1(VALU_DEP_2)
	v_cndmask_b32_e64 v147, v151, v147, s25
	v_cmp_class_f32_e64 vcc_hi, v149, 0x1f8
	s_delay_alu instid0(VALU_DEP_2) | instskip(NEXT) | instid1(VALU_DEP_1)
	v_cmp_neq_f32_e64 s25, v149, v147
	s_or_b32 s25, s25, vcc_hi
	s_delay_alu instid0(SALU_CYCLE_1)
	s_and_saveexec_b32 vcc_hi, s25
	s_cbranch_execz .LBB501_101
; %bb.100:
	v_sub_f32_e32 v148, v149, v147
	s_delay_alu instid0(VALU_DEP_1) | instskip(SKIP_1) | instid1(VALU_DEP_2)
	v_mul_f32_e32 v149, 0x3fb8aa3b, v148
	v_cmp_ngt_f32_e64 s25, 0xc2ce8ed0, v148
	v_fma_f32 v150, 0x3fb8aa3b, v148, -v149
	v_rndne_f32_e32 v151, v149
	s_delay_alu instid0(VALU_DEP_1) | instskip(NEXT) | instid1(VALU_DEP_1)
	v_dual_fmamk_f32 v150, v148, 0x32a5705f, v150 :: v_dual_sub_f32 v149, v149, v151
	v_add_f32_e32 v149, v149, v150
	v_cvt_i32_f32_e32 v150, v151
	s_delay_alu instid0(VALU_DEP_2) | instskip(SKIP_2) | instid1(VALU_DEP_1)
	v_exp_f32_e32 v149, v149
	s_waitcnt_depctr 0xfff
	v_ldexp_f32 v149, v149, v150
	v_cndmask_b32_e64 v149, 0, v149, s25
	v_cmp_nlt_f32_e64 s25, 0x42b17218, v148
	s_delay_alu instid0(VALU_DEP_1) | instskip(NEXT) | instid1(VALU_DEP_1)
	v_cndmask_b32_e64 v150, 0x7f800000, v149, s25
	v_add_f32_e32 v151, 1.0, v150
	v_cmp_gt_f32_e64 s30, 0x33800000, |v150|
	s_delay_alu instid0(VALU_DEP_2) | instskip(NEXT) | instid1(VALU_DEP_1)
	v_cvt_f64_f32_e32 v[148:149], v151
	v_frexp_exp_i32_f64_e32 v148, v[148:149]
	v_frexp_mant_f32_e32 v149, v151
	s_delay_alu instid0(VALU_DEP_1) | instskip(SKIP_1) | instid1(VALU_DEP_1)
	v_cmp_gt_f32_e64 s25, 0x3f2aaaab, v149
	v_add_f32_e32 v149, -1.0, v151
	v_sub_f32_e32 v161, v149, v151
	v_sub_f32_e32 v149, v150, v149
	s_delay_alu instid0(VALU_DEP_4) | instskip(SKIP_1) | instid1(VALU_DEP_1)
	v_subrev_co_ci_u32_e64 v148, s25, 0, v148, s25
	s_mov_b32 s25, 0x3e9b6dac
	v_sub_nc_u32_e32 v160, 0, v148
	v_cvt_f32_i32_e32 v148, v148
	s_delay_alu instid0(VALU_DEP_2) | instskip(NEXT) | instid1(VALU_DEP_1)
	v_ldexp_f32 v151, v151, v160
	v_dual_add_f32 v162, 1.0, v151 :: v_dual_add_f32 v161, 1.0, v161
	s_delay_alu instid0(VALU_DEP_1) | instskip(NEXT) | instid1(VALU_DEP_2)
	v_add_f32_e32 v149, v149, v161
	v_add_f32_e32 v161, -1.0, v162
	s_delay_alu instid0(VALU_DEP_2) | instskip(NEXT) | instid1(VALU_DEP_2)
	v_ldexp_f32 v149, v149, v160
	v_dual_add_f32 v160, -1.0, v151 :: v_dual_sub_f32 v161, v151, v161
	s_delay_alu instid0(VALU_DEP_1) | instskip(NEXT) | instid1(VALU_DEP_2)
	v_add_f32_e32 v163, 1.0, v160
	v_add_f32_e32 v161, v149, v161
	s_delay_alu instid0(VALU_DEP_2) | instskip(NEXT) | instid1(VALU_DEP_2)
	v_sub_f32_e32 v151, v151, v163
	v_add_f32_e32 v163, v162, v161
	s_delay_alu instid0(VALU_DEP_2) | instskip(NEXT) | instid1(VALU_DEP_2)
	v_add_f32_e32 v149, v149, v151
	v_rcp_f32_e32 v151, v163
	v_sub_f32_e32 v162, v162, v163
	s_delay_alu instid0(VALU_DEP_1) | instskip(NEXT) | instid1(VALU_DEP_1)
	v_dual_add_f32 v164, v160, v149 :: v_dual_add_f32 v161, v161, v162
	v_sub_f32_e32 v160, v160, v164
	s_waitcnt_depctr 0xfff
	v_mul_f32_e32 v165, v164, v151
	s_delay_alu instid0(VALU_DEP_1) | instskip(NEXT) | instid1(VALU_DEP_1)
	v_dual_add_f32 v149, v149, v160 :: v_dual_mul_f32 v166, v163, v165
	v_fma_f32 v162, v165, v163, -v166
	s_delay_alu instid0(VALU_DEP_1) | instskip(NEXT) | instid1(VALU_DEP_1)
	v_fmac_f32_e32 v162, v165, v161
	v_add_f32_e32 v167, v166, v162
	s_delay_alu instid0(VALU_DEP_1) | instskip(SKIP_1) | instid1(VALU_DEP_2)
	v_sub_f32_e32 v176, v164, v167
	v_sub_f32_e32 v160, v167, v166
	;; [unrolled: 1-line block ×3, first 2 shown]
	s_delay_alu instid0(VALU_DEP_2) | instskip(NEXT) | instid1(VALU_DEP_2)
	v_sub_f32_e32 v160, v160, v162
	v_sub_f32_e32 v164, v164, v167
	s_delay_alu instid0(VALU_DEP_1) | instskip(NEXT) | instid1(VALU_DEP_1)
	v_add_f32_e32 v149, v149, v164
	v_add_f32_e32 v149, v160, v149
	s_delay_alu instid0(VALU_DEP_1) | instskip(NEXT) | instid1(VALU_DEP_1)
	v_add_f32_e32 v160, v176, v149
	v_mul_f32_e32 v162, v151, v160
	s_delay_alu instid0(VALU_DEP_1) | instskip(NEXT) | instid1(VALU_DEP_1)
	v_dual_sub_f32 v167, v176, v160 :: v_dual_mul_f32 v164, v163, v162
	v_add_f32_e32 v149, v149, v167
	s_delay_alu instid0(VALU_DEP_2) | instskip(NEXT) | instid1(VALU_DEP_1)
	v_fma_f32 v163, v162, v163, -v164
	v_fmac_f32_e32 v163, v162, v161
	s_delay_alu instid0(VALU_DEP_1) | instskip(NEXT) | instid1(VALU_DEP_1)
	v_add_f32_e32 v161, v164, v163
	v_sub_f32_e32 v166, v160, v161
	v_sub_f32_e32 v164, v161, v164
	s_delay_alu instid0(VALU_DEP_2) | instskip(NEXT) | instid1(VALU_DEP_1)
	v_sub_f32_e32 v160, v160, v166
	v_sub_f32_e32 v160, v160, v161
	s_delay_alu instid0(VALU_DEP_3) | instskip(NEXT) | instid1(VALU_DEP_2)
	v_sub_f32_e32 v161, v164, v163
	v_add_f32_e32 v149, v149, v160
	v_add_f32_e32 v160, v165, v162
	s_delay_alu instid0(VALU_DEP_2) | instskip(NEXT) | instid1(VALU_DEP_2)
	v_add_f32_e32 v149, v161, v149
	v_sub_f32_e32 v161, v160, v165
	s_delay_alu instid0(VALU_DEP_2) | instskip(NEXT) | instid1(VALU_DEP_2)
	v_add_f32_e32 v149, v166, v149
	v_sub_f32_e32 v161, v162, v161
	s_delay_alu instid0(VALU_DEP_2) | instskip(NEXT) | instid1(VALU_DEP_1)
	v_mul_f32_e32 v149, v151, v149
	v_add_f32_e32 v149, v161, v149
	s_delay_alu instid0(VALU_DEP_1) | instskip(NEXT) | instid1(VALU_DEP_1)
	v_add_f32_e32 v151, v160, v149
	v_mul_f32_e32 v161, v151, v151
	s_delay_alu instid0(VALU_DEP_1) | instskip(SKIP_2) | instid1(VALU_DEP_3)
	v_fmaak_f32 v162, s25, v161, 0x3ecc95a3
	v_mul_f32_e32 v163, v151, v161
	v_cmp_eq_f32_e64 s25, 0x7f800000, v150
	v_fmaak_f32 v161, v161, v162, 0x3f2aaada
	v_ldexp_f32 v162, v151, 1
	v_sub_f32_e32 v151, v151, v160
	s_delay_alu instid0(VALU_DEP_4) | instskip(NEXT) | instid1(VALU_DEP_3)
	s_or_b32 s25, s25, s30
	v_mul_f32_e32 v161, v163, v161
	v_mul_f32_e32 v163, 0x3f317218, v148
	s_delay_alu instid0(VALU_DEP_2) | instskip(NEXT) | instid1(VALU_DEP_1)
	v_dual_sub_f32 v149, v149, v151 :: v_dual_add_f32 v160, v162, v161
	v_ldexp_f32 v149, v149, 1
	s_delay_alu instid0(VALU_DEP_2) | instskip(NEXT) | instid1(VALU_DEP_4)
	v_sub_f32_e32 v151, v160, v162
	v_fma_f32 v162, 0x3f317218, v148, -v163
	s_delay_alu instid0(VALU_DEP_1) | instskip(NEXT) | instid1(VALU_DEP_1)
	v_dual_sub_f32 v151, v161, v151 :: v_dual_fmamk_f32 v148, v148, 0xb102e308, v162
	v_add_f32_e32 v149, v149, v151
	s_delay_alu instid0(VALU_DEP_2) | instskip(NEXT) | instid1(VALU_DEP_2)
	v_add_f32_e32 v151, v163, v148
	v_add_f32_e32 v161, v160, v149
	s_delay_alu instid0(VALU_DEP_2) | instskip(NEXT) | instid1(VALU_DEP_2)
	v_sub_f32_e32 v163, v151, v163
	v_add_f32_e32 v162, v151, v161
	v_sub_f32_e32 v160, v161, v160
	s_delay_alu instid0(VALU_DEP_3) | instskip(NEXT) | instid1(VALU_DEP_2)
	v_sub_f32_e32 v148, v148, v163
	v_dual_sub_f32 v164, v162, v151 :: v_dual_sub_f32 v149, v149, v160
	s_delay_alu instid0(VALU_DEP_1) | instskip(NEXT) | instid1(VALU_DEP_2)
	v_sub_f32_e32 v165, v162, v164
	v_dual_sub_f32 v160, v161, v164 :: v_dual_add_f32 v161, v148, v149
	s_delay_alu instid0(VALU_DEP_2) | instskip(NEXT) | instid1(VALU_DEP_1)
	v_sub_f32_e32 v151, v151, v165
	v_dual_add_f32 v151, v160, v151 :: v_dual_sub_f32 v160, v161, v148
	s_delay_alu instid0(VALU_DEP_1) | instskip(NEXT) | instid1(VALU_DEP_2)
	v_add_f32_e32 v151, v161, v151
	v_sub_f32_e32 v161, v161, v160
	v_sub_f32_e32 v149, v149, v160
	s_delay_alu instid0(VALU_DEP_2) | instskip(NEXT) | instid1(VALU_DEP_1)
	v_dual_add_f32 v163, v162, v151 :: v_dual_sub_f32 v148, v148, v161
	v_sub_f32_e32 v160, v163, v162
	s_delay_alu instid0(VALU_DEP_2) | instskip(NEXT) | instid1(VALU_DEP_2)
	v_add_f32_e32 v148, v149, v148
	v_sub_f32_e32 v149, v151, v160
	s_delay_alu instid0(VALU_DEP_1) | instskip(NEXT) | instid1(VALU_DEP_1)
	v_add_f32_e32 v148, v148, v149
	v_add_f32_e32 v148, v163, v148
	s_delay_alu instid0(VALU_DEP_1) | instskip(NEXT) | instid1(VALU_DEP_1)
	v_cndmask_b32_e64 v148, v148, v150, s25
	v_add_f32_e32 v148, v147, v148
.LBB501_101:
	s_or_b32 exec_lo, exec_lo, vcc_hi
	s_delay_alu instid0(VALU_DEP_1) | instskip(SKIP_1) | instid1(VALU_DEP_2)
	v_bfe_u32 v147, v148, 16, 1
	v_cmp_o_f32_e64 s25, v148, v148
	v_add3_u32 v147, v148, v147, 0x7fff
	s_delay_alu instid0(VALU_DEP_1) | instskip(NEXT) | instid1(VALU_DEP_1)
	v_lshrrev_b32_e32 v147, 16, v147
	v_cndmask_b32_e64 v147, 0x7fc0, v147, s25
	s_delay_alu instid0(VALU_DEP_1)
	v_and_b32_e32 v148, 0xffff, v147
.LBB501_102:
	s_or_b32 exec_lo, exec_lo, s27
	s_delay_alu instid0(VALU_DEP_1)
	v_mov_b32_dpp v149, v148 row_shr:4 row_mask:0xf bank_mask:0xf
	s_mov_b32 s27, exec_lo
	v_cmpx_lt_u32_e32 3, v146
	s_cbranch_execz .LBB501_106
; %bb.103:
	v_lshlrev_b32_e32 v147, 16, v148
	s_delay_alu instid0(VALU_DEP_1) | instskip(NEXT) | instid1(VALU_DEP_1)
	v_dual_max_f32 v149, v147, v147 :: v_dual_lshlrev_b32 v148, 16, v149
	v_max_f32_e32 v150, v148, v148
	v_cmp_u_f32_e64 s25, v148, v148
	s_delay_alu instid0(VALU_DEP_2) | instskip(SKIP_1) | instid1(VALU_DEP_2)
	v_min_f32_e32 v151, v150, v149
	v_max_f32_e32 v149, v150, v149
	v_cndmask_b32_e64 v150, v151, v148, s25
	s_delay_alu instid0(VALU_DEP_2) | instskip(SKIP_1) | instid1(VALU_DEP_1)
	v_cndmask_b32_e64 v151, v149, v148, s25
	v_cmp_u_f32_e64 s25, v147, v147
	v_cndmask_b32_e64 v149, v150, v147, s25
	s_delay_alu instid0(VALU_DEP_3) | instskip(NEXT) | instid1(VALU_DEP_2)
	v_cndmask_b32_e64 v147, v151, v147, s25
	v_cmp_class_f32_e64 vcc_hi, v149, 0x1f8
	s_delay_alu instid0(VALU_DEP_2) | instskip(NEXT) | instid1(VALU_DEP_1)
	v_cmp_neq_f32_e64 s25, v149, v147
	s_or_b32 s25, s25, vcc_hi
	s_delay_alu instid0(SALU_CYCLE_1)
	s_and_saveexec_b32 vcc_hi, s25
	s_cbranch_execz .LBB501_105
; %bb.104:
	v_sub_f32_e32 v148, v149, v147
	s_delay_alu instid0(VALU_DEP_1) | instskip(SKIP_1) | instid1(VALU_DEP_2)
	v_mul_f32_e32 v149, 0x3fb8aa3b, v148
	v_cmp_ngt_f32_e64 s25, 0xc2ce8ed0, v148
	v_fma_f32 v150, 0x3fb8aa3b, v148, -v149
	v_rndne_f32_e32 v151, v149
	s_delay_alu instid0(VALU_DEP_1) | instskip(NEXT) | instid1(VALU_DEP_1)
	v_dual_fmamk_f32 v150, v148, 0x32a5705f, v150 :: v_dual_sub_f32 v149, v149, v151
	v_add_f32_e32 v149, v149, v150
	v_cvt_i32_f32_e32 v150, v151
	s_delay_alu instid0(VALU_DEP_2) | instskip(SKIP_2) | instid1(VALU_DEP_1)
	v_exp_f32_e32 v149, v149
	s_waitcnt_depctr 0xfff
	v_ldexp_f32 v149, v149, v150
	v_cndmask_b32_e64 v149, 0, v149, s25
	v_cmp_nlt_f32_e64 s25, 0x42b17218, v148
	s_delay_alu instid0(VALU_DEP_1) | instskip(NEXT) | instid1(VALU_DEP_1)
	v_cndmask_b32_e64 v150, 0x7f800000, v149, s25
	v_add_f32_e32 v151, 1.0, v150
	v_cmp_gt_f32_e64 s30, 0x33800000, |v150|
	s_delay_alu instid0(VALU_DEP_2) | instskip(NEXT) | instid1(VALU_DEP_1)
	v_cvt_f64_f32_e32 v[148:149], v151
	v_frexp_exp_i32_f64_e32 v148, v[148:149]
	v_frexp_mant_f32_e32 v149, v151
	s_delay_alu instid0(VALU_DEP_1) | instskip(SKIP_1) | instid1(VALU_DEP_1)
	v_cmp_gt_f32_e64 s25, 0x3f2aaaab, v149
	v_add_f32_e32 v149, -1.0, v151
	v_sub_f32_e32 v161, v149, v151
	v_sub_f32_e32 v149, v150, v149
	s_delay_alu instid0(VALU_DEP_4) | instskip(SKIP_1) | instid1(VALU_DEP_1)
	v_subrev_co_ci_u32_e64 v148, s25, 0, v148, s25
	s_mov_b32 s25, 0x3e9b6dac
	v_sub_nc_u32_e32 v160, 0, v148
	v_cvt_f32_i32_e32 v148, v148
	s_delay_alu instid0(VALU_DEP_2) | instskip(NEXT) | instid1(VALU_DEP_1)
	v_ldexp_f32 v151, v151, v160
	v_dual_add_f32 v162, 1.0, v151 :: v_dual_add_f32 v161, 1.0, v161
	s_delay_alu instid0(VALU_DEP_1) | instskip(NEXT) | instid1(VALU_DEP_2)
	v_add_f32_e32 v149, v149, v161
	v_add_f32_e32 v161, -1.0, v162
	s_delay_alu instid0(VALU_DEP_2) | instskip(NEXT) | instid1(VALU_DEP_2)
	v_ldexp_f32 v149, v149, v160
	v_dual_add_f32 v160, -1.0, v151 :: v_dual_sub_f32 v161, v151, v161
	s_delay_alu instid0(VALU_DEP_1) | instskip(NEXT) | instid1(VALU_DEP_2)
	v_add_f32_e32 v163, 1.0, v160
	v_add_f32_e32 v161, v149, v161
	s_delay_alu instid0(VALU_DEP_2) | instskip(NEXT) | instid1(VALU_DEP_2)
	v_sub_f32_e32 v151, v151, v163
	v_add_f32_e32 v163, v162, v161
	s_delay_alu instid0(VALU_DEP_2) | instskip(NEXT) | instid1(VALU_DEP_2)
	v_add_f32_e32 v149, v149, v151
	v_rcp_f32_e32 v151, v163
	v_sub_f32_e32 v162, v162, v163
	s_delay_alu instid0(VALU_DEP_1) | instskip(NEXT) | instid1(VALU_DEP_1)
	v_dual_add_f32 v164, v160, v149 :: v_dual_add_f32 v161, v161, v162
	v_sub_f32_e32 v160, v160, v164
	s_waitcnt_depctr 0xfff
	v_mul_f32_e32 v165, v164, v151
	s_delay_alu instid0(VALU_DEP_1) | instskip(NEXT) | instid1(VALU_DEP_1)
	v_dual_add_f32 v149, v149, v160 :: v_dual_mul_f32 v166, v163, v165
	v_fma_f32 v162, v165, v163, -v166
	s_delay_alu instid0(VALU_DEP_1) | instskip(NEXT) | instid1(VALU_DEP_1)
	v_fmac_f32_e32 v162, v165, v161
	v_add_f32_e32 v167, v166, v162
	s_delay_alu instid0(VALU_DEP_1) | instskip(SKIP_1) | instid1(VALU_DEP_2)
	v_sub_f32_e32 v176, v164, v167
	v_sub_f32_e32 v160, v167, v166
	;; [unrolled: 1-line block ×3, first 2 shown]
	s_delay_alu instid0(VALU_DEP_2) | instskip(NEXT) | instid1(VALU_DEP_2)
	v_sub_f32_e32 v160, v160, v162
	v_sub_f32_e32 v164, v164, v167
	s_delay_alu instid0(VALU_DEP_1) | instskip(NEXT) | instid1(VALU_DEP_1)
	v_add_f32_e32 v149, v149, v164
	v_add_f32_e32 v149, v160, v149
	s_delay_alu instid0(VALU_DEP_1) | instskip(NEXT) | instid1(VALU_DEP_1)
	v_add_f32_e32 v160, v176, v149
	v_mul_f32_e32 v162, v151, v160
	s_delay_alu instid0(VALU_DEP_1) | instskip(NEXT) | instid1(VALU_DEP_1)
	v_dual_sub_f32 v167, v176, v160 :: v_dual_mul_f32 v164, v163, v162
	v_add_f32_e32 v149, v149, v167
	s_delay_alu instid0(VALU_DEP_2) | instskip(NEXT) | instid1(VALU_DEP_1)
	v_fma_f32 v163, v162, v163, -v164
	v_fmac_f32_e32 v163, v162, v161
	s_delay_alu instid0(VALU_DEP_1) | instskip(NEXT) | instid1(VALU_DEP_1)
	v_add_f32_e32 v161, v164, v163
	v_sub_f32_e32 v166, v160, v161
	v_sub_f32_e32 v164, v161, v164
	s_delay_alu instid0(VALU_DEP_2) | instskip(NEXT) | instid1(VALU_DEP_1)
	v_sub_f32_e32 v160, v160, v166
	v_sub_f32_e32 v160, v160, v161
	s_delay_alu instid0(VALU_DEP_3) | instskip(NEXT) | instid1(VALU_DEP_2)
	v_sub_f32_e32 v161, v164, v163
	v_add_f32_e32 v149, v149, v160
	v_add_f32_e32 v160, v165, v162
	s_delay_alu instid0(VALU_DEP_2) | instskip(NEXT) | instid1(VALU_DEP_2)
	v_add_f32_e32 v149, v161, v149
	v_sub_f32_e32 v161, v160, v165
	s_delay_alu instid0(VALU_DEP_2) | instskip(NEXT) | instid1(VALU_DEP_2)
	v_add_f32_e32 v149, v166, v149
	v_sub_f32_e32 v161, v162, v161
	s_delay_alu instid0(VALU_DEP_2) | instskip(NEXT) | instid1(VALU_DEP_1)
	v_mul_f32_e32 v149, v151, v149
	v_add_f32_e32 v149, v161, v149
	s_delay_alu instid0(VALU_DEP_1) | instskip(NEXT) | instid1(VALU_DEP_1)
	v_add_f32_e32 v151, v160, v149
	v_mul_f32_e32 v161, v151, v151
	s_delay_alu instid0(VALU_DEP_1) | instskip(SKIP_2) | instid1(VALU_DEP_3)
	v_fmaak_f32 v162, s25, v161, 0x3ecc95a3
	v_mul_f32_e32 v163, v151, v161
	v_cmp_eq_f32_e64 s25, 0x7f800000, v150
	v_fmaak_f32 v161, v161, v162, 0x3f2aaada
	v_ldexp_f32 v162, v151, 1
	v_sub_f32_e32 v151, v151, v160
	s_delay_alu instid0(VALU_DEP_4) | instskip(NEXT) | instid1(VALU_DEP_3)
	s_or_b32 s25, s25, s30
	v_mul_f32_e32 v161, v163, v161
	v_mul_f32_e32 v163, 0x3f317218, v148
	s_delay_alu instid0(VALU_DEP_2) | instskip(NEXT) | instid1(VALU_DEP_1)
	v_dual_sub_f32 v149, v149, v151 :: v_dual_add_f32 v160, v162, v161
	v_ldexp_f32 v149, v149, 1
	s_delay_alu instid0(VALU_DEP_2) | instskip(NEXT) | instid1(VALU_DEP_4)
	v_sub_f32_e32 v151, v160, v162
	v_fma_f32 v162, 0x3f317218, v148, -v163
	s_delay_alu instid0(VALU_DEP_1) | instskip(NEXT) | instid1(VALU_DEP_1)
	v_dual_sub_f32 v151, v161, v151 :: v_dual_fmamk_f32 v148, v148, 0xb102e308, v162
	v_add_f32_e32 v149, v149, v151
	s_delay_alu instid0(VALU_DEP_2) | instskip(NEXT) | instid1(VALU_DEP_2)
	v_add_f32_e32 v151, v163, v148
	v_add_f32_e32 v161, v160, v149
	s_delay_alu instid0(VALU_DEP_2) | instskip(NEXT) | instid1(VALU_DEP_2)
	v_sub_f32_e32 v163, v151, v163
	v_add_f32_e32 v162, v151, v161
	v_sub_f32_e32 v160, v161, v160
	s_delay_alu instid0(VALU_DEP_3) | instskip(NEXT) | instid1(VALU_DEP_2)
	v_sub_f32_e32 v148, v148, v163
	v_dual_sub_f32 v164, v162, v151 :: v_dual_sub_f32 v149, v149, v160
	s_delay_alu instid0(VALU_DEP_1) | instskip(NEXT) | instid1(VALU_DEP_2)
	v_sub_f32_e32 v165, v162, v164
	v_dual_sub_f32 v160, v161, v164 :: v_dual_add_f32 v161, v148, v149
	s_delay_alu instid0(VALU_DEP_2) | instskip(NEXT) | instid1(VALU_DEP_1)
	v_sub_f32_e32 v151, v151, v165
	v_dual_add_f32 v151, v160, v151 :: v_dual_sub_f32 v160, v161, v148
	s_delay_alu instid0(VALU_DEP_1) | instskip(NEXT) | instid1(VALU_DEP_2)
	v_add_f32_e32 v151, v161, v151
	v_sub_f32_e32 v161, v161, v160
	v_sub_f32_e32 v149, v149, v160
	s_delay_alu instid0(VALU_DEP_2) | instskip(NEXT) | instid1(VALU_DEP_1)
	v_dual_add_f32 v163, v162, v151 :: v_dual_sub_f32 v148, v148, v161
	v_sub_f32_e32 v160, v163, v162
	s_delay_alu instid0(VALU_DEP_2) | instskip(NEXT) | instid1(VALU_DEP_2)
	v_add_f32_e32 v148, v149, v148
	v_sub_f32_e32 v149, v151, v160
	s_delay_alu instid0(VALU_DEP_1) | instskip(NEXT) | instid1(VALU_DEP_1)
	v_add_f32_e32 v148, v148, v149
	v_add_f32_e32 v148, v163, v148
	s_delay_alu instid0(VALU_DEP_1) | instskip(NEXT) | instid1(VALU_DEP_1)
	v_cndmask_b32_e64 v148, v148, v150, s25
	v_add_f32_e32 v148, v147, v148
.LBB501_105:
	s_or_b32 exec_lo, exec_lo, vcc_hi
	s_delay_alu instid0(VALU_DEP_1) | instskip(SKIP_1) | instid1(VALU_DEP_2)
	v_bfe_u32 v147, v148, 16, 1
	v_cmp_o_f32_e64 s25, v148, v148
	v_add3_u32 v147, v148, v147, 0x7fff
	s_delay_alu instid0(VALU_DEP_1) | instskip(NEXT) | instid1(VALU_DEP_1)
	v_lshrrev_b32_e32 v147, 16, v147
	v_cndmask_b32_e64 v147, 0x7fc0, v147, s25
	s_delay_alu instid0(VALU_DEP_1)
	v_and_b32_e32 v148, 0xffff, v147
.LBB501_106:
	s_or_b32 exec_lo, exec_lo, s27
	s_delay_alu instid0(VALU_DEP_1)
	v_mov_b32_dpp v149, v148 row_shr:8 row_mask:0xf bank_mask:0xf
	s_mov_b32 s27, exec_lo
	v_cmpx_lt_u32_e32 7, v146
	s_cbranch_execz .LBB501_110
; %bb.107:
	s_delay_alu instid0(VALU_DEP_2) | instskip(NEXT) | instid1(VALU_DEP_1)
	v_lshlrev_b32_e32 v147, 16, v149
	v_dual_max_f32 v149, v147, v147 :: v_dual_lshlrev_b32 v146, 16, v148
	s_delay_alu instid0(VALU_DEP_1) | instskip(SKIP_1) | instid1(VALU_DEP_2)
	v_max_f32_e32 v148, v146, v146
	v_cmp_u_f32_e64 s25, v147, v147
	v_min_f32_e32 v150, v149, v148
	v_max_f32_e32 v148, v149, v148
	s_delay_alu instid0(VALU_DEP_2) | instskip(NEXT) | instid1(VALU_DEP_2)
	v_cndmask_b32_e64 v149, v150, v147, s25
	v_cndmask_b32_e64 v150, v148, v147, s25
	v_cmp_u_f32_e64 s25, v146, v146
	s_delay_alu instid0(VALU_DEP_1) | instskip(NEXT) | instid1(VALU_DEP_3)
	v_cndmask_b32_e64 v148, v149, v146, s25
	v_cndmask_b32_e64 v146, v150, v146, s25
	s_delay_alu instid0(VALU_DEP_2) | instskip(NEXT) | instid1(VALU_DEP_2)
	v_cmp_class_f32_e64 vcc_hi, v148, 0x1f8
	v_cmp_neq_f32_e64 s25, v148, v146
	s_delay_alu instid0(VALU_DEP_1) | instskip(NEXT) | instid1(SALU_CYCLE_1)
	s_or_b32 s25, s25, vcc_hi
	s_and_saveexec_b32 vcc_hi, s25
	s_cbranch_execz .LBB501_109
; %bb.108:
	v_sub_f32_e32 v147, v148, v146
	s_delay_alu instid0(VALU_DEP_1) | instskip(SKIP_1) | instid1(VALU_DEP_2)
	v_mul_f32_e32 v148, 0x3fb8aa3b, v147
	v_cmp_ngt_f32_e64 s25, 0xc2ce8ed0, v147
	v_fma_f32 v149, 0x3fb8aa3b, v147, -v148
	v_rndne_f32_e32 v150, v148
	s_delay_alu instid0(VALU_DEP_1) | instskip(NEXT) | instid1(VALU_DEP_1)
	v_dual_fmamk_f32 v149, v147, 0x32a5705f, v149 :: v_dual_sub_f32 v148, v148, v150
	v_add_f32_e32 v148, v148, v149
	v_cvt_i32_f32_e32 v149, v150
	s_delay_alu instid0(VALU_DEP_2) | instskip(SKIP_2) | instid1(VALU_DEP_1)
	v_exp_f32_e32 v148, v148
	s_waitcnt_depctr 0xfff
	v_ldexp_f32 v148, v148, v149
	v_cndmask_b32_e64 v148, 0, v148, s25
	v_cmp_nlt_f32_e64 s25, 0x42b17218, v147
	s_delay_alu instid0(VALU_DEP_1) | instskip(NEXT) | instid1(VALU_DEP_1)
	v_cndmask_b32_e64 v149, 0x7f800000, v148, s25
	v_add_f32_e32 v150, 1.0, v149
	v_cmp_gt_f32_e64 s30, 0x33800000, |v149|
	s_delay_alu instid0(VALU_DEP_2) | instskip(NEXT) | instid1(VALU_DEP_1)
	v_cvt_f64_f32_e32 v[147:148], v150
	v_frexp_exp_i32_f64_e32 v147, v[147:148]
	v_frexp_mant_f32_e32 v148, v150
	s_delay_alu instid0(VALU_DEP_1) | instskip(SKIP_1) | instid1(VALU_DEP_1)
	v_cmp_gt_f32_e64 s25, 0x3f2aaaab, v148
	v_add_f32_e32 v148, -1.0, v150
	v_sub_f32_e32 v160, v148, v150
	v_sub_f32_e32 v148, v149, v148
	s_delay_alu instid0(VALU_DEP_4) | instskip(SKIP_1) | instid1(VALU_DEP_1)
	v_subrev_co_ci_u32_e64 v147, s25, 0, v147, s25
	s_mov_b32 s25, 0x3e9b6dac
	v_sub_nc_u32_e32 v151, 0, v147
	v_cvt_f32_i32_e32 v147, v147
	s_delay_alu instid0(VALU_DEP_2) | instskip(NEXT) | instid1(VALU_DEP_1)
	v_ldexp_f32 v150, v150, v151
	v_dual_add_f32 v161, 1.0, v150 :: v_dual_add_f32 v160, 1.0, v160
	s_delay_alu instid0(VALU_DEP_1) | instskip(NEXT) | instid1(VALU_DEP_2)
	v_add_f32_e32 v148, v148, v160
	v_add_f32_e32 v160, -1.0, v161
	s_delay_alu instid0(VALU_DEP_2) | instskip(NEXT) | instid1(VALU_DEP_2)
	v_ldexp_f32 v148, v148, v151
	v_dual_add_f32 v151, -1.0, v150 :: v_dual_sub_f32 v160, v150, v160
	s_delay_alu instid0(VALU_DEP_1) | instskip(NEXT) | instid1(VALU_DEP_2)
	v_add_f32_e32 v162, 1.0, v151
	v_add_f32_e32 v160, v148, v160
	s_delay_alu instid0(VALU_DEP_2) | instskip(NEXT) | instid1(VALU_DEP_2)
	v_sub_f32_e32 v150, v150, v162
	v_add_f32_e32 v162, v161, v160
	s_delay_alu instid0(VALU_DEP_2) | instskip(NEXT) | instid1(VALU_DEP_2)
	v_add_f32_e32 v148, v148, v150
	v_rcp_f32_e32 v150, v162
	v_sub_f32_e32 v161, v161, v162
	s_delay_alu instid0(VALU_DEP_1) | instskip(NEXT) | instid1(VALU_DEP_1)
	v_dual_add_f32 v163, v151, v148 :: v_dual_add_f32 v160, v160, v161
	v_sub_f32_e32 v151, v151, v163
	s_waitcnt_depctr 0xfff
	v_mul_f32_e32 v164, v163, v150
	s_delay_alu instid0(VALU_DEP_1) | instskip(NEXT) | instid1(VALU_DEP_1)
	v_dual_add_f32 v148, v148, v151 :: v_dual_mul_f32 v165, v162, v164
	v_fma_f32 v161, v164, v162, -v165
	s_delay_alu instid0(VALU_DEP_1) | instskip(NEXT) | instid1(VALU_DEP_1)
	v_fmac_f32_e32 v161, v164, v160
	v_add_f32_e32 v166, v165, v161
	s_delay_alu instid0(VALU_DEP_1) | instskip(SKIP_1) | instid1(VALU_DEP_2)
	v_sub_f32_e32 v167, v163, v166
	v_sub_f32_e32 v151, v166, v165
	;; [unrolled: 1-line block ×3, first 2 shown]
	s_delay_alu instid0(VALU_DEP_2) | instskip(NEXT) | instid1(VALU_DEP_2)
	v_sub_f32_e32 v151, v151, v161
	v_sub_f32_e32 v163, v163, v166
	s_delay_alu instid0(VALU_DEP_1) | instskip(NEXT) | instid1(VALU_DEP_1)
	v_add_f32_e32 v148, v148, v163
	v_add_f32_e32 v148, v151, v148
	s_delay_alu instid0(VALU_DEP_1) | instskip(NEXT) | instid1(VALU_DEP_1)
	v_add_f32_e32 v151, v167, v148
	v_mul_f32_e32 v161, v150, v151
	s_delay_alu instid0(VALU_DEP_1) | instskip(NEXT) | instid1(VALU_DEP_1)
	v_dual_sub_f32 v166, v167, v151 :: v_dual_mul_f32 v163, v162, v161
	v_add_f32_e32 v148, v148, v166
	s_delay_alu instid0(VALU_DEP_2) | instskip(NEXT) | instid1(VALU_DEP_1)
	v_fma_f32 v162, v161, v162, -v163
	v_fmac_f32_e32 v162, v161, v160
	s_delay_alu instid0(VALU_DEP_1) | instskip(NEXT) | instid1(VALU_DEP_1)
	v_add_f32_e32 v160, v163, v162
	v_sub_f32_e32 v165, v151, v160
	v_sub_f32_e32 v163, v160, v163
	s_delay_alu instid0(VALU_DEP_2) | instskip(NEXT) | instid1(VALU_DEP_1)
	v_sub_f32_e32 v151, v151, v165
	v_sub_f32_e32 v151, v151, v160
	s_delay_alu instid0(VALU_DEP_3) | instskip(NEXT) | instid1(VALU_DEP_2)
	v_sub_f32_e32 v160, v163, v162
	v_add_f32_e32 v148, v148, v151
	v_add_f32_e32 v151, v164, v161
	s_delay_alu instid0(VALU_DEP_2) | instskip(NEXT) | instid1(VALU_DEP_2)
	v_add_f32_e32 v148, v160, v148
	v_sub_f32_e32 v160, v151, v164
	s_delay_alu instid0(VALU_DEP_2) | instskip(NEXT) | instid1(VALU_DEP_2)
	v_add_f32_e32 v148, v165, v148
	v_sub_f32_e32 v160, v161, v160
	s_delay_alu instid0(VALU_DEP_2) | instskip(NEXT) | instid1(VALU_DEP_1)
	v_mul_f32_e32 v148, v150, v148
	v_add_f32_e32 v148, v160, v148
	s_delay_alu instid0(VALU_DEP_1) | instskip(NEXT) | instid1(VALU_DEP_1)
	v_add_f32_e32 v150, v151, v148
	v_mul_f32_e32 v160, v150, v150
	s_delay_alu instid0(VALU_DEP_1) | instskip(SKIP_2) | instid1(VALU_DEP_3)
	v_fmaak_f32 v161, s25, v160, 0x3ecc95a3
	v_mul_f32_e32 v162, v150, v160
	v_cmp_eq_f32_e64 s25, 0x7f800000, v149
	v_fmaak_f32 v160, v160, v161, 0x3f2aaada
	v_ldexp_f32 v161, v150, 1
	v_sub_f32_e32 v150, v150, v151
	s_delay_alu instid0(VALU_DEP_4) | instskip(NEXT) | instid1(VALU_DEP_3)
	s_or_b32 s25, s25, s30
	v_mul_f32_e32 v160, v162, v160
	v_mul_f32_e32 v162, 0x3f317218, v147
	s_delay_alu instid0(VALU_DEP_2) | instskip(NEXT) | instid1(VALU_DEP_1)
	v_dual_sub_f32 v148, v148, v150 :: v_dual_add_f32 v151, v161, v160
	v_ldexp_f32 v148, v148, 1
	s_delay_alu instid0(VALU_DEP_2) | instskip(NEXT) | instid1(VALU_DEP_4)
	v_sub_f32_e32 v150, v151, v161
	v_fma_f32 v161, 0x3f317218, v147, -v162
	s_delay_alu instid0(VALU_DEP_1) | instskip(NEXT) | instid1(VALU_DEP_1)
	v_dual_sub_f32 v150, v160, v150 :: v_dual_fmamk_f32 v147, v147, 0xb102e308, v161
	v_add_f32_e32 v148, v148, v150
	s_delay_alu instid0(VALU_DEP_2) | instskip(NEXT) | instid1(VALU_DEP_2)
	v_add_f32_e32 v150, v162, v147
	v_add_f32_e32 v160, v151, v148
	s_delay_alu instid0(VALU_DEP_2) | instskip(NEXT) | instid1(VALU_DEP_2)
	v_sub_f32_e32 v162, v150, v162
	v_add_f32_e32 v161, v150, v160
	v_sub_f32_e32 v151, v160, v151
	s_delay_alu instid0(VALU_DEP_3) | instskip(NEXT) | instid1(VALU_DEP_2)
	v_sub_f32_e32 v147, v147, v162
	v_dual_sub_f32 v163, v161, v150 :: v_dual_sub_f32 v148, v148, v151
	s_delay_alu instid0(VALU_DEP_1) | instskip(NEXT) | instid1(VALU_DEP_2)
	v_sub_f32_e32 v164, v161, v163
	v_dual_sub_f32 v151, v160, v163 :: v_dual_add_f32 v160, v147, v148
	s_delay_alu instid0(VALU_DEP_2) | instskip(NEXT) | instid1(VALU_DEP_1)
	v_sub_f32_e32 v150, v150, v164
	v_dual_add_f32 v150, v151, v150 :: v_dual_sub_f32 v151, v160, v147
	s_delay_alu instid0(VALU_DEP_1) | instskip(NEXT) | instid1(VALU_DEP_2)
	v_add_f32_e32 v150, v160, v150
	v_sub_f32_e32 v160, v160, v151
	v_sub_f32_e32 v148, v148, v151
	s_delay_alu instid0(VALU_DEP_2) | instskip(NEXT) | instid1(VALU_DEP_1)
	v_dual_add_f32 v162, v161, v150 :: v_dual_sub_f32 v147, v147, v160
	v_sub_f32_e32 v151, v162, v161
	s_delay_alu instid0(VALU_DEP_2) | instskip(NEXT) | instid1(VALU_DEP_2)
	v_add_f32_e32 v147, v148, v147
	v_sub_f32_e32 v148, v150, v151
	s_delay_alu instid0(VALU_DEP_1) | instskip(NEXT) | instid1(VALU_DEP_1)
	v_add_f32_e32 v147, v147, v148
	v_add_f32_e32 v147, v162, v147
	s_delay_alu instid0(VALU_DEP_1) | instskip(NEXT) | instid1(VALU_DEP_1)
	v_cndmask_b32_e64 v147, v147, v149, s25
	v_add_f32_e32 v147, v146, v147
.LBB501_109:
	s_or_b32 exec_lo, exec_lo, vcc_hi
	s_delay_alu instid0(VALU_DEP_1) | instskip(SKIP_1) | instid1(VALU_DEP_2)
	v_bfe_u32 v146, v147, 16, 1
	v_cmp_o_f32_e64 s25, v147, v147
	v_add3_u32 v146, v147, v146, 0x7fff
	s_delay_alu instid0(VALU_DEP_1) | instskip(NEXT) | instid1(VALU_DEP_1)
	v_lshrrev_b32_e32 v146, 16, v146
	v_cndmask_b32_e64 v147, 0x7fc0, v146, s25
	s_delay_alu instid0(VALU_DEP_1)
	v_and_b32_e32 v148, 0xffff, v147
.LBB501_110:
	s_or_b32 exec_lo, exec_lo, s27
	ds_swizzle_b32 v146, v148 offset:swizzle(BROADCAST,32,15)
	v_and_b32_e32 v149, 16, v21
	s_mov_b32 s27, exec_lo
	s_delay_alu instid0(VALU_DEP_1)
	v_cmpx_ne_u32_e32 0, v149
	s_cbranch_execz .LBB501_114
; %bb.111:
	s_waitcnt lgkmcnt(0)
	v_lshlrev_b32_e32 v147, 16, v146
	s_delay_alu instid0(VALU_DEP_1) | instskip(NEXT) | instid1(VALU_DEP_1)
	v_dual_max_f32 v148, v147, v147 :: v_dual_lshlrev_b32 v149, 16, v148
	v_max_f32_e32 v146, v149, v149
	v_cmp_u_f32_e64 s25, v147, v147
	s_delay_alu instid0(VALU_DEP_2) | instskip(SKIP_1) | instid1(VALU_DEP_2)
	v_min_f32_e32 v150, v148, v146
	v_max_f32_e32 v146, v148, v146
	v_cndmask_b32_e64 v148, v150, v147, s25
	s_delay_alu instid0(VALU_DEP_2) | instskip(SKIP_1) | instid1(VALU_DEP_1)
	v_cndmask_b32_e64 v146, v146, v147, s25
	v_cmp_u_f32_e64 s25, v149, v149
	v_cndmask_b32_e64 v148, v148, v149, s25
	s_delay_alu instid0(VALU_DEP_3) | instskip(NEXT) | instid1(VALU_DEP_2)
	v_cndmask_b32_e64 v146, v146, v149, s25
	v_cmp_class_f32_e64 vcc_hi, v148, 0x1f8
	s_delay_alu instid0(VALU_DEP_2) | instskip(NEXT) | instid1(VALU_DEP_1)
	v_cmp_neq_f32_e64 s25, v148, v146
	s_or_b32 s25, s25, vcc_hi
	s_delay_alu instid0(SALU_CYCLE_1)
	s_and_saveexec_b32 vcc_hi, s25
	s_cbranch_execz .LBB501_113
; %bb.112:
	v_sub_f32_e32 v147, v148, v146
	s_delay_alu instid0(VALU_DEP_1) | instskip(SKIP_1) | instid1(VALU_DEP_2)
	v_mul_f32_e32 v148, 0x3fb8aa3b, v147
	v_cmp_ngt_f32_e64 s25, 0xc2ce8ed0, v147
	v_fma_f32 v149, 0x3fb8aa3b, v147, -v148
	v_rndne_f32_e32 v150, v148
	s_delay_alu instid0(VALU_DEP_1) | instskip(NEXT) | instid1(VALU_DEP_1)
	v_dual_fmamk_f32 v149, v147, 0x32a5705f, v149 :: v_dual_sub_f32 v148, v148, v150
	v_add_f32_e32 v148, v148, v149
	v_cvt_i32_f32_e32 v149, v150
	s_delay_alu instid0(VALU_DEP_2) | instskip(SKIP_2) | instid1(VALU_DEP_1)
	v_exp_f32_e32 v148, v148
	s_waitcnt_depctr 0xfff
	v_ldexp_f32 v148, v148, v149
	v_cndmask_b32_e64 v148, 0, v148, s25
	v_cmp_nlt_f32_e64 s25, 0x42b17218, v147
	s_delay_alu instid0(VALU_DEP_1) | instskip(NEXT) | instid1(VALU_DEP_1)
	v_cndmask_b32_e64 v149, 0x7f800000, v148, s25
	v_add_f32_e32 v150, 1.0, v149
	v_cmp_gt_f32_e64 s30, 0x33800000, |v149|
	s_delay_alu instid0(VALU_DEP_2) | instskip(NEXT) | instid1(VALU_DEP_1)
	v_cvt_f64_f32_e32 v[147:148], v150
	v_frexp_exp_i32_f64_e32 v147, v[147:148]
	v_frexp_mant_f32_e32 v148, v150
	s_delay_alu instid0(VALU_DEP_1) | instskip(SKIP_1) | instid1(VALU_DEP_1)
	v_cmp_gt_f32_e64 s25, 0x3f2aaaab, v148
	v_add_f32_e32 v148, -1.0, v150
	v_sub_f32_e32 v160, v148, v150
	v_sub_f32_e32 v148, v149, v148
	s_delay_alu instid0(VALU_DEP_4) | instskip(SKIP_1) | instid1(VALU_DEP_1)
	v_subrev_co_ci_u32_e64 v147, s25, 0, v147, s25
	s_mov_b32 s25, 0x3e9b6dac
	v_sub_nc_u32_e32 v151, 0, v147
	v_cvt_f32_i32_e32 v147, v147
	s_delay_alu instid0(VALU_DEP_2) | instskip(NEXT) | instid1(VALU_DEP_1)
	v_ldexp_f32 v150, v150, v151
	v_dual_add_f32 v161, 1.0, v150 :: v_dual_add_f32 v160, 1.0, v160
	s_delay_alu instid0(VALU_DEP_1) | instskip(NEXT) | instid1(VALU_DEP_2)
	v_add_f32_e32 v148, v148, v160
	v_add_f32_e32 v160, -1.0, v161
	s_delay_alu instid0(VALU_DEP_2) | instskip(NEXT) | instid1(VALU_DEP_2)
	v_ldexp_f32 v148, v148, v151
	v_dual_add_f32 v151, -1.0, v150 :: v_dual_sub_f32 v160, v150, v160
	s_delay_alu instid0(VALU_DEP_1) | instskip(NEXT) | instid1(VALU_DEP_2)
	v_add_f32_e32 v162, 1.0, v151
	v_add_f32_e32 v160, v148, v160
	s_delay_alu instid0(VALU_DEP_2) | instskip(NEXT) | instid1(VALU_DEP_2)
	v_sub_f32_e32 v150, v150, v162
	v_add_f32_e32 v162, v161, v160
	s_delay_alu instid0(VALU_DEP_2) | instskip(NEXT) | instid1(VALU_DEP_2)
	v_add_f32_e32 v148, v148, v150
	v_rcp_f32_e32 v150, v162
	v_sub_f32_e32 v161, v161, v162
	s_delay_alu instid0(VALU_DEP_1) | instskip(NEXT) | instid1(VALU_DEP_1)
	v_dual_add_f32 v163, v151, v148 :: v_dual_add_f32 v160, v160, v161
	v_sub_f32_e32 v151, v151, v163
	s_waitcnt_depctr 0xfff
	v_mul_f32_e32 v164, v163, v150
	s_delay_alu instid0(VALU_DEP_1) | instskip(NEXT) | instid1(VALU_DEP_1)
	v_dual_add_f32 v148, v148, v151 :: v_dual_mul_f32 v165, v162, v164
	v_fma_f32 v161, v164, v162, -v165
	s_delay_alu instid0(VALU_DEP_1) | instskip(NEXT) | instid1(VALU_DEP_1)
	v_fmac_f32_e32 v161, v164, v160
	v_add_f32_e32 v166, v165, v161
	s_delay_alu instid0(VALU_DEP_1) | instskip(SKIP_1) | instid1(VALU_DEP_2)
	v_sub_f32_e32 v167, v163, v166
	v_sub_f32_e32 v151, v166, v165
	;; [unrolled: 1-line block ×3, first 2 shown]
	s_delay_alu instid0(VALU_DEP_2) | instskip(NEXT) | instid1(VALU_DEP_2)
	v_sub_f32_e32 v151, v151, v161
	v_sub_f32_e32 v163, v163, v166
	s_delay_alu instid0(VALU_DEP_1) | instskip(NEXT) | instid1(VALU_DEP_1)
	v_add_f32_e32 v148, v148, v163
	v_add_f32_e32 v148, v151, v148
	s_delay_alu instid0(VALU_DEP_1) | instskip(NEXT) | instid1(VALU_DEP_1)
	v_add_f32_e32 v151, v167, v148
	v_mul_f32_e32 v161, v150, v151
	s_delay_alu instid0(VALU_DEP_1) | instskip(NEXT) | instid1(VALU_DEP_1)
	v_dual_sub_f32 v166, v167, v151 :: v_dual_mul_f32 v163, v162, v161
	v_add_f32_e32 v148, v148, v166
	s_delay_alu instid0(VALU_DEP_2) | instskip(NEXT) | instid1(VALU_DEP_1)
	v_fma_f32 v162, v161, v162, -v163
	v_fmac_f32_e32 v162, v161, v160
	s_delay_alu instid0(VALU_DEP_1) | instskip(NEXT) | instid1(VALU_DEP_1)
	v_add_f32_e32 v160, v163, v162
	v_sub_f32_e32 v165, v151, v160
	v_sub_f32_e32 v163, v160, v163
	s_delay_alu instid0(VALU_DEP_2) | instskip(NEXT) | instid1(VALU_DEP_1)
	v_sub_f32_e32 v151, v151, v165
	v_sub_f32_e32 v151, v151, v160
	s_delay_alu instid0(VALU_DEP_3) | instskip(NEXT) | instid1(VALU_DEP_2)
	v_sub_f32_e32 v160, v163, v162
	v_add_f32_e32 v148, v148, v151
	v_add_f32_e32 v151, v164, v161
	s_delay_alu instid0(VALU_DEP_2) | instskip(NEXT) | instid1(VALU_DEP_2)
	v_add_f32_e32 v148, v160, v148
	v_sub_f32_e32 v160, v151, v164
	s_delay_alu instid0(VALU_DEP_2) | instskip(NEXT) | instid1(VALU_DEP_2)
	v_add_f32_e32 v148, v165, v148
	v_sub_f32_e32 v160, v161, v160
	s_delay_alu instid0(VALU_DEP_2) | instskip(NEXT) | instid1(VALU_DEP_1)
	v_mul_f32_e32 v148, v150, v148
	v_add_f32_e32 v148, v160, v148
	s_delay_alu instid0(VALU_DEP_1) | instskip(NEXT) | instid1(VALU_DEP_1)
	v_add_f32_e32 v150, v151, v148
	v_mul_f32_e32 v160, v150, v150
	s_delay_alu instid0(VALU_DEP_1) | instskip(SKIP_2) | instid1(VALU_DEP_3)
	v_fmaak_f32 v161, s25, v160, 0x3ecc95a3
	v_mul_f32_e32 v162, v150, v160
	v_cmp_eq_f32_e64 s25, 0x7f800000, v149
	v_fmaak_f32 v160, v160, v161, 0x3f2aaada
	v_ldexp_f32 v161, v150, 1
	v_sub_f32_e32 v150, v150, v151
	s_delay_alu instid0(VALU_DEP_4) | instskip(NEXT) | instid1(VALU_DEP_3)
	s_or_b32 s25, s25, s30
	v_mul_f32_e32 v160, v162, v160
	v_mul_f32_e32 v162, 0x3f317218, v147
	s_delay_alu instid0(VALU_DEP_2) | instskip(NEXT) | instid1(VALU_DEP_1)
	v_dual_sub_f32 v148, v148, v150 :: v_dual_add_f32 v151, v161, v160
	v_ldexp_f32 v148, v148, 1
	s_delay_alu instid0(VALU_DEP_2) | instskip(NEXT) | instid1(VALU_DEP_4)
	v_sub_f32_e32 v150, v151, v161
	v_fma_f32 v161, 0x3f317218, v147, -v162
	s_delay_alu instid0(VALU_DEP_1) | instskip(NEXT) | instid1(VALU_DEP_1)
	v_dual_sub_f32 v150, v160, v150 :: v_dual_fmamk_f32 v147, v147, 0xb102e308, v161
	v_add_f32_e32 v148, v148, v150
	s_delay_alu instid0(VALU_DEP_2) | instskip(NEXT) | instid1(VALU_DEP_2)
	v_add_f32_e32 v150, v162, v147
	v_add_f32_e32 v160, v151, v148
	s_delay_alu instid0(VALU_DEP_2) | instskip(NEXT) | instid1(VALU_DEP_2)
	v_sub_f32_e32 v162, v150, v162
	v_add_f32_e32 v161, v150, v160
	v_sub_f32_e32 v151, v160, v151
	s_delay_alu instid0(VALU_DEP_3) | instskip(NEXT) | instid1(VALU_DEP_2)
	v_sub_f32_e32 v147, v147, v162
	v_dual_sub_f32 v163, v161, v150 :: v_dual_sub_f32 v148, v148, v151
	s_delay_alu instid0(VALU_DEP_1) | instskip(NEXT) | instid1(VALU_DEP_2)
	v_sub_f32_e32 v164, v161, v163
	v_dual_sub_f32 v151, v160, v163 :: v_dual_add_f32 v160, v147, v148
	s_delay_alu instid0(VALU_DEP_2) | instskip(NEXT) | instid1(VALU_DEP_1)
	v_sub_f32_e32 v150, v150, v164
	v_dual_add_f32 v150, v151, v150 :: v_dual_sub_f32 v151, v160, v147
	s_delay_alu instid0(VALU_DEP_1) | instskip(NEXT) | instid1(VALU_DEP_2)
	v_add_f32_e32 v150, v160, v150
	v_sub_f32_e32 v160, v160, v151
	v_sub_f32_e32 v148, v148, v151
	s_delay_alu instid0(VALU_DEP_2) | instskip(NEXT) | instid1(VALU_DEP_1)
	v_dual_add_f32 v162, v161, v150 :: v_dual_sub_f32 v147, v147, v160
	v_sub_f32_e32 v151, v162, v161
	s_delay_alu instid0(VALU_DEP_2) | instskip(NEXT) | instid1(VALU_DEP_2)
	v_add_f32_e32 v147, v148, v147
	v_sub_f32_e32 v148, v150, v151
	s_delay_alu instid0(VALU_DEP_1) | instskip(NEXT) | instid1(VALU_DEP_1)
	v_add_f32_e32 v147, v147, v148
	v_add_f32_e32 v147, v162, v147
	s_delay_alu instid0(VALU_DEP_1) | instskip(NEXT) | instid1(VALU_DEP_1)
	v_cndmask_b32_e64 v147, v147, v149, s25
	v_add_f32_e32 v147, v146, v147
.LBB501_113:
	s_or_b32 exec_lo, exec_lo, vcc_hi
	s_delay_alu instid0(VALU_DEP_1) | instskip(SKIP_1) | instid1(VALU_DEP_2)
	v_bfe_u32 v146, v147, 16, 1
	v_cmp_o_f32_e64 s25, v147, v147
	v_add3_u32 v146, v147, v146, 0x7fff
	s_delay_alu instid0(VALU_DEP_1) | instskip(NEXT) | instid1(VALU_DEP_1)
	v_lshrrev_b32_e32 v146, 16, v146
	v_cndmask_b32_e64 v147, 0x7fc0, v146, s25
.LBB501_114:
	s_or_b32 exec_lo, exec_lo, s27
	s_waitcnt lgkmcnt(0)
	v_add_nc_u32_e32 v146, -1, v21
	s_delay_alu instid0(VALU_DEP_1) | instskip(NEXT) | instid1(VALU_DEP_1)
	v_cmp_gt_i32_e64 s25, 0, v146
	v_cndmask_b32_e64 v21, v146, v21, s25
	v_and_b32_e32 v146, 0xffff, v147
	s_delay_alu instid0(VALU_DEP_2) | instskip(SKIP_3) | instid1(VALU_DEP_1)
	v_lshlrev_b32_e32 v21, 2, v21
	ds_bpermute_b32 v21, v21, v146
	s_waitcnt lgkmcnt(0)
	v_lshlrev_b32_e32 v21, 16, v21
	v_max_f32_e32 v146, v21, v21
	v_cmp_u_f32_e64 s25, v21, v21
	s_delay_alu instid0(VALU_DEP_2) | instskip(SKIP_1) | instid1(VALU_DEP_2)
	v_min_f32_e32 v147, v146, v20
	v_max_f32_e32 v20, v146, v20
	v_cndmask_b32_e64 v146, v147, v21, s25
	s_delay_alu instid0(VALU_DEP_2) | instskip(NEXT) | instid1(VALU_DEP_2)
	v_cndmask_b32_e64 v147, v20, v21, s25
	v_cndmask_b32_e64 v20, v146, v19, s24
	s_delay_alu instid0(VALU_DEP_2) | instskip(NEXT) | instid1(VALU_DEP_2)
	v_cndmask_b32_e64 v19, v147, v19, s24
	v_cmp_class_f32_e64 s25, v20, 0x1f8
	s_delay_alu instid0(VALU_DEP_2) | instskip(NEXT) | instid1(VALU_DEP_1)
	v_cmp_neq_f32_e64 s24, v20, v19
	s_or_b32 s24, s24, s25
	s_delay_alu instid0(SALU_CYCLE_1)
	s_and_saveexec_b32 s25, s24
	s_cbranch_execz .LBB501_116
; %bb.115:
	v_sub_f32_e32 v20, v20, v19
	s_delay_alu instid0(VALU_DEP_1) | instskip(NEXT) | instid1(VALU_DEP_1)
	v_mul_f32_e32 v21, 0x3fb8aa3b, v20
	v_fma_f32 v146, 0x3fb8aa3b, v20, -v21
	v_rndne_f32_e32 v147, v21
	s_delay_alu instid0(VALU_DEP_1) | instskip(NEXT) | instid1(VALU_DEP_1)
	v_dual_fmamk_f32 v146, v20, 0x32a5705f, v146 :: v_dual_sub_f32 v21, v21, v147
	v_add_f32_e32 v21, v21, v146
	v_cvt_i32_f32_e32 v146, v147
	v_cmp_ngt_f32_e64 s24, 0xc2ce8ed0, v20
	s_delay_alu instid0(VALU_DEP_3) | instskip(SKIP_2) | instid1(VALU_DEP_1)
	v_exp_f32_e32 v21, v21
	s_waitcnt_depctr 0xfff
	v_ldexp_f32 v21, v21, v146
	v_cndmask_b32_e64 v21, 0, v21, s24
	v_cmp_nlt_f32_e64 s24, 0x42b17218, v20
	s_delay_alu instid0(VALU_DEP_1) | instskip(NEXT) | instid1(VALU_DEP_1)
	v_cndmask_b32_e64 v146, 0x7f800000, v21, s24
	v_add_f32_e32 v147, 1.0, v146
	v_cmp_gt_f32_e64 s27, 0x33800000, |v146|
	s_delay_alu instid0(VALU_DEP_2) | instskip(NEXT) | instid1(VALU_DEP_1)
	v_cvt_f64_f32_e32 v[20:21], v147
	v_frexp_exp_i32_f64_e32 v20, v[20:21]
	v_frexp_mant_f32_e32 v21, v147
	s_delay_alu instid0(VALU_DEP_1) | instskip(SKIP_1) | instid1(VALU_DEP_1)
	v_cmp_gt_f32_e64 s24, 0x3f2aaaab, v21
	v_add_f32_e32 v21, -1.0, v147
	v_sub_f32_e32 v149, v21, v147
	s_delay_alu instid0(VALU_DEP_3) | instskip(SKIP_1) | instid1(VALU_DEP_1)
	v_subrev_co_ci_u32_e64 v20, s24, 0, v20, s24
	s_mov_b32 s24, 0x3e9b6dac
	v_sub_nc_u32_e32 v148, 0, v20
	v_cvt_f32_i32_e32 v20, v20
	s_delay_alu instid0(VALU_DEP_2) | instskip(NEXT) | instid1(VALU_DEP_1)
	v_ldexp_f32 v147, v147, v148
	v_dual_sub_f32 v21, v146, v21 :: v_dual_add_f32 v150, 1.0, v147
	v_add_f32_e32 v149, 1.0, v149
	s_delay_alu instid0(VALU_DEP_1) | instskip(NEXT) | instid1(VALU_DEP_3)
	v_add_f32_e32 v21, v21, v149
	v_add_f32_e32 v149, -1.0, v150
	s_delay_alu instid0(VALU_DEP_2) | instskip(NEXT) | instid1(VALU_DEP_2)
	v_ldexp_f32 v21, v21, v148
	v_dual_add_f32 v148, -1.0, v147 :: v_dual_sub_f32 v149, v147, v149
	s_delay_alu instid0(VALU_DEP_1) | instskip(NEXT) | instid1(VALU_DEP_2)
	v_add_f32_e32 v151, 1.0, v148
	v_add_f32_e32 v149, v21, v149
	s_delay_alu instid0(VALU_DEP_2) | instskip(NEXT) | instid1(VALU_DEP_2)
	v_sub_f32_e32 v147, v147, v151
	v_add_f32_e32 v151, v150, v149
	s_delay_alu instid0(VALU_DEP_2) | instskip(NEXT) | instid1(VALU_DEP_2)
	v_add_f32_e32 v21, v21, v147
	v_rcp_f32_e32 v147, v151
	v_sub_f32_e32 v150, v150, v151
	s_delay_alu instid0(VALU_DEP_1) | instskip(NEXT) | instid1(VALU_DEP_1)
	v_dual_add_f32 v160, v148, v21 :: v_dual_add_f32 v149, v149, v150
	v_sub_f32_e32 v148, v148, v160
	s_waitcnt_depctr 0xfff
	v_mul_f32_e32 v161, v160, v147
	s_delay_alu instid0(VALU_DEP_1) | instskip(NEXT) | instid1(VALU_DEP_1)
	v_dual_add_f32 v21, v21, v148 :: v_dual_mul_f32 v162, v151, v161
	v_fma_f32 v150, v161, v151, -v162
	s_delay_alu instid0(VALU_DEP_1) | instskip(NEXT) | instid1(VALU_DEP_1)
	v_fmac_f32_e32 v150, v161, v149
	v_add_f32_e32 v163, v162, v150
	s_delay_alu instid0(VALU_DEP_1) | instskip(SKIP_1) | instid1(VALU_DEP_2)
	v_sub_f32_e32 v164, v160, v163
	v_sub_f32_e32 v148, v163, v162
	v_sub_f32_e32 v160, v160, v164
	s_delay_alu instid0(VALU_DEP_2) | instskip(NEXT) | instid1(VALU_DEP_2)
	v_sub_f32_e32 v148, v148, v150
	v_sub_f32_e32 v160, v160, v163
	s_delay_alu instid0(VALU_DEP_1) | instskip(NEXT) | instid1(VALU_DEP_1)
	v_add_f32_e32 v21, v21, v160
	v_add_f32_e32 v21, v148, v21
	s_delay_alu instid0(VALU_DEP_1) | instskip(NEXT) | instid1(VALU_DEP_1)
	v_add_f32_e32 v148, v164, v21
	v_mul_f32_e32 v150, v147, v148
	s_delay_alu instid0(VALU_DEP_1) | instskip(NEXT) | instid1(VALU_DEP_1)
	v_dual_sub_f32 v163, v164, v148 :: v_dual_mul_f32 v160, v151, v150
	v_add_f32_e32 v21, v21, v163
	s_delay_alu instid0(VALU_DEP_2) | instskip(NEXT) | instid1(VALU_DEP_1)
	v_fma_f32 v151, v150, v151, -v160
	v_fmac_f32_e32 v151, v150, v149
	s_delay_alu instid0(VALU_DEP_1) | instskip(NEXT) | instid1(VALU_DEP_1)
	v_add_f32_e32 v149, v160, v151
	v_sub_f32_e32 v162, v148, v149
	v_sub_f32_e32 v160, v149, v160
	s_delay_alu instid0(VALU_DEP_2) | instskip(NEXT) | instid1(VALU_DEP_1)
	v_sub_f32_e32 v148, v148, v162
	v_sub_f32_e32 v148, v148, v149
	s_delay_alu instid0(VALU_DEP_3) | instskip(NEXT) | instid1(VALU_DEP_2)
	v_sub_f32_e32 v149, v160, v151
	v_add_f32_e32 v21, v21, v148
	v_add_f32_e32 v148, v161, v150
	s_delay_alu instid0(VALU_DEP_2) | instskip(NEXT) | instid1(VALU_DEP_2)
	v_add_f32_e32 v21, v149, v21
	v_sub_f32_e32 v149, v148, v161
	s_delay_alu instid0(VALU_DEP_2) | instskip(NEXT) | instid1(VALU_DEP_2)
	v_add_f32_e32 v21, v162, v21
	v_sub_f32_e32 v149, v150, v149
	s_delay_alu instid0(VALU_DEP_2) | instskip(NEXT) | instid1(VALU_DEP_1)
	v_mul_f32_e32 v21, v147, v21
	v_add_f32_e32 v21, v149, v21
	s_delay_alu instid0(VALU_DEP_1) | instskip(NEXT) | instid1(VALU_DEP_1)
	v_add_f32_e32 v147, v148, v21
	v_mul_f32_e32 v149, v147, v147
	s_delay_alu instid0(VALU_DEP_1) | instskip(SKIP_2) | instid1(VALU_DEP_3)
	v_fmaak_f32 v150, s24, v149, 0x3ecc95a3
	v_mul_f32_e32 v151, v147, v149
	v_cmp_eq_f32_e64 s24, 0x7f800000, v146
	v_fmaak_f32 v149, v149, v150, 0x3f2aaada
	v_ldexp_f32 v150, v147, 1
	v_sub_f32_e32 v147, v147, v148
	s_delay_alu instid0(VALU_DEP_4) | instskip(NEXT) | instid1(VALU_DEP_3)
	s_or_b32 s24, s24, s27
	v_mul_f32_e32 v149, v151, v149
	v_mul_f32_e32 v151, 0x3f317218, v20
	s_delay_alu instid0(VALU_DEP_2) | instskip(NEXT) | instid1(VALU_DEP_1)
	v_dual_sub_f32 v21, v21, v147 :: v_dual_add_f32 v148, v150, v149
	v_ldexp_f32 v21, v21, 1
	s_delay_alu instid0(VALU_DEP_2) | instskip(NEXT) | instid1(VALU_DEP_4)
	v_sub_f32_e32 v147, v148, v150
	v_fma_f32 v150, 0x3f317218, v20, -v151
	s_delay_alu instid0(VALU_DEP_1) | instskip(NEXT) | instid1(VALU_DEP_1)
	v_dual_sub_f32 v147, v149, v147 :: v_dual_fmamk_f32 v20, v20, 0xb102e308, v150
	v_add_f32_e32 v21, v21, v147
	s_delay_alu instid0(VALU_DEP_2) | instskip(NEXT) | instid1(VALU_DEP_2)
	v_add_f32_e32 v147, v151, v20
	v_add_f32_e32 v149, v148, v21
	s_delay_alu instid0(VALU_DEP_2) | instskip(NEXT) | instid1(VALU_DEP_2)
	v_sub_f32_e32 v151, v147, v151
	v_add_f32_e32 v150, v147, v149
	v_sub_f32_e32 v148, v149, v148
	s_delay_alu instid0(VALU_DEP_3) | instskip(NEXT) | instid1(VALU_DEP_2)
	v_sub_f32_e32 v20, v20, v151
	v_dual_sub_f32 v160, v150, v147 :: v_dual_sub_f32 v21, v21, v148
	s_delay_alu instid0(VALU_DEP_1) | instskip(NEXT) | instid1(VALU_DEP_2)
	v_sub_f32_e32 v161, v150, v160
	v_dual_sub_f32 v148, v149, v160 :: v_dual_add_f32 v149, v20, v21
	s_delay_alu instid0(VALU_DEP_2) | instskip(NEXT) | instid1(VALU_DEP_1)
	v_sub_f32_e32 v147, v147, v161
	v_dual_add_f32 v147, v148, v147 :: v_dual_sub_f32 v148, v149, v20
	s_delay_alu instid0(VALU_DEP_1) | instskip(NEXT) | instid1(VALU_DEP_2)
	v_add_f32_e32 v147, v149, v147
	v_sub_f32_e32 v149, v149, v148
	v_sub_f32_e32 v21, v21, v148
	s_delay_alu instid0(VALU_DEP_2) | instskip(NEXT) | instid1(VALU_DEP_1)
	v_dual_add_f32 v151, v150, v147 :: v_dual_sub_f32 v20, v20, v149
	v_sub_f32_e32 v148, v151, v150
	s_delay_alu instid0(VALU_DEP_2) | instskip(NEXT) | instid1(VALU_DEP_2)
	v_add_f32_e32 v20, v21, v20
	v_sub_f32_e32 v21, v147, v148
	s_delay_alu instid0(VALU_DEP_1) | instskip(NEXT) | instid1(VALU_DEP_1)
	v_add_f32_e32 v20, v20, v21
	v_add_f32_e32 v20, v151, v20
	s_delay_alu instid0(VALU_DEP_1) | instskip(NEXT) | instid1(VALU_DEP_1)
	v_cndmask_b32_e64 v20, v20, v146, s24
	v_add_f32_e32 v21, v19, v20
.LBB501_116:
	s_or_b32 exec_lo, exec_lo, s25
	s_delay_alu instid0(VALU_DEP_1) | instskip(SKIP_1) | instid1(VALU_DEP_2)
	v_bfe_u32 v19, v21, 16, 1
	v_cmp_o_f32_e64 s24, v21, v21
	; wave barrier
	v_add3_u32 v19, v21, v19, 0x7fff
	s_delay_alu instid0(VALU_DEP_1) | instskip(NEXT) | instid1(VALU_DEP_1)
	v_lshrrev_b32_e32 v19, 16, v19
	v_cndmask_b32_e64 v19, 0x7fc0, v19, s24
	v_cmp_eq_u32_e64 s24, 0, v0
	s_delay_alu instid0(VALU_DEP_1)
	v_cndmask_b32_e64 v19, v19, v145, s24
	ds_store_b16 v18, v19
	; wave barrier
	ds_load_u16 v21, v18 offset:2
	v_lshlrev_b32_e32 v20, 16, v19
	s_waitcnt lgkmcnt(0)
	v_lshlrev_b32_e32 v19, 16, v21
	s_delay_alu instid0(VALU_DEP_1) | instskip(NEXT) | instid1(VALU_DEP_1)
	v_dual_max_f32 v21, v20, v20 :: v_dual_max_f32 v146, v19, v19
	v_min_f32_e32 v147, v21, v146
	v_max_f32_e32 v21, v21, v146
	v_cmp_u_f32_e64 s24, v20, v20
	s_delay_alu instid0(VALU_DEP_1) | instskip(NEXT) | instid1(VALU_DEP_3)
	v_cndmask_b32_e64 v146, v147, v20, s24
	v_cndmask_b32_e64 v147, v21, v20, s24
	v_cmp_u_f32_e64 s24, v19, v19
	s_delay_alu instid0(VALU_DEP_1) | instskip(NEXT) | instid1(VALU_DEP_3)
	v_cndmask_b32_e64 v21, v146, v19, s24
	v_cndmask_b32_e64 v19, v147, v19, s24
	s_delay_alu instid0(VALU_DEP_2) | instskip(NEXT) | instid1(VALU_DEP_2)
	v_cmp_class_f32_e64 s25, v21, 0x1f8
	v_cmp_neq_f32_e64 s24, v21, v19
	s_delay_alu instid0(VALU_DEP_1) | instskip(NEXT) | instid1(SALU_CYCLE_1)
	s_or_b32 s24, s24, s25
	s_and_saveexec_b32 s25, s24
	s_cbranch_execz .LBB501_118
; %bb.117:
	v_sub_f32_e32 v20, v21, v19
	s_delay_alu instid0(VALU_DEP_1) | instskip(SKIP_1) | instid1(VALU_DEP_2)
	v_mul_f32_e32 v21, 0x3fb8aa3b, v20
	v_cmp_ngt_f32_e64 s24, 0xc2ce8ed0, v20
	v_fma_f32 v146, 0x3fb8aa3b, v20, -v21
	v_rndne_f32_e32 v147, v21
	s_delay_alu instid0(VALU_DEP_1) | instskip(NEXT) | instid1(VALU_DEP_1)
	v_dual_fmamk_f32 v146, v20, 0x32a5705f, v146 :: v_dual_sub_f32 v21, v21, v147
	v_add_f32_e32 v21, v21, v146
	v_cvt_i32_f32_e32 v146, v147
	s_delay_alu instid0(VALU_DEP_2) | instskip(SKIP_2) | instid1(VALU_DEP_1)
	v_exp_f32_e32 v21, v21
	s_waitcnt_depctr 0xfff
	v_ldexp_f32 v21, v21, v146
	v_cndmask_b32_e64 v21, 0, v21, s24
	v_cmp_nlt_f32_e64 s24, 0x42b17218, v20
	s_delay_alu instid0(VALU_DEP_1) | instskip(NEXT) | instid1(VALU_DEP_1)
	v_cndmask_b32_e64 v146, 0x7f800000, v21, s24
	v_add_f32_e32 v147, 1.0, v146
	v_cmp_gt_f32_e64 s27, 0x33800000, |v146|
	s_delay_alu instid0(VALU_DEP_2) | instskip(NEXT) | instid1(VALU_DEP_1)
	v_cvt_f64_f32_e32 v[20:21], v147
	v_frexp_exp_i32_f64_e32 v20, v[20:21]
	v_frexp_mant_f32_e32 v21, v147
	s_delay_alu instid0(VALU_DEP_1) | instskip(SKIP_1) | instid1(VALU_DEP_1)
	v_cmp_gt_f32_e64 s24, 0x3f2aaaab, v21
	v_add_f32_e32 v21, -1.0, v147
	v_sub_f32_e32 v149, v21, v147
	v_sub_f32_e32 v21, v146, v21
	s_delay_alu instid0(VALU_DEP_4) | instskip(SKIP_1) | instid1(VALU_DEP_1)
	v_subrev_co_ci_u32_e64 v20, s24, 0, v20, s24
	s_mov_b32 s24, 0x3e9b6dac
	v_sub_nc_u32_e32 v148, 0, v20
	v_cvt_f32_i32_e32 v20, v20
	s_delay_alu instid0(VALU_DEP_2) | instskip(NEXT) | instid1(VALU_DEP_1)
	v_ldexp_f32 v147, v147, v148
	v_dual_add_f32 v150, 1.0, v147 :: v_dual_add_f32 v149, 1.0, v149
	s_delay_alu instid0(VALU_DEP_1) | instskip(NEXT) | instid1(VALU_DEP_2)
	v_add_f32_e32 v21, v21, v149
	v_add_f32_e32 v149, -1.0, v150
	s_delay_alu instid0(VALU_DEP_2) | instskip(NEXT) | instid1(VALU_DEP_2)
	v_ldexp_f32 v21, v21, v148
	v_dual_add_f32 v148, -1.0, v147 :: v_dual_sub_f32 v149, v147, v149
	s_delay_alu instid0(VALU_DEP_1) | instskip(NEXT) | instid1(VALU_DEP_2)
	v_add_f32_e32 v151, 1.0, v148
	v_add_f32_e32 v149, v21, v149
	s_delay_alu instid0(VALU_DEP_2) | instskip(NEXT) | instid1(VALU_DEP_2)
	v_sub_f32_e32 v147, v147, v151
	v_add_f32_e32 v151, v150, v149
	s_delay_alu instid0(VALU_DEP_2) | instskip(NEXT) | instid1(VALU_DEP_2)
	v_add_f32_e32 v21, v21, v147
	v_rcp_f32_e32 v147, v151
	v_sub_f32_e32 v150, v150, v151
	s_delay_alu instid0(VALU_DEP_1) | instskip(NEXT) | instid1(VALU_DEP_1)
	v_dual_add_f32 v160, v148, v21 :: v_dual_add_f32 v149, v149, v150
	v_sub_f32_e32 v148, v148, v160
	s_waitcnt_depctr 0xfff
	v_mul_f32_e32 v161, v160, v147
	s_delay_alu instid0(VALU_DEP_1) | instskip(NEXT) | instid1(VALU_DEP_1)
	v_dual_add_f32 v21, v21, v148 :: v_dual_mul_f32 v162, v151, v161
	v_fma_f32 v150, v161, v151, -v162
	s_delay_alu instid0(VALU_DEP_1) | instskip(NEXT) | instid1(VALU_DEP_1)
	v_fmac_f32_e32 v150, v161, v149
	v_add_f32_e32 v163, v162, v150
	s_delay_alu instid0(VALU_DEP_1) | instskip(SKIP_1) | instid1(VALU_DEP_2)
	v_sub_f32_e32 v164, v160, v163
	v_sub_f32_e32 v148, v163, v162
	;; [unrolled: 1-line block ×3, first 2 shown]
	s_delay_alu instid0(VALU_DEP_2) | instskip(NEXT) | instid1(VALU_DEP_2)
	v_sub_f32_e32 v148, v148, v150
	v_sub_f32_e32 v160, v160, v163
	s_delay_alu instid0(VALU_DEP_1) | instskip(NEXT) | instid1(VALU_DEP_1)
	v_add_f32_e32 v21, v21, v160
	v_add_f32_e32 v21, v148, v21
	s_delay_alu instid0(VALU_DEP_1) | instskip(NEXT) | instid1(VALU_DEP_1)
	v_add_f32_e32 v148, v164, v21
	v_mul_f32_e32 v150, v147, v148
	s_delay_alu instid0(VALU_DEP_1) | instskip(NEXT) | instid1(VALU_DEP_1)
	v_dual_sub_f32 v163, v164, v148 :: v_dual_mul_f32 v160, v151, v150
	v_add_f32_e32 v21, v21, v163
	s_delay_alu instid0(VALU_DEP_2) | instskip(NEXT) | instid1(VALU_DEP_1)
	v_fma_f32 v151, v150, v151, -v160
	v_fmac_f32_e32 v151, v150, v149
	s_delay_alu instid0(VALU_DEP_1) | instskip(NEXT) | instid1(VALU_DEP_1)
	v_add_f32_e32 v149, v160, v151
	v_sub_f32_e32 v162, v148, v149
	v_sub_f32_e32 v160, v149, v160
	s_delay_alu instid0(VALU_DEP_2) | instskip(NEXT) | instid1(VALU_DEP_1)
	v_sub_f32_e32 v148, v148, v162
	v_sub_f32_e32 v148, v148, v149
	s_delay_alu instid0(VALU_DEP_3) | instskip(NEXT) | instid1(VALU_DEP_2)
	v_sub_f32_e32 v149, v160, v151
	v_add_f32_e32 v21, v21, v148
	v_add_f32_e32 v148, v161, v150
	s_delay_alu instid0(VALU_DEP_2) | instskip(NEXT) | instid1(VALU_DEP_2)
	v_add_f32_e32 v21, v149, v21
	v_sub_f32_e32 v149, v148, v161
	s_delay_alu instid0(VALU_DEP_2) | instskip(NEXT) | instid1(VALU_DEP_2)
	v_add_f32_e32 v21, v162, v21
	v_sub_f32_e32 v149, v150, v149
	s_delay_alu instid0(VALU_DEP_2) | instskip(NEXT) | instid1(VALU_DEP_1)
	v_mul_f32_e32 v21, v147, v21
	v_add_f32_e32 v21, v149, v21
	s_delay_alu instid0(VALU_DEP_1) | instskip(NEXT) | instid1(VALU_DEP_1)
	v_add_f32_e32 v147, v148, v21
	v_mul_f32_e32 v149, v147, v147
	s_delay_alu instid0(VALU_DEP_1) | instskip(SKIP_2) | instid1(VALU_DEP_3)
	v_fmaak_f32 v150, s24, v149, 0x3ecc95a3
	v_mul_f32_e32 v151, v147, v149
	v_cmp_eq_f32_e64 s24, 0x7f800000, v146
	v_fmaak_f32 v149, v149, v150, 0x3f2aaada
	v_ldexp_f32 v150, v147, 1
	v_sub_f32_e32 v147, v147, v148
	s_delay_alu instid0(VALU_DEP_4) | instskip(NEXT) | instid1(VALU_DEP_3)
	s_or_b32 s24, s24, s27
	v_mul_f32_e32 v149, v151, v149
	v_mul_f32_e32 v151, 0x3f317218, v20
	s_delay_alu instid0(VALU_DEP_2) | instskip(NEXT) | instid1(VALU_DEP_1)
	v_dual_sub_f32 v21, v21, v147 :: v_dual_add_f32 v148, v150, v149
	v_ldexp_f32 v21, v21, 1
	s_delay_alu instid0(VALU_DEP_2) | instskip(NEXT) | instid1(VALU_DEP_4)
	v_sub_f32_e32 v147, v148, v150
	v_fma_f32 v150, 0x3f317218, v20, -v151
	s_delay_alu instid0(VALU_DEP_1) | instskip(NEXT) | instid1(VALU_DEP_1)
	v_dual_sub_f32 v147, v149, v147 :: v_dual_fmamk_f32 v20, v20, 0xb102e308, v150
	v_add_f32_e32 v21, v21, v147
	s_delay_alu instid0(VALU_DEP_2) | instskip(NEXT) | instid1(VALU_DEP_2)
	v_add_f32_e32 v147, v151, v20
	v_add_f32_e32 v149, v148, v21
	s_delay_alu instid0(VALU_DEP_2) | instskip(NEXT) | instid1(VALU_DEP_2)
	v_sub_f32_e32 v151, v147, v151
	v_add_f32_e32 v150, v147, v149
	v_sub_f32_e32 v148, v149, v148
	s_delay_alu instid0(VALU_DEP_3) | instskip(NEXT) | instid1(VALU_DEP_2)
	v_sub_f32_e32 v20, v20, v151
	v_dual_sub_f32 v160, v150, v147 :: v_dual_sub_f32 v21, v21, v148
	s_delay_alu instid0(VALU_DEP_1) | instskip(NEXT) | instid1(VALU_DEP_2)
	v_sub_f32_e32 v161, v150, v160
	v_dual_sub_f32 v148, v149, v160 :: v_dual_add_f32 v149, v20, v21
	s_delay_alu instid0(VALU_DEP_2) | instskip(NEXT) | instid1(VALU_DEP_1)
	v_sub_f32_e32 v147, v147, v161
	v_dual_add_f32 v147, v148, v147 :: v_dual_sub_f32 v148, v149, v20
	s_delay_alu instid0(VALU_DEP_1) | instskip(NEXT) | instid1(VALU_DEP_2)
	v_add_f32_e32 v147, v149, v147
	v_sub_f32_e32 v149, v149, v148
	v_sub_f32_e32 v21, v21, v148
	s_delay_alu instid0(VALU_DEP_2) | instskip(NEXT) | instid1(VALU_DEP_1)
	v_dual_add_f32 v151, v150, v147 :: v_dual_sub_f32 v20, v20, v149
	v_sub_f32_e32 v148, v151, v150
	s_delay_alu instid0(VALU_DEP_2) | instskip(NEXT) | instid1(VALU_DEP_2)
	v_add_f32_e32 v20, v21, v20
	v_sub_f32_e32 v21, v147, v148
	s_delay_alu instid0(VALU_DEP_1) | instskip(NEXT) | instid1(VALU_DEP_1)
	v_add_f32_e32 v20, v20, v21
	v_add_f32_e32 v20, v151, v20
	s_delay_alu instid0(VALU_DEP_1) | instskip(NEXT) | instid1(VALU_DEP_1)
	v_cndmask_b32_e64 v20, v20, v146, s24
	v_add_f32_e32 v20, v19, v20
.LBB501_118:
	s_or_b32 exec_lo, exec_lo, s25
	s_delay_alu instid0(VALU_DEP_1) | instskip(SKIP_1) | instid1(VALU_DEP_2)
	v_bfe_u32 v19, v20, 16, 1
	v_cmp_o_f32_e64 s24, v20, v20
	v_add3_u32 v19, v20, v19, 0x7fff
	s_delay_alu instid0(VALU_DEP_1) | instskip(NEXT) | instid1(VALU_DEP_1)
	v_lshrrev_b32_e32 v19, 16, v19
	v_cndmask_b32_e64 v19, 0x7fc0, v19, s24
	ds_store_b16 v18, v19 offset:2
.LBB501_119:
	s_or_b32 exec_lo, exec_lo, s26
	v_cmp_eq_u32_e64 s25, 0, v0
	v_cmp_ne_u32_e64 s24, 0, v0
	s_waitcnt lgkmcnt(0)
	s_barrier
	buffer_gl0_inv
	s_and_saveexec_b32 s26, s24
	s_cbranch_execz .LBB501_121
; %bb.120:
	v_add_nc_u32_e32 v18, -1, v0
	s_delay_alu instid0(VALU_DEP_1) | instskip(NEXT) | instid1(VALU_DEP_1)
	v_lshrrev_b32_e32 v19, 5, v18
	v_add_lshl_u32 v18, v19, v18, 1
	ds_load_u16 v145, v18
.LBB501_121:
	s_or_b32 exec_lo, exec_lo, s26
	s_and_saveexec_b32 s27, vcc_lo
	s_cbranch_execz .LBB501_188
; %bb.122:
	v_mov_b32_e32 v20, 0
	v_mbcnt_lo_u32_b32 v147, -1, 0
	s_mov_b32 vcc_hi, 0
	ds_load_u16 v146, v20 offset:128
	v_cmp_eq_u32_e64 s26, 0, v147
	s_delay_alu instid0(VALU_DEP_1)
	s_and_saveexec_b32 s30, s26
	s_cbranch_execz .LBB501_124
; %bb.123:
	s_add_i32 vcc_lo, s12, 32
	s_waitcnt lgkmcnt(0)
	v_or_b32_e32 v21, 0x10000, v146
	s_lshl_b64 vcc, vcc, 2
	s_delay_alu instid0(SALU_CYCLE_1)
	v_add_co_u32 v18, vcc_lo, v14, vcc_lo
	v_add_co_ci_u32_e32 v19, vcc_lo, vcc_hi, v15, vcc_lo
	flat_store_b32 v[18:19], v21
.LBB501_124:
	s_or_b32 exec_lo, exec_lo, s30
	v_xad_u32 v18, v147, -1, s12
	s_mov_b32 vcc_hi, exec_lo
	s_delay_alu instid0(VALU_DEP_1) | instskip(NEXT) | instid1(VALU_DEP_1)
	v_add_nc_u32_e32 v19, 32, v18
	v_lshlrev_b64 v[19:20], 2, v[19:20]
	s_delay_alu instid0(VALU_DEP_1) | instskip(NEXT) | instid1(VALU_DEP_2)
	v_add_co_u32 v19, vcc_lo, v14, v19
	v_add_co_ci_u32_e32 v20, vcc_lo, v15, v20, vcc_lo
	flat_load_b32 v21, v[19:20] glc
	s_waitcnt vmcnt(0) lgkmcnt(0)
	v_lshrrev_b32_e32 v150, 16, v21
	s_delay_alu instid0(VALU_DEP_1) | instskip(NEXT) | instid1(VALU_DEP_1)
	v_and_b32_e32 v148, 0xff, v150
	v_cmpx_eq_u16_e64 0, v148
	s_cbranch_execz .LBB501_130
; %bb.125:
	s_mov_b32 s31, 1
	s_mov_b32 s30, 0
	.p2align	6
.LBB501_126:                            ; =>This Loop Header: Depth=1
                                        ;     Child Loop BB501_127 Depth 2
	s_max_u32 vcc_lo, s31, 1
.LBB501_127:                            ;   Parent Loop BB501_126 Depth=1
                                        ; =>  This Inner Loop Header: Depth=2
	s_delay_alu instid0(SALU_CYCLE_1)
	s_add_i32 vcc_lo, vcc_lo, -1
	s_sleep 1
	s_cmp_eq_u32 vcc_lo, 0
	s_cbranch_scc0 .LBB501_127
; %bb.128:                              ;   in Loop: Header=BB501_126 Depth=1
	flat_load_b32 v21, v[19:20] glc
	s_cmp_lt_u32 s31, 32
	s_cselect_b32 s34, -1, 0
	s_delay_alu instid0(SALU_CYCLE_1) | instskip(SKIP_3) | instid1(VALU_DEP_1)
	s_cmp_lg_u32 s34, 0
	s_addc_u32 s31, s31, 0
	s_waitcnt vmcnt(0) lgkmcnt(0)
	v_lshrrev_b32_e32 v150, 16, v21
	v_and_b32_e32 v148, 0xff, v150
	s_delay_alu instid0(VALU_DEP_1) | instskip(NEXT) | instid1(VALU_DEP_1)
	v_cmp_ne_u16_e64 vcc_lo, 0, v148
	s_or_b32 s30, vcc_lo, s30
	s_delay_alu instid0(SALU_CYCLE_1)
	s_and_not1_b32 exec_lo, exec_lo, s30
	s_cbranch_execnz .LBB501_126
; %bb.129:
	s_or_b32 exec_lo, exec_lo, s30
.LBB501_130:
	s_delay_alu instid0(SALU_CYCLE_1)
	s_or_b32 exec_lo, exec_lo, vcc_hi
	v_cmp_ne_u32_e32 vcc_lo, 31, v147
	v_and_b32_e32 v20, 0xffff, v21
	v_and_b32_e32 v149, 0xff, v150
	s_mov_b32 vcc_hi, exec_lo
	v_add_co_ci_u32_e32 v19, vcc_lo, 0, v147, vcc_lo
	s_delay_alu instid0(VALU_DEP_2) | instskip(SKIP_1) | instid1(VALU_DEP_3)
	v_cmp_eq_u16_e64 vcc_lo, 2, v149
	v_lshlrev_b32_e64 v149, v147, -1
	v_lshlrev_b32_e32 v148, 2, v19
	s_delay_alu instid0(VALU_DEP_2) | instskip(SKIP_2) | instid1(VALU_DEP_1)
	v_and_or_b32 v19, vcc_lo, v149, 0x80000000
	ds_bpermute_b32 v151, v148, v20
	v_ctz_i32_b32_e32 v19, v19
	v_cmpx_lt_u32_e64 v147, v19
	s_cbranch_execz .LBB501_134
; %bb.131:
	s_waitcnt lgkmcnt(0)
	v_lshlrev_b32_e32 v21, 16, v151
	s_delay_alu instid0(VALU_DEP_1) | instskip(SKIP_2) | instid1(VALU_DEP_2)
	v_max_f32_e32 v160, v21, v21
	v_lshlrev_b32_e32 v20, 16, v20
	v_cmp_u_f32_e32 vcc_lo, v21, v21
	v_max_f32_e32 v151, v20, v20
	s_delay_alu instid0(VALU_DEP_1) | instskip(NEXT) | instid1(VALU_DEP_1)
	v_min_f32_e32 v161, v160, v151
	v_dual_max_f32 v151, v160, v151 :: v_dual_cndmask_b32 v160, v161, v21
	s_delay_alu instid0(VALU_DEP_1) | instskip(SKIP_1) | instid1(VALU_DEP_3)
	v_cndmask_b32_e32 v161, v151, v21, vcc_lo
	v_cmp_u_f32_e32 vcc_lo, v20, v20
	v_cndmask_b32_e32 v151, v160, v20, vcc_lo
	s_delay_alu instid0(VALU_DEP_3) | instskip(NEXT) | instid1(VALU_DEP_2)
	v_cndmask_b32_e32 v20, v161, v20, vcc_lo
	v_cmp_class_f32_e64 s30, v151, 0x1f8
	s_delay_alu instid0(VALU_DEP_2) | instskip(NEXT) | instid1(VALU_DEP_2)
	v_cmp_neq_f32_e32 vcc_lo, v151, v20
	s_or_b32 vcc_lo, vcc_lo, s30
	s_delay_alu instid0(SALU_CYCLE_1)
	s_and_saveexec_b32 s30, vcc_lo
	s_cbranch_execz .LBB501_133
; %bb.132:
	v_sub_f32_e32 v21, v151, v20
	s_mov_b32 s31, 0x3e9b6dac
	s_delay_alu instid0(VALU_DEP_1) | instskip(SKIP_1) | instid1(VALU_DEP_2)
	v_mul_f32_e32 v151, 0x3fb8aa3b, v21
	v_cmp_ngt_f32_e32 vcc_lo, 0xc2ce8ed0, v21
	v_fma_f32 v160, 0x3fb8aa3b, v21, -v151
	v_rndne_f32_e32 v161, v151
	s_delay_alu instid0(VALU_DEP_1) | instskip(NEXT) | instid1(VALU_DEP_1)
	v_dual_fmamk_f32 v160, v21, 0x32a5705f, v160 :: v_dual_sub_f32 v151, v151, v161
	v_add_f32_e32 v151, v151, v160
	v_cvt_i32_f32_e32 v160, v161
	s_delay_alu instid0(VALU_DEP_2) | instskip(SKIP_2) | instid1(VALU_DEP_1)
	v_exp_f32_e32 v151, v151
	s_waitcnt_depctr 0xfff
	v_ldexp_f32 v151, v151, v160
	v_cndmask_b32_e32 v151, 0, v151, vcc_lo
	v_cmp_nlt_f32_e32 vcc_lo, 0x42b17218, v21
	s_delay_alu instid0(VALU_DEP_2) | instskip(NEXT) | instid1(VALU_DEP_1)
	v_cndmask_b32_e32 v21, 0x7f800000, v151, vcc_lo
	v_add_f32_e32 v151, 1.0, v21
	s_delay_alu instid0(VALU_DEP_1) | instskip(NEXT) | instid1(VALU_DEP_1)
	v_cvt_f64_f32_e32 v[160:161], v151
	v_frexp_exp_i32_f64_e32 v160, v[160:161]
	v_frexp_mant_f32_e32 v161, v151
	s_delay_alu instid0(VALU_DEP_1) | instskip(SKIP_1) | instid1(VALU_DEP_1)
	v_cmp_gt_f32_e32 vcc_lo, 0x3f2aaaab, v161
	v_add_f32_e32 v161, -1.0, v151
	v_sub_f32_e32 v163, v161, v151
	s_delay_alu instid0(VALU_DEP_1) | instskip(SKIP_1) | instid1(VALU_DEP_1)
	v_add_f32_e32 v163, 1.0, v163
	v_subrev_co_ci_u32_e32 v160, vcc_lo, 0, v160, vcc_lo
	v_sub_nc_u32_e32 v162, 0, v160
	v_cvt_f32_i32_e32 v160, v160
	s_delay_alu instid0(VALU_DEP_2) | instskip(NEXT) | instid1(VALU_DEP_1)
	v_ldexp_f32 v151, v151, v162
	v_dual_sub_f32 v161, v21, v161 :: v_dual_add_f32 v164, 1.0, v151
	s_delay_alu instid0(VALU_DEP_1) | instskip(NEXT) | instid1(VALU_DEP_1)
	v_add_f32_e32 v161, v161, v163
	v_ldexp_f32 v161, v161, v162
	s_delay_alu instid0(VALU_DEP_3) | instskip(NEXT) | instid1(VALU_DEP_1)
	v_dual_add_f32 v162, -1.0, v151 :: v_dual_add_f32 v163, -1.0, v164
	v_add_f32_e32 v165, 1.0, v162
	s_delay_alu instid0(VALU_DEP_2) | instskip(NEXT) | instid1(VALU_DEP_2)
	v_sub_f32_e32 v163, v151, v163
	v_sub_f32_e32 v151, v151, v165
	s_delay_alu instid0(VALU_DEP_2) | instskip(NEXT) | instid1(VALU_DEP_2)
	v_add_f32_e32 v163, v161, v163
	v_add_f32_e32 v151, v161, v151
	s_delay_alu instid0(VALU_DEP_2) | instskip(NEXT) | instid1(VALU_DEP_2)
	v_add_f32_e32 v165, v164, v163
	v_add_f32_e32 v166, v162, v151
	s_delay_alu instid0(VALU_DEP_2) | instskip(SKIP_1) | instid1(VALU_DEP_2)
	v_rcp_f32_e32 v161, v165
	v_sub_f32_e32 v164, v164, v165
	v_sub_f32_e32 v162, v162, v166
	v_cmp_eq_f32_e32 vcc_lo, 0x7f800000, v21
	s_delay_alu instid0(VALU_DEP_3) | instskip(NEXT) | instid1(VALU_DEP_3)
	v_add_f32_e32 v163, v163, v164
	v_add_f32_e32 v151, v151, v162
	s_waitcnt_depctr 0xfff
	v_mul_f32_e32 v167, v166, v161
	s_delay_alu instid0(VALU_DEP_1) | instskip(NEXT) | instid1(VALU_DEP_1)
	v_mul_f32_e32 v176, v165, v167
	v_fma_f32 v164, v167, v165, -v176
	s_delay_alu instid0(VALU_DEP_1) | instskip(NEXT) | instid1(VALU_DEP_1)
	v_fmac_f32_e32 v164, v167, v163
	v_add_f32_e32 v177, v176, v164
	s_delay_alu instid0(VALU_DEP_1) | instskip(SKIP_1) | instid1(VALU_DEP_2)
	v_sub_f32_e32 v178, v166, v177
	v_sub_f32_e32 v162, v177, v176
	;; [unrolled: 1-line block ×3, first 2 shown]
	s_delay_alu instid0(VALU_DEP_2) | instskip(NEXT) | instid1(VALU_DEP_2)
	v_sub_f32_e32 v162, v162, v164
	v_sub_f32_e32 v166, v166, v177
	s_delay_alu instid0(VALU_DEP_1) | instskip(NEXT) | instid1(VALU_DEP_1)
	v_add_f32_e32 v151, v151, v166
	v_add_f32_e32 v151, v162, v151
	s_delay_alu instid0(VALU_DEP_1) | instskip(NEXT) | instid1(VALU_DEP_1)
	v_add_f32_e32 v162, v178, v151
	v_mul_f32_e32 v164, v161, v162
	s_delay_alu instid0(VALU_DEP_1) | instskip(NEXT) | instid1(VALU_DEP_1)
	v_dual_sub_f32 v177, v178, v162 :: v_dual_mul_f32 v166, v165, v164
	v_add_f32_e32 v151, v151, v177
	s_delay_alu instid0(VALU_DEP_2) | instskip(NEXT) | instid1(VALU_DEP_1)
	v_fma_f32 v165, v164, v165, -v166
	v_fmac_f32_e32 v165, v164, v163
	s_delay_alu instid0(VALU_DEP_1) | instskip(NEXT) | instid1(VALU_DEP_1)
	v_add_f32_e32 v163, v166, v165
	v_sub_f32_e32 v176, v162, v163
	v_sub_f32_e32 v166, v163, v166
	s_delay_alu instid0(VALU_DEP_2) | instskip(NEXT) | instid1(VALU_DEP_1)
	v_sub_f32_e32 v162, v162, v176
	v_sub_f32_e32 v162, v162, v163
	s_delay_alu instid0(VALU_DEP_3) | instskip(NEXT) | instid1(VALU_DEP_2)
	v_sub_f32_e32 v163, v166, v165
	v_add_f32_e32 v151, v151, v162
	v_add_f32_e32 v162, v167, v164
	s_delay_alu instid0(VALU_DEP_2) | instskip(NEXT) | instid1(VALU_DEP_2)
	v_add_f32_e32 v151, v163, v151
	v_sub_f32_e32 v163, v162, v167
	s_delay_alu instid0(VALU_DEP_2) | instskip(NEXT) | instid1(VALU_DEP_2)
	v_add_f32_e32 v151, v176, v151
	v_sub_f32_e32 v163, v164, v163
	s_delay_alu instid0(VALU_DEP_2) | instskip(NEXT) | instid1(VALU_DEP_1)
	v_mul_f32_e32 v151, v161, v151
	v_add_f32_e32 v151, v163, v151
	s_delay_alu instid0(VALU_DEP_1) | instskip(NEXT) | instid1(VALU_DEP_1)
	v_add_f32_e32 v161, v162, v151
	v_mul_f32_e32 v163, v161, v161
	s_delay_alu instid0(VALU_DEP_1) | instskip(SKIP_2) | instid1(VALU_DEP_3)
	v_fmaak_f32 v164, s31, v163, 0x3ecc95a3
	v_mul_f32_e32 v165, v161, v163
	v_cmp_gt_f32_e64 s31, 0x33800000, |v21|
	v_fmaak_f32 v163, v163, v164, 0x3f2aaada
	v_ldexp_f32 v164, v161, 1
	v_sub_f32_e32 v161, v161, v162
	s_delay_alu instid0(VALU_DEP_4) | instskip(NEXT) | instid1(VALU_DEP_3)
	s_or_b32 vcc_lo, vcc_lo, s31
	v_mul_f32_e32 v163, v165, v163
	v_mul_f32_e32 v165, 0x3f317218, v160
	s_delay_alu instid0(VALU_DEP_2) | instskip(NEXT) | instid1(VALU_DEP_1)
	v_dual_sub_f32 v151, v151, v161 :: v_dual_add_f32 v162, v164, v163
	v_ldexp_f32 v151, v151, 1
	s_delay_alu instid0(VALU_DEP_2) | instskip(NEXT) | instid1(VALU_DEP_4)
	v_sub_f32_e32 v161, v162, v164
	v_fma_f32 v164, 0x3f317218, v160, -v165
	s_delay_alu instid0(VALU_DEP_1) | instskip(NEXT) | instid1(VALU_DEP_1)
	v_dual_sub_f32 v161, v163, v161 :: v_dual_fmamk_f32 v160, v160, 0xb102e308, v164
	v_add_f32_e32 v151, v151, v161
	s_delay_alu instid0(VALU_DEP_2) | instskip(NEXT) | instid1(VALU_DEP_2)
	v_add_f32_e32 v161, v165, v160
	v_add_f32_e32 v163, v162, v151
	s_delay_alu instid0(VALU_DEP_2) | instskip(NEXT) | instid1(VALU_DEP_2)
	v_sub_f32_e32 v165, v161, v165
	v_add_f32_e32 v164, v161, v163
	v_sub_f32_e32 v162, v163, v162
	s_delay_alu instid0(VALU_DEP_3) | instskip(NEXT) | instid1(VALU_DEP_2)
	v_sub_f32_e32 v160, v160, v165
	v_dual_sub_f32 v166, v164, v161 :: v_dual_sub_f32 v151, v151, v162
	s_delay_alu instid0(VALU_DEP_1) | instskip(NEXT) | instid1(VALU_DEP_2)
	v_sub_f32_e32 v167, v164, v166
	v_dual_sub_f32 v162, v163, v166 :: v_dual_add_f32 v163, v160, v151
	s_delay_alu instid0(VALU_DEP_2) | instskip(NEXT) | instid1(VALU_DEP_1)
	v_sub_f32_e32 v161, v161, v167
	v_dual_add_f32 v161, v162, v161 :: v_dual_sub_f32 v162, v163, v160
	s_delay_alu instid0(VALU_DEP_1) | instskip(NEXT) | instid1(VALU_DEP_2)
	v_add_f32_e32 v161, v163, v161
	v_sub_f32_e32 v163, v163, v162
	v_sub_f32_e32 v151, v151, v162
	s_delay_alu instid0(VALU_DEP_3) | instskip(NEXT) | instid1(VALU_DEP_3)
	v_add_f32_e32 v165, v164, v161
	v_sub_f32_e32 v160, v160, v163
	s_delay_alu instid0(VALU_DEP_2) | instskip(NEXT) | instid1(VALU_DEP_1)
	v_sub_f32_e32 v162, v165, v164
	v_dual_add_f32 v151, v151, v160 :: v_dual_sub_f32 v160, v161, v162
	s_delay_alu instid0(VALU_DEP_1) | instskip(NEXT) | instid1(VALU_DEP_1)
	v_add_f32_e32 v151, v151, v160
	v_add_f32_e32 v151, v165, v151
	s_delay_alu instid0(VALU_DEP_1) | instskip(NEXT) | instid1(VALU_DEP_1)
	v_cndmask_b32_e32 v21, v151, v21, vcc_lo
	v_add_f32_e32 v21, v20, v21
.LBB501_133:
	s_or_b32 exec_lo, exec_lo, s30
	s_delay_alu instid0(VALU_DEP_1) | instskip(SKIP_1) | instid1(VALU_DEP_2)
	v_bfe_u32 v20, v21, 16, 1
	v_cmp_o_f32_e32 vcc_lo, v21, v21
	v_add3_u32 v20, v21, v20, 0x7fff
	s_delay_alu instid0(VALU_DEP_1) | instskip(NEXT) | instid1(VALU_DEP_1)
	v_lshrrev_b32_e32 v20, 16, v20
	v_cndmask_b32_e32 v21, 0x7fc0, v20, vcc_lo
	s_delay_alu instid0(VALU_DEP_1)
	v_and_b32_e32 v20, 0xffff, v21
.LBB501_134:
	s_or_b32 exec_lo, exec_lo, vcc_hi
	v_cmp_gt_u32_e32 vcc_lo, 30, v147
	v_add_nc_u32_e32 v160, 2, v147
	s_mov_b32 vcc_hi, exec_lo
	s_waitcnt lgkmcnt(0)
	v_cndmask_b32_e64 v151, 0, 1, vcc_lo
	s_delay_alu instid0(VALU_DEP_1) | instskip(NEXT) | instid1(VALU_DEP_1)
	v_lshlrev_b32_e32 v151, 1, v151
	v_add_lshl_u32 v151, v151, v147, 2
	ds_bpermute_b32 v161, v151, v20
	v_cmpx_le_u32_e64 v160, v19
	s_cbranch_execz .LBB501_138
; %bb.135:
	s_waitcnt lgkmcnt(0)
	v_lshlrev_b32_e32 v21, 16, v161
	s_delay_alu instid0(VALU_DEP_1) | instskip(SKIP_2) | instid1(VALU_DEP_2)
	v_max_f32_e32 v162, v21, v21
	v_lshlrev_b32_e32 v20, 16, v20
	v_cmp_u_f32_e32 vcc_lo, v21, v21
	v_max_f32_e32 v161, v20, v20
	s_delay_alu instid0(VALU_DEP_1) | instskip(SKIP_1) | instid1(VALU_DEP_2)
	v_min_f32_e32 v163, v162, v161
	v_max_f32_e32 v161, v162, v161
	v_cndmask_b32_e32 v162, v163, v21, vcc_lo
	s_delay_alu instid0(VALU_DEP_2) | instskip(SKIP_1) | instid1(VALU_DEP_3)
	v_cndmask_b32_e32 v163, v161, v21, vcc_lo
	v_cmp_u_f32_e32 vcc_lo, v20, v20
	v_cndmask_b32_e32 v161, v162, v20, vcc_lo
	s_delay_alu instid0(VALU_DEP_3) | instskip(NEXT) | instid1(VALU_DEP_2)
	v_cndmask_b32_e32 v20, v163, v20, vcc_lo
	v_cmp_class_f32_e64 s30, v161, 0x1f8
	s_delay_alu instid0(VALU_DEP_2) | instskip(NEXT) | instid1(VALU_DEP_2)
	v_cmp_neq_f32_e32 vcc_lo, v161, v20
	s_or_b32 vcc_lo, vcc_lo, s30
	s_delay_alu instid0(SALU_CYCLE_1)
	s_and_saveexec_b32 s30, vcc_lo
	s_cbranch_execz .LBB501_137
; %bb.136:
	v_sub_f32_e32 v21, v161, v20
	s_mov_b32 s31, 0x3e9b6dac
	s_delay_alu instid0(VALU_DEP_1) | instskip(SKIP_1) | instid1(VALU_DEP_2)
	v_mul_f32_e32 v161, 0x3fb8aa3b, v21
	v_cmp_ngt_f32_e32 vcc_lo, 0xc2ce8ed0, v21
	v_fma_f32 v162, 0x3fb8aa3b, v21, -v161
	v_rndne_f32_e32 v163, v161
	s_delay_alu instid0(VALU_DEP_2) | instskip(NEXT) | instid1(VALU_DEP_2)
	v_fmamk_f32 v162, v21, 0x32a5705f, v162
	v_sub_f32_e32 v161, v161, v163
	s_delay_alu instid0(VALU_DEP_1) | instskip(SKIP_1) | instid1(VALU_DEP_2)
	v_add_f32_e32 v161, v161, v162
	v_cvt_i32_f32_e32 v162, v163
	v_exp_f32_e32 v161, v161
	s_waitcnt_depctr 0xfff
	v_ldexp_f32 v161, v161, v162
	s_delay_alu instid0(VALU_DEP_1) | instskip(SKIP_1) | instid1(VALU_DEP_2)
	v_cndmask_b32_e32 v161, 0, v161, vcc_lo
	v_cmp_nlt_f32_e32 vcc_lo, 0x42b17218, v21
	v_cndmask_b32_e32 v21, 0x7f800000, v161, vcc_lo
	s_delay_alu instid0(VALU_DEP_1) | instskip(NEXT) | instid1(VALU_DEP_1)
	v_add_f32_e32 v163, 1.0, v21
	v_cvt_f64_f32_e32 v[161:162], v163
	s_delay_alu instid0(VALU_DEP_1) | instskip(SKIP_1) | instid1(VALU_DEP_1)
	v_frexp_exp_i32_f64_e32 v161, v[161:162]
	v_frexp_mant_f32_e32 v162, v163
	v_cmp_gt_f32_e32 vcc_lo, 0x3f2aaaab, v162
	v_add_f32_e32 v162, -1.0, v163
	s_delay_alu instid0(VALU_DEP_1) | instskip(NEXT) | instid1(VALU_DEP_1)
	v_dual_sub_f32 v165, v162, v163 :: v_dual_sub_f32 v162, v21, v162
	v_add_f32_e32 v165, 1.0, v165
	s_delay_alu instid0(VALU_DEP_1) | instskip(SKIP_1) | instid1(VALU_DEP_1)
	v_add_f32_e32 v162, v162, v165
	v_subrev_co_ci_u32_e32 v161, vcc_lo, 0, v161, vcc_lo
	v_sub_nc_u32_e32 v164, 0, v161
	v_cvt_f32_i32_e32 v161, v161
	s_delay_alu instid0(VALU_DEP_2) | instskip(SKIP_1) | instid1(VALU_DEP_2)
	v_ldexp_f32 v163, v163, v164
	v_ldexp_f32 v162, v162, v164
	v_add_f32_e32 v166, 1.0, v163
	v_add_f32_e32 v164, -1.0, v163
	v_cmp_eq_f32_e32 vcc_lo, 0x7f800000, v21
	s_delay_alu instid0(VALU_DEP_3) | instskip(NEXT) | instid1(VALU_DEP_3)
	v_add_f32_e32 v165, -1.0, v166
	v_add_f32_e32 v167, 1.0, v164
	s_delay_alu instid0(VALU_DEP_2) | instskip(NEXT) | instid1(VALU_DEP_2)
	v_sub_f32_e32 v165, v163, v165
	v_sub_f32_e32 v163, v163, v167
	s_delay_alu instid0(VALU_DEP_2) | instskip(NEXT) | instid1(VALU_DEP_2)
	v_add_f32_e32 v165, v162, v165
	v_add_f32_e32 v162, v162, v163
	s_delay_alu instid0(VALU_DEP_1) | instskip(NEXT) | instid1(VALU_DEP_1)
	v_add_f32_e32 v176, v164, v162
	v_dual_sub_f32 v164, v164, v176 :: v_dual_add_f32 v167, v166, v165
	s_delay_alu instid0(VALU_DEP_1) | instskip(NEXT) | instid1(VALU_DEP_2)
	v_add_f32_e32 v162, v162, v164
	v_rcp_f32_e32 v163, v167
	v_sub_f32_e32 v166, v166, v167
	s_delay_alu instid0(VALU_DEP_1) | instskip(SKIP_2) | instid1(VALU_DEP_1)
	v_add_f32_e32 v165, v165, v166
	s_waitcnt_depctr 0xfff
	v_mul_f32_e32 v177, v176, v163
	v_mul_f32_e32 v178, v167, v177
	s_delay_alu instid0(VALU_DEP_1) | instskip(NEXT) | instid1(VALU_DEP_1)
	v_fma_f32 v166, v177, v167, -v178
	v_fmac_f32_e32 v166, v177, v165
	s_delay_alu instid0(VALU_DEP_1) | instskip(NEXT) | instid1(VALU_DEP_1)
	v_add_f32_e32 v179, v178, v166
	v_sub_f32_e32 v180, v176, v179
	v_sub_f32_e32 v164, v179, v178
	s_delay_alu instid0(VALU_DEP_2) | instskip(NEXT) | instid1(VALU_DEP_1)
	v_sub_f32_e32 v176, v176, v180
	v_sub_f32_e32 v176, v176, v179
	s_delay_alu instid0(VALU_DEP_3) | instskip(NEXT) | instid1(VALU_DEP_2)
	v_sub_f32_e32 v164, v164, v166
	v_add_f32_e32 v162, v162, v176
	s_delay_alu instid0(VALU_DEP_1) | instskip(NEXT) | instid1(VALU_DEP_1)
	v_add_f32_e32 v162, v164, v162
	v_add_f32_e32 v164, v180, v162
	s_delay_alu instid0(VALU_DEP_1) | instskip(NEXT) | instid1(VALU_DEP_1)
	v_mul_f32_e32 v166, v163, v164
	v_dual_sub_f32 v179, v180, v164 :: v_dual_mul_f32 v176, v167, v166
	s_delay_alu instid0(VALU_DEP_1) | instskip(NEXT) | instid1(VALU_DEP_2)
	v_add_f32_e32 v162, v162, v179
	v_fma_f32 v167, v166, v167, -v176
	s_delay_alu instid0(VALU_DEP_1) | instskip(NEXT) | instid1(VALU_DEP_1)
	v_fmac_f32_e32 v167, v166, v165
	v_add_f32_e32 v165, v176, v167
	s_delay_alu instid0(VALU_DEP_1) | instskip(NEXT) | instid1(VALU_DEP_1)
	v_sub_f32_e32 v178, v164, v165
	v_sub_f32_e32 v164, v164, v178
	s_delay_alu instid0(VALU_DEP_1) | instskip(NEXT) | instid1(VALU_DEP_1)
	v_sub_f32_e32 v164, v164, v165
	v_add_f32_e32 v162, v162, v164
	v_add_f32_e32 v164, v177, v166
	v_sub_f32_e32 v176, v165, v176
	s_delay_alu instid0(VALU_DEP_1) | instskip(NEXT) | instid1(VALU_DEP_1)
	v_sub_f32_e32 v165, v176, v167
	v_dual_add_f32 v162, v165, v162 :: v_dual_sub_f32 v165, v164, v177
	s_delay_alu instid0(VALU_DEP_1) | instskip(NEXT) | instid1(VALU_DEP_1)
	v_add_f32_e32 v162, v178, v162
	v_dual_sub_f32 v165, v166, v165 :: v_dual_mul_f32 v162, v163, v162
	s_delay_alu instid0(VALU_DEP_1) | instskip(NEXT) | instid1(VALU_DEP_1)
	v_add_f32_e32 v162, v165, v162
	v_add_f32_e32 v163, v164, v162
	s_delay_alu instid0(VALU_DEP_1) | instskip(NEXT) | instid1(VALU_DEP_1)
	v_mul_f32_e32 v165, v163, v163
	v_fmaak_f32 v166, s31, v165, 0x3ecc95a3
	v_mul_f32_e32 v167, v163, v165
	v_cmp_gt_f32_e64 s31, 0x33800000, |v21|
	s_delay_alu instid0(VALU_DEP_3) | instskip(SKIP_1) | instid1(VALU_DEP_3)
	v_fmaak_f32 v165, v165, v166, 0x3f2aaada
	v_ldexp_f32 v166, v163, 1
	s_or_b32 vcc_lo, vcc_lo, s31
	s_delay_alu instid0(VALU_DEP_2) | instskip(SKIP_1) | instid1(VALU_DEP_2)
	v_mul_f32_e32 v165, v167, v165
	v_mul_f32_e32 v167, 0x3f317218, v161
	v_dual_sub_f32 v163, v163, v164 :: v_dual_add_f32 v164, v166, v165
	s_delay_alu instid0(VALU_DEP_1) | instskip(NEXT) | instid1(VALU_DEP_3)
	v_dual_sub_f32 v162, v162, v163 :: v_dual_sub_f32 v163, v164, v166
	v_fma_f32 v166, 0x3f317218, v161, -v167
	s_delay_alu instid0(VALU_DEP_2) | instskip(NEXT) | instid1(VALU_DEP_3)
	v_ldexp_f32 v162, v162, 1
	v_sub_f32_e32 v163, v165, v163
	s_delay_alu instid0(VALU_DEP_1) | instskip(NEXT) | instid1(VALU_DEP_1)
	v_dual_fmamk_f32 v161, v161, 0xb102e308, v166 :: v_dual_add_f32 v162, v162, v163
	v_add_f32_e32 v163, v167, v161
	s_delay_alu instid0(VALU_DEP_1) | instskip(NEXT) | instid1(VALU_DEP_3)
	v_sub_f32_e32 v167, v163, v167
	v_add_f32_e32 v165, v164, v162
	s_delay_alu instid0(VALU_DEP_1) | instskip(SKIP_1) | instid1(VALU_DEP_2)
	v_dual_sub_f32 v161, v161, v167 :: v_dual_add_f32 v166, v163, v165
	v_sub_f32_e32 v164, v165, v164
	v_sub_f32_e32 v176, v166, v163
	s_delay_alu instid0(VALU_DEP_1) | instskip(NEXT) | instid1(VALU_DEP_1)
	v_sub_f32_e32 v177, v166, v176
	v_dual_sub_f32 v163, v163, v177 :: v_dual_sub_f32 v162, v162, v164
	v_sub_f32_e32 v164, v165, v176
	s_delay_alu instid0(VALU_DEP_1) | instskip(NEXT) | instid1(VALU_DEP_3)
	v_add_f32_e32 v163, v164, v163
	v_add_f32_e32 v165, v161, v162
	s_delay_alu instid0(VALU_DEP_1) | instskip(NEXT) | instid1(VALU_DEP_1)
	v_sub_f32_e32 v164, v165, v161
	v_dual_add_f32 v163, v165, v163 :: v_dual_sub_f32 v162, v162, v164
	s_delay_alu instid0(VALU_DEP_1) | instskip(NEXT) | instid1(VALU_DEP_1)
	v_add_f32_e32 v167, v166, v163
	v_dual_sub_f32 v165, v165, v164 :: v_dual_sub_f32 v164, v167, v166
	s_delay_alu instid0(VALU_DEP_1) | instskip(NEXT) | instid1(VALU_DEP_1)
	v_sub_f32_e32 v161, v161, v165
	v_dual_add_f32 v161, v162, v161 :: v_dual_sub_f32 v162, v163, v164
	s_delay_alu instid0(VALU_DEP_1) | instskip(NEXT) | instid1(VALU_DEP_1)
	v_add_f32_e32 v161, v161, v162
	v_add_f32_e32 v161, v167, v161
	s_delay_alu instid0(VALU_DEP_1) | instskip(NEXT) | instid1(VALU_DEP_1)
	v_cndmask_b32_e32 v21, v161, v21, vcc_lo
	v_add_f32_e32 v21, v20, v21
.LBB501_137:
	s_or_b32 exec_lo, exec_lo, s30
	s_delay_alu instid0(VALU_DEP_1) | instskip(SKIP_1) | instid1(VALU_DEP_2)
	v_bfe_u32 v20, v21, 16, 1
	v_cmp_o_f32_e32 vcc_lo, v21, v21
	v_add3_u32 v20, v21, v20, 0x7fff
	s_delay_alu instid0(VALU_DEP_1) | instskip(NEXT) | instid1(VALU_DEP_1)
	v_lshrrev_b32_e32 v20, 16, v20
	v_cndmask_b32_e32 v21, 0x7fc0, v20, vcc_lo
	s_delay_alu instid0(VALU_DEP_1)
	v_and_b32_e32 v20, 0xffff, v21
.LBB501_138:
	s_or_b32 exec_lo, exec_lo, vcc_hi
	v_cmp_gt_u32_e32 vcc_lo, 28, v147
	v_add_nc_u32_e32 v162, 4, v147
	s_mov_b32 vcc_hi, exec_lo
	s_waitcnt lgkmcnt(0)
	v_cndmask_b32_e64 v161, 0, 1, vcc_lo
	s_delay_alu instid0(VALU_DEP_1) | instskip(NEXT) | instid1(VALU_DEP_1)
	v_lshlrev_b32_e32 v161, 2, v161
	v_add_lshl_u32 v161, v161, v147, 2
	ds_bpermute_b32 v163, v161, v20
	v_cmpx_le_u32_e64 v162, v19
	s_cbranch_execz .LBB501_142
; %bb.139:
	s_waitcnt lgkmcnt(0)
	v_lshlrev_b32_e32 v21, 16, v163
	s_delay_alu instid0(VALU_DEP_1) | instskip(SKIP_2) | instid1(VALU_DEP_2)
	v_max_f32_e32 v164, v21, v21
	v_lshlrev_b32_e32 v20, 16, v20
	v_cmp_u_f32_e32 vcc_lo, v21, v21
	v_max_f32_e32 v163, v20, v20
	s_delay_alu instid0(VALU_DEP_1) | instskip(NEXT) | instid1(VALU_DEP_1)
	v_min_f32_e32 v165, v164, v163
	v_dual_max_f32 v163, v164, v163 :: v_dual_cndmask_b32 v164, v165, v21
	s_delay_alu instid0(VALU_DEP_1) | instskip(SKIP_1) | instid1(VALU_DEP_3)
	v_cndmask_b32_e32 v165, v163, v21, vcc_lo
	v_cmp_u_f32_e32 vcc_lo, v20, v20
	v_cndmask_b32_e32 v163, v164, v20, vcc_lo
	s_delay_alu instid0(VALU_DEP_3) | instskip(NEXT) | instid1(VALU_DEP_2)
	v_cndmask_b32_e32 v20, v165, v20, vcc_lo
	v_cmp_class_f32_e64 s30, v163, 0x1f8
	s_delay_alu instid0(VALU_DEP_2) | instskip(NEXT) | instid1(VALU_DEP_2)
	v_cmp_neq_f32_e32 vcc_lo, v163, v20
	s_or_b32 vcc_lo, vcc_lo, s30
	s_delay_alu instid0(SALU_CYCLE_1)
	s_and_saveexec_b32 s30, vcc_lo
	s_cbranch_execz .LBB501_141
; %bb.140:
	v_sub_f32_e32 v21, v163, v20
	s_mov_b32 s31, 0x3e9b6dac
	s_delay_alu instid0(VALU_DEP_1) | instskip(SKIP_1) | instid1(VALU_DEP_2)
	v_mul_f32_e32 v163, 0x3fb8aa3b, v21
	v_cmp_ngt_f32_e32 vcc_lo, 0xc2ce8ed0, v21
	v_fma_f32 v164, 0x3fb8aa3b, v21, -v163
	v_rndne_f32_e32 v165, v163
	s_delay_alu instid0(VALU_DEP_1) | instskip(NEXT) | instid1(VALU_DEP_1)
	v_dual_fmamk_f32 v164, v21, 0x32a5705f, v164 :: v_dual_sub_f32 v163, v163, v165
	v_add_f32_e32 v163, v163, v164
	v_cvt_i32_f32_e32 v164, v165
	s_delay_alu instid0(VALU_DEP_2) | instskip(SKIP_2) | instid1(VALU_DEP_1)
	v_exp_f32_e32 v163, v163
	s_waitcnt_depctr 0xfff
	v_ldexp_f32 v163, v163, v164
	v_cndmask_b32_e32 v163, 0, v163, vcc_lo
	v_cmp_nlt_f32_e32 vcc_lo, 0x42b17218, v21
	s_delay_alu instid0(VALU_DEP_2) | instskip(NEXT) | instid1(VALU_DEP_1)
	v_cndmask_b32_e32 v21, 0x7f800000, v163, vcc_lo
	v_add_f32_e32 v165, 1.0, v21
	s_delay_alu instid0(VALU_DEP_1) | instskip(NEXT) | instid1(VALU_DEP_1)
	v_cvt_f64_f32_e32 v[163:164], v165
	v_frexp_exp_i32_f64_e32 v163, v[163:164]
	v_frexp_mant_f32_e32 v164, v165
	s_delay_alu instid0(VALU_DEP_1) | instskip(SKIP_1) | instid1(VALU_DEP_1)
	v_cmp_gt_f32_e32 vcc_lo, 0x3f2aaaab, v164
	v_add_f32_e32 v164, -1.0, v165
	v_dual_sub_f32 v167, v164, v165 :: v_dual_sub_f32 v164, v21, v164
	s_delay_alu instid0(VALU_DEP_1) | instskip(NEXT) | instid1(VALU_DEP_1)
	v_add_f32_e32 v167, 1.0, v167
	v_add_f32_e32 v164, v164, v167
	v_subrev_co_ci_u32_e32 v163, vcc_lo, 0, v163, vcc_lo
	s_delay_alu instid0(VALU_DEP_1) | instskip(SKIP_1) | instid1(VALU_DEP_2)
	v_sub_nc_u32_e32 v166, 0, v163
	v_cvt_f32_i32_e32 v163, v163
	v_ldexp_f32 v165, v165, v166
	v_ldexp_f32 v164, v164, v166
	s_delay_alu instid0(VALU_DEP_2) | instskip(NEXT) | instid1(VALU_DEP_1)
	v_add_f32_e32 v176, 1.0, v165
	v_dual_add_f32 v166, -1.0, v165 :: v_dual_add_f32 v167, -1.0, v176
	s_delay_alu instid0(VALU_DEP_1) | instskip(NEXT) | instid1(VALU_DEP_2)
	v_add_f32_e32 v177, 1.0, v166
	v_sub_f32_e32 v167, v165, v167
	s_delay_alu instid0(VALU_DEP_2) | instskip(NEXT) | instid1(VALU_DEP_2)
	v_sub_f32_e32 v165, v165, v177
	v_add_f32_e32 v167, v164, v167
	s_delay_alu instid0(VALU_DEP_2) | instskip(SKIP_1) | instid1(VALU_DEP_2)
	v_add_f32_e32 v164, v164, v165
	v_cmp_eq_f32_e32 vcc_lo, 0x7f800000, v21
	v_add_f32_e32 v178, v166, v164
	s_delay_alu instid0(VALU_DEP_1) | instskip(NEXT) | instid1(VALU_DEP_1)
	v_dual_sub_f32 v166, v166, v178 :: v_dual_add_f32 v177, v176, v167
	v_add_f32_e32 v164, v164, v166
	s_delay_alu instid0(VALU_DEP_2) | instskip(SKIP_1) | instid1(VALU_DEP_1)
	v_rcp_f32_e32 v165, v177
	v_sub_f32_e32 v176, v176, v177
	v_add_f32_e32 v167, v167, v176
	s_waitcnt_depctr 0xfff
	v_mul_f32_e32 v179, v178, v165
	s_delay_alu instid0(VALU_DEP_1) | instskip(NEXT) | instid1(VALU_DEP_1)
	v_mul_f32_e32 v180, v177, v179
	v_fma_f32 v176, v179, v177, -v180
	s_delay_alu instid0(VALU_DEP_1) | instskip(NEXT) | instid1(VALU_DEP_1)
	v_fmac_f32_e32 v176, v179, v167
	v_add_f32_e32 v181, v180, v176
	s_delay_alu instid0(VALU_DEP_1) | instskip(SKIP_1) | instid1(VALU_DEP_2)
	v_sub_f32_e32 v182, v178, v181
	v_sub_f32_e32 v166, v181, v180
	;; [unrolled: 1-line block ×3, first 2 shown]
	s_delay_alu instid0(VALU_DEP_1) | instskip(NEXT) | instid1(VALU_DEP_3)
	v_sub_f32_e32 v178, v178, v181
	v_sub_f32_e32 v166, v166, v176
	s_delay_alu instid0(VALU_DEP_2) | instskip(NEXT) | instid1(VALU_DEP_1)
	v_add_f32_e32 v164, v164, v178
	v_add_f32_e32 v164, v166, v164
	s_delay_alu instid0(VALU_DEP_1) | instskip(NEXT) | instid1(VALU_DEP_1)
	v_add_f32_e32 v166, v182, v164
	v_mul_f32_e32 v176, v165, v166
	s_delay_alu instid0(VALU_DEP_1) | instskip(NEXT) | instid1(VALU_DEP_1)
	v_dual_sub_f32 v181, v182, v166 :: v_dual_mul_f32 v178, v177, v176
	v_add_f32_e32 v164, v164, v181
	s_delay_alu instid0(VALU_DEP_2) | instskip(NEXT) | instid1(VALU_DEP_1)
	v_fma_f32 v177, v176, v177, -v178
	v_fmac_f32_e32 v177, v176, v167
	s_delay_alu instid0(VALU_DEP_1) | instskip(NEXT) | instid1(VALU_DEP_1)
	v_add_f32_e32 v167, v178, v177
	v_sub_f32_e32 v180, v166, v167
	s_delay_alu instid0(VALU_DEP_1) | instskip(NEXT) | instid1(VALU_DEP_1)
	v_sub_f32_e32 v166, v166, v180
	v_sub_f32_e32 v166, v166, v167
	s_delay_alu instid0(VALU_DEP_1) | instskip(SKIP_2) | instid1(VALU_DEP_1)
	v_add_f32_e32 v164, v164, v166
	v_add_f32_e32 v166, v179, v176
	v_sub_f32_e32 v178, v167, v178
	v_sub_f32_e32 v167, v178, v177
	s_delay_alu instid0(VALU_DEP_1) | instskip(NEXT) | instid1(VALU_DEP_1)
	v_dual_add_f32 v164, v167, v164 :: v_dual_sub_f32 v167, v166, v179
	v_add_f32_e32 v164, v180, v164
	s_delay_alu instid0(VALU_DEP_1) | instskip(NEXT) | instid1(VALU_DEP_1)
	v_dual_sub_f32 v167, v176, v167 :: v_dual_mul_f32 v164, v165, v164
	v_add_f32_e32 v164, v167, v164
	s_delay_alu instid0(VALU_DEP_1) | instskip(NEXT) | instid1(VALU_DEP_1)
	v_add_f32_e32 v165, v166, v164
	v_mul_f32_e32 v167, v165, v165
	s_delay_alu instid0(VALU_DEP_1) | instskip(SKIP_2) | instid1(VALU_DEP_3)
	v_fmaak_f32 v176, s31, v167, 0x3ecc95a3
	v_mul_f32_e32 v177, v165, v167
	v_cmp_gt_f32_e64 s31, 0x33800000, |v21|
	v_fmaak_f32 v167, v167, v176, 0x3f2aaada
	v_ldexp_f32 v176, v165, 1
	s_delay_alu instid0(VALU_DEP_3) | instskip(NEXT) | instid1(VALU_DEP_2)
	s_or_b32 vcc_lo, vcc_lo, s31
	v_mul_f32_e32 v167, v177, v167
	v_mul_f32_e32 v177, 0x3f317218, v163
	s_delay_alu instid0(VALU_DEP_2) | instskip(NEXT) | instid1(VALU_DEP_1)
	v_dual_sub_f32 v165, v165, v166 :: v_dual_add_f32 v166, v176, v167
	v_dual_sub_f32 v164, v164, v165 :: v_dual_sub_f32 v165, v166, v176
	s_delay_alu instid0(VALU_DEP_3) | instskip(NEXT) | instid1(VALU_DEP_2)
	v_fma_f32 v176, 0x3f317218, v163, -v177
	v_ldexp_f32 v164, v164, 1
	s_delay_alu instid0(VALU_DEP_3) | instskip(NEXT) | instid1(VALU_DEP_1)
	v_sub_f32_e32 v165, v167, v165
	v_dual_fmamk_f32 v163, v163, 0xb102e308, v176 :: v_dual_add_f32 v164, v164, v165
	s_delay_alu instid0(VALU_DEP_1) | instskip(NEXT) | instid1(VALU_DEP_1)
	v_add_f32_e32 v165, v177, v163
	v_sub_f32_e32 v177, v165, v177
	s_delay_alu instid0(VALU_DEP_3) | instskip(NEXT) | instid1(VALU_DEP_1)
	v_add_f32_e32 v167, v166, v164
	v_dual_sub_f32 v163, v163, v177 :: v_dual_add_f32 v176, v165, v167
	v_sub_f32_e32 v166, v167, v166
	s_delay_alu instid0(VALU_DEP_2) | instskip(NEXT) | instid1(VALU_DEP_1)
	v_sub_f32_e32 v178, v176, v165
	v_sub_f32_e32 v179, v176, v178
	s_delay_alu instid0(VALU_DEP_1) | instskip(SKIP_1) | instid1(VALU_DEP_1)
	v_dual_sub_f32 v165, v165, v179 :: v_dual_sub_f32 v164, v164, v166
	v_sub_f32_e32 v166, v167, v178
	v_add_f32_e32 v165, v166, v165
	s_delay_alu instid0(VALU_DEP_3) | instskip(NEXT) | instid1(VALU_DEP_1)
	v_add_f32_e32 v167, v163, v164
	v_sub_f32_e32 v166, v167, v163
	s_delay_alu instid0(VALU_DEP_1) | instskip(NEXT) | instid1(VALU_DEP_1)
	v_dual_add_f32 v165, v167, v165 :: v_dual_sub_f32 v164, v164, v166
	v_add_f32_e32 v177, v176, v165
	s_delay_alu instid0(VALU_DEP_1) | instskip(NEXT) | instid1(VALU_DEP_1)
	v_dual_sub_f32 v167, v167, v166 :: v_dual_sub_f32 v166, v177, v176
	v_sub_f32_e32 v163, v163, v167
	s_delay_alu instid0(VALU_DEP_1) | instskip(NEXT) | instid1(VALU_DEP_1)
	v_dual_add_f32 v163, v164, v163 :: v_dual_sub_f32 v164, v165, v166
	v_add_f32_e32 v163, v163, v164
	s_delay_alu instid0(VALU_DEP_1) | instskip(NEXT) | instid1(VALU_DEP_1)
	v_add_f32_e32 v163, v177, v163
	v_cndmask_b32_e32 v21, v163, v21, vcc_lo
	s_delay_alu instid0(VALU_DEP_1)
	v_add_f32_e32 v21, v20, v21
.LBB501_141:
	s_or_b32 exec_lo, exec_lo, s30
	s_delay_alu instid0(VALU_DEP_1) | instskip(SKIP_1) | instid1(VALU_DEP_2)
	v_bfe_u32 v20, v21, 16, 1
	v_cmp_o_f32_e32 vcc_lo, v21, v21
	v_add3_u32 v20, v21, v20, 0x7fff
	s_delay_alu instid0(VALU_DEP_1) | instskip(NEXT) | instid1(VALU_DEP_1)
	v_lshrrev_b32_e32 v20, 16, v20
	v_cndmask_b32_e32 v21, 0x7fc0, v20, vcc_lo
	s_delay_alu instid0(VALU_DEP_1)
	v_and_b32_e32 v20, 0xffff, v21
.LBB501_142:
	s_or_b32 exec_lo, exec_lo, vcc_hi
	v_cmp_gt_u32_e32 vcc_lo, 24, v147
	v_add_nc_u32_e32 v164, 8, v147
	s_mov_b32 vcc_hi, exec_lo
	s_waitcnt lgkmcnt(0)
	v_cndmask_b32_e64 v163, 0, 1, vcc_lo
	s_delay_alu instid0(VALU_DEP_1) | instskip(NEXT) | instid1(VALU_DEP_1)
	v_lshlrev_b32_e32 v163, 3, v163
	v_add_lshl_u32 v163, v163, v147, 2
	ds_bpermute_b32 v165, v163, v20
	v_cmpx_le_u32_e64 v164, v19
	s_cbranch_execz .LBB501_146
; %bb.143:
	s_waitcnt lgkmcnt(0)
	v_lshlrev_b32_e32 v21, 16, v165
	s_delay_alu instid0(VALU_DEP_1) | instskip(SKIP_2) | instid1(VALU_DEP_2)
	v_max_f32_e32 v166, v21, v21
	v_lshlrev_b32_e32 v20, 16, v20
	v_cmp_u_f32_e32 vcc_lo, v21, v21
	v_max_f32_e32 v165, v20, v20
	s_delay_alu instid0(VALU_DEP_1) | instskip(SKIP_1) | instid1(VALU_DEP_2)
	v_min_f32_e32 v167, v166, v165
	v_max_f32_e32 v165, v166, v165
	v_cndmask_b32_e32 v166, v167, v21, vcc_lo
	s_delay_alu instid0(VALU_DEP_2) | instskip(SKIP_1) | instid1(VALU_DEP_3)
	v_cndmask_b32_e32 v167, v165, v21, vcc_lo
	v_cmp_u_f32_e32 vcc_lo, v20, v20
	v_cndmask_b32_e32 v165, v166, v20, vcc_lo
	s_delay_alu instid0(VALU_DEP_3) | instskip(NEXT) | instid1(VALU_DEP_2)
	v_cndmask_b32_e32 v20, v167, v20, vcc_lo
	v_cmp_class_f32_e64 s30, v165, 0x1f8
	s_delay_alu instid0(VALU_DEP_2) | instskip(NEXT) | instid1(VALU_DEP_2)
	v_cmp_neq_f32_e32 vcc_lo, v165, v20
	s_or_b32 vcc_lo, vcc_lo, s30
	s_delay_alu instid0(SALU_CYCLE_1)
	s_and_saveexec_b32 s30, vcc_lo
	s_cbranch_execz .LBB501_145
; %bb.144:
	v_sub_f32_e32 v21, v165, v20
	s_mov_b32 s31, 0x3e9b6dac
	s_delay_alu instid0(VALU_DEP_1) | instskip(SKIP_1) | instid1(VALU_DEP_2)
	v_mul_f32_e32 v165, 0x3fb8aa3b, v21
	v_cmp_ngt_f32_e32 vcc_lo, 0xc2ce8ed0, v21
	v_fma_f32 v166, 0x3fb8aa3b, v21, -v165
	v_rndne_f32_e32 v167, v165
	s_delay_alu instid0(VALU_DEP_2) | instskip(NEXT) | instid1(VALU_DEP_2)
	v_fmamk_f32 v166, v21, 0x32a5705f, v166
	v_sub_f32_e32 v165, v165, v167
	s_delay_alu instid0(VALU_DEP_1) | instskip(SKIP_1) | instid1(VALU_DEP_2)
	v_add_f32_e32 v165, v165, v166
	v_cvt_i32_f32_e32 v166, v167
	v_exp_f32_e32 v165, v165
	s_waitcnt_depctr 0xfff
	v_ldexp_f32 v165, v165, v166
	s_delay_alu instid0(VALU_DEP_1) | instskip(SKIP_1) | instid1(VALU_DEP_2)
	v_cndmask_b32_e32 v165, 0, v165, vcc_lo
	v_cmp_nlt_f32_e32 vcc_lo, 0x42b17218, v21
	v_cndmask_b32_e32 v21, 0x7f800000, v165, vcc_lo
	s_delay_alu instid0(VALU_DEP_1) | instskip(NEXT) | instid1(VALU_DEP_1)
	v_add_f32_e32 v167, 1.0, v21
	v_cvt_f64_f32_e32 v[165:166], v167
	s_delay_alu instid0(VALU_DEP_1) | instskip(SKIP_1) | instid1(VALU_DEP_1)
	v_frexp_exp_i32_f64_e32 v165, v[165:166]
	v_frexp_mant_f32_e32 v166, v167
	v_cmp_gt_f32_e32 vcc_lo, 0x3f2aaaab, v166
	v_add_f32_e32 v166, -1.0, v167
	s_delay_alu instid0(VALU_DEP_1) | instskip(NEXT) | instid1(VALU_DEP_1)
	v_dual_sub_f32 v177, v166, v167 :: v_dual_sub_f32 v166, v21, v166
	v_add_f32_e32 v177, 1.0, v177
	s_delay_alu instid0(VALU_DEP_1) | instskip(SKIP_1) | instid1(VALU_DEP_1)
	v_add_f32_e32 v166, v166, v177
	v_subrev_co_ci_u32_e32 v165, vcc_lo, 0, v165, vcc_lo
	v_sub_nc_u32_e32 v176, 0, v165
	v_cvt_f32_i32_e32 v165, v165
	s_delay_alu instid0(VALU_DEP_2) | instskip(SKIP_1) | instid1(VALU_DEP_2)
	v_ldexp_f32 v167, v167, v176
	v_ldexp_f32 v166, v166, v176
	v_add_f32_e32 v178, 1.0, v167
	v_add_f32_e32 v176, -1.0, v167
	v_cmp_eq_f32_e32 vcc_lo, 0x7f800000, v21
	s_delay_alu instid0(VALU_DEP_3) | instskip(NEXT) | instid1(VALU_DEP_3)
	v_add_f32_e32 v177, -1.0, v178
	v_add_f32_e32 v179, 1.0, v176
	s_delay_alu instid0(VALU_DEP_2) | instskip(NEXT) | instid1(VALU_DEP_2)
	v_sub_f32_e32 v177, v167, v177
	v_sub_f32_e32 v167, v167, v179
	s_delay_alu instid0(VALU_DEP_2) | instskip(NEXT) | instid1(VALU_DEP_2)
	v_add_f32_e32 v177, v166, v177
	v_add_f32_e32 v166, v166, v167
	s_delay_alu instid0(VALU_DEP_1) | instskip(NEXT) | instid1(VALU_DEP_1)
	v_add_f32_e32 v180, v176, v166
	v_dual_sub_f32 v176, v176, v180 :: v_dual_add_f32 v179, v178, v177
	s_delay_alu instid0(VALU_DEP_1) | instskip(NEXT) | instid1(VALU_DEP_2)
	v_add_f32_e32 v166, v166, v176
	v_rcp_f32_e32 v167, v179
	v_sub_f32_e32 v178, v178, v179
	s_delay_alu instid0(VALU_DEP_1) | instskip(SKIP_2) | instid1(VALU_DEP_1)
	v_add_f32_e32 v177, v177, v178
	s_waitcnt_depctr 0xfff
	v_mul_f32_e32 v181, v180, v167
	v_mul_f32_e32 v182, v179, v181
	s_delay_alu instid0(VALU_DEP_1) | instskip(NEXT) | instid1(VALU_DEP_1)
	v_fma_f32 v178, v181, v179, -v182
	v_fmac_f32_e32 v178, v181, v177
	s_delay_alu instid0(VALU_DEP_1) | instskip(NEXT) | instid1(VALU_DEP_1)
	v_add_f32_e32 v183, v182, v178
	v_sub_f32_e32 v192, v180, v183
	v_sub_f32_e32 v176, v183, v182
	s_delay_alu instid0(VALU_DEP_2) | instskip(NEXT) | instid1(VALU_DEP_1)
	v_sub_f32_e32 v180, v180, v192
	v_sub_f32_e32 v180, v180, v183
	s_delay_alu instid0(VALU_DEP_3) | instskip(NEXT) | instid1(VALU_DEP_2)
	v_sub_f32_e32 v176, v176, v178
	v_add_f32_e32 v166, v166, v180
	s_delay_alu instid0(VALU_DEP_1) | instskip(NEXT) | instid1(VALU_DEP_1)
	v_add_f32_e32 v166, v176, v166
	v_add_f32_e32 v176, v192, v166
	s_delay_alu instid0(VALU_DEP_1) | instskip(NEXT) | instid1(VALU_DEP_1)
	v_mul_f32_e32 v178, v167, v176
	v_dual_sub_f32 v183, v192, v176 :: v_dual_mul_f32 v180, v179, v178
	s_delay_alu instid0(VALU_DEP_1) | instskip(NEXT) | instid1(VALU_DEP_2)
	v_add_f32_e32 v166, v166, v183
	v_fma_f32 v179, v178, v179, -v180
	s_delay_alu instid0(VALU_DEP_1) | instskip(NEXT) | instid1(VALU_DEP_1)
	v_fmac_f32_e32 v179, v178, v177
	v_add_f32_e32 v177, v180, v179
	s_delay_alu instid0(VALU_DEP_1) | instskip(NEXT) | instid1(VALU_DEP_1)
	v_sub_f32_e32 v182, v176, v177
	v_sub_f32_e32 v176, v176, v182
	s_delay_alu instid0(VALU_DEP_1) | instskip(NEXT) | instid1(VALU_DEP_1)
	v_sub_f32_e32 v176, v176, v177
	v_add_f32_e32 v166, v166, v176
	v_add_f32_e32 v176, v181, v178
	v_sub_f32_e32 v180, v177, v180
	s_delay_alu instid0(VALU_DEP_1) | instskip(NEXT) | instid1(VALU_DEP_1)
	v_sub_f32_e32 v177, v180, v179
	v_dual_add_f32 v166, v177, v166 :: v_dual_sub_f32 v177, v176, v181
	s_delay_alu instid0(VALU_DEP_1) | instskip(NEXT) | instid1(VALU_DEP_1)
	v_add_f32_e32 v166, v182, v166
	v_dual_sub_f32 v177, v178, v177 :: v_dual_mul_f32 v166, v167, v166
	s_delay_alu instid0(VALU_DEP_1) | instskip(NEXT) | instid1(VALU_DEP_1)
	v_add_f32_e32 v166, v177, v166
	v_add_f32_e32 v167, v176, v166
	s_delay_alu instid0(VALU_DEP_1) | instskip(NEXT) | instid1(VALU_DEP_1)
	v_mul_f32_e32 v177, v167, v167
	v_fmaak_f32 v178, s31, v177, 0x3ecc95a3
	v_mul_f32_e32 v179, v167, v177
	v_cmp_gt_f32_e64 s31, 0x33800000, |v21|
	s_delay_alu instid0(VALU_DEP_3) | instskip(SKIP_1) | instid1(VALU_DEP_3)
	v_fmaak_f32 v177, v177, v178, 0x3f2aaada
	v_ldexp_f32 v178, v167, 1
	s_or_b32 vcc_lo, vcc_lo, s31
	s_delay_alu instid0(VALU_DEP_2) | instskip(SKIP_1) | instid1(VALU_DEP_2)
	v_mul_f32_e32 v177, v179, v177
	v_mul_f32_e32 v179, 0x3f317218, v165
	v_dual_sub_f32 v167, v167, v176 :: v_dual_add_f32 v176, v178, v177
	s_delay_alu instid0(VALU_DEP_1) | instskip(NEXT) | instid1(VALU_DEP_3)
	v_dual_sub_f32 v166, v166, v167 :: v_dual_sub_f32 v167, v176, v178
	v_fma_f32 v178, 0x3f317218, v165, -v179
	s_delay_alu instid0(VALU_DEP_2) | instskip(NEXT) | instid1(VALU_DEP_3)
	v_ldexp_f32 v166, v166, 1
	v_sub_f32_e32 v167, v177, v167
	s_delay_alu instid0(VALU_DEP_1) | instskip(NEXT) | instid1(VALU_DEP_1)
	v_dual_fmamk_f32 v165, v165, 0xb102e308, v178 :: v_dual_add_f32 v166, v166, v167
	v_add_f32_e32 v167, v179, v165
	s_delay_alu instid0(VALU_DEP_1) | instskip(NEXT) | instid1(VALU_DEP_3)
	v_sub_f32_e32 v179, v167, v179
	v_add_f32_e32 v177, v176, v166
	s_delay_alu instid0(VALU_DEP_1) | instskip(SKIP_1) | instid1(VALU_DEP_2)
	v_dual_sub_f32 v165, v165, v179 :: v_dual_add_f32 v178, v167, v177
	v_sub_f32_e32 v176, v177, v176
	v_sub_f32_e32 v180, v178, v167
	s_delay_alu instid0(VALU_DEP_1) | instskip(NEXT) | instid1(VALU_DEP_1)
	v_sub_f32_e32 v181, v178, v180
	v_dual_sub_f32 v167, v167, v181 :: v_dual_sub_f32 v166, v166, v176
	v_sub_f32_e32 v176, v177, v180
	s_delay_alu instid0(VALU_DEP_1) | instskip(NEXT) | instid1(VALU_DEP_3)
	v_add_f32_e32 v167, v176, v167
	v_add_f32_e32 v177, v165, v166
	s_delay_alu instid0(VALU_DEP_1) | instskip(NEXT) | instid1(VALU_DEP_1)
	v_sub_f32_e32 v176, v177, v165
	v_dual_add_f32 v167, v177, v167 :: v_dual_sub_f32 v166, v166, v176
	s_delay_alu instid0(VALU_DEP_1) | instskip(NEXT) | instid1(VALU_DEP_1)
	v_add_f32_e32 v179, v178, v167
	v_dual_sub_f32 v177, v177, v176 :: v_dual_sub_f32 v176, v179, v178
	s_delay_alu instid0(VALU_DEP_1) | instskip(NEXT) | instid1(VALU_DEP_1)
	v_sub_f32_e32 v165, v165, v177
	v_dual_add_f32 v165, v166, v165 :: v_dual_sub_f32 v166, v167, v176
	s_delay_alu instid0(VALU_DEP_1) | instskip(NEXT) | instid1(VALU_DEP_1)
	v_add_f32_e32 v165, v165, v166
	v_add_f32_e32 v165, v179, v165
	s_delay_alu instid0(VALU_DEP_1) | instskip(NEXT) | instid1(VALU_DEP_1)
	v_cndmask_b32_e32 v21, v165, v21, vcc_lo
	v_add_f32_e32 v21, v20, v21
.LBB501_145:
	s_or_b32 exec_lo, exec_lo, s30
	s_delay_alu instid0(VALU_DEP_1) | instskip(SKIP_1) | instid1(VALU_DEP_2)
	v_bfe_u32 v20, v21, 16, 1
	v_cmp_o_f32_e32 vcc_lo, v21, v21
	v_add3_u32 v20, v21, v20, 0x7fff
	s_delay_alu instid0(VALU_DEP_1) | instskip(NEXT) | instid1(VALU_DEP_1)
	v_lshrrev_b32_e32 v20, 16, v20
	v_cndmask_b32_e32 v21, 0x7fc0, v20, vcc_lo
	s_delay_alu instid0(VALU_DEP_1)
	v_and_b32_e32 v20, 0xffff, v21
.LBB501_146:
	s_or_b32 exec_lo, exec_lo, vcc_hi
	v_cmp_gt_u32_e32 vcc_lo, 16, v147
	v_add_nc_u32_e32 v167, 16, v147
	s_mov_b32 vcc_hi, exec_lo
	s_waitcnt lgkmcnt(0)
	v_cndmask_b32_e64 v165, 0, 1, vcc_lo
	s_delay_alu instid0(VALU_DEP_1) | instskip(NEXT) | instid1(VALU_DEP_1)
	v_lshlrev_b32_e32 v165, 4, v165
	v_add_lshl_u32 v165, v165, v147, 2
	ds_bpermute_b32 v166, v165, v20
	v_cmpx_le_u32_e64 v167, v19
	s_cbranch_execz .LBB501_150
; %bb.147:
	v_lshlrev_b32_e32 v19, 16, v20
	s_waitcnt lgkmcnt(0)
	s_delay_alu instid0(VALU_DEP_1) | instskip(NEXT) | instid1(VALU_DEP_1)
	v_dual_max_f32 v21, v19, v19 :: v_dual_lshlrev_b32 v20, 16, v166
	v_max_f32_e32 v166, v20, v20
	v_cmp_u_f32_e32 vcc_lo, v20, v20
	s_delay_alu instid0(VALU_DEP_2) | instskip(NEXT) | instid1(VALU_DEP_1)
	v_min_f32_e32 v176, v166, v21
	v_dual_max_f32 v21, v166, v21 :: v_dual_cndmask_b32 v166, v176, v20
	s_delay_alu instid0(VALU_DEP_1) | instskip(SKIP_1) | instid1(VALU_DEP_3)
	v_cndmask_b32_e32 v176, v21, v20, vcc_lo
	v_cmp_u_f32_e32 vcc_lo, v19, v19
	v_cndmask_b32_e32 v21, v166, v19, vcc_lo
	s_delay_alu instid0(VALU_DEP_3) | instskip(NEXT) | instid1(VALU_DEP_2)
	v_cndmask_b32_e32 v19, v176, v19, vcc_lo
	v_cmp_class_f32_e64 s30, v21, 0x1f8
	s_delay_alu instid0(VALU_DEP_2) | instskip(NEXT) | instid1(VALU_DEP_2)
	v_cmp_neq_f32_e32 vcc_lo, v21, v19
	s_or_b32 vcc_lo, vcc_lo, s30
	s_delay_alu instid0(SALU_CYCLE_1)
	s_and_saveexec_b32 s30, vcc_lo
	s_cbranch_execz .LBB501_149
; %bb.148:
	v_sub_f32_e32 v20, v21, v19
	s_mov_b32 s31, 0x3e9b6dac
	s_delay_alu instid0(VALU_DEP_1) | instskip(SKIP_1) | instid1(VALU_DEP_2)
	v_mul_f32_e32 v21, 0x3fb8aa3b, v20
	v_cmp_ngt_f32_e32 vcc_lo, 0xc2ce8ed0, v20
	v_fma_f32 v166, 0x3fb8aa3b, v20, -v21
	v_rndne_f32_e32 v176, v21
	s_delay_alu instid0(VALU_DEP_1) | instskip(NEXT) | instid1(VALU_DEP_1)
	v_dual_fmamk_f32 v166, v20, 0x32a5705f, v166 :: v_dual_sub_f32 v21, v21, v176
	v_add_f32_e32 v21, v21, v166
	v_cvt_i32_f32_e32 v166, v176
	s_delay_alu instid0(VALU_DEP_2) | instskip(SKIP_2) | instid1(VALU_DEP_1)
	v_exp_f32_e32 v21, v21
	s_waitcnt_depctr 0xfff
	v_ldexp_f32 v21, v21, v166
	v_cndmask_b32_e32 v21, 0, v21, vcc_lo
	v_cmp_nlt_f32_e32 vcc_lo, 0x42b17218, v20
	s_delay_alu instid0(VALU_DEP_2) | instskip(NEXT) | instid1(VALU_DEP_1)
	v_cndmask_b32_e32 v166, 0x7f800000, v21, vcc_lo
	v_add_f32_e32 v176, 1.0, v166
	s_delay_alu instid0(VALU_DEP_1) | instskip(NEXT) | instid1(VALU_DEP_1)
	v_cvt_f64_f32_e32 v[20:21], v176
	v_frexp_exp_i32_f64_e32 v20, v[20:21]
	v_frexp_mant_f32_e32 v21, v176
	s_delay_alu instid0(VALU_DEP_1) | instskip(SKIP_1) | instid1(VALU_DEP_1)
	v_cmp_gt_f32_e32 vcc_lo, 0x3f2aaaab, v21
	v_add_f32_e32 v21, -1.0, v176
	v_dual_sub_f32 v178, v21, v176 :: v_dual_sub_f32 v21, v166, v21
	v_subrev_co_ci_u32_e32 v20, vcc_lo, 0, v20, vcc_lo
	v_cmp_eq_f32_e32 vcc_lo, 0x7f800000, v166
	s_delay_alu instid0(VALU_DEP_2) | instskip(SKIP_1) | instid1(VALU_DEP_2)
	v_sub_nc_u32_e32 v177, 0, v20
	v_cvt_f32_i32_e32 v20, v20
	v_ldexp_f32 v176, v176, v177
	s_delay_alu instid0(VALU_DEP_1) | instskip(NEXT) | instid1(VALU_DEP_1)
	v_dual_add_f32 v178, 1.0, v178 :: v_dual_add_f32 v179, 1.0, v176
	v_dual_add_f32 v21, v21, v178 :: v_dual_add_f32 v178, -1.0, v179
	s_delay_alu instid0(VALU_DEP_1) | instskip(NEXT) | instid1(VALU_DEP_2)
	v_ldexp_f32 v21, v21, v177
	v_dual_add_f32 v177, -1.0, v176 :: v_dual_sub_f32 v178, v176, v178
	s_delay_alu instid0(VALU_DEP_1) | instskip(NEXT) | instid1(VALU_DEP_2)
	v_add_f32_e32 v180, 1.0, v177
	v_add_f32_e32 v178, v21, v178
	s_delay_alu instid0(VALU_DEP_2) | instskip(NEXT) | instid1(VALU_DEP_1)
	v_sub_f32_e32 v176, v176, v180
	v_dual_add_f32 v180, v179, v178 :: v_dual_add_f32 v21, v21, v176
	s_delay_alu instid0(VALU_DEP_1) | instskip(SKIP_1) | instid1(VALU_DEP_1)
	v_rcp_f32_e32 v176, v180
	v_sub_f32_e32 v179, v179, v180
	v_dual_add_f32 v181, v177, v21 :: v_dual_add_f32 v178, v178, v179
	s_delay_alu instid0(VALU_DEP_1) | instskip(SKIP_3) | instid1(VALU_DEP_2)
	v_sub_f32_e32 v177, v177, v181
	s_waitcnt_depctr 0xfff
	v_mul_f32_e32 v182, v181, v176
	v_add_f32_e32 v21, v21, v177
	v_mul_f32_e32 v183, v180, v182
	s_delay_alu instid0(VALU_DEP_1) | instskip(NEXT) | instid1(VALU_DEP_1)
	v_fma_f32 v179, v182, v180, -v183
	v_fmac_f32_e32 v179, v182, v178
	s_delay_alu instid0(VALU_DEP_1) | instskip(NEXT) | instid1(VALU_DEP_1)
	v_add_f32_e32 v192, v183, v179
	v_sub_f32_e32 v193, v181, v192
	v_sub_f32_e32 v177, v192, v183
	s_delay_alu instid0(VALU_DEP_2) | instskip(NEXT) | instid1(VALU_DEP_2)
	v_sub_f32_e32 v181, v181, v193
	v_sub_f32_e32 v177, v177, v179
	s_delay_alu instid0(VALU_DEP_2) | instskip(NEXT) | instid1(VALU_DEP_1)
	v_sub_f32_e32 v181, v181, v192
	v_add_f32_e32 v21, v21, v181
	s_delay_alu instid0(VALU_DEP_1) | instskip(NEXT) | instid1(VALU_DEP_1)
	v_add_f32_e32 v21, v177, v21
	v_add_f32_e32 v177, v193, v21
	s_delay_alu instid0(VALU_DEP_1) | instskip(NEXT) | instid1(VALU_DEP_1)
	v_mul_f32_e32 v179, v176, v177
	v_mul_f32_e32 v181, v180, v179
	s_delay_alu instid0(VALU_DEP_1) | instskip(NEXT) | instid1(VALU_DEP_1)
	v_fma_f32 v180, v179, v180, -v181
	v_fmac_f32_e32 v180, v179, v178
	v_sub_f32_e32 v192, v193, v177
	s_delay_alu instid0(VALU_DEP_2) | instskip(NEXT) | instid1(VALU_DEP_2)
	v_add_f32_e32 v178, v181, v180
	v_add_f32_e32 v21, v21, v192
	s_delay_alu instid0(VALU_DEP_2) | instskip(SKIP_1) | instid1(VALU_DEP_2)
	v_sub_f32_e32 v183, v177, v178
	v_sub_f32_e32 v181, v178, v181
	;; [unrolled: 1-line block ×3, first 2 shown]
	s_delay_alu instid0(VALU_DEP_1) | instskip(NEXT) | instid1(VALU_DEP_3)
	v_sub_f32_e32 v177, v177, v178
	v_sub_f32_e32 v178, v181, v180
	s_delay_alu instid0(VALU_DEP_2) | instskip(SKIP_1) | instid1(VALU_DEP_1)
	v_add_f32_e32 v21, v21, v177
	v_add_f32_e32 v177, v182, v179
	v_dual_add_f32 v21, v178, v21 :: v_dual_sub_f32 v178, v177, v182
	s_delay_alu instid0(VALU_DEP_1) | instskip(NEXT) | instid1(VALU_DEP_1)
	v_add_f32_e32 v21, v183, v21
	v_dual_sub_f32 v178, v179, v178 :: v_dual_mul_f32 v21, v176, v21
	s_delay_alu instid0(VALU_DEP_1) | instskip(NEXT) | instid1(VALU_DEP_1)
	v_add_f32_e32 v21, v178, v21
	v_add_f32_e32 v176, v177, v21
	s_delay_alu instid0(VALU_DEP_1) | instskip(NEXT) | instid1(VALU_DEP_1)
	v_mul_f32_e32 v178, v176, v176
	v_fmaak_f32 v179, s31, v178, 0x3ecc95a3
	v_mul_f32_e32 v180, v176, v178
	v_cmp_gt_f32_e64 s31, 0x33800000, |v166|
	s_delay_alu instid0(VALU_DEP_3) | instskip(SKIP_2) | instid1(VALU_DEP_4)
	v_fmaak_f32 v178, v178, v179, 0x3f2aaada
	v_ldexp_f32 v179, v176, 1
	v_sub_f32_e32 v176, v176, v177
	s_or_b32 vcc_lo, vcc_lo, s31
	s_delay_alu instid0(VALU_DEP_3) | instskip(SKIP_1) | instid1(VALU_DEP_3)
	v_mul_f32_e32 v178, v180, v178
	v_mul_f32_e32 v180, 0x3f317218, v20
	v_sub_f32_e32 v21, v21, v176
	s_delay_alu instid0(VALU_DEP_3) | instskip(NEXT) | instid1(VALU_DEP_2)
	v_add_f32_e32 v177, v179, v178
	v_ldexp_f32 v21, v21, 1
	s_delay_alu instid0(VALU_DEP_2) | instskip(SKIP_1) | instid1(VALU_DEP_2)
	v_sub_f32_e32 v176, v177, v179
	v_fma_f32 v179, 0x3f317218, v20, -v180
	v_sub_f32_e32 v176, v178, v176
	s_delay_alu instid0(VALU_DEP_1) | instskip(NEXT) | instid1(VALU_DEP_1)
	v_dual_fmamk_f32 v20, v20, 0xb102e308, v179 :: v_dual_add_f32 v21, v21, v176
	v_add_f32_e32 v176, v180, v20
	s_delay_alu instid0(VALU_DEP_2) | instskip(NEXT) | instid1(VALU_DEP_2)
	v_add_f32_e32 v178, v177, v21
	v_sub_f32_e32 v180, v176, v180
	s_delay_alu instid0(VALU_DEP_2) | instskip(NEXT) | instid1(VALU_DEP_2)
	v_add_f32_e32 v179, v176, v178
	v_sub_f32_e32 v20, v20, v180
	s_delay_alu instid0(VALU_DEP_2) | instskip(SKIP_1) | instid1(VALU_DEP_2)
	v_sub_f32_e32 v181, v179, v176
	v_sub_f32_e32 v177, v178, v177
	;; [unrolled: 1-line block ×3, first 2 shown]
	s_delay_alu instid0(VALU_DEP_2) | instskip(NEXT) | instid1(VALU_DEP_2)
	v_sub_f32_e32 v21, v21, v177
	v_dual_sub_f32 v177, v178, v181 :: v_dual_sub_f32 v176, v176, v182
	s_delay_alu instid0(VALU_DEP_2) | instskip(NEXT) | instid1(VALU_DEP_2)
	v_add_f32_e32 v178, v20, v21
	v_add_f32_e32 v176, v177, v176
	s_delay_alu instid0(VALU_DEP_2) | instskip(NEXT) | instid1(VALU_DEP_2)
	v_sub_f32_e32 v177, v178, v20
	v_add_f32_e32 v176, v178, v176
	s_delay_alu instid0(VALU_DEP_2) | instskip(NEXT) | instid1(VALU_DEP_2)
	v_sub_f32_e32 v178, v178, v177
	v_dual_sub_f32 v21, v21, v177 :: v_dual_add_f32 v180, v179, v176
	s_delay_alu instid0(VALU_DEP_2) | instskip(NEXT) | instid1(VALU_DEP_1)
	v_sub_f32_e32 v20, v20, v178
	v_dual_sub_f32 v177, v180, v179 :: v_dual_add_f32 v20, v21, v20
	s_delay_alu instid0(VALU_DEP_1) | instskip(NEXT) | instid1(VALU_DEP_1)
	v_sub_f32_e32 v21, v176, v177
	v_add_f32_e32 v20, v20, v21
	s_delay_alu instid0(VALU_DEP_1) | instskip(NEXT) | instid1(VALU_DEP_1)
	v_add_f32_e32 v20, v180, v20
	v_cndmask_b32_e32 v20, v20, v166, vcc_lo
	s_delay_alu instid0(VALU_DEP_1)
	v_add_f32_e32 v20, v19, v20
.LBB501_149:
	s_or_b32 exec_lo, exec_lo, s30
	s_delay_alu instid0(VALU_DEP_1) | instskip(SKIP_1) | instid1(VALU_DEP_2)
	v_bfe_u32 v19, v20, 16, 1
	v_cmp_o_f32_e32 vcc_lo, v20, v20
	v_add3_u32 v19, v20, v19, 0x7fff
	s_delay_alu instid0(VALU_DEP_1) | instskip(NEXT) | instid1(VALU_DEP_1)
	v_lshrrev_b32_e32 v19, 16, v19
	v_cndmask_b32_e32 v21, 0x7fc0, v19, vcc_lo
.LBB501_150:
	s_or_b32 exec_lo, exec_lo, vcc_hi
	v_mov_b32_e32 v19, 0
	s_mov_b32 s30, 0x3e9b6dac
	s_branch .LBB501_152
.LBB501_151:                            ;   in Loop: Header=BB501_152 Depth=1
                                        ; implicit-def: $vgpr21
                                        ; implicit-def: $vgpr150
	s_cbranch_execnz .LBB501_182
.LBB501_152:                            ; =>This Loop Header: Depth=1
                                        ;     Child Loop BB501_155 Depth 2
                                        ;       Child Loop BB501_156 Depth 3
	v_and_b32_e32 v20, 0xff, v150
	s_waitcnt lgkmcnt(0)
	s_delay_alu instid0(VALU_DEP_2) | instskip(NEXT) | instid1(VALU_DEP_2)
	v_mov_b32_e32 v166, v21
	v_cmp_ne_u16_e32 vcc_lo, 2, v20
	v_cndmask_b32_e64 v20, 0, 1, vcc_lo
	;;#ASMSTART
	;;#ASMEND
	s_delay_alu instid0(VALU_DEP_1)
	v_cmp_ne_u32_e32 vcc_lo, 0, v20
	s_cmp_lg_u32 vcc_lo, exec_lo
	s_cbranch_scc1 .LBB501_151
; %bb.153:                              ;   in Loop: Header=BB501_152 Depth=1
	v_lshlrev_b64 v[20:21], 2, v[18:19]
	s_mov_b32 vcc_hi, exec_lo
	s_delay_alu instid0(VALU_DEP_1) | instskip(NEXT) | instid1(VALU_DEP_2)
	v_add_co_u32 v20, vcc_lo, v14, v20
	v_add_co_ci_u32_e32 v21, vcc_lo, v15, v21, vcc_lo
	flat_load_b32 v176, v[20:21] glc
	s_waitcnt vmcnt(0) lgkmcnt(0)
	v_lshrrev_b32_e32 v150, 16, v176
	s_delay_alu instid0(VALU_DEP_1) | instskip(NEXT) | instid1(VALU_DEP_1)
	v_and_b32_e32 v177, 0xff, v150
	v_cmpx_eq_u16_e64 0, v177
	s_cbranch_execz .LBB501_159
; %bb.154:                              ;   in Loop: Header=BB501_152 Depth=1
	s_mov_b32 s34, 1
	s_mov_b32 s31, 0
	.p2align	6
.LBB501_155:                            ;   Parent Loop BB501_152 Depth=1
                                        ; =>  This Loop Header: Depth=2
                                        ;       Child Loop BB501_156 Depth 3
	s_max_u32 vcc_lo, s34, 1
.LBB501_156:                            ;   Parent Loop BB501_152 Depth=1
                                        ;     Parent Loop BB501_155 Depth=2
                                        ; =>    This Inner Loop Header: Depth=3
	s_delay_alu instid0(SALU_CYCLE_1)
	s_add_i32 vcc_lo, vcc_lo, -1
	s_sleep 1
	s_cmp_eq_u32 vcc_lo, 0
	s_cbranch_scc0 .LBB501_156
; %bb.157:                              ;   in Loop: Header=BB501_155 Depth=2
	flat_load_b32 v176, v[20:21] glc
	s_cmp_lt_u32 s34, 32
	s_cselect_b32 s35, -1, 0
	s_delay_alu instid0(SALU_CYCLE_1) | instskip(SKIP_3) | instid1(VALU_DEP_1)
	s_cmp_lg_u32 s35, 0
	s_addc_u32 s34, s34, 0
	s_waitcnt vmcnt(0) lgkmcnt(0)
	v_lshrrev_b32_e32 v150, 16, v176
	v_and_b32_e32 v177, 0xff, v150
	s_delay_alu instid0(VALU_DEP_1) | instskip(NEXT) | instid1(VALU_DEP_1)
	v_cmp_ne_u16_e64 vcc_lo, 0, v177
	s_or_b32 s31, vcc_lo, s31
	s_delay_alu instid0(SALU_CYCLE_1)
	s_and_not1_b32 exec_lo, exec_lo, s31
	s_cbranch_execnz .LBB501_155
; %bb.158:                              ;   in Loop: Header=BB501_152 Depth=1
	s_or_b32 exec_lo, exec_lo, s31
.LBB501_159:                            ;   in Loop: Header=BB501_152 Depth=1
	s_delay_alu instid0(SALU_CYCLE_1)
	s_or_b32 exec_lo, exec_lo, vcc_hi
	v_and_b32_e32 v21, 0xffff, v176
	v_and_b32_e32 v20, 0xff, v150
	ds_bpermute_b32 v177, v148, v21
	v_cmp_eq_u16_e32 vcc_lo, 2, v20
	s_mov_b32 vcc_hi, exec_lo
	v_and_or_b32 v20, vcc_lo, v149, 0x80000000
	s_delay_alu instid0(VALU_DEP_1) | instskip(NEXT) | instid1(VALU_DEP_1)
	v_ctz_i32_b32_e32 v20, v20
	v_cmpx_lt_u32_e64 v147, v20
	s_cbranch_execz .LBB501_163
; %bb.160:                              ;   in Loop: Header=BB501_152 Depth=1
	s_waitcnt lgkmcnt(0)
	v_lshlrev_b32_e32 v176, 16, v177
	s_delay_alu instid0(VALU_DEP_1) | instskip(SKIP_1) | instid1(VALU_DEP_2)
	v_dual_max_f32 v178, v176, v176 :: v_dual_lshlrev_b32 v21, 16, v21
	v_cmp_u_f32_e32 vcc_lo, v176, v176
	v_max_f32_e32 v177, v21, v21
	s_delay_alu instid0(VALU_DEP_1) | instskip(NEXT) | instid1(VALU_DEP_1)
	v_min_f32_e32 v179, v178, v177
	v_dual_max_f32 v177, v178, v177 :: v_dual_cndmask_b32 v178, v179, v176
	s_delay_alu instid0(VALU_DEP_1) | instskip(SKIP_1) | instid1(VALU_DEP_3)
	v_cndmask_b32_e32 v179, v177, v176, vcc_lo
	v_cmp_u_f32_e32 vcc_lo, v21, v21
	v_cndmask_b32_e32 v177, v178, v21, vcc_lo
	s_delay_alu instid0(VALU_DEP_3) | instskip(NEXT) | instid1(VALU_DEP_2)
	v_cndmask_b32_e32 v21, v179, v21, vcc_lo
	v_cmp_class_f32_e64 s31, v177, 0x1f8
	s_delay_alu instid0(VALU_DEP_2) | instskip(NEXT) | instid1(VALU_DEP_2)
	v_cmp_neq_f32_e32 vcc_lo, v177, v21
	s_or_b32 vcc_lo, vcc_lo, s31
	s_delay_alu instid0(SALU_CYCLE_1)
	s_and_saveexec_b32 s31, vcc_lo
	s_cbranch_execz .LBB501_162
; %bb.161:                              ;   in Loop: Header=BB501_152 Depth=1
	v_sub_f32_e32 v176, v177, v21
	s_delay_alu instid0(VALU_DEP_1) | instskip(SKIP_1) | instid1(VALU_DEP_2)
	v_mul_f32_e32 v177, 0x3fb8aa3b, v176
	v_cmp_ngt_f32_e32 vcc_lo, 0xc2ce8ed0, v176
	v_fma_f32 v178, 0x3fb8aa3b, v176, -v177
	v_rndne_f32_e32 v179, v177
	s_delay_alu instid0(VALU_DEP_1) | instskip(NEXT) | instid1(VALU_DEP_1)
	v_dual_fmac_f32 v178, 0x32a5705f, v176 :: v_dual_sub_f32 v177, v177, v179
	v_add_f32_e32 v177, v177, v178
	v_cvt_i32_f32_e32 v178, v179
	s_delay_alu instid0(VALU_DEP_2) | instskip(SKIP_2) | instid1(VALU_DEP_1)
	v_exp_f32_e32 v177, v177
	s_waitcnt_depctr 0xfff
	v_ldexp_f32 v177, v177, v178
	v_cndmask_b32_e32 v177, 0, v177, vcc_lo
	v_cmp_nlt_f32_e32 vcc_lo, 0x42b17218, v176
	s_delay_alu instid0(VALU_DEP_2) | instskip(NEXT) | instid1(VALU_DEP_1)
	v_cndmask_b32_e32 v178, 0x7f800000, v177, vcc_lo
	v_add_f32_e32 v179, 1.0, v178
	s_delay_alu instid0(VALU_DEP_1) | instskip(NEXT) | instid1(VALU_DEP_1)
	v_cvt_f64_f32_e32 v[176:177], v179
	v_frexp_exp_i32_f64_e32 v176, v[176:177]
	v_frexp_mant_f32_e32 v177, v179
	s_delay_alu instid0(VALU_DEP_1) | instskip(SKIP_2) | instid1(VALU_DEP_2)
	v_cmp_gt_f32_e32 vcc_lo, 0x3f2aaaab, v177
	v_add_f32_e32 v177, -1.0, v179
	v_cmp_gt_f32_e64 s34, 0x33800000, |v178|
	v_sub_f32_e32 v181, v177, v179
	v_sub_f32_e32 v177, v178, v177
	s_delay_alu instid0(VALU_DEP_2) | instskip(NEXT) | instid1(VALU_DEP_1)
	v_add_f32_e32 v181, 1.0, v181
	v_add_f32_e32 v177, v177, v181
	v_subrev_co_ci_u32_e32 v176, vcc_lo, 0, v176, vcc_lo
	v_cmp_eq_f32_e32 vcc_lo, 0x7f800000, v178
	s_delay_alu instid0(VALU_DEP_2) | instskip(SKIP_2) | instid1(VALU_DEP_2)
	v_sub_nc_u32_e32 v180, 0, v176
	v_cvt_f32_i32_e32 v176, v176
	s_or_b32 vcc_lo, vcc_lo, s34
	v_ldexp_f32 v179, v179, v180
	v_ldexp_f32 v177, v177, v180
	s_delay_alu instid0(VALU_DEP_2) | instskip(NEXT) | instid1(VALU_DEP_1)
	v_add_f32_e32 v182, 1.0, v179
	v_dual_add_f32 v180, -1.0, v179 :: v_dual_add_f32 v181, -1.0, v182
	s_delay_alu instid0(VALU_DEP_1) | instskip(NEXT) | instid1(VALU_DEP_2)
	v_add_f32_e32 v183, 1.0, v180
	v_sub_f32_e32 v181, v179, v181
	s_delay_alu instid0(VALU_DEP_2) | instskip(NEXT) | instid1(VALU_DEP_2)
	v_sub_f32_e32 v179, v179, v183
	v_add_f32_e32 v181, v177, v181
	s_delay_alu instid0(VALU_DEP_1) | instskip(NEXT) | instid1(VALU_DEP_3)
	v_add_f32_e32 v183, v182, v181
	v_add_f32_e32 v177, v177, v179
	s_delay_alu instid0(VALU_DEP_2) | instskip(NEXT) | instid1(VALU_DEP_1)
	v_rcp_f32_e32 v179, v183
	v_add_f32_e32 v192, v180, v177
	v_sub_f32_e32 v182, v182, v183
	s_delay_alu instid0(VALU_DEP_1) | instskip(SKIP_2) | instid1(VALU_DEP_1)
	v_dual_sub_f32 v180, v180, v192 :: v_dual_add_f32 v181, v181, v182
	s_waitcnt_depctr 0xfff
	v_mul_f32_e32 v193, v192, v179
	v_dual_add_f32 v177, v177, v180 :: v_dual_mul_f32 v194, v183, v193
	s_delay_alu instid0(VALU_DEP_1) | instskip(NEXT) | instid1(VALU_DEP_1)
	v_fma_f32 v182, v193, v183, -v194
	v_fmac_f32_e32 v182, v193, v181
	s_delay_alu instid0(VALU_DEP_1) | instskip(NEXT) | instid1(VALU_DEP_1)
	v_add_f32_e32 v195, v194, v182
	v_sub_f32_e32 v196, v192, v195
	v_sub_f32_e32 v180, v195, v194
	s_delay_alu instid0(VALU_DEP_2) | instskip(NEXT) | instid1(VALU_DEP_2)
	v_sub_f32_e32 v192, v192, v196
	v_sub_f32_e32 v180, v180, v182
	s_delay_alu instid0(VALU_DEP_2) | instskip(NEXT) | instid1(VALU_DEP_1)
	v_sub_f32_e32 v192, v192, v195
	v_add_f32_e32 v177, v177, v192
	s_delay_alu instid0(VALU_DEP_1) | instskip(NEXT) | instid1(VALU_DEP_1)
	v_add_f32_e32 v177, v180, v177
	v_add_f32_e32 v180, v196, v177
	s_delay_alu instid0(VALU_DEP_1) | instskip(NEXT) | instid1(VALU_DEP_1)
	v_mul_f32_e32 v182, v179, v180
	v_dual_sub_f32 v195, v196, v180 :: v_dual_mul_f32 v192, v183, v182
	s_delay_alu instid0(VALU_DEP_1) | instskip(NEXT) | instid1(VALU_DEP_2)
	v_add_f32_e32 v177, v177, v195
	v_fma_f32 v183, v182, v183, -v192
	s_delay_alu instid0(VALU_DEP_1) | instskip(NEXT) | instid1(VALU_DEP_1)
	v_fmac_f32_e32 v183, v182, v181
	v_add_f32_e32 v181, v192, v183
	s_delay_alu instid0(VALU_DEP_1) | instskip(SKIP_1) | instid1(VALU_DEP_2)
	v_sub_f32_e32 v194, v180, v181
	v_sub_f32_e32 v192, v181, v192
	;; [unrolled: 1-line block ×3, first 2 shown]
	s_delay_alu instid0(VALU_DEP_1) | instskip(NEXT) | instid1(VALU_DEP_3)
	v_sub_f32_e32 v180, v180, v181
	v_sub_f32_e32 v181, v192, v183
	s_delay_alu instid0(VALU_DEP_2) | instskip(SKIP_1) | instid1(VALU_DEP_2)
	v_add_f32_e32 v177, v177, v180
	v_add_f32_e32 v180, v193, v182
	v_add_f32_e32 v177, v181, v177
	s_delay_alu instid0(VALU_DEP_2) | instskip(NEXT) | instid1(VALU_DEP_2)
	v_sub_f32_e32 v181, v180, v193
	v_add_f32_e32 v177, v194, v177
	s_delay_alu instid0(VALU_DEP_2) | instskip(NEXT) | instid1(VALU_DEP_2)
	v_sub_f32_e32 v181, v182, v181
	v_mul_f32_e32 v177, v179, v177
	s_delay_alu instid0(VALU_DEP_1) | instskip(NEXT) | instid1(VALU_DEP_1)
	v_add_f32_e32 v177, v181, v177
	v_add_f32_e32 v179, v180, v177
	s_delay_alu instid0(VALU_DEP_1) | instskip(NEXT) | instid1(VALU_DEP_1)
	v_mul_f32_e32 v181, v179, v179
	v_fmaak_f32 v182, s30, v181, 0x3ecc95a3
	v_mul_f32_e32 v183, v179, v181
	s_delay_alu instid0(VALU_DEP_2) | instskip(SKIP_2) | instid1(VALU_DEP_3)
	v_fmaak_f32 v181, v181, v182, 0x3f2aaada
	v_ldexp_f32 v182, v179, 1
	v_sub_f32_e32 v179, v179, v180
	v_mul_f32_e32 v181, v183, v181
	v_mul_f32_e32 v183, 0x3f317218, v176
	s_delay_alu instid0(VALU_DEP_2) | instskip(NEXT) | instid1(VALU_DEP_1)
	v_dual_sub_f32 v177, v177, v179 :: v_dual_add_f32 v180, v182, v181
	v_ldexp_f32 v177, v177, 1
	s_delay_alu instid0(VALU_DEP_2) | instskip(NEXT) | instid1(VALU_DEP_4)
	v_sub_f32_e32 v179, v180, v182
	v_fma_f32 v182, 0x3f317218, v176, -v183
	s_delay_alu instid0(VALU_DEP_1) | instskip(NEXT) | instid1(VALU_DEP_1)
	v_dual_sub_f32 v179, v181, v179 :: v_dual_fmac_f32 v182, 0xb102e308, v176
	v_dual_add_f32 v176, v177, v179 :: v_dual_add_f32 v177, v183, v182
	s_delay_alu instid0(VALU_DEP_1) | instskip(NEXT) | instid1(VALU_DEP_2)
	v_add_f32_e32 v179, v180, v176
	v_sub_f32_e32 v183, v177, v183
	s_delay_alu instid0(VALU_DEP_2) | instskip(NEXT) | instid1(VALU_DEP_2)
	v_dual_add_f32 v181, v177, v179 :: v_dual_sub_f32 v180, v179, v180
	v_sub_f32_e32 v182, v182, v183
	s_delay_alu instid0(VALU_DEP_2) | instskip(NEXT) | instid1(VALU_DEP_3)
	v_sub_f32_e32 v192, v181, v177
	v_sub_f32_e32 v176, v176, v180
	s_delay_alu instid0(VALU_DEP_2) | instskip(SKIP_1) | instid1(VALU_DEP_2)
	v_sub_f32_e32 v193, v181, v192
	v_sub_f32_e32 v179, v179, v192
	v_dual_add_f32 v180, v182, v176 :: v_dual_sub_f32 v177, v177, v193
	s_delay_alu instid0(VALU_DEP_1) | instskip(NEXT) | instid1(VALU_DEP_2)
	v_add_f32_e32 v177, v179, v177
	v_sub_f32_e32 v179, v180, v182
	s_delay_alu instid0(VALU_DEP_2) | instskip(NEXT) | instid1(VALU_DEP_2)
	v_add_f32_e32 v177, v180, v177
	v_sub_f32_e32 v180, v180, v179
	s_delay_alu instid0(VALU_DEP_2) | instskip(NEXT) | instid1(VALU_DEP_1)
	v_dual_sub_f32 v176, v176, v179 :: v_dual_add_f32 v183, v181, v177
	v_dual_sub_f32 v180, v182, v180 :: v_dual_sub_f32 v179, v183, v181
	s_delay_alu instid0(VALU_DEP_1) | instskip(NEXT) | instid1(VALU_DEP_1)
	v_dual_add_f32 v176, v176, v180 :: v_dual_sub_f32 v177, v177, v179
	v_add_f32_e32 v176, v176, v177
	s_delay_alu instid0(VALU_DEP_1) | instskip(NEXT) | instid1(VALU_DEP_1)
	v_add_f32_e32 v176, v183, v176
	v_cndmask_b32_e32 v176, v176, v178, vcc_lo
	s_delay_alu instid0(VALU_DEP_1)
	v_add_f32_e32 v176, v21, v176
.LBB501_162:                            ;   in Loop: Header=BB501_152 Depth=1
	s_or_b32 exec_lo, exec_lo, s31
	s_delay_alu instid0(VALU_DEP_1) | instskip(SKIP_1) | instid1(VALU_DEP_2)
	v_bfe_u32 v21, v176, 16, 1
	v_cmp_o_f32_e32 vcc_lo, v176, v176
	v_add3_u32 v21, v176, v21, 0x7fff
	s_delay_alu instid0(VALU_DEP_1) | instskip(NEXT) | instid1(VALU_DEP_1)
	v_lshrrev_b32_e32 v21, 16, v21
	v_cndmask_b32_e32 v176, 0x7fc0, v21, vcc_lo
	s_delay_alu instid0(VALU_DEP_1)
	v_and_b32_e32 v21, 0xffff, v176
.LBB501_163:                            ;   in Loop: Header=BB501_152 Depth=1
	s_or_b32 exec_lo, exec_lo, vcc_hi
	s_waitcnt lgkmcnt(0)
	ds_bpermute_b32 v177, v151, v21
	s_mov_b32 vcc_hi, exec_lo
	v_cmpx_le_u32_e64 v160, v20
	s_cbranch_execz .LBB501_167
; %bb.164:                              ;   in Loop: Header=BB501_152 Depth=1
	s_waitcnt lgkmcnt(0)
	v_lshlrev_b32_e32 v176, 16, v177
	s_delay_alu instid0(VALU_DEP_1) | instskip(SKIP_1) | instid1(VALU_DEP_2)
	v_dual_max_f32 v178, v176, v176 :: v_dual_lshlrev_b32 v21, 16, v21
	v_cmp_u_f32_e32 vcc_lo, v176, v176
	v_max_f32_e32 v177, v21, v21
	s_delay_alu instid0(VALU_DEP_1) | instskip(NEXT) | instid1(VALU_DEP_1)
	v_min_f32_e32 v179, v178, v177
	v_dual_max_f32 v177, v178, v177 :: v_dual_cndmask_b32 v178, v179, v176
	s_delay_alu instid0(VALU_DEP_1) | instskip(SKIP_1) | instid1(VALU_DEP_3)
	v_cndmask_b32_e32 v179, v177, v176, vcc_lo
	v_cmp_u_f32_e32 vcc_lo, v21, v21
	v_cndmask_b32_e32 v177, v178, v21, vcc_lo
	s_delay_alu instid0(VALU_DEP_3) | instskip(NEXT) | instid1(VALU_DEP_2)
	v_cndmask_b32_e32 v21, v179, v21, vcc_lo
	v_cmp_class_f32_e64 s31, v177, 0x1f8
	s_delay_alu instid0(VALU_DEP_2) | instskip(NEXT) | instid1(VALU_DEP_2)
	v_cmp_neq_f32_e32 vcc_lo, v177, v21
	s_or_b32 vcc_lo, vcc_lo, s31
	s_delay_alu instid0(SALU_CYCLE_1)
	s_and_saveexec_b32 s31, vcc_lo
	s_cbranch_execz .LBB501_166
; %bb.165:                              ;   in Loop: Header=BB501_152 Depth=1
	v_sub_f32_e32 v176, v177, v21
	s_delay_alu instid0(VALU_DEP_1) | instskip(SKIP_1) | instid1(VALU_DEP_2)
	v_mul_f32_e32 v177, 0x3fb8aa3b, v176
	v_cmp_ngt_f32_e32 vcc_lo, 0xc2ce8ed0, v176
	v_fma_f32 v178, 0x3fb8aa3b, v176, -v177
	v_rndne_f32_e32 v179, v177
	s_delay_alu instid0(VALU_DEP_1) | instskip(NEXT) | instid1(VALU_DEP_1)
	v_dual_fmac_f32 v178, 0x32a5705f, v176 :: v_dual_sub_f32 v177, v177, v179
	v_add_f32_e32 v177, v177, v178
	v_cvt_i32_f32_e32 v178, v179
	s_delay_alu instid0(VALU_DEP_2) | instskip(SKIP_2) | instid1(VALU_DEP_1)
	v_exp_f32_e32 v177, v177
	s_waitcnt_depctr 0xfff
	v_ldexp_f32 v177, v177, v178
	v_cndmask_b32_e32 v177, 0, v177, vcc_lo
	v_cmp_nlt_f32_e32 vcc_lo, 0x42b17218, v176
	s_delay_alu instid0(VALU_DEP_2) | instskip(NEXT) | instid1(VALU_DEP_1)
	v_cndmask_b32_e32 v178, 0x7f800000, v177, vcc_lo
	v_add_f32_e32 v179, 1.0, v178
	s_delay_alu instid0(VALU_DEP_1) | instskip(NEXT) | instid1(VALU_DEP_1)
	v_cvt_f64_f32_e32 v[176:177], v179
	v_frexp_exp_i32_f64_e32 v176, v[176:177]
	v_frexp_mant_f32_e32 v177, v179
	s_delay_alu instid0(VALU_DEP_1) | instskip(SKIP_2) | instid1(VALU_DEP_2)
	v_cmp_gt_f32_e32 vcc_lo, 0x3f2aaaab, v177
	v_add_f32_e32 v177, -1.0, v179
	v_cmp_gt_f32_e64 s34, 0x33800000, |v178|
	v_sub_f32_e32 v181, v177, v179
	v_sub_f32_e32 v177, v178, v177
	s_delay_alu instid0(VALU_DEP_2) | instskip(NEXT) | instid1(VALU_DEP_1)
	v_add_f32_e32 v181, 1.0, v181
	v_add_f32_e32 v177, v177, v181
	v_subrev_co_ci_u32_e32 v176, vcc_lo, 0, v176, vcc_lo
	v_cmp_eq_f32_e32 vcc_lo, 0x7f800000, v178
	s_delay_alu instid0(VALU_DEP_2) | instskip(SKIP_2) | instid1(VALU_DEP_2)
	v_sub_nc_u32_e32 v180, 0, v176
	v_cvt_f32_i32_e32 v176, v176
	s_or_b32 vcc_lo, vcc_lo, s34
	v_ldexp_f32 v179, v179, v180
	v_ldexp_f32 v177, v177, v180
	s_delay_alu instid0(VALU_DEP_2) | instskip(NEXT) | instid1(VALU_DEP_1)
	v_add_f32_e32 v182, 1.0, v179
	v_dual_add_f32 v180, -1.0, v179 :: v_dual_add_f32 v181, -1.0, v182
	s_delay_alu instid0(VALU_DEP_1) | instskip(NEXT) | instid1(VALU_DEP_2)
	v_add_f32_e32 v183, 1.0, v180
	v_sub_f32_e32 v181, v179, v181
	s_delay_alu instid0(VALU_DEP_2) | instskip(NEXT) | instid1(VALU_DEP_2)
	v_sub_f32_e32 v179, v179, v183
	v_add_f32_e32 v181, v177, v181
	s_delay_alu instid0(VALU_DEP_1) | instskip(NEXT) | instid1(VALU_DEP_3)
	v_add_f32_e32 v183, v182, v181
	v_add_f32_e32 v177, v177, v179
	s_delay_alu instid0(VALU_DEP_2) | instskip(NEXT) | instid1(VALU_DEP_1)
	v_rcp_f32_e32 v179, v183
	v_add_f32_e32 v192, v180, v177
	v_sub_f32_e32 v182, v182, v183
	s_delay_alu instid0(VALU_DEP_1) | instskip(SKIP_2) | instid1(VALU_DEP_1)
	v_dual_sub_f32 v180, v180, v192 :: v_dual_add_f32 v181, v181, v182
	s_waitcnt_depctr 0xfff
	v_mul_f32_e32 v193, v192, v179
	v_dual_add_f32 v177, v177, v180 :: v_dual_mul_f32 v194, v183, v193
	s_delay_alu instid0(VALU_DEP_1) | instskip(NEXT) | instid1(VALU_DEP_1)
	v_fma_f32 v182, v193, v183, -v194
	v_fmac_f32_e32 v182, v193, v181
	s_delay_alu instid0(VALU_DEP_1) | instskip(NEXT) | instid1(VALU_DEP_1)
	v_add_f32_e32 v195, v194, v182
	v_sub_f32_e32 v196, v192, v195
	v_sub_f32_e32 v180, v195, v194
	s_delay_alu instid0(VALU_DEP_2) | instskip(NEXT) | instid1(VALU_DEP_2)
	v_sub_f32_e32 v192, v192, v196
	v_sub_f32_e32 v180, v180, v182
	s_delay_alu instid0(VALU_DEP_2) | instskip(NEXT) | instid1(VALU_DEP_1)
	v_sub_f32_e32 v192, v192, v195
	v_add_f32_e32 v177, v177, v192
	s_delay_alu instid0(VALU_DEP_1) | instskip(NEXT) | instid1(VALU_DEP_1)
	v_add_f32_e32 v177, v180, v177
	v_add_f32_e32 v180, v196, v177
	s_delay_alu instid0(VALU_DEP_1) | instskip(NEXT) | instid1(VALU_DEP_1)
	v_mul_f32_e32 v182, v179, v180
	v_dual_sub_f32 v195, v196, v180 :: v_dual_mul_f32 v192, v183, v182
	s_delay_alu instid0(VALU_DEP_1) | instskip(NEXT) | instid1(VALU_DEP_2)
	v_add_f32_e32 v177, v177, v195
	v_fma_f32 v183, v182, v183, -v192
	s_delay_alu instid0(VALU_DEP_1) | instskip(NEXT) | instid1(VALU_DEP_1)
	v_fmac_f32_e32 v183, v182, v181
	v_add_f32_e32 v181, v192, v183
	s_delay_alu instid0(VALU_DEP_1) | instskip(SKIP_1) | instid1(VALU_DEP_2)
	v_sub_f32_e32 v194, v180, v181
	v_sub_f32_e32 v192, v181, v192
	;; [unrolled: 1-line block ×3, first 2 shown]
	s_delay_alu instid0(VALU_DEP_1) | instskip(NEXT) | instid1(VALU_DEP_3)
	v_sub_f32_e32 v180, v180, v181
	v_sub_f32_e32 v181, v192, v183
	s_delay_alu instid0(VALU_DEP_2) | instskip(SKIP_1) | instid1(VALU_DEP_2)
	v_add_f32_e32 v177, v177, v180
	v_add_f32_e32 v180, v193, v182
	;; [unrolled: 1-line block ×3, first 2 shown]
	s_delay_alu instid0(VALU_DEP_2) | instskip(NEXT) | instid1(VALU_DEP_2)
	v_sub_f32_e32 v181, v180, v193
	v_add_f32_e32 v177, v194, v177
	s_delay_alu instid0(VALU_DEP_2) | instskip(NEXT) | instid1(VALU_DEP_2)
	v_sub_f32_e32 v181, v182, v181
	v_mul_f32_e32 v177, v179, v177
	s_delay_alu instid0(VALU_DEP_1) | instskip(NEXT) | instid1(VALU_DEP_1)
	v_add_f32_e32 v177, v181, v177
	v_add_f32_e32 v179, v180, v177
	s_delay_alu instid0(VALU_DEP_1) | instskip(NEXT) | instid1(VALU_DEP_1)
	v_mul_f32_e32 v181, v179, v179
	v_fmaak_f32 v182, s30, v181, 0x3ecc95a3
	v_mul_f32_e32 v183, v179, v181
	s_delay_alu instid0(VALU_DEP_2) | instskip(SKIP_2) | instid1(VALU_DEP_3)
	v_fmaak_f32 v181, v181, v182, 0x3f2aaada
	v_ldexp_f32 v182, v179, 1
	v_sub_f32_e32 v179, v179, v180
	v_mul_f32_e32 v181, v183, v181
	v_mul_f32_e32 v183, 0x3f317218, v176
	s_delay_alu instid0(VALU_DEP_2) | instskip(NEXT) | instid1(VALU_DEP_1)
	v_dual_sub_f32 v177, v177, v179 :: v_dual_add_f32 v180, v182, v181
	v_ldexp_f32 v177, v177, 1
	s_delay_alu instid0(VALU_DEP_2) | instskip(NEXT) | instid1(VALU_DEP_4)
	v_sub_f32_e32 v179, v180, v182
	v_fma_f32 v182, 0x3f317218, v176, -v183
	s_delay_alu instid0(VALU_DEP_1) | instskip(NEXT) | instid1(VALU_DEP_1)
	v_dual_sub_f32 v179, v181, v179 :: v_dual_fmac_f32 v182, 0xb102e308, v176
	v_dual_add_f32 v176, v177, v179 :: v_dual_add_f32 v177, v183, v182
	s_delay_alu instid0(VALU_DEP_1) | instskip(NEXT) | instid1(VALU_DEP_2)
	v_add_f32_e32 v179, v180, v176
	v_sub_f32_e32 v183, v177, v183
	s_delay_alu instid0(VALU_DEP_2) | instskip(NEXT) | instid1(VALU_DEP_2)
	v_dual_add_f32 v181, v177, v179 :: v_dual_sub_f32 v180, v179, v180
	v_sub_f32_e32 v182, v182, v183
	s_delay_alu instid0(VALU_DEP_2) | instskip(NEXT) | instid1(VALU_DEP_3)
	v_sub_f32_e32 v192, v181, v177
	v_sub_f32_e32 v176, v176, v180
	s_delay_alu instid0(VALU_DEP_2) | instskip(SKIP_1) | instid1(VALU_DEP_2)
	v_sub_f32_e32 v193, v181, v192
	v_sub_f32_e32 v179, v179, v192
	v_dual_add_f32 v180, v182, v176 :: v_dual_sub_f32 v177, v177, v193
	s_delay_alu instid0(VALU_DEP_1) | instskip(NEXT) | instid1(VALU_DEP_2)
	v_add_f32_e32 v177, v179, v177
	v_sub_f32_e32 v179, v180, v182
	s_delay_alu instid0(VALU_DEP_2) | instskip(NEXT) | instid1(VALU_DEP_2)
	v_add_f32_e32 v177, v180, v177
	v_sub_f32_e32 v180, v180, v179
	s_delay_alu instid0(VALU_DEP_2) | instskip(NEXT) | instid1(VALU_DEP_1)
	v_dual_sub_f32 v176, v176, v179 :: v_dual_add_f32 v183, v181, v177
	v_dual_sub_f32 v180, v182, v180 :: v_dual_sub_f32 v179, v183, v181
	s_delay_alu instid0(VALU_DEP_1) | instskip(NEXT) | instid1(VALU_DEP_1)
	v_dual_add_f32 v176, v176, v180 :: v_dual_sub_f32 v177, v177, v179
	v_add_f32_e32 v176, v176, v177
	s_delay_alu instid0(VALU_DEP_1) | instskip(NEXT) | instid1(VALU_DEP_1)
	v_add_f32_e32 v176, v183, v176
	v_cndmask_b32_e32 v176, v176, v178, vcc_lo
	s_delay_alu instid0(VALU_DEP_1)
	v_add_f32_e32 v176, v21, v176
.LBB501_166:                            ;   in Loop: Header=BB501_152 Depth=1
	s_or_b32 exec_lo, exec_lo, s31
	s_delay_alu instid0(VALU_DEP_1) | instskip(SKIP_1) | instid1(VALU_DEP_2)
	v_bfe_u32 v21, v176, 16, 1
	v_cmp_o_f32_e32 vcc_lo, v176, v176
	v_add3_u32 v21, v176, v21, 0x7fff
	s_delay_alu instid0(VALU_DEP_1) | instskip(NEXT) | instid1(VALU_DEP_1)
	v_lshrrev_b32_e32 v21, 16, v21
	v_cndmask_b32_e32 v176, 0x7fc0, v21, vcc_lo
	s_delay_alu instid0(VALU_DEP_1)
	v_and_b32_e32 v21, 0xffff, v176
.LBB501_167:                            ;   in Loop: Header=BB501_152 Depth=1
	s_or_b32 exec_lo, exec_lo, vcc_hi
	s_waitcnt lgkmcnt(0)
	ds_bpermute_b32 v177, v161, v21
	s_mov_b32 vcc_hi, exec_lo
	v_cmpx_le_u32_e64 v162, v20
	s_cbranch_execz .LBB501_171
; %bb.168:                              ;   in Loop: Header=BB501_152 Depth=1
	s_waitcnt lgkmcnt(0)
	v_lshlrev_b32_e32 v176, 16, v177
	s_delay_alu instid0(VALU_DEP_1) | instskip(SKIP_1) | instid1(VALU_DEP_2)
	v_dual_max_f32 v178, v176, v176 :: v_dual_lshlrev_b32 v21, 16, v21
	v_cmp_u_f32_e32 vcc_lo, v176, v176
	v_max_f32_e32 v177, v21, v21
	s_delay_alu instid0(VALU_DEP_1) | instskip(NEXT) | instid1(VALU_DEP_1)
	v_min_f32_e32 v179, v178, v177
	v_dual_max_f32 v177, v178, v177 :: v_dual_cndmask_b32 v178, v179, v176
	s_delay_alu instid0(VALU_DEP_1) | instskip(SKIP_1) | instid1(VALU_DEP_3)
	v_cndmask_b32_e32 v179, v177, v176, vcc_lo
	v_cmp_u_f32_e32 vcc_lo, v21, v21
	v_cndmask_b32_e32 v177, v178, v21, vcc_lo
	s_delay_alu instid0(VALU_DEP_3) | instskip(NEXT) | instid1(VALU_DEP_2)
	v_cndmask_b32_e32 v21, v179, v21, vcc_lo
	v_cmp_class_f32_e64 s31, v177, 0x1f8
	s_delay_alu instid0(VALU_DEP_2) | instskip(NEXT) | instid1(VALU_DEP_2)
	v_cmp_neq_f32_e32 vcc_lo, v177, v21
	s_or_b32 vcc_lo, vcc_lo, s31
	s_delay_alu instid0(SALU_CYCLE_1)
	s_and_saveexec_b32 s31, vcc_lo
	s_cbranch_execz .LBB501_170
; %bb.169:                              ;   in Loop: Header=BB501_152 Depth=1
	v_sub_f32_e32 v176, v177, v21
	s_delay_alu instid0(VALU_DEP_1) | instskip(SKIP_1) | instid1(VALU_DEP_2)
	v_mul_f32_e32 v177, 0x3fb8aa3b, v176
	v_cmp_ngt_f32_e32 vcc_lo, 0xc2ce8ed0, v176
	v_fma_f32 v178, 0x3fb8aa3b, v176, -v177
	v_rndne_f32_e32 v179, v177
	s_delay_alu instid0(VALU_DEP_1) | instskip(NEXT) | instid1(VALU_DEP_1)
	v_dual_fmac_f32 v178, 0x32a5705f, v176 :: v_dual_sub_f32 v177, v177, v179
	v_add_f32_e32 v177, v177, v178
	v_cvt_i32_f32_e32 v178, v179
	s_delay_alu instid0(VALU_DEP_2) | instskip(SKIP_2) | instid1(VALU_DEP_1)
	v_exp_f32_e32 v177, v177
	s_waitcnt_depctr 0xfff
	v_ldexp_f32 v177, v177, v178
	v_cndmask_b32_e32 v177, 0, v177, vcc_lo
	v_cmp_nlt_f32_e32 vcc_lo, 0x42b17218, v176
	s_delay_alu instid0(VALU_DEP_2) | instskip(NEXT) | instid1(VALU_DEP_1)
	v_cndmask_b32_e32 v178, 0x7f800000, v177, vcc_lo
	v_add_f32_e32 v179, 1.0, v178
	s_delay_alu instid0(VALU_DEP_1) | instskip(NEXT) | instid1(VALU_DEP_1)
	v_cvt_f64_f32_e32 v[176:177], v179
	v_frexp_exp_i32_f64_e32 v176, v[176:177]
	v_frexp_mant_f32_e32 v177, v179
	s_delay_alu instid0(VALU_DEP_1) | instskip(SKIP_2) | instid1(VALU_DEP_2)
	v_cmp_gt_f32_e32 vcc_lo, 0x3f2aaaab, v177
	v_add_f32_e32 v177, -1.0, v179
	v_cmp_gt_f32_e64 s34, 0x33800000, |v178|
	v_sub_f32_e32 v181, v177, v179
	v_sub_f32_e32 v177, v178, v177
	s_delay_alu instid0(VALU_DEP_2) | instskip(NEXT) | instid1(VALU_DEP_1)
	v_add_f32_e32 v181, 1.0, v181
	v_add_f32_e32 v177, v177, v181
	v_subrev_co_ci_u32_e32 v176, vcc_lo, 0, v176, vcc_lo
	v_cmp_eq_f32_e32 vcc_lo, 0x7f800000, v178
	s_delay_alu instid0(VALU_DEP_2) | instskip(SKIP_2) | instid1(VALU_DEP_2)
	v_sub_nc_u32_e32 v180, 0, v176
	v_cvt_f32_i32_e32 v176, v176
	s_or_b32 vcc_lo, vcc_lo, s34
	v_ldexp_f32 v179, v179, v180
	v_ldexp_f32 v177, v177, v180
	s_delay_alu instid0(VALU_DEP_2) | instskip(NEXT) | instid1(VALU_DEP_1)
	v_add_f32_e32 v182, 1.0, v179
	v_dual_add_f32 v180, -1.0, v179 :: v_dual_add_f32 v181, -1.0, v182
	s_delay_alu instid0(VALU_DEP_1) | instskip(NEXT) | instid1(VALU_DEP_2)
	v_add_f32_e32 v183, 1.0, v180
	v_sub_f32_e32 v181, v179, v181
	s_delay_alu instid0(VALU_DEP_2) | instskip(NEXT) | instid1(VALU_DEP_2)
	v_sub_f32_e32 v179, v179, v183
	v_add_f32_e32 v181, v177, v181
	s_delay_alu instid0(VALU_DEP_1) | instskip(NEXT) | instid1(VALU_DEP_3)
	v_add_f32_e32 v183, v182, v181
	v_add_f32_e32 v177, v177, v179
	s_delay_alu instid0(VALU_DEP_2) | instskip(NEXT) | instid1(VALU_DEP_1)
	v_rcp_f32_e32 v179, v183
	v_add_f32_e32 v192, v180, v177
	v_sub_f32_e32 v182, v182, v183
	s_delay_alu instid0(VALU_DEP_1) | instskip(SKIP_2) | instid1(VALU_DEP_1)
	v_dual_sub_f32 v180, v180, v192 :: v_dual_add_f32 v181, v181, v182
	s_waitcnt_depctr 0xfff
	v_mul_f32_e32 v193, v192, v179
	v_dual_add_f32 v177, v177, v180 :: v_dual_mul_f32 v194, v183, v193
	s_delay_alu instid0(VALU_DEP_1) | instskip(NEXT) | instid1(VALU_DEP_1)
	v_fma_f32 v182, v193, v183, -v194
	v_fmac_f32_e32 v182, v193, v181
	s_delay_alu instid0(VALU_DEP_1) | instskip(NEXT) | instid1(VALU_DEP_1)
	v_add_f32_e32 v195, v194, v182
	v_sub_f32_e32 v196, v192, v195
	v_sub_f32_e32 v180, v195, v194
	s_delay_alu instid0(VALU_DEP_2) | instskip(NEXT) | instid1(VALU_DEP_2)
	v_sub_f32_e32 v192, v192, v196
	v_sub_f32_e32 v180, v180, v182
	s_delay_alu instid0(VALU_DEP_2) | instskip(NEXT) | instid1(VALU_DEP_1)
	v_sub_f32_e32 v192, v192, v195
	v_add_f32_e32 v177, v177, v192
	s_delay_alu instid0(VALU_DEP_1) | instskip(NEXT) | instid1(VALU_DEP_1)
	v_add_f32_e32 v177, v180, v177
	v_add_f32_e32 v180, v196, v177
	s_delay_alu instid0(VALU_DEP_1) | instskip(NEXT) | instid1(VALU_DEP_1)
	v_mul_f32_e32 v182, v179, v180
	v_dual_sub_f32 v195, v196, v180 :: v_dual_mul_f32 v192, v183, v182
	s_delay_alu instid0(VALU_DEP_1) | instskip(NEXT) | instid1(VALU_DEP_2)
	v_add_f32_e32 v177, v177, v195
	v_fma_f32 v183, v182, v183, -v192
	s_delay_alu instid0(VALU_DEP_1) | instskip(NEXT) | instid1(VALU_DEP_1)
	v_fmac_f32_e32 v183, v182, v181
	v_add_f32_e32 v181, v192, v183
	s_delay_alu instid0(VALU_DEP_1) | instskip(SKIP_1) | instid1(VALU_DEP_2)
	v_sub_f32_e32 v194, v180, v181
	v_sub_f32_e32 v192, v181, v192
	;; [unrolled: 1-line block ×3, first 2 shown]
	s_delay_alu instid0(VALU_DEP_1) | instskip(NEXT) | instid1(VALU_DEP_3)
	v_sub_f32_e32 v180, v180, v181
	v_sub_f32_e32 v181, v192, v183
	s_delay_alu instid0(VALU_DEP_2) | instskip(SKIP_1) | instid1(VALU_DEP_2)
	v_add_f32_e32 v177, v177, v180
	v_add_f32_e32 v180, v193, v182
	;; [unrolled: 1-line block ×3, first 2 shown]
	s_delay_alu instid0(VALU_DEP_2) | instskip(NEXT) | instid1(VALU_DEP_2)
	v_sub_f32_e32 v181, v180, v193
	v_add_f32_e32 v177, v194, v177
	s_delay_alu instid0(VALU_DEP_2) | instskip(NEXT) | instid1(VALU_DEP_2)
	v_sub_f32_e32 v181, v182, v181
	v_mul_f32_e32 v177, v179, v177
	s_delay_alu instid0(VALU_DEP_1) | instskip(NEXT) | instid1(VALU_DEP_1)
	v_add_f32_e32 v177, v181, v177
	v_add_f32_e32 v179, v180, v177
	s_delay_alu instid0(VALU_DEP_1) | instskip(NEXT) | instid1(VALU_DEP_1)
	v_mul_f32_e32 v181, v179, v179
	v_fmaak_f32 v182, s30, v181, 0x3ecc95a3
	v_mul_f32_e32 v183, v179, v181
	s_delay_alu instid0(VALU_DEP_2) | instskip(SKIP_2) | instid1(VALU_DEP_3)
	v_fmaak_f32 v181, v181, v182, 0x3f2aaada
	v_ldexp_f32 v182, v179, 1
	v_sub_f32_e32 v179, v179, v180
	v_mul_f32_e32 v181, v183, v181
	v_mul_f32_e32 v183, 0x3f317218, v176
	s_delay_alu instid0(VALU_DEP_2) | instskip(NEXT) | instid1(VALU_DEP_1)
	v_dual_sub_f32 v177, v177, v179 :: v_dual_add_f32 v180, v182, v181
	v_ldexp_f32 v177, v177, 1
	s_delay_alu instid0(VALU_DEP_2) | instskip(NEXT) | instid1(VALU_DEP_4)
	v_sub_f32_e32 v179, v180, v182
	v_fma_f32 v182, 0x3f317218, v176, -v183
	s_delay_alu instid0(VALU_DEP_1) | instskip(NEXT) | instid1(VALU_DEP_1)
	v_dual_sub_f32 v179, v181, v179 :: v_dual_fmac_f32 v182, 0xb102e308, v176
	v_dual_add_f32 v176, v177, v179 :: v_dual_add_f32 v177, v183, v182
	s_delay_alu instid0(VALU_DEP_1) | instskip(NEXT) | instid1(VALU_DEP_2)
	v_add_f32_e32 v179, v180, v176
	v_sub_f32_e32 v183, v177, v183
	s_delay_alu instid0(VALU_DEP_2) | instskip(NEXT) | instid1(VALU_DEP_2)
	v_dual_add_f32 v181, v177, v179 :: v_dual_sub_f32 v180, v179, v180
	v_sub_f32_e32 v182, v182, v183
	s_delay_alu instid0(VALU_DEP_2) | instskip(NEXT) | instid1(VALU_DEP_3)
	v_sub_f32_e32 v192, v181, v177
	v_sub_f32_e32 v176, v176, v180
	s_delay_alu instid0(VALU_DEP_2) | instskip(SKIP_1) | instid1(VALU_DEP_2)
	v_sub_f32_e32 v193, v181, v192
	v_sub_f32_e32 v179, v179, v192
	v_dual_add_f32 v180, v182, v176 :: v_dual_sub_f32 v177, v177, v193
	s_delay_alu instid0(VALU_DEP_1) | instskip(NEXT) | instid1(VALU_DEP_2)
	v_add_f32_e32 v177, v179, v177
	v_sub_f32_e32 v179, v180, v182
	s_delay_alu instid0(VALU_DEP_2) | instskip(NEXT) | instid1(VALU_DEP_2)
	v_add_f32_e32 v177, v180, v177
	v_sub_f32_e32 v180, v180, v179
	s_delay_alu instid0(VALU_DEP_2) | instskip(NEXT) | instid1(VALU_DEP_1)
	v_dual_sub_f32 v176, v176, v179 :: v_dual_add_f32 v183, v181, v177
	v_dual_sub_f32 v180, v182, v180 :: v_dual_sub_f32 v179, v183, v181
	s_delay_alu instid0(VALU_DEP_1) | instskip(NEXT) | instid1(VALU_DEP_1)
	v_dual_add_f32 v176, v176, v180 :: v_dual_sub_f32 v177, v177, v179
	v_add_f32_e32 v176, v176, v177
	s_delay_alu instid0(VALU_DEP_1) | instskip(NEXT) | instid1(VALU_DEP_1)
	v_add_f32_e32 v176, v183, v176
	v_cndmask_b32_e32 v176, v176, v178, vcc_lo
	s_delay_alu instid0(VALU_DEP_1)
	v_add_f32_e32 v176, v21, v176
.LBB501_170:                            ;   in Loop: Header=BB501_152 Depth=1
	s_or_b32 exec_lo, exec_lo, s31
	s_delay_alu instid0(VALU_DEP_1) | instskip(SKIP_1) | instid1(VALU_DEP_2)
	v_bfe_u32 v21, v176, 16, 1
	v_cmp_o_f32_e32 vcc_lo, v176, v176
	v_add3_u32 v21, v176, v21, 0x7fff
	s_delay_alu instid0(VALU_DEP_1) | instskip(NEXT) | instid1(VALU_DEP_1)
	v_lshrrev_b32_e32 v21, 16, v21
	v_cndmask_b32_e32 v176, 0x7fc0, v21, vcc_lo
	s_delay_alu instid0(VALU_DEP_1)
	v_and_b32_e32 v21, 0xffff, v176
.LBB501_171:                            ;   in Loop: Header=BB501_152 Depth=1
	s_or_b32 exec_lo, exec_lo, vcc_hi
	s_waitcnt lgkmcnt(0)
	ds_bpermute_b32 v177, v163, v21
	s_mov_b32 vcc_hi, exec_lo
	v_cmpx_le_u32_e64 v164, v20
	s_cbranch_execz .LBB501_175
; %bb.172:                              ;   in Loop: Header=BB501_152 Depth=1
	s_waitcnt lgkmcnt(0)
	v_lshlrev_b32_e32 v176, 16, v177
	s_delay_alu instid0(VALU_DEP_1) | instskip(SKIP_1) | instid1(VALU_DEP_2)
	v_dual_max_f32 v178, v176, v176 :: v_dual_lshlrev_b32 v21, 16, v21
	v_cmp_u_f32_e32 vcc_lo, v176, v176
	v_max_f32_e32 v177, v21, v21
	s_delay_alu instid0(VALU_DEP_1) | instskip(NEXT) | instid1(VALU_DEP_1)
	v_min_f32_e32 v179, v178, v177
	v_dual_max_f32 v177, v178, v177 :: v_dual_cndmask_b32 v178, v179, v176
	s_delay_alu instid0(VALU_DEP_1) | instskip(SKIP_1) | instid1(VALU_DEP_3)
	v_cndmask_b32_e32 v179, v177, v176, vcc_lo
	v_cmp_u_f32_e32 vcc_lo, v21, v21
	v_cndmask_b32_e32 v177, v178, v21, vcc_lo
	s_delay_alu instid0(VALU_DEP_3) | instskip(NEXT) | instid1(VALU_DEP_2)
	v_cndmask_b32_e32 v21, v179, v21, vcc_lo
	v_cmp_class_f32_e64 s31, v177, 0x1f8
	s_delay_alu instid0(VALU_DEP_2) | instskip(NEXT) | instid1(VALU_DEP_2)
	v_cmp_neq_f32_e32 vcc_lo, v177, v21
	s_or_b32 vcc_lo, vcc_lo, s31
	s_delay_alu instid0(SALU_CYCLE_1)
	s_and_saveexec_b32 s31, vcc_lo
	s_cbranch_execz .LBB501_174
; %bb.173:                              ;   in Loop: Header=BB501_152 Depth=1
	v_sub_f32_e32 v176, v177, v21
	s_delay_alu instid0(VALU_DEP_1) | instskip(SKIP_1) | instid1(VALU_DEP_2)
	v_mul_f32_e32 v177, 0x3fb8aa3b, v176
	v_cmp_ngt_f32_e32 vcc_lo, 0xc2ce8ed0, v176
	v_fma_f32 v178, 0x3fb8aa3b, v176, -v177
	v_rndne_f32_e32 v179, v177
	s_delay_alu instid0(VALU_DEP_1) | instskip(NEXT) | instid1(VALU_DEP_1)
	v_dual_fmac_f32 v178, 0x32a5705f, v176 :: v_dual_sub_f32 v177, v177, v179
	v_add_f32_e32 v177, v177, v178
	v_cvt_i32_f32_e32 v178, v179
	s_delay_alu instid0(VALU_DEP_2) | instskip(SKIP_2) | instid1(VALU_DEP_1)
	v_exp_f32_e32 v177, v177
	s_waitcnt_depctr 0xfff
	v_ldexp_f32 v177, v177, v178
	v_cndmask_b32_e32 v177, 0, v177, vcc_lo
	v_cmp_nlt_f32_e32 vcc_lo, 0x42b17218, v176
	s_delay_alu instid0(VALU_DEP_2) | instskip(NEXT) | instid1(VALU_DEP_1)
	v_cndmask_b32_e32 v178, 0x7f800000, v177, vcc_lo
	v_add_f32_e32 v179, 1.0, v178
	s_delay_alu instid0(VALU_DEP_1) | instskip(NEXT) | instid1(VALU_DEP_1)
	v_cvt_f64_f32_e32 v[176:177], v179
	v_frexp_exp_i32_f64_e32 v176, v[176:177]
	v_frexp_mant_f32_e32 v177, v179
	s_delay_alu instid0(VALU_DEP_1) | instskip(SKIP_2) | instid1(VALU_DEP_2)
	v_cmp_gt_f32_e32 vcc_lo, 0x3f2aaaab, v177
	v_add_f32_e32 v177, -1.0, v179
	v_cmp_gt_f32_e64 s34, 0x33800000, |v178|
	v_sub_f32_e32 v181, v177, v179
	v_sub_f32_e32 v177, v178, v177
	s_delay_alu instid0(VALU_DEP_2) | instskip(NEXT) | instid1(VALU_DEP_1)
	v_add_f32_e32 v181, 1.0, v181
	v_add_f32_e32 v177, v177, v181
	v_subrev_co_ci_u32_e32 v176, vcc_lo, 0, v176, vcc_lo
	v_cmp_eq_f32_e32 vcc_lo, 0x7f800000, v178
	s_delay_alu instid0(VALU_DEP_2) | instskip(SKIP_2) | instid1(VALU_DEP_2)
	v_sub_nc_u32_e32 v180, 0, v176
	v_cvt_f32_i32_e32 v176, v176
	s_or_b32 vcc_lo, vcc_lo, s34
	v_ldexp_f32 v179, v179, v180
	v_ldexp_f32 v177, v177, v180
	s_delay_alu instid0(VALU_DEP_2) | instskip(NEXT) | instid1(VALU_DEP_1)
	v_add_f32_e32 v182, 1.0, v179
	v_dual_add_f32 v180, -1.0, v179 :: v_dual_add_f32 v181, -1.0, v182
	s_delay_alu instid0(VALU_DEP_1) | instskip(NEXT) | instid1(VALU_DEP_2)
	v_add_f32_e32 v183, 1.0, v180
	v_sub_f32_e32 v181, v179, v181
	s_delay_alu instid0(VALU_DEP_2) | instskip(NEXT) | instid1(VALU_DEP_2)
	v_sub_f32_e32 v179, v179, v183
	v_add_f32_e32 v181, v177, v181
	s_delay_alu instid0(VALU_DEP_1) | instskip(NEXT) | instid1(VALU_DEP_3)
	v_add_f32_e32 v183, v182, v181
	v_add_f32_e32 v177, v177, v179
	s_delay_alu instid0(VALU_DEP_2) | instskip(NEXT) | instid1(VALU_DEP_1)
	v_rcp_f32_e32 v179, v183
	v_add_f32_e32 v192, v180, v177
	v_sub_f32_e32 v182, v182, v183
	s_delay_alu instid0(VALU_DEP_1) | instskip(SKIP_2) | instid1(VALU_DEP_1)
	v_dual_sub_f32 v180, v180, v192 :: v_dual_add_f32 v181, v181, v182
	s_waitcnt_depctr 0xfff
	v_mul_f32_e32 v193, v192, v179
	v_dual_add_f32 v177, v177, v180 :: v_dual_mul_f32 v194, v183, v193
	s_delay_alu instid0(VALU_DEP_1) | instskip(NEXT) | instid1(VALU_DEP_1)
	v_fma_f32 v182, v193, v183, -v194
	v_fmac_f32_e32 v182, v193, v181
	s_delay_alu instid0(VALU_DEP_1) | instskip(NEXT) | instid1(VALU_DEP_1)
	v_add_f32_e32 v195, v194, v182
	v_sub_f32_e32 v196, v192, v195
	v_sub_f32_e32 v180, v195, v194
	s_delay_alu instid0(VALU_DEP_2) | instskip(NEXT) | instid1(VALU_DEP_2)
	v_sub_f32_e32 v192, v192, v196
	v_sub_f32_e32 v180, v180, v182
	s_delay_alu instid0(VALU_DEP_2) | instskip(NEXT) | instid1(VALU_DEP_1)
	v_sub_f32_e32 v192, v192, v195
	v_add_f32_e32 v177, v177, v192
	s_delay_alu instid0(VALU_DEP_1) | instskip(NEXT) | instid1(VALU_DEP_1)
	v_add_f32_e32 v177, v180, v177
	v_add_f32_e32 v180, v196, v177
	s_delay_alu instid0(VALU_DEP_1) | instskip(NEXT) | instid1(VALU_DEP_1)
	v_mul_f32_e32 v182, v179, v180
	v_dual_sub_f32 v195, v196, v180 :: v_dual_mul_f32 v192, v183, v182
	s_delay_alu instid0(VALU_DEP_1) | instskip(NEXT) | instid1(VALU_DEP_2)
	v_add_f32_e32 v177, v177, v195
	v_fma_f32 v183, v182, v183, -v192
	s_delay_alu instid0(VALU_DEP_1) | instskip(NEXT) | instid1(VALU_DEP_1)
	v_fmac_f32_e32 v183, v182, v181
	v_add_f32_e32 v181, v192, v183
	s_delay_alu instid0(VALU_DEP_1) | instskip(SKIP_1) | instid1(VALU_DEP_2)
	v_sub_f32_e32 v194, v180, v181
	v_sub_f32_e32 v192, v181, v192
	;; [unrolled: 1-line block ×3, first 2 shown]
	s_delay_alu instid0(VALU_DEP_1) | instskip(NEXT) | instid1(VALU_DEP_3)
	v_sub_f32_e32 v180, v180, v181
	v_sub_f32_e32 v181, v192, v183
	s_delay_alu instid0(VALU_DEP_2) | instskip(SKIP_1) | instid1(VALU_DEP_2)
	v_add_f32_e32 v177, v177, v180
	v_add_f32_e32 v180, v193, v182
	;; [unrolled: 1-line block ×3, first 2 shown]
	s_delay_alu instid0(VALU_DEP_2) | instskip(NEXT) | instid1(VALU_DEP_2)
	v_sub_f32_e32 v181, v180, v193
	v_add_f32_e32 v177, v194, v177
	s_delay_alu instid0(VALU_DEP_2) | instskip(NEXT) | instid1(VALU_DEP_2)
	v_sub_f32_e32 v181, v182, v181
	v_mul_f32_e32 v177, v179, v177
	s_delay_alu instid0(VALU_DEP_1) | instskip(NEXT) | instid1(VALU_DEP_1)
	v_add_f32_e32 v177, v181, v177
	v_add_f32_e32 v179, v180, v177
	s_delay_alu instid0(VALU_DEP_1) | instskip(NEXT) | instid1(VALU_DEP_1)
	v_mul_f32_e32 v181, v179, v179
	v_fmaak_f32 v182, s30, v181, 0x3ecc95a3
	v_mul_f32_e32 v183, v179, v181
	s_delay_alu instid0(VALU_DEP_2) | instskip(SKIP_2) | instid1(VALU_DEP_3)
	v_fmaak_f32 v181, v181, v182, 0x3f2aaada
	v_ldexp_f32 v182, v179, 1
	v_sub_f32_e32 v179, v179, v180
	v_mul_f32_e32 v181, v183, v181
	v_mul_f32_e32 v183, 0x3f317218, v176
	s_delay_alu instid0(VALU_DEP_2) | instskip(NEXT) | instid1(VALU_DEP_1)
	v_dual_sub_f32 v177, v177, v179 :: v_dual_add_f32 v180, v182, v181
	v_ldexp_f32 v177, v177, 1
	s_delay_alu instid0(VALU_DEP_2) | instskip(NEXT) | instid1(VALU_DEP_4)
	v_sub_f32_e32 v179, v180, v182
	v_fma_f32 v182, 0x3f317218, v176, -v183
	s_delay_alu instid0(VALU_DEP_1) | instskip(NEXT) | instid1(VALU_DEP_1)
	v_dual_sub_f32 v179, v181, v179 :: v_dual_fmac_f32 v182, 0xb102e308, v176
	v_dual_add_f32 v176, v177, v179 :: v_dual_add_f32 v177, v183, v182
	s_delay_alu instid0(VALU_DEP_1) | instskip(NEXT) | instid1(VALU_DEP_2)
	v_add_f32_e32 v179, v180, v176
	v_sub_f32_e32 v183, v177, v183
	s_delay_alu instid0(VALU_DEP_2) | instskip(NEXT) | instid1(VALU_DEP_2)
	v_dual_add_f32 v181, v177, v179 :: v_dual_sub_f32 v180, v179, v180
	v_sub_f32_e32 v182, v182, v183
	s_delay_alu instid0(VALU_DEP_2) | instskip(NEXT) | instid1(VALU_DEP_3)
	v_sub_f32_e32 v192, v181, v177
	v_sub_f32_e32 v176, v176, v180
	s_delay_alu instid0(VALU_DEP_2) | instskip(SKIP_1) | instid1(VALU_DEP_2)
	v_sub_f32_e32 v193, v181, v192
	v_sub_f32_e32 v179, v179, v192
	v_dual_add_f32 v180, v182, v176 :: v_dual_sub_f32 v177, v177, v193
	s_delay_alu instid0(VALU_DEP_1) | instskip(NEXT) | instid1(VALU_DEP_2)
	v_add_f32_e32 v177, v179, v177
	v_sub_f32_e32 v179, v180, v182
	s_delay_alu instid0(VALU_DEP_2) | instskip(NEXT) | instid1(VALU_DEP_2)
	v_add_f32_e32 v177, v180, v177
	v_sub_f32_e32 v180, v180, v179
	s_delay_alu instid0(VALU_DEP_2) | instskip(NEXT) | instid1(VALU_DEP_1)
	v_dual_sub_f32 v176, v176, v179 :: v_dual_add_f32 v183, v181, v177
	v_dual_sub_f32 v180, v182, v180 :: v_dual_sub_f32 v179, v183, v181
	s_delay_alu instid0(VALU_DEP_1) | instskip(NEXT) | instid1(VALU_DEP_1)
	v_dual_add_f32 v176, v176, v180 :: v_dual_sub_f32 v177, v177, v179
	v_add_f32_e32 v176, v176, v177
	s_delay_alu instid0(VALU_DEP_1) | instskip(NEXT) | instid1(VALU_DEP_1)
	v_add_f32_e32 v176, v183, v176
	v_cndmask_b32_e32 v176, v176, v178, vcc_lo
	s_delay_alu instid0(VALU_DEP_1)
	v_add_f32_e32 v176, v21, v176
.LBB501_174:                            ;   in Loop: Header=BB501_152 Depth=1
	s_or_b32 exec_lo, exec_lo, s31
	s_delay_alu instid0(VALU_DEP_1) | instskip(SKIP_1) | instid1(VALU_DEP_2)
	v_bfe_u32 v21, v176, 16, 1
	v_cmp_o_f32_e32 vcc_lo, v176, v176
	v_add3_u32 v21, v176, v21, 0x7fff
	s_delay_alu instid0(VALU_DEP_1) | instskip(NEXT) | instid1(VALU_DEP_1)
	v_lshrrev_b32_e32 v21, 16, v21
	v_cndmask_b32_e32 v176, 0x7fc0, v21, vcc_lo
	s_delay_alu instid0(VALU_DEP_1)
	v_and_b32_e32 v21, 0xffff, v176
.LBB501_175:                            ;   in Loop: Header=BB501_152 Depth=1
	s_or_b32 exec_lo, exec_lo, vcc_hi
	s_waitcnt lgkmcnt(0)
	ds_bpermute_b32 v177, v165, v21
	s_mov_b32 vcc_hi, exec_lo
	v_cmpx_le_u32_e64 v167, v20
	s_cbranch_execz .LBB501_179
; %bb.176:                              ;   in Loop: Header=BB501_152 Depth=1
	v_lshlrev_b32_e32 v20, 16, v21
	s_waitcnt lgkmcnt(0)
	s_delay_alu instid0(VALU_DEP_1) | instskip(NEXT) | instid1(VALU_DEP_1)
	v_dual_max_f32 v176, v20, v20 :: v_dual_lshlrev_b32 v21, 16, v177
	v_max_f32_e32 v177, v21, v21
	v_cmp_u_f32_e32 vcc_lo, v21, v21
	s_delay_alu instid0(VALU_DEP_2) | instskip(NEXT) | instid1(VALU_DEP_1)
	v_min_f32_e32 v178, v177, v176
	v_dual_max_f32 v176, v177, v176 :: v_dual_cndmask_b32 v177, v178, v21
	s_delay_alu instid0(VALU_DEP_1) | instskip(SKIP_1) | instid1(VALU_DEP_3)
	v_cndmask_b32_e32 v178, v176, v21, vcc_lo
	v_cmp_u_f32_e32 vcc_lo, v20, v20
	v_cndmask_b32_e32 v176, v177, v20, vcc_lo
	s_delay_alu instid0(VALU_DEP_3) | instskip(NEXT) | instid1(VALU_DEP_2)
	v_cndmask_b32_e32 v20, v178, v20, vcc_lo
	v_cmp_class_f32_e64 s31, v176, 0x1f8
	s_delay_alu instid0(VALU_DEP_2) | instskip(NEXT) | instid1(VALU_DEP_2)
	v_cmp_neq_f32_e32 vcc_lo, v176, v20
	s_or_b32 vcc_lo, vcc_lo, s31
	s_delay_alu instid0(SALU_CYCLE_1)
	s_and_saveexec_b32 s31, vcc_lo
	s_cbranch_execz .LBB501_178
; %bb.177:                              ;   in Loop: Header=BB501_152 Depth=1
	v_sub_f32_e32 v21, v176, v20
	s_delay_alu instid0(VALU_DEP_1) | instskip(SKIP_1) | instid1(VALU_DEP_2)
	v_mul_f32_e32 v176, 0x3fb8aa3b, v21
	v_cmp_ngt_f32_e32 vcc_lo, 0xc2ce8ed0, v21
	v_fma_f32 v177, 0x3fb8aa3b, v21, -v176
	v_rndne_f32_e32 v178, v176
	s_delay_alu instid0(VALU_DEP_1) | instskip(NEXT) | instid1(VALU_DEP_1)
	v_dual_fmac_f32 v177, 0x32a5705f, v21 :: v_dual_sub_f32 v176, v176, v178
	v_add_f32_e32 v176, v176, v177
	v_cvt_i32_f32_e32 v177, v178
	s_delay_alu instid0(VALU_DEP_2) | instskip(SKIP_2) | instid1(VALU_DEP_1)
	v_exp_f32_e32 v176, v176
	s_waitcnt_depctr 0xfff
	v_ldexp_f32 v176, v176, v177
	v_cndmask_b32_e32 v176, 0, v176, vcc_lo
	v_cmp_nlt_f32_e32 vcc_lo, 0x42b17218, v21
	s_delay_alu instid0(VALU_DEP_2) | instskip(NEXT) | instid1(VALU_DEP_1)
	v_cndmask_b32_e32 v21, 0x7f800000, v176, vcc_lo
	v_add_f32_e32 v178, 1.0, v21
	s_delay_alu instid0(VALU_DEP_1) | instskip(NEXT) | instid1(VALU_DEP_1)
	v_cvt_f64_f32_e32 v[176:177], v178
	v_frexp_exp_i32_f64_e32 v176, v[176:177]
	v_frexp_mant_f32_e32 v177, v178
	s_delay_alu instid0(VALU_DEP_1) | instskip(SKIP_1) | instid1(VALU_DEP_1)
	v_cmp_gt_f32_e32 vcc_lo, 0x3f2aaaab, v177
	v_add_f32_e32 v177, -1.0, v178
	v_sub_f32_e32 v180, v177, v178
	s_delay_alu instid0(VALU_DEP_1) | instskip(NEXT) | instid1(VALU_DEP_1)
	v_dual_sub_f32 v177, v21, v177 :: v_dual_add_f32 v180, 1.0, v180
	v_add_f32_e32 v177, v177, v180
	v_subrev_co_ci_u32_e32 v176, vcc_lo, 0, v176, vcc_lo
	s_delay_alu instid0(VALU_DEP_1) | instskip(SKIP_1) | instid1(VALU_DEP_2)
	v_sub_nc_u32_e32 v179, 0, v176
	v_cvt_f32_i32_e32 v176, v176
	v_ldexp_f32 v178, v178, v179
	v_ldexp_f32 v177, v177, v179
	s_delay_alu instid0(VALU_DEP_2) | instskip(NEXT) | instid1(VALU_DEP_1)
	v_add_f32_e32 v179, -1.0, v178
	v_dual_add_f32 v181, 1.0, v178 :: v_dual_add_f32 v182, 1.0, v179
	s_delay_alu instid0(VALU_DEP_1) | instskip(SKIP_2) | instid1(VALU_DEP_3)
	v_add_f32_e32 v180, -1.0, v181
	v_cmp_eq_f32_e32 vcc_lo, 0x7f800000, v21
	v_cmp_gt_f32_e64 s34, 0x33800000, |v21|
	v_sub_f32_e32 v180, v178, v180
	v_sub_f32_e32 v178, v178, v182
	s_delay_alu instid0(VALU_DEP_3) | instskip(NEXT) | instid1(VALU_DEP_2)
	s_or_b32 vcc_lo, vcc_lo, s34
	v_add_f32_e32 v180, v177, v180
	s_delay_alu instid0(VALU_DEP_2) | instskip(NEXT) | instid1(VALU_DEP_1)
	v_add_f32_e32 v177, v177, v178
	v_dual_add_f32 v183, v179, v177 :: v_dual_add_f32 v182, v181, v180
	s_delay_alu instid0(VALU_DEP_1) | instskip(NEXT) | instid1(VALU_DEP_2)
	v_sub_f32_e32 v179, v179, v183
	v_rcp_f32_e32 v178, v182
	v_sub_f32_e32 v181, v181, v182
	s_delay_alu instid0(VALU_DEP_1) | instskip(SKIP_2) | instid1(VALU_DEP_1)
	v_dual_add_f32 v177, v177, v179 :: v_dual_add_f32 v180, v180, v181
	s_waitcnt_depctr 0xfff
	v_mul_f32_e32 v192, v183, v178
	v_mul_f32_e32 v193, v182, v192
	s_delay_alu instid0(VALU_DEP_1) | instskip(NEXT) | instid1(VALU_DEP_1)
	v_fma_f32 v181, v192, v182, -v193
	v_fmac_f32_e32 v181, v192, v180
	s_delay_alu instid0(VALU_DEP_1) | instskip(NEXT) | instid1(VALU_DEP_1)
	v_add_f32_e32 v194, v193, v181
	v_sub_f32_e32 v195, v183, v194
	s_delay_alu instid0(VALU_DEP_1) | instskip(SKIP_1) | instid1(VALU_DEP_2)
	v_sub_f32_e32 v183, v183, v195
	v_sub_f32_e32 v179, v194, v193
	;; [unrolled: 1-line block ×3, first 2 shown]
	s_delay_alu instid0(VALU_DEP_2) | instskip(NEXT) | instid1(VALU_DEP_2)
	v_sub_f32_e32 v179, v179, v181
	v_add_f32_e32 v177, v177, v183
	s_delay_alu instid0(VALU_DEP_1) | instskip(NEXT) | instid1(VALU_DEP_1)
	v_add_f32_e32 v177, v179, v177
	v_add_f32_e32 v179, v195, v177
	s_delay_alu instid0(VALU_DEP_1) | instskip(NEXT) | instid1(VALU_DEP_1)
	v_mul_f32_e32 v181, v178, v179
	v_dual_sub_f32 v194, v195, v179 :: v_dual_mul_f32 v183, v182, v181
	s_delay_alu instid0(VALU_DEP_1) | instskip(NEXT) | instid1(VALU_DEP_2)
	v_add_f32_e32 v177, v177, v194
	v_fma_f32 v182, v181, v182, -v183
	s_delay_alu instid0(VALU_DEP_1) | instskip(NEXT) | instid1(VALU_DEP_1)
	v_fmac_f32_e32 v182, v181, v180
	v_add_f32_e32 v180, v183, v182
	s_delay_alu instid0(VALU_DEP_1) | instskip(SKIP_1) | instid1(VALU_DEP_2)
	v_sub_f32_e32 v193, v179, v180
	v_sub_f32_e32 v183, v180, v183
	;; [unrolled: 1-line block ×3, first 2 shown]
	s_delay_alu instid0(VALU_DEP_1) | instskip(NEXT) | instid1(VALU_DEP_1)
	v_sub_f32_e32 v179, v179, v180
	v_dual_sub_f32 v180, v183, v182 :: v_dual_add_f32 v177, v177, v179
	v_add_f32_e32 v179, v192, v181
	s_delay_alu instid0(VALU_DEP_1) | instskip(NEXT) | instid1(VALU_DEP_1)
	v_dual_add_f32 v177, v180, v177 :: v_dual_sub_f32 v180, v179, v192
	v_add_f32_e32 v177, v193, v177
	s_delay_alu instid0(VALU_DEP_1) | instskip(NEXT) | instid1(VALU_DEP_1)
	v_dual_sub_f32 v180, v181, v180 :: v_dual_mul_f32 v177, v178, v177
	v_add_f32_e32 v177, v180, v177
	s_delay_alu instid0(VALU_DEP_1) | instskip(NEXT) | instid1(VALU_DEP_1)
	v_add_f32_e32 v178, v179, v177
	v_mul_f32_e32 v180, v178, v178
	s_delay_alu instid0(VALU_DEP_1) | instskip(SKIP_1) | instid1(VALU_DEP_2)
	v_fmaak_f32 v181, s30, v180, 0x3ecc95a3
	v_mul_f32_e32 v182, v178, v180
	v_fmaak_f32 v180, v180, v181, 0x3f2aaada
	v_ldexp_f32 v181, v178, 1
	v_sub_f32_e32 v178, v178, v179
	s_delay_alu instid0(VALU_DEP_3) | instskip(NEXT) | instid1(VALU_DEP_2)
	v_mul_f32_e32 v180, v182, v180
	v_dual_mul_f32 v182, 0x3f317218, v176 :: v_dual_sub_f32 v177, v177, v178
	s_delay_alu instid0(VALU_DEP_2) | instskip(NEXT) | instid1(VALU_DEP_2)
	v_add_f32_e32 v179, v181, v180
	v_ldexp_f32 v177, v177, 1
	s_delay_alu instid0(VALU_DEP_2) | instskip(NEXT) | instid1(VALU_DEP_4)
	v_sub_f32_e32 v178, v179, v181
	v_fma_f32 v181, 0x3f317218, v176, -v182
	s_delay_alu instid0(VALU_DEP_1) | instskip(NEXT) | instid1(VALU_DEP_1)
	v_dual_sub_f32 v178, v180, v178 :: v_dual_fmac_f32 v181, 0xb102e308, v176
	v_add_f32_e32 v176, v177, v178
	s_delay_alu instid0(VALU_DEP_1) | instskip(NEXT) | instid1(VALU_DEP_1)
	v_add_f32_e32 v178, v179, v176
	v_sub_f32_e32 v179, v178, v179
	s_delay_alu instid0(VALU_DEP_1) | instskip(NEXT) | instid1(VALU_DEP_1)
	v_dual_sub_f32 v176, v176, v179 :: v_dual_add_f32 v177, v182, v181
	v_add_f32_e32 v180, v177, v178
	s_delay_alu instid0(VALU_DEP_1) | instskip(NEXT) | instid1(VALU_DEP_1)
	v_dual_sub_f32 v182, v177, v182 :: v_dual_sub_f32 v183, v180, v177
	v_dual_sub_f32 v181, v181, v182 :: v_dual_sub_f32 v192, v180, v183
	s_delay_alu instid0(VALU_DEP_1) | instskip(NEXT) | instid1(VALU_DEP_2)
	v_dual_sub_f32 v178, v178, v183 :: v_dual_add_f32 v179, v181, v176
	v_sub_f32_e32 v177, v177, v192
	s_delay_alu instid0(VALU_DEP_1) | instskip(NEXT) | instid1(VALU_DEP_3)
	v_add_f32_e32 v177, v178, v177
	v_sub_f32_e32 v178, v179, v181
	s_delay_alu instid0(VALU_DEP_2) | instskip(NEXT) | instid1(VALU_DEP_2)
	v_add_f32_e32 v177, v179, v177
	v_sub_f32_e32 v179, v179, v178
	v_sub_f32_e32 v176, v176, v178
	s_delay_alu instid0(VALU_DEP_2) | instskip(NEXT) | instid1(VALU_DEP_1)
	v_dual_add_f32 v182, v180, v177 :: v_dual_sub_f32 v179, v181, v179
	v_sub_f32_e32 v178, v182, v180
	s_delay_alu instid0(VALU_DEP_1) | instskip(NEXT) | instid1(VALU_DEP_1)
	v_dual_add_f32 v176, v176, v179 :: v_dual_sub_f32 v177, v177, v178
	v_add_f32_e32 v176, v176, v177
	s_delay_alu instid0(VALU_DEP_1) | instskip(NEXT) | instid1(VALU_DEP_1)
	v_add_f32_e32 v176, v182, v176
	v_cndmask_b32_e32 v21, v176, v21, vcc_lo
	s_delay_alu instid0(VALU_DEP_1)
	v_add_f32_e32 v21, v20, v21
.LBB501_178:                            ;   in Loop: Header=BB501_152 Depth=1
	s_or_b32 exec_lo, exec_lo, s31
	s_delay_alu instid0(VALU_DEP_1) | instskip(SKIP_1) | instid1(VALU_DEP_2)
	v_bfe_u32 v20, v21, 16, 1
	v_cmp_o_f32_e32 vcc_lo, v21, v21
	v_add3_u32 v20, v21, v20, 0x7fff
	s_delay_alu instid0(VALU_DEP_1) | instskip(NEXT) | instid1(VALU_DEP_1)
	v_lshrrev_b32_e32 v20, 16, v20
	v_cndmask_b32_e32 v176, 0x7fc0, v20, vcc_lo
.LBB501_179:                            ;   in Loop: Header=BB501_152 Depth=1
	s_or_b32 exec_lo, exec_lo, vcc_hi
	s_delay_alu instid0(VALU_DEP_1) | instskip(SKIP_1) | instid1(VALU_DEP_1)
	v_lshlrev_b32_e32 v21, 16, v176
	s_waitcnt lgkmcnt(0)
	v_dual_max_f32 v177, v21, v21 :: v_dual_lshlrev_b32 v20, 16, v166
	v_cmp_u_f32_e32 vcc_lo, v21, v21
	s_delay_alu instid0(VALU_DEP_2) | instskip(NEXT) | instid1(VALU_DEP_1)
	v_max_f32_e32 v176, v20, v20
	v_min_f32_e32 v178, v177, v176
	s_delay_alu instid0(VALU_DEP_1) | instskip(NEXT) | instid1(VALU_DEP_1)
	v_dual_max_f32 v176, v177, v176 :: v_dual_cndmask_b32 v177, v178, v21
	v_cndmask_b32_e32 v178, v176, v21, vcc_lo
	v_cmp_u_f32_e32 vcc_lo, v20, v20
	s_delay_alu instid0(VALU_DEP_3) | instskip(NEXT) | instid1(VALU_DEP_3)
	v_cndmask_b32_e32 v176, v177, v20, vcc_lo
	v_cndmask_b32_e32 v20, v178, v20, vcc_lo
	s_delay_alu instid0(VALU_DEP_1) | instskip(SKIP_1) | instid1(VALU_DEP_1)
	v_cmp_neq_f32_e32 vcc_lo, v176, v20
	v_cmp_class_f32_e64 vcc_hi, v176, 0x1f8
	s_or_b32 vcc_lo, vcc_lo, vcc_hi
	s_delay_alu instid0(SALU_CYCLE_1)
	s_and_saveexec_b32 vcc_hi, vcc_lo
	s_cbranch_execz .LBB501_181
; %bb.180:                              ;   in Loop: Header=BB501_152 Depth=1
	v_sub_f32_e32 v21, v176, v20
	s_delay_alu instid0(VALU_DEP_1) | instskip(SKIP_1) | instid1(VALU_DEP_2)
	v_mul_f32_e32 v176, 0x3fb8aa3b, v21
	v_cmp_ngt_f32_e32 vcc_lo, 0xc2ce8ed0, v21
	v_fma_f32 v177, 0x3fb8aa3b, v21, -v176
	v_rndne_f32_e32 v178, v176
	s_delay_alu instid0(VALU_DEP_1) | instskip(NEXT) | instid1(VALU_DEP_1)
	v_dual_fmac_f32 v177, 0x32a5705f, v21 :: v_dual_sub_f32 v176, v176, v178
	v_add_f32_e32 v176, v176, v177
	v_cvt_i32_f32_e32 v177, v178
	s_delay_alu instid0(VALU_DEP_2) | instskip(SKIP_2) | instid1(VALU_DEP_1)
	v_exp_f32_e32 v176, v176
	s_waitcnt_depctr 0xfff
	v_ldexp_f32 v176, v176, v177
	v_cndmask_b32_e32 v176, 0, v176, vcc_lo
	v_cmp_nlt_f32_e32 vcc_lo, 0x42b17218, v21
	s_delay_alu instid0(VALU_DEP_2) | instskip(NEXT) | instid1(VALU_DEP_1)
	v_cndmask_b32_e32 v21, 0x7f800000, v176, vcc_lo
	v_add_f32_e32 v178, 1.0, v21
	s_delay_alu instid0(VALU_DEP_1) | instskip(NEXT) | instid1(VALU_DEP_1)
	v_cvt_f64_f32_e32 v[176:177], v178
	v_frexp_exp_i32_f64_e32 v176, v[176:177]
	v_frexp_mant_f32_e32 v177, v178
	s_delay_alu instid0(VALU_DEP_1) | instskip(SKIP_1) | instid1(VALU_DEP_1)
	v_cmp_gt_f32_e32 vcc_lo, 0x3f2aaaab, v177
	v_add_f32_e32 v177, -1.0, v178
	v_sub_f32_e32 v180, v177, v178
	s_delay_alu instid0(VALU_DEP_1) | instskip(NEXT) | instid1(VALU_DEP_1)
	v_dual_sub_f32 v177, v21, v177 :: v_dual_add_f32 v180, 1.0, v180
	v_add_f32_e32 v177, v177, v180
	v_subrev_co_ci_u32_e32 v176, vcc_lo, 0, v176, vcc_lo
	s_delay_alu instid0(VALU_DEP_1) | instskip(SKIP_1) | instid1(VALU_DEP_2)
	v_sub_nc_u32_e32 v179, 0, v176
	v_cvt_f32_i32_e32 v176, v176
	v_ldexp_f32 v178, v178, v179
	v_ldexp_f32 v177, v177, v179
	s_delay_alu instid0(VALU_DEP_2) | instskip(NEXT) | instid1(VALU_DEP_1)
	v_add_f32_e32 v179, -1.0, v178
	v_dual_add_f32 v181, 1.0, v178 :: v_dual_add_f32 v182, 1.0, v179
	s_delay_alu instid0(VALU_DEP_1) | instskip(SKIP_2) | instid1(VALU_DEP_3)
	v_add_f32_e32 v180, -1.0, v181
	v_cmp_eq_f32_e32 vcc_lo, 0x7f800000, v21
	v_cmp_gt_f32_e64 s31, 0x33800000, |v21|
	v_sub_f32_e32 v180, v178, v180
	v_sub_f32_e32 v178, v178, v182
	s_delay_alu instid0(VALU_DEP_3) | instskip(NEXT) | instid1(VALU_DEP_2)
	s_or_b32 vcc_lo, vcc_lo, s31
	v_add_f32_e32 v180, v177, v180
	s_delay_alu instid0(VALU_DEP_2) | instskip(NEXT) | instid1(VALU_DEP_1)
	v_add_f32_e32 v177, v177, v178
	v_dual_add_f32 v183, v179, v177 :: v_dual_add_f32 v182, v181, v180
	s_delay_alu instid0(VALU_DEP_1) | instskip(NEXT) | instid1(VALU_DEP_2)
	v_sub_f32_e32 v179, v179, v183
	v_rcp_f32_e32 v178, v182
	v_sub_f32_e32 v181, v181, v182
	s_delay_alu instid0(VALU_DEP_1) | instskip(SKIP_2) | instid1(VALU_DEP_1)
	v_dual_add_f32 v177, v177, v179 :: v_dual_add_f32 v180, v180, v181
	s_waitcnt_depctr 0xfff
	v_mul_f32_e32 v192, v183, v178
	v_mul_f32_e32 v193, v182, v192
	s_delay_alu instid0(VALU_DEP_1) | instskip(NEXT) | instid1(VALU_DEP_1)
	v_fma_f32 v181, v192, v182, -v193
	v_fmac_f32_e32 v181, v192, v180
	s_delay_alu instid0(VALU_DEP_1) | instskip(NEXT) | instid1(VALU_DEP_1)
	v_add_f32_e32 v194, v193, v181
	v_sub_f32_e32 v195, v183, v194
	s_delay_alu instid0(VALU_DEP_1) | instskip(SKIP_1) | instid1(VALU_DEP_2)
	v_sub_f32_e32 v183, v183, v195
	v_sub_f32_e32 v179, v194, v193
	v_sub_f32_e32 v183, v183, v194
	s_delay_alu instid0(VALU_DEP_2) | instskip(NEXT) | instid1(VALU_DEP_2)
	v_sub_f32_e32 v179, v179, v181
	v_add_f32_e32 v177, v177, v183
	s_delay_alu instid0(VALU_DEP_1) | instskip(NEXT) | instid1(VALU_DEP_1)
	v_add_f32_e32 v177, v179, v177
	v_add_f32_e32 v179, v195, v177
	s_delay_alu instid0(VALU_DEP_1) | instskip(NEXT) | instid1(VALU_DEP_1)
	v_mul_f32_e32 v181, v178, v179
	v_dual_sub_f32 v194, v195, v179 :: v_dual_mul_f32 v183, v182, v181
	s_delay_alu instid0(VALU_DEP_1) | instskip(NEXT) | instid1(VALU_DEP_2)
	v_add_f32_e32 v177, v177, v194
	v_fma_f32 v182, v181, v182, -v183
	s_delay_alu instid0(VALU_DEP_1) | instskip(NEXT) | instid1(VALU_DEP_1)
	v_fmac_f32_e32 v182, v181, v180
	v_add_f32_e32 v180, v183, v182
	s_delay_alu instid0(VALU_DEP_1) | instskip(SKIP_1) | instid1(VALU_DEP_2)
	v_sub_f32_e32 v193, v179, v180
	v_sub_f32_e32 v183, v180, v183
	v_sub_f32_e32 v179, v179, v193
	s_delay_alu instid0(VALU_DEP_1) | instskip(NEXT) | instid1(VALU_DEP_1)
	v_sub_f32_e32 v179, v179, v180
	v_dual_sub_f32 v180, v183, v182 :: v_dual_add_f32 v177, v177, v179
	v_add_f32_e32 v179, v192, v181
	s_delay_alu instid0(VALU_DEP_1) | instskip(NEXT) | instid1(VALU_DEP_1)
	v_dual_add_f32 v177, v180, v177 :: v_dual_sub_f32 v180, v179, v192
	v_add_f32_e32 v177, v193, v177
	s_delay_alu instid0(VALU_DEP_1) | instskip(NEXT) | instid1(VALU_DEP_1)
	v_dual_sub_f32 v180, v181, v180 :: v_dual_mul_f32 v177, v178, v177
	v_add_f32_e32 v177, v180, v177
	s_delay_alu instid0(VALU_DEP_1) | instskip(NEXT) | instid1(VALU_DEP_1)
	v_add_f32_e32 v178, v179, v177
	v_mul_f32_e32 v180, v178, v178
	s_delay_alu instid0(VALU_DEP_1) | instskip(SKIP_1) | instid1(VALU_DEP_2)
	v_fmaak_f32 v181, s30, v180, 0x3ecc95a3
	v_mul_f32_e32 v182, v178, v180
	v_fmaak_f32 v180, v180, v181, 0x3f2aaada
	v_ldexp_f32 v181, v178, 1
	v_sub_f32_e32 v178, v178, v179
	s_delay_alu instid0(VALU_DEP_3) | instskip(NEXT) | instid1(VALU_DEP_2)
	v_mul_f32_e32 v180, v182, v180
	v_dual_mul_f32 v182, 0x3f317218, v176 :: v_dual_sub_f32 v177, v177, v178
	s_delay_alu instid0(VALU_DEP_2) | instskip(NEXT) | instid1(VALU_DEP_2)
	v_add_f32_e32 v179, v181, v180
	v_ldexp_f32 v177, v177, 1
	s_delay_alu instid0(VALU_DEP_2) | instskip(NEXT) | instid1(VALU_DEP_4)
	v_sub_f32_e32 v178, v179, v181
	v_fma_f32 v181, 0x3f317218, v176, -v182
	s_delay_alu instid0(VALU_DEP_1) | instskip(NEXT) | instid1(VALU_DEP_1)
	v_dual_sub_f32 v178, v180, v178 :: v_dual_fmac_f32 v181, 0xb102e308, v176
	v_add_f32_e32 v176, v177, v178
	s_delay_alu instid0(VALU_DEP_1) | instskip(NEXT) | instid1(VALU_DEP_1)
	v_add_f32_e32 v178, v179, v176
	v_sub_f32_e32 v179, v178, v179
	s_delay_alu instid0(VALU_DEP_1) | instskip(NEXT) | instid1(VALU_DEP_1)
	v_dual_sub_f32 v176, v176, v179 :: v_dual_add_f32 v177, v182, v181
	v_add_f32_e32 v180, v177, v178
	s_delay_alu instid0(VALU_DEP_1) | instskip(NEXT) | instid1(VALU_DEP_1)
	v_dual_sub_f32 v182, v177, v182 :: v_dual_sub_f32 v183, v180, v177
	v_dual_sub_f32 v181, v181, v182 :: v_dual_sub_f32 v192, v180, v183
	s_delay_alu instid0(VALU_DEP_1) | instskip(NEXT) | instid1(VALU_DEP_2)
	v_dual_sub_f32 v178, v178, v183 :: v_dual_add_f32 v179, v181, v176
	v_sub_f32_e32 v177, v177, v192
	s_delay_alu instid0(VALU_DEP_1) | instskip(NEXT) | instid1(VALU_DEP_3)
	v_add_f32_e32 v177, v178, v177
	v_sub_f32_e32 v178, v179, v181
	s_delay_alu instid0(VALU_DEP_2) | instskip(NEXT) | instid1(VALU_DEP_2)
	v_add_f32_e32 v177, v179, v177
	v_sub_f32_e32 v179, v179, v178
	v_sub_f32_e32 v176, v176, v178
	s_delay_alu instid0(VALU_DEP_2) | instskip(NEXT) | instid1(VALU_DEP_1)
	v_dual_add_f32 v182, v180, v177 :: v_dual_sub_f32 v179, v181, v179
	v_sub_f32_e32 v178, v182, v180
	s_delay_alu instid0(VALU_DEP_1) | instskip(NEXT) | instid1(VALU_DEP_1)
	v_dual_add_f32 v176, v176, v179 :: v_dual_sub_f32 v177, v177, v178
	v_add_f32_e32 v176, v176, v177
	s_delay_alu instid0(VALU_DEP_1) | instskip(NEXT) | instid1(VALU_DEP_1)
	v_add_f32_e32 v176, v182, v176
	v_cndmask_b32_e32 v21, v176, v21, vcc_lo
	s_delay_alu instid0(VALU_DEP_1)
	v_add_f32_e32 v21, v20, v21
.LBB501_181:                            ;   in Loop: Header=BB501_152 Depth=1
	s_or_b32 exec_lo, exec_lo, vcc_hi
	s_delay_alu instid0(VALU_DEP_1) | instskip(SKIP_2) | instid1(VALU_DEP_3)
	v_bfe_u32 v20, v21, 16, 1
	v_cmp_o_f32_e32 vcc_lo, v21, v21
	v_subrev_nc_u32_e32 v18, 32, v18
	v_add3_u32 v20, v21, v20, 0x7fff
	s_delay_alu instid0(VALU_DEP_1) | instskip(NEXT) | instid1(VALU_DEP_1)
	v_lshrrev_b32_e32 v20, 16, v20
	v_cndmask_b32_e32 v21, 0x7fc0, v20, vcc_lo
	s_branch .LBB501_152
.LBB501_182:
	s_and_saveexec_b32 vcc_hi, s26
	s_cbranch_execz .LBB501_186
; %bb.183:
	v_lshlrev_b32_e32 v19, 16, v166
	s_delay_alu instid0(VALU_DEP_1) | instskip(NEXT) | instid1(VALU_DEP_1)
	v_dual_max_f32 v21, v19, v19 :: v_dual_lshlrev_b32 v18, 16, v146
	v_max_f32_e32 v20, v18, v18
	s_delay_alu instid0(VALU_DEP_1) | instskip(SKIP_1) | instid1(VALU_DEP_2)
	v_min_f32_e32 v146, v21, v20
	v_cmp_u_f32_e32 vcc_lo, v19, v19
	v_dual_max_f32 v20, v21, v20 :: v_dual_cndmask_b32 v21, v146, v19
	s_delay_alu instid0(VALU_DEP_1) | instskip(SKIP_1) | instid1(VALU_DEP_3)
	v_cndmask_b32_e32 v146, v20, v19, vcc_lo
	v_cmp_u_f32_e32 vcc_lo, v18, v18
	v_cndmask_b32_e32 v20, v21, v18, vcc_lo
	s_delay_alu instid0(VALU_DEP_3) | instskip(NEXT) | instid1(VALU_DEP_2)
	v_cndmask_b32_e32 v18, v146, v18, vcc_lo
	v_cmp_class_f32_e64 s26, v20, 0x1f8
	s_delay_alu instid0(VALU_DEP_2) | instskip(NEXT) | instid1(VALU_DEP_2)
	v_cmp_neq_f32_e32 vcc_lo, v20, v18
	s_or_b32 vcc_lo, vcc_lo, s26
	s_delay_alu instid0(SALU_CYCLE_1)
	s_and_saveexec_b32 s26, vcc_lo
	s_cbranch_execz .LBB501_185
; %bb.184:
	v_sub_f32_e32 v19, v20, v18
	s_mov_b32 s30, 0x3e9b6dac
	s_delay_alu instid0(VALU_DEP_1) | instskip(SKIP_1) | instid1(VALU_DEP_2)
	v_mul_f32_e32 v20, 0x3fb8aa3b, v19
	v_cmp_ngt_f32_e32 vcc_lo, 0xc2ce8ed0, v19
	v_fma_f32 v21, 0x3fb8aa3b, v19, -v20
	v_rndne_f32_e32 v146, v20
	s_delay_alu instid0(VALU_DEP_1) | instskip(NEXT) | instid1(VALU_DEP_1)
	v_dual_fmamk_f32 v21, v19, 0x32a5705f, v21 :: v_dual_sub_f32 v20, v20, v146
	v_add_f32_e32 v20, v20, v21
	v_cvt_i32_f32_e32 v21, v146
	s_delay_alu instid0(VALU_DEP_2) | instskip(SKIP_2) | instid1(VALU_DEP_1)
	v_exp_f32_e32 v20, v20
	s_waitcnt_depctr 0xfff
	v_ldexp_f32 v20, v20, v21
	v_cndmask_b32_e32 v20, 0, v20, vcc_lo
	v_cmp_nlt_f32_e32 vcc_lo, 0x42b17218, v19
	s_delay_alu instid0(VALU_DEP_2) | instskip(NEXT) | instid1(VALU_DEP_1)
	v_cndmask_b32_e32 v21, 0x7f800000, v20, vcc_lo
	v_add_f32_e32 v146, 1.0, v21
	s_delay_alu instid0(VALU_DEP_1) | instskip(NEXT) | instid1(VALU_DEP_1)
	v_cvt_f64_f32_e32 v[19:20], v146
	v_frexp_exp_i32_f64_e32 v19, v[19:20]
	v_frexp_mant_f32_e32 v20, v146
	s_delay_alu instid0(VALU_DEP_1) | instskip(SKIP_1) | instid1(VALU_DEP_1)
	v_cmp_gt_f32_e32 vcc_lo, 0x3f2aaaab, v20
	v_add_f32_e32 v20, -1.0, v146
	v_sub_f32_e32 v148, v20, v146
	v_sub_f32_e32 v20, v21, v20
	v_subrev_co_ci_u32_e32 v19, vcc_lo, 0, v19, vcc_lo
	v_cmp_eq_f32_e32 vcc_lo, 0x7f800000, v21
	s_delay_alu instid0(VALU_DEP_2) | instskip(SKIP_1) | instid1(VALU_DEP_2)
	v_sub_nc_u32_e32 v147, 0, v19
	v_cvt_f32_i32_e32 v19, v19
	v_ldexp_f32 v146, v146, v147
	s_delay_alu instid0(VALU_DEP_1) | instskip(NEXT) | instid1(VALU_DEP_1)
	v_dual_add_f32 v149, 1.0, v146 :: v_dual_add_f32 v148, 1.0, v148
	v_add_f32_e32 v20, v20, v148
	s_delay_alu instid0(VALU_DEP_2) | instskip(NEXT) | instid1(VALU_DEP_2)
	v_add_f32_e32 v148, -1.0, v149
	v_ldexp_f32 v20, v20, v147
	s_delay_alu instid0(VALU_DEP_2) | instskip(NEXT) | instid1(VALU_DEP_1)
	v_dual_add_f32 v147, -1.0, v146 :: v_dual_sub_f32 v148, v146, v148
	v_add_f32_e32 v150, 1.0, v147
	s_delay_alu instid0(VALU_DEP_2) | instskip(NEXT) | instid1(VALU_DEP_2)
	v_add_f32_e32 v148, v20, v148
	v_sub_f32_e32 v146, v146, v150
	s_delay_alu instid0(VALU_DEP_2) | instskip(NEXT) | instid1(VALU_DEP_2)
	v_add_f32_e32 v150, v149, v148
	v_add_f32_e32 v20, v20, v146
	s_delay_alu instid0(VALU_DEP_2) | instskip(SKIP_1) | instid1(VALU_DEP_1)
	v_rcp_f32_e32 v146, v150
	v_sub_f32_e32 v149, v149, v150
	v_dual_add_f32 v151, v147, v20 :: v_dual_add_f32 v148, v148, v149
	s_delay_alu instid0(VALU_DEP_1) | instskip(SKIP_2) | instid1(VALU_DEP_1)
	v_sub_f32_e32 v147, v147, v151
	s_waitcnt_depctr 0xfff
	v_mul_f32_e32 v160, v151, v146
	v_dual_add_f32 v20, v20, v147 :: v_dual_mul_f32 v161, v150, v160
	s_delay_alu instid0(VALU_DEP_1) | instskip(NEXT) | instid1(VALU_DEP_1)
	v_fma_f32 v149, v160, v150, -v161
	v_fmac_f32_e32 v149, v160, v148
	s_delay_alu instid0(VALU_DEP_1) | instskip(NEXT) | instid1(VALU_DEP_1)
	v_add_f32_e32 v162, v161, v149
	v_sub_f32_e32 v163, v151, v162
	v_sub_f32_e32 v147, v162, v161
	s_delay_alu instid0(VALU_DEP_2) | instskip(NEXT) | instid1(VALU_DEP_2)
	v_sub_f32_e32 v151, v151, v163
	v_sub_f32_e32 v147, v147, v149
	s_delay_alu instid0(VALU_DEP_2) | instskip(NEXT) | instid1(VALU_DEP_1)
	v_sub_f32_e32 v151, v151, v162
	v_add_f32_e32 v20, v20, v151
	s_delay_alu instid0(VALU_DEP_1) | instskip(NEXT) | instid1(VALU_DEP_1)
	v_add_f32_e32 v20, v147, v20
	v_add_f32_e32 v147, v163, v20
	s_delay_alu instid0(VALU_DEP_1) | instskip(NEXT) | instid1(VALU_DEP_1)
	v_mul_f32_e32 v149, v146, v147
	v_dual_sub_f32 v162, v163, v147 :: v_dual_mul_f32 v151, v150, v149
	s_delay_alu instid0(VALU_DEP_1) | instskip(NEXT) | instid1(VALU_DEP_2)
	v_add_f32_e32 v20, v20, v162
	v_fma_f32 v150, v149, v150, -v151
	s_delay_alu instid0(VALU_DEP_1) | instskip(NEXT) | instid1(VALU_DEP_1)
	v_fmac_f32_e32 v150, v149, v148
	v_add_f32_e32 v148, v151, v150
	s_delay_alu instid0(VALU_DEP_1) | instskip(SKIP_1) | instid1(VALU_DEP_2)
	v_sub_f32_e32 v161, v147, v148
	v_sub_f32_e32 v151, v148, v151
	;; [unrolled: 1-line block ×3, first 2 shown]
	s_delay_alu instid0(VALU_DEP_1) | instskip(NEXT) | instid1(VALU_DEP_3)
	v_sub_f32_e32 v147, v147, v148
	v_sub_f32_e32 v148, v151, v150
	s_delay_alu instid0(VALU_DEP_2) | instskip(SKIP_1) | instid1(VALU_DEP_2)
	v_add_f32_e32 v20, v20, v147
	v_add_f32_e32 v147, v160, v149
	;; [unrolled: 1-line block ×3, first 2 shown]
	s_delay_alu instid0(VALU_DEP_2) | instskip(NEXT) | instid1(VALU_DEP_2)
	v_sub_f32_e32 v148, v147, v160
	v_add_f32_e32 v20, v161, v20
	s_delay_alu instid0(VALU_DEP_2) | instskip(NEXT) | instid1(VALU_DEP_2)
	v_sub_f32_e32 v148, v149, v148
	v_mul_f32_e32 v20, v146, v20
	s_delay_alu instid0(VALU_DEP_1) | instskip(NEXT) | instid1(VALU_DEP_1)
	v_add_f32_e32 v20, v148, v20
	v_add_f32_e32 v146, v147, v20
	s_delay_alu instid0(VALU_DEP_1) | instskip(NEXT) | instid1(VALU_DEP_1)
	v_mul_f32_e32 v148, v146, v146
	v_fmaak_f32 v149, s30, v148, 0x3ecc95a3
	v_mul_f32_e32 v150, v146, v148
	v_cmp_gt_f32_e64 s30, 0x33800000, |v21|
	s_delay_alu instid0(VALU_DEP_3) | instskip(SKIP_2) | instid1(VALU_DEP_4)
	v_fmaak_f32 v148, v148, v149, 0x3f2aaada
	v_ldexp_f32 v149, v146, 1
	v_sub_f32_e32 v146, v146, v147
	s_or_b32 vcc_lo, vcc_lo, s30
	s_delay_alu instid0(VALU_DEP_3) | instskip(SKIP_1) | instid1(VALU_DEP_2)
	v_mul_f32_e32 v148, v150, v148
	v_mul_f32_e32 v150, 0x3f317218, v19
	v_dual_sub_f32 v20, v20, v146 :: v_dual_add_f32 v147, v149, v148
	s_delay_alu instid0(VALU_DEP_1) | instskip(NEXT) | instid1(VALU_DEP_2)
	v_ldexp_f32 v20, v20, 1
	v_sub_f32_e32 v146, v147, v149
	s_delay_alu instid0(VALU_DEP_4) | instskip(NEXT) | instid1(VALU_DEP_1)
	v_fma_f32 v149, 0x3f317218, v19, -v150
	v_dual_sub_f32 v146, v148, v146 :: v_dual_fmamk_f32 v19, v19, 0xb102e308, v149
	s_delay_alu instid0(VALU_DEP_1) | instskip(NEXT) | instid1(VALU_DEP_2)
	v_add_f32_e32 v20, v20, v146
	v_add_f32_e32 v146, v150, v19
	s_delay_alu instid0(VALU_DEP_2) | instskip(NEXT) | instid1(VALU_DEP_2)
	v_add_f32_e32 v148, v147, v20
	v_sub_f32_e32 v150, v146, v150
	s_delay_alu instid0(VALU_DEP_2) | instskip(SKIP_1) | instid1(VALU_DEP_3)
	v_add_f32_e32 v149, v146, v148
	v_sub_f32_e32 v147, v148, v147
	v_sub_f32_e32 v19, v19, v150
	s_delay_alu instid0(VALU_DEP_2) | instskip(NEXT) | instid1(VALU_DEP_1)
	v_dual_sub_f32 v151, v149, v146 :: v_dual_sub_f32 v20, v20, v147
	v_sub_f32_e32 v160, v149, v151
	s_delay_alu instid0(VALU_DEP_2) | instskip(NEXT) | instid1(VALU_DEP_2)
	v_dual_sub_f32 v147, v148, v151 :: v_dual_add_f32 v148, v19, v20
	v_sub_f32_e32 v146, v146, v160
	s_delay_alu instid0(VALU_DEP_1) | instskip(NEXT) | instid1(VALU_DEP_1)
	v_dual_add_f32 v146, v147, v146 :: v_dual_sub_f32 v147, v148, v19
	v_add_f32_e32 v146, v148, v146
	s_delay_alu instid0(VALU_DEP_2) | instskip(SKIP_1) | instid1(VALU_DEP_2)
	v_sub_f32_e32 v148, v148, v147
	v_sub_f32_e32 v20, v20, v147
	v_dual_add_f32 v150, v149, v146 :: v_dual_sub_f32 v19, v19, v148
	s_delay_alu instid0(VALU_DEP_1) | instskip(NEXT) | instid1(VALU_DEP_2)
	v_sub_f32_e32 v147, v150, v149
	v_add_f32_e32 v19, v20, v19
	s_delay_alu instid0(VALU_DEP_2) | instskip(NEXT) | instid1(VALU_DEP_1)
	v_sub_f32_e32 v20, v146, v147
	v_add_f32_e32 v19, v19, v20
	s_delay_alu instid0(VALU_DEP_1) | instskip(NEXT) | instid1(VALU_DEP_1)
	v_add_f32_e32 v19, v150, v19
	v_cndmask_b32_e32 v19, v19, v21, vcc_lo
	s_delay_alu instid0(VALU_DEP_1)
	v_add_f32_e32 v19, v18, v19
.LBB501_185:
	s_or_b32 exec_lo, exec_lo, s26
	s_delay_alu instid0(VALU_DEP_1) | instskip(SKIP_2) | instid1(SALU_CYCLE_1)
	v_bfe_u32 v18, v19, 16, 1
	s_add_i32 s30, s12, 32
	s_mov_b32 s31, 0
	s_lshl_b64 s[30:31], s[30:31], 2
	s_delay_alu instid0(VALU_DEP_1) | instskip(SKIP_2) | instid1(VALU_DEP_3)
	v_add3_u32 v18, v19, v18, 0x7fff
	v_add_co_u32 v20, vcc_lo, v14, s30
	v_add_co_ci_u32_e32 v21, vcc_lo, s31, v15, vcc_lo
	v_lshrrev_b32_e32 v18, 16, v18
	v_cmp_o_f32_e32 vcc_lo, v19, v19
	s_delay_alu instid0(VALU_DEP_2) | instskip(NEXT) | instid1(VALU_DEP_1)
	v_or_b32_e32 v18, 0x20000, v18
	v_cndmask_b32_e32 v18, 0x27fc0, v18, vcc_lo
	flat_store_b32 v[20:21], v18
.LBB501_186:
	s_or_b32 exec_lo, exec_lo, vcc_hi
	s_delay_alu instid0(SALU_CYCLE_1)
	s_and_b32 exec_lo, exec_lo, s25
	s_cbranch_execz .LBB501_188
; %bb.187:
	v_mov_b32_e32 v18, 0
	ds_store_b16 v18, v166
.LBB501_188:
	s_or_b32 exec_lo, exec_lo, s27
	v_mov_b32_e32 v18, 0
	s_waitcnt lgkmcnt(0)
	s_waitcnt_vscnt null, 0x0
	s_barrier
	buffer_gl0_inv
	ds_load_u16 v18, v18
	s_and_saveexec_b32 s12, s24
	s_cbranch_execz .LBB501_192
; %bb.189:
	v_lshlrev_b32_e32 v20, 16, v145
	s_delay_alu instid0(VALU_DEP_1) | instskip(NEXT) | instid1(VALU_DEP_1)
	v_max_f32_e32 v19, v20, v20
	v_min_f32_e32 v21, v19, v144
	v_max_f32_e32 v19, v19, v144
	v_cmp_u_f32_e32 vcc_lo, v20, v20
	s_delay_alu instid0(VALU_DEP_3) | instskip(NEXT) | instid1(VALU_DEP_3)
	v_cndmask_b32_e32 v21, v21, v20, vcc_lo
	v_cndmask_b32_e32 v19, v19, v20, vcc_lo
	s_delay_alu instid0(VALU_DEP_2) | instskip(NEXT) | instid1(VALU_DEP_2)
	v_cndmask_b32_e64 v21, v21, v135, s23
	v_cndmask_b32_e64 v19, v19, v135, s23
	s_delay_alu instid0(VALU_DEP_2) | instskip(NEXT) | instid1(VALU_DEP_2)
	v_cmp_class_f32_e64 s23, v21, 0x1f8
	v_cmp_neq_f32_e32 vcc_lo, v21, v19
	s_delay_alu instid0(VALU_DEP_2) | instskip(NEXT) | instid1(SALU_CYCLE_1)
	s_or_b32 s24, vcc_lo, s23
	s_and_saveexec_b32 s23, s24
	s_cbranch_execz .LBB501_191
; %bb.190:
	v_sub_f32_e32 v20, v21, v19
	s_mov_b32 s24, 0x3e9b6dac
	s_delay_alu instid0(VALU_DEP_1) | instskip(SKIP_1) | instid1(VALU_DEP_2)
	v_mul_f32_e32 v21, 0x3fb8aa3b, v20
	v_cmp_ngt_f32_e32 vcc_lo, 0xc2ce8ed0, v20
	v_fma_f32 v135, 0x3fb8aa3b, v20, -v21
	v_rndne_f32_e32 v144, v21
	s_delay_alu instid0(VALU_DEP_2) | instskip(NEXT) | instid1(VALU_DEP_2)
	v_fmamk_f32 v135, v20, 0x32a5705f, v135
	v_sub_f32_e32 v21, v21, v144
	s_delay_alu instid0(VALU_DEP_1) | instskip(SKIP_1) | instid1(VALU_DEP_2)
	v_add_f32_e32 v21, v21, v135
	v_cvt_i32_f32_e32 v135, v144
	v_exp_f32_e32 v21, v21
	s_waitcnt_depctr 0xfff
	v_ldexp_f32 v21, v21, v135
	s_delay_alu instid0(VALU_DEP_1) | instskip(SKIP_1) | instid1(VALU_DEP_2)
	v_cndmask_b32_e32 v21, 0, v21, vcc_lo
	v_cmp_nlt_f32_e32 vcc_lo, 0x42b17218, v20
	v_cndmask_b32_e32 v135, 0x7f800000, v21, vcc_lo
	s_delay_alu instid0(VALU_DEP_1) | instskip(NEXT) | instid1(VALU_DEP_1)
	v_add_f32_e32 v144, 1.0, v135
	v_cvt_f64_f32_e32 v[20:21], v144
	s_delay_alu instid0(VALU_DEP_1) | instskip(SKIP_1) | instid1(VALU_DEP_1)
	v_frexp_exp_i32_f64_e32 v20, v[20:21]
	v_frexp_mant_f32_e32 v21, v144
	v_cmp_gt_f32_e32 vcc_lo, 0x3f2aaaab, v21
	v_add_f32_e32 v21, -1.0, v144
	s_delay_alu instid0(VALU_DEP_1) | instskip(NEXT) | instid1(VALU_DEP_1)
	v_sub_f32_e32 v146, v21, v144
	v_add_f32_e32 v146, 1.0, v146
	v_subrev_co_ci_u32_e32 v20, vcc_lo, 0, v20, vcc_lo
	s_delay_alu instid0(VALU_DEP_1) | instskip(SKIP_1) | instid1(VALU_DEP_2)
	v_sub_nc_u32_e32 v145, 0, v20
	v_cvt_f32_i32_e32 v20, v20
	v_ldexp_f32 v144, v144, v145
	v_sub_f32_e32 v21, v135, v21
	s_delay_alu instid0(VALU_DEP_1) | instskip(NEXT) | instid1(VALU_DEP_1)
	v_add_f32_e32 v21, v21, v146
	v_ldexp_f32 v21, v21, v145
	s_delay_alu instid0(VALU_DEP_4) | instskip(NEXT) | instid1(VALU_DEP_1)
	v_add_f32_e32 v147, 1.0, v144
	v_add_f32_e32 v146, -1.0, v147
	v_cmp_eq_f32_e32 vcc_lo, 0x7f800000, v135
	s_delay_alu instid0(VALU_DEP_2) | instskip(NEXT) | instid1(VALU_DEP_1)
	v_sub_f32_e32 v146, v144, v146
	v_dual_add_f32 v146, v21, v146 :: v_dual_add_f32 v145, -1.0, v144
	s_delay_alu instid0(VALU_DEP_1) | instskip(NEXT) | instid1(VALU_DEP_1)
	v_add_f32_e32 v148, 1.0, v145
	v_sub_f32_e32 v144, v144, v148
	s_delay_alu instid0(VALU_DEP_1) | instskip(NEXT) | instid1(VALU_DEP_1)
	v_dual_add_f32 v148, v147, v146 :: v_dual_add_f32 v21, v21, v144
	v_rcp_f32_e32 v144, v148
	v_sub_f32_e32 v147, v147, v148
	s_delay_alu instid0(VALU_DEP_1) | instskip(SKIP_3) | instid1(VALU_DEP_2)
	v_dual_add_f32 v146, v146, v147 :: v_dual_add_f32 v149, v145, v21
	s_waitcnt_depctr 0xfff
	v_mul_f32_e32 v150, v149, v144
	v_sub_f32_e32 v145, v145, v149
	v_mul_f32_e32 v151, v148, v150
	s_delay_alu instid0(VALU_DEP_1) | instskip(NEXT) | instid1(VALU_DEP_1)
	v_fma_f32 v147, v150, v148, -v151
	v_fmac_f32_e32 v147, v150, v146
	s_delay_alu instid0(VALU_DEP_1) | instskip(NEXT) | instid1(VALU_DEP_1)
	v_dual_add_f32 v160, v151, v147 :: v_dual_add_f32 v21, v21, v145
	v_sub_f32_e32 v161, v149, v160
	v_sub_f32_e32 v145, v160, v151
	s_delay_alu instid0(VALU_DEP_2) | instskip(NEXT) | instid1(VALU_DEP_2)
	v_sub_f32_e32 v149, v149, v161
	v_sub_f32_e32 v145, v145, v147
	s_delay_alu instid0(VALU_DEP_2) | instskip(NEXT) | instid1(VALU_DEP_1)
	v_sub_f32_e32 v149, v149, v160
	v_add_f32_e32 v21, v21, v149
	s_delay_alu instid0(VALU_DEP_1) | instskip(NEXT) | instid1(VALU_DEP_1)
	v_add_f32_e32 v21, v145, v21
	v_add_f32_e32 v145, v161, v21
	s_delay_alu instid0(VALU_DEP_1) | instskip(NEXT) | instid1(VALU_DEP_1)
	v_mul_f32_e32 v147, v144, v145
	v_dual_sub_f32 v160, v161, v145 :: v_dual_mul_f32 v149, v148, v147
	s_delay_alu instid0(VALU_DEP_1) | instskip(NEXT) | instid1(VALU_DEP_2)
	v_add_f32_e32 v21, v21, v160
	v_fma_f32 v148, v147, v148, -v149
	s_delay_alu instid0(VALU_DEP_1) | instskip(NEXT) | instid1(VALU_DEP_1)
	v_fmac_f32_e32 v148, v147, v146
	v_add_f32_e32 v146, v149, v148
	s_delay_alu instid0(VALU_DEP_1) | instskip(SKIP_1) | instid1(VALU_DEP_2)
	v_sub_f32_e32 v151, v145, v146
	v_sub_f32_e32 v149, v146, v149
	;; [unrolled: 1-line block ×3, first 2 shown]
	s_delay_alu instid0(VALU_DEP_1) | instskip(NEXT) | instid1(VALU_DEP_3)
	v_sub_f32_e32 v145, v145, v146
	v_sub_f32_e32 v146, v149, v148
	s_delay_alu instid0(VALU_DEP_2) | instskip(SKIP_1) | instid1(VALU_DEP_1)
	v_add_f32_e32 v21, v21, v145
	v_add_f32_e32 v145, v150, v147
	v_dual_add_f32 v21, v146, v21 :: v_dual_sub_f32 v146, v145, v150
	s_delay_alu instid0(VALU_DEP_1) | instskip(NEXT) | instid1(VALU_DEP_1)
	v_add_f32_e32 v21, v151, v21
	v_dual_sub_f32 v146, v147, v146 :: v_dual_mul_f32 v21, v144, v21
	s_delay_alu instid0(VALU_DEP_1) | instskip(NEXT) | instid1(VALU_DEP_1)
	v_add_f32_e32 v21, v146, v21
	v_add_f32_e32 v144, v145, v21
	s_delay_alu instid0(VALU_DEP_1) | instskip(NEXT) | instid1(VALU_DEP_1)
	v_mul_f32_e32 v146, v144, v144
	v_fmaak_f32 v147, s24, v146, 0x3ecc95a3
	v_mul_f32_e32 v148, v144, v146
	v_cmp_gt_f32_e64 s24, 0x33800000, |v135|
	s_delay_alu instid0(VALU_DEP_3) | instskip(SKIP_2) | instid1(VALU_DEP_4)
	v_fmaak_f32 v146, v146, v147, 0x3f2aaada
	v_ldexp_f32 v147, v144, 1
	v_sub_f32_e32 v144, v144, v145
	s_or_b32 vcc_lo, vcc_lo, s24
	s_delay_alu instid0(VALU_DEP_3) | instskip(SKIP_1) | instid1(VALU_DEP_3)
	v_mul_f32_e32 v146, v148, v146
	v_mul_f32_e32 v148, 0x3f317218, v20
	v_sub_f32_e32 v21, v21, v144
	s_delay_alu instid0(VALU_DEP_3) | instskip(NEXT) | instid1(VALU_DEP_2)
	v_add_f32_e32 v145, v147, v146
	v_ldexp_f32 v21, v21, 1
	s_delay_alu instid0(VALU_DEP_2) | instskip(SKIP_1) | instid1(VALU_DEP_2)
	v_sub_f32_e32 v144, v145, v147
	v_fma_f32 v147, 0x3f317218, v20, -v148
	v_sub_f32_e32 v144, v146, v144
	s_delay_alu instid0(VALU_DEP_1) | instskip(NEXT) | instid1(VALU_DEP_1)
	v_dual_fmamk_f32 v20, v20, 0xb102e308, v147 :: v_dual_add_f32 v21, v21, v144
	v_add_f32_e32 v144, v148, v20
	s_delay_alu instid0(VALU_DEP_2) | instskip(NEXT) | instid1(VALU_DEP_2)
	v_add_f32_e32 v146, v145, v21
	v_sub_f32_e32 v148, v144, v148
	s_delay_alu instid0(VALU_DEP_2) | instskip(NEXT) | instid1(VALU_DEP_2)
	v_add_f32_e32 v147, v144, v146
	v_dual_sub_f32 v145, v146, v145 :: v_dual_sub_f32 v20, v20, v148
	s_delay_alu instid0(VALU_DEP_2) | instskip(NEXT) | instid1(VALU_DEP_2)
	v_sub_f32_e32 v149, v147, v144
	v_sub_f32_e32 v21, v21, v145
	s_delay_alu instid0(VALU_DEP_2) | instskip(SKIP_1) | instid1(VALU_DEP_3)
	v_sub_f32_e32 v150, v147, v149
	v_sub_f32_e32 v145, v146, v149
	v_add_f32_e32 v146, v20, v21
	s_delay_alu instid0(VALU_DEP_3) | instskip(NEXT) | instid1(VALU_DEP_1)
	v_sub_f32_e32 v144, v144, v150
	v_add_f32_e32 v144, v145, v144
	s_delay_alu instid0(VALU_DEP_3) | instskip(NEXT) | instid1(VALU_DEP_2)
	v_sub_f32_e32 v145, v146, v20
	v_add_f32_e32 v144, v146, v144
	s_delay_alu instid0(VALU_DEP_2) | instskip(NEXT) | instid1(VALU_DEP_2)
	v_sub_f32_e32 v146, v146, v145
	v_dual_sub_f32 v21, v21, v145 :: v_dual_add_f32 v148, v147, v144
	s_delay_alu instid0(VALU_DEP_2) | instskip(NEXT) | instid1(VALU_DEP_1)
	v_sub_f32_e32 v20, v20, v146
	v_dual_sub_f32 v145, v148, v147 :: v_dual_add_f32 v20, v21, v20
	s_delay_alu instid0(VALU_DEP_1) | instskip(NEXT) | instid1(VALU_DEP_1)
	v_sub_f32_e32 v21, v144, v145
	v_add_f32_e32 v20, v20, v21
	s_delay_alu instid0(VALU_DEP_1) | instskip(NEXT) | instid1(VALU_DEP_1)
	v_add_f32_e32 v20, v148, v20
	v_cndmask_b32_e32 v20, v20, v135, vcc_lo
	s_delay_alu instid0(VALU_DEP_1)
	v_add_f32_e32 v20, v19, v20
.LBB501_191:
	s_or_b32 exec_lo, exec_lo, s23
	s_delay_alu instid0(VALU_DEP_1) | instskip(SKIP_1) | instid1(VALU_DEP_2)
	v_bfe_u32 v19, v20, 16, 1
	v_cmp_o_f32_e32 vcc_lo, v20, v20
	v_add3_u32 v19, v20, v19, 0x7fff
	s_delay_alu instid0(VALU_DEP_1) | instskip(NEXT) | instid1(VALU_DEP_1)
	v_and_b32_e32 v19, 0xffff0000, v19
	v_cndmask_b32_e32 v135, 0x7fc00000, v19, vcc_lo
.LBB501_192:
	s_or_b32 exec_lo, exec_lo, s12
	s_waitcnt lgkmcnt(0)
	s_delay_alu instid0(VALU_DEP_1) | instskip(NEXT) | instid1(VALU_DEP_1)
	v_dual_max_f32 v18, v135, v135 :: v_dual_lshlrev_b32 v19, 16, v18
	v_max_f32_e32 v20, v19, v19
	v_cmp_u_f32_e32 vcc_lo, v19, v19
	s_delay_alu instid0(VALU_DEP_2) | instskip(SKIP_1) | instid1(VALU_DEP_1)
	v_min_f32_e32 v21, v20, v18
	v_max_f32_e32 v18, v20, v18
	v_cndmask_b32_e32 v18, v18, v19, vcc_lo
	s_delay_alu instid0(VALU_DEP_3) | instskip(SKIP_1) | instid1(VALU_DEP_2)
	v_cndmask_b32_e32 v20, v21, v19, vcc_lo
	v_cmp_u_f32_e32 vcc_lo, v135, v135
	v_cndmask_b32_e32 v20, v20, v135, vcc_lo
	s_delay_alu instid0(VALU_DEP_4) | instskip(NEXT) | instid1(VALU_DEP_2)
	v_cndmask_b32_e32 v18, v18, v135, vcc_lo
	v_cmp_class_f32_e64 s12, v20, 0x1f8
	s_delay_alu instid0(VALU_DEP_2) | instskip(NEXT) | instid1(VALU_DEP_2)
	v_cmp_neq_f32_e32 vcc_lo, v20, v18
	s_or_b32 s23, vcc_lo, s12
	s_delay_alu instid0(SALU_CYCLE_1)
	s_and_saveexec_b32 s12, s23
	s_cbranch_execz .LBB501_194
; %bb.193:
	v_sub_f32_e32 v19, v20, v18
	s_mov_b32 s23, 0x3e9b6dac
	s_delay_alu instid0(VALU_DEP_1) | instskip(SKIP_1) | instid1(VALU_DEP_2)
	v_mul_f32_e32 v20, 0x3fb8aa3b, v19
	v_cmp_ngt_f32_e32 vcc_lo, 0xc2ce8ed0, v19
	v_fma_f32 v21, 0x3fb8aa3b, v19, -v20
	v_rndne_f32_e32 v135, v20
	s_delay_alu instid0(VALU_DEP_1) | instskip(NEXT) | instid1(VALU_DEP_1)
	v_dual_fmamk_f32 v21, v19, 0x32a5705f, v21 :: v_dual_sub_f32 v20, v20, v135
	v_add_f32_e32 v20, v20, v21
	v_cvt_i32_f32_e32 v21, v135
	s_delay_alu instid0(VALU_DEP_2) | instskip(SKIP_2) | instid1(VALU_DEP_1)
	v_exp_f32_e32 v20, v20
	s_waitcnt_depctr 0xfff
	v_ldexp_f32 v20, v20, v21
	v_cndmask_b32_e32 v20, 0, v20, vcc_lo
	v_cmp_nlt_f32_e32 vcc_lo, 0x42b17218, v19
	s_delay_alu instid0(VALU_DEP_2) | instskip(NEXT) | instid1(VALU_DEP_1)
	v_cndmask_b32_e32 v21, 0x7f800000, v20, vcc_lo
	v_add_f32_e32 v135, 1.0, v21
	s_delay_alu instid0(VALU_DEP_1) | instskip(NEXT) | instid1(VALU_DEP_1)
	v_cvt_f64_f32_e32 v[19:20], v135
	v_frexp_exp_i32_f64_e32 v19, v[19:20]
	v_frexp_mant_f32_e32 v20, v135
	s_delay_alu instid0(VALU_DEP_1) | instskip(SKIP_1) | instid1(VALU_DEP_1)
	v_cmp_gt_f32_e32 vcc_lo, 0x3f2aaaab, v20
	v_add_f32_e32 v20, -1.0, v135
	v_dual_sub_f32 v145, v20, v135 :: v_dual_sub_f32 v20, v21, v20
	v_subrev_co_ci_u32_e32 v19, vcc_lo, 0, v19, vcc_lo
	v_cmp_eq_f32_e32 vcc_lo, 0x7f800000, v21
	s_delay_alu instid0(VALU_DEP_2) | instskip(SKIP_1) | instid1(VALU_DEP_2)
	v_sub_nc_u32_e32 v144, 0, v19
	v_cvt_f32_i32_e32 v19, v19
	v_ldexp_f32 v135, v135, v144
	s_delay_alu instid0(VALU_DEP_1) | instskip(NEXT) | instid1(VALU_DEP_1)
	v_dual_add_f32 v145, 1.0, v145 :: v_dual_add_f32 v146, 1.0, v135
	v_dual_add_f32 v20, v20, v145 :: v_dual_add_f32 v145, -1.0, v146
	s_delay_alu instid0(VALU_DEP_1) | instskip(NEXT) | instid1(VALU_DEP_2)
	v_ldexp_f32 v20, v20, v144
	v_dual_add_f32 v144, -1.0, v135 :: v_dual_sub_f32 v145, v135, v145
	s_delay_alu instid0(VALU_DEP_1) | instskip(NEXT) | instid1(VALU_DEP_2)
	v_add_f32_e32 v147, 1.0, v144
	v_add_f32_e32 v145, v20, v145
	s_delay_alu instid0(VALU_DEP_2) | instskip(NEXT) | instid1(VALU_DEP_1)
	v_sub_f32_e32 v135, v135, v147
	v_dual_add_f32 v147, v146, v145 :: v_dual_add_f32 v20, v20, v135
	s_delay_alu instid0(VALU_DEP_1) | instskip(SKIP_1) | instid1(VALU_DEP_1)
	v_rcp_f32_e32 v135, v147
	v_sub_f32_e32 v146, v146, v147
	v_dual_add_f32 v148, v144, v20 :: v_dual_add_f32 v145, v145, v146
	s_delay_alu instid0(VALU_DEP_1) | instskip(SKIP_3) | instid1(VALU_DEP_2)
	v_sub_f32_e32 v144, v144, v148
	s_waitcnt_depctr 0xfff
	v_mul_f32_e32 v149, v148, v135
	v_add_f32_e32 v20, v20, v144
	v_mul_f32_e32 v150, v147, v149
	s_delay_alu instid0(VALU_DEP_1) | instskip(NEXT) | instid1(VALU_DEP_1)
	v_fma_f32 v146, v149, v147, -v150
	v_fmac_f32_e32 v146, v149, v145
	s_delay_alu instid0(VALU_DEP_1) | instskip(NEXT) | instid1(VALU_DEP_1)
	v_add_f32_e32 v151, v150, v146
	v_sub_f32_e32 v160, v148, v151
	v_sub_f32_e32 v144, v151, v150
	s_delay_alu instid0(VALU_DEP_2) | instskip(NEXT) | instid1(VALU_DEP_2)
	v_sub_f32_e32 v148, v148, v160
	v_sub_f32_e32 v144, v144, v146
	s_delay_alu instid0(VALU_DEP_2) | instskip(NEXT) | instid1(VALU_DEP_1)
	v_sub_f32_e32 v148, v148, v151
	v_add_f32_e32 v20, v20, v148
	s_delay_alu instid0(VALU_DEP_1) | instskip(NEXT) | instid1(VALU_DEP_1)
	v_add_f32_e32 v20, v144, v20
	v_add_f32_e32 v144, v160, v20
	s_delay_alu instid0(VALU_DEP_1) | instskip(NEXT) | instid1(VALU_DEP_1)
	v_mul_f32_e32 v146, v135, v144
	v_mul_f32_e32 v148, v147, v146
	s_delay_alu instid0(VALU_DEP_1) | instskip(NEXT) | instid1(VALU_DEP_1)
	v_fma_f32 v147, v146, v147, -v148
	v_fmac_f32_e32 v147, v146, v145
	v_sub_f32_e32 v151, v160, v144
	s_delay_alu instid0(VALU_DEP_2) | instskip(NEXT) | instid1(VALU_DEP_2)
	v_add_f32_e32 v145, v148, v147
	v_add_f32_e32 v20, v20, v151
	s_delay_alu instid0(VALU_DEP_2) | instskip(SKIP_1) | instid1(VALU_DEP_2)
	v_sub_f32_e32 v150, v144, v145
	v_sub_f32_e32 v148, v145, v148
	;; [unrolled: 1-line block ×3, first 2 shown]
	s_delay_alu instid0(VALU_DEP_1) | instskip(NEXT) | instid1(VALU_DEP_3)
	v_sub_f32_e32 v144, v144, v145
	v_sub_f32_e32 v145, v148, v147
	s_delay_alu instid0(VALU_DEP_2) | instskip(SKIP_1) | instid1(VALU_DEP_1)
	v_add_f32_e32 v20, v20, v144
	v_add_f32_e32 v144, v149, v146
	v_dual_add_f32 v20, v145, v20 :: v_dual_sub_f32 v145, v144, v149
	s_delay_alu instid0(VALU_DEP_1) | instskip(NEXT) | instid1(VALU_DEP_1)
	v_add_f32_e32 v20, v150, v20
	v_dual_sub_f32 v145, v146, v145 :: v_dual_mul_f32 v20, v135, v20
	s_delay_alu instid0(VALU_DEP_1) | instskip(NEXT) | instid1(VALU_DEP_1)
	v_add_f32_e32 v20, v145, v20
	v_add_f32_e32 v135, v144, v20
	s_delay_alu instid0(VALU_DEP_1) | instskip(NEXT) | instid1(VALU_DEP_1)
	v_mul_f32_e32 v145, v135, v135
	v_fmaak_f32 v146, s23, v145, 0x3ecc95a3
	v_mul_f32_e32 v147, v135, v145
	v_cmp_gt_f32_e64 s23, 0x33800000, |v21|
	s_delay_alu instid0(VALU_DEP_3) | instskip(SKIP_2) | instid1(VALU_DEP_4)
	v_fmaak_f32 v145, v145, v146, 0x3f2aaada
	v_ldexp_f32 v146, v135, 1
	v_sub_f32_e32 v135, v135, v144
	s_or_b32 vcc_lo, vcc_lo, s23
	s_delay_alu instid0(VALU_DEP_3) | instskip(SKIP_1) | instid1(VALU_DEP_3)
	v_mul_f32_e32 v145, v147, v145
	v_mul_f32_e32 v147, 0x3f317218, v19
	v_sub_f32_e32 v20, v20, v135
	s_delay_alu instid0(VALU_DEP_3) | instskip(NEXT) | instid1(VALU_DEP_2)
	v_add_f32_e32 v144, v146, v145
	v_ldexp_f32 v20, v20, 1
	s_delay_alu instid0(VALU_DEP_2) | instskip(SKIP_1) | instid1(VALU_DEP_2)
	v_sub_f32_e32 v135, v144, v146
	v_fma_f32 v146, 0x3f317218, v19, -v147
	v_sub_f32_e32 v135, v145, v135
	s_delay_alu instid0(VALU_DEP_1) | instskip(NEXT) | instid1(VALU_DEP_1)
	v_dual_fmamk_f32 v19, v19, 0xb102e308, v146 :: v_dual_add_f32 v20, v20, v135
	v_add_f32_e32 v135, v147, v19
	s_delay_alu instid0(VALU_DEP_2) | instskip(NEXT) | instid1(VALU_DEP_2)
	v_add_f32_e32 v145, v144, v20
	v_sub_f32_e32 v147, v135, v147
	s_delay_alu instid0(VALU_DEP_2) | instskip(NEXT) | instid1(VALU_DEP_2)
	v_add_f32_e32 v146, v135, v145
	v_sub_f32_e32 v19, v19, v147
	s_delay_alu instid0(VALU_DEP_2) | instskip(SKIP_1) | instid1(VALU_DEP_2)
	v_sub_f32_e32 v148, v146, v135
	v_sub_f32_e32 v144, v145, v144
	;; [unrolled: 1-line block ×3, first 2 shown]
	s_delay_alu instid0(VALU_DEP_2) | instskip(NEXT) | instid1(VALU_DEP_2)
	v_sub_f32_e32 v20, v20, v144
	v_dual_sub_f32 v144, v145, v148 :: v_dual_sub_f32 v135, v135, v149
	s_delay_alu instid0(VALU_DEP_2) | instskip(NEXT) | instid1(VALU_DEP_2)
	v_add_f32_e32 v145, v19, v20
	v_add_f32_e32 v135, v144, v135
	s_delay_alu instid0(VALU_DEP_2) | instskip(NEXT) | instid1(VALU_DEP_2)
	v_sub_f32_e32 v144, v145, v19
	v_add_f32_e32 v135, v145, v135
	s_delay_alu instid0(VALU_DEP_2) | instskip(NEXT) | instid1(VALU_DEP_2)
	v_sub_f32_e32 v145, v145, v144
	v_dual_sub_f32 v20, v20, v144 :: v_dual_add_f32 v147, v146, v135
	s_delay_alu instid0(VALU_DEP_2) | instskip(NEXT) | instid1(VALU_DEP_1)
	v_sub_f32_e32 v19, v19, v145
	v_dual_sub_f32 v144, v147, v146 :: v_dual_add_f32 v19, v20, v19
	s_delay_alu instid0(VALU_DEP_1) | instskip(NEXT) | instid1(VALU_DEP_1)
	v_sub_f32_e32 v20, v135, v144
	v_add_f32_e32 v19, v19, v20
	s_delay_alu instid0(VALU_DEP_1) | instskip(NEXT) | instid1(VALU_DEP_1)
	v_add_f32_e32 v19, v147, v19
	v_cndmask_b32_e32 v19, v19, v21, vcc_lo
	s_delay_alu instid0(VALU_DEP_1)
	v_add_f32_e32 v19, v18, v19
.LBB501_194:
	s_or_b32 exec_lo, exec_lo, s12
	s_delay_alu instid0(VALU_DEP_1) | instskip(SKIP_1) | instid1(VALU_DEP_2)
	v_bfe_u32 v18, v19, 16, 1
	v_cmp_o_f32_e32 vcc_lo, v19, v19
	v_add3_u32 v18, v19, v18, 0x7fff
	s_delay_alu instid0(VALU_DEP_1) | instskip(NEXT) | instid1(VALU_DEP_1)
	v_lshrrev_b32_e32 v18, 16, v18
	v_cndmask_b32_e32 v18, 0x7fc0, v18, vcc_lo
	s_delay_alu instid0(VALU_DEP_1) | instskip(NEXT) | instid1(VALU_DEP_1)
	v_lshlrev_b32_e32 v20, 16, v18
	v_max_f32_e32 v19, v20, v20
	s_delay_alu instid0(VALU_DEP_1) | instskip(SKIP_2) | instid1(VALU_DEP_3)
	v_min_f32_e32 v21, v19, v55
	v_max_f32_e32 v19, v19, v55
	v_cmp_u_f32_e32 vcc_lo, v20, v20
	v_cndmask_b32_e32 v21, v21, v20, vcc_lo
	s_delay_alu instid0(VALU_DEP_3) | instskip(NEXT) | instid1(VALU_DEP_2)
	v_cndmask_b32_e32 v19, v19, v20, vcc_lo
	v_cndmask_b32_e64 v21, v21, v13, s1
	s_delay_alu instid0(VALU_DEP_2) | instskip(NEXT) | instid1(VALU_DEP_2)
	v_cndmask_b32_e64 v19, v19, v13, s1
	v_cmp_class_f32_e64 s1, v21, 0x1f8
	s_delay_alu instid0(VALU_DEP_2) | instskip(NEXT) | instid1(VALU_DEP_2)
	v_cmp_neq_f32_e32 vcc_lo, v21, v19
	s_or_b32 s12, vcc_lo, s1
	s_delay_alu instid0(SALU_CYCLE_1)
	s_and_saveexec_b32 s1, s12
	s_cbranch_execz .LBB501_196
; %bb.195:
	v_sub_f32_e32 v20, v21, v19
	s_mov_b32 s12, 0x3e9b6dac
	s_delay_alu instid0(VALU_DEP_1) | instskip(SKIP_1) | instid1(VALU_DEP_2)
	v_mul_f32_e32 v21, 0x3fb8aa3b, v20
	v_cmp_ngt_f32_e32 vcc_lo, 0xc2ce8ed0, v20
	v_fma_f32 v55, 0x3fb8aa3b, v20, -v21
	v_rndne_f32_e32 v135, v21
	s_delay_alu instid0(VALU_DEP_2) | instskip(NEXT) | instid1(VALU_DEP_2)
	v_fmamk_f32 v55, v20, 0x32a5705f, v55
	v_sub_f32_e32 v21, v21, v135
	s_delay_alu instid0(VALU_DEP_1) | instskip(SKIP_1) | instid1(VALU_DEP_2)
	v_add_f32_e32 v21, v21, v55
	v_cvt_i32_f32_e32 v55, v135
	v_exp_f32_e32 v21, v21
	s_waitcnt_depctr 0xfff
	v_ldexp_f32 v21, v21, v55
	s_delay_alu instid0(VALU_DEP_1) | instskip(SKIP_1) | instid1(VALU_DEP_2)
	v_cndmask_b32_e32 v21, 0, v21, vcc_lo
	v_cmp_nlt_f32_e32 vcc_lo, 0x42b17218, v20
	v_cndmask_b32_e32 v55, 0x7f800000, v21, vcc_lo
	s_delay_alu instid0(VALU_DEP_1) | instskip(NEXT) | instid1(VALU_DEP_1)
	v_add_f32_e32 v135, 1.0, v55
	v_cvt_f64_f32_e32 v[20:21], v135
	s_delay_alu instid0(VALU_DEP_1) | instskip(SKIP_1) | instid1(VALU_DEP_1)
	v_frexp_exp_i32_f64_e32 v20, v[20:21]
	v_frexp_mant_f32_e32 v21, v135
	v_cmp_gt_f32_e32 vcc_lo, 0x3f2aaaab, v21
	v_add_f32_e32 v21, -1.0, v135
	s_delay_alu instid0(VALU_DEP_1) | instskip(SKIP_1) | instid1(VALU_DEP_2)
	v_sub_f32_e32 v145, v21, v135
	v_sub_f32_e32 v21, v55, v21
	v_add_f32_e32 v145, 1.0, v145
	s_delay_alu instid0(VALU_DEP_1) | instskip(SKIP_1) | instid1(VALU_DEP_1)
	v_add_f32_e32 v21, v21, v145
	v_subrev_co_ci_u32_e32 v20, vcc_lo, 0, v20, vcc_lo
	v_sub_nc_u32_e32 v144, 0, v20
	v_cvt_f32_i32_e32 v20, v20
	s_delay_alu instid0(VALU_DEP_2) | instskip(SKIP_1) | instid1(VALU_DEP_2)
	v_ldexp_f32 v135, v135, v144
	v_ldexp_f32 v21, v21, v144
	v_add_f32_e32 v146, 1.0, v135
	s_delay_alu instid0(VALU_DEP_1) | instskip(NEXT) | instid1(VALU_DEP_1)
	v_dual_add_f32 v144, -1.0, v135 :: v_dual_add_f32 v145, -1.0, v146
	v_add_f32_e32 v147, 1.0, v144
	s_delay_alu instid0(VALU_DEP_2) | instskip(NEXT) | instid1(VALU_DEP_2)
	v_sub_f32_e32 v145, v135, v145
	v_sub_f32_e32 v135, v135, v147
	s_delay_alu instid0(VALU_DEP_2) | instskip(NEXT) | instid1(VALU_DEP_1)
	v_add_f32_e32 v145, v21, v145
	v_add_f32_e32 v147, v146, v145
	s_delay_alu instid0(VALU_DEP_3) | instskip(NEXT) | instid1(VALU_DEP_2)
	v_add_f32_e32 v21, v21, v135
	v_rcp_f32_e32 v135, v147
	s_delay_alu instid0(VALU_DEP_1) | instskip(SKIP_2) | instid1(VALU_DEP_2)
	v_add_f32_e32 v148, v144, v21
	v_sub_f32_e32 v146, v146, v147
	v_cmp_eq_f32_e32 vcc_lo, 0x7f800000, v55
	v_dual_sub_f32 v144, v144, v148 :: v_dual_add_f32 v145, v145, v146
	s_waitcnt_depctr 0xfff
	v_mul_f32_e32 v149, v148, v135
	s_delay_alu instid0(VALU_DEP_1) | instskip(NEXT) | instid1(VALU_DEP_1)
	v_dual_add_f32 v21, v21, v144 :: v_dual_mul_f32 v150, v147, v149
	v_fma_f32 v146, v149, v147, -v150
	s_delay_alu instid0(VALU_DEP_1) | instskip(NEXT) | instid1(VALU_DEP_1)
	v_fmac_f32_e32 v146, v149, v145
	v_add_f32_e32 v151, v150, v146
	s_delay_alu instid0(VALU_DEP_1) | instskip(SKIP_1) | instid1(VALU_DEP_2)
	v_sub_f32_e32 v160, v148, v151
	v_sub_f32_e32 v144, v151, v150
	;; [unrolled: 1-line block ×3, first 2 shown]
	s_delay_alu instid0(VALU_DEP_2) | instskip(NEXT) | instid1(VALU_DEP_2)
	v_sub_f32_e32 v144, v144, v146
	v_sub_f32_e32 v148, v148, v151
	s_delay_alu instid0(VALU_DEP_1) | instskip(NEXT) | instid1(VALU_DEP_1)
	v_add_f32_e32 v21, v21, v148
	v_add_f32_e32 v21, v144, v21
	s_delay_alu instid0(VALU_DEP_1) | instskip(NEXT) | instid1(VALU_DEP_1)
	v_add_f32_e32 v144, v160, v21
	v_mul_f32_e32 v146, v135, v144
	s_delay_alu instid0(VALU_DEP_1) | instskip(NEXT) | instid1(VALU_DEP_1)
	v_dual_sub_f32 v151, v160, v144 :: v_dual_mul_f32 v148, v147, v146
	v_add_f32_e32 v21, v21, v151
	s_delay_alu instid0(VALU_DEP_2) | instskip(NEXT) | instid1(VALU_DEP_1)
	v_fma_f32 v147, v146, v147, -v148
	v_fmac_f32_e32 v147, v146, v145
	s_delay_alu instid0(VALU_DEP_1) | instskip(NEXT) | instid1(VALU_DEP_1)
	v_add_f32_e32 v145, v148, v147
	v_sub_f32_e32 v150, v144, v145
	v_sub_f32_e32 v148, v145, v148
	s_delay_alu instid0(VALU_DEP_2) | instskip(NEXT) | instid1(VALU_DEP_1)
	v_sub_f32_e32 v144, v144, v150
	v_sub_f32_e32 v144, v144, v145
	s_delay_alu instid0(VALU_DEP_3) | instskip(NEXT) | instid1(VALU_DEP_2)
	v_sub_f32_e32 v145, v148, v147
	v_add_f32_e32 v21, v21, v144
	v_add_f32_e32 v144, v149, v146
	s_delay_alu instid0(VALU_DEP_2) | instskip(NEXT) | instid1(VALU_DEP_2)
	v_add_f32_e32 v21, v145, v21
	v_sub_f32_e32 v145, v144, v149
	s_delay_alu instid0(VALU_DEP_2) | instskip(NEXT) | instid1(VALU_DEP_2)
	v_add_f32_e32 v21, v150, v21
	v_sub_f32_e32 v145, v146, v145
	s_delay_alu instid0(VALU_DEP_2) | instskip(NEXT) | instid1(VALU_DEP_1)
	v_mul_f32_e32 v21, v135, v21
	v_add_f32_e32 v21, v145, v21
	s_delay_alu instid0(VALU_DEP_1) | instskip(NEXT) | instid1(VALU_DEP_1)
	v_add_f32_e32 v135, v144, v21
	v_mul_f32_e32 v145, v135, v135
	s_delay_alu instid0(VALU_DEP_1) | instskip(SKIP_2) | instid1(VALU_DEP_3)
	v_fmaak_f32 v146, s12, v145, 0x3ecc95a3
	v_mul_f32_e32 v147, v135, v145
	v_cmp_gt_f32_e64 s12, 0x33800000, |v55|
	v_fmaak_f32 v145, v145, v146, 0x3f2aaada
	v_ldexp_f32 v146, v135, 1
	v_sub_f32_e32 v135, v135, v144
	s_delay_alu instid0(VALU_DEP_4) | instskip(NEXT) | instid1(VALU_DEP_3)
	s_or_b32 vcc_lo, vcc_lo, s12
	v_mul_f32_e32 v145, v147, v145
	v_mul_f32_e32 v147, 0x3f317218, v20
	s_delay_alu instid0(VALU_DEP_2) | instskip(NEXT) | instid1(VALU_DEP_1)
	v_dual_sub_f32 v21, v21, v135 :: v_dual_add_f32 v144, v146, v145
	v_ldexp_f32 v21, v21, 1
	s_delay_alu instid0(VALU_DEP_2) | instskip(NEXT) | instid1(VALU_DEP_4)
	v_sub_f32_e32 v135, v144, v146
	v_fma_f32 v146, 0x3f317218, v20, -v147
	s_delay_alu instid0(VALU_DEP_1) | instskip(NEXT) | instid1(VALU_DEP_1)
	v_dual_sub_f32 v135, v145, v135 :: v_dual_fmamk_f32 v20, v20, 0xb102e308, v146
	v_add_f32_e32 v21, v21, v135
	s_delay_alu instid0(VALU_DEP_2) | instskip(NEXT) | instid1(VALU_DEP_2)
	v_add_f32_e32 v135, v147, v20
	v_add_f32_e32 v145, v144, v21
	s_delay_alu instid0(VALU_DEP_2) | instskip(NEXT) | instid1(VALU_DEP_2)
	v_sub_f32_e32 v147, v135, v147
	v_add_f32_e32 v146, v135, v145
	v_sub_f32_e32 v144, v145, v144
	s_delay_alu instid0(VALU_DEP_3) | instskip(NEXT) | instid1(VALU_DEP_2)
	v_sub_f32_e32 v20, v20, v147
	v_dual_sub_f32 v148, v146, v135 :: v_dual_sub_f32 v21, v21, v144
	s_delay_alu instid0(VALU_DEP_1) | instskip(NEXT) | instid1(VALU_DEP_2)
	v_sub_f32_e32 v149, v146, v148
	v_dual_sub_f32 v144, v145, v148 :: v_dual_add_f32 v145, v20, v21
	s_delay_alu instid0(VALU_DEP_2) | instskip(NEXT) | instid1(VALU_DEP_1)
	v_sub_f32_e32 v135, v135, v149
	v_dual_add_f32 v135, v144, v135 :: v_dual_sub_f32 v144, v145, v20
	s_delay_alu instid0(VALU_DEP_1) | instskip(NEXT) | instid1(VALU_DEP_2)
	v_add_f32_e32 v135, v145, v135
	v_sub_f32_e32 v145, v145, v144
	v_sub_f32_e32 v21, v21, v144
	s_delay_alu instid0(VALU_DEP_2) | instskip(NEXT) | instid1(VALU_DEP_1)
	v_dual_add_f32 v147, v146, v135 :: v_dual_sub_f32 v20, v20, v145
	v_sub_f32_e32 v144, v147, v146
	s_delay_alu instid0(VALU_DEP_2) | instskip(NEXT) | instid1(VALU_DEP_2)
	v_add_f32_e32 v20, v21, v20
	v_sub_f32_e32 v21, v135, v144
	s_delay_alu instid0(VALU_DEP_1) | instskip(NEXT) | instid1(VALU_DEP_1)
	v_add_f32_e32 v20, v20, v21
	v_add_f32_e32 v20, v147, v20
	s_delay_alu instid0(VALU_DEP_1) | instskip(NEXT) | instid1(VALU_DEP_1)
	v_cndmask_b32_e32 v20, v20, v55, vcc_lo
	v_add_f32_e32 v20, v19, v20
.LBB501_196:
	s_or_b32 exec_lo, exec_lo, s1
	s_delay_alu instid0(VALU_DEP_1) | instskip(SKIP_1) | instid1(VALU_DEP_2)
	v_bfe_u32 v19, v20, 16, 1
	v_cmp_o_f32_e32 vcc_lo, v20, v20
	v_add3_u32 v19, v20, v19, 0x7fff
	s_delay_alu instid0(VALU_DEP_1) | instskip(NEXT) | instid1(VALU_DEP_1)
	v_lshrrev_b32_e32 v19, 16, v19
	v_cndmask_b32_e32 v19, 0x7fc0, v19, vcc_lo
	s_delay_alu instid0(VALU_DEP_1) | instskip(NEXT) | instid1(VALU_DEP_1)
	v_lshlrev_b32_e32 v21, 16, v19
	v_max_f32_e32 v20, v21, v21
	s_delay_alu instid0(VALU_DEP_1) | instskip(SKIP_2) | instid1(VALU_DEP_3)
	v_min_f32_e32 v55, v20, v66
	v_max_f32_e32 v20, v20, v66
	v_cmp_u_f32_e32 vcc_lo, v21, v21
	v_cndmask_b32_e32 v55, v55, v21, vcc_lo
	s_delay_alu instid0(VALU_DEP_3) | instskip(NEXT) | instid1(VALU_DEP_2)
	v_cndmask_b32_e32 v20, v20, v21, vcc_lo
	v_cndmask_b32_e64 v55, v55, v54, s2
	s_delay_alu instid0(VALU_DEP_2) | instskip(NEXT) | instid1(VALU_DEP_2)
	v_cndmask_b32_e64 v20, v20, v54, s2
	v_cmp_class_f32_e64 s1, v55, 0x1f8
	s_delay_alu instid0(VALU_DEP_2) | instskip(NEXT) | instid1(VALU_DEP_2)
	v_cmp_neq_f32_e32 vcc_lo, v55, v20
	s_or_b32 s2, vcc_lo, s1
	s_delay_alu instid0(SALU_CYCLE_1)
	s_and_saveexec_b32 s1, s2
	s_cbranch_execz .LBB501_198
; %bb.197:
	v_sub_f32_e32 v21, v55, v20
	s_mov_b32 s2, 0x3e9b6dac
	s_delay_alu instid0(VALU_DEP_1) | instskip(NEXT) | instid1(VALU_DEP_1)
	v_mul_f32_e32 v54, 0x3fb8aa3b, v21
	v_fma_f32 v55, 0x3fb8aa3b, v21, -v54
	v_rndne_f32_e32 v66, v54
	s_delay_alu instid0(VALU_DEP_1) | instskip(SKIP_1) | instid1(VALU_DEP_4)
	v_sub_f32_e32 v54, v54, v66
	v_cmp_ngt_f32_e32 vcc_lo, 0xc2ce8ed0, v21
	v_fmamk_f32 v55, v21, 0x32a5705f, v55
	s_delay_alu instid0(VALU_DEP_1) | instskip(SKIP_1) | instid1(VALU_DEP_2)
	v_add_f32_e32 v54, v54, v55
	v_cvt_i32_f32_e32 v55, v66
	v_exp_f32_e32 v54, v54
	s_waitcnt_depctr 0xfff
	v_ldexp_f32 v54, v54, v55
	s_delay_alu instid0(VALU_DEP_1) | instskip(SKIP_1) | instid1(VALU_DEP_2)
	v_cndmask_b32_e32 v54, 0, v54, vcc_lo
	v_cmp_nlt_f32_e32 vcc_lo, 0x42b17218, v21
	v_cndmask_b32_e32 v21, 0x7f800000, v54, vcc_lo
	s_delay_alu instid0(VALU_DEP_1) | instskip(NEXT) | instid1(VALU_DEP_1)
	v_add_f32_e32 v66, 1.0, v21
	v_cvt_f64_f32_e32 v[54:55], v66
	s_delay_alu instid0(VALU_DEP_1) | instskip(SKIP_1) | instid1(VALU_DEP_1)
	v_frexp_exp_i32_f64_e32 v54, v[54:55]
	v_frexp_mant_f32_e32 v55, v66
	v_cmp_gt_f32_e32 vcc_lo, 0x3f2aaaab, v55
	v_add_f32_e32 v55, -1.0, v66
	s_delay_alu instid0(VALU_DEP_1) | instskip(NEXT) | instid1(VALU_DEP_1)
	v_sub_f32_e32 v144, v55, v66
	v_dual_add_f32 v144, 1.0, v144 :: v_dual_sub_f32 v55, v21, v55
	v_subrev_co_ci_u32_e32 v54, vcc_lo, 0, v54, vcc_lo
	v_cmp_eq_f32_e32 vcc_lo, 0x7f800000, v21
	s_delay_alu instid0(VALU_DEP_2) | instskip(SKIP_1) | instid1(VALU_DEP_2)
	v_sub_nc_u32_e32 v135, 0, v54
	v_cvt_f32_i32_e32 v54, v54
	v_ldexp_f32 v66, v66, v135
	s_delay_alu instid0(VALU_DEP_1) | instskip(NEXT) | instid1(VALU_DEP_1)
	v_add_f32_e32 v145, 1.0, v66
	v_dual_add_f32 v55, v55, v144 :: v_dual_add_f32 v144, -1.0, v145
	s_delay_alu instid0(VALU_DEP_1) | instskip(NEXT) | instid1(VALU_DEP_2)
	v_ldexp_f32 v55, v55, v135
	v_dual_add_f32 v135, -1.0, v66 :: v_dual_sub_f32 v144, v66, v144
	s_delay_alu instid0(VALU_DEP_1) | instskip(NEXT) | instid1(VALU_DEP_2)
	v_add_f32_e32 v146, 1.0, v135
	v_add_f32_e32 v144, v55, v144
	s_delay_alu instid0(VALU_DEP_2) | instskip(NEXT) | instid1(VALU_DEP_1)
	v_sub_f32_e32 v66, v66, v146
	v_add_f32_e32 v55, v55, v66
	s_delay_alu instid0(VALU_DEP_1) | instskip(NEXT) | instid1(VALU_DEP_1)
	v_dual_add_f32 v147, v135, v55 :: v_dual_add_f32 v146, v145, v144
	v_sub_f32_e32 v135, v135, v147
	s_delay_alu instid0(VALU_DEP_2) | instskip(SKIP_1) | instid1(VALU_DEP_1)
	v_rcp_f32_e32 v66, v146
	v_sub_f32_e32 v145, v145, v146
	v_dual_add_f32 v144, v144, v145 :: v_dual_add_f32 v55, v55, v135
	s_waitcnt_depctr 0xfff
	v_mul_f32_e32 v148, v147, v66
	s_delay_alu instid0(VALU_DEP_1) | instskip(NEXT) | instid1(VALU_DEP_1)
	v_mul_f32_e32 v149, v146, v148
	v_fma_f32 v145, v148, v146, -v149
	s_delay_alu instid0(VALU_DEP_1) | instskip(NEXT) | instid1(VALU_DEP_1)
	v_fmac_f32_e32 v145, v148, v144
	v_add_f32_e32 v150, v149, v145
	s_delay_alu instid0(VALU_DEP_1) | instskip(NEXT) | instid1(VALU_DEP_1)
	v_sub_f32_e32 v151, v147, v150
	v_sub_f32_e32 v147, v147, v151
	;; [unrolled: 1-line block ×3, first 2 shown]
	s_delay_alu instid0(VALU_DEP_2) | instskip(NEXT) | instid1(VALU_DEP_2)
	v_sub_f32_e32 v147, v147, v150
	v_sub_f32_e32 v135, v135, v145
	s_delay_alu instid0(VALU_DEP_2) | instskip(NEXT) | instid1(VALU_DEP_1)
	v_add_f32_e32 v55, v55, v147
	v_add_f32_e32 v55, v135, v55
	s_delay_alu instid0(VALU_DEP_1) | instskip(NEXT) | instid1(VALU_DEP_1)
	v_add_f32_e32 v135, v151, v55
	v_mul_f32_e32 v145, v66, v135
	s_delay_alu instid0(VALU_DEP_1) | instskip(NEXT) | instid1(VALU_DEP_1)
	v_dual_sub_f32 v150, v151, v135 :: v_dual_mul_f32 v147, v146, v145
	v_add_f32_e32 v55, v55, v150
	s_delay_alu instid0(VALU_DEP_2) | instskip(NEXT) | instid1(VALU_DEP_1)
	v_fma_f32 v146, v145, v146, -v147
	v_fmac_f32_e32 v146, v145, v144
	s_delay_alu instid0(VALU_DEP_1) | instskip(NEXT) | instid1(VALU_DEP_1)
	v_add_f32_e32 v144, v147, v146
	v_sub_f32_e32 v149, v135, v144
	v_sub_f32_e32 v147, v144, v147
	s_delay_alu instid0(VALU_DEP_2) | instskip(NEXT) | instid1(VALU_DEP_1)
	v_sub_f32_e32 v135, v135, v149
	v_sub_f32_e32 v135, v135, v144
	s_delay_alu instid0(VALU_DEP_3) | instskip(NEXT) | instid1(VALU_DEP_2)
	v_sub_f32_e32 v144, v147, v146
	v_add_f32_e32 v55, v55, v135
	v_add_f32_e32 v135, v148, v145
	s_delay_alu instid0(VALU_DEP_1) | instskip(NEXT) | instid1(VALU_DEP_1)
	v_dual_add_f32 v55, v144, v55 :: v_dual_sub_f32 v144, v135, v148
	v_add_f32_e32 v55, v149, v55
	s_delay_alu instid0(VALU_DEP_1) | instskip(NEXT) | instid1(VALU_DEP_1)
	v_dual_sub_f32 v144, v145, v144 :: v_dual_mul_f32 v55, v66, v55
	v_add_f32_e32 v55, v144, v55
	s_delay_alu instid0(VALU_DEP_1) | instskip(NEXT) | instid1(VALU_DEP_1)
	v_add_f32_e32 v66, v135, v55
	v_mul_f32_e32 v144, v66, v66
	s_delay_alu instid0(VALU_DEP_1) | instskip(SKIP_2) | instid1(VALU_DEP_3)
	v_fmaak_f32 v145, s2, v144, 0x3ecc95a3
	v_mul_f32_e32 v146, v66, v144
	v_cmp_gt_f32_e64 s2, 0x33800000, |v21|
	v_fmaak_f32 v144, v144, v145, 0x3f2aaada
	v_ldexp_f32 v145, v66, 1
	v_sub_f32_e32 v66, v66, v135
	s_delay_alu instid0(VALU_DEP_4) | instskip(NEXT) | instid1(VALU_DEP_3)
	s_or_b32 vcc_lo, vcc_lo, s2
	v_mul_f32_e32 v144, v146, v144
	v_mul_f32_e32 v146, 0x3f317218, v54
	s_delay_alu instid0(VALU_DEP_3) | instskip(NEXT) | instid1(VALU_DEP_3)
	v_sub_f32_e32 v55, v55, v66
	v_add_f32_e32 v135, v145, v144
	s_delay_alu instid0(VALU_DEP_2) | instskip(NEXT) | instid1(VALU_DEP_2)
	v_ldexp_f32 v55, v55, 1
	v_sub_f32_e32 v66, v135, v145
	v_fma_f32 v145, 0x3f317218, v54, -v146
	s_delay_alu instid0(VALU_DEP_2) | instskip(NEXT) | instid1(VALU_DEP_1)
	v_sub_f32_e32 v66, v144, v66
	v_dual_fmamk_f32 v54, v54, 0xb102e308, v145 :: v_dual_add_f32 v55, v55, v66
	s_delay_alu instid0(VALU_DEP_1) | instskip(NEXT) | instid1(VALU_DEP_2)
	v_add_f32_e32 v66, v146, v54
	v_add_f32_e32 v144, v135, v55
	s_delay_alu instid0(VALU_DEP_2) | instskip(NEXT) | instid1(VALU_DEP_2)
	v_sub_f32_e32 v146, v66, v146
	v_add_f32_e32 v145, v66, v144
	s_delay_alu instid0(VALU_DEP_2) | instskip(NEXT) | instid1(VALU_DEP_2)
	v_sub_f32_e32 v54, v54, v146
	v_sub_f32_e32 v147, v145, v66
	;; [unrolled: 1-line block ×3, first 2 shown]
	s_delay_alu instid0(VALU_DEP_2) | instskip(NEXT) | instid1(VALU_DEP_2)
	v_sub_f32_e32 v148, v145, v147
	v_sub_f32_e32 v55, v55, v135
	s_delay_alu instid0(VALU_DEP_2) | instskip(NEXT) | instid1(VALU_DEP_2)
	v_dual_sub_f32 v135, v144, v147 :: v_dual_sub_f32 v66, v66, v148
	v_add_f32_e32 v144, v54, v55
	s_delay_alu instid0(VALU_DEP_2) | instskip(NEXT) | instid1(VALU_DEP_2)
	v_add_f32_e32 v66, v135, v66
	v_sub_f32_e32 v135, v144, v54
	s_delay_alu instid0(VALU_DEP_2) | instskip(NEXT) | instid1(VALU_DEP_2)
	v_add_f32_e32 v66, v144, v66
	v_sub_f32_e32 v144, v144, v135
	s_delay_alu instid0(VALU_DEP_2) | instskip(NEXT) | instid1(VALU_DEP_2)
	v_add_f32_e32 v146, v145, v66
	v_dual_sub_f32 v54, v54, v144 :: v_dual_sub_f32 v55, v55, v135
	s_delay_alu instid0(VALU_DEP_1) | instskip(NEXT) | instid1(VALU_DEP_1)
	v_dual_sub_f32 v135, v146, v145 :: v_dual_add_f32 v54, v55, v54
	v_sub_f32_e32 v55, v66, v135
	s_delay_alu instid0(VALU_DEP_1) | instskip(NEXT) | instid1(VALU_DEP_1)
	v_add_f32_e32 v54, v54, v55
	v_add_f32_e32 v54, v146, v54
	s_delay_alu instid0(VALU_DEP_1) | instskip(NEXT) | instid1(VALU_DEP_1)
	v_cndmask_b32_e32 v21, v54, v21, vcc_lo
	v_add_f32_e32 v21, v20, v21
.LBB501_198:
	s_or_b32 exec_lo, exec_lo, s1
	s_delay_alu instid0(VALU_DEP_1) | instskip(SKIP_1) | instid1(VALU_DEP_2)
	v_bfe_u32 v20, v21, 16, 1
	v_cmp_o_f32_e32 vcc_lo, v21, v21
	v_add3_u32 v20, v21, v20, 0x7fff
	s_delay_alu instid0(VALU_DEP_1) | instskip(NEXT) | instid1(VALU_DEP_1)
	v_lshrrev_b32_e32 v20, 16, v20
	v_cndmask_b32_e32 v20, 0x7fc0, v20, vcc_lo
	s_delay_alu instid0(VALU_DEP_1) | instskip(NEXT) | instid1(VALU_DEP_1)
	v_lshlrev_b32_e32 v54, 16, v20
	v_max_f32_e32 v21, v54, v54
	v_cmp_u_f32_e32 vcc_lo, v54, v54
	s_delay_alu instid0(VALU_DEP_2) | instskip(SKIP_1) | instid1(VALU_DEP_2)
	v_min_f32_e32 v55, v21, v68
	v_max_f32_e32 v21, v21, v68
	v_cndmask_b32_e32 v55, v55, v54, vcc_lo
	s_delay_alu instid0(VALU_DEP_2) | instskip(NEXT) | instid1(VALU_DEP_2)
	v_cndmask_b32_e32 v21, v21, v54, vcc_lo
	v_cndmask_b32_e64 v55, v55, v64, s3
	s_delay_alu instid0(VALU_DEP_2) | instskip(NEXT) | instid1(VALU_DEP_2)
	v_cndmask_b32_e64 v21, v21, v64, s3
	v_cmp_class_f32_e64 s1, v55, 0x1f8
	s_delay_alu instid0(VALU_DEP_2) | instskip(NEXT) | instid1(VALU_DEP_2)
	v_cmp_neq_f32_e32 vcc_lo, v55, v21
	s_or_b32 s2, vcc_lo, s1
	s_delay_alu instid0(SALU_CYCLE_1)
	s_and_saveexec_b32 s1, s2
	s_cbranch_execz .LBB501_200
; %bb.199:
	v_sub_f32_e32 v54, v55, v21
	s_mov_b32 s2, 0x3e9b6dac
	s_delay_alu instid0(VALU_DEP_1) | instskip(SKIP_1) | instid1(VALU_DEP_2)
	v_mul_f32_e32 v55, 0x3fb8aa3b, v54
	v_cmp_ngt_f32_e32 vcc_lo, 0xc2ce8ed0, v54
	v_fma_f32 v64, 0x3fb8aa3b, v54, -v55
	v_rndne_f32_e32 v66, v55
	s_delay_alu instid0(VALU_DEP_1) | instskip(NEXT) | instid1(VALU_DEP_1)
	v_dual_fmamk_f32 v64, v54, 0x32a5705f, v64 :: v_dual_sub_f32 v55, v55, v66
	v_add_f32_e32 v55, v55, v64
	v_cvt_i32_f32_e32 v64, v66
	s_delay_alu instid0(VALU_DEP_2) | instskip(SKIP_2) | instid1(VALU_DEP_1)
	v_exp_f32_e32 v55, v55
	s_waitcnt_depctr 0xfff
	v_ldexp_f32 v55, v55, v64
	v_cndmask_b32_e32 v55, 0, v55, vcc_lo
	v_cmp_nlt_f32_e32 vcc_lo, 0x42b17218, v54
	s_delay_alu instid0(VALU_DEP_2) | instskip(NEXT) | instid1(VALU_DEP_1)
	v_cndmask_b32_e32 v64, 0x7f800000, v55, vcc_lo
	v_add_f32_e32 v66, 1.0, v64
	s_delay_alu instid0(VALU_DEP_1) | instskip(NEXT) | instid1(VALU_DEP_1)
	v_cvt_f64_f32_e32 v[54:55], v66
	v_frexp_exp_i32_f64_e32 v54, v[54:55]
	v_frexp_mant_f32_e32 v55, v66
	s_delay_alu instid0(VALU_DEP_1) | instskip(SKIP_1) | instid1(VALU_DEP_1)
	v_cmp_gt_f32_e32 vcc_lo, 0x3f2aaaab, v55
	v_add_f32_e32 v55, -1.0, v66
	v_sub_f32_e32 v135, v55, v66
	v_subrev_co_ci_u32_e32 v54, vcc_lo, 0, v54, vcc_lo
	v_cmp_eq_f32_e32 vcc_lo, 0x7f800000, v64
	s_delay_alu instid0(VALU_DEP_2) | instskip(SKIP_1) | instid1(VALU_DEP_2)
	v_sub_nc_u32_e32 v68, 0, v54
	v_cvt_f32_i32_e32 v54, v54
	v_ldexp_f32 v66, v66, v68
	s_delay_alu instid0(VALU_DEP_1) | instskip(SKIP_1) | instid1(VALU_DEP_1)
	v_dual_sub_f32 v55, v64, v55 :: v_dual_add_f32 v144, 1.0, v66
	v_add_f32_e32 v135, 1.0, v135
	v_add_f32_e32 v55, v55, v135
	s_delay_alu instid0(VALU_DEP_1) | instskip(NEXT) | instid1(VALU_DEP_4)
	v_ldexp_f32 v55, v55, v68
	v_dual_add_f32 v68, -1.0, v66 :: v_dual_add_f32 v135, -1.0, v144
	s_delay_alu instid0(VALU_DEP_1) | instskip(NEXT) | instid1(VALU_DEP_2)
	v_add_f32_e32 v145, 1.0, v68
	v_sub_f32_e32 v135, v66, v135
	s_delay_alu instid0(VALU_DEP_1) | instskip(NEXT) | instid1(VALU_DEP_1)
	v_dual_sub_f32 v66, v66, v145 :: v_dual_add_f32 v135, v55, v135
	v_add_f32_e32 v145, v144, v135
	s_delay_alu instid0(VALU_DEP_2) | instskip(NEXT) | instid1(VALU_DEP_2)
	v_add_f32_e32 v55, v55, v66
	v_rcp_f32_e32 v66, v145
	s_delay_alu instid0(VALU_DEP_1) | instskip(SKIP_1) | instid1(VALU_DEP_1)
	v_add_f32_e32 v146, v68, v55
	v_sub_f32_e32 v144, v144, v145
	v_dual_sub_f32 v68, v68, v146 :: v_dual_add_f32 v135, v135, v144
	s_waitcnt_depctr 0xfff
	v_mul_f32_e32 v147, v146, v66
	s_delay_alu instid0(VALU_DEP_1) | instskip(NEXT) | instid1(VALU_DEP_1)
	v_dual_mul_f32 v148, v145, v147 :: v_dual_add_f32 v55, v55, v68
	v_fma_f32 v144, v147, v145, -v148
	s_delay_alu instid0(VALU_DEP_1) | instskip(NEXT) | instid1(VALU_DEP_1)
	v_fmac_f32_e32 v144, v147, v135
	v_add_f32_e32 v149, v148, v144
	s_delay_alu instid0(VALU_DEP_1) | instskip(SKIP_1) | instid1(VALU_DEP_2)
	v_sub_f32_e32 v150, v146, v149
	v_sub_f32_e32 v68, v149, v148
	;; [unrolled: 1-line block ×3, first 2 shown]
	s_delay_alu instid0(VALU_DEP_2) | instskip(NEXT) | instid1(VALU_DEP_2)
	v_sub_f32_e32 v68, v68, v144
	v_sub_f32_e32 v146, v146, v149
	s_delay_alu instid0(VALU_DEP_1) | instskip(NEXT) | instid1(VALU_DEP_1)
	v_add_f32_e32 v55, v55, v146
	v_add_f32_e32 v55, v68, v55
	s_delay_alu instid0(VALU_DEP_1) | instskip(NEXT) | instid1(VALU_DEP_1)
	v_add_f32_e32 v68, v150, v55
	v_mul_f32_e32 v144, v66, v68
	s_delay_alu instid0(VALU_DEP_1) | instskip(NEXT) | instid1(VALU_DEP_1)
	v_mul_f32_e32 v146, v145, v144
	v_fma_f32 v145, v144, v145, -v146
	s_delay_alu instid0(VALU_DEP_1) | instskip(NEXT) | instid1(VALU_DEP_1)
	v_fmac_f32_e32 v145, v144, v135
	v_add_f32_e32 v135, v146, v145
	s_delay_alu instid0(VALU_DEP_1) | instskip(NEXT) | instid1(VALU_DEP_1)
	v_dual_sub_f32 v149, v150, v68 :: v_dual_sub_f32 v148, v68, v135
	v_sub_f32_e32 v68, v68, v148
	v_sub_f32_e32 v146, v135, v146
	s_delay_alu instid0(VALU_DEP_2) | instskip(NEXT) | instid1(VALU_DEP_2)
	v_dual_sub_f32 v68, v68, v135 :: v_dual_add_f32 v55, v55, v149
	v_sub_f32_e32 v135, v146, v145
	s_delay_alu instid0(VALU_DEP_2) | instskip(SKIP_1) | instid1(VALU_DEP_2)
	v_add_f32_e32 v55, v55, v68
	v_add_f32_e32 v68, v147, v144
	;; [unrolled: 1-line block ×3, first 2 shown]
	s_delay_alu instid0(VALU_DEP_2) | instskip(NEXT) | instid1(VALU_DEP_2)
	v_sub_f32_e32 v135, v68, v147
	v_add_f32_e32 v55, v148, v55
	s_delay_alu instid0(VALU_DEP_2) | instskip(NEXT) | instid1(VALU_DEP_2)
	v_sub_f32_e32 v135, v144, v135
	v_mul_f32_e32 v55, v66, v55
	s_delay_alu instid0(VALU_DEP_1) | instskip(NEXT) | instid1(VALU_DEP_1)
	v_add_f32_e32 v55, v135, v55
	v_add_f32_e32 v66, v68, v55
	s_delay_alu instid0(VALU_DEP_1) | instskip(NEXT) | instid1(VALU_DEP_1)
	v_mul_f32_e32 v135, v66, v66
	v_fmaak_f32 v144, s2, v135, 0x3ecc95a3
	v_mul_f32_e32 v145, v66, v135
	v_cmp_gt_f32_e64 s2, 0x33800000, |v64|
	s_delay_alu instid0(VALU_DEP_3) | instskip(SKIP_2) | instid1(VALU_DEP_4)
	v_fmaak_f32 v135, v135, v144, 0x3f2aaada
	v_ldexp_f32 v144, v66, 1
	v_sub_f32_e32 v66, v66, v68
	s_or_b32 vcc_lo, vcc_lo, s2
	s_delay_alu instid0(VALU_DEP_3) | instskip(NEXT) | instid1(VALU_DEP_1)
	v_mul_f32_e32 v135, v145, v135
	v_dual_sub_f32 v55, v55, v66 :: v_dual_add_f32 v68, v144, v135
	s_delay_alu instid0(VALU_DEP_1) | instskip(NEXT) | instid1(VALU_DEP_2)
	v_ldexp_f32 v55, v55, 1
	v_sub_f32_e32 v66, v68, v144
	s_delay_alu instid0(VALU_DEP_1) | instskip(NEXT) | instid1(VALU_DEP_1)
	v_sub_f32_e32 v66, v135, v66
	v_add_f32_e32 v55, v55, v66
	s_delay_alu instid0(VALU_DEP_1) | instskip(NEXT) | instid1(VALU_DEP_1)
	v_add_f32_e32 v135, v68, v55
	v_dual_mul_f32 v145, 0x3f317218, v54 :: v_dual_sub_f32 v68, v135, v68
	s_delay_alu instid0(VALU_DEP_1) | instskip(NEXT) | instid1(VALU_DEP_1)
	v_fma_f32 v144, 0x3f317218, v54, -v145
	v_fmamk_f32 v54, v54, 0xb102e308, v144
	s_delay_alu instid0(VALU_DEP_1) | instskip(NEXT) | instid1(VALU_DEP_1)
	v_add_f32_e32 v66, v145, v54
	v_add_f32_e32 v144, v66, v135
	s_delay_alu instid0(VALU_DEP_1) | instskip(NEXT) | instid1(VALU_DEP_1)
	v_dual_sub_f32 v146, v144, v66 :: v_dual_sub_f32 v145, v66, v145
	v_sub_f32_e32 v147, v144, v146
	s_delay_alu instid0(VALU_DEP_1) | instskip(SKIP_1) | instid1(VALU_DEP_4)
	v_dual_sub_f32 v66, v66, v147 :: v_dual_sub_f32 v55, v55, v68
	v_sub_f32_e32 v68, v135, v146
	v_sub_f32_e32 v54, v54, v145
	s_delay_alu instid0(VALU_DEP_1) | instskip(NEXT) | instid1(VALU_DEP_1)
	v_dual_add_f32 v66, v68, v66 :: v_dual_add_f32 v135, v54, v55
	v_sub_f32_e32 v68, v135, v54
	s_delay_alu instid0(VALU_DEP_2) | instskip(NEXT) | instid1(VALU_DEP_2)
	v_add_f32_e32 v66, v135, v66
	v_sub_f32_e32 v135, v135, v68
	s_delay_alu instid0(VALU_DEP_2) | instskip(NEXT) | instid1(VALU_DEP_2)
	v_add_f32_e32 v145, v144, v66
	v_dual_sub_f32 v55, v55, v68 :: v_dual_sub_f32 v54, v54, v135
	s_delay_alu instid0(VALU_DEP_2) | instskip(NEXT) | instid1(VALU_DEP_1)
	v_sub_f32_e32 v68, v145, v144
	v_dual_add_f32 v54, v55, v54 :: v_dual_sub_f32 v55, v66, v68
	s_delay_alu instid0(VALU_DEP_1) | instskip(NEXT) | instid1(VALU_DEP_1)
	v_add_f32_e32 v54, v54, v55
	v_add_f32_e32 v54, v145, v54
	s_delay_alu instid0(VALU_DEP_1) | instskip(NEXT) | instid1(VALU_DEP_1)
	v_cndmask_b32_e32 v54, v54, v64, vcc_lo
	v_add_f32_e32 v54, v21, v54
.LBB501_200:
	s_or_b32 exec_lo, exec_lo, s1
	s_delay_alu instid0(VALU_DEP_1) | instskip(SKIP_1) | instid1(VALU_DEP_2)
	v_bfe_u32 v21, v54, 16, 1
	v_cmp_o_f32_e32 vcc_lo, v54, v54
	v_add3_u32 v21, v54, v21, 0x7fff
	s_delay_alu instid0(VALU_DEP_1) | instskip(NEXT) | instid1(VALU_DEP_1)
	v_lshrrev_b32_e32 v21, 16, v21
	v_cndmask_b32_e32 v21, 0x7fc0, v21, vcc_lo
	s_delay_alu instid0(VALU_DEP_1) | instskip(NEXT) | instid1(VALU_DEP_1)
	v_lshlrev_b32_e32 v55, 16, v21
	v_max_f32_e32 v54, v55, v55
	s_delay_alu instid0(VALU_DEP_1) | instskip(SKIP_2) | instid1(VALU_DEP_3)
	v_min_f32_e32 v64, v54, v70
	v_max_f32_e32 v54, v54, v70
	v_cmp_u_f32_e32 vcc_lo, v55, v55
	v_cndmask_b32_e32 v64, v64, v55, vcc_lo
	s_delay_alu instid0(VALU_DEP_3) | instskip(NEXT) | instid1(VALU_DEP_2)
	v_cndmask_b32_e32 v54, v54, v55, vcc_lo
	v_cndmask_b32_e64 v64, v64, v65, s4
	s_delay_alu instid0(VALU_DEP_2) | instskip(NEXT) | instid1(VALU_DEP_2)
	v_cndmask_b32_e64 v54, v54, v65, s4
	v_cmp_class_f32_e64 s1, v64, 0x1f8
	s_delay_alu instid0(VALU_DEP_2) | instskip(NEXT) | instid1(VALU_DEP_2)
	v_cmp_neq_f32_e32 vcc_lo, v64, v54
	s_or_b32 s2, vcc_lo, s1
	s_delay_alu instid0(SALU_CYCLE_1)
	s_and_saveexec_b32 s1, s2
	s_cbranch_execz .LBB501_202
; %bb.201:
	v_sub_f32_e32 v55, v64, v54
	s_mov_b32 s2, 0x3e9b6dac
	s_delay_alu instid0(VALU_DEP_1) | instskip(SKIP_1) | instid1(VALU_DEP_2)
	v_mul_f32_e32 v64, 0x3fb8aa3b, v55
	v_cmp_ngt_f32_e32 vcc_lo, 0xc2ce8ed0, v55
	v_fma_f32 v65, 0x3fb8aa3b, v55, -v64
	v_rndne_f32_e32 v66, v64
	s_delay_alu instid0(VALU_DEP_1) | instskip(NEXT) | instid1(VALU_DEP_1)
	v_dual_fmamk_f32 v65, v55, 0x32a5705f, v65 :: v_dual_sub_f32 v64, v64, v66
	v_add_f32_e32 v64, v64, v65
	v_cvt_i32_f32_e32 v65, v66
	s_delay_alu instid0(VALU_DEP_2) | instskip(SKIP_2) | instid1(VALU_DEP_1)
	v_exp_f32_e32 v64, v64
	s_waitcnt_depctr 0xfff
	v_ldexp_f32 v64, v64, v65
	v_cndmask_b32_e32 v64, 0, v64, vcc_lo
	v_cmp_nlt_f32_e32 vcc_lo, 0x42b17218, v55
	s_delay_alu instid0(VALU_DEP_2) | instskip(NEXT) | instid1(VALU_DEP_1)
	v_cndmask_b32_e32 v55, 0x7f800000, v64, vcc_lo
	v_add_f32_e32 v66, 1.0, v55
	s_delay_alu instid0(VALU_DEP_1) | instskip(NEXT) | instid1(VALU_DEP_1)
	v_cvt_f64_f32_e32 v[64:65], v66
	v_frexp_exp_i32_f64_e32 v64, v[64:65]
	v_frexp_mant_f32_e32 v65, v66
	s_delay_alu instid0(VALU_DEP_1) | instskip(SKIP_1) | instid1(VALU_DEP_1)
	v_cmp_gt_f32_e32 vcc_lo, 0x3f2aaaab, v65
	v_add_f32_e32 v65, -1.0, v66
	v_dual_sub_f32 v70, v65, v66 :: v_dual_sub_f32 v65, v55, v65
	s_delay_alu instid0(VALU_DEP_1) | instskip(SKIP_2) | instid1(VALU_DEP_2)
	v_add_f32_e32 v70, 1.0, v70
	v_subrev_co_ci_u32_e32 v64, vcc_lo, 0, v64, vcc_lo
	v_cmp_eq_f32_e32 vcc_lo, 0x7f800000, v55
	v_sub_nc_u32_e32 v68, 0, v64
	v_cvt_f32_i32_e32 v64, v64
	s_delay_alu instid0(VALU_DEP_2) | instskip(NEXT) | instid1(VALU_DEP_1)
	v_ldexp_f32 v66, v66, v68
	v_add_f32_e32 v135, 1.0, v66
	s_delay_alu instid0(VALU_DEP_1) | instskip(NEXT) | instid1(VALU_DEP_1)
	v_dual_add_f32 v65, v65, v70 :: v_dual_add_f32 v70, -1.0, v135
	v_ldexp_f32 v65, v65, v68
	v_add_f32_e32 v68, -1.0, v66
	s_delay_alu instid0(VALU_DEP_3) | instskip(NEXT) | instid1(VALU_DEP_2)
	v_sub_f32_e32 v70, v66, v70
	v_add_f32_e32 v144, 1.0, v68
	s_delay_alu instid0(VALU_DEP_2) | instskip(NEXT) | instid1(VALU_DEP_2)
	v_add_f32_e32 v70, v65, v70
	v_sub_f32_e32 v66, v66, v144
	s_delay_alu instid0(VALU_DEP_2) | instskip(NEXT) | instid1(VALU_DEP_2)
	v_add_f32_e32 v144, v135, v70
	v_add_f32_e32 v65, v65, v66
	s_delay_alu instid0(VALU_DEP_2) | instskip(SKIP_1) | instid1(VALU_DEP_2)
	v_rcp_f32_e32 v66, v144
	v_sub_f32_e32 v135, v135, v144
	v_add_f32_e32 v145, v68, v65
	s_delay_alu instid0(VALU_DEP_1) | instskip(NEXT) | instid1(VALU_DEP_3)
	v_sub_f32_e32 v68, v68, v145
	v_add_f32_e32 v70, v70, v135
	s_waitcnt_depctr 0xfff
	v_mul_f32_e32 v146, v145, v66
	v_add_f32_e32 v65, v65, v68
	s_delay_alu instid0(VALU_DEP_2) | instskip(NEXT) | instid1(VALU_DEP_1)
	v_mul_f32_e32 v147, v144, v146
	v_fma_f32 v135, v146, v144, -v147
	s_delay_alu instid0(VALU_DEP_1) | instskip(NEXT) | instid1(VALU_DEP_1)
	v_fmac_f32_e32 v135, v146, v70
	v_add_f32_e32 v148, v147, v135
	s_delay_alu instid0(VALU_DEP_1) | instskip(NEXT) | instid1(VALU_DEP_1)
	v_sub_f32_e32 v149, v145, v148
	v_sub_f32_e32 v145, v145, v149
	s_delay_alu instid0(VALU_DEP_1) | instskip(NEXT) | instid1(VALU_DEP_1)
	v_sub_f32_e32 v145, v145, v148
	v_dual_add_f32 v65, v65, v145 :: v_dual_sub_f32 v68, v148, v147
	s_delay_alu instid0(VALU_DEP_1) | instskip(NEXT) | instid1(VALU_DEP_1)
	v_sub_f32_e32 v68, v68, v135
	v_add_f32_e32 v65, v68, v65
	s_delay_alu instid0(VALU_DEP_1) | instskip(NEXT) | instid1(VALU_DEP_1)
	v_add_f32_e32 v68, v149, v65
	v_mul_f32_e32 v135, v66, v68
	s_delay_alu instid0(VALU_DEP_1) | instskip(NEXT) | instid1(VALU_DEP_1)
	v_dual_mul_f32 v145, v144, v135 :: v_dual_sub_f32 v148, v149, v68
	v_fma_f32 v144, v135, v144, -v145
	s_delay_alu instid0(VALU_DEP_1) | instskip(NEXT) | instid1(VALU_DEP_1)
	v_dual_add_f32 v65, v65, v148 :: v_dual_fmac_f32 v144, v135, v70
	v_add_f32_e32 v70, v145, v144
	s_delay_alu instid0(VALU_DEP_1) | instskip(NEXT) | instid1(VALU_DEP_1)
	v_sub_f32_e32 v147, v68, v70
	v_dual_sub_f32 v145, v70, v145 :: v_dual_sub_f32 v68, v68, v147
	s_delay_alu instid0(VALU_DEP_1) | instskip(NEXT) | instid1(VALU_DEP_2)
	v_sub_f32_e32 v68, v68, v70
	v_sub_f32_e32 v70, v145, v144
	s_delay_alu instid0(VALU_DEP_2) | instskip(NEXT) | instid1(VALU_DEP_1)
	v_dual_add_f32 v65, v65, v68 :: v_dual_add_f32 v68, v146, v135
	v_dual_add_f32 v65, v70, v65 :: v_dual_sub_f32 v70, v68, v146
	s_delay_alu instid0(VALU_DEP_1) | instskip(NEXT) | instid1(VALU_DEP_1)
	v_add_f32_e32 v65, v147, v65
	v_dual_sub_f32 v70, v135, v70 :: v_dual_mul_f32 v65, v66, v65
	s_delay_alu instid0(VALU_DEP_1) | instskip(NEXT) | instid1(VALU_DEP_1)
	v_add_f32_e32 v65, v70, v65
	v_add_f32_e32 v66, v68, v65
	s_delay_alu instid0(VALU_DEP_1) | instskip(NEXT) | instid1(VALU_DEP_1)
	v_mul_f32_e32 v70, v66, v66
	v_fmaak_f32 v135, s2, v70, 0x3ecc95a3
	v_mul_f32_e32 v144, v66, v70
	v_cmp_gt_f32_e64 s2, 0x33800000, |v55|
	s_delay_alu instid0(VALU_DEP_3) | instskip(SKIP_2) | instid1(VALU_DEP_4)
	v_fmaak_f32 v70, v70, v135, 0x3f2aaada
	v_ldexp_f32 v135, v66, 1
	v_sub_f32_e32 v66, v66, v68
	s_or_b32 vcc_lo, vcc_lo, s2
	s_delay_alu instid0(VALU_DEP_3) | instskip(NEXT) | instid1(VALU_DEP_2)
	v_mul_f32_e32 v70, v144, v70
	v_sub_f32_e32 v65, v65, v66
	s_delay_alu instid0(VALU_DEP_2) | instskip(NEXT) | instid1(VALU_DEP_2)
	v_add_f32_e32 v68, v135, v70
	v_ldexp_f32 v65, v65, 1
	s_delay_alu instid0(VALU_DEP_2) | instskip(NEXT) | instid1(VALU_DEP_1)
	v_sub_f32_e32 v66, v68, v135
	v_sub_f32_e32 v66, v70, v66
	s_delay_alu instid0(VALU_DEP_1) | instskip(NEXT) | instid1(VALU_DEP_1)
	v_dual_mul_f32 v144, 0x3f317218, v64 :: v_dual_add_f32 v65, v65, v66
	v_fma_f32 v135, 0x3f317218, v64, -v144
	s_delay_alu instid0(VALU_DEP_2) | instskip(NEXT) | instid1(VALU_DEP_2)
	v_add_f32_e32 v70, v68, v65
	v_fmamk_f32 v64, v64, 0xb102e308, v135
	s_delay_alu instid0(VALU_DEP_2) | instskip(NEXT) | instid1(VALU_DEP_2)
	v_sub_f32_e32 v68, v70, v68
	v_add_f32_e32 v66, v144, v64
	s_delay_alu instid0(VALU_DEP_2) | instskip(NEXT) | instid1(VALU_DEP_2)
	v_sub_f32_e32 v65, v65, v68
	v_add_f32_e32 v135, v66, v70
	s_delay_alu instid0(VALU_DEP_1) | instskip(NEXT) | instid1(VALU_DEP_1)
	v_dual_sub_f32 v144, v66, v144 :: v_dual_sub_f32 v145, v135, v66
	v_sub_f32_e32 v64, v64, v144
	s_delay_alu instid0(VALU_DEP_2) | instskip(SKIP_1) | instid1(VALU_DEP_3)
	v_sub_f32_e32 v146, v135, v145
	v_sub_f32_e32 v68, v70, v145
	v_add_f32_e32 v70, v64, v65
	s_delay_alu instid0(VALU_DEP_3) | instskip(NEXT) | instid1(VALU_DEP_1)
	v_sub_f32_e32 v66, v66, v146
	v_add_f32_e32 v66, v68, v66
	s_delay_alu instid0(VALU_DEP_3) | instskip(NEXT) | instid1(VALU_DEP_2)
	v_sub_f32_e32 v68, v70, v64
	v_add_f32_e32 v66, v70, v66
	s_delay_alu instid0(VALU_DEP_2) | instskip(NEXT) | instid1(VALU_DEP_2)
	v_sub_f32_e32 v70, v70, v68
	v_dual_sub_f32 v65, v65, v68 :: v_dual_add_f32 v144, v135, v66
	s_delay_alu instid0(VALU_DEP_2) | instskip(NEXT) | instid1(VALU_DEP_2)
	v_sub_f32_e32 v64, v64, v70
	v_sub_f32_e32 v68, v144, v135
	s_delay_alu instid0(VALU_DEP_2) | instskip(NEXT) | instid1(VALU_DEP_2)
	v_add_f32_e32 v64, v65, v64
	v_sub_f32_e32 v65, v66, v68
	s_delay_alu instid0(VALU_DEP_1) | instskip(NEXT) | instid1(VALU_DEP_1)
	v_add_f32_e32 v64, v64, v65
	v_add_f32_e32 v64, v144, v64
	s_delay_alu instid0(VALU_DEP_1) | instskip(NEXT) | instid1(VALU_DEP_1)
	v_cndmask_b32_e32 v55, v64, v55, vcc_lo
	v_add_f32_e32 v55, v54, v55
.LBB501_202:
	s_or_b32 exec_lo, exec_lo, s1
	s_delay_alu instid0(VALU_DEP_1) | instskip(SKIP_1) | instid1(VALU_DEP_2)
	v_bfe_u32 v54, v55, 16, 1
	v_cmp_o_f32_e32 vcc_lo, v55, v55
	v_add3_u32 v54, v55, v54, 0x7fff
	s_delay_alu instid0(VALU_DEP_1) | instskip(NEXT) | instid1(VALU_DEP_1)
	v_lshrrev_b32_e32 v54, 16, v54
	v_cndmask_b32_e32 v54, 0x7fc0, v54, vcc_lo
	s_delay_alu instid0(VALU_DEP_1) | instskip(NEXT) | instid1(VALU_DEP_1)
	v_lshlrev_b32_e32 v64, 16, v54
	v_max_f32_e32 v55, v64, v64
	s_delay_alu instid0(VALU_DEP_1) | instskip(SKIP_2) | instid1(VALU_DEP_3)
	v_min_f32_e32 v65, v55, v80
	v_max_f32_e32 v55, v55, v80
	v_cmp_u_f32_e32 vcc_lo, v64, v64
	v_cndmask_b32_e32 v65, v65, v64, vcc_lo
	s_delay_alu instid0(VALU_DEP_3) | instskip(NEXT) | instid1(VALU_DEP_2)
	v_cndmask_b32_e32 v55, v55, v64, vcc_lo
	v_cndmask_b32_e64 v65, v65, v67, s5
	s_delay_alu instid0(VALU_DEP_2) | instskip(NEXT) | instid1(VALU_DEP_2)
	v_cndmask_b32_e64 v55, v55, v67, s5
	v_cmp_class_f32_e64 s1, v65, 0x1f8
	s_delay_alu instid0(VALU_DEP_2) | instskip(NEXT) | instid1(VALU_DEP_2)
	v_cmp_neq_f32_e32 vcc_lo, v65, v55
	s_or_b32 s2, vcc_lo, s1
	s_delay_alu instid0(SALU_CYCLE_1)
	s_and_saveexec_b32 s1, s2
	s_cbranch_execz .LBB501_204
; %bb.203:
	v_sub_f32_e32 v64, v65, v55
	s_mov_b32 s2, 0x3e9b6dac
	s_delay_alu instid0(VALU_DEP_1) | instskip(SKIP_1) | instid1(VALU_DEP_2)
	v_mul_f32_e32 v65, 0x3fb8aa3b, v64
	v_cmp_ngt_f32_e32 vcc_lo, 0xc2ce8ed0, v64
	v_fma_f32 v66, 0x3fb8aa3b, v64, -v65
	v_rndne_f32_e32 v67, v65
	s_delay_alu instid0(VALU_DEP_1) | instskip(NEXT) | instid1(VALU_DEP_1)
	v_dual_fmamk_f32 v66, v64, 0x32a5705f, v66 :: v_dual_sub_f32 v65, v65, v67
	v_add_f32_e32 v65, v65, v66
	v_cvt_i32_f32_e32 v66, v67
	s_delay_alu instid0(VALU_DEP_2) | instskip(SKIP_2) | instid1(VALU_DEP_1)
	v_exp_f32_e32 v65, v65
	s_waitcnt_depctr 0xfff
	v_ldexp_f32 v65, v65, v66
	v_cndmask_b32_e32 v65, 0, v65, vcc_lo
	v_cmp_nlt_f32_e32 vcc_lo, 0x42b17218, v64
	s_delay_alu instid0(VALU_DEP_2) | instskip(NEXT) | instid1(VALU_DEP_1)
	v_cndmask_b32_e32 v66, 0x7f800000, v65, vcc_lo
	v_add_f32_e32 v67, 1.0, v66
	s_delay_alu instid0(VALU_DEP_1) | instskip(NEXT) | instid1(VALU_DEP_1)
	v_cvt_f64_f32_e32 v[64:65], v67
	v_frexp_exp_i32_f64_e32 v64, v[64:65]
	v_frexp_mant_f32_e32 v65, v67
	s_delay_alu instid0(VALU_DEP_1) | instskip(SKIP_1) | instid1(VALU_DEP_1)
	v_cmp_gt_f32_e32 vcc_lo, 0x3f2aaaab, v65
	v_add_f32_e32 v65, -1.0, v67
	v_dual_sub_f32 v70, v65, v67 :: v_dual_sub_f32 v65, v66, v65
	s_delay_alu instid0(VALU_DEP_1) | instskip(SKIP_2) | instid1(VALU_DEP_2)
	v_add_f32_e32 v70, 1.0, v70
	v_subrev_co_ci_u32_e32 v64, vcc_lo, 0, v64, vcc_lo
	v_cmp_eq_f32_e32 vcc_lo, 0x7f800000, v66
	v_sub_nc_u32_e32 v68, 0, v64
	v_cvt_f32_i32_e32 v64, v64
	s_delay_alu instid0(VALU_DEP_2) | instskip(NEXT) | instid1(VALU_DEP_1)
	v_ldexp_f32 v67, v67, v68
	v_dual_add_f32 v65, v65, v70 :: v_dual_add_f32 v80, 1.0, v67
	s_delay_alu instid0(VALU_DEP_1) | instskip(SKIP_1) | instid1(VALU_DEP_3)
	v_ldexp_f32 v65, v65, v68
	v_add_f32_e32 v68, -1.0, v67
	v_add_f32_e32 v70, -1.0, v80
	s_delay_alu instid0(VALU_DEP_1) | instskip(NEXT) | instid1(VALU_DEP_1)
	v_dual_add_f32 v135, 1.0, v68 :: v_dual_sub_f32 v70, v67, v70
	v_dual_sub_f32 v67, v67, v135 :: v_dual_add_f32 v70, v65, v70
	s_delay_alu instid0(VALU_DEP_1) | instskip(NEXT) | instid1(VALU_DEP_1)
	v_add_f32_e32 v135, v80, v70
	v_sub_f32_e32 v80, v80, v135
	s_delay_alu instid0(VALU_DEP_1) | instskip(SKIP_1) | instid1(VALU_DEP_1)
	v_dual_add_f32 v70, v70, v80 :: v_dual_add_f32 v65, v65, v67
	v_rcp_f32_e32 v67, v135
	v_add_f32_e32 v144, v68, v65
	s_waitcnt_depctr 0xfff
	v_mul_f32_e32 v145, v144, v67
	s_delay_alu instid0(VALU_DEP_1) | instskip(NEXT) | instid1(VALU_DEP_1)
	v_mul_f32_e32 v146, v135, v145
	v_fma_f32 v80, v145, v135, -v146
	s_delay_alu instid0(VALU_DEP_1) | instskip(NEXT) | instid1(VALU_DEP_1)
	v_fmac_f32_e32 v80, v145, v70
	v_add_f32_e32 v147, v146, v80
	v_sub_f32_e32 v68, v68, v144
	s_delay_alu instid0(VALU_DEP_1) | instskip(SKIP_1) | instid1(VALU_DEP_2)
	v_dual_add_f32 v65, v65, v68 :: v_dual_sub_f32 v148, v144, v147
	v_sub_f32_e32 v68, v147, v146
	v_sub_f32_e32 v144, v144, v148
	s_delay_alu instid0(VALU_DEP_2) | instskip(NEXT) | instid1(VALU_DEP_2)
	v_sub_f32_e32 v68, v68, v80
	v_sub_f32_e32 v144, v144, v147
	s_delay_alu instid0(VALU_DEP_1) | instskip(NEXT) | instid1(VALU_DEP_1)
	v_add_f32_e32 v65, v65, v144
	v_add_f32_e32 v65, v68, v65
	s_delay_alu instid0(VALU_DEP_1) | instskip(NEXT) | instid1(VALU_DEP_1)
	v_add_f32_e32 v68, v148, v65
	v_mul_f32_e32 v80, v67, v68
	v_sub_f32_e32 v147, v148, v68
	s_delay_alu instid0(VALU_DEP_1) | instskip(NEXT) | instid1(VALU_DEP_1)
	v_dual_mul_f32 v144, v135, v80 :: v_dual_add_f32 v65, v65, v147
	v_fma_f32 v135, v80, v135, -v144
	s_delay_alu instid0(VALU_DEP_1) | instskip(NEXT) | instid1(VALU_DEP_1)
	v_fmac_f32_e32 v135, v80, v70
	v_add_f32_e32 v70, v144, v135
	s_delay_alu instid0(VALU_DEP_1) | instskip(NEXT) | instid1(VALU_DEP_1)
	v_sub_f32_e32 v146, v68, v70
	v_sub_f32_e32 v68, v68, v146
	s_delay_alu instid0(VALU_DEP_1) | instskip(NEXT) | instid1(VALU_DEP_1)
	v_sub_f32_e32 v68, v68, v70
	v_add_f32_e32 v65, v65, v68
	v_add_f32_e32 v68, v145, v80
	v_sub_f32_e32 v144, v70, v144
	s_delay_alu instid0(VALU_DEP_1) | instskip(NEXT) | instid1(VALU_DEP_1)
	v_sub_f32_e32 v70, v144, v135
	v_add_f32_e32 v65, v70, v65
	s_delay_alu instid0(VALU_DEP_4) | instskip(NEXT) | instid1(VALU_DEP_1)
	v_sub_f32_e32 v70, v68, v145
	v_dual_add_f32 v65, v146, v65 :: v_dual_sub_f32 v70, v80, v70
	s_delay_alu instid0(VALU_DEP_1) | instskip(NEXT) | instid1(VALU_DEP_1)
	v_mul_f32_e32 v65, v67, v65
	v_add_f32_e32 v65, v70, v65
	s_delay_alu instid0(VALU_DEP_1) | instskip(NEXT) | instid1(VALU_DEP_1)
	v_add_f32_e32 v67, v68, v65
	v_mul_f32_e32 v70, v67, v67
	s_delay_alu instid0(VALU_DEP_1) | instskip(SKIP_2) | instid1(VALU_DEP_3)
	v_fmaak_f32 v80, s2, v70, 0x3ecc95a3
	v_mul_f32_e32 v135, v67, v70
	v_cmp_gt_f32_e64 s2, 0x33800000, |v66|
	v_fmaak_f32 v70, v70, v80, 0x3f2aaada
	v_ldexp_f32 v80, v67, 1
	v_sub_f32_e32 v67, v67, v68
	s_delay_alu instid0(VALU_DEP_4) | instskip(NEXT) | instid1(VALU_DEP_3)
	s_or_b32 vcc_lo, vcc_lo, s2
	v_dual_mul_f32 v70, v135, v70 :: v_dual_mul_f32 v135, 0x3f317218, v64
	s_delay_alu instid0(VALU_DEP_1) | instskip(NEXT) | instid1(VALU_DEP_1)
	v_dual_sub_f32 v65, v65, v67 :: v_dual_add_f32 v68, v80, v70
	v_ldexp_f32 v65, v65, 1
	s_delay_alu instid0(VALU_DEP_2) | instskip(NEXT) | instid1(VALU_DEP_4)
	v_sub_f32_e32 v67, v68, v80
	v_fma_f32 v80, 0x3f317218, v64, -v135
	s_delay_alu instid0(VALU_DEP_2) | instskip(NEXT) | instid1(VALU_DEP_1)
	v_sub_f32_e32 v67, v70, v67
	v_add_f32_e32 v65, v65, v67
	s_delay_alu instid0(VALU_DEP_1) | instskip(NEXT) | instid1(VALU_DEP_1)
	v_add_f32_e32 v70, v68, v65
	v_sub_f32_e32 v68, v70, v68
	s_delay_alu instid0(VALU_DEP_1) | instskip(NEXT) | instid1(VALU_DEP_1)
	v_dual_sub_f32 v65, v65, v68 :: v_dual_fmamk_f32 v64, v64, 0xb102e308, v80
	v_add_f32_e32 v67, v135, v64
	s_delay_alu instid0(VALU_DEP_1) | instskip(SKIP_1) | instid1(VALU_DEP_2)
	v_add_f32_e32 v80, v67, v70
	v_sub_f32_e32 v135, v67, v135
	v_sub_f32_e32 v144, v80, v67
	s_delay_alu instid0(VALU_DEP_2) | instskip(NEXT) | instid1(VALU_DEP_2)
	v_sub_f32_e32 v64, v64, v135
	v_sub_f32_e32 v145, v80, v144
	;; [unrolled: 1-line block ×3, first 2 shown]
	s_delay_alu instid0(VALU_DEP_3) | instskip(NEXT) | instid1(VALU_DEP_3)
	v_add_f32_e32 v70, v64, v65
	v_sub_f32_e32 v67, v67, v145
	s_delay_alu instid0(VALU_DEP_1) | instskip(NEXT) | instid1(VALU_DEP_1)
	v_dual_add_f32 v67, v68, v67 :: v_dual_sub_f32 v68, v70, v64
	v_add_f32_e32 v67, v70, v67
	s_delay_alu instid0(VALU_DEP_2) | instskip(SKIP_1) | instid1(VALU_DEP_3)
	v_sub_f32_e32 v70, v70, v68
	v_sub_f32_e32 v65, v65, v68
	v_add_f32_e32 v135, v80, v67
	s_delay_alu instid0(VALU_DEP_3) | instskip(NEXT) | instid1(VALU_DEP_2)
	v_sub_f32_e32 v64, v64, v70
	v_sub_f32_e32 v68, v135, v80
	s_delay_alu instid0(VALU_DEP_2) | instskip(NEXT) | instid1(VALU_DEP_2)
	v_add_f32_e32 v64, v65, v64
	v_sub_f32_e32 v65, v67, v68
	s_delay_alu instid0(VALU_DEP_1) | instskip(NEXT) | instid1(VALU_DEP_1)
	v_add_f32_e32 v64, v64, v65
	v_add_f32_e32 v64, v135, v64
	s_delay_alu instid0(VALU_DEP_1) | instskip(NEXT) | instid1(VALU_DEP_1)
	v_cndmask_b32_e32 v64, v64, v66, vcc_lo
	v_add_f32_e32 v64, v55, v64
.LBB501_204:
	s_or_b32 exec_lo, exec_lo, s1
	s_delay_alu instid0(VALU_DEP_1) | instskip(SKIP_1) | instid1(VALU_DEP_2)
	v_bfe_u32 v55, v64, 16, 1
	v_cmp_o_f32_e32 vcc_lo, v64, v64
	v_add3_u32 v55, v64, v55, 0x7fff
	s_delay_alu instid0(VALU_DEP_1) | instskip(NEXT) | instid1(VALU_DEP_1)
	v_lshrrev_b32_e32 v55, 16, v55
	v_cndmask_b32_e32 v55, 0x7fc0, v55, vcc_lo
	s_delay_alu instid0(VALU_DEP_1) | instskip(NEXT) | instid1(VALU_DEP_1)
	v_lshlrev_b32_e32 v65, 16, v55
	v_max_f32_e32 v64, v65, v65
	s_delay_alu instid0(VALU_DEP_1) | instskip(SKIP_2) | instid1(VALU_DEP_3)
	v_min_f32_e32 v66, v64, v82
	v_max_f32_e32 v64, v64, v82
	v_cmp_u_f32_e32 vcc_lo, v65, v65
	v_cndmask_b32_e32 v66, v66, v65, vcc_lo
	s_delay_alu instid0(VALU_DEP_3) | instskip(NEXT) | instid1(VALU_DEP_2)
	v_cndmask_b32_e32 v64, v64, v65, vcc_lo
	v_cndmask_b32_e64 v66, v66, v69, s6
	s_delay_alu instid0(VALU_DEP_2) | instskip(NEXT) | instid1(VALU_DEP_2)
	v_cndmask_b32_e64 v64, v64, v69, s6
	v_cmp_class_f32_e64 s1, v66, 0x1f8
	s_delay_alu instid0(VALU_DEP_2) | instskip(NEXT) | instid1(VALU_DEP_2)
	v_cmp_neq_f32_e32 vcc_lo, v66, v64
	s_or_b32 s2, vcc_lo, s1
	s_delay_alu instid0(SALU_CYCLE_1)
	s_and_saveexec_b32 s1, s2
	s_cbranch_execz .LBB501_206
; %bb.205:
	v_sub_f32_e32 v65, v66, v64
	s_mov_b32 s2, 0x3e9b6dac
	s_delay_alu instid0(VALU_DEP_1) | instskip(SKIP_1) | instid1(VALU_DEP_2)
	v_mul_f32_e32 v66, 0x3fb8aa3b, v65
	v_cmp_ngt_f32_e32 vcc_lo, 0xc2ce8ed0, v65
	v_fma_f32 v67, 0x3fb8aa3b, v65, -v66
	v_rndne_f32_e32 v68, v66
	s_delay_alu instid0(VALU_DEP_1) | instskip(NEXT) | instid1(VALU_DEP_1)
	v_dual_fmamk_f32 v67, v65, 0x32a5705f, v67 :: v_dual_sub_f32 v66, v66, v68
	v_add_f32_e32 v66, v66, v67
	v_cvt_i32_f32_e32 v67, v68
	s_delay_alu instid0(VALU_DEP_2) | instskip(SKIP_2) | instid1(VALU_DEP_1)
	v_exp_f32_e32 v66, v66
	s_waitcnt_depctr 0xfff
	v_ldexp_f32 v66, v66, v67
	v_cndmask_b32_e32 v66, 0, v66, vcc_lo
	v_cmp_nlt_f32_e32 vcc_lo, 0x42b17218, v65
	s_delay_alu instid0(VALU_DEP_2) | instskip(NEXT) | instid1(VALU_DEP_1)
	v_cndmask_b32_e32 v67, 0x7f800000, v66, vcc_lo
	v_add_f32_e32 v68, 1.0, v67
	s_delay_alu instid0(VALU_DEP_1) | instskip(NEXT) | instid1(VALU_DEP_1)
	v_cvt_f64_f32_e32 v[65:66], v68
	v_frexp_exp_i32_f64_e32 v65, v[65:66]
	v_frexp_mant_f32_e32 v66, v68
	s_delay_alu instid0(VALU_DEP_1) | instskip(SKIP_1) | instid1(VALU_DEP_1)
	v_cmp_gt_f32_e32 vcc_lo, 0x3f2aaaab, v66
	v_add_f32_e32 v66, -1.0, v68
	v_sub_f32_e32 v70, v66, v68
	v_sub_f32_e32 v66, v67, v66
	s_delay_alu instid0(VALU_DEP_2) | instskip(NEXT) | instid1(VALU_DEP_1)
	v_add_f32_e32 v70, 1.0, v70
	v_add_f32_e32 v66, v66, v70
	v_subrev_co_ci_u32_e32 v65, vcc_lo, 0, v65, vcc_lo
	v_cmp_eq_f32_e32 vcc_lo, 0x7f800000, v67
	s_delay_alu instid0(VALU_DEP_2) | instskip(SKIP_1) | instid1(VALU_DEP_2)
	v_sub_nc_u32_e32 v69, 0, v65
	v_cvt_f32_i32_e32 v65, v65
	v_ldexp_f32 v68, v68, v69
	v_ldexp_f32 v66, v66, v69
	s_delay_alu instid0(VALU_DEP_2) | instskip(SKIP_1) | instid1(VALU_DEP_2)
	v_add_f32_e32 v80, 1.0, v68
	v_add_f32_e32 v69, -1.0, v68
	v_add_f32_e32 v70, -1.0, v80
	s_delay_alu instid0(VALU_DEP_2) | instskip(NEXT) | instid1(VALU_DEP_2)
	v_add_f32_e32 v82, 1.0, v69
	v_sub_f32_e32 v70, v68, v70
	s_delay_alu instid0(VALU_DEP_2) | instskip(NEXT) | instid1(VALU_DEP_2)
	v_sub_f32_e32 v68, v68, v82
	v_add_f32_e32 v70, v66, v70
	s_delay_alu instid0(VALU_DEP_2) | instskip(NEXT) | instid1(VALU_DEP_2)
	v_add_f32_e32 v66, v66, v68
	v_add_f32_e32 v82, v80, v70
	s_delay_alu instid0(VALU_DEP_2) | instskip(NEXT) | instid1(VALU_DEP_2)
	v_add_f32_e32 v135, v69, v66
	v_rcp_f32_e32 v68, v82
	s_delay_alu instid0(VALU_DEP_1) | instskip(NEXT) | instid1(VALU_DEP_1)
	v_dual_sub_f32 v80, v80, v82 :: v_dual_sub_f32 v69, v69, v135
	v_add_f32_e32 v70, v70, v80
	s_waitcnt_depctr 0xfff
	v_mul_f32_e32 v144, v135, v68
	v_add_f32_e32 v66, v66, v69
	s_delay_alu instid0(VALU_DEP_2) | instskip(NEXT) | instid1(VALU_DEP_1)
	v_mul_f32_e32 v145, v82, v144
	v_fma_f32 v80, v144, v82, -v145
	s_delay_alu instid0(VALU_DEP_1) | instskip(NEXT) | instid1(VALU_DEP_1)
	v_fmac_f32_e32 v80, v144, v70
	v_add_f32_e32 v146, v145, v80
	s_delay_alu instid0(VALU_DEP_1) | instskip(SKIP_1) | instid1(VALU_DEP_2)
	v_sub_f32_e32 v147, v135, v146
	v_sub_f32_e32 v69, v146, v145
	;; [unrolled: 1-line block ×3, first 2 shown]
	s_delay_alu instid0(VALU_DEP_2) | instskip(NEXT) | instid1(VALU_DEP_2)
	v_sub_f32_e32 v69, v69, v80
	v_sub_f32_e32 v135, v135, v146
	s_delay_alu instid0(VALU_DEP_1) | instskip(NEXT) | instid1(VALU_DEP_1)
	v_add_f32_e32 v66, v66, v135
	v_add_f32_e32 v66, v69, v66
	s_delay_alu instid0(VALU_DEP_1) | instskip(NEXT) | instid1(VALU_DEP_1)
	v_add_f32_e32 v69, v147, v66
	v_mul_f32_e32 v80, v68, v69
	s_delay_alu instid0(VALU_DEP_1) | instskip(NEXT) | instid1(VALU_DEP_1)
	v_dual_sub_f32 v146, v147, v69 :: v_dual_mul_f32 v135, v82, v80
	v_add_f32_e32 v66, v66, v146
	s_delay_alu instid0(VALU_DEP_2) | instskip(NEXT) | instid1(VALU_DEP_1)
	v_fma_f32 v82, v80, v82, -v135
	v_fmac_f32_e32 v82, v80, v70
	s_delay_alu instid0(VALU_DEP_1) | instskip(NEXT) | instid1(VALU_DEP_1)
	v_add_f32_e32 v70, v135, v82
	v_sub_f32_e32 v145, v69, v70
	v_sub_f32_e32 v135, v70, v135
	s_delay_alu instid0(VALU_DEP_2) | instskip(NEXT) | instid1(VALU_DEP_1)
	v_sub_f32_e32 v69, v69, v145
	v_sub_f32_e32 v69, v69, v70
	s_delay_alu instid0(VALU_DEP_3) | instskip(NEXT) | instid1(VALU_DEP_2)
	v_sub_f32_e32 v70, v135, v82
	v_dual_add_f32 v66, v66, v69 :: v_dual_add_f32 v69, v144, v80
	s_delay_alu instid0(VALU_DEP_1) | instskip(NEXT) | instid1(VALU_DEP_2)
	v_add_f32_e32 v66, v70, v66
	v_sub_f32_e32 v70, v69, v144
	s_delay_alu instid0(VALU_DEP_2) | instskip(NEXT) | instid1(VALU_DEP_2)
	v_add_f32_e32 v66, v145, v66
	v_sub_f32_e32 v70, v80, v70
	s_delay_alu instid0(VALU_DEP_2) | instskip(NEXT) | instid1(VALU_DEP_1)
	v_mul_f32_e32 v66, v68, v66
	v_add_f32_e32 v66, v70, v66
	s_delay_alu instid0(VALU_DEP_1) | instskip(NEXT) | instid1(VALU_DEP_1)
	v_add_f32_e32 v68, v69, v66
	v_mul_f32_e32 v70, v68, v68
	s_delay_alu instid0(VALU_DEP_1) | instskip(SKIP_2) | instid1(VALU_DEP_3)
	v_fmaak_f32 v80, s2, v70, 0x3ecc95a3
	v_mul_f32_e32 v82, v68, v70
	v_cmp_gt_f32_e64 s2, 0x33800000, |v67|
	v_fmaak_f32 v70, v70, v80, 0x3f2aaada
	v_ldexp_f32 v80, v68, 1
	v_sub_f32_e32 v68, v68, v69
	s_delay_alu instid0(VALU_DEP_4) | instskip(NEXT) | instid1(VALU_DEP_3)
	s_or_b32 vcc_lo, vcc_lo, s2
	v_mul_f32_e32 v70, v82, v70
	v_mul_f32_e32 v82, 0x3f317218, v65
	s_delay_alu instid0(VALU_DEP_2) | instskip(NEXT) | instid1(VALU_DEP_1)
	v_dual_sub_f32 v66, v66, v68 :: v_dual_add_f32 v69, v80, v70
	v_ldexp_f32 v66, v66, 1
	s_delay_alu instid0(VALU_DEP_2) | instskip(NEXT) | instid1(VALU_DEP_4)
	v_sub_f32_e32 v68, v69, v80
	v_fma_f32 v80, 0x3f317218, v65, -v82
	s_delay_alu instid0(VALU_DEP_1) | instskip(NEXT) | instid1(VALU_DEP_1)
	v_dual_sub_f32 v68, v70, v68 :: v_dual_fmamk_f32 v65, v65, 0xb102e308, v80
	v_add_f32_e32 v66, v66, v68
	s_delay_alu instid0(VALU_DEP_2) | instskip(NEXT) | instid1(VALU_DEP_2)
	v_add_f32_e32 v68, v82, v65
	v_add_f32_e32 v70, v69, v66
	s_delay_alu instid0(VALU_DEP_2) | instskip(NEXT) | instid1(VALU_DEP_2)
	v_sub_f32_e32 v82, v68, v82
	v_dual_add_f32 v80, v68, v70 :: v_dual_sub_f32 v69, v70, v69
	s_delay_alu instid0(VALU_DEP_2) | instskip(NEXT) | instid1(VALU_DEP_2)
	v_sub_f32_e32 v65, v65, v82
	v_dual_sub_f32 v135, v80, v68 :: v_dual_sub_f32 v66, v66, v69
	s_delay_alu instid0(VALU_DEP_1) | instskip(NEXT) | instid1(VALU_DEP_2)
	v_sub_f32_e32 v144, v80, v135
	v_dual_sub_f32 v69, v70, v135 :: v_dual_add_f32 v70, v65, v66
	s_delay_alu instid0(VALU_DEP_2) | instskip(NEXT) | instid1(VALU_DEP_1)
	v_sub_f32_e32 v68, v68, v144
	v_dual_add_f32 v68, v69, v68 :: v_dual_sub_f32 v69, v70, v65
	s_delay_alu instid0(VALU_DEP_1) | instskip(NEXT) | instid1(VALU_DEP_2)
	v_add_f32_e32 v68, v70, v68
	v_sub_f32_e32 v70, v70, v69
	v_sub_f32_e32 v66, v66, v69
	s_delay_alu instid0(VALU_DEP_2) | instskip(NEXT) | instid1(VALU_DEP_1)
	v_dual_add_f32 v82, v80, v68 :: v_dual_sub_f32 v65, v65, v70
	v_sub_f32_e32 v69, v82, v80
	s_delay_alu instid0(VALU_DEP_2) | instskip(NEXT) | instid1(VALU_DEP_2)
	v_add_f32_e32 v65, v66, v65
	v_sub_f32_e32 v66, v68, v69
	s_delay_alu instid0(VALU_DEP_1) | instskip(NEXT) | instid1(VALU_DEP_1)
	v_add_f32_e32 v65, v65, v66
	v_add_f32_e32 v65, v82, v65
	s_delay_alu instid0(VALU_DEP_1) | instskip(NEXT) | instid1(VALU_DEP_1)
	v_cndmask_b32_e32 v65, v65, v67, vcc_lo
	v_add_f32_e32 v65, v64, v65
.LBB501_206:
	s_or_b32 exec_lo, exec_lo, s1
	s_delay_alu instid0(VALU_DEP_1) | instskip(SKIP_1) | instid1(VALU_DEP_2)
	v_bfe_u32 v64, v65, 16, 1
	v_cmp_o_f32_e32 vcc_lo, v65, v65
	v_add3_u32 v64, v65, v64, 0x7fff
	s_delay_alu instid0(VALU_DEP_1) | instskip(NEXT) | instid1(VALU_DEP_1)
	v_lshrrev_b32_e32 v64, 16, v64
	v_cndmask_b32_e32 v135, 0x7fc0, v64, vcc_lo
	s_delay_alu instid0(VALU_DEP_1) | instskip(NEXT) | instid1(VALU_DEP_1)
	v_lshlrev_b32_e32 v65, 16, v135
	v_max_f32_e32 v64, v65, v65
	s_delay_alu instid0(VALU_DEP_1) | instskip(SKIP_2) | instid1(VALU_DEP_3)
	v_min_f32_e32 v66, v64, v84
	v_max_f32_e32 v64, v64, v84
	v_cmp_u_f32_e32 vcc_lo, v65, v65
	v_cndmask_b32_e32 v66, v66, v65, vcc_lo
	s_delay_alu instid0(VALU_DEP_3) | instskip(NEXT) | instid1(VALU_DEP_2)
	v_cndmask_b32_e32 v64, v64, v65, vcc_lo
	v_cndmask_b32_e64 v66, v66, v71, s7
	s_delay_alu instid0(VALU_DEP_2) | instskip(NEXT) | instid1(VALU_DEP_2)
	v_cndmask_b32_e64 v64, v64, v71, s7
	v_cmp_class_f32_e64 s1, v66, 0x1f8
	s_delay_alu instid0(VALU_DEP_2) | instskip(NEXT) | instid1(VALU_DEP_2)
	v_cmp_neq_f32_e32 vcc_lo, v66, v64
	s_or_b32 s2, vcc_lo, s1
	s_delay_alu instid0(SALU_CYCLE_1)
	s_and_saveexec_b32 s1, s2
	s_cbranch_execz .LBB501_208
; %bb.207:
	v_sub_f32_e32 v65, v66, v64
	s_mov_b32 s2, 0x3e9b6dac
	s_delay_alu instid0(VALU_DEP_1) | instskip(SKIP_1) | instid1(VALU_DEP_2)
	v_mul_f32_e32 v66, 0x3fb8aa3b, v65
	v_cmp_ngt_f32_e32 vcc_lo, 0xc2ce8ed0, v65
	v_fma_f32 v67, 0x3fb8aa3b, v65, -v66
	v_rndne_f32_e32 v68, v66
	s_delay_alu instid0(VALU_DEP_1) | instskip(NEXT) | instid1(VALU_DEP_1)
	v_dual_fmamk_f32 v67, v65, 0x32a5705f, v67 :: v_dual_sub_f32 v66, v66, v68
	v_add_f32_e32 v66, v66, v67
	v_cvt_i32_f32_e32 v67, v68
	s_delay_alu instid0(VALU_DEP_2) | instskip(SKIP_2) | instid1(VALU_DEP_1)
	v_exp_f32_e32 v66, v66
	s_waitcnt_depctr 0xfff
	v_ldexp_f32 v66, v66, v67
	v_cndmask_b32_e32 v66, 0, v66, vcc_lo
	v_cmp_nlt_f32_e32 vcc_lo, 0x42b17218, v65
	s_delay_alu instid0(VALU_DEP_2) | instskip(NEXT) | instid1(VALU_DEP_1)
	v_cndmask_b32_e32 v67, 0x7f800000, v66, vcc_lo
	v_add_f32_e32 v68, 1.0, v67
	s_delay_alu instid0(VALU_DEP_1) | instskip(NEXT) | instid1(VALU_DEP_1)
	v_cvt_f64_f32_e32 v[65:66], v68
	v_frexp_exp_i32_f64_e32 v65, v[65:66]
	v_frexp_mant_f32_e32 v66, v68
	s_delay_alu instid0(VALU_DEP_1) | instskip(SKIP_1) | instid1(VALU_DEP_1)
	v_cmp_gt_f32_e32 vcc_lo, 0x3f2aaaab, v66
	v_add_f32_e32 v66, -1.0, v68
	v_sub_f32_e32 v70, v66, v68
	v_sub_f32_e32 v66, v67, v66
	s_delay_alu instid0(VALU_DEP_2) | instskip(NEXT) | instid1(VALU_DEP_1)
	v_add_f32_e32 v70, 1.0, v70
	v_add_f32_e32 v66, v66, v70
	v_subrev_co_ci_u32_e32 v65, vcc_lo, 0, v65, vcc_lo
	v_cmp_eq_f32_e32 vcc_lo, 0x7f800000, v67
	s_delay_alu instid0(VALU_DEP_2) | instskip(SKIP_1) | instid1(VALU_DEP_2)
	v_sub_nc_u32_e32 v69, 0, v65
	v_cvt_f32_i32_e32 v65, v65
	v_ldexp_f32 v68, v68, v69
	v_ldexp_f32 v66, v66, v69
	s_delay_alu instid0(VALU_DEP_2) | instskip(NEXT) | instid1(VALU_DEP_1)
	v_add_f32_e32 v71, 1.0, v68
	v_dual_add_f32 v69, -1.0, v68 :: v_dual_add_f32 v70, -1.0, v71
	s_delay_alu instid0(VALU_DEP_1) | instskip(NEXT) | instid1(VALU_DEP_2)
	v_add_f32_e32 v80, 1.0, v69
	v_sub_f32_e32 v70, v68, v70
	s_delay_alu instid0(VALU_DEP_2) | instskip(NEXT) | instid1(VALU_DEP_2)
	v_sub_f32_e32 v68, v68, v80
	v_add_f32_e32 v70, v66, v70
	s_delay_alu instid0(VALU_DEP_2) | instskip(NEXT) | instid1(VALU_DEP_2)
	v_add_f32_e32 v66, v66, v68
	v_add_f32_e32 v80, v71, v70
	s_delay_alu instid0(VALU_DEP_2) | instskip(NEXT) | instid1(VALU_DEP_2)
	v_add_f32_e32 v82, v69, v66
	v_rcp_f32_e32 v68, v80
	v_sub_f32_e32 v71, v71, v80
	s_delay_alu instid0(VALU_DEP_1) | instskip(NEXT) | instid1(VALU_DEP_1)
	v_dual_sub_f32 v69, v69, v82 :: v_dual_add_f32 v70, v70, v71
	v_add_f32_e32 v66, v66, v69
	s_waitcnt_depctr 0xfff
	v_mul_f32_e32 v84, v82, v68
	s_delay_alu instid0(VALU_DEP_1) | instskip(NEXT) | instid1(VALU_DEP_1)
	v_mul_f32_e32 v144, v80, v84
	v_fma_f32 v71, v84, v80, -v144
	s_delay_alu instid0(VALU_DEP_1) | instskip(NEXT) | instid1(VALU_DEP_1)
	v_fmac_f32_e32 v71, v84, v70
	v_add_f32_e32 v145, v144, v71
	s_delay_alu instid0(VALU_DEP_1) | instskip(NEXT) | instid1(VALU_DEP_1)
	v_dual_sub_f32 v146, v82, v145 :: v_dual_sub_f32 v69, v145, v144
	v_dual_sub_f32 v82, v82, v146 :: v_dual_sub_f32 v69, v69, v71
	s_delay_alu instid0(VALU_DEP_1) | instskip(NEXT) | instid1(VALU_DEP_1)
	v_sub_f32_e32 v82, v82, v145
	v_add_f32_e32 v66, v66, v82
	s_delay_alu instid0(VALU_DEP_1) | instskip(NEXT) | instid1(VALU_DEP_1)
	v_add_f32_e32 v66, v69, v66
	v_add_f32_e32 v69, v146, v66
	s_delay_alu instid0(VALU_DEP_1) | instskip(NEXT) | instid1(VALU_DEP_1)
	v_mul_f32_e32 v71, v68, v69
	v_dual_sub_f32 v145, v146, v69 :: v_dual_mul_f32 v82, v80, v71
	s_delay_alu instid0(VALU_DEP_1) | instskip(NEXT) | instid1(VALU_DEP_2)
	v_add_f32_e32 v66, v66, v145
	v_fma_f32 v80, v71, v80, -v82
	s_delay_alu instid0(VALU_DEP_1) | instskip(NEXT) | instid1(VALU_DEP_1)
	v_fmac_f32_e32 v80, v71, v70
	v_add_f32_e32 v70, v82, v80
	s_delay_alu instid0(VALU_DEP_1) | instskip(NEXT) | instid1(VALU_DEP_1)
	v_sub_f32_e32 v144, v69, v70
	v_dual_sub_f32 v82, v70, v82 :: v_dual_sub_f32 v69, v69, v144
	s_delay_alu instid0(VALU_DEP_1) | instskip(NEXT) | instid1(VALU_DEP_1)
	v_dual_sub_f32 v69, v69, v70 :: v_dual_sub_f32 v70, v82, v80
	v_dual_add_f32 v66, v66, v69 :: v_dual_add_f32 v69, v84, v71
	s_delay_alu instid0(VALU_DEP_1) | instskip(NEXT) | instid1(VALU_DEP_2)
	v_add_f32_e32 v66, v70, v66
	v_sub_f32_e32 v70, v69, v84
	s_delay_alu instid0(VALU_DEP_2) | instskip(NEXT) | instid1(VALU_DEP_2)
	v_add_f32_e32 v66, v144, v66
	v_sub_f32_e32 v70, v71, v70
	s_delay_alu instid0(VALU_DEP_2) | instskip(NEXT) | instid1(VALU_DEP_1)
	v_mul_f32_e32 v66, v68, v66
	v_add_f32_e32 v66, v70, v66
	s_delay_alu instid0(VALU_DEP_1) | instskip(NEXT) | instid1(VALU_DEP_1)
	v_add_f32_e32 v68, v69, v66
	v_mul_f32_e32 v70, v68, v68
	s_delay_alu instid0(VALU_DEP_1) | instskip(SKIP_2) | instid1(VALU_DEP_3)
	v_fmaak_f32 v71, s2, v70, 0x3ecc95a3
	v_mul_f32_e32 v80, v68, v70
	v_cmp_gt_f32_e64 s2, 0x33800000, |v67|
	v_fmaak_f32 v70, v70, v71, 0x3f2aaada
	v_ldexp_f32 v71, v68, 1
	v_sub_f32_e32 v68, v68, v69
	s_delay_alu instid0(VALU_DEP_4) | instskip(NEXT) | instid1(VALU_DEP_3)
	s_or_b32 vcc_lo, vcc_lo, s2
	v_mul_f32_e32 v70, v80, v70
	v_mul_f32_e32 v80, 0x3f317218, v65
	s_delay_alu instid0(VALU_DEP_2) | instskip(NEXT) | instid1(VALU_DEP_1)
	v_dual_sub_f32 v66, v66, v68 :: v_dual_add_f32 v69, v71, v70
	v_ldexp_f32 v66, v66, 1
	s_delay_alu instid0(VALU_DEP_2) | instskip(NEXT) | instid1(VALU_DEP_4)
	v_sub_f32_e32 v68, v69, v71
	v_fma_f32 v71, 0x3f317218, v65, -v80
	s_delay_alu instid0(VALU_DEP_1) | instskip(NEXT) | instid1(VALU_DEP_1)
	v_dual_sub_f32 v68, v70, v68 :: v_dual_fmamk_f32 v65, v65, 0xb102e308, v71
	v_add_f32_e32 v66, v66, v68
	s_delay_alu instid0(VALU_DEP_2) | instskip(NEXT) | instid1(VALU_DEP_2)
	v_add_f32_e32 v68, v80, v65
	v_add_f32_e32 v70, v69, v66
	s_delay_alu instid0(VALU_DEP_2) | instskip(NEXT) | instid1(VALU_DEP_2)
	v_sub_f32_e32 v80, v68, v80
	v_add_f32_e32 v71, v68, v70
	v_sub_f32_e32 v69, v70, v69
	s_delay_alu instid0(VALU_DEP_3) | instskip(NEXT) | instid1(VALU_DEP_3)
	v_sub_f32_e32 v65, v65, v80
	v_sub_f32_e32 v82, v71, v68
	s_delay_alu instid0(VALU_DEP_3) | instskip(NEXT) | instid1(VALU_DEP_2)
	v_sub_f32_e32 v66, v66, v69
	v_sub_f32_e32 v69, v70, v82
	v_sub_f32_e32 v84, v71, v82
	s_delay_alu instid0(VALU_DEP_3) | instskip(NEXT) | instid1(VALU_DEP_2)
	v_add_f32_e32 v70, v65, v66
	v_sub_f32_e32 v68, v68, v84
	s_delay_alu instid0(VALU_DEP_1) | instskip(NEXT) | instid1(VALU_DEP_1)
	v_dual_add_f32 v68, v69, v68 :: v_dual_sub_f32 v69, v70, v65
	v_add_f32_e32 v68, v70, v68
	s_delay_alu instid0(VALU_DEP_2) | instskip(SKIP_1) | instid1(VALU_DEP_2)
	v_sub_f32_e32 v70, v70, v69
	v_sub_f32_e32 v66, v66, v69
	v_dual_add_f32 v80, v71, v68 :: v_dual_sub_f32 v65, v65, v70
	s_delay_alu instid0(VALU_DEP_1) | instskip(NEXT) | instid1(VALU_DEP_2)
	v_sub_f32_e32 v69, v80, v71
	v_add_f32_e32 v65, v66, v65
	s_delay_alu instid0(VALU_DEP_2) | instskip(NEXT) | instid1(VALU_DEP_1)
	v_sub_f32_e32 v66, v68, v69
	v_add_f32_e32 v65, v65, v66
	s_delay_alu instid0(VALU_DEP_1) | instskip(NEXT) | instid1(VALU_DEP_1)
	v_add_f32_e32 v65, v80, v65
	v_cndmask_b32_e32 v65, v65, v67, vcc_lo
	s_delay_alu instid0(VALU_DEP_1)
	v_add_f32_e32 v65, v64, v65
.LBB501_208:
	s_or_b32 exec_lo, exec_lo, s1
	s_delay_alu instid0(VALU_DEP_1) | instskip(SKIP_1) | instid1(VALU_DEP_2)
	v_bfe_u32 v64, v65, 16, 1
	v_cmp_o_f32_e32 vcc_lo, v65, v65
	v_add3_u32 v64, v65, v64, 0x7fff
	s_delay_alu instid0(VALU_DEP_1) | instskip(NEXT) | instid1(VALU_DEP_1)
	v_lshrrev_b32_e32 v64, 16, v64
	v_cndmask_b32_e32 v144, 0x7fc0, v64, vcc_lo
	s_delay_alu instid0(VALU_DEP_1) | instskip(NEXT) | instid1(VALU_DEP_1)
	v_lshlrev_b32_e32 v65, 16, v144
	v_max_f32_e32 v64, v65, v65
	s_delay_alu instid0(VALU_DEP_1) | instskip(SKIP_2) | instid1(VALU_DEP_3)
	v_min_f32_e32 v66, v64, v86
	v_max_f32_e32 v64, v64, v86
	v_cmp_u_f32_e32 vcc_lo, v65, v65
	v_cndmask_b32_e32 v66, v66, v65, vcc_lo
	s_delay_alu instid0(VALU_DEP_3) | instskip(NEXT) | instid1(VALU_DEP_2)
	v_cndmask_b32_e32 v64, v64, v65, vcc_lo
	v_cndmask_b32_e64 v66, v66, v81, s8
	s_delay_alu instid0(VALU_DEP_2) | instskip(NEXT) | instid1(VALU_DEP_2)
	v_cndmask_b32_e64 v64, v64, v81, s8
	v_cmp_class_f32_e64 s1, v66, 0x1f8
	s_delay_alu instid0(VALU_DEP_2) | instskip(NEXT) | instid1(VALU_DEP_2)
	v_cmp_neq_f32_e32 vcc_lo, v66, v64
	s_or_b32 s2, vcc_lo, s1
	s_delay_alu instid0(SALU_CYCLE_1)
	s_and_saveexec_b32 s1, s2
	s_cbranch_execz .LBB501_210
; %bb.209:
	v_sub_f32_e32 v65, v66, v64
	s_mov_b32 s2, 0x3e9b6dac
	s_delay_alu instid0(VALU_DEP_1) | instskip(SKIP_1) | instid1(VALU_DEP_2)
	v_mul_f32_e32 v66, 0x3fb8aa3b, v65
	v_cmp_ngt_f32_e32 vcc_lo, 0xc2ce8ed0, v65
	v_fma_f32 v67, 0x3fb8aa3b, v65, -v66
	v_rndne_f32_e32 v68, v66
	s_delay_alu instid0(VALU_DEP_1) | instskip(NEXT) | instid1(VALU_DEP_1)
	v_dual_fmamk_f32 v67, v65, 0x32a5705f, v67 :: v_dual_sub_f32 v66, v66, v68
	v_add_f32_e32 v66, v66, v67
	v_cvt_i32_f32_e32 v67, v68
	s_delay_alu instid0(VALU_DEP_2) | instskip(SKIP_2) | instid1(VALU_DEP_1)
	v_exp_f32_e32 v66, v66
	s_waitcnt_depctr 0xfff
	v_ldexp_f32 v66, v66, v67
	v_cndmask_b32_e32 v66, 0, v66, vcc_lo
	v_cmp_nlt_f32_e32 vcc_lo, 0x42b17218, v65
	s_delay_alu instid0(VALU_DEP_2) | instskip(NEXT) | instid1(VALU_DEP_1)
	v_cndmask_b32_e32 v67, 0x7f800000, v66, vcc_lo
	v_add_f32_e32 v68, 1.0, v67
	s_delay_alu instid0(VALU_DEP_1) | instskip(NEXT) | instid1(VALU_DEP_1)
	v_cvt_f64_f32_e32 v[65:66], v68
	v_frexp_exp_i32_f64_e32 v65, v[65:66]
	v_frexp_mant_f32_e32 v66, v68
	s_delay_alu instid0(VALU_DEP_1) | instskip(SKIP_1) | instid1(VALU_DEP_1)
	v_cmp_gt_f32_e32 vcc_lo, 0x3f2aaaab, v66
	v_add_f32_e32 v66, -1.0, v68
	v_sub_f32_e32 v70, v66, v68
	v_sub_f32_e32 v66, v67, v66
	v_subrev_co_ci_u32_e32 v65, vcc_lo, 0, v65, vcc_lo
	v_cmp_eq_f32_e32 vcc_lo, 0x7f800000, v67
	s_delay_alu instid0(VALU_DEP_2) | instskip(SKIP_1) | instid1(VALU_DEP_2)
	v_sub_nc_u32_e32 v69, 0, v65
	v_cvt_f32_i32_e32 v65, v65
	v_ldexp_f32 v68, v68, v69
	s_delay_alu instid0(VALU_DEP_1) | instskip(NEXT) | instid1(VALU_DEP_1)
	v_dual_add_f32 v71, 1.0, v68 :: v_dual_add_f32 v70, 1.0, v70
	v_add_f32_e32 v66, v66, v70
	s_delay_alu instid0(VALU_DEP_2) | instskip(NEXT) | instid1(VALU_DEP_2)
	v_add_f32_e32 v70, -1.0, v71
	v_ldexp_f32 v66, v66, v69
	s_delay_alu instid0(VALU_DEP_2) | instskip(NEXT) | instid1(VALU_DEP_1)
	v_dual_add_f32 v69, -1.0, v68 :: v_dual_sub_f32 v70, v68, v70
	v_add_f32_e32 v80, 1.0, v69
	s_delay_alu instid0(VALU_DEP_2) | instskip(NEXT) | instid1(VALU_DEP_2)
	v_add_f32_e32 v70, v66, v70
	v_sub_f32_e32 v68, v68, v80
	s_delay_alu instid0(VALU_DEP_2) | instskip(NEXT) | instid1(VALU_DEP_2)
	v_add_f32_e32 v80, v71, v70
	v_add_f32_e32 v66, v66, v68
	s_delay_alu instid0(VALU_DEP_2) | instskip(SKIP_1) | instid1(VALU_DEP_1)
	v_rcp_f32_e32 v68, v80
	v_sub_f32_e32 v71, v71, v80
	v_dual_add_f32 v81, v69, v66 :: v_dual_add_f32 v70, v70, v71
	s_delay_alu instid0(VALU_DEP_1) | instskip(SKIP_3) | instid1(VALU_DEP_2)
	v_sub_f32_e32 v69, v69, v81
	s_waitcnt_depctr 0xfff
	v_mul_f32_e32 v82, v81, v68
	v_add_f32_e32 v66, v66, v69
	v_mul_f32_e32 v84, v80, v82
	s_delay_alu instid0(VALU_DEP_1) | instskip(NEXT) | instid1(VALU_DEP_1)
	v_fma_f32 v71, v82, v80, -v84
	v_fmac_f32_e32 v71, v82, v70
	s_delay_alu instid0(VALU_DEP_1) | instskip(NEXT) | instid1(VALU_DEP_1)
	v_add_f32_e32 v86, v84, v71
	v_sub_f32_e32 v145, v81, v86
	v_sub_f32_e32 v69, v86, v84
	s_delay_alu instid0(VALU_DEP_2) | instskip(NEXT) | instid1(VALU_DEP_2)
	v_sub_f32_e32 v81, v81, v145
	v_sub_f32_e32 v69, v69, v71
	s_delay_alu instid0(VALU_DEP_2) | instskip(NEXT) | instid1(VALU_DEP_1)
	v_sub_f32_e32 v81, v81, v86
	v_add_f32_e32 v66, v66, v81
	s_delay_alu instid0(VALU_DEP_1) | instskip(NEXT) | instid1(VALU_DEP_1)
	v_add_f32_e32 v66, v69, v66
	v_add_f32_e32 v69, v145, v66
	s_delay_alu instid0(VALU_DEP_1) | instskip(NEXT) | instid1(VALU_DEP_1)
	v_mul_f32_e32 v71, v68, v69
	v_dual_sub_f32 v86, v145, v69 :: v_dual_mul_f32 v81, v80, v71
	s_delay_alu instid0(VALU_DEP_1) | instskip(NEXT) | instid1(VALU_DEP_2)
	v_add_f32_e32 v66, v66, v86
	v_fma_f32 v80, v71, v80, -v81
	s_delay_alu instid0(VALU_DEP_1) | instskip(NEXT) | instid1(VALU_DEP_1)
	v_fmac_f32_e32 v80, v71, v70
	v_add_f32_e32 v70, v81, v80
	s_delay_alu instid0(VALU_DEP_1) | instskip(NEXT) | instid1(VALU_DEP_1)
	v_dual_sub_f32 v84, v69, v70 :: v_dual_sub_f32 v81, v70, v81
	v_sub_f32_e32 v69, v69, v84
	s_delay_alu instid0(VALU_DEP_1) | instskip(NEXT) | instid1(VALU_DEP_3)
	v_sub_f32_e32 v69, v69, v70
	v_sub_f32_e32 v70, v81, v80
	s_delay_alu instid0(VALU_DEP_2) | instskip(SKIP_1) | instid1(VALU_DEP_2)
	v_add_f32_e32 v66, v66, v69
	v_add_f32_e32 v69, v82, v71
	;; [unrolled: 1-line block ×3, first 2 shown]
	s_delay_alu instid0(VALU_DEP_2) | instskip(NEXT) | instid1(VALU_DEP_2)
	v_sub_f32_e32 v70, v69, v82
	v_add_f32_e32 v66, v84, v66
	s_delay_alu instid0(VALU_DEP_2) | instskip(NEXT) | instid1(VALU_DEP_2)
	v_sub_f32_e32 v70, v71, v70
	v_mul_f32_e32 v66, v68, v66
	s_delay_alu instid0(VALU_DEP_1) | instskip(NEXT) | instid1(VALU_DEP_1)
	v_add_f32_e32 v66, v70, v66
	v_add_f32_e32 v68, v69, v66
	s_delay_alu instid0(VALU_DEP_1) | instskip(NEXT) | instid1(VALU_DEP_1)
	v_mul_f32_e32 v70, v68, v68
	v_fmaak_f32 v71, s2, v70, 0x3ecc95a3
	v_mul_f32_e32 v80, v68, v70
	v_cmp_gt_f32_e64 s2, 0x33800000, |v67|
	s_delay_alu instid0(VALU_DEP_3) | instskip(SKIP_2) | instid1(VALU_DEP_4)
	v_fmaak_f32 v70, v70, v71, 0x3f2aaada
	v_ldexp_f32 v71, v68, 1
	v_sub_f32_e32 v68, v68, v69
	s_or_b32 vcc_lo, vcc_lo, s2
	s_delay_alu instid0(VALU_DEP_3) | instskip(SKIP_1) | instid1(VALU_DEP_2)
	v_mul_f32_e32 v70, v80, v70
	v_mul_f32_e32 v80, 0x3f317218, v65
	v_dual_sub_f32 v66, v66, v68 :: v_dual_add_f32 v69, v71, v70
	s_delay_alu instid0(VALU_DEP_1) | instskip(NEXT) | instid1(VALU_DEP_2)
	v_ldexp_f32 v66, v66, 1
	v_sub_f32_e32 v68, v69, v71
	s_delay_alu instid0(VALU_DEP_4) | instskip(NEXT) | instid1(VALU_DEP_1)
	v_fma_f32 v71, 0x3f317218, v65, -v80
	v_dual_sub_f32 v68, v70, v68 :: v_dual_fmamk_f32 v65, v65, 0xb102e308, v71
	s_delay_alu instid0(VALU_DEP_1) | instskip(NEXT) | instid1(VALU_DEP_2)
	v_add_f32_e32 v66, v66, v68
	v_add_f32_e32 v68, v80, v65
	s_delay_alu instid0(VALU_DEP_2) | instskip(NEXT) | instid1(VALU_DEP_2)
	v_add_f32_e32 v70, v69, v66
	v_sub_f32_e32 v80, v68, v80
	s_delay_alu instid0(VALU_DEP_2) | instskip(SKIP_1) | instid1(VALU_DEP_3)
	v_add_f32_e32 v71, v68, v70
	v_sub_f32_e32 v69, v70, v69
	v_sub_f32_e32 v65, v65, v80
	s_delay_alu instid0(VALU_DEP_2) | instskip(NEXT) | instid1(VALU_DEP_1)
	v_dual_sub_f32 v81, v71, v68 :: v_dual_sub_f32 v66, v66, v69
	v_sub_f32_e32 v82, v71, v81
	s_delay_alu instid0(VALU_DEP_2) | instskip(NEXT) | instid1(VALU_DEP_2)
	v_dual_sub_f32 v69, v70, v81 :: v_dual_add_f32 v70, v65, v66
	v_sub_f32_e32 v68, v68, v82
	s_delay_alu instid0(VALU_DEP_1) | instskip(NEXT) | instid1(VALU_DEP_1)
	v_dual_add_f32 v68, v69, v68 :: v_dual_sub_f32 v69, v70, v65
	v_add_f32_e32 v68, v70, v68
	s_delay_alu instid0(VALU_DEP_2) | instskip(SKIP_1) | instid1(VALU_DEP_2)
	v_sub_f32_e32 v70, v70, v69
	v_sub_f32_e32 v66, v66, v69
	v_dual_add_f32 v80, v71, v68 :: v_dual_sub_f32 v65, v65, v70
	s_delay_alu instid0(VALU_DEP_1) | instskip(NEXT) | instid1(VALU_DEP_2)
	v_sub_f32_e32 v69, v80, v71
	v_add_f32_e32 v65, v66, v65
	s_delay_alu instid0(VALU_DEP_2) | instskip(NEXT) | instid1(VALU_DEP_1)
	v_sub_f32_e32 v66, v68, v69
	v_add_f32_e32 v65, v65, v66
	s_delay_alu instid0(VALU_DEP_1) | instskip(NEXT) | instid1(VALU_DEP_1)
	v_add_f32_e32 v65, v80, v65
	v_cndmask_b32_e32 v65, v65, v67, vcc_lo
	s_delay_alu instid0(VALU_DEP_1)
	v_add_f32_e32 v65, v64, v65
.LBB501_210:
	s_or_b32 exec_lo, exec_lo, s1
	s_delay_alu instid0(VALU_DEP_1) | instskip(SKIP_1) | instid1(VALU_DEP_2)
	v_bfe_u32 v64, v65, 16, 1
	v_cmp_o_f32_e32 vcc_lo, v65, v65
	v_add3_u32 v64, v65, v64, 0x7fff
	s_delay_alu instid0(VALU_DEP_1) | instskip(NEXT) | instid1(VALU_DEP_1)
	v_lshrrev_b32_e32 v64, 16, v64
	v_cndmask_b32_e32 v64, 0x7fc0, v64, vcc_lo
	s_delay_alu instid0(VALU_DEP_1) | instskip(NEXT) | instid1(VALU_DEP_1)
	v_lshlrev_b32_e32 v66, 16, v64
	v_max_f32_e32 v65, v66, v66
	v_cmp_u_f32_e32 vcc_lo, v66, v66
	s_delay_alu instid0(VALU_DEP_2) | instskip(SKIP_1) | instid1(VALU_DEP_2)
	v_min_f32_e32 v67, v65, v96
	v_max_f32_e32 v65, v65, v96
	v_cndmask_b32_e32 v67, v67, v66, vcc_lo
	s_delay_alu instid0(VALU_DEP_2) | instskip(NEXT) | instid1(VALU_DEP_2)
	v_cndmask_b32_e32 v65, v65, v66, vcc_lo
	v_cndmask_b32_e64 v67, v67, v83, s9
	s_delay_alu instid0(VALU_DEP_2) | instskip(NEXT) | instid1(VALU_DEP_2)
	v_cndmask_b32_e64 v65, v65, v83, s9
	v_cmp_class_f32_e64 s1, v67, 0x1f8
	s_delay_alu instid0(VALU_DEP_2) | instskip(NEXT) | instid1(VALU_DEP_2)
	v_cmp_neq_f32_e32 vcc_lo, v67, v65
	s_or_b32 s2, vcc_lo, s1
	s_delay_alu instid0(SALU_CYCLE_1)
	s_and_saveexec_b32 s1, s2
	s_cbranch_execz .LBB501_212
; %bb.211:
	v_sub_f32_e32 v66, v67, v65
	s_mov_b32 s2, 0x3e9b6dac
	s_delay_alu instid0(VALU_DEP_1) | instskip(SKIP_1) | instid1(VALU_DEP_2)
	v_mul_f32_e32 v67, 0x3fb8aa3b, v66
	v_cmp_ngt_f32_e32 vcc_lo, 0xc2ce8ed0, v66
	v_fma_f32 v68, 0x3fb8aa3b, v66, -v67
	v_rndne_f32_e32 v69, v67
	s_delay_alu instid0(VALU_DEP_1) | instskip(NEXT) | instid1(VALU_DEP_1)
	v_dual_fmamk_f32 v68, v66, 0x32a5705f, v68 :: v_dual_sub_f32 v67, v67, v69
	v_add_f32_e32 v67, v67, v68
	v_cvt_i32_f32_e32 v68, v69
	s_delay_alu instid0(VALU_DEP_2) | instskip(SKIP_2) | instid1(VALU_DEP_1)
	v_exp_f32_e32 v67, v67
	s_waitcnt_depctr 0xfff
	v_ldexp_f32 v67, v67, v68
	v_cndmask_b32_e32 v67, 0, v67, vcc_lo
	v_cmp_nlt_f32_e32 vcc_lo, 0x42b17218, v66
	s_delay_alu instid0(VALU_DEP_2) | instskip(NEXT) | instid1(VALU_DEP_1)
	v_cndmask_b32_e32 v68, 0x7f800000, v67, vcc_lo
	v_add_f32_e32 v69, 1.0, v68
	s_delay_alu instid0(VALU_DEP_1) | instskip(NEXT) | instid1(VALU_DEP_1)
	v_cvt_f64_f32_e32 v[66:67], v69
	v_frexp_exp_i32_f64_e32 v66, v[66:67]
	v_frexp_mant_f32_e32 v67, v69
	s_delay_alu instid0(VALU_DEP_1) | instskip(SKIP_1) | instid1(VALU_DEP_1)
	v_cmp_gt_f32_e32 vcc_lo, 0x3f2aaaab, v67
	v_add_f32_e32 v67, -1.0, v69
	v_sub_f32_e32 v71, v67, v69
	v_sub_f32_e32 v67, v68, v67
	v_subrev_co_ci_u32_e32 v66, vcc_lo, 0, v66, vcc_lo
	v_cmp_eq_f32_e32 vcc_lo, 0x7f800000, v68
	s_delay_alu instid0(VALU_DEP_2) | instskip(SKIP_1) | instid1(VALU_DEP_2)
	v_sub_nc_u32_e32 v70, 0, v66
	v_cvt_f32_i32_e32 v66, v66
	v_ldexp_f32 v69, v69, v70
	s_delay_alu instid0(VALU_DEP_1) | instskip(NEXT) | instid1(VALU_DEP_1)
	v_dual_add_f32 v80, 1.0, v69 :: v_dual_add_f32 v71, 1.0, v71
	v_add_f32_e32 v67, v67, v71
	s_delay_alu instid0(VALU_DEP_1) | instskip(NEXT) | instid1(VALU_DEP_3)
	v_ldexp_f32 v67, v67, v70
	v_dual_add_f32 v70, -1.0, v69 :: v_dual_add_f32 v71, -1.0, v80
	s_delay_alu instid0(VALU_DEP_1) | instskip(NEXT) | instid1(VALU_DEP_2)
	v_add_f32_e32 v81, 1.0, v70
	v_sub_f32_e32 v71, v69, v71
	s_delay_alu instid0(VALU_DEP_2) | instskip(NEXT) | instid1(VALU_DEP_2)
	v_sub_f32_e32 v69, v69, v81
	v_add_f32_e32 v71, v67, v71
	s_delay_alu instid0(VALU_DEP_2) | instskip(NEXT) | instid1(VALU_DEP_2)
	v_add_f32_e32 v67, v67, v69
	v_add_f32_e32 v81, v80, v71
	s_delay_alu instid0(VALU_DEP_2) | instskip(NEXT) | instid1(VALU_DEP_2)
	v_add_f32_e32 v82, v70, v67
	v_rcp_f32_e32 v69, v81
	v_sub_f32_e32 v80, v80, v81
	s_delay_alu instid0(VALU_DEP_1) | instskip(NEXT) | instid1(VALU_DEP_1)
	v_dual_sub_f32 v70, v70, v82 :: v_dual_add_f32 v71, v71, v80
	v_add_f32_e32 v67, v67, v70
	s_waitcnt_depctr 0xfff
	v_mul_f32_e32 v83, v82, v69
	s_delay_alu instid0(VALU_DEP_1) | instskip(NEXT) | instid1(VALU_DEP_1)
	v_mul_f32_e32 v84, v81, v83
	v_fma_f32 v80, v83, v81, -v84
	s_delay_alu instid0(VALU_DEP_1) | instskip(NEXT) | instid1(VALU_DEP_1)
	v_fmac_f32_e32 v80, v83, v71
	v_add_f32_e32 v86, v84, v80
	s_delay_alu instid0(VALU_DEP_1) | instskip(SKIP_1) | instid1(VALU_DEP_2)
	v_sub_f32_e32 v96, v82, v86
	v_sub_f32_e32 v70, v86, v84
	;; [unrolled: 1-line block ×3, first 2 shown]
	s_delay_alu instid0(VALU_DEP_2) | instskip(NEXT) | instid1(VALU_DEP_2)
	v_sub_f32_e32 v70, v70, v80
	v_sub_f32_e32 v82, v82, v86
	s_delay_alu instid0(VALU_DEP_1) | instskip(NEXT) | instid1(VALU_DEP_1)
	v_add_f32_e32 v67, v67, v82
	v_add_f32_e32 v67, v70, v67
	s_delay_alu instid0(VALU_DEP_1) | instskip(NEXT) | instid1(VALU_DEP_1)
	v_add_f32_e32 v70, v96, v67
	v_mul_f32_e32 v80, v69, v70
	v_sub_f32_e32 v86, v96, v70
	s_delay_alu instid0(VALU_DEP_2) | instskip(NEXT) | instid1(VALU_DEP_1)
	v_mul_f32_e32 v82, v81, v80
	v_fma_f32 v81, v80, v81, -v82
	s_delay_alu instid0(VALU_DEP_1) | instskip(NEXT) | instid1(VALU_DEP_1)
	v_fmac_f32_e32 v81, v80, v71
	v_add_f32_e32 v71, v82, v81
	s_delay_alu instid0(VALU_DEP_1) | instskip(SKIP_1) | instid1(VALU_DEP_2)
	v_sub_f32_e32 v84, v70, v71
	v_sub_f32_e32 v82, v71, v82
	v_dual_sub_f32 v70, v70, v84 :: v_dual_add_f32 v67, v67, v86
	s_delay_alu instid0(VALU_DEP_1) | instskip(NEXT) | instid1(VALU_DEP_3)
	v_sub_f32_e32 v70, v70, v71
	v_sub_f32_e32 v71, v82, v81
	s_delay_alu instid0(VALU_DEP_2) | instskip(SKIP_1) | instid1(VALU_DEP_2)
	v_add_f32_e32 v67, v67, v70
	v_add_f32_e32 v70, v83, v80
	;; [unrolled: 1-line block ×3, first 2 shown]
	s_delay_alu instid0(VALU_DEP_2) | instskip(NEXT) | instid1(VALU_DEP_2)
	v_sub_f32_e32 v71, v70, v83
	v_add_f32_e32 v67, v84, v67
	s_delay_alu instid0(VALU_DEP_2) | instskip(NEXT) | instid1(VALU_DEP_2)
	v_sub_f32_e32 v71, v80, v71
	v_mul_f32_e32 v67, v69, v67
	s_delay_alu instid0(VALU_DEP_1) | instskip(NEXT) | instid1(VALU_DEP_1)
	v_add_f32_e32 v67, v71, v67
	v_add_f32_e32 v69, v70, v67
	s_delay_alu instid0(VALU_DEP_1) | instskip(NEXT) | instid1(VALU_DEP_1)
	v_mul_f32_e32 v71, v69, v69
	v_fmaak_f32 v80, s2, v71, 0x3ecc95a3
	v_cmp_gt_f32_e64 s2, 0x33800000, |v68|
	s_delay_alu instid0(VALU_DEP_1) | instskip(SKIP_1) | instid1(VALU_DEP_3)
	s_or_b32 vcc_lo, vcc_lo, s2
	v_mul_f32_e32 v81, v69, v71
	v_fmaak_f32 v71, v71, v80, 0x3f2aaada
	v_ldexp_f32 v80, v69, 1
	s_delay_alu instid0(VALU_DEP_2) | instskip(NEXT) | instid1(VALU_DEP_1)
	v_mul_f32_e32 v71, v81, v71
	v_dual_sub_f32 v69, v69, v70 :: v_dual_add_f32 v70, v80, v71
	s_delay_alu instid0(VALU_DEP_1) | instskip(NEXT) | instid1(VALU_DEP_2)
	v_sub_f32_e32 v67, v67, v69
	v_sub_f32_e32 v69, v70, v80
	s_delay_alu instid0(VALU_DEP_2) | instskip(NEXT) | instid1(VALU_DEP_2)
	v_ldexp_f32 v67, v67, 1
	v_sub_f32_e32 v69, v71, v69
	s_delay_alu instid0(VALU_DEP_1) | instskip(NEXT) | instid1(VALU_DEP_1)
	v_add_f32_e32 v67, v67, v69
	v_add_f32_e32 v71, v70, v67
	v_mul_f32_e32 v81, 0x3f317218, v66
	s_delay_alu instid0(VALU_DEP_2) | instskip(NEXT) | instid1(VALU_DEP_2)
	v_sub_f32_e32 v70, v71, v70
	v_fma_f32 v80, 0x3f317218, v66, -v81
	s_delay_alu instid0(VALU_DEP_1) | instskip(NEXT) | instid1(VALU_DEP_1)
	v_dual_sub_f32 v67, v67, v70 :: v_dual_fmamk_f32 v66, v66, 0xb102e308, v80
	v_add_f32_e32 v69, v81, v66
	s_delay_alu instid0(VALU_DEP_1) | instskip(SKIP_1) | instid1(VALU_DEP_2)
	v_add_f32_e32 v80, v69, v71
	v_sub_f32_e32 v81, v69, v81
	v_sub_f32_e32 v82, v80, v69
	s_delay_alu instid0(VALU_DEP_1) | instskip(NEXT) | instid1(VALU_DEP_1)
	v_dual_sub_f32 v66, v66, v81 :: v_dual_sub_f32 v83, v80, v82
	v_dual_sub_f32 v70, v71, v82 :: v_dual_add_f32 v71, v66, v67
	s_delay_alu instid0(VALU_DEP_2) | instskip(NEXT) | instid1(VALU_DEP_1)
	v_sub_f32_e32 v69, v69, v83
	v_dual_add_f32 v69, v70, v69 :: v_dual_sub_f32 v70, v71, v66
	s_delay_alu instid0(VALU_DEP_1) | instskip(NEXT) | instid1(VALU_DEP_2)
	v_add_f32_e32 v69, v71, v69
	v_sub_f32_e32 v71, v71, v70
	v_sub_f32_e32 v67, v67, v70
	s_delay_alu instid0(VALU_DEP_2) | instskip(NEXT) | instid1(VALU_DEP_1)
	v_dual_add_f32 v81, v80, v69 :: v_dual_sub_f32 v66, v66, v71
	v_sub_f32_e32 v70, v81, v80
	s_delay_alu instid0(VALU_DEP_2) | instskip(NEXT) | instid1(VALU_DEP_2)
	v_add_f32_e32 v66, v67, v66
	v_sub_f32_e32 v67, v69, v70
	s_delay_alu instid0(VALU_DEP_1) | instskip(NEXT) | instid1(VALU_DEP_1)
	v_add_f32_e32 v66, v66, v67
	v_add_f32_e32 v66, v81, v66
	s_delay_alu instid0(VALU_DEP_1) | instskip(NEXT) | instid1(VALU_DEP_1)
	v_cndmask_b32_e32 v66, v66, v68, vcc_lo
	v_add_f32_e32 v66, v65, v66
.LBB501_212:
	s_or_b32 exec_lo, exec_lo, s1
	s_delay_alu instid0(VALU_DEP_1) | instskip(SKIP_1) | instid1(VALU_DEP_2)
	v_bfe_u32 v65, v66, 16, 1
	v_cmp_o_f32_e32 vcc_lo, v66, v66
	v_add3_u32 v65, v66, v65, 0x7fff
	s_delay_alu instid0(VALU_DEP_1) | instskip(NEXT) | instid1(VALU_DEP_1)
	v_lshrrev_b32_e32 v65, 16, v65
	v_cndmask_b32_e32 v65, 0x7fc0, v65, vcc_lo
	s_delay_alu instid0(VALU_DEP_1) | instskip(NEXT) | instid1(VALU_DEP_1)
	v_lshlrev_b32_e32 v67, 16, v65
	v_max_f32_e32 v66, v67, v67
	s_delay_alu instid0(VALU_DEP_1) | instskip(SKIP_2) | instid1(VALU_DEP_3)
	v_min_f32_e32 v68, v66, v98
	v_max_f32_e32 v66, v66, v98
	v_cmp_u_f32_e32 vcc_lo, v67, v67
	v_cndmask_b32_e32 v68, v68, v67, vcc_lo
	s_delay_alu instid0(VALU_DEP_3) | instskip(NEXT) | instid1(VALU_DEP_2)
	v_cndmask_b32_e32 v66, v66, v67, vcc_lo
	v_cndmask_b32_e64 v68, v68, v85, s10
	s_delay_alu instid0(VALU_DEP_2) | instskip(NEXT) | instid1(VALU_DEP_2)
	v_cndmask_b32_e64 v66, v66, v85, s10
	v_cmp_class_f32_e64 s1, v68, 0x1f8
	s_delay_alu instid0(VALU_DEP_2) | instskip(NEXT) | instid1(VALU_DEP_2)
	v_cmp_neq_f32_e32 vcc_lo, v68, v66
	s_or_b32 s2, vcc_lo, s1
	s_delay_alu instid0(SALU_CYCLE_1)
	s_and_saveexec_b32 s1, s2
	s_cbranch_execz .LBB501_214
; %bb.213:
	v_sub_f32_e32 v67, v68, v66
	s_mov_b32 s2, 0x3e9b6dac
	s_delay_alu instid0(VALU_DEP_1) | instskip(SKIP_1) | instid1(VALU_DEP_2)
	v_mul_f32_e32 v68, 0x3fb8aa3b, v67
	v_cmp_ngt_f32_e32 vcc_lo, 0xc2ce8ed0, v67
	v_fma_f32 v69, 0x3fb8aa3b, v67, -v68
	v_rndne_f32_e32 v70, v68
	s_delay_alu instid0(VALU_DEP_1) | instskip(NEXT) | instid1(VALU_DEP_1)
	v_dual_fmamk_f32 v69, v67, 0x32a5705f, v69 :: v_dual_sub_f32 v68, v68, v70
	v_add_f32_e32 v68, v68, v69
	v_cvt_i32_f32_e32 v69, v70
	s_delay_alu instid0(VALU_DEP_2) | instskip(SKIP_2) | instid1(VALU_DEP_1)
	v_exp_f32_e32 v68, v68
	s_waitcnt_depctr 0xfff
	v_ldexp_f32 v68, v68, v69
	v_cndmask_b32_e32 v68, 0, v68, vcc_lo
	v_cmp_nlt_f32_e32 vcc_lo, 0x42b17218, v67
	s_delay_alu instid0(VALU_DEP_2) | instskip(NEXT) | instid1(VALU_DEP_1)
	v_cndmask_b32_e32 v69, 0x7f800000, v68, vcc_lo
	v_add_f32_e32 v70, 1.0, v69
	s_delay_alu instid0(VALU_DEP_1) | instskip(NEXT) | instid1(VALU_DEP_1)
	v_cvt_f64_f32_e32 v[67:68], v70
	v_frexp_exp_i32_f64_e32 v67, v[67:68]
	v_frexp_mant_f32_e32 v68, v70
	s_delay_alu instid0(VALU_DEP_1) | instskip(SKIP_1) | instid1(VALU_DEP_1)
	v_cmp_gt_f32_e32 vcc_lo, 0x3f2aaaab, v68
	v_add_f32_e32 v68, -1.0, v70
	v_sub_f32_e32 v80, v68, v70
	v_sub_f32_e32 v68, v69, v68
	v_subrev_co_ci_u32_e32 v67, vcc_lo, 0, v67, vcc_lo
	v_cmp_eq_f32_e32 vcc_lo, 0x7f800000, v69
	s_delay_alu instid0(VALU_DEP_2) | instskip(SKIP_1) | instid1(VALU_DEP_2)
	v_sub_nc_u32_e32 v71, 0, v67
	v_cvt_f32_i32_e32 v67, v67
	v_ldexp_f32 v70, v70, v71
	s_delay_alu instid0(VALU_DEP_1) | instskip(NEXT) | instid1(VALU_DEP_1)
	v_dual_add_f32 v81, 1.0, v70 :: v_dual_add_f32 v80, 1.0, v80
	v_add_f32_e32 v68, v68, v80
	s_delay_alu instid0(VALU_DEP_2) | instskip(NEXT) | instid1(VALU_DEP_2)
	v_add_f32_e32 v80, -1.0, v81
	v_ldexp_f32 v68, v68, v71
	s_delay_alu instid0(VALU_DEP_2) | instskip(NEXT) | instid1(VALU_DEP_1)
	v_dual_add_f32 v71, -1.0, v70 :: v_dual_sub_f32 v80, v70, v80
	v_add_f32_e32 v82, 1.0, v71
	s_delay_alu instid0(VALU_DEP_2) | instskip(NEXT) | instid1(VALU_DEP_2)
	v_add_f32_e32 v80, v68, v80
	v_sub_f32_e32 v70, v70, v82
	s_delay_alu instid0(VALU_DEP_2) | instskip(NEXT) | instid1(VALU_DEP_2)
	v_add_f32_e32 v82, v81, v80
	v_add_f32_e32 v68, v68, v70
	s_delay_alu instid0(VALU_DEP_2) | instskip(SKIP_1) | instid1(VALU_DEP_1)
	v_rcp_f32_e32 v70, v82
	v_sub_f32_e32 v81, v81, v82
	v_dual_add_f32 v83, v71, v68 :: v_dual_add_f32 v80, v80, v81
	s_delay_alu instid0(VALU_DEP_1) | instskip(SKIP_2) | instid1(VALU_DEP_1)
	v_sub_f32_e32 v71, v71, v83
	s_waitcnt_depctr 0xfff
	v_mul_f32_e32 v84, v83, v70
	v_dual_add_f32 v68, v68, v71 :: v_dual_mul_f32 v85, v82, v84
	s_delay_alu instid0(VALU_DEP_1) | instskip(NEXT) | instid1(VALU_DEP_1)
	v_fma_f32 v81, v84, v82, -v85
	v_fmac_f32_e32 v81, v84, v80
	s_delay_alu instid0(VALU_DEP_1) | instskip(NEXT) | instid1(VALU_DEP_1)
	v_add_f32_e32 v86, v85, v81
	v_dual_sub_f32 v96, v83, v86 :: v_dual_sub_f32 v71, v86, v85
	s_delay_alu instid0(VALU_DEP_1) | instskip(NEXT) | instid1(VALU_DEP_2)
	v_sub_f32_e32 v83, v83, v96
	v_sub_f32_e32 v71, v71, v81
	s_delay_alu instid0(VALU_DEP_2) | instskip(NEXT) | instid1(VALU_DEP_1)
	v_sub_f32_e32 v83, v83, v86
	v_add_f32_e32 v68, v68, v83
	s_delay_alu instid0(VALU_DEP_1) | instskip(NEXT) | instid1(VALU_DEP_1)
	v_add_f32_e32 v68, v71, v68
	v_add_f32_e32 v71, v96, v68
	s_delay_alu instid0(VALU_DEP_1) | instskip(NEXT) | instid1(VALU_DEP_1)
	v_mul_f32_e32 v81, v70, v71
	v_dual_sub_f32 v86, v96, v71 :: v_dual_mul_f32 v83, v82, v81
	s_delay_alu instid0(VALU_DEP_1) | instskip(NEXT) | instid1(VALU_DEP_2)
	v_add_f32_e32 v68, v68, v86
	v_fma_f32 v82, v81, v82, -v83
	s_delay_alu instid0(VALU_DEP_1) | instskip(NEXT) | instid1(VALU_DEP_1)
	v_fmac_f32_e32 v82, v81, v80
	v_add_f32_e32 v80, v83, v82
	s_delay_alu instid0(VALU_DEP_1) | instskip(SKIP_1) | instid1(VALU_DEP_2)
	v_sub_f32_e32 v85, v71, v80
	v_sub_f32_e32 v83, v80, v83
	;; [unrolled: 1-line block ×3, first 2 shown]
	s_delay_alu instid0(VALU_DEP_1) | instskip(NEXT) | instid1(VALU_DEP_3)
	v_sub_f32_e32 v71, v71, v80
	v_sub_f32_e32 v80, v83, v82
	s_delay_alu instid0(VALU_DEP_2) | instskip(SKIP_1) | instid1(VALU_DEP_2)
	v_add_f32_e32 v68, v68, v71
	v_add_f32_e32 v71, v84, v81
	;; [unrolled: 1-line block ×3, first 2 shown]
	s_delay_alu instid0(VALU_DEP_2) | instskip(NEXT) | instid1(VALU_DEP_2)
	v_sub_f32_e32 v80, v71, v84
	v_add_f32_e32 v68, v85, v68
	s_delay_alu instid0(VALU_DEP_2) | instskip(NEXT) | instid1(VALU_DEP_2)
	v_sub_f32_e32 v80, v81, v80
	v_mul_f32_e32 v68, v70, v68
	s_delay_alu instid0(VALU_DEP_1) | instskip(NEXT) | instid1(VALU_DEP_1)
	v_add_f32_e32 v68, v80, v68
	v_add_f32_e32 v70, v71, v68
	s_delay_alu instid0(VALU_DEP_1) | instskip(NEXT) | instid1(VALU_DEP_1)
	v_mul_f32_e32 v80, v70, v70
	v_fmaak_f32 v81, s2, v80, 0x3ecc95a3
	v_mul_f32_e32 v82, v70, v80
	v_cmp_gt_f32_e64 s2, 0x33800000, |v69|
	s_delay_alu instid0(VALU_DEP_3) | instskip(SKIP_2) | instid1(VALU_DEP_4)
	v_fmaak_f32 v80, v80, v81, 0x3f2aaada
	v_ldexp_f32 v81, v70, 1
	v_sub_f32_e32 v70, v70, v71
	s_or_b32 vcc_lo, vcc_lo, s2
	s_delay_alu instid0(VALU_DEP_3) | instskip(SKIP_1) | instid1(VALU_DEP_2)
	v_mul_f32_e32 v80, v82, v80
	v_mul_f32_e32 v82, 0x3f317218, v67
	v_dual_sub_f32 v68, v68, v70 :: v_dual_add_f32 v71, v81, v80
	s_delay_alu instid0(VALU_DEP_1) | instskip(NEXT) | instid1(VALU_DEP_2)
	v_ldexp_f32 v68, v68, 1
	v_sub_f32_e32 v70, v71, v81
	s_delay_alu instid0(VALU_DEP_4) | instskip(NEXT) | instid1(VALU_DEP_1)
	v_fma_f32 v81, 0x3f317218, v67, -v82
	v_dual_sub_f32 v70, v80, v70 :: v_dual_fmamk_f32 v67, v67, 0xb102e308, v81
	s_delay_alu instid0(VALU_DEP_1) | instskip(NEXT) | instid1(VALU_DEP_2)
	v_add_f32_e32 v68, v68, v70
	v_add_f32_e32 v70, v82, v67
	s_delay_alu instid0(VALU_DEP_2) | instskip(NEXT) | instid1(VALU_DEP_2)
	v_add_f32_e32 v80, v71, v68
	v_sub_f32_e32 v82, v70, v82
	s_delay_alu instid0(VALU_DEP_2) | instskip(SKIP_1) | instid1(VALU_DEP_3)
	v_add_f32_e32 v81, v70, v80
	v_sub_f32_e32 v71, v80, v71
	v_sub_f32_e32 v67, v67, v82
	s_delay_alu instid0(VALU_DEP_2) | instskip(NEXT) | instid1(VALU_DEP_1)
	v_dual_sub_f32 v83, v81, v70 :: v_dual_sub_f32 v68, v68, v71
	v_sub_f32_e32 v84, v81, v83
	s_delay_alu instid0(VALU_DEP_2) | instskip(NEXT) | instid1(VALU_DEP_2)
	v_dual_sub_f32 v71, v80, v83 :: v_dual_add_f32 v80, v67, v68
	v_sub_f32_e32 v70, v70, v84
	s_delay_alu instid0(VALU_DEP_1) | instskip(NEXT) | instid1(VALU_DEP_1)
	v_dual_add_f32 v70, v71, v70 :: v_dual_sub_f32 v71, v80, v67
	v_add_f32_e32 v70, v80, v70
	s_delay_alu instid0(VALU_DEP_2) | instskip(SKIP_1) | instid1(VALU_DEP_2)
	v_sub_f32_e32 v80, v80, v71
	v_sub_f32_e32 v68, v68, v71
	v_dual_add_f32 v82, v81, v70 :: v_dual_sub_f32 v67, v67, v80
	s_delay_alu instid0(VALU_DEP_1) | instskip(NEXT) | instid1(VALU_DEP_2)
	v_sub_f32_e32 v71, v82, v81
	v_add_f32_e32 v67, v68, v67
	s_delay_alu instid0(VALU_DEP_2) | instskip(NEXT) | instid1(VALU_DEP_1)
	v_sub_f32_e32 v68, v70, v71
	v_add_f32_e32 v67, v67, v68
	s_delay_alu instid0(VALU_DEP_1) | instskip(NEXT) | instid1(VALU_DEP_1)
	v_add_f32_e32 v67, v82, v67
	v_cndmask_b32_e32 v67, v67, v69, vcc_lo
	s_delay_alu instid0(VALU_DEP_1)
	v_add_f32_e32 v67, v66, v67
.LBB501_214:
	s_or_b32 exec_lo, exec_lo, s1
	s_delay_alu instid0(VALU_DEP_1) | instskip(SKIP_1) | instid1(VALU_DEP_2)
	v_bfe_u32 v66, v67, 16, 1
	v_cmp_o_f32_e32 vcc_lo, v67, v67
	v_add3_u32 v66, v67, v66, 0x7fff
	s_delay_alu instid0(VALU_DEP_1) | instskip(NEXT) | instid1(VALU_DEP_1)
	v_lshrrev_b32_e32 v66, 16, v66
	v_cndmask_b32_e32 v66, 0x7fc0, v66, vcc_lo
	s_delay_alu instid0(VALU_DEP_1) | instskip(NEXT) | instid1(VALU_DEP_1)
	v_lshlrev_b32_e32 v68, 16, v66
	v_max_f32_e32 v67, v68, v68
	s_delay_alu instid0(VALU_DEP_1) | instskip(SKIP_2) | instid1(VALU_DEP_3)
	v_min_f32_e32 v69, v67, v100
	v_max_f32_e32 v67, v67, v100
	v_cmp_u_f32_e32 vcc_lo, v68, v68
	v_cndmask_b32_e32 v69, v69, v68, vcc_lo
	s_delay_alu instid0(VALU_DEP_3) | instskip(NEXT) | instid1(VALU_DEP_2)
	v_cndmask_b32_e32 v67, v67, v68, vcc_lo
	v_cndmask_b32_e64 v69, v69, v87, s11
	s_delay_alu instid0(VALU_DEP_2) | instskip(NEXT) | instid1(VALU_DEP_2)
	v_cndmask_b32_e64 v67, v67, v87, s11
	v_cmp_class_f32_e64 s1, v69, 0x1f8
	s_delay_alu instid0(VALU_DEP_2) | instskip(NEXT) | instid1(VALU_DEP_2)
	v_cmp_neq_f32_e32 vcc_lo, v69, v67
	s_or_b32 s2, vcc_lo, s1
	s_delay_alu instid0(SALU_CYCLE_1)
	s_and_saveexec_b32 s1, s2
	s_cbranch_execz .LBB501_216
; %bb.215:
	v_sub_f32_e32 v68, v69, v67
	s_mov_b32 s2, 0x3e9b6dac
	s_delay_alu instid0(VALU_DEP_1) | instskip(SKIP_1) | instid1(VALU_DEP_2)
	v_mul_f32_e32 v69, 0x3fb8aa3b, v68
	v_cmp_ngt_f32_e32 vcc_lo, 0xc2ce8ed0, v68
	v_fma_f32 v70, 0x3fb8aa3b, v68, -v69
	v_rndne_f32_e32 v71, v69
	s_delay_alu instid0(VALU_DEP_1) | instskip(NEXT) | instid1(VALU_DEP_1)
	v_dual_fmamk_f32 v70, v68, 0x32a5705f, v70 :: v_dual_sub_f32 v69, v69, v71
	v_add_f32_e32 v69, v69, v70
	v_cvt_i32_f32_e32 v70, v71
	s_delay_alu instid0(VALU_DEP_2) | instskip(SKIP_2) | instid1(VALU_DEP_1)
	v_exp_f32_e32 v69, v69
	s_waitcnt_depctr 0xfff
	v_ldexp_f32 v69, v69, v70
	v_cndmask_b32_e32 v69, 0, v69, vcc_lo
	v_cmp_nlt_f32_e32 vcc_lo, 0x42b17218, v68
	s_delay_alu instid0(VALU_DEP_2) | instskip(NEXT) | instid1(VALU_DEP_1)
	v_cndmask_b32_e32 v70, 0x7f800000, v69, vcc_lo
	v_add_f32_e32 v71, 1.0, v70
	s_delay_alu instid0(VALU_DEP_1) | instskip(NEXT) | instid1(VALU_DEP_1)
	v_cvt_f64_f32_e32 v[68:69], v71
	v_frexp_exp_i32_f64_e32 v68, v[68:69]
	v_frexp_mant_f32_e32 v69, v71
	s_delay_alu instid0(VALU_DEP_1) | instskip(SKIP_1) | instid1(VALU_DEP_1)
	v_cmp_gt_f32_e32 vcc_lo, 0x3f2aaaab, v69
	v_add_f32_e32 v69, -1.0, v71
	v_sub_f32_e32 v81, v69, v71
	v_sub_f32_e32 v69, v70, v69
	v_subrev_co_ci_u32_e32 v68, vcc_lo, 0, v68, vcc_lo
	v_cmp_eq_f32_e32 vcc_lo, 0x7f800000, v70
	s_delay_alu instid0(VALU_DEP_2) | instskip(SKIP_1) | instid1(VALU_DEP_2)
	v_sub_nc_u32_e32 v80, 0, v68
	v_cvt_f32_i32_e32 v68, v68
	v_ldexp_f32 v71, v71, v80
	s_delay_alu instid0(VALU_DEP_1) | instskip(NEXT) | instid1(VALU_DEP_1)
	v_dual_add_f32 v82, 1.0, v71 :: v_dual_add_f32 v81, 1.0, v81
	v_add_f32_e32 v69, v69, v81
	s_delay_alu instid0(VALU_DEP_2) | instskip(NEXT) | instid1(VALU_DEP_2)
	v_add_f32_e32 v81, -1.0, v82
	v_ldexp_f32 v69, v69, v80
	s_delay_alu instid0(VALU_DEP_2) | instskip(NEXT) | instid1(VALU_DEP_1)
	v_dual_add_f32 v80, -1.0, v71 :: v_dual_sub_f32 v81, v71, v81
	v_add_f32_e32 v83, 1.0, v80
	s_delay_alu instid0(VALU_DEP_2) | instskip(NEXT) | instid1(VALU_DEP_2)
	v_add_f32_e32 v81, v69, v81
	v_sub_f32_e32 v71, v71, v83
	s_delay_alu instid0(VALU_DEP_2) | instskip(NEXT) | instid1(VALU_DEP_2)
	v_add_f32_e32 v83, v82, v81
	v_add_f32_e32 v69, v69, v71
	s_delay_alu instid0(VALU_DEP_2) | instskip(SKIP_1) | instid1(VALU_DEP_1)
	v_rcp_f32_e32 v71, v83
	v_sub_f32_e32 v82, v82, v83
	v_dual_add_f32 v84, v80, v69 :: v_dual_add_f32 v81, v81, v82
	s_delay_alu instid0(VALU_DEP_1) | instskip(SKIP_2) | instid1(VALU_DEP_1)
	v_sub_f32_e32 v80, v80, v84
	s_waitcnt_depctr 0xfff
	v_mul_f32_e32 v85, v84, v71
	v_dual_add_f32 v69, v69, v80 :: v_dual_mul_f32 v86, v83, v85
	s_delay_alu instid0(VALU_DEP_1) | instskip(NEXT) | instid1(VALU_DEP_1)
	v_fma_f32 v82, v85, v83, -v86
	v_fmac_f32_e32 v82, v85, v81
	s_delay_alu instid0(VALU_DEP_1) | instskip(NEXT) | instid1(VALU_DEP_1)
	v_add_f32_e32 v87, v86, v82
	v_sub_f32_e32 v96, v84, v87
	v_sub_f32_e32 v80, v87, v86
	s_delay_alu instid0(VALU_DEP_2) | instskip(NEXT) | instid1(VALU_DEP_2)
	v_sub_f32_e32 v84, v84, v96
	v_sub_f32_e32 v80, v80, v82
	s_delay_alu instid0(VALU_DEP_2) | instskip(NEXT) | instid1(VALU_DEP_1)
	v_sub_f32_e32 v84, v84, v87
	v_add_f32_e32 v69, v69, v84
	s_delay_alu instid0(VALU_DEP_1) | instskip(NEXT) | instid1(VALU_DEP_1)
	v_add_f32_e32 v69, v80, v69
	v_add_f32_e32 v80, v96, v69
	s_delay_alu instid0(VALU_DEP_1) | instskip(NEXT) | instid1(VALU_DEP_1)
	v_mul_f32_e32 v82, v71, v80
	v_dual_sub_f32 v87, v96, v80 :: v_dual_mul_f32 v84, v83, v82
	s_delay_alu instid0(VALU_DEP_1) | instskip(NEXT) | instid1(VALU_DEP_2)
	v_add_f32_e32 v69, v69, v87
	v_fma_f32 v83, v82, v83, -v84
	s_delay_alu instid0(VALU_DEP_1) | instskip(NEXT) | instid1(VALU_DEP_1)
	v_fmac_f32_e32 v83, v82, v81
	v_add_f32_e32 v81, v84, v83
	s_delay_alu instid0(VALU_DEP_1) | instskip(SKIP_1) | instid1(VALU_DEP_2)
	v_sub_f32_e32 v86, v80, v81
	v_sub_f32_e32 v84, v81, v84
	;; [unrolled: 1-line block ×3, first 2 shown]
	s_delay_alu instid0(VALU_DEP_1) | instskip(NEXT) | instid1(VALU_DEP_3)
	v_sub_f32_e32 v80, v80, v81
	v_sub_f32_e32 v81, v84, v83
	s_delay_alu instid0(VALU_DEP_2) | instskip(SKIP_1) | instid1(VALU_DEP_2)
	v_add_f32_e32 v69, v69, v80
	v_add_f32_e32 v80, v85, v82
	;; [unrolled: 1-line block ×3, first 2 shown]
	s_delay_alu instid0(VALU_DEP_2) | instskip(NEXT) | instid1(VALU_DEP_2)
	v_sub_f32_e32 v81, v80, v85
	v_add_f32_e32 v69, v86, v69
	s_delay_alu instid0(VALU_DEP_2) | instskip(NEXT) | instid1(VALU_DEP_2)
	v_sub_f32_e32 v81, v82, v81
	v_mul_f32_e32 v69, v71, v69
	s_delay_alu instid0(VALU_DEP_1) | instskip(NEXT) | instid1(VALU_DEP_1)
	v_add_f32_e32 v69, v81, v69
	v_add_f32_e32 v71, v80, v69
	s_delay_alu instid0(VALU_DEP_1) | instskip(NEXT) | instid1(VALU_DEP_1)
	v_mul_f32_e32 v81, v71, v71
	v_fmaak_f32 v82, s2, v81, 0x3ecc95a3
	v_mul_f32_e32 v83, v71, v81
	v_cmp_gt_f32_e64 s2, 0x33800000, |v70|
	s_delay_alu instid0(VALU_DEP_3) | instskip(SKIP_2) | instid1(VALU_DEP_4)
	v_fmaak_f32 v81, v81, v82, 0x3f2aaada
	v_ldexp_f32 v82, v71, 1
	v_sub_f32_e32 v71, v71, v80
	s_or_b32 vcc_lo, vcc_lo, s2
	s_delay_alu instid0(VALU_DEP_3) | instskip(SKIP_1) | instid1(VALU_DEP_2)
	v_mul_f32_e32 v81, v83, v81
	v_mul_f32_e32 v83, 0x3f317218, v68
	v_dual_sub_f32 v69, v69, v71 :: v_dual_add_f32 v80, v82, v81
	s_delay_alu instid0(VALU_DEP_1) | instskip(NEXT) | instid1(VALU_DEP_2)
	v_ldexp_f32 v69, v69, 1
	v_sub_f32_e32 v71, v80, v82
	s_delay_alu instid0(VALU_DEP_4) | instskip(NEXT) | instid1(VALU_DEP_1)
	v_fma_f32 v82, 0x3f317218, v68, -v83
	v_dual_sub_f32 v71, v81, v71 :: v_dual_fmamk_f32 v68, v68, 0xb102e308, v82
	s_delay_alu instid0(VALU_DEP_1) | instskip(NEXT) | instid1(VALU_DEP_2)
	v_add_f32_e32 v69, v69, v71
	v_add_f32_e32 v71, v83, v68
	s_delay_alu instid0(VALU_DEP_2) | instskip(NEXT) | instid1(VALU_DEP_2)
	v_add_f32_e32 v81, v80, v69
	v_sub_f32_e32 v83, v71, v83
	s_delay_alu instid0(VALU_DEP_2) | instskip(SKIP_1) | instid1(VALU_DEP_3)
	v_add_f32_e32 v82, v71, v81
	v_sub_f32_e32 v80, v81, v80
	v_sub_f32_e32 v68, v68, v83
	s_delay_alu instid0(VALU_DEP_2) | instskip(NEXT) | instid1(VALU_DEP_1)
	v_dual_sub_f32 v84, v82, v71 :: v_dual_sub_f32 v69, v69, v80
	v_sub_f32_e32 v85, v82, v84
	s_delay_alu instid0(VALU_DEP_2) | instskip(NEXT) | instid1(VALU_DEP_2)
	v_dual_sub_f32 v80, v81, v84 :: v_dual_add_f32 v81, v68, v69
	v_sub_f32_e32 v71, v71, v85
	s_delay_alu instid0(VALU_DEP_1) | instskip(NEXT) | instid1(VALU_DEP_1)
	v_dual_add_f32 v71, v80, v71 :: v_dual_sub_f32 v80, v81, v68
	v_add_f32_e32 v71, v81, v71
	s_delay_alu instid0(VALU_DEP_2) | instskip(SKIP_1) | instid1(VALU_DEP_2)
	v_sub_f32_e32 v81, v81, v80
	v_sub_f32_e32 v69, v69, v80
	v_dual_add_f32 v83, v82, v71 :: v_dual_sub_f32 v68, v68, v81
	s_delay_alu instid0(VALU_DEP_1) | instskip(NEXT) | instid1(VALU_DEP_2)
	v_sub_f32_e32 v80, v83, v82
	v_add_f32_e32 v68, v69, v68
	s_delay_alu instid0(VALU_DEP_2) | instskip(NEXT) | instid1(VALU_DEP_1)
	v_sub_f32_e32 v69, v71, v80
	v_add_f32_e32 v68, v68, v69
	s_delay_alu instid0(VALU_DEP_1) | instskip(NEXT) | instid1(VALU_DEP_1)
	v_add_f32_e32 v68, v83, v68
	v_cndmask_b32_e32 v68, v68, v70, vcc_lo
	s_delay_alu instid0(VALU_DEP_1)
	v_add_f32_e32 v68, v67, v68
.LBB501_216:
	s_or_b32 exec_lo, exec_lo, s1
	s_delay_alu instid0(VALU_DEP_1) | instskip(SKIP_1) | instid1(VALU_DEP_2)
	v_bfe_u32 v67, v68, 16, 1
	v_cmp_o_f32_e32 vcc_lo, v68, v68
	v_add3_u32 v67, v68, v67, 0x7fff
	s_delay_alu instid0(VALU_DEP_1) | instskip(NEXT) | instid1(VALU_DEP_1)
	v_lshrrev_b32_e32 v67, 16, v67
	v_cndmask_b32_e32 v67, 0x7fc0, v67, vcc_lo
	s_delay_alu instid0(VALU_DEP_1) | instskip(NEXT) | instid1(VALU_DEP_1)
	v_lshlrev_b32_e32 v69, 16, v67
	v_max_f32_e32 v68, v69, v69
	s_delay_alu instid0(VALU_DEP_1) | instskip(SKIP_2) | instid1(VALU_DEP_3)
	v_min_f32_e32 v70, v68, v102
	v_max_f32_e32 v68, v68, v102
	v_cmp_u_f32_e32 vcc_lo, v69, v69
	v_cndmask_b32_e32 v70, v70, v69, vcc_lo
	s_delay_alu instid0(VALU_DEP_3) | instskip(NEXT) | instid1(VALU_DEP_2)
	v_cndmask_b32_e32 v68, v68, v69, vcc_lo
	v_cndmask_b32_e64 v70, v70, v97, s13
	s_delay_alu instid0(VALU_DEP_2) | instskip(NEXT) | instid1(VALU_DEP_2)
	v_cndmask_b32_e64 v68, v68, v97, s13
	v_cmp_class_f32_e64 s1, v70, 0x1f8
	s_delay_alu instid0(VALU_DEP_2) | instskip(NEXT) | instid1(VALU_DEP_2)
	v_cmp_neq_f32_e32 vcc_lo, v70, v68
	s_or_b32 s2, vcc_lo, s1
	s_delay_alu instid0(SALU_CYCLE_1)
	s_and_saveexec_b32 s1, s2
	s_cbranch_execz .LBB501_218
; %bb.217:
	v_sub_f32_e32 v69, v70, v68
	s_mov_b32 s2, 0x3e9b6dac
	s_delay_alu instid0(VALU_DEP_1) | instskip(SKIP_1) | instid1(VALU_DEP_2)
	v_mul_f32_e32 v70, 0x3fb8aa3b, v69
	v_cmp_ngt_f32_e32 vcc_lo, 0xc2ce8ed0, v69
	v_fma_f32 v71, 0x3fb8aa3b, v69, -v70
	v_rndne_f32_e32 v80, v70
	s_delay_alu instid0(VALU_DEP_1) | instskip(NEXT) | instid1(VALU_DEP_1)
	v_dual_fmamk_f32 v71, v69, 0x32a5705f, v71 :: v_dual_sub_f32 v70, v70, v80
	v_add_f32_e32 v70, v70, v71
	v_cvt_i32_f32_e32 v71, v80
	s_delay_alu instid0(VALU_DEP_2) | instskip(SKIP_2) | instid1(VALU_DEP_1)
	v_exp_f32_e32 v70, v70
	s_waitcnt_depctr 0xfff
	v_ldexp_f32 v70, v70, v71
	v_cndmask_b32_e32 v70, 0, v70, vcc_lo
	v_cmp_nlt_f32_e32 vcc_lo, 0x42b17218, v69
	s_delay_alu instid0(VALU_DEP_2) | instskip(NEXT) | instid1(VALU_DEP_1)
	v_cndmask_b32_e32 v71, 0x7f800000, v70, vcc_lo
	v_add_f32_e32 v80, 1.0, v71
	s_delay_alu instid0(VALU_DEP_1) | instskip(NEXT) | instid1(VALU_DEP_1)
	v_cvt_f64_f32_e32 v[69:70], v80
	v_frexp_exp_i32_f64_e32 v69, v[69:70]
	v_frexp_mant_f32_e32 v70, v80
	s_delay_alu instid0(VALU_DEP_1) | instskip(SKIP_1) | instid1(VALU_DEP_1)
	v_cmp_gt_f32_e32 vcc_lo, 0x3f2aaaab, v70
	v_add_f32_e32 v70, -1.0, v80
	v_sub_f32_e32 v82, v70, v80
	v_sub_f32_e32 v70, v71, v70
	v_subrev_co_ci_u32_e32 v69, vcc_lo, 0, v69, vcc_lo
	v_cmp_eq_f32_e32 vcc_lo, 0x7f800000, v71
	s_delay_alu instid0(VALU_DEP_2) | instskip(SKIP_1) | instid1(VALU_DEP_2)
	v_sub_nc_u32_e32 v81, 0, v69
	v_cvt_f32_i32_e32 v69, v69
	v_ldexp_f32 v80, v80, v81
	s_delay_alu instid0(VALU_DEP_1) | instskip(NEXT) | instid1(VALU_DEP_1)
	v_dual_add_f32 v83, 1.0, v80 :: v_dual_add_f32 v82, 1.0, v82
	v_add_f32_e32 v70, v70, v82
	s_delay_alu instid0(VALU_DEP_2) | instskip(NEXT) | instid1(VALU_DEP_2)
	v_add_f32_e32 v82, -1.0, v83
	v_ldexp_f32 v70, v70, v81
	s_delay_alu instid0(VALU_DEP_2) | instskip(NEXT) | instid1(VALU_DEP_1)
	v_dual_add_f32 v81, -1.0, v80 :: v_dual_sub_f32 v82, v80, v82
	v_add_f32_e32 v84, 1.0, v81
	s_delay_alu instid0(VALU_DEP_2) | instskip(NEXT) | instid1(VALU_DEP_2)
	v_add_f32_e32 v82, v70, v82
	v_sub_f32_e32 v80, v80, v84
	s_delay_alu instid0(VALU_DEP_2) | instskip(NEXT) | instid1(VALU_DEP_2)
	v_add_f32_e32 v84, v83, v82
	v_add_f32_e32 v70, v70, v80
	s_delay_alu instid0(VALU_DEP_2) | instskip(SKIP_1) | instid1(VALU_DEP_1)
	v_rcp_f32_e32 v80, v84
	v_sub_f32_e32 v83, v83, v84
	v_dual_add_f32 v85, v81, v70 :: v_dual_add_f32 v82, v82, v83
	s_delay_alu instid0(VALU_DEP_1) | instskip(SKIP_2) | instid1(VALU_DEP_1)
	v_sub_f32_e32 v81, v81, v85
	s_waitcnt_depctr 0xfff
	v_mul_f32_e32 v86, v85, v80
	v_dual_add_f32 v70, v70, v81 :: v_dual_mul_f32 v87, v84, v86
	s_delay_alu instid0(VALU_DEP_1) | instskip(NEXT) | instid1(VALU_DEP_1)
	v_fma_f32 v83, v86, v84, -v87
	v_fmac_f32_e32 v83, v86, v82
	s_delay_alu instid0(VALU_DEP_1) | instskip(NEXT) | instid1(VALU_DEP_1)
	v_add_f32_e32 v96, v87, v83
	v_sub_f32_e32 v97, v85, v96
	v_sub_f32_e32 v81, v96, v87
	s_delay_alu instid0(VALU_DEP_2) | instskip(NEXT) | instid1(VALU_DEP_2)
	v_sub_f32_e32 v85, v85, v97
	v_sub_f32_e32 v81, v81, v83
	s_delay_alu instid0(VALU_DEP_2) | instskip(NEXT) | instid1(VALU_DEP_1)
	v_sub_f32_e32 v85, v85, v96
	v_add_f32_e32 v70, v70, v85
	s_delay_alu instid0(VALU_DEP_1) | instskip(NEXT) | instid1(VALU_DEP_1)
	v_add_f32_e32 v70, v81, v70
	v_add_f32_e32 v81, v97, v70
	s_delay_alu instid0(VALU_DEP_1) | instskip(NEXT) | instid1(VALU_DEP_1)
	v_mul_f32_e32 v83, v80, v81
	v_dual_sub_f32 v96, v97, v81 :: v_dual_mul_f32 v85, v84, v83
	s_delay_alu instid0(VALU_DEP_1) | instskip(NEXT) | instid1(VALU_DEP_2)
	v_add_f32_e32 v70, v70, v96
	v_fma_f32 v84, v83, v84, -v85
	s_delay_alu instid0(VALU_DEP_1) | instskip(NEXT) | instid1(VALU_DEP_1)
	v_fmac_f32_e32 v84, v83, v82
	v_add_f32_e32 v82, v85, v84
	s_delay_alu instid0(VALU_DEP_1) | instskip(SKIP_1) | instid1(VALU_DEP_2)
	v_sub_f32_e32 v87, v81, v82
	v_sub_f32_e32 v85, v82, v85
	;; [unrolled: 1-line block ×3, first 2 shown]
	s_delay_alu instid0(VALU_DEP_1) | instskip(NEXT) | instid1(VALU_DEP_3)
	v_sub_f32_e32 v81, v81, v82
	v_sub_f32_e32 v82, v85, v84
	s_delay_alu instid0(VALU_DEP_2) | instskip(SKIP_1) | instid1(VALU_DEP_2)
	v_add_f32_e32 v70, v70, v81
	v_add_f32_e32 v81, v86, v83
	;; [unrolled: 1-line block ×3, first 2 shown]
	s_delay_alu instid0(VALU_DEP_2) | instskip(NEXT) | instid1(VALU_DEP_2)
	v_sub_f32_e32 v82, v81, v86
	v_add_f32_e32 v70, v87, v70
	s_delay_alu instid0(VALU_DEP_2) | instskip(NEXT) | instid1(VALU_DEP_2)
	v_sub_f32_e32 v82, v83, v82
	v_mul_f32_e32 v70, v80, v70
	s_delay_alu instid0(VALU_DEP_1) | instskip(NEXT) | instid1(VALU_DEP_1)
	v_add_f32_e32 v70, v82, v70
	v_add_f32_e32 v80, v81, v70
	s_delay_alu instid0(VALU_DEP_1) | instskip(NEXT) | instid1(VALU_DEP_1)
	v_mul_f32_e32 v82, v80, v80
	v_fmaak_f32 v83, s2, v82, 0x3ecc95a3
	v_mul_f32_e32 v84, v80, v82
	v_cmp_gt_f32_e64 s2, 0x33800000, |v71|
	s_delay_alu instid0(VALU_DEP_3) | instskip(SKIP_2) | instid1(VALU_DEP_4)
	v_fmaak_f32 v82, v82, v83, 0x3f2aaada
	v_ldexp_f32 v83, v80, 1
	v_sub_f32_e32 v80, v80, v81
	s_or_b32 vcc_lo, vcc_lo, s2
	s_delay_alu instid0(VALU_DEP_3) | instskip(SKIP_1) | instid1(VALU_DEP_2)
	v_mul_f32_e32 v82, v84, v82
	v_mul_f32_e32 v84, 0x3f317218, v69
	v_dual_sub_f32 v70, v70, v80 :: v_dual_add_f32 v81, v83, v82
	s_delay_alu instid0(VALU_DEP_1) | instskip(NEXT) | instid1(VALU_DEP_2)
	v_ldexp_f32 v70, v70, 1
	v_sub_f32_e32 v80, v81, v83
	s_delay_alu instid0(VALU_DEP_4) | instskip(NEXT) | instid1(VALU_DEP_1)
	v_fma_f32 v83, 0x3f317218, v69, -v84
	v_dual_sub_f32 v80, v82, v80 :: v_dual_fmamk_f32 v69, v69, 0xb102e308, v83
	s_delay_alu instid0(VALU_DEP_1) | instskip(NEXT) | instid1(VALU_DEP_2)
	v_add_f32_e32 v70, v70, v80
	v_add_f32_e32 v80, v84, v69
	s_delay_alu instid0(VALU_DEP_2) | instskip(NEXT) | instid1(VALU_DEP_2)
	v_add_f32_e32 v82, v81, v70
	v_sub_f32_e32 v84, v80, v84
	s_delay_alu instid0(VALU_DEP_2) | instskip(SKIP_1) | instid1(VALU_DEP_3)
	v_add_f32_e32 v83, v80, v82
	v_sub_f32_e32 v81, v82, v81
	v_sub_f32_e32 v69, v69, v84
	s_delay_alu instid0(VALU_DEP_2) | instskip(NEXT) | instid1(VALU_DEP_1)
	v_dual_sub_f32 v85, v83, v80 :: v_dual_sub_f32 v70, v70, v81
	v_sub_f32_e32 v86, v83, v85
	s_delay_alu instid0(VALU_DEP_2) | instskip(NEXT) | instid1(VALU_DEP_2)
	v_dual_sub_f32 v81, v82, v85 :: v_dual_add_f32 v82, v69, v70
	v_sub_f32_e32 v80, v80, v86
	s_delay_alu instid0(VALU_DEP_1) | instskip(NEXT) | instid1(VALU_DEP_1)
	v_dual_add_f32 v80, v81, v80 :: v_dual_sub_f32 v81, v82, v69
	v_add_f32_e32 v80, v82, v80
	s_delay_alu instid0(VALU_DEP_2) | instskip(SKIP_1) | instid1(VALU_DEP_2)
	v_sub_f32_e32 v82, v82, v81
	v_sub_f32_e32 v70, v70, v81
	v_dual_add_f32 v84, v83, v80 :: v_dual_sub_f32 v69, v69, v82
	s_delay_alu instid0(VALU_DEP_1) | instskip(NEXT) | instid1(VALU_DEP_2)
	v_sub_f32_e32 v81, v84, v83
	v_add_f32_e32 v69, v70, v69
	s_delay_alu instid0(VALU_DEP_2) | instskip(NEXT) | instid1(VALU_DEP_1)
	v_sub_f32_e32 v70, v80, v81
	v_add_f32_e32 v69, v69, v70
	s_delay_alu instid0(VALU_DEP_1) | instskip(NEXT) | instid1(VALU_DEP_1)
	v_add_f32_e32 v69, v84, v69
	v_cndmask_b32_e32 v69, v69, v71, vcc_lo
	s_delay_alu instid0(VALU_DEP_1)
	v_add_f32_e32 v69, v68, v69
.LBB501_218:
	s_or_b32 exec_lo, exec_lo, s1
	s_delay_alu instid0(VALU_DEP_1) | instskip(SKIP_1) | instid1(VALU_DEP_2)
	v_bfe_u32 v68, v69, 16, 1
	v_cmp_o_f32_e32 vcc_lo, v69, v69
	v_add3_u32 v68, v69, v68, 0x7fff
	s_delay_alu instid0(VALU_DEP_1) | instskip(NEXT) | instid1(VALU_DEP_1)
	v_lshrrev_b32_e32 v68, 16, v68
	v_cndmask_b32_e32 v68, 0x7fc0, v68, vcc_lo
	s_delay_alu instid0(VALU_DEP_1) | instskip(NEXT) | instid1(VALU_DEP_1)
	v_lshlrev_b32_e32 v70, 16, v68
	v_max_f32_e32 v69, v70, v70
	v_cmp_u_f32_e32 vcc_lo, v70, v70
	s_delay_alu instid0(VALU_DEP_2) | instskip(SKIP_1) | instid1(VALU_DEP_2)
	v_min_f32_e32 v71, v69, v112
	v_max_f32_e32 v69, v69, v112
	v_cndmask_b32_e32 v71, v71, v70, vcc_lo
	s_delay_alu instid0(VALU_DEP_2) | instskip(NEXT) | instid1(VALU_DEP_2)
	v_cndmask_b32_e32 v69, v69, v70, vcc_lo
	v_cndmask_b32_e64 v71, v71, v99, s14
	s_delay_alu instid0(VALU_DEP_2) | instskip(NEXT) | instid1(VALU_DEP_2)
	v_cndmask_b32_e64 v69, v69, v99, s14
	v_cmp_class_f32_e64 s1, v71, 0x1f8
	s_delay_alu instid0(VALU_DEP_2) | instskip(NEXT) | instid1(VALU_DEP_2)
	v_cmp_neq_f32_e32 vcc_lo, v71, v69
	s_or_b32 s2, vcc_lo, s1
	s_delay_alu instid0(SALU_CYCLE_1)
	s_and_saveexec_b32 s1, s2
	s_cbranch_execz .LBB501_220
; %bb.219:
	v_sub_f32_e32 v70, v71, v69
	s_mov_b32 s2, 0x3e9b6dac
	s_delay_alu instid0(VALU_DEP_1) | instskip(SKIP_1) | instid1(VALU_DEP_2)
	v_mul_f32_e32 v71, 0x3fb8aa3b, v70
	v_cmp_ngt_f32_e32 vcc_lo, 0xc2ce8ed0, v70
	v_fma_f32 v80, 0x3fb8aa3b, v70, -v71
	v_rndne_f32_e32 v81, v71
	s_delay_alu instid0(VALU_DEP_1) | instskip(NEXT) | instid1(VALU_DEP_1)
	v_dual_fmamk_f32 v80, v70, 0x32a5705f, v80 :: v_dual_sub_f32 v71, v71, v81
	v_add_f32_e32 v71, v71, v80
	v_cvt_i32_f32_e32 v80, v81
	s_delay_alu instid0(VALU_DEP_2) | instskip(SKIP_2) | instid1(VALU_DEP_1)
	v_exp_f32_e32 v71, v71
	s_waitcnt_depctr 0xfff
	v_ldexp_f32 v71, v71, v80
	v_cndmask_b32_e32 v71, 0, v71, vcc_lo
	v_cmp_nlt_f32_e32 vcc_lo, 0x42b17218, v70
	s_delay_alu instid0(VALU_DEP_2) | instskip(NEXT) | instid1(VALU_DEP_1)
	v_cndmask_b32_e32 v80, 0x7f800000, v71, vcc_lo
	v_add_f32_e32 v81, 1.0, v80
	s_delay_alu instid0(VALU_DEP_1) | instskip(NEXT) | instid1(VALU_DEP_1)
	v_cvt_f64_f32_e32 v[70:71], v81
	v_frexp_exp_i32_f64_e32 v70, v[70:71]
	v_frexp_mant_f32_e32 v71, v81
	s_delay_alu instid0(VALU_DEP_1) | instskip(SKIP_1) | instid1(VALU_DEP_1)
	v_cmp_gt_f32_e32 vcc_lo, 0x3f2aaaab, v71
	v_add_f32_e32 v71, -1.0, v81
	v_sub_f32_e32 v83, v71, v81
	v_sub_f32_e32 v71, v80, v71
	v_subrev_co_ci_u32_e32 v70, vcc_lo, 0, v70, vcc_lo
	v_cmp_eq_f32_e32 vcc_lo, 0x7f800000, v80
	s_delay_alu instid0(VALU_DEP_2) | instskip(SKIP_1) | instid1(VALU_DEP_2)
	v_sub_nc_u32_e32 v82, 0, v70
	v_cvt_f32_i32_e32 v70, v70
	v_ldexp_f32 v81, v81, v82
	s_delay_alu instid0(VALU_DEP_1) | instskip(NEXT) | instid1(VALU_DEP_1)
	v_dual_add_f32 v84, 1.0, v81 :: v_dual_add_f32 v83, 1.0, v83
	v_add_f32_e32 v71, v71, v83
	s_delay_alu instid0(VALU_DEP_2) | instskip(NEXT) | instid1(VALU_DEP_2)
	v_add_f32_e32 v83, -1.0, v84
	v_ldexp_f32 v71, v71, v82
	s_delay_alu instid0(VALU_DEP_2) | instskip(NEXT) | instid1(VALU_DEP_1)
	v_dual_add_f32 v82, -1.0, v81 :: v_dual_sub_f32 v83, v81, v83
	v_add_f32_e32 v85, 1.0, v82
	s_delay_alu instid0(VALU_DEP_2) | instskip(NEXT) | instid1(VALU_DEP_2)
	v_add_f32_e32 v83, v71, v83
	v_sub_f32_e32 v81, v81, v85
	s_delay_alu instid0(VALU_DEP_2) | instskip(NEXT) | instid1(VALU_DEP_2)
	v_add_f32_e32 v85, v84, v83
	v_add_f32_e32 v71, v71, v81
	s_delay_alu instid0(VALU_DEP_2) | instskip(SKIP_1) | instid1(VALU_DEP_1)
	v_rcp_f32_e32 v81, v85
	v_sub_f32_e32 v84, v84, v85
	v_dual_add_f32 v86, v82, v71 :: v_dual_add_f32 v83, v83, v84
	s_delay_alu instid0(VALU_DEP_1) | instskip(SKIP_2) | instid1(VALU_DEP_1)
	v_sub_f32_e32 v82, v82, v86
	s_waitcnt_depctr 0xfff
	v_mul_f32_e32 v87, v86, v81
	v_dual_add_f32 v71, v71, v82 :: v_dual_mul_f32 v96, v85, v87
	s_delay_alu instid0(VALU_DEP_1) | instskip(NEXT) | instid1(VALU_DEP_1)
	v_fma_f32 v84, v87, v85, -v96
	v_fmac_f32_e32 v84, v87, v83
	s_delay_alu instid0(VALU_DEP_1) | instskip(NEXT) | instid1(VALU_DEP_1)
	v_add_f32_e32 v97, v96, v84
	v_sub_f32_e32 v98, v86, v97
	v_sub_f32_e32 v82, v97, v96
	s_delay_alu instid0(VALU_DEP_2) | instskip(NEXT) | instid1(VALU_DEP_2)
	v_sub_f32_e32 v86, v86, v98
	v_sub_f32_e32 v82, v82, v84
	s_delay_alu instid0(VALU_DEP_2) | instskip(NEXT) | instid1(VALU_DEP_1)
	v_sub_f32_e32 v86, v86, v97
	v_add_f32_e32 v71, v71, v86
	s_delay_alu instid0(VALU_DEP_1) | instskip(NEXT) | instid1(VALU_DEP_1)
	v_add_f32_e32 v71, v82, v71
	v_add_f32_e32 v82, v98, v71
	s_delay_alu instid0(VALU_DEP_1) | instskip(NEXT) | instid1(VALU_DEP_1)
	v_mul_f32_e32 v84, v81, v82
	v_dual_sub_f32 v97, v98, v82 :: v_dual_mul_f32 v86, v85, v84
	s_delay_alu instid0(VALU_DEP_1) | instskip(NEXT) | instid1(VALU_DEP_2)
	v_add_f32_e32 v71, v71, v97
	v_fma_f32 v85, v84, v85, -v86
	s_delay_alu instid0(VALU_DEP_1) | instskip(NEXT) | instid1(VALU_DEP_1)
	v_fmac_f32_e32 v85, v84, v83
	v_add_f32_e32 v83, v86, v85
	s_delay_alu instid0(VALU_DEP_1) | instskip(SKIP_1) | instid1(VALU_DEP_2)
	v_sub_f32_e32 v96, v82, v83
	v_sub_f32_e32 v86, v83, v86
	;; [unrolled: 1-line block ×3, first 2 shown]
	s_delay_alu instid0(VALU_DEP_1) | instskip(NEXT) | instid1(VALU_DEP_3)
	v_sub_f32_e32 v82, v82, v83
	v_sub_f32_e32 v83, v86, v85
	s_delay_alu instid0(VALU_DEP_2) | instskip(SKIP_1) | instid1(VALU_DEP_2)
	v_add_f32_e32 v71, v71, v82
	v_add_f32_e32 v82, v87, v84
	;; [unrolled: 1-line block ×3, first 2 shown]
	s_delay_alu instid0(VALU_DEP_2) | instskip(NEXT) | instid1(VALU_DEP_2)
	v_sub_f32_e32 v83, v82, v87
	v_add_f32_e32 v71, v96, v71
	s_delay_alu instid0(VALU_DEP_2) | instskip(NEXT) | instid1(VALU_DEP_2)
	v_sub_f32_e32 v83, v84, v83
	v_mul_f32_e32 v71, v81, v71
	s_delay_alu instid0(VALU_DEP_1) | instskip(NEXT) | instid1(VALU_DEP_1)
	v_add_f32_e32 v71, v83, v71
	v_add_f32_e32 v81, v82, v71
	s_delay_alu instid0(VALU_DEP_1) | instskip(NEXT) | instid1(VALU_DEP_1)
	v_mul_f32_e32 v83, v81, v81
	v_fmaak_f32 v84, s2, v83, 0x3ecc95a3
	v_mul_f32_e32 v85, v81, v83
	v_cmp_gt_f32_e64 s2, 0x33800000, |v80|
	s_delay_alu instid0(VALU_DEP_3) | instskip(SKIP_2) | instid1(VALU_DEP_4)
	v_fmaak_f32 v83, v83, v84, 0x3f2aaada
	v_ldexp_f32 v84, v81, 1
	v_sub_f32_e32 v81, v81, v82
	s_or_b32 vcc_lo, vcc_lo, s2
	s_delay_alu instid0(VALU_DEP_3) | instskip(SKIP_1) | instid1(VALU_DEP_2)
	v_mul_f32_e32 v83, v85, v83
	v_mul_f32_e32 v85, 0x3f317218, v70
	v_dual_sub_f32 v71, v71, v81 :: v_dual_add_f32 v82, v84, v83
	s_delay_alu instid0(VALU_DEP_1) | instskip(NEXT) | instid1(VALU_DEP_2)
	v_ldexp_f32 v71, v71, 1
	v_sub_f32_e32 v81, v82, v84
	s_delay_alu instid0(VALU_DEP_4) | instskip(NEXT) | instid1(VALU_DEP_1)
	v_fma_f32 v84, 0x3f317218, v70, -v85
	v_dual_sub_f32 v81, v83, v81 :: v_dual_fmamk_f32 v70, v70, 0xb102e308, v84
	s_delay_alu instid0(VALU_DEP_1) | instskip(NEXT) | instid1(VALU_DEP_2)
	v_add_f32_e32 v71, v71, v81
	v_add_f32_e32 v81, v85, v70
	s_delay_alu instid0(VALU_DEP_2) | instskip(NEXT) | instid1(VALU_DEP_2)
	v_add_f32_e32 v83, v82, v71
	v_sub_f32_e32 v85, v81, v85
	s_delay_alu instid0(VALU_DEP_2) | instskip(SKIP_1) | instid1(VALU_DEP_3)
	v_add_f32_e32 v84, v81, v83
	v_sub_f32_e32 v82, v83, v82
	v_sub_f32_e32 v70, v70, v85
	s_delay_alu instid0(VALU_DEP_2) | instskip(NEXT) | instid1(VALU_DEP_1)
	v_dual_sub_f32 v86, v84, v81 :: v_dual_sub_f32 v71, v71, v82
	v_sub_f32_e32 v87, v84, v86
	s_delay_alu instid0(VALU_DEP_2) | instskip(NEXT) | instid1(VALU_DEP_2)
	v_dual_sub_f32 v82, v83, v86 :: v_dual_add_f32 v83, v70, v71
	v_sub_f32_e32 v81, v81, v87
	s_delay_alu instid0(VALU_DEP_1) | instskip(NEXT) | instid1(VALU_DEP_1)
	v_dual_add_f32 v81, v82, v81 :: v_dual_sub_f32 v82, v83, v70
	v_add_f32_e32 v81, v83, v81
	s_delay_alu instid0(VALU_DEP_2) | instskip(SKIP_1) | instid1(VALU_DEP_2)
	v_sub_f32_e32 v83, v83, v82
	v_sub_f32_e32 v71, v71, v82
	v_dual_add_f32 v85, v84, v81 :: v_dual_sub_f32 v70, v70, v83
	s_delay_alu instid0(VALU_DEP_1) | instskip(NEXT) | instid1(VALU_DEP_2)
	v_sub_f32_e32 v82, v85, v84
	v_add_f32_e32 v70, v71, v70
	s_delay_alu instid0(VALU_DEP_2) | instskip(NEXT) | instid1(VALU_DEP_1)
	v_sub_f32_e32 v71, v81, v82
	v_add_f32_e32 v70, v70, v71
	s_delay_alu instid0(VALU_DEP_1) | instskip(NEXT) | instid1(VALU_DEP_1)
	v_add_f32_e32 v70, v85, v70
	v_cndmask_b32_e32 v70, v70, v80, vcc_lo
	s_delay_alu instid0(VALU_DEP_1)
	v_add_f32_e32 v70, v69, v70
.LBB501_220:
	s_or_b32 exec_lo, exec_lo, s1
	s_delay_alu instid0(VALU_DEP_1) | instskip(SKIP_1) | instid1(VALU_DEP_2)
	v_bfe_u32 v69, v70, 16, 1
	v_cmp_o_f32_e32 vcc_lo, v70, v70
	v_add3_u32 v69, v70, v69, 0x7fff
	s_delay_alu instid0(VALU_DEP_1) | instskip(NEXT) | instid1(VALU_DEP_1)
	v_lshrrev_b32_e32 v69, 16, v69
	v_cndmask_b32_e32 v69, 0x7fc0, v69, vcc_lo
	s_delay_alu instid0(VALU_DEP_1) | instskip(NEXT) | instid1(VALU_DEP_1)
	v_lshlrev_b32_e32 v71, 16, v69
	v_max_f32_e32 v70, v71, v71
	s_delay_alu instid0(VALU_DEP_1) | instskip(SKIP_2) | instid1(VALU_DEP_3)
	v_min_f32_e32 v80, v70, v114
	v_max_f32_e32 v70, v70, v114
	v_cmp_u_f32_e32 vcc_lo, v71, v71
	v_cndmask_b32_e32 v80, v80, v71, vcc_lo
	s_delay_alu instid0(VALU_DEP_3) | instskip(NEXT) | instid1(VALU_DEP_2)
	v_cndmask_b32_e32 v70, v70, v71, vcc_lo
	v_cndmask_b32_e64 v80, v80, v101, s15
	s_delay_alu instid0(VALU_DEP_2) | instskip(NEXT) | instid1(VALU_DEP_2)
	v_cndmask_b32_e64 v70, v70, v101, s15
	v_cmp_class_f32_e64 s1, v80, 0x1f8
	s_delay_alu instid0(VALU_DEP_2) | instskip(NEXT) | instid1(VALU_DEP_2)
	v_cmp_neq_f32_e32 vcc_lo, v80, v70
	s_or_b32 s2, vcc_lo, s1
	s_delay_alu instid0(SALU_CYCLE_1)
	s_and_saveexec_b32 s1, s2
	s_cbranch_execz .LBB501_222
; %bb.221:
	v_sub_f32_e32 v71, v80, v70
	s_mov_b32 s2, 0x3e9b6dac
	s_delay_alu instid0(VALU_DEP_1) | instskip(SKIP_1) | instid1(VALU_DEP_2)
	v_mul_f32_e32 v80, 0x3fb8aa3b, v71
	v_cmp_ngt_f32_e32 vcc_lo, 0xc2ce8ed0, v71
	v_fma_f32 v81, 0x3fb8aa3b, v71, -v80
	v_rndne_f32_e32 v82, v80
	s_delay_alu instid0(VALU_DEP_1) | instskip(NEXT) | instid1(VALU_DEP_1)
	v_dual_fmamk_f32 v81, v71, 0x32a5705f, v81 :: v_dual_sub_f32 v80, v80, v82
	v_add_f32_e32 v80, v80, v81
	v_cvt_i32_f32_e32 v81, v82
	s_delay_alu instid0(VALU_DEP_2) | instskip(SKIP_2) | instid1(VALU_DEP_1)
	v_exp_f32_e32 v80, v80
	s_waitcnt_depctr 0xfff
	v_ldexp_f32 v80, v80, v81
	v_cndmask_b32_e32 v80, 0, v80, vcc_lo
	v_cmp_nlt_f32_e32 vcc_lo, 0x42b17218, v71
	s_delay_alu instid0(VALU_DEP_2) | instskip(NEXT) | instid1(VALU_DEP_1)
	v_cndmask_b32_e32 v71, 0x7f800000, v80, vcc_lo
	v_add_f32_e32 v82, 1.0, v71
	s_delay_alu instid0(VALU_DEP_1) | instskip(NEXT) | instid1(VALU_DEP_1)
	v_cvt_f64_f32_e32 v[80:81], v82
	v_frexp_exp_i32_f64_e32 v80, v[80:81]
	v_frexp_mant_f32_e32 v81, v82
	s_delay_alu instid0(VALU_DEP_1) | instskip(SKIP_1) | instid1(VALU_DEP_1)
	v_cmp_gt_f32_e32 vcc_lo, 0x3f2aaaab, v81
	v_add_f32_e32 v81, -1.0, v82
	v_dual_sub_f32 v84, v81, v82 :: v_dual_sub_f32 v81, v71, v81
	v_subrev_co_ci_u32_e32 v80, vcc_lo, 0, v80, vcc_lo
	v_cmp_eq_f32_e32 vcc_lo, 0x7f800000, v71
	s_delay_alu instid0(VALU_DEP_2) | instskip(SKIP_1) | instid1(VALU_DEP_2)
	v_sub_nc_u32_e32 v83, 0, v80
	v_cvt_f32_i32_e32 v80, v80
	v_ldexp_f32 v82, v82, v83
	s_delay_alu instid0(VALU_DEP_1) | instskip(NEXT) | instid1(VALU_DEP_1)
	v_dual_add_f32 v84, 1.0, v84 :: v_dual_add_f32 v85, 1.0, v82
	v_dual_add_f32 v81, v81, v84 :: v_dual_add_f32 v84, -1.0, v85
	s_delay_alu instid0(VALU_DEP_1) | instskip(NEXT) | instid1(VALU_DEP_2)
	v_ldexp_f32 v81, v81, v83
	v_dual_add_f32 v83, -1.0, v82 :: v_dual_sub_f32 v84, v82, v84
	s_delay_alu instid0(VALU_DEP_1) | instskip(NEXT) | instid1(VALU_DEP_2)
	v_add_f32_e32 v86, 1.0, v83
	v_add_f32_e32 v84, v81, v84
	s_delay_alu instid0(VALU_DEP_2) | instskip(NEXT) | instid1(VALU_DEP_1)
	v_sub_f32_e32 v82, v82, v86
	v_add_f32_e32 v81, v81, v82
	s_delay_alu instid0(VALU_DEP_1) | instskip(NEXT) | instid1(VALU_DEP_1)
	v_dual_add_f32 v87, v83, v81 :: v_dual_add_f32 v86, v85, v84
	v_sub_f32_e32 v83, v83, v87
	s_delay_alu instid0(VALU_DEP_2) | instskip(SKIP_1) | instid1(VALU_DEP_1)
	v_rcp_f32_e32 v82, v86
	v_sub_f32_e32 v85, v85, v86
	v_dual_add_f32 v81, v81, v83 :: v_dual_add_f32 v84, v84, v85
	s_waitcnt_depctr 0xfff
	v_mul_f32_e32 v96, v87, v82
	s_delay_alu instid0(VALU_DEP_1) | instskip(NEXT) | instid1(VALU_DEP_1)
	v_mul_f32_e32 v97, v86, v96
	v_fma_f32 v85, v96, v86, -v97
	s_delay_alu instid0(VALU_DEP_1) | instskip(NEXT) | instid1(VALU_DEP_1)
	v_fmac_f32_e32 v85, v96, v84
	v_add_f32_e32 v98, v97, v85
	s_delay_alu instid0(VALU_DEP_1) | instskip(NEXT) | instid1(VALU_DEP_1)
	v_sub_f32_e32 v99, v87, v98
	v_sub_f32_e32 v87, v87, v99
	;; [unrolled: 1-line block ×3, first 2 shown]
	s_delay_alu instid0(VALU_DEP_2) | instskip(NEXT) | instid1(VALU_DEP_2)
	v_sub_f32_e32 v87, v87, v98
	v_sub_f32_e32 v83, v83, v85
	s_delay_alu instid0(VALU_DEP_2) | instskip(NEXT) | instid1(VALU_DEP_1)
	v_add_f32_e32 v81, v81, v87
	v_add_f32_e32 v81, v83, v81
	s_delay_alu instid0(VALU_DEP_1) | instskip(NEXT) | instid1(VALU_DEP_1)
	v_add_f32_e32 v83, v99, v81
	v_mul_f32_e32 v85, v82, v83
	s_delay_alu instid0(VALU_DEP_1) | instskip(NEXT) | instid1(VALU_DEP_1)
	v_dual_sub_f32 v98, v99, v83 :: v_dual_mul_f32 v87, v86, v85
	v_add_f32_e32 v81, v81, v98
	s_delay_alu instid0(VALU_DEP_2) | instskip(NEXT) | instid1(VALU_DEP_1)
	v_fma_f32 v86, v85, v86, -v87
	v_fmac_f32_e32 v86, v85, v84
	s_delay_alu instid0(VALU_DEP_1) | instskip(NEXT) | instid1(VALU_DEP_1)
	v_add_f32_e32 v84, v87, v86
	v_sub_f32_e32 v97, v83, v84
	v_sub_f32_e32 v87, v84, v87
	s_delay_alu instid0(VALU_DEP_2) | instskip(NEXT) | instid1(VALU_DEP_1)
	v_sub_f32_e32 v83, v83, v97
	v_sub_f32_e32 v83, v83, v84
	s_delay_alu instid0(VALU_DEP_1) | instskip(SKIP_1) | instid1(VALU_DEP_1)
	v_dual_sub_f32 v84, v87, v86 :: v_dual_add_f32 v81, v81, v83
	v_add_f32_e32 v83, v96, v85
	v_dual_add_f32 v81, v84, v81 :: v_dual_sub_f32 v84, v83, v96
	s_delay_alu instid0(VALU_DEP_1) | instskip(NEXT) | instid1(VALU_DEP_1)
	v_add_f32_e32 v81, v97, v81
	v_dual_sub_f32 v84, v85, v84 :: v_dual_mul_f32 v81, v82, v81
	s_delay_alu instid0(VALU_DEP_1) | instskip(NEXT) | instid1(VALU_DEP_1)
	v_add_f32_e32 v81, v84, v81
	v_add_f32_e32 v82, v83, v81
	s_delay_alu instid0(VALU_DEP_1) | instskip(NEXT) | instid1(VALU_DEP_1)
	v_mul_f32_e32 v84, v82, v82
	v_fmaak_f32 v85, s2, v84, 0x3ecc95a3
	v_mul_f32_e32 v86, v82, v84
	v_cmp_gt_f32_e64 s2, 0x33800000, |v71|
	s_delay_alu instid0(VALU_DEP_3) | instskip(SKIP_2) | instid1(VALU_DEP_4)
	v_fmaak_f32 v84, v84, v85, 0x3f2aaada
	v_ldexp_f32 v85, v82, 1
	v_sub_f32_e32 v82, v82, v83
	s_or_b32 vcc_lo, vcc_lo, s2
	s_delay_alu instid0(VALU_DEP_3) | instskip(NEXT) | instid1(VALU_DEP_2)
	v_mul_f32_e32 v84, v86, v84
	v_dual_mul_f32 v86, 0x3f317218, v80 :: v_dual_sub_f32 v81, v81, v82
	s_delay_alu instid0(VALU_DEP_2) | instskip(NEXT) | instid1(VALU_DEP_2)
	v_add_f32_e32 v83, v85, v84
	v_ldexp_f32 v81, v81, 1
	s_delay_alu instid0(VALU_DEP_2) | instskip(NEXT) | instid1(VALU_DEP_4)
	v_sub_f32_e32 v82, v83, v85
	v_fma_f32 v85, 0x3f317218, v80, -v86
	s_delay_alu instid0(VALU_DEP_2) | instskip(NEXT) | instid1(VALU_DEP_1)
	v_sub_f32_e32 v82, v84, v82
	v_dual_fmamk_f32 v80, v80, 0xb102e308, v85 :: v_dual_add_f32 v81, v81, v82
	s_delay_alu instid0(VALU_DEP_1) | instskip(NEXT) | instid1(VALU_DEP_1)
	v_add_f32_e32 v82, v86, v80
	v_sub_f32_e32 v86, v82, v86
	s_delay_alu instid0(VALU_DEP_1) | instskip(NEXT) | instid1(VALU_DEP_4)
	v_sub_f32_e32 v80, v80, v86
	v_add_f32_e32 v84, v83, v81
	s_delay_alu instid0(VALU_DEP_1) | instskip(NEXT) | instid1(VALU_DEP_1)
	v_sub_f32_e32 v83, v84, v83
	v_sub_f32_e32 v81, v81, v83
	v_add_f32_e32 v85, v82, v84
	s_delay_alu instid0(VALU_DEP_1) | instskip(NEXT) | instid1(VALU_DEP_1)
	v_sub_f32_e32 v87, v85, v82
	v_sub_f32_e32 v83, v84, v87
	s_delay_alu instid0(VALU_DEP_4) | instskip(SKIP_1) | instid1(VALU_DEP_1)
	v_add_f32_e32 v84, v80, v81
	v_sub_f32_e32 v96, v85, v87
	v_sub_f32_e32 v82, v82, v96
	s_delay_alu instid0(VALU_DEP_1) | instskip(NEXT) | instid1(VALU_DEP_1)
	v_dual_add_f32 v82, v83, v82 :: v_dual_sub_f32 v83, v84, v80
	v_dual_add_f32 v82, v84, v82 :: v_dual_sub_f32 v81, v81, v83
	v_sub_f32_e32 v84, v84, v83
	s_delay_alu instid0(VALU_DEP_2) | instskip(NEXT) | instid1(VALU_DEP_1)
	v_add_f32_e32 v86, v85, v82
	v_dual_sub_f32 v80, v80, v84 :: v_dual_sub_f32 v83, v86, v85
	s_delay_alu instid0(VALU_DEP_1) | instskip(NEXT) | instid1(VALU_DEP_1)
	v_dual_add_f32 v80, v81, v80 :: v_dual_sub_f32 v81, v82, v83
	v_add_f32_e32 v80, v80, v81
	s_delay_alu instid0(VALU_DEP_1) | instskip(NEXT) | instid1(VALU_DEP_1)
	v_add_f32_e32 v80, v86, v80
	v_cndmask_b32_e32 v71, v80, v71, vcc_lo
	s_delay_alu instid0(VALU_DEP_1)
	v_add_f32_e32 v71, v70, v71
.LBB501_222:
	s_or_b32 exec_lo, exec_lo, s1
	s_delay_alu instid0(VALU_DEP_1) | instskip(SKIP_1) | instid1(VALU_DEP_2)
	v_bfe_u32 v70, v71, 16, 1
	v_cmp_o_f32_e32 vcc_lo, v71, v71
	v_add3_u32 v70, v71, v70, 0x7fff
	s_delay_alu instid0(VALU_DEP_1) | instskip(NEXT) | instid1(VALU_DEP_1)
	v_lshrrev_b32_e32 v70, 16, v70
	v_cndmask_b32_e32 v70, 0x7fc0, v70, vcc_lo
	s_delay_alu instid0(VALU_DEP_1) | instskip(NEXT) | instid1(VALU_DEP_1)
	v_lshlrev_b32_e32 v80, 16, v70
	v_max_f32_e32 v71, v80, v80
	s_delay_alu instid0(VALU_DEP_1) | instskip(SKIP_2) | instid1(VALU_DEP_3)
	v_min_f32_e32 v81, v71, v116
	v_max_f32_e32 v71, v71, v116
	v_cmp_u_f32_e32 vcc_lo, v80, v80
	v_cndmask_b32_e32 v81, v81, v80, vcc_lo
	s_delay_alu instid0(VALU_DEP_3) | instskip(NEXT) | instid1(VALU_DEP_2)
	v_cndmask_b32_e32 v71, v71, v80, vcc_lo
	v_cndmask_b32_e64 v81, v81, v103, s16
	s_delay_alu instid0(VALU_DEP_2) | instskip(NEXT) | instid1(VALU_DEP_2)
	v_cndmask_b32_e64 v71, v71, v103, s16
	v_cmp_class_f32_e64 s1, v81, 0x1f8
	s_delay_alu instid0(VALU_DEP_2) | instskip(NEXT) | instid1(VALU_DEP_2)
	v_cmp_neq_f32_e32 vcc_lo, v81, v71
	s_or_b32 s2, vcc_lo, s1
	s_delay_alu instid0(SALU_CYCLE_1)
	s_and_saveexec_b32 s1, s2
	s_cbranch_execz .LBB501_224
; %bb.223:
	v_sub_f32_e32 v80, v81, v71
	s_mov_b32 s2, 0x3e9b6dac
	s_delay_alu instid0(VALU_DEP_1) | instskip(SKIP_1) | instid1(VALU_DEP_2)
	v_mul_f32_e32 v81, 0x3fb8aa3b, v80
	v_cmp_ngt_f32_e32 vcc_lo, 0xc2ce8ed0, v80
	v_fma_f32 v82, 0x3fb8aa3b, v80, -v81
	v_rndne_f32_e32 v83, v81
	s_delay_alu instid0(VALU_DEP_1) | instskip(NEXT) | instid1(VALU_DEP_1)
	v_dual_fmamk_f32 v82, v80, 0x32a5705f, v82 :: v_dual_sub_f32 v81, v81, v83
	v_add_f32_e32 v81, v81, v82
	v_cvt_i32_f32_e32 v82, v83
	s_delay_alu instid0(VALU_DEP_2) | instskip(SKIP_2) | instid1(VALU_DEP_1)
	v_exp_f32_e32 v81, v81
	s_waitcnt_depctr 0xfff
	v_ldexp_f32 v81, v81, v82
	v_cndmask_b32_e32 v81, 0, v81, vcc_lo
	v_cmp_nlt_f32_e32 vcc_lo, 0x42b17218, v80
	s_delay_alu instid0(VALU_DEP_2) | instskip(NEXT) | instid1(VALU_DEP_1)
	v_cndmask_b32_e32 v82, 0x7f800000, v81, vcc_lo
	v_add_f32_e32 v83, 1.0, v82
	s_delay_alu instid0(VALU_DEP_1) | instskip(NEXT) | instid1(VALU_DEP_1)
	v_cvt_f64_f32_e32 v[80:81], v83
	v_frexp_exp_i32_f64_e32 v80, v[80:81]
	v_frexp_mant_f32_e32 v81, v83
	s_delay_alu instid0(VALU_DEP_1) | instskip(SKIP_1) | instid1(VALU_DEP_1)
	v_cmp_gt_f32_e32 vcc_lo, 0x3f2aaaab, v81
	v_add_f32_e32 v81, -1.0, v83
	v_sub_f32_e32 v85, v81, v83
	v_sub_f32_e32 v81, v82, v81
	v_subrev_co_ci_u32_e32 v80, vcc_lo, 0, v80, vcc_lo
	v_cmp_eq_f32_e32 vcc_lo, 0x7f800000, v82
	s_delay_alu instid0(VALU_DEP_2) | instskip(SKIP_1) | instid1(VALU_DEP_2)
	v_sub_nc_u32_e32 v84, 0, v80
	v_cvt_f32_i32_e32 v80, v80
	v_ldexp_f32 v83, v83, v84
	s_delay_alu instid0(VALU_DEP_1) | instskip(NEXT) | instid1(VALU_DEP_1)
	v_dual_add_f32 v86, 1.0, v83 :: v_dual_add_f32 v85, 1.0, v85
	v_add_f32_e32 v81, v81, v85
	s_delay_alu instid0(VALU_DEP_2) | instskip(NEXT) | instid1(VALU_DEP_2)
	v_add_f32_e32 v85, -1.0, v86
	v_ldexp_f32 v81, v81, v84
	s_delay_alu instid0(VALU_DEP_2) | instskip(NEXT) | instid1(VALU_DEP_1)
	v_dual_add_f32 v84, -1.0, v83 :: v_dual_sub_f32 v85, v83, v85
	v_add_f32_e32 v87, 1.0, v84
	s_delay_alu instid0(VALU_DEP_2) | instskip(NEXT) | instid1(VALU_DEP_2)
	v_add_f32_e32 v85, v81, v85
	v_sub_f32_e32 v83, v83, v87
	s_delay_alu instid0(VALU_DEP_2) | instskip(NEXT) | instid1(VALU_DEP_2)
	v_add_f32_e32 v87, v86, v85
	v_add_f32_e32 v81, v81, v83
	s_delay_alu instid0(VALU_DEP_2) | instskip(SKIP_1) | instid1(VALU_DEP_1)
	v_rcp_f32_e32 v83, v87
	v_sub_f32_e32 v86, v86, v87
	v_dual_add_f32 v96, v84, v81 :: v_dual_add_f32 v85, v85, v86
	s_delay_alu instid0(VALU_DEP_1) | instskip(SKIP_2) | instid1(VALU_DEP_1)
	v_sub_f32_e32 v84, v84, v96
	s_waitcnt_depctr 0xfff
	v_mul_f32_e32 v97, v96, v83
	v_dual_add_f32 v81, v81, v84 :: v_dual_mul_f32 v98, v87, v97
	s_delay_alu instid0(VALU_DEP_1) | instskip(NEXT) | instid1(VALU_DEP_1)
	v_fma_f32 v86, v97, v87, -v98
	v_fmac_f32_e32 v86, v97, v85
	s_delay_alu instid0(VALU_DEP_1) | instskip(NEXT) | instid1(VALU_DEP_1)
	v_add_f32_e32 v99, v98, v86
	v_sub_f32_e32 v100, v96, v99
	v_sub_f32_e32 v84, v99, v98
	s_delay_alu instid0(VALU_DEP_2) | instskip(NEXT) | instid1(VALU_DEP_2)
	v_sub_f32_e32 v96, v96, v100
	v_sub_f32_e32 v84, v84, v86
	s_delay_alu instid0(VALU_DEP_2) | instskip(NEXT) | instid1(VALU_DEP_1)
	v_sub_f32_e32 v96, v96, v99
	v_add_f32_e32 v81, v81, v96
	s_delay_alu instid0(VALU_DEP_1) | instskip(NEXT) | instid1(VALU_DEP_1)
	v_add_f32_e32 v81, v84, v81
	v_add_f32_e32 v84, v100, v81
	s_delay_alu instid0(VALU_DEP_1) | instskip(NEXT) | instid1(VALU_DEP_1)
	v_mul_f32_e32 v86, v83, v84
	v_dual_sub_f32 v99, v100, v84 :: v_dual_mul_f32 v96, v87, v86
	s_delay_alu instid0(VALU_DEP_1) | instskip(NEXT) | instid1(VALU_DEP_2)
	v_add_f32_e32 v81, v81, v99
	v_fma_f32 v87, v86, v87, -v96
	s_delay_alu instid0(VALU_DEP_1) | instskip(NEXT) | instid1(VALU_DEP_1)
	v_fmac_f32_e32 v87, v86, v85
	v_add_f32_e32 v85, v96, v87
	s_delay_alu instid0(VALU_DEP_1) | instskip(SKIP_1) | instid1(VALU_DEP_2)
	v_sub_f32_e32 v98, v84, v85
	v_sub_f32_e32 v96, v85, v96
	;; [unrolled: 1-line block ×3, first 2 shown]
	s_delay_alu instid0(VALU_DEP_1) | instskip(NEXT) | instid1(VALU_DEP_3)
	v_sub_f32_e32 v84, v84, v85
	v_sub_f32_e32 v85, v96, v87
	s_delay_alu instid0(VALU_DEP_2) | instskip(SKIP_1) | instid1(VALU_DEP_2)
	v_add_f32_e32 v81, v81, v84
	v_add_f32_e32 v84, v97, v86
	;; [unrolled: 1-line block ×3, first 2 shown]
	s_delay_alu instid0(VALU_DEP_2) | instskip(NEXT) | instid1(VALU_DEP_2)
	v_sub_f32_e32 v85, v84, v97
	v_add_f32_e32 v81, v98, v81
	s_delay_alu instid0(VALU_DEP_2) | instskip(NEXT) | instid1(VALU_DEP_2)
	v_sub_f32_e32 v85, v86, v85
	v_mul_f32_e32 v81, v83, v81
	s_delay_alu instid0(VALU_DEP_1) | instskip(NEXT) | instid1(VALU_DEP_1)
	v_add_f32_e32 v81, v85, v81
	v_add_f32_e32 v83, v84, v81
	s_delay_alu instid0(VALU_DEP_1) | instskip(NEXT) | instid1(VALU_DEP_1)
	v_mul_f32_e32 v85, v83, v83
	v_fmaak_f32 v86, s2, v85, 0x3ecc95a3
	v_mul_f32_e32 v87, v83, v85
	v_cmp_gt_f32_e64 s2, 0x33800000, |v82|
	s_delay_alu instid0(VALU_DEP_3) | instskip(SKIP_2) | instid1(VALU_DEP_4)
	v_fmaak_f32 v85, v85, v86, 0x3f2aaada
	v_ldexp_f32 v86, v83, 1
	v_sub_f32_e32 v83, v83, v84
	s_or_b32 vcc_lo, vcc_lo, s2
	s_delay_alu instid0(VALU_DEP_3) | instskip(SKIP_1) | instid1(VALU_DEP_2)
	v_mul_f32_e32 v85, v87, v85
	v_mul_f32_e32 v87, 0x3f317218, v80
	v_dual_sub_f32 v81, v81, v83 :: v_dual_add_f32 v84, v86, v85
	s_delay_alu instid0(VALU_DEP_1) | instskip(NEXT) | instid1(VALU_DEP_2)
	v_ldexp_f32 v81, v81, 1
	v_sub_f32_e32 v83, v84, v86
	s_delay_alu instid0(VALU_DEP_4) | instskip(NEXT) | instid1(VALU_DEP_1)
	v_fma_f32 v86, 0x3f317218, v80, -v87
	v_dual_sub_f32 v83, v85, v83 :: v_dual_fmamk_f32 v80, v80, 0xb102e308, v86
	s_delay_alu instid0(VALU_DEP_1) | instskip(NEXT) | instid1(VALU_DEP_2)
	v_add_f32_e32 v81, v81, v83
	v_add_f32_e32 v83, v87, v80
	s_delay_alu instid0(VALU_DEP_2) | instskip(NEXT) | instid1(VALU_DEP_2)
	v_add_f32_e32 v85, v84, v81
	v_sub_f32_e32 v87, v83, v87
	s_delay_alu instid0(VALU_DEP_2) | instskip(SKIP_1) | instid1(VALU_DEP_3)
	v_add_f32_e32 v86, v83, v85
	v_sub_f32_e32 v84, v85, v84
	v_sub_f32_e32 v80, v80, v87
	s_delay_alu instid0(VALU_DEP_2) | instskip(NEXT) | instid1(VALU_DEP_1)
	v_dual_sub_f32 v96, v86, v83 :: v_dual_sub_f32 v81, v81, v84
	v_sub_f32_e32 v97, v86, v96
	s_delay_alu instid0(VALU_DEP_2) | instskip(NEXT) | instid1(VALU_DEP_2)
	v_dual_sub_f32 v84, v85, v96 :: v_dual_add_f32 v85, v80, v81
	v_sub_f32_e32 v83, v83, v97
	s_delay_alu instid0(VALU_DEP_1) | instskip(NEXT) | instid1(VALU_DEP_1)
	v_dual_add_f32 v83, v84, v83 :: v_dual_sub_f32 v84, v85, v80
	v_add_f32_e32 v83, v85, v83
	s_delay_alu instid0(VALU_DEP_2) | instskip(SKIP_1) | instid1(VALU_DEP_2)
	v_sub_f32_e32 v85, v85, v84
	v_sub_f32_e32 v81, v81, v84
	v_dual_add_f32 v87, v86, v83 :: v_dual_sub_f32 v80, v80, v85
	s_delay_alu instid0(VALU_DEP_1) | instskip(NEXT) | instid1(VALU_DEP_2)
	v_sub_f32_e32 v84, v87, v86
	v_add_f32_e32 v80, v81, v80
	s_delay_alu instid0(VALU_DEP_2) | instskip(NEXT) | instid1(VALU_DEP_1)
	v_sub_f32_e32 v81, v83, v84
	v_add_f32_e32 v80, v80, v81
	s_delay_alu instid0(VALU_DEP_1) | instskip(NEXT) | instid1(VALU_DEP_1)
	v_add_f32_e32 v80, v87, v80
	v_cndmask_b32_e32 v80, v80, v82, vcc_lo
	s_delay_alu instid0(VALU_DEP_1)
	v_add_f32_e32 v80, v71, v80
.LBB501_224:
	s_or_b32 exec_lo, exec_lo, s1
	s_delay_alu instid0(VALU_DEP_1) | instskip(SKIP_1) | instid1(VALU_DEP_2)
	v_bfe_u32 v71, v80, 16, 1
	v_cmp_o_f32_e32 vcc_lo, v80, v80
	v_add3_u32 v71, v80, v71, 0x7fff
	s_delay_alu instid0(VALU_DEP_1) | instskip(NEXT) | instid1(VALU_DEP_1)
	v_lshrrev_b32_e32 v71, 16, v71
	v_cndmask_b32_e32 v71, 0x7fc0, v71, vcc_lo
	s_delay_alu instid0(VALU_DEP_1) | instskip(NEXT) | instid1(VALU_DEP_1)
	v_lshlrev_b32_e32 v81, 16, v71
	v_max_f32_e32 v80, v81, v81
	s_delay_alu instid0(VALU_DEP_1) | instskip(SKIP_2) | instid1(VALU_DEP_3)
	v_min_f32_e32 v82, v80, v118
	v_max_f32_e32 v80, v80, v118
	v_cmp_u_f32_e32 vcc_lo, v81, v81
	v_cndmask_b32_e32 v82, v82, v81, vcc_lo
	s_delay_alu instid0(VALU_DEP_3) | instskip(NEXT) | instid1(VALU_DEP_2)
	v_cndmask_b32_e32 v80, v80, v81, vcc_lo
	v_cndmask_b32_e64 v82, v82, v113, s17
	s_delay_alu instid0(VALU_DEP_2) | instskip(NEXT) | instid1(VALU_DEP_2)
	v_cndmask_b32_e64 v80, v80, v113, s17
	v_cmp_class_f32_e64 s1, v82, 0x1f8
	s_delay_alu instid0(VALU_DEP_2) | instskip(NEXT) | instid1(VALU_DEP_2)
	v_cmp_neq_f32_e32 vcc_lo, v82, v80
	s_or_b32 s2, vcc_lo, s1
	s_delay_alu instid0(SALU_CYCLE_1)
	s_and_saveexec_b32 s1, s2
	s_cbranch_execz .LBB501_226
; %bb.225:
	v_sub_f32_e32 v81, v82, v80
	s_mov_b32 s2, 0x3e9b6dac
	s_delay_alu instid0(VALU_DEP_1) | instskip(SKIP_1) | instid1(VALU_DEP_2)
	v_mul_f32_e32 v82, 0x3fb8aa3b, v81
	v_cmp_ngt_f32_e32 vcc_lo, 0xc2ce8ed0, v81
	v_fma_f32 v83, 0x3fb8aa3b, v81, -v82
	v_rndne_f32_e32 v84, v82
	s_delay_alu instid0(VALU_DEP_1) | instskip(NEXT) | instid1(VALU_DEP_1)
	v_dual_fmamk_f32 v83, v81, 0x32a5705f, v83 :: v_dual_sub_f32 v82, v82, v84
	v_add_f32_e32 v82, v82, v83
	v_cvt_i32_f32_e32 v83, v84
	s_delay_alu instid0(VALU_DEP_2) | instskip(SKIP_2) | instid1(VALU_DEP_1)
	v_exp_f32_e32 v82, v82
	s_waitcnt_depctr 0xfff
	v_ldexp_f32 v82, v82, v83
	v_cndmask_b32_e32 v82, 0, v82, vcc_lo
	v_cmp_nlt_f32_e32 vcc_lo, 0x42b17218, v81
	s_delay_alu instid0(VALU_DEP_2) | instskip(NEXT) | instid1(VALU_DEP_1)
	v_cndmask_b32_e32 v83, 0x7f800000, v82, vcc_lo
	v_add_f32_e32 v84, 1.0, v83
	s_delay_alu instid0(VALU_DEP_1) | instskip(NEXT) | instid1(VALU_DEP_1)
	v_cvt_f64_f32_e32 v[81:82], v84
	v_frexp_exp_i32_f64_e32 v81, v[81:82]
	v_frexp_mant_f32_e32 v82, v84
	s_delay_alu instid0(VALU_DEP_1) | instskip(SKIP_1) | instid1(VALU_DEP_1)
	v_cmp_gt_f32_e32 vcc_lo, 0x3f2aaaab, v82
	v_add_f32_e32 v82, -1.0, v84
	v_sub_f32_e32 v86, v82, v84
	v_sub_f32_e32 v82, v83, v82
	v_subrev_co_ci_u32_e32 v81, vcc_lo, 0, v81, vcc_lo
	v_cmp_eq_f32_e32 vcc_lo, 0x7f800000, v83
	s_delay_alu instid0(VALU_DEP_2) | instskip(SKIP_1) | instid1(VALU_DEP_2)
	v_sub_nc_u32_e32 v85, 0, v81
	v_cvt_f32_i32_e32 v81, v81
	v_ldexp_f32 v84, v84, v85
	s_delay_alu instid0(VALU_DEP_1) | instskip(NEXT) | instid1(VALU_DEP_1)
	v_dual_add_f32 v87, 1.0, v84 :: v_dual_add_f32 v86, 1.0, v86
	v_add_f32_e32 v82, v82, v86
	s_delay_alu instid0(VALU_DEP_2) | instskip(NEXT) | instid1(VALU_DEP_2)
	v_add_f32_e32 v86, -1.0, v87
	v_ldexp_f32 v82, v82, v85
	s_delay_alu instid0(VALU_DEP_2) | instskip(NEXT) | instid1(VALU_DEP_1)
	v_dual_add_f32 v85, -1.0, v84 :: v_dual_sub_f32 v86, v84, v86
	v_add_f32_e32 v96, 1.0, v85
	s_delay_alu instid0(VALU_DEP_2) | instskip(NEXT) | instid1(VALU_DEP_2)
	v_add_f32_e32 v86, v82, v86
	v_sub_f32_e32 v84, v84, v96
	s_delay_alu instid0(VALU_DEP_2) | instskip(NEXT) | instid1(VALU_DEP_2)
	v_add_f32_e32 v96, v87, v86
	v_add_f32_e32 v82, v82, v84
	s_delay_alu instid0(VALU_DEP_2) | instskip(SKIP_1) | instid1(VALU_DEP_1)
	v_rcp_f32_e32 v84, v96
	v_sub_f32_e32 v87, v87, v96
	v_dual_add_f32 v97, v85, v82 :: v_dual_add_f32 v86, v86, v87
	s_delay_alu instid0(VALU_DEP_1) | instskip(SKIP_2) | instid1(VALU_DEP_1)
	v_sub_f32_e32 v85, v85, v97
	s_waitcnt_depctr 0xfff
	v_mul_f32_e32 v98, v97, v84
	v_dual_add_f32 v82, v82, v85 :: v_dual_mul_f32 v99, v96, v98
	s_delay_alu instid0(VALU_DEP_1) | instskip(NEXT) | instid1(VALU_DEP_1)
	v_fma_f32 v87, v98, v96, -v99
	v_fmac_f32_e32 v87, v98, v86
	s_delay_alu instid0(VALU_DEP_1) | instskip(NEXT) | instid1(VALU_DEP_1)
	v_add_f32_e32 v100, v99, v87
	v_sub_f32_e32 v101, v97, v100
	v_sub_f32_e32 v85, v100, v99
	s_delay_alu instid0(VALU_DEP_2) | instskip(NEXT) | instid1(VALU_DEP_2)
	v_sub_f32_e32 v97, v97, v101
	v_sub_f32_e32 v85, v85, v87
	s_delay_alu instid0(VALU_DEP_2) | instskip(NEXT) | instid1(VALU_DEP_1)
	v_sub_f32_e32 v97, v97, v100
	v_add_f32_e32 v82, v82, v97
	s_delay_alu instid0(VALU_DEP_1) | instskip(NEXT) | instid1(VALU_DEP_1)
	v_add_f32_e32 v82, v85, v82
	v_add_f32_e32 v85, v101, v82
	s_delay_alu instid0(VALU_DEP_1) | instskip(NEXT) | instid1(VALU_DEP_1)
	v_mul_f32_e32 v87, v84, v85
	v_dual_sub_f32 v100, v101, v85 :: v_dual_mul_f32 v97, v96, v87
	s_delay_alu instid0(VALU_DEP_1) | instskip(NEXT) | instid1(VALU_DEP_2)
	v_add_f32_e32 v82, v82, v100
	v_fma_f32 v96, v87, v96, -v97
	s_delay_alu instid0(VALU_DEP_1) | instskip(NEXT) | instid1(VALU_DEP_1)
	v_fmac_f32_e32 v96, v87, v86
	v_add_f32_e32 v86, v97, v96
	s_delay_alu instid0(VALU_DEP_1) | instskip(SKIP_1) | instid1(VALU_DEP_2)
	v_sub_f32_e32 v99, v85, v86
	v_sub_f32_e32 v97, v86, v97
	;; [unrolled: 1-line block ×3, first 2 shown]
	s_delay_alu instid0(VALU_DEP_1) | instskip(NEXT) | instid1(VALU_DEP_3)
	v_sub_f32_e32 v85, v85, v86
	v_sub_f32_e32 v86, v97, v96
	s_delay_alu instid0(VALU_DEP_2) | instskip(SKIP_1) | instid1(VALU_DEP_2)
	v_add_f32_e32 v82, v82, v85
	v_add_f32_e32 v85, v98, v87
	;; [unrolled: 1-line block ×3, first 2 shown]
	s_delay_alu instid0(VALU_DEP_2) | instskip(NEXT) | instid1(VALU_DEP_2)
	v_sub_f32_e32 v86, v85, v98
	v_add_f32_e32 v82, v99, v82
	s_delay_alu instid0(VALU_DEP_2) | instskip(NEXT) | instid1(VALU_DEP_2)
	v_sub_f32_e32 v86, v87, v86
	v_mul_f32_e32 v82, v84, v82
	s_delay_alu instid0(VALU_DEP_1) | instskip(NEXT) | instid1(VALU_DEP_1)
	v_add_f32_e32 v82, v86, v82
	v_add_f32_e32 v84, v85, v82
	s_delay_alu instid0(VALU_DEP_1) | instskip(NEXT) | instid1(VALU_DEP_1)
	v_mul_f32_e32 v86, v84, v84
	v_fmaak_f32 v87, s2, v86, 0x3ecc95a3
	v_mul_f32_e32 v96, v84, v86
	v_cmp_gt_f32_e64 s2, 0x33800000, |v83|
	s_delay_alu instid0(VALU_DEP_3) | instskip(SKIP_2) | instid1(VALU_DEP_4)
	v_fmaak_f32 v86, v86, v87, 0x3f2aaada
	v_ldexp_f32 v87, v84, 1
	v_sub_f32_e32 v84, v84, v85
	s_or_b32 vcc_lo, vcc_lo, s2
	s_delay_alu instid0(VALU_DEP_3) | instskip(SKIP_1) | instid1(VALU_DEP_2)
	v_mul_f32_e32 v86, v96, v86
	v_mul_f32_e32 v96, 0x3f317218, v81
	v_dual_sub_f32 v82, v82, v84 :: v_dual_add_f32 v85, v87, v86
	s_delay_alu instid0(VALU_DEP_1) | instskip(NEXT) | instid1(VALU_DEP_2)
	v_ldexp_f32 v82, v82, 1
	v_sub_f32_e32 v84, v85, v87
	s_delay_alu instid0(VALU_DEP_4) | instskip(NEXT) | instid1(VALU_DEP_1)
	v_fma_f32 v87, 0x3f317218, v81, -v96
	v_dual_sub_f32 v84, v86, v84 :: v_dual_fmamk_f32 v81, v81, 0xb102e308, v87
	s_delay_alu instid0(VALU_DEP_1) | instskip(NEXT) | instid1(VALU_DEP_2)
	v_add_f32_e32 v82, v82, v84
	v_add_f32_e32 v84, v96, v81
	s_delay_alu instid0(VALU_DEP_2) | instskip(NEXT) | instid1(VALU_DEP_2)
	v_add_f32_e32 v86, v85, v82
	v_sub_f32_e32 v96, v84, v96
	s_delay_alu instid0(VALU_DEP_2) | instskip(SKIP_1) | instid1(VALU_DEP_3)
	v_add_f32_e32 v87, v84, v86
	v_sub_f32_e32 v85, v86, v85
	v_sub_f32_e32 v81, v81, v96
	s_delay_alu instid0(VALU_DEP_2) | instskip(NEXT) | instid1(VALU_DEP_1)
	v_dual_sub_f32 v97, v87, v84 :: v_dual_sub_f32 v82, v82, v85
	v_sub_f32_e32 v98, v87, v97
	s_delay_alu instid0(VALU_DEP_2) | instskip(NEXT) | instid1(VALU_DEP_2)
	v_dual_sub_f32 v85, v86, v97 :: v_dual_add_f32 v86, v81, v82
	v_sub_f32_e32 v84, v84, v98
	s_delay_alu instid0(VALU_DEP_1) | instskip(NEXT) | instid1(VALU_DEP_1)
	v_dual_add_f32 v84, v85, v84 :: v_dual_sub_f32 v85, v86, v81
	v_add_f32_e32 v84, v86, v84
	s_delay_alu instid0(VALU_DEP_2) | instskip(SKIP_1) | instid1(VALU_DEP_2)
	v_sub_f32_e32 v86, v86, v85
	v_sub_f32_e32 v82, v82, v85
	v_dual_add_f32 v96, v87, v84 :: v_dual_sub_f32 v81, v81, v86
	s_delay_alu instid0(VALU_DEP_1) | instskip(NEXT) | instid1(VALU_DEP_2)
	v_sub_f32_e32 v85, v96, v87
	v_add_f32_e32 v81, v82, v81
	s_delay_alu instid0(VALU_DEP_2) | instskip(NEXT) | instid1(VALU_DEP_1)
	v_sub_f32_e32 v82, v84, v85
	v_add_f32_e32 v81, v81, v82
	s_delay_alu instid0(VALU_DEP_1) | instskip(NEXT) | instid1(VALU_DEP_1)
	v_add_f32_e32 v81, v96, v81
	v_cndmask_b32_e32 v81, v81, v83, vcc_lo
	s_delay_alu instid0(VALU_DEP_1)
	v_add_f32_e32 v81, v80, v81
.LBB501_226:
	s_or_b32 exec_lo, exec_lo, s1
	s_delay_alu instid0(VALU_DEP_1) | instskip(SKIP_1) | instid1(VALU_DEP_2)
	v_bfe_u32 v80, v81, 16, 1
	v_cmp_o_f32_e32 vcc_lo, v81, v81
	v_add3_u32 v80, v81, v80, 0x7fff
	s_delay_alu instid0(VALU_DEP_1) | instskip(NEXT) | instid1(VALU_DEP_1)
	v_lshrrev_b32_e32 v80, 16, v80
	v_cndmask_b32_e32 v80, 0x7fc0, v80, vcc_lo
	s_delay_alu instid0(VALU_DEP_1) | instskip(NEXT) | instid1(VALU_DEP_1)
	v_lshlrev_b32_e32 v82, 16, v80
	v_max_f32_e32 v81, v82, v82
	v_cmp_u_f32_e32 vcc_lo, v82, v82
	s_delay_alu instid0(VALU_DEP_2) | instskip(SKIP_1) | instid1(VALU_DEP_2)
	v_min_f32_e32 v83, v81, v128
	v_max_f32_e32 v81, v81, v128
	v_cndmask_b32_e32 v83, v83, v82, vcc_lo
	s_delay_alu instid0(VALU_DEP_2) | instskip(NEXT) | instid1(VALU_DEP_2)
	v_cndmask_b32_e32 v81, v81, v82, vcc_lo
	v_cndmask_b32_e64 v83, v83, v115, s18
	s_delay_alu instid0(VALU_DEP_2) | instskip(NEXT) | instid1(VALU_DEP_2)
	v_cndmask_b32_e64 v81, v81, v115, s18
	v_cmp_class_f32_e64 s1, v83, 0x1f8
	s_delay_alu instid0(VALU_DEP_2) | instskip(NEXT) | instid1(VALU_DEP_2)
	v_cmp_neq_f32_e32 vcc_lo, v83, v81
	s_or_b32 s2, vcc_lo, s1
	s_delay_alu instid0(SALU_CYCLE_1)
	s_and_saveexec_b32 s1, s2
	s_cbranch_execz .LBB501_228
; %bb.227:
	v_sub_f32_e32 v82, v83, v81
	s_mov_b32 s2, 0x3e9b6dac
	s_delay_alu instid0(VALU_DEP_1) | instskip(SKIP_1) | instid1(VALU_DEP_2)
	v_mul_f32_e32 v83, 0x3fb8aa3b, v82
	v_cmp_ngt_f32_e32 vcc_lo, 0xc2ce8ed0, v82
	v_fma_f32 v84, 0x3fb8aa3b, v82, -v83
	v_rndne_f32_e32 v85, v83
	s_delay_alu instid0(VALU_DEP_1) | instskip(NEXT) | instid1(VALU_DEP_1)
	v_dual_fmamk_f32 v84, v82, 0x32a5705f, v84 :: v_dual_sub_f32 v83, v83, v85
	v_add_f32_e32 v83, v83, v84
	v_cvt_i32_f32_e32 v84, v85
	s_delay_alu instid0(VALU_DEP_2) | instskip(SKIP_2) | instid1(VALU_DEP_1)
	v_exp_f32_e32 v83, v83
	s_waitcnt_depctr 0xfff
	v_ldexp_f32 v83, v83, v84
	v_cndmask_b32_e32 v83, 0, v83, vcc_lo
	v_cmp_nlt_f32_e32 vcc_lo, 0x42b17218, v82
	s_delay_alu instid0(VALU_DEP_2) | instskip(NEXT) | instid1(VALU_DEP_1)
	v_cndmask_b32_e32 v84, 0x7f800000, v83, vcc_lo
	v_add_f32_e32 v85, 1.0, v84
	s_delay_alu instid0(VALU_DEP_1) | instskip(NEXT) | instid1(VALU_DEP_1)
	v_cvt_f64_f32_e32 v[82:83], v85
	v_frexp_exp_i32_f64_e32 v82, v[82:83]
	v_frexp_mant_f32_e32 v83, v85
	s_delay_alu instid0(VALU_DEP_1) | instskip(SKIP_1) | instid1(VALU_DEP_1)
	v_cmp_gt_f32_e32 vcc_lo, 0x3f2aaaab, v83
	v_add_f32_e32 v83, -1.0, v85
	v_sub_f32_e32 v87, v83, v85
	v_sub_f32_e32 v83, v84, v83
	v_subrev_co_ci_u32_e32 v82, vcc_lo, 0, v82, vcc_lo
	v_cmp_eq_f32_e32 vcc_lo, 0x7f800000, v84
	s_delay_alu instid0(VALU_DEP_2) | instskip(SKIP_1) | instid1(VALU_DEP_2)
	v_sub_nc_u32_e32 v86, 0, v82
	v_cvt_f32_i32_e32 v82, v82
	v_ldexp_f32 v85, v85, v86
	s_delay_alu instid0(VALU_DEP_1) | instskip(NEXT) | instid1(VALU_DEP_1)
	v_dual_add_f32 v96, 1.0, v85 :: v_dual_add_f32 v87, 1.0, v87
	v_add_f32_e32 v83, v83, v87
	s_delay_alu instid0(VALU_DEP_2) | instskip(NEXT) | instid1(VALU_DEP_2)
	v_add_f32_e32 v87, -1.0, v96
	v_ldexp_f32 v83, v83, v86
	s_delay_alu instid0(VALU_DEP_2) | instskip(NEXT) | instid1(VALU_DEP_1)
	v_dual_add_f32 v86, -1.0, v85 :: v_dual_sub_f32 v87, v85, v87
	v_add_f32_e32 v97, 1.0, v86
	s_delay_alu instid0(VALU_DEP_2) | instskip(NEXT) | instid1(VALU_DEP_2)
	v_add_f32_e32 v87, v83, v87
	v_sub_f32_e32 v85, v85, v97
	s_delay_alu instid0(VALU_DEP_2) | instskip(NEXT) | instid1(VALU_DEP_2)
	v_add_f32_e32 v97, v96, v87
	v_add_f32_e32 v83, v83, v85
	s_delay_alu instid0(VALU_DEP_2) | instskip(SKIP_1) | instid1(VALU_DEP_1)
	v_rcp_f32_e32 v85, v97
	v_sub_f32_e32 v96, v96, v97
	v_dual_add_f32 v98, v86, v83 :: v_dual_add_f32 v87, v87, v96
	s_delay_alu instid0(VALU_DEP_1) | instskip(SKIP_2) | instid1(VALU_DEP_1)
	v_sub_f32_e32 v86, v86, v98
	s_waitcnt_depctr 0xfff
	v_mul_f32_e32 v99, v98, v85
	v_dual_add_f32 v83, v83, v86 :: v_dual_mul_f32 v100, v97, v99
	s_delay_alu instid0(VALU_DEP_1) | instskip(NEXT) | instid1(VALU_DEP_1)
	v_fma_f32 v96, v99, v97, -v100
	v_fmac_f32_e32 v96, v99, v87
	s_delay_alu instid0(VALU_DEP_1) | instskip(NEXT) | instid1(VALU_DEP_1)
	v_add_f32_e32 v101, v100, v96
	v_sub_f32_e32 v102, v98, v101
	v_sub_f32_e32 v86, v101, v100
	s_delay_alu instid0(VALU_DEP_2) | instskip(NEXT) | instid1(VALU_DEP_2)
	v_sub_f32_e32 v98, v98, v102
	v_sub_f32_e32 v86, v86, v96
	s_delay_alu instid0(VALU_DEP_2) | instskip(NEXT) | instid1(VALU_DEP_1)
	v_sub_f32_e32 v98, v98, v101
	v_add_f32_e32 v83, v83, v98
	s_delay_alu instid0(VALU_DEP_1) | instskip(NEXT) | instid1(VALU_DEP_1)
	v_add_f32_e32 v83, v86, v83
	v_add_f32_e32 v86, v102, v83
	s_delay_alu instid0(VALU_DEP_1) | instskip(NEXT) | instid1(VALU_DEP_1)
	v_mul_f32_e32 v96, v85, v86
	v_dual_sub_f32 v101, v102, v86 :: v_dual_mul_f32 v98, v97, v96
	s_delay_alu instid0(VALU_DEP_1) | instskip(NEXT) | instid1(VALU_DEP_2)
	v_add_f32_e32 v83, v83, v101
	v_fma_f32 v97, v96, v97, -v98
	s_delay_alu instid0(VALU_DEP_1) | instskip(NEXT) | instid1(VALU_DEP_1)
	v_fmac_f32_e32 v97, v96, v87
	v_add_f32_e32 v87, v98, v97
	s_delay_alu instid0(VALU_DEP_1) | instskip(SKIP_1) | instid1(VALU_DEP_2)
	v_sub_f32_e32 v100, v86, v87
	v_sub_f32_e32 v98, v87, v98
	;; [unrolled: 1-line block ×3, first 2 shown]
	s_delay_alu instid0(VALU_DEP_1) | instskip(NEXT) | instid1(VALU_DEP_3)
	v_sub_f32_e32 v86, v86, v87
	v_sub_f32_e32 v87, v98, v97
	s_delay_alu instid0(VALU_DEP_2) | instskip(SKIP_1) | instid1(VALU_DEP_2)
	v_add_f32_e32 v83, v83, v86
	v_add_f32_e32 v86, v99, v96
	;; [unrolled: 1-line block ×3, first 2 shown]
	s_delay_alu instid0(VALU_DEP_2) | instskip(NEXT) | instid1(VALU_DEP_2)
	v_sub_f32_e32 v87, v86, v99
	v_add_f32_e32 v83, v100, v83
	s_delay_alu instid0(VALU_DEP_2) | instskip(NEXT) | instid1(VALU_DEP_2)
	v_sub_f32_e32 v87, v96, v87
	v_mul_f32_e32 v83, v85, v83
	s_delay_alu instid0(VALU_DEP_1) | instskip(NEXT) | instid1(VALU_DEP_1)
	v_add_f32_e32 v83, v87, v83
	v_add_f32_e32 v85, v86, v83
	s_delay_alu instid0(VALU_DEP_1) | instskip(NEXT) | instid1(VALU_DEP_1)
	v_mul_f32_e32 v87, v85, v85
	v_fmaak_f32 v96, s2, v87, 0x3ecc95a3
	v_mul_f32_e32 v97, v85, v87
	v_cmp_gt_f32_e64 s2, 0x33800000, |v84|
	s_delay_alu instid0(VALU_DEP_3) | instskip(SKIP_2) | instid1(VALU_DEP_4)
	v_fmaak_f32 v87, v87, v96, 0x3f2aaada
	v_ldexp_f32 v96, v85, 1
	v_sub_f32_e32 v85, v85, v86
	s_or_b32 vcc_lo, vcc_lo, s2
	s_delay_alu instid0(VALU_DEP_3) | instskip(SKIP_1) | instid1(VALU_DEP_2)
	v_mul_f32_e32 v87, v97, v87
	v_mul_f32_e32 v97, 0x3f317218, v82
	v_dual_sub_f32 v83, v83, v85 :: v_dual_add_f32 v86, v96, v87
	s_delay_alu instid0(VALU_DEP_1) | instskip(NEXT) | instid1(VALU_DEP_2)
	v_ldexp_f32 v83, v83, 1
	v_sub_f32_e32 v85, v86, v96
	s_delay_alu instid0(VALU_DEP_4) | instskip(NEXT) | instid1(VALU_DEP_1)
	v_fma_f32 v96, 0x3f317218, v82, -v97
	v_dual_sub_f32 v85, v87, v85 :: v_dual_fmamk_f32 v82, v82, 0xb102e308, v96
	s_delay_alu instid0(VALU_DEP_1) | instskip(NEXT) | instid1(VALU_DEP_2)
	v_add_f32_e32 v83, v83, v85
	v_add_f32_e32 v85, v97, v82
	s_delay_alu instid0(VALU_DEP_2) | instskip(NEXT) | instid1(VALU_DEP_2)
	v_add_f32_e32 v87, v86, v83
	v_sub_f32_e32 v97, v85, v97
	s_delay_alu instid0(VALU_DEP_2) | instskip(SKIP_1) | instid1(VALU_DEP_3)
	v_add_f32_e32 v96, v85, v87
	v_sub_f32_e32 v86, v87, v86
	v_sub_f32_e32 v82, v82, v97
	s_delay_alu instid0(VALU_DEP_2) | instskip(NEXT) | instid1(VALU_DEP_1)
	v_dual_sub_f32 v98, v96, v85 :: v_dual_sub_f32 v83, v83, v86
	v_sub_f32_e32 v99, v96, v98
	s_delay_alu instid0(VALU_DEP_2) | instskip(NEXT) | instid1(VALU_DEP_2)
	v_dual_sub_f32 v86, v87, v98 :: v_dual_add_f32 v87, v82, v83
	v_sub_f32_e32 v85, v85, v99
	s_delay_alu instid0(VALU_DEP_1) | instskip(NEXT) | instid1(VALU_DEP_1)
	v_dual_add_f32 v85, v86, v85 :: v_dual_sub_f32 v86, v87, v82
	v_add_f32_e32 v85, v87, v85
	s_delay_alu instid0(VALU_DEP_2) | instskip(SKIP_1) | instid1(VALU_DEP_2)
	v_sub_f32_e32 v87, v87, v86
	v_sub_f32_e32 v83, v83, v86
	v_dual_add_f32 v97, v96, v85 :: v_dual_sub_f32 v82, v82, v87
	s_delay_alu instid0(VALU_DEP_1) | instskip(NEXT) | instid1(VALU_DEP_2)
	v_sub_f32_e32 v86, v97, v96
	v_add_f32_e32 v82, v83, v82
	s_delay_alu instid0(VALU_DEP_2) | instskip(NEXT) | instid1(VALU_DEP_1)
	v_sub_f32_e32 v83, v85, v86
	v_add_f32_e32 v82, v82, v83
	s_delay_alu instid0(VALU_DEP_1) | instskip(NEXT) | instid1(VALU_DEP_1)
	v_add_f32_e32 v82, v97, v82
	v_cndmask_b32_e32 v82, v82, v84, vcc_lo
	s_delay_alu instid0(VALU_DEP_1)
	v_add_f32_e32 v82, v81, v82
.LBB501_228:
	s_or_b32 exec_lo, exec_lo, s1
	s_delay_alu instid0(VALU_DEP_1) | instskip(SKIP_1) | instid1(VALU_DEP_2)
	v_bfe_u32 v81, v82, 16, 1
	v_cmp_o_f32_e32 vcc_lo, v82, v82
	v_add3_u32 v81, v82, v81, 0x7fff
	s_delay_alu instid0(VALU_DEP_1) | instskip(NEXT) | instid1(VALU_DEP_1)
	v_lshrrev_b32_e32 v81, 16, v81
	v_cndmask_b32_e32 v81, 0x7fc0, v81, vcc_lo
	s_delay_alu instid0(VALU_DEP_1) | instskip(NEXT) | instid1(VALU_DEP_1)
	v_lshlrev_b32_e32 v83, 16, v81
	v_max_f32_e32 v82, v83, v83
	s_delay_alu instid0(VALU_DEP_1) | instskip(SKIP_2) | instid1(VALU_DEP_3)
	v_min_f32_e32 v84, v82, v130
	v_max_f32_e32 v82, v82, v130
	v_cmp_u_f32_e32 vcc_lo, v83, v83
	v_cndmask_b32_e32 v84, v84, v83, vcc_lo
	s_delay_alu instid0(VALU_DEP_3) | instskip(NEXT) | instid1(VALU_DEP_2)
	v_cndmask_b32_e32 v82, v82, v83, vcc_lo
	v_cndmask_b32_e64 v84, v84, v117, s19
	s_delay_alu instid0(VALU_DEP_2) | instskip(NEXT) | instid1(VALU_DEP_2)
	v_cndmask_b32_e64 v82, v82, v117, s19
	v_cmp_class_f32_e64 s1, v84, 0x1f8
	s_delay_alu instid0(VALU_DEP_2) | instskip(NEXT) | instid1(VALU_DEP_2)
	v_cmp_neq_f32_e32 vcc_lo, v84, v82
	s_or_b32 s2, vcc_lo, s1
	s_delay_alu instid0(SALU_CYCLE_1)
	s_and_saveexec_b32 s1, s2
	s_cbranch_execz .LBB501_230
; %bb.229:
	v_sub_f32_e32 v83, v84, v82
	s_mov_b32 s2, 0x3e9b6dac
	s_delay_alu instid0(VALU_DEP_1) | instskip(SKIP_1) | instid1(VALU_DEP_2)
	v_mul_f32_e32 v84, 0x3fb8aa3b, v83
	v_cmp_ngt_f32_e32 vcc_lo, 0xc2ce8ed0, v83
	v_fma_f32 v85, 0x3fb8aa3b, v83, -v84
	v_rndne_f32_e32 v86, v84
	s_delay_alu instid0(VALU_DEP_1) | instskip(NEXT) | instid1(VALU_DEP_1)
	v_dual_fmamk_f32 v85, v83, 0x32a5705f, v85 :: v_dual_sub_f32 v84, v84, v86
	v_add_f32_e32 v84, v84, v85
	v_cvt_i32_f32_e32 v85, v86
	s_delay_alu instid0(VALU_DEP_2) | instskip(SKIP_2) | instid1(VALU_DEP_1)
	v_exp_f32_e32 v84, v84
	s_waitcnt_depctr 0xfff
	v_ldexp_f32 v84, v84, v85
	v_cndmask_b32_e32 v84, 0, v84, vcc_lo
	v_cmp_nlt_f32_e32 vcc_lo, 0x42b17218, v83
	s_delay_alu instid0(VALU_DEP_2) | instskip(NEXT) | instid1(VALU_DEP_1)
	v_cndmask_b32_e32 v85, 0x7f800000, v84, vcc_lo
	v_add_f32_e32 v86, 1.0, v85
	s_delay_alu instid0(VALU_DEP_1) | instskip(NEXT) | instid1(VALU_DEP_1)
	v_cvt_f64_f32_e32 v[83:84], v86
	v_frexp_exp_i32_f64_e32 v83, v[83:84]
	v_frexp_mant_f32_e32 v84, v86
	s_delay_alu instid0(VALU_DEP_1) | instskip(SKIP_1) | instid1(VALU_DEP_1)
	v_cmp_gt_f32_e32 vcc_lo, 0x3f2aaaab, v84
	v_add_f32_e32 v84, -1.0, v86
	v_sub_f32_e32 v96, v84, v86
	v_sub_f32_e32 v84, v85, v84
	v_subrev_co_ci_u32_e32 v83, vcc_lo, 0, v83, vcc_lo
	v_cmp_eq_f32_e32 vcc_lo, 0x7f800000, v85
	s_delay_alu instid0(VALU_DEP_2) | instskip(SKIP_1) | instid1(VALU_DEP_2)
	v_sub_nc_u32_e32 v87, 0, v83
	v_cvt_f32_i32_e32 v83, v83
	v_ldexp_f32 v86, v86, v87
	s_delay_alu instid0(VALU_DEP_1) | instskip(NEXT) | instid1(VALU_DEP_1)
	v_dual_add_f32 v97, 1.0, v86 :: v_dual_add_f32 v96, 1.0, v96
	v_add_f32_e32 v84, v84, v96
	s_delay_alu instid0(VALU_DEP_2) | instskip(NEXT) | instid1(VALU_DEP_2)
	v_add_f32_e32 v96, -1.0, v97
	v_ldexp_f32 v84, v84, v87
	s_delay_alu instid0(VALU_DEP_2) | instskip(NEXT) | instid1(VALU_DEP_1)
	v_dual_add_f32 v87, -1.0, v86 :: v_dual_sub_f32 v96, v86, v96
	v_add_f32_e32 v98, 1.0, v87
	s_delay_alu instid0(VALU_DEP_2) | instskip(NEXT) | instid1(VALU_DEP_2)
	v_add_f32_e32 v96, v84, v96
	v_sub_f32_e32 v86, v86, v98
	s_delay_alu instid0(VALU_DEP_2) | instskip(NEXT) | instid1(VALU_DEP_2)
	v_add_f32_e32 v98, v97, v96
	v_add_f32_e32 v84, v84, v86
	s_delay_alu instid0(VALU_DEP_2) | instskip(SKIP_1) | instid1(VALU_DEP_1)
	v_rcp_f32_e32 v86, v98
	v_sub_f32_e32 v97, v97, v98
	v_dual_add_f32 v99, v87, v84 :: v_dual_add_f32 v96, v96, v97
	s_delay_alu instid0(VALU_DEP_1) | instskip(SKIP_2) | instid1(VALU_DEP_1)
	v_sub_f32_e32 v87, v87, v99
	s_waitcnt_depctr 0xfff
	v_mul_f32_e32 v100, v99, v86
	v_dual_add_f32 v84, v84, v87 :: v_dual_mul_f32 v101, v98, v100
	s_delay_alu instid0(VALU_DEP_1) | instskip(NEXT) | instid1(VALU_DEP_1)
	v_fma_f32 v97, v100, v98, -v101
	v_fmac_f32_e32 v97, v100, v96
	s_delay_alu instid0(VALU_DEP_1) | instskip(NEXT) | instid1(VALU_DEP_1)
	v_add_f32_e32 v102, v101, v97
	v_sub_f32_e32 v103, v99, v102
	v_sub_f32_e32 v87, v102, v101
	s_delay_alu instid0(VALU_DEP_2) | instskip(NEXT) | instid1(VALU_DEP_2)
	v_sub_f32_e32 v99, v99, v103
	v_sub_f32_e32 v87, v87, v97
	s_delay_alu instid0(VALU_DEP_2) | instskip(NEXT) | instid1(VALU_DEP_1)
	v_sub_f32_e32 v99, v99, v102
	v_add_f32_e32 v84, v84, v99
	s_delay_alu instid0(VALU_DEP_1) | instskip(NEXT) | instid1(VALU_DEP_1)
	v_add_f32_e32 v84, v87, v84
	v_add_f32_e32 v87, v103, v84
	s_delay_alu instid0(VALU_DEP_1) | instskip(NEXT) | instid1(VALU_DEP_1)
	v_mul_f32_e32 v97, v86, v87
	v_dual_sub_f32 v102, v103, v87 :: v_dual_mul_f32 v99, v98, v97
	s_delay_alu instid0(VALU_DEP_1) | instskip(NEXT) | instid1(VALU_DEP_2)
	v_add_f32_e32 v84, v84, v102
	v_fma_f32 v98, v97, v98, -v99
	s_delay_alu instid0(VALU_DEP_1) | instskip(NEXT) | instid1(VALU_DEP_1)
	v_fmac_f32_e32 v98, v97, v96
	v_add_f32_e32 v96, v99, v98
	s_delay_alu instid0(VALU_DEP_1) | instskip(SKIP_1) | instid1(VALU_DEP_2)
	v_sub_f32_e32 v101, v87, v96
	v_sub_f32_e32 v99, v96, v99
	;; [unrolled: 1-line block ×3, first 2 shown]
	s_delay_alu instid0(VALU_DEP_1) | instskip(NEXT) | instid1(VALU_DEP_3)
	v_sub_f32_e32 v87, v87, v96
	v_sub_f32_e32 v96, v99, v98
	s_delay_alu instid0(VALU_DEP_2) | instskip(SKIP_1) | instid1(VALU_DEP_2)
	v_add_f32_e32 v84, v84, v87
	v_add_f32_e32 v87, v100, v97
	;; [unrolled: 1-line block ×3, first 2 shown]
	s_delay_alu instid0(VALU_DEP_2) | instskip(NEXT) | instid1(VALU_DEP_2)
	v_sub_f32_e32 v96, v87, v100
	v_add_f32_e32 v84, v101, v84
	s_delay_alu instid0(VALU_DEP_2) | instskip(NEXT) | instid1(VALU_DEP_2)
	v_sub_f32_e32 v96, v97, v96
	v_mul_f32_e32 v84, v86, v84
	s_delay_alu instid0(VALU_DEP_1) | instskip(NEXT) | instid1(VALU_DEP_1)
	v_add_f32_e32 v84, v96, v84
	v_add_f32_e32 v86, v87, v84
	s_delay_alu instid0(VALU_DEP_1) | instskip(NEXT) | instid1(VALU_DEP_1)
	v_mul_f32_e32 v96, v86, v86
	v_fmaak_f32 v97, s2, v96, 0x3ecc95a3
	v_mul_f32_e32 v98, v86, v96
	v_cmp_gt_f32_e64 s2, 0x33800000, |v85|
	s_delay_alu instid0(VALU_DEP_3) | instskip(SKIP_2) | instid1(VALU_DEP_4)
	v_fmaak_f32 v96, v96, v97, 0x3f2aaada
	v_ldexp_f32 v97, v86, 1
	v_sub_f32_e32 v86, v86, v87
	s_or_b32 vcc_lo, vcc_lo, s2
	s_delay_alu instid0(VALU_DEP_3) | instskip(SKIP_1) | instid1(VALU_DEP_2)
	v_mul_f32_e32 v96, v98, v96
	v_mul_f32_e32 v98, 0x3f317218, v83
	v_dual_sub_f32 v84, v84, v86 :: v_dual_add_f32 v87, v97, v96
	s_delay_alu instid0(VALU_DEP_1) | instskip(NEXT) | instid1(VALU_DEP_2)
	v_ldexp_f32 v84, v84, 1
	v_sub_f32_e32 v86, v87, v97
	s_delay_alu instid0(VALU_DEP_4) | instskip(NEXT) | instid1(VALU_DEP_1)
	v_fma_f32 v97, 0x3f317218, v83, -v98
	v_dual_sub_f32 v86, v96, v86 :: v_dual_fmamk_f32 v83, v83, 0xb102e308, v97
	s_delay_alu instid0(VALU_DEP_1) | instskip(NEXT) | instid1(VALU_DEP_2)
	v_add_f32_e32 v84, v84, v86
	v_add_f32_e32 v86, v98, v83
	s_delay_alu instid0(VALU_DEP_2) | instskip(NEXT) | instid1(VALU_DEP_2)
	v_add_f32_e32 v96, v87, v84
	v_sub_f32_e32 v98, v86, v98
	s_delay_alu instid0(VALU_DEP_2) | instskip(SKIP_1) | instid1(VALU_DEP_3)
	v_add_f32_e32 v97, v86, v96
	v_sub_f32_e32 v87, v96, v87
	v_sub_f32_e32 v83, v83, v98
	s_delay_alu instid0(VALU_DEP_2) | instskip(NEXT) | instid1(VALU_DEP_1)
	v_dual_sub_f32 v99, v97, v86 :: v_dual_sub_f32 v84, v84, v87
	v_sub_f32_e32 v100, v97, v99
	s_delay_alu instid0(VALU_DEP_2) | instskip(NEXT) | instid1(VALU_DEP_2)
	v_dual_sub_f32 v87, v96, v99 :: v_dual_add_f32 v96, v83, v84
	v_sub_f32_e32 v86, v86, v100
	s_delay_alu instid0(VALU_DEP_1) | instskip(NEXT) | instid1(VALU_DEP_1)
	v_dual_add_f32 v86, v87, v86 :: v_dual_sub_f32 v87, v96, v83
	v_add_f32_e32 v86, v96, v86
	s_delay_alu instid0(VALU_DEP_2) | instskip(SKIP_1) | instid1(VALU_DEP_2)
	v_sub_f32_e32 v96, v96, v87
	v_sub_f32_e32 v84, v84, v87
	v_dual_add_f32 v98, v97, v86 :: v_dual_sub_f32 v83, v83, v96
	s_delay_alu instid0(VALU_DEP_1) | instskip(NEXT) | instid1(VALU_DEP_2)
	v_sub_f32_e32 v87, v98, v97
	v_add_f32_e32 v83, v84, v83
	s_delay_alu instid0(VALU_DEP_2) | instskip(NEXT) | instid1(VALU_DEP_1)
	v_sub_f32_e32 v84, v86, v87
	v_add_f32_e32 v83, v83, v84
	s_delay_alu instid0(VALU_DEP_1) | instskip(NEXT) | instid1(VALU_DEP_1)
	v_add_f32_e32 v83, v98, v83
	v_cndmask_b32_e32 v83, v83, v85, vcc_lo
	s_delay_alu instid0(VALU_DEP_1)
	v_add_f32_e32 v83, v82, v83
.LBB501_230:
	s_or_b32 exec_lo, exec_lo, s1
	s_delay_alu instid0(VALU_DEP_1) | instskip(SKIP_1) | instid1(VALU_DEP_2)
	v_bfe_u32 v82, v83, 16, 1
	v_cmp_o_f32_e32 vcc_lo, v83, v83
	v_add3_u32 v82, v83, v82, 0x7fff
	s_delay_alu instid0(VALU_DEP_1) | instskip(NEXT) | instid1(VALU_DEP_1)
	v_lshrrev_b32_e32 v82, 16, v82
	v_cndmask_b32_e32 v82, 0x7fc0, v82, vcc_lo
	s_delay_alu instid0(VALU_DEP_1) | instskip(NEXT) | instid1(VALU_DEP_1)
	v_lshlrev_b32_e32 v84, 16, v82
	v_max_f32_e32 v83, v84, v84
	s_delay_alu instid0(VALU_DEP_1) | instskip(SKIP_2) | instid1(VALU_DEP_3)
	v_min_f32_e32 v85, v83, v132
	v_max_f32_e32 v83, v83, v132
	v_cmp_u_f32_e32 vcc_lo, v84, v84
	v_cndmask_b32_e32 v85, v85, v84, vcc_lo
	s_delay_alu instid0(VALU_DEP_3) | instskip(NEXT) | instid1(VALU_DEP_2)
	v_cndmask_b32_e32 v83, v83, v84, vcc_lo
	v_cndmask_b32_e64 v85, v85, v119, s20
	s_delay_alu instid0(VALU_DEP_2) | instskip(NEXT) | instid1(VALU_DEP_2)
	v_cndmask_b32_e64 v83, v83, v119, s20
	v_cmp_class_f32_e64 s1, v85, 0x1f8
	s_delay_alu instid0(VALU_DEP_2) | instskip(NEXT) | instid1(VALU_DEP_2)
	v_cmp_neq_f32_e32 vcc_lo, v85, v83
	s_or_b32 s2, vcc_lo, s1
	s_delay_alu instid0(SALU_CYCLE_1)
	s_and_saveexec_b32 s1, s2
	s_cbranch_execz .LBB501_232
; %bb.231:
	v_sub_f32_e32 v84, v85, v83
	s_mov_b32 s2, 0x3e9b6dac
	s_delay_alu instid0(VALU_DEP_1) | instskip(SKIP_1) | instid1(VALU_DEP_2)
	v_mul_f32_e32 v85, 0x3fb8aa3b, v84
	v_cmp_ngt_f32_e32 vcc_lo, 0xc2ce8ed0, v84
	v_fma_f32 v86, 0x3fb8aa3b, v84, -v85
	v_rndne_f32_e32 v87, v85
	s_delay_alu instid0(VALU_DEP_1) | instskip(NEXT) | instid1(VALU_DEP_1)
	v_dual_fmamk_f32 v86, v84, 0x32a5705f, v86 :: v_dual_sub_f32 v85, v85, v87
	v_add_f32_e32 v85, v85, v86
	v_cvt_i32_f32_e32 v86, v87
	s_delay_alu instid0(VALU_DEP_2) | instskip(SKIP_2) | instid1(VALU_DEP_1)
	v_exp_f32_e32 v85, v85
	s_waitcnt_depctr 0xfff
	v_ldexp_f32 v85, v85, v86
	v_cndmask_b32_e32 v85, 0, v85, vcc_lo
	v_cmp_nlt_f32_e32 vcc_lo, 0x42b17218, v84
	s_delay_alu instid0(VALU_DEP_2) | instskip(NEXT) | instid1(VALU_DEP_1)
	v_cndmask_b32_e32 v86, 0x7f800000, v85, vcc_lo
	v_add_f32_e32 v87, 1.0, v86
	s_delay_alu instid0(VALU_DEP_1) | instskip(NEXT) | instid1(VALU_DEP_1)
	v_cvt_f64_f32_e32 v[84:85], v87
	v_frexp_exp_i32_f64_e32 v84, v[84:85]
	v_frexp_mant_f32_e32 v85, v87
	s_delay_alu instid0(VALU_DEP_1) | instskip(SKIP_1) | instid1(VALU_DEP_1)
	v_cmp_gt_f32_e32 vcc_lo, 0x3f2aaaab, v85
	v_add_f32_e32 v85, -1.0, v87
	v_sub_f32_e32 v97, v85, v87
	v_sub_f32_e32 v85, v86, v85
	v_subrev_co_ci_u32_e32 v84, vcc_lo, 0, v84, vcc_lo
	v_cmp_eq_f32_e32 vcc_lo, 0x7f800000, v86
	s_delay_alu instid0(VALU_DEP_2) | instskip(SKIP_1) | instid1(VALU_DEP_2)
	v_sub_nc_u32_e32 v96, 0, v84
	v_cvt_f32_i32_e32 v84, v84
	v_ldexp_f32 v87, v87, v96
	s_delay_alu instid0(VALU_DEP_1) | instskip(NEXT) | instid1(VALU_DEP_1)
	v_dual_add_f32 v98, 1.0, v87 :: v_dual_add_f32 v97, 1.0, v97
	v_add_f32_e32 v85, v85, v97
	s_delay_alu instid0(VALU_DEP_2) | instskip(NEXT) | instid1(VALU_DEP_2)
	v_add_f32_e32 v97, -1.0, v98
	v_ldexp_f32 v85, v85, v96
	s_delay_alu instid0(VALU_DEP_2) | instskip(NEXT) | instid1(VALU_DEP_1)
	v_dual_add_f32 v96, -1.0, v87 :: v_dual_sub_f32 v97, v87, v97
	v_add_f32_e32 v99, 1.0, v96
	s_delay_alu instid0(VALU_DEP_2) | instskip(NEXT) | instid1(VALU_DEP_2)
	v_add_f32_e32 v97, v85, v97
	v_sub_f32_e32 v87, v87, v99
	s_delay_alu instid0(VALU_DEP_2) | instskip(NEXT) | instid1(VALU_DEP_2)
	v_add_f32_e32 v99, v98, v97
	v_add_f32_e32 v85, v85, v87
	s_delay_alu instid0(VALU_DEP_2) | instskip(SKIP_1) | instid1(VALU_DEP_1)
	v_rcp_f32_e32 v87, v99
	v_sub_f32_e32 v98, v98, v99
	v_dual_add_f32 v100, v96, v85 :: v_dual_add_f32 v97, v97, v98
	s_delay_alu instid0(VALU_DEP_1) | instskip(SKIP_2) | instid1(VALU_DEP_1)
	v_sub_f32_e32 v96, v96, v100
	s_waitcnt_depctr 0xfff
	v_mul_f32_e32 v101, v100, v87
	v_dual_add_f32 v85, v85, v96 :: v_dual_mul_f32 v102, v99, v101
	s_delay_alu instid0(VALU_DEP_1) | instskip(NEXT) | instid1(VALU_DEP_1)
	v_fma_f32 v98, v101, v99, -v102
	v_fmac_f32_e32 v98, v101, v97
	s_delay_alu instid0(VALU_DEP_1) | instskip(NEXT) | instid1(VALU_DEP_1)
	v_add_f32_e32 v103, v102, v98
	v_sub_f32_e32 v112, v100, v103
	v_sub_f32_e32 v96, v103, v102
	s_delay_alu instid0(VALU_DEP_2) | instskip(NEXT) | instid1(VALU_DEP_2)
	v_sub_f32_e32 v100, v100, v112
	v_sub_f32_e32 v96, v96, v98
	s_delay_alu instid0(VALU_DEP_2) | instskip(NEXT) | instid1(VALU_DEP_1)
	v_sub_f32_e32 v100, v100, v103
	v_add_f32_e32 v85, v85, v100
	s_delay_alu instid0(VALU_DEP_1) | instskip(NEXT) | instid1(VALU_DEP_1)
	v_add_f32_e32 v85, v96, v85
	v_add_f32_e32 v96, v112, v85
	s_delay_alu instid0(VALU_DEP_1) | instskip(NEXT) | instid1(VALU_DEP_1)
	v_mul_f32_e32 v98, v87, v96
	v_dual_sub_f32 v103, v112, v96 :: v_dual_mul_f32 v100, v99, v98
	s_delay_alu instid0(VALU_DEP_1) | instskip(NEXT) | instid1(VALU_DEP_2)
	v_add_f32_e32 v85, v85, v103
	v_fma_f32 v99, v98, v99, -v100
	s_delay_alu instid0(VALU_DEP_1) | instskip(NEXT) | instid1(VALU_DEP_1)
	v_fmac_f32_e32 v99, v98, v97
	v_add_f32_e32 v97, v100, v99
	s_delay_alu instid0(VALU_DEP_1) | instskip(SKIP_1) | instid1(VALU_DEP_2)
	v_sub_f32_e32 v102, v96, v97
	v_sub_f32_e32 v100, v97, v100
	;; [unrolled: 1-line block ×3, first 2 shown]
	s_delay_alu instid0(VALU_DEP_1) | instskip(NEXT) | instid1(VALU_DEP_3)
	v_sub_f32_e32 v96, v96, v97
	v_sub_f32_e32 v97, v100, v99
	s_delay_alu instid0(VALU_DEP_2) | instskip(SKIP_1) | instid1(VALU_DEP_2)
	v_add_f32_e32 v85, v85, v96
	v_add_f32_e32 v96, v101, v98
	;; [unrolled: 1-line block ×3, first 2 shown]
	s_delay_alu instid0(VALU_DEP_2) | instskip(NEXT) | instid1(VALU_DEP_2)
	v_sub_f32_e32 v97, v96, v101
	v_add_f32_e32 v85, v102, v85
	s_delay_alu instid0(VALU_DEP_2) | instskip(NEXT) | instid1(VALU_DEP_2)
	v_sub_f32_e32 v97, v98, v97
	v_mul_f32_e32 v85, v87, v85
	s_delay_alu instid0(VALU_DEP_1) | instskip(NEXT) | instid1(VALU_DEP_1)
	v_add_f32_e32 v85, v97, v85
	v_add_f32_e32 v87, v96, v85
	s_delay_alu instid0(VALU_DEP_1) | instskip(NEXT) | instid1(VALU_DEP_1)
	v_mul_f32_e32 v97, v87, v87
	v_fmaak_f32 v98, s2, v97, 0x3ecc95a3
	v_mul_f32_e32 v99, v87, v97
	v_cmp_gt_f32_e64 s2, 0x33800000, |v86|
	s_delay_alu instid0(VALU_DEP_3) | instskip(SKIP_2) | instid1(VALU_DEP_4)
	v_fmaak_f32 v97, v97, v98, 0x3f2aaada
	v_ldexp_f32 v98, v87, 1
	v_sub_f32_e32 v87, v87, v96
	s_or_b32 vcc_lo, vcc_lo, s2
	s_delay_alu instid0(VALU_DEP_3) | instskip(SKIP_1) | instid1(VALU_DEP_2)
	v_mul_f32_e32 v97, v99, v97
	v_mul_f32_e32 v99, 0x3f317218, v84
	v_dual_sub_f32 v85, v85, v87 :: v_dual_add_f32 v96, v98, v97
	s_delay_alu instid0(VALU_DEP_1) | instskip(NEXT) | instid1(VALU_DEP_2)
	v_ldexp_f32 v85, v85, 1
	v_sub_f32_e32 v87, v96, v98
	s_delay_alu instid0(VALU_DEP_4) | instskip(NEXT) | instid1(VALU_DEP_1)
	v_fma_f32 v98, 0x3f317218, v84, -v99
	v_dual_sub_f32 v87, v97, v87 :: v_dual_fmamk_f32 v84, v84, 0xb102e308, v98
	s_delay_alu instid0(VALU_DEP_1) | instskip(NEXT) | instid1(VALU_DEP_2)
	v_add_f32_e32 v85, v85, v87
	v_add_f32_e32 v87, v99, v84
	s_delay_alu instid0(VALU_DEP_2) | instskip(NEXT) | instid1(VALU_DEP_2)
	v_add_f32_e32 v97, v96, v85
	v_sub_f32_e32 v99, v87, v99
	s_delay_alu instid0(VALU_DEP_2) | instskip(SKIP_1) | instid1(VALU_DEP_3)
	v_add_f32_e32 v98, v87, v97
	v_sub_f32_e32 v96, v97, v96
	v_sub_f32_e32 v84, v84, v99
	s_delay_alu instid0(VALU_DEP_2) | instskip(NEXT) | instid1(VALU_DEP_1)
	v_dual_sub_f32 v100, v98, v87 :: v_dual_sub_f32 v85, v85, v96
	v_sub_f32_e32 v101, v98, v100
	s_delay_alu instid0(VALU_DEP_2) | instskip(NEXT) | instid1(VALU_DEP_2)
	v_dual_sub_f32 v96, v97, v100 :: v_dual_add_f32 v97, v84, v85
	v_sub_f32_e32 v87, v87, v101
	s_delay_alu instid0(VALU_DEP_1) | instskip(NEXT) | instid1(VALU_DEP_1)
	v_dual_add_f32 v87, v96, v87 :: v_dual_sub_f32 v96, v97, v84
	v_add_f32_e32 v87, v97, v87
	s_delay_alu instid0(VALU_DEP_2) | instskip(SKIP_1) | instid1(VALU_DEP_2)
	v_sub_f32_e32 v97, v97, v96
	v_sub_f32_e32 v85, v85, v96
	v_dual_add_f32 v99, v98, v87 :: v_dual_sub_f32 v84, v84, v97
	s_delay_alu instid0(VALU_DEP_1) | instskip(NEXT) | instid1(VALU_DEP_2)
	v_sub_f32_e32 v96, v99, v98
	v_add_f32_e32 v84, v85, v84
	s_delay_alu instid0(VALU_DEP_2) | instskip(NEXT) | instid1(VALU_DEP_1)
	v_sub_f32_e32 v85, v87, v96
	v_add_f32_e32 v84, v84, v85
	s_delay_alu instid0(VALU_DEP_1) | instskip(NEXT) | instid1(VALU_DEP_1)
	v_add_f32_e32 v84, v99, v84
	v_cndmask_b32_e32 v84, v84, v86, vcc_lo
	s_delay_alu instid0(VALU_DEP_1)
	v_add_f32_e32 v84, v83, v84
.LBB501_232:
	s_or_b32 exec_lo, exec_lo, s1
	s_delay_alu instid0(VALU_DEP_1) | instskip(SKIP_1) | instid1(VALU_DEP_2)
	v_bfe_u32 v83, v84, 16, 1
	v_cmp_o_f32_e32 vcc_lo, v84, v84
	v_add3_u32 v83, v84, v83, 0x7fff
	s_delay_alu instid0(VALU_DEP_1) | instskip(NEXT) | instid1(VALU_DEP_1)
	v_lshrrev_b32_e32 v83, 16, v83
	v_cndmask_b32_e32 v83, 0x7fc0, v83, vcc_lo
	s_delay_alu instid0(VALU_DEP_1) | instskip(NEXT) | instid1(VALU_DEP_1)
	v_lshlrev_b32_e32 v85, 16, v83
	v_max_f32_e32 v84, v85, v85
	s_delay_alu instid0(VALU_DEP_1) | instskip(SKIP_2) | instid1(VALU_DEP_3)
	v_min_f32_e32 v86, v84, v133
	v_max_f32_e32 v84, v84, v133
	v_cmp_u_f32_e32 vcc_lo, v85, v85
	v_cndmask_b32_e32 v86, v86, v85, vcc_lo
	s_delay_alu instid0(VALU_DEP_3) | instskip(NEXT) | instid1(VALU_DEP_2)
	v_cndmask_b32_e32 v84, v84, v85, vcc_lo
	v_cndmask_b32_e64 v86, v86, v129, s21
	s_delay_alu instid0(VALU_DEP_2) | instskip(NEXT) | instid1(VALU_DEP_2)
	v_cndmask_b32_e64 v84, v84, v129, s21
	v_cmp_class_f32_e64 s1, v86, 0x1f8
	s_delay_alu instid0(VALU_DEP_2) | instskip(NEXT) | instid1(VALU_DEP_2)
	v_cmp_neq_f32_e32 vcc_lo, v86, v84
	s_or_b32 s2, vcc_lo, s1
	s_delay_alu instid0(SALU_CYCLE_1)
	s_and_saveexec_b32 s1, s2
	s_cbranch_execz .LBB501_234
; %bb.233:
	v_sub_f32_e32 v85, v86, v84
	s_mov_b32 s2, 0x3e9b6dac
	s_delay_alu instid0(VALU_DEP_1) | instskip(SKIP_1) | instid1(VALU_DEP_2)
	v_mul_f32_e32 v86, 0x3fb8aa3b, v85
	v_cmp_ngt_f32_e32 vcc_lo, 0xc2ce8ed0, v85
	v_fma_f32 v87, 0x3fb8aa3b, v85, -v86
	v_rndne_f32_e32 v96, v86
	s_delay_alu instid0(VALU_DEP_1) | instskip(NEXT) | instid1(VALU_DEP_1)
	v_dual_fmamk_f32 v87, v85, 0x32a5705f, v87 :: v_dual_sub_f32 v86, v86, v96
	v_add_f32_e32 v86, v86, v87
	v_cvt_i32_f32_e32 v87, v96
	s_delay_alu instid0(VALU_DEP_2) | instskip(SKIP_2) | instid1(VALU_DEP_1)
	v_exp_f32_e32 v86, v86
	s_waitcnt_depctr 0xfff
	v_ldexp_f32 v86, v86, v87
	v_cndmask_b32_e32 v86, 0, v86, vcc_lo
	v_cmp_nlt_f32_e32 vcc_lo, 0x42b17218, v85
	s_delay_alu instid0(VALU_DEP_2) | instskip(NEXT) | instid1(VALU_DEP_1)
	v_cndmask_b32_e32 v87, 0x7f800000, v86, vcc_lo
	v_add_f32_e32 v96, 1.0, v87
	s_delay_alu instid0(VALU_DEP_1) | instskip(NEXT) | instid1(VALU_DEP_1)
	v_cvt_f64_f32_e32 v[85:86], v96
	v_frexp_exp_i32_f64_e32 v85, v[85:86]
	v_frexp_mant_f32_e32 v86, v96
	s_delay_alu instid0(VALU_DEP_1) | instskip(SKIP_1) | instid1(VALU_DEP_1)
	v_cmp_gt_f32_e32 vcc_lo, 0x3f2aaaab, v86
	v_add_f32_e32 v86, -1.0, v96
	v_sub_f32_e32 v98, v86, v96
	v_sub_f32_e32 v86, v87, v86
	v_subrev_co_ci_u32_e32 v85, vcc_lo, 0, v85, vcc_lo
	v_cmp_eq_f32_e32 vcc_lo, 0x7f800000, v87
	s_delay_alu instid0(VALU_DEP_2) | instskip(SKIP_1) | instid1(VALU_DEP_2)
	v_sub_nc_u32_e32 v97, 0, v85
	v_cvt_f32_i32_e32 v85, v85
	v_ldexp_f32 v96, v96, v97
	s_delay_alu instid0(VALU_DEP_1) | instskip(NEXT) | instid1(VALU_DEP_1)
	v_dual_add_f32 v99, 1.0, v96 :: v_dual_add_f32 v98, 1.0, v98
	v_add_f32_e32 v86, v86, v98
	s_delay_alu instid0(VALU_DEP_2) | instskip(NEXT) | instid1(VALU_DEP_2)
	v_add_f32_e32 v98, -1.0, v99
	v_ldexp_f32 v86, v86, v97
	s_delay_alu instid0(VALU_DEP_2) | instskip(NEXT) | instid1(VALU_DEP_1)
	v_dual_add_f32 v97, -1.0, v96 :: v_dual_sub_f32 v98, v96, v98
	v_add_f32_e32 v100, 1.0, v97
	s_delay_alu instid0(VALU_DEP_2) | instskip(NEXT) | instid1(VALU_DEP_2)
	v_add_f32_e32 v98, v86, v98
	v_sub_f32_e32 v96, v96, v100
	s_delay_alu instid0(VALU_DEP_2) | instskip(NEXT) | instid1(VALU_DEP_2)
	v_add_f32_e32 v100, v99, v98
	v_add_f32_e32 v86, v86, v96
	s_delay_alu instid0(VALU_DEP_2) | instskip(SKIP_1) | instid1(VALU_DEP_1)
	v_rcp_f32_e32 v96, v100
	v_sub_f32_e32 v99, v99, v100
	v_dual_add_f32 v101, v97, v86 :: v_dual_add_f32 v98, v98, v99
	s_delay_alu instid0(VALU_DEP_1) | instskip(SKIP_2) | instid1(VALU_DEP_1)
	v_sub_f32_e32 v97, v97, v101
	s_waitcnt_depctr 0xfff
	v_mul_f32_e32 v102, v101, v96
	v_dual_add_f32 v86, v86, v97 :: v_dual_mul_f32 v103, v100, v102
	s_delay_alu instid0(VALU_DEP_1) | instskip(NEXT) | instid1(VALU_DEP_1)
	v_fma_f32 v99, v102, v100, -v103
	v_fmac_f32_e32 v99, v102, v98
	s_delay_alu instid0(VALU_DEP_1) | instskip(NEXT) | instid1(VALU_DEP_1)
	v_add_f32_e32 v112, v103, v99
	v_sub_f32_e32 v113, v101, v112
	v_sub_f32_e32 v97, v112, v103
	s_delay_alu instid0(VALU_DEP_2) | instskip(NEXT) | instid1(VALU_DEP_2)
	v_sub_f32_e32 v101, v101, v113
	v_sub_f32_e32 v97, v97, v99
	s_delay_alu instid0(VALU_DEP_2) | instskip(NEXT) | instid1(VALU_DEP_1)
	v_sub_f32_e32 v101, v101, v112
	v_add_f32_e32 v86, v86, v101
	s_delay_alu instid0(VALU_DEP_1) | instskip(NEXT) | instid1(VALU_DEP_1)
	v_add_f32_e32 v86, v97, v86
	v_add_f32_e32 v97, v113, v86
	s_delay_alu instid0(VALU_DEP_1) | instskip(NEXT) | instid1(VALU_DEP_1)
	v_mul_f32_e32 v99, v96, v97
	v_dual_sub_f32 v112, v113, v97 :: v_dual_mul_f32 v101, v100, v99
	s_delay_alu instid0(VALU_DEP_1) | instskip(NEXT) | instid1(VALU_DEP_2)
	v_add_f32_e32 v86, v86, v112
	v_fma_f32 v100, v99, v100, -v101
	s_delay_alu instid0(VALU_DEP_1) | instskip(NEXT) | instid1(VALU_DEP_1)
	v_fmac_f32_e32 v100, v99, v98
	v_add_f32_e32 v98, v101, v100
	s_delay_alu instid0(VALU_DEP_1) | instskip(SKIP_1) | instid1(VALU_DEP_2)
	v_sub_f32_e32 v103, v97, v98
	v_sub_f32_e32 v101, v98, v101
	;; [unrolled: 1-line block ×3, first 2 shown]
	s_delay_alu instid0(VALU_DEP_1) | instskip(NEXT) | instid1(VALU_DEP_3)
	v_sub_f32_e32 v97, v97, v98
	v_sub_f32_e32 v98, v101, v100
	s_delay_alu instid0(VALU_DEP_2) | instskip(SKIP_1) | instid1(VALU_DEP_2)
	v_add_f32_e32 v86, v86, v97
	v_add_f32_e32 v97, v102, v99
	;; [unrolled: 1-line block ×3, first 2 shown]
	s_delay_alu instid0(VALU_DEP_2) | instskip(NEXT) | instid1(VALU_DEP_2)
	v_sub_f32_e32 v98, v97, v102
	v_add_f32_e32 v86, v103, v86
	s_delay_alu instid0(VALU_DEP_2) | instskip(NEXT) | instid1(VALU_DEP_2)
	v_sub_f32_e32 v98, v99, v98
	v_mul_f32_e32 v86, v96, v86
	s_delay_alu instid0(VALU_DEP_1) | instskip(NEXT) | instid1(VALU_DEP_1)
	v_add_f32_e32 v86, v98, v86
	v_add_f32_e32 v96, v97, v86
	s_delay_alu instid0(VALU_DEP_1) | instskip(NEXT) | instid1(VALU_DEP_1)
	v_mul_f32_e32 v98, v96, v96
	v_fmaak_f32 v99, s2, v98, 0x3ecc95a3
	v_mul_f32_e32 v100, v96, v98
	v_cmp_gt_f32_e64 s2, 0x33800000, |v87|
	s_delay_alu instid0(VALU_DEP_3) | instskip(SKIP_2) | instid1(VALU_DEP_4)
	v_fmaak_f32 v98, v98, v99, 0x3f2aaada
	v_ldexp_f32 v99, v96, 1
	v_sub_f32_e32 v96, v96, v97
	s_or_b32 vcc_lo, vcc_lo, s2
	s_delay_alu instid0(VALU_DEP_3) | instskip(SKIP_1) | instid1(VALU_DEP_2)
	v_mul_f32_e32 v98, v100, v98
	v_mul_f32_e32 v100, 0x3f317218, v85
	v_dual_sub_f32 v86, v86, v96 :: v_dual_add_f32 v97, v99, v98
	s_delay_alu instid0(VALU_DEP_1) | instskip(NEXT) | instid1(VALU_DEP_2)
	v_ldexp_f32 v86, v86, 1
	v_sub_f32_e32 v96, v97, v99
	s_delay_alu instid0(VALU_DEP_4) | instskip(NEXT) | instid1(VALU_DEP_1)
	v_fma_f32 v99, 0x3f317218, v85, -v100
	v_dual_sub_f32 v96, v98, v96 :: v_dual_fmamk_f32 v85, v85, 0xb102e308, v99
	s_delay_alu instid0(VALU_DEP_1) | instskip(NEXT) | instid1(VALU_DEP_2)
	v_add_f32_e32 v86, v86, v96
	v_add_f32_e32 v96, v100, v85
	s_delay_alu instid0(VALU_DEP_2) | instskip(NEXT) | instid1(VALU_DEP_2)
	v_add_f32_e32 v98, v97, v86
	v_sub_f32_e32 v100, v96, v100
	s_delay_alu instid0(VALU_DEP_2) | instskip(SKIP_1) | instid1(VALU_DEP_3)
	v_add_f32_e32 v99, v96, v98
	v_sub_f32_e32 v97, v98, v97
	v_sub_f32_e32 v85, v85, v100
	s_delay_alu instid0(VALU_DEP_2) | instskip(NEXT) | instid1(VALU_DEP_1)
	v_dual_sub_f32 v101, v99, v96 :: v_dual_sub_f32 v86, v86, v97
	v_sub_f32_e32 v102, v99, v101
	s_delay_alu instid0(VALU_DEP_2) | instskip(NEXT) | instid1(VALU_DEP_2)
	v_dual_sub_f32 v97, v98, v101 :: v_dual_add_f32 v98, v85, v86
	v_sub_f32_e32 v96, v96, v102
	s_delay_alu instid0(VALU_DEP_1) | instskip(NEXT) | instid1(VALU_DEP_1)
	v_dual_add_f32 v96, v97, v96 :: v_dual_sub_f32 v97, v98, v85
	v_add_f32_e32 v96, v98, v96
	s_delay_alu instid0(VALU_DEP_2) | instskip(SKIP_1) | instid1(VALU_DEP_2)
	v_sub_f32_e32 v98, v98, v97
	v_sub_f32_e32 v86, v86, v97
	v_dual_add_f32 v100, v99, v96 :: v_dual_sub_f32 v85, v85, v98
	s_delay_alu instid0(VALU_DEP_1) | instskip(NEXT) | instid1(VALU_DEP_2)
	v_sub_f32_e32 v97, v100, v99
	v_add_f32_e32 v85, v86, v85
	s_delay_alu instid0(VALU_DEP_2) | instskip(NEXT) | instid1(VALU_DEP_1)
	v_sub_f32_e32 v86, v96, v97
	v_add_f32_e32 v85, v85, v86
	s_delay_alu instid0(VALU_DEP_1) | instskip(NEXT) | instid1(VALU_DEP_1)
	v_add_f32_e32 v85, v100, v85
	v_cndmask_b32_e32 v85, v85, v87, vcc_lo
	s_delay_alu instid0(VALU_DEP_1)
	v_add_f32_e32 v85, v84, v85
.LBB501_234:
	s_or_b32 exec_lo, exec_lo, s1
	s_delay_alu instid0(VALU_DEP_1) | instskip(SKIP_1) | instid1(VALU_DEP_2)
	v_bfe_u32 v84, v85, 16, 1
	v_cmp_o_f32_e32 vcc_lo, v85, v85
	v_add3_u32 v84, v85, v84, 0x7fff
	s_delay_alu instid0(VALU_DEP_1) | instskip(NEXT) | instid1(VALU_DEP_1)
	v_lshrrev_b32_e32 v84, 16, v84
	v_cndmask_b32_e32 v84, 0x7fc0, v84, vcc_lo
	s_delay_alu instid0(VALU_DEP_1) | instskip(NEXT) | instid1(VALU_DEP_1)
	v_lshlrev_b32_e32 v86, 16, v84
	v_max_f32_e32 v85, v86, v86
	s_delay_alu instid0(VALU_DEP_1) | instskip(SKIP_2) | instid1(VALU_DEP_3)
	v_min_f32_e32 v87, v85, v134
	v_max_f32_e32 v85, v85, v134
	v_cmp_u_f32_e32 vcc_lo, v86, v86
	v_cndmask_b32_e32 v87, v87, v86, vcc_lo
	s_delay_alu instid0(VALU_DEP_3) | instskip(NEXT) | instid1(VALU_DEP_2)
	v_cndmask_b32_e32 v85, v85, v86, vcc_lo
	v_cndmask_b32_e64 v87, v87, v131, s22
	s_delay_alu instid0(VALU_DEP_2) | instskip(NEXT) | instid1(VALU_DEP_2)
	v_cndmask_b32_e64 v85, v85, v131, s22
	v_cmp_class_f32_e64 s1, v87, 0x1f8
	s_delay_alu instid0(VALU_DEP_2) | instskip(NEXT) | instid1(VALU_DEP_2)
	v_cmp_neq_f32_e32 vcc_lo, v87, v85
	s_or_b32 s2, vcc_lo, s1
	s_delay_alu instid0(SALU_CYCLE_1)
	s_and_saveexec_b32 s1, s2
	s_cbranch_execz .LBB501_236
; %bb.235:
	v_sub_f32_e32 v86, v87, v85
	s_mov_b32 s2, 0x3e9b6dac
	s_delay_alu instid0(VALU_DEP_1) | instskip(SKIP_1) | instid1(VALU_DEP_2)
	v_mul_f32_e32 v87, 0x3fb8aa3b, v86
	v_cmp_ngt_f32_e32 vcc_lo, 0xc2ce8ed0, v86
	v_fma_f32 v96, 0x3fb8aa3b, v86, -v87
	v_rndne_f32_e32 v97, v87
	s_delay_alu instid0(VALU_DEP_1) | instskip(NEXT) | instid1(VALU_DEP_1)
	v_dual_fmamk_f32 v96, v86, 0x32a5705f, v96 :: v_dual_sub_f32 v87, v87, v97
	v_add_f32_e32 v87, v87, v96
	v_cvt_i32_f32_e32 v96, v97
	s_delay_alu instid0(VALU_DEP_2) | instskip(SKIP_2) | instid1(VALU_DEP_1)
	v_exp_f32_e32 v87, v87
	s_waitcnt_depctr 0xfff
	v_ldexp_f32 v87, v87, v96
	v_cndmask_b32_e32 v87, 0, v87, vcc_lo
	v_cmp_nlt_f32_e32 vcc_lo, 0x42b17218, v86
	s_delay_alu instid0(VALU_DEP_2) | instskip(NEXT) | instid1(VALU_DEP_1)
	v_cndmask_b32_e32 v96, 0x7f800000, v87, vcc_lo
	v_add_f32_e32 v97, 1.0, v96
	s_delay_alu instid0(VALU_DEP_1) | instskip(NEXT) | instid1(VALU_DEP_1)
	v_cvt_f64_f32_e32 v[86:87], v97
	v_frexp_exp_i32_f64_e32 v86, v[86:87]
	v_frexp_mant_f32_e32 v87, v97
	s_delay_alu instid0(VALU_DEP_1) | instskip(SKIP_1) | instid1(VALU_DEP_1)
	v_cmp_gt_f32_e32 vcc_lo, 0x3f2aaaab, v87
	v_add_f32_e32 v87, -1.0, v97
	v_sub_f32_e32 v99, v87, v97
	v_sub_f32_e32 v87, v96, v87
	v_subrev_co_ci_u32_e32 v86, vcc_lo, 0, v86, vcc_lo
	v_cmp_eq_f32_e32 vcc_lo, 0x7f800000, v96
	s_delay_alu instid0(VALU_DEP_2) | instskip(SKIP_1) | instid1(VALU_DEP_2)
	v_sub_nc_u32_e32 v98, 0, v86
	v_cvt_f32_i32_e32 v86, v86
	v_ldexp_f32 v97, v97, v98
	s_delay_alu instid0(VALU_DEP_1) | instskip(NEXT) | instid1(VALU_DEP_1)
	v_dual_add_f32 v100, 1.0, v97 :: v_dual_add_f32 v99, 1.0, v99
	v_add_f32_e32 v87, v87, v99
	s_delay_alu instid0(VALU_DEP_2) | instskip(NEXT) | instid1(VALU_DEP_2)
	v_add_f32_e32 v99, -1.0, v100
	v_ldexp_f32 v87, v87, v98
	s_delay_alu instid0(VALU_DEP_2) | instskip(NEXT) | instid1(VALU_DEP_1)
	v_dual_add_f32 v98, -1.0, v97 :: v_dual_sub_f32 v99, v97, v99
	v_add_f32_e32 v101, 1.0, v98
	s_delay_alu instid0(VALU_DEP_2) | instskip(NEXT) | instid1(VALU_DEP_2)
	v_add_f32_e32 v99, v87, v99
	v_sub_f32_e32 v97, v97, v101
	s_delay_alu instid0(VALU_DEP_2) | instskip(NEXT) | instid1(VALU_DEP_2)
	v_add_f32_e32 v101, v100, v99
	v_add_f32_e32 v87, v87, v97
	s_delay_alu instid0(VALU_DEP_2) | instskip(SKIP_1) | instid1(VALU_DEP_1)
	v_rcp_f32_e32 v97, v101
	v_sub_f32_e32 v100, v100, v101
	v_dual_add_f32 v102, v98, v87 :: v_dual_add_f32 v99, v99, v100
	s_delay_alu instid0(VALU_DEP_1) | instskip(SKIP_2) | instid1(VALU_DEP_1)
	v_sub_f32_e32 v98, v98, v102
	s_waitcnt_depctr 0xfff
	v_mul_f32_e32 v103, v102, v97
	v_dual_add_f32 v87, v87, v98 :: v_dual_mul_f32 v112, v101, v103
	s_delay_alu instid0(VALU_DEP_1) | instskip(NEXT) | instid1(VALU_DEP_1)
	v_fma_f32 v100, v103, v101, -v112
	v_fmac_f32_e32 v100, v103, v99
	s_delay_alu instid0(VALU_DEP_1) | instskip(NEXT) | instid1(VALU_DEP_1)
	v_add_f32_e32 v113, v112, v100
	v_sub_f32_e32 v114, v102, v113
	v_sub_f32_e32 v98, v113, v112
	s_delay_alu instid0(VALU_DEP_2) | instskip(NEXT) | instid1(VALU_DEP_2)
	v_sub_f32_e32 v102, v102, v114
	v_sub_f32_e32 v98, v98, v100
	s_delay_alu instid0(VALU_DEP_2) | instskip(NEXT) | instid1(VALU_DEP_1)
	v_sub_f32_e32 v102, v102, v113
	v_add_f32_e32 v87, v87, v102
	s_delay_alu instid0(VALU_DEP_1) | instskip(NEXT) | instid1(VALU_DEP_1)
	v_add_f32_e32 v87, v98, v87
	v_add_f32_e32 v98, v114, v87
	s_delay_alu instid0(VALU_DEP_1) | instskip(NEXT) | instid1(VALU_DEP_1)
	v_mul_f32_e32 v100, v97, v98
	v_dual_sub_f32 v113, v114, v98 :: v_dual_mul_f32 v102, v101, v100
	s_delay_alu instid0(VALU_DEP_1) | instskip(NEXT) | instid1(VALU_DEP_2)
	v_add_f32_e32 v87, v87, v113
	v_fma_f32 v101, v100, v101, -v102
	s_delay_alu instid0(VALU_DEP_1) | instskip(NEXT) | instid1(VALU_DEP_1)
	v_fmac_f32_e32 v101, v100, v99
	v_add_f32_e32 v99, v102, v101
	s_delay_alu instid0(VALU_DEP_1) | instskip(SKIP_1) | instid1(VALU_DEP_2)
	v_sub_f32_e32 v112, v98, v99
	v_sub_f32_e32 v102, v99, v102
	;; [unrolled: 1-line block ×3, first 2 shown]
	s_delay_alu instid0(VALU_DEP_1) | instskip(NEXT) | instid1(VALU_DEP_3)
	v_sub_f32_e32 v98, v98, v99
	v_sub_f32_e32 v99, v102, v101
	s_delay_alu instid0(VALU_DEP_2) | instskip(SKIP_1) | instid1(VALU_DEP_2)
	v_add_f32_e32 v87, v87, v98
	v_add_f32_e32 v98, v103, v100
	;; [unrolled: 1-line block ×3, first 2 shown]
	s_delay_alu instid0(VALU_DEP_2) | instskip(NEXT) | instid1(VALU_DEP_2)
	v_sub_f32_e32 v99, v98, v103
	v_add_f32_e32 v87, v112, v87
	s_delay_alu instid0(VALU_DEP_2) | instskip(NEXT) | instid1(VALU_DEP_2)
	v_sub_f32_e32 v99, v100, v99
	v_mul_f32_e32 v87, v97, v87
	s_delay_alu instid0(VALU_DEP_1) | instskip(NEXT) | instid1(VALU_DEP_1)
	v_add_f32_e32 v87, v99, v87
	v_add_f32_e32 v97, v98, v87
	s_delay_alu instid0(VALU_DEP_1) | instskip(NEXT) | instid1(VALU_DEP_1)
	v_mul_f32_e32 v99, v97, v97
	v_fmaak_f32 v100, s2, v99, 0x3ecc95a3
	v_mul_f32_e32 v101, v97, v99
	v_cmp_gt_f32_e64 s2, 0x33800000, |v96|
	s_delay_alu instid0(VALU_DEP_3) | instskip(SKIP_2) | instid1(VALU_DEP_4)
	v_fmaak_f32 v99, v99, v100, 0x3f2aaada
	v_ldexp_f32 v100, v97, 1
	v_sub_f32_e32 v97, v97, v98
	s_or_b32 vcc_lo, vcc_lo, s2
	s_delay_alu instid0(VALU_DEP_3) | instskip(SKIP_1) | instid1(VALU_DEP_2)
	v_mul_f32_e32 v99, v101, v99
	v_mul_f32_e32 v101, 0x3f317218, v86
	v_dual_sub_f32 v87, v87, v97 :: v_dual_add_f32 v98, v100, v99
	s_delay_alu instid0(VALU_DEP_1) | instskip(NEXT) | instid1(VALU_DEP_2)
	v_ldexp_f32 v87, v87, 1
	v_sub_f32_e32 v97, v98, v100
	s_delay_alu instid0(VALU_DEP_4) | instskip(NEXT) | instid1(VALU_DEP_1)
	v_fma_f32 v100, 0x3f317218, v86, -v101
	v_dual_sub_f32 v97, v99, v97 :: v_dual_fmamk_f32 v86, v86, 0xb102e308, v100
	s_delay_alu instid0(VALU_DEP_1) | instskip(NEXT) | instid1(VALU_DEP_2)
	v_add_f32_e32 v87, v87, v97
	v_add_f32_e32 v97, v101, v86
	s_delay_alu instid0(VALU_DEP_2) | instskip(NEXT) | instid1(VALU_DEP_2)
	v_add_f32_e32 v99, v98, v87
	v_sub_f32_e32 v101, v97, v101
	s_delay_alu instid0(VALU_DEP_2) | instskip(SKIP_1) | instid1(VALU_DEP_3)
	v_add_f32_e32 v100, v97, v99
	v_sub_f32_e32 v98, v99, v98
	v_sub_f32_e32 v86, v86, v101
	s_delay_alu instid0(VALU_DEP_2) | instskip(NEXT) | instid1(VALU_DEP_1)
	v_dual_sub_f32 v102, v100, v97 :: v_dual_sub_f32 v87, v87, v98
	v_sub_f32_e32 v103, v100, v102
	s_delay_alu instid0(VALU_DEP_2) | instskip(NEXT) | instid1(VALU_DEP_2)
	v_dual_sub_f32 v98, v99, v102 :: v_dual_add_f32 v99, v86, v87
	v_sub_f32_e32 v97, v97, v103
	s_delay_alu instid0(VALU_DEP_1) | instskip(NEXT) | instid1(VALU_DEP_1)
	v_dual_add_f32 v97, v98, v97 :: v_dual_sub_f32 v98, v99, v86
	v_add_f32_e32 v97, v99, v97
	s_delay_alu instid0(VALU_DEP_2) | instskip(SKIP_1) | instid1(VALU_DEP_2)
	v_sub_f32_e32 v99, v99, v98
	v_sub_f32_e32 v87, v87, v98
	v_dual_add_f32 v101, v100, v97 :: v_dual_sub_f32 v86, v86, v99
	s_delay_alu instid0(VALU_DEP_1) | instskip(NEXT) | instid1(VALU_DEP_2)
	v_sub_f32_e32 v98, v101, v100
	v_add_f32_e32 v86, v87, v86
	s_delay_alu instid0(VALU_DEP_2) | instskip(NEXT) | instid1(VALU_DEP_1)
	v_sub_f32_e32 v87, v97, v98
	v_add_f32_e32 v86, v86, v87
	s_delay_alu instid0(VALU_DEP_1) | instskip(NEXT) | instid1(VALU_DEP_1)
	v_add_f32_e32 v86, v101, v86
	v_cndmask_b32_e32 v86, v86, v96, vcc_lo
	s_delay_alu instid0(VALU_DEP_1)
	v_add_f32_e32 v86, v85, v86
.LBB501_236:
	s_or_b32 exec_lo, exec_lo, s1
	s_delay_alu instid0(VALU_DEP_1) | instskip(SKIP_1) | instid1(VALU_DEP_2)
	v_bfe_u32 v85, v86, 16, 1
	v_cmp_o_f32_e32 vcc_lo, v86, v86
	v_add3_u32 v85, v86, v85, 0x7fff
	s_delay_alu instid0(VALU_DEP_1) | instskip(NEXT) | instid1(VALU_DEP_1)
	v_lshrrev_b32_e32 v85, 16, v85
	v_cndmask_b32_e32 v85, 0x7fc0, v85, vcc_lo
	s_branch .LBB501_363
.LBB501_237:
                                        ; implicit-def: $vgpr18
                                        ; implicit-def: $vgpr19
                                        ; implicit-def: $vgpr20
                                        ; implicit-def: $vgpr21
                                        ; implicit-def: $vgpr54
                                        ; implicit-def: $vgpr55
                                        ; implicit-def: $vgpr135
                                        ; implicit-def: $vgpr144
                                        ; implicit-def: $vgpr64
                                        ; implicit-def: $vgpr65
                                        ; implicit-def: $vgpr66
                                        ; implicit-def: $vgpr67
                                        ; implicit-def: $vgpr68
                                        ; implicit-def: $vgpr69
                                        ; implicit-def: $vgpr70
                                        ; implicit-def: $vgpr71
                                        ; implicit-def: $vgpr80
                                        ; implicit-def: $vgpr81
                                        ; implicit-def: $vgpr82
                                        ; implicit-def: $vgpr83
                                        ; implicit-def: $vgpr84
                                        ; implicit-def: $vgpr85
	s_cbranch_execz .LBB501_363
; %bb.238:
	v_cmp_ne_u64_e64 s1, 0, v[6:7]
	v_cmp_eq_u32_e64 s23, 0, v0
	v_cmp_ne_u32_e32 vcc_lo, 0, v0
	v_mov_b32_e32 v18, v12
	s_delay_alu instid0(VALU_DEP_3) | instskip(NEXT) | instid1(SALU_CYCLE_1)
	s_and_b32 s1, s23, s1
	s_and_saveexec_b32 s2, s1
	s_cbranch_execz .LBB501_242
; %bb.239:
	flat_load_u16 v2, v[2:3]
	s_waitcnt vmcnt(0) lgkmcnt(0)
	v_lshlrev_b32_e32 v3, 16, v2
	s_delay_alu instid0(VALU_DEP_1) | instskip(NEXT) | instid1(VALU_DEP_1)
	v_dual_max_f32 v6, v3, v3 :: v_dual_lshlrev_b32 v7, 16, v12
	v_max_f32_e32 v2, v7, v7
	v_cmp_u_f32_e64 s1, v3, v3
	s_delay_alu instid0(VALU_DEP_2) | instskip(SKIP_1) | instid1(VALU_DEP_2)
	v_min_f32_e32 v12, v6, v2
	v_max_f32_e32 v2, v6, v2
	v_cndmask_b32_e64 v6, v12, v3, s1
	s_delay_alu instid0(VALU_DEP_2) | instskip(SKIP_1) | instid1(VALU_DEP_1)
	v_cndmask_b32_e64 v2, v2, v3, s1
	v_cmp_u_f32_e64 s1, v7, v7
	v_cndmask_b32_e64 v6, v6, v7, s1
	s_delay_alu instid0(VALU_DEP_3) | instskip(NEXT) | instid1(VALU_DEP_2)
	v_cndmask_b32_e64 v2, v2, v7, s1
	v_cmp_class_f32_e64 s3, v6, 0x1f8
	s_delay_alu instid0(VALU_DEP_2) | instskip(NEXT) | instid1(VALU_DEP_1)
	v_cmp_neq_f32_e64 s1, v6, v2
	s_or_b32 s1, s1, s3
	s_delay_alu instid0(SALU_CYCLE_1)
	s_and_saveexec_b32 s3, s1
	s_cbranch_execz .LBB501_241
; %bb.240:
	v_sub_f32_e32 v3, v6, v2
	s_delay_alu instid0(VALU_DEP_1) | instskip(SKIP_1) | instid1(VALU_DEP_2)
	v_mul_f32_e32 v6, 0x3fb8aa3b, v3
	v_cmp_ngt_f32_e64 s1, 0xc2ce8ed0, v3
	v_fma_f32 v7, 0x3fb8aa3b, v3, -v6
	v_rndne_f32_e32 v12, v6
	s_delay_alu instid0(VALU_DEP_1) | instskip(NEXT) | instid1(VALU_DEP_1)
	v_dual_fmamk_f32 v7, v3, 0x32a5705f, v7 :: v_dual_sub_f32 v6, v6, v12
	v_add_f32_e32 v6, v6, v7
	v_cvt_i32_f32_e32 v7, v12
	s_delay_alu instid0(VALU_DEP_2) | instskip(SKIP_2) | instid1(VALU_DEP_1)
	v_exp_f32_e32 v6, v6
	s_waitcnt_depctr 0xfff
	v_ldexp_f32 v6, v6, v7
	v_cndmask_b32_e64 v6, 0, v6, s1
	v_cmp_nlt_f32_e64 s1, 0x42b17218, v3
	s_delay_alu instid0(VALU_DEP_1) | instskip(NEXT) | instid1(VALU_DEP_1)
	v_cndmask_b32_e64 v3, 0x7f800000, v6, s1
	v_add_f32_e32 v12, 1.0, v3
	v_cmp_gt_f32_e64 s4, 0x33800000, |v3|
	s_delay_alu instid0(VALU_DEP_2) | instskip(NEXT) | instid1(VALU_DEP_1)
	v_cvt_f64_f32_e32 v[6:7], v12
	v_frexp_exp_i32_f64_e32 v6, v[6:7]
	v_frexp_mant_f32_e32 v7, v12
	s_delay_alu instid0(VALU_DEP_1) | instskip(SKIP_1) | instid1(VALU_DEP_1)
	v_cmp_gt_f32_e64 s1, 0x3f2aaaab, v7
	v_add_f32_e32 v7, -1.0, v12
	v_sub_f32_e32 v19, v7, v12
	s_delay_alu instid0(VALU_DEP_3) | instskip(SKIP_1) | instid1(VALU_DEP_1)
	v_subrev_co_ci_u32_e64 v6, s1, 0, v6, s1
	s_mov_b32 s1, 0x3e9b6dac
	v_sub_nc_u32_e32 v18, 0, v6
	v_cvt_f32_i32_e32 v6, v6
	s_delay_alu instid0(VALU_DEP_2) | instskip(SKIP_1) | instid1(VALU_DEP_2)
	v_ldexp_f32 v12, v12, v18
	v_sub_f32_e32 v7, v3, v7
	v_dual_add_f32 v19, 1.0, v19 :: v_dual_add_f32 v20, 1.0, v12
	s_delay_alu instid0(VALU_DEP_1) | instskip(NEXT) | instid1(VALU_DEP_2)
	v_add_f32_e32 v7, v7, v19
	v_add_f32_e32 v19, -1.0, v20
	s_delay_alu instid0(VALU_DEP_2) | instskip(NEXT) | instid1(VALU_DEP_2)
	v_ldexp_f32 v7, v7, v18
	v_dual_add_f32 v18, -1.0, v12 :: v_dual_sub_f32 v19, v12, v19
	s_delay_alu instid0(VALU_DEP_1) | instskip(NEXT) | instid1(VALU_DEP_1)
	v_add_f32_e32 v21, 1.0, v18
	v_dual_add_f32 v19, v7, v19 :: v_dual_sub_f32 v12, v12, v21
	s_delay_alu instid0(VALU_DEP_1) | instskip(NEXT) | instid1(VALU_DEP_1)
	v_add_f32_e32 v7, v7, v12
	v_add_f32_e32 v54, v18, v7
	s_delay_alu instid0(VALU_DEP_1) | instskip(NEXT) | instid1(VALU_DEP_1)
	v_dual_sub_f32 v18, v18, v54 :: v_dual_add_f32 v21, v20, v19
	v_rcp_f32_e32 v12, v21
	v_sub_f32_e32 v20, v20, v21
	s_delay_alu instid0(VALU_DEP_1) | instskip(SKIP_2) | instid1(VALU_DEP_1)
	v_add_f32_e32 v19, v19, v20
	s_waitcnt_depctr 0xfff
	v_mul_f32_e32 v55, v54, v12
	v_mul_f32_e32 v64, v21, v55
	s_delay_alu instid0(VALU_DEP_1) | instskip(NEXT) | instid1(VALU_DEP_1)
	v_fma_f32 v20, v55, v21, -v64
	v_fmac_f32_e32 v20, v55, v19
	s_delay_alu instid0(VALU_DEP_1) | instskip(NEXT) | instid1(VALU_DEP_1)
	v_add_f32_e32 v65, v64, v20
	v_dual_add_f32 v7, v7, v18 :: v_dual_sub_f32 v18, v65, v64
	v_sub_f32_e32 v66, v54, v65
	s_delay_alu instid0(VALU_DEP_1) | instskip(NEXT) | instid1(VALU_DEP_1)
	v_sub_f32_e32 v54, v54, v66
	v_sub_f32_e32 v54, v54, v65
	s_delay_alu instid0(VALU_DEP_1) | instskip(NEXT) | instid1(VALU_DEP_1)
	v_dual_sub_f32 v18, v18, v20 :: v_dual_add_f32 v7, v7, v54
	v_add_f32_e32 v7, v18, v7
	s_delay_alu instid0(VALU_DEP_1) | instskip(NEXT) | instid1(VALU_DEP_1)
	v_add_f32_e32 v18, v66, v7
	v_mul_f32_e32 v20, v12, v18
	s_delay_alu instid0(VALU_DEP_1) | instskip(NEXT) | instid1(VALU_DEP_1)
	v_dual_sub_f32 v65, v66, v18 :: v_dual_mul_f32 v54, v21, v20
	v_add_f32_e32 v7, v7, v65
	s_delay_alu instid0(VALU_DEP_2) | instskip(NEXT) | instid1(VALU_DEP_1)
	v_fma_f32 v21, v20, v21, -v54
	v_fmac_f32_e32 v21, v20, v19
	s_delay_alu instid0(VALU_DEP_1) | instskip(NEXT) | instid1(VALU_DEP_1)
	v_add_f32_e32 v19, v54, v21
	v_sub_f32_e32 v64, v18, v19
	s_delay_alu instid0(VALU_DEP_1) | instskip(NEXT) | instid1(VALU_DEP_1)
	v_sub_f32_e32 v18, v18, v64
	v_sub_f32_e32 v18, v18, v19
	s_delay_alu instid0(VALU_DEP_1) | instskip(SKIP_2) | instid1(VALU_DEP_1)
	v_add_f32_e32 v7, v7, v18
	v_add_f32_e32 v18, v55, v20
	v_sub_f32_e32 v54, v19, v54
	v_sub_f32_e32 v19, v54, v21
	s_delay_alu instid0(VALU_DEP_1) | instskip(NEXT) | instid1(VALU_DEP_4)
	v_add_f32_e32 v7, v19, v7
	v_sub_f32_e32 v19, v18, v55
	s_delay_alu instid0(VALU_DEP_2) | instskip(NEXT) | instid1(VALU_DEP_2)
	v_add_f32_e32 v7, v64, v7
	v_sub_f32_e32 v19, v20, v19
	s_delay_alu instid0(VALU_DEP_2) | instskip(NEXT) | instid1(VALU_DEP_1)
	v_mul_f32_e32 v7, v12, v7
	v_add_f32_e32 v7, v19, v7
	s_delay_alu instid0(VALU_DEP_1) | instskip(NEXT) | instid1(VALU_DEP_1)
	v_add_f32_e32 v12, v18, v7
	v_mul_f32_e32 v19, v12, v12
	s_delay_alu instid0(VALU_DEP_1) | instskip(SKIP_2) | instid1(VALU_DEP_3)
	v_fmaak_f32 v20, s1, v19, 0x3ecc95a3
	v_mul_f32_e32 v21, v12, v19
	v_cmp_eq_f32_e64 s1, 0x7f800000, v3
	v_fmaak_f32 v19, v19, v20, 0x3f2aaada
	v_ldexp_f32 v20, v12, 1
	v_sub_f32_e32 v12, v12, v18
	s_delay_alu instid0(VALU_DEP_4) | instskip(NEXT) | instid1(VALU_DEP_3)
	s_or_b32 s1, s1, s4
	v_mul_f32_e32 v19, v21, v19
	v_mul_f32_e32 v21, 0x3f317218, v6
	s_delay_alu instid0(VALU_DEP_2) | instskip(NEXT) | instid1(VALU_DEP_1)
	v_dual_sub_f32 v7, v7, v12 :: v_dual_add_f32 v18, v20, v19
	v_ldexp_f32 v7, v7, 1
	s_delay_alu instid0(VALU_DEP_2) | instskip(NEXT) | instid1(VALU_DEP_4)
	v_sub_f32_e32 v12, v18, v20
	v_fma_f32 v20, 0x3f317218, v6, -v21
	s_delay_alu instid0(VALU_DEP_2) | instskip(NEXT) | instid1(VALU_DEP_1)
	v_sub_f32_e32 v12, v19, v12
	v_dual_fmamk_f32 v6, v6, 0xb102e308, v20 :: v_dual_add_f32 v7, v7, v12
	s_delay_alu instid0(VALU_DEP_1) | instskip(NEXT) | instid1(VALU_DEP_1)
	v_dual_add_f32 v12, v21, v6 :: v_dual_add_f32 v19, v18, v7
	v_add_f32_e32 v20, v12, v19
	v_sub_f32_e32 v18, v19, v18
	s_delay_alu instid0(VALU_DEP_2) | instskip(SKIP_1) | instid1(VALU_DEP_2)
	v_sub_f32_e32 v54, v20, v12
	v_sub_f32_e32 v21, v12, v21
	;; [unrolled: 1-line block ×3, first 2 shown]
	s_delay_alu instid0(VALU_DEP_1) | instskip(SKIP_1) | instid1(VALU_DEP_4)
	v_dual_sub_f32 v12, v12, v55 :: v_dual_sub_f32 v7, v7, v18
	v_sub_f32_e32 v18, v19, v54
	v_sub_f32_e32 v6, v6, v21
	s_delay_alu instid0(VALU_DEP_2) | instskip(NEXT) | instid1(VALU_DEP_2)
	v_add_f32_e32 v12, v18, v12
	v_add_f32_e32 v19, v6, v7
	s_delay_alu instid0(VALU_DEP_1) | instskip(NEXT) | instid1(VALU_DEP_1)
	v_add_f32_e32 v12, v19, v12
	v_dual_sub_f32 v18, v19, v6 :: v_dual_add_f32 v21, v20, v12
	s_delay_alu instid0(VALU_DEP_1) | instskip(NEXT) | instid1(VALU_DEP_1)
	v_sub_f32_e32 v19, v19, v18
	v_dual_sub_f32 v6, v6, v19 :: v_dual_sub_f32 v7, v7, v18
	s_delay_alu instid0(VALU_DEP_3) | instskip(NEXT) | instid1(VALU_DEP_2)
	v_sub_f32_e32 v18, v21, v20
	v_add_f32_e32 v6, v7, v6
	s_delay_alu instid0(VALU_DEP_2) | instskip(NEXT) | instid1(VALU_DEP_1)
	v_sub_f32_e32 v7, v12, v18
	v_add_f32_e32 v6, v6, v7
	s_delay_alu instid0(VALU_DEP_1) | instskip(NEXT) | instid1(VALU_DEP_1)
	v_add_f32_e32 v6, v21, v6
	v_cndmask_b32_e64 v3, v6, v3, s1
	s_delay_alu instid0(VALU_DEP_1)
	v_add_f32_e32 v3, v2, v3
.LBB501_241:
	s_or_b32 exec_lo, exec_lo, s3
	s_delay_alu instid0(VALU_DEP_1) | instskip(SKIP_1) | instid1(VALU_DEP_2)
	v_bfe_u32 v2, v3, 16, 1
	v_cmp_o_f32_e64 s1, v3, v3
	v_add3_u32 v2, v3, v2, 0x7fff
	s_delay_alu instid0(VALU_DEP_1) | instskip(NEXT) | instid1(VALU_DEP_1)
	v_lshrrev_b32_e32 v2, 16, v2
	v_cndmask_b32_e64 v18, 0x7fc0, v2, s1
.LBB501_242:
	s_or_b32 exec_lo, exec_lo, s2
	s_delay_alu instid0(VALU_DEP_1) | instskip(SKIP_1) | instid1(VALU_DEP_2)
	v_dual_max_f32 v19, v13, v13 :: v_dual_lshlrev_b32 v20, 16, v18
	v_cmp_u_f32_e64 s1, v13, v13
	v_max_f32_e32 v86, v20, v20
	v_cmp_u_f32_e64 s22, v20, v20
	s_delay_alu instid0(VALU_DEP_2) | instskip(SKIP_1) | instid1(VALU_DEP_2)
	v_min_f32_e32 v54, v86, v19
	v_max_f32_e32 v55, v86, v19
	v_cndmask_b32_e64 v2, v54, v20, s22
	s_delay_alu instid0(VALU_DEP_2) | instskip(NEXT) | instid1(VALU_DEP_2)
	v_cndmask_b32_e64 v3, v55, v20, s22
	v_cndmask_b32_e64 v6, v2, v13, s1
	s_delay_alu instid0(VALU_DEP_2) | instskip(SKIP_1) | instid1(VALU_DEP_3)
	v_cndmask_b32_e64 v2, v3, v13, s1
	v_mov_b32_e32 v3, v20
	v_cmp_class_f32_e64 s3, v6, 0x1f8
	s_delay_alu instid0(VALU_DEP_3) | instskip(NEXT) | instid1(VALU_DEP_1)
	v_cmp_neq_f32_e64 s2, v6, v2
	s_or_b32 s2, s2, s3
	s_delay_alu instid0(SALU_CYCLE_1)
	s_and_saveexec_b32 s3, s2
	s_cbranch_execz .LBB501_244
; %bb.243:
	v_sub_f32_e32 v3, v6, v2
	s_delay_alu instid0(VALU_DEP_1) | instskip(SKIP_1) | instid1(VALU_DEP_2)
	v_mul_f32_e32 v6, 0x3fb8aa3b, v3
	v_cmp_ngt_f32_e64 s2, 0xc2ce8ed0, v3
	v_fma_f32 v7, 0x3fb8aa3b, v3, -v6
	v_rndne_f32_e32 v12, v6
	s_delay_alu instid0(VALU_DEP_1) | instskip(NEXT) | instid1(VALU_DEP_1)
	v_dual_fmamk_f32 v7, v3, 0x32a5705f, v7 :: v_dual_sub_f32 v6, v6, v12
	v_add_f32_e32 v6, v6, v7
	v_cvt_i32_f32_e32 v7, v12
	s_delay_alu instid0(VALU_DEP_2) | instskip(SKIP_2) | instid1(VALU_DEP_1)
	v_exp_f32_e32 v6, v6
	s_waitcnt_depctr 0xfff
	v_ldexp_f32 v6, v6, v7
	v_cndmask_b32_e64 v6, 0, v6, s2
	v_cmp_nlt_f32_e64 s2, 0x42b17218, v3
	s_delay_alu instid0(VALU_DEP_1) | instskip(NEXT) | instid1(VALU_DEP_1)
	v_cndmask_b32_e64 v3, 0x7f800000, v6, s2
	v_add_f32_e32 v12, 1.0, v3
	v_cmp_gt_f32_e64 s4, 0x33800000, |v3|
	s_delay_alu instid0(VALU_DEP_2) | instskip(NEXT) | instid1(VALU_DEP_1)
	v_cvt_f64_f32_e32 v[6:7], v12
	v_frexp_exp_i32_f64_e32 v6, v[6:7]
	v_frexp_mant_f32_e32 v7, v12
	s_delay_alu instid0(VALU_DEP_1) | instskip(SKIP_1) | instid1(VALU_DEP_1)
	v_cmp_gt_f32_e64 s2, 0x3f2aaaab, v7
	v_add_f32_e32 v7, -1.0, v12
	v_sub_f32_e32 v64, v7, v12
	s_delay_alu instid0(VALU_DEP_1) | instskip(NEXT) | instid1(VALU_DEP_1)
	v_dual_sub_f32 v7, v3, v7 :: v_dual_add_f32 v64, 1.0, v64
	v_add_f32_e32 v7, v7, v64
	v_subrev_co_ci_u32_e64 v6, s2, 0, v6, s2
	s_mov_b32 s2, 0x3e9b6dac
	s_delay_alu instid0(VALU_DEP_1) | instskip(SKIP_1) | instid1(VALU_DEP_2)
	v_sub_nc_u32_e32 v21, 0, v6
	v_cvt_f32_i32_e32 v6, v6
	v_ldexp_f32 v12, v12, v21
	v_ldexp_f32 v7, v7, v21
	s_delay_alu instid0(VALU_DEP_2) | instskip(NEXT) | instid1(VALU_DEP_1)
	v_add_f32_e32 v65, 1.0, v12
	v_dual_add_f32 v21, -1.0, v12 :: v_dual_add_f32 v64, -1.0, v65
	s_delay_alu instid0(VALU_DEP_1) | instskip(NEXT) | instid1(VALU_DEP_2)
	v_add_f32_e32 v66, 1.0, v21
	v_sub_f32_e32 v64, v12, v64
	s_delay_alu instid0(VALU_DEP_2) | instskip(NEXT) | instid1(VALU_DEP_2)
	v_sub_f32_e32 v12, v12, v66
	v_add_f32_e32 v64, v7, v64
	s_delay_alu instid0(VALU_DEP_2) | instskip(NEXT) | instid1(VALU_DEP_1)
	v_add_f32_e32 v7, v7, v12
	v_add_f32_e32 v67, v21, v7
	s_delay_alu instid0(VALU_DEP_3) | instskip(NEXT) | instid1(VALU_DEP_2)
	v_add_f32_e32 v66, v65, v64
	v_sub_f32_e32 v21, v21, v67
	s_delay_alu instid0(VALU_DEP_2) | instskip(SKIP_1) | instid1(VALU_DEP_1)
	v_rcp_f32_e32 v12, v66
	v_sub_f32_e32 v65, v65, v66
	v_add_f32_e32 v64, v64, v65
	s_delay_alu instid0(VALU_DEP_3) | instskip(SKIP_2) | instid1(VALU_DEP_1)
	v_add_f32_e32 v7, v7, v21
	s_waitcnt_depctr 0xfff
	v_mul_f32_e32 v68, v67, v12
	v_mul_f32_e32 v69, v66, v68
	s_delay_alu instid0(VALU_DEP_1) | instskip(NEXT) | instid1(VALU_DEP_1)
	v_fma_f32 v65, v68, v66, -v69
	v_fmac_f32_e32 v65, v68, v64
	s_delay_alu instid0(VALU_DEP_1) | instskip(NEXT) | instid1(VALU_DEP_1)
	v_add_f32_e32 v70, v69, v65
	v_sub_f32_e32 v71, v67, v70
	s_delay_alu instid0(VALU_DEP_1) | instskip(NEXT) | instid1(VALU_DEP_1)
	v_sub_f32_e32 v67, v67, v71
	v_sub_f32_e32 v67, v67, v70
	s_delay_alu instid0(VALU_DEP_1) | instskip(SKIP_1) | instid1(VALU_DEP_1)
	v_add_f32_e32 v7, v7, v67
	v_sub_f32_e32 v21, v70, v69
	v_sub_f32_e32 v21, v21, v65
	s_delay_alu instid0(VALU_DEP_1) | instskip(NEXT) | instid1(VALU_DEP_1)
	v_add_f32_e32 v7, v21, v7
	v_add_f32_e32 v21, v71, v7
	s_delay_alu instid0(VALU_DEP_1) | instskip(SKIP_1) | instid1(VALU_DEP_2)
	v_mul_f32_e32 v65, v12, v21
	v_sub_f32_e32 v70, v71, v21
	v_mul_f32_e32 v67, v66, v65
	s_delay_alu instid0(VALU_DEP_2) | instskip(NEXT) | instid1(VALU_DEP_2)
	v_add_f32_e32 v7, v7, v70
	v_fma_f32 v66, v65, v66, -v67
	s_delay_alu instid0(VALU_DEP_1) | instskip(NEXT) | instid1(VALU_DEP_1)
	v_fmac_f32_e32 v66, v65, v64
	v_add_f32_e32 v64, v67, v66
	s_delay_alu instid0(VALU_DEP_1) | instskip(SKIP_1) | instid1(VALU_DEP_2)
	v_sub_f32_e32 v69, v21, v64
	v_sub_f32_e32 v67, v64, v67
	;; [unrolled: 1-line block ×3, first 2 shown]
	s_delay_alu instid0(VALU_DEP_1) | instskip(NEXT) | instid1(VALU_DEP_1)
	v_dual_sub_f32 v21, v21, v64 :: v_dual_sub_f32 v64, v67, v66
	v_add_f32_e32 v7, v7, v21
	v_add_f32_e32 v21, v68, v65
	s_delay_alu instid0(VALU_DEP_1) | instskip(NEXT) | instid1(VALU_DEP_1)
	v_dual_add_f32 v7, v64, v7 :: v_dual_sub_f32 v64, v21, v68
	v_add_f32_e32 v7, v69, v7
	s_delay_alu instid0(VALU_DEP_1) | instskip(NEXT) | instid1(VALU_DEP_1)
	v_dual_sub_f32 v64, v65, v64 :: v_dual_mul_f32 v7, v12, v7
	v_add_f32_e32 v7, v64, v7
	s_delay_alu instid0(VALU_DEP_1) | instskip(NEXT) | instid1(VALU_DEP_1)
	v_add_f32_e32 v12, v21, v7
	v_mul_f32_e32 v64, v12, v12
	s_delay_alu instid0(VALU_DEP_1) | instskip(SKIP_2) | instid1(VALU_DEP_3)
	v_fmaak_f32 v65, s2, v64, 0x3ecc95a3
	v_mul_f32_e32 v66, v12, v64
	v_cmp_eq_f32_e64 s2, 0x7f800000, v3
	v_fmaak_f32 v64, v64, v65, 0x3f2aaada
	v_ldexp_f32 v65, v12, 1
	v_sub_f32_e32 v12, v12, v21
	s_delay_alu instid0(VALU_DEP_4) | instskip(NEXT) | instid1(VALU_DEP_3)
	s_or_b32 s2, s2, s4
	v_mul_f32_e32 v64, v66, v64
	s_delay_alu instid0(VALU_DEP_2) | instskip(NEXT) | instid1(VALU_DEP_2)
	v_dual_mul_f32 v66, 0x3f317218, v6 :: v_dual_sub_f32 v7, v7, v12
	v_add_f32_e32 v21, v65, v64
	s_delay_alu instid0(VALU_DEP_2) | instskip(NEXT) | instid1(VALU_DEP_2)
	v_ldexp_f32 v7, v7, 1
	v_sub_f32_e32 v12, v21, v65
	s_delay_alu instid0(VALU_DEP_4) | instskip(NEXT) | instid1(VALU_DEP_2)
	v_fma_f32 v65, 0x3f317218, v6, -v66
	v_sub_f32_e32 v12, v64, v12
	s_delay_alu instid0(VALU_DEP_1) | instskip(NEXT) | instid1(VALU_DEP_1)
	v_dual_fmamk_f32 v6, v6, 0xb102e308, v65 :: v_dual_add_f32 v7, v7, v12
	v_add_f32_e32 v12, v66, v6
	s_delay_alu instid0(VALU_DEP_2) | instskip(NEXT) | instid1(VALU_DEP_2)
	v_add_f32_e32 v64, v21, v7
	v_sub_f32_e32 v66, v12, v66
	s_delay_alu instid0(VALU_DEP_2) | instskip(NEXT) | instid1(VALU_DEP_2)
	v_add_f32_e32 v65, v12, v64
	v_dual_sub_f32 v21, v64, v21 :: v_dual_sub_f32 v6, v6, v66
	s_delay_alu instid0(VALU_DEP_2) | instskip(NEXT) | instid1(VALU_DEP_1)
	v_sub_f32_e32 v67, v65, v12
	v_dual_sub_f32 v68, v65, v67 :: v_dual_sub_f32 v7, v7, v21
	v_sub_f32_e32 v21, v64, v67
	s_delay_alu instid0(VALU_DEP_2) | instskip(NEXT) | instid1(VALU_DEP_3)
	v_sub_f32_e32 v12, v12, v68
	v_add_f32_e32 v64, v6, v7
	s_delay_alu instid0(VALU_DEP_1) | instskip(NEXT) | instid1(VALU_DEP_1)
	v_dual_add_f32 v12, v21, v12 :: v_dual_sub_f32 v21, v64, v6
	v_dual_add_f32 v12, v64, v12 :: v_dual_sub_f32 v7, v7, v21
	v_sub_f32_e32 v64, v64, v21
	s_delay_alu instid0(VALU_DEP_1) | instskip(NEXT) | instid1(VALU_DEP_1)
	v_sub_f32_e32 v6, v6, v64
	v_add_f32_e32 v6, v7, v6
	s_delay_alu instid0(VALU_DEP_4) | instskip(NEXT) | instid1(VALU_DEP_1)
	v_add_f32_e32 v66, v65, v12
	v_sub_f32_e32 v21, v66, v65
	s_delay_alu instid0(VALU_DEP_1) | instskip(NEXT) | instid1(VALU_DEP_1)
	v_sub_f32_e32 v7, v12, v21
	v_add_f32_e32 v6, v6, v7
	s_delay_alu instid0(VALU_DEP_1) | instskip(NEXT) | instid1(VALU_DEP_1)
	v_add_f32_e32 v6, v66, v6
	v_cndmask_b32_e64 v3, v6, v3, s2
	s_delay_alu instid0(VALU_DEP_1)
	v_add_f32_e32 v3, v2, v3
.LBB501_244:
	s_or_b32 exec_lo, exec_lo, s3
	s_delay_alu instid0(VALU_DEP_1) | instskip(SKIP_1) | instid1(VALU_DEP_2)
	v_bfe_u32 v2, v3, 16, 1
	v_cmp_o_f32_e64 s2, v3, v3
	v_add3_u32 v2, v3, v2, 0x7fff
	s_delay_alu instid0(VALU_DEP_1) | instskip(NEXT) | instid1(VALU_DEP_1)
	v_and_b32_e32 v6, 0xffff0000, v2
	v_cndmask_b32_e64 v6, 0x7fc00000, v6, s2
	s_delay_alu instid0(VALU_DEP_1) | instskip(NEXT) | instid1(VALU_DEP_1)
	v_dual_max_f32 v3, v6, v6 :: v_dual_lshlrev_b32 v2, 16, v53
	v_max_f32_e32 v7, v2, v2
	v_cmp_u_f32_e64 s2, v6, v6
	s_delay_alu instid0(VALU_DEP_2) | instskip(SKIP_1) | instid1(VALU_DEP_2)
	v_min_f32_e32 v12, v3, v7
	v_max_f32_e32 v3, v3, v7
	v_cndmask_b32_e64 v12, v12, v6, s2
	s_delay_alu instid0(VALU_DEP_2) | instskip(SKIP_1) | instid1(VALU_DEP_1)
	v_cndmask_b32_e64 v3, v3, v6, s2
	v_cmp_u_f32_e64 s2, v2, v2
	v_cndmask_b32_e64 v12, v12, v2, s2
	s_delay_alu instid0(VALU_DEP_3) | instskip(NEXT) | instid1(VALU_DEP_2)
	v_cndmask_b32_e64 v3, v3, v2, s2
	v_cmp_class_f32_e64 s4, v12, 0x1f8
	s_delay_alu instid0(VALU_DEP_2) | instskip(NEXT) | instid1(VALU_DEP_1)
	v_cmp_neq_f32_e64 s3, v12, v3
	s_or_b32 s3, s3, s4
	s_delay_alu instid0(SALU_CYCLE_1)
	s_and_saveexec_b32 s4, s3
	s_cbranch_execz .LBB501_246
; %bb.245:
	v_sub_f32_e32 v6, v12, v3
	s_delay_alu instid0(VALU_DEP_1) | instskip(SKIP_1) | instid1(VALU_DEP_2)
	v_mul_f32_e32 v12, 0x3fb8aa3b, v6
	v_cmp_ngt_f32_e64 s3, 0xc2ce8ed0, v6
	v_fma_f32 v21, 0x3fb8aa3b, v6, -v12
	v_rndne_f32_e32 v53, v12
	s_delay_alu instid0(VALU_DEP_1) | instskip(NEXT) | instid1(VALU_DEP_1)
	v_dual_fmamk_f32 v21, v6, 0x32a5705f, v21 :: v_dual_sub_f32 v12, v12, v53
	v_add_f32_e32 v12, v12, v21
	v_cvt_i32_f32_e32 v21, v53
	s_delay_alu instid0(VALU_DEP_2) | instskip(SKIP_2) | instid1(VALU_DEP_1)
	v_exp_f32_e32 v12, v12
	s_waitcnt_depctr 0xfff
	v_ldexp_f32 v12, v12, v21
	v_cndmask_b32_e64 v12, 0, v12, s3
	v_cmp_nlt_f32_e64 s3, 0x42b17218, v6
	s_delay_alu instid0(VALU_DEP_1) | instskip(NEXT) | instid1(VALU_DEP_1)
	v_cndmask_b32_e64 v6, 0x7f800000, v12, s3
	v_add_f32_e32 v12, 1.0, v6
	v_cmp_gt_f32_e64 s5, 0x33800000, |v6|
	s_delay_alu instid0(VALU_DEP_2) | instskip(SKIP_1) | instid1(VALU_DEP_1)
	v_cvt_f64_f32_e32 v[64:65], v12
	v_frexp_mant_f32_e32 v53, v12
	v_cmp_gt_f32_e64 s3, 0x3f2aaaab, v53
	v_add_f32_e32 v53, -1.0, v12
	s_delay_alu instid0(VALU_DEP_4) | instskip(NEXT) | instid1(VALU_DEP_2)
	v_frexp_exp_i32_f64_e32 v21, v[64:65]
	v_sub_f32_e32 v65, v53, v12
	v_sub_f32_e32 v53, v6, v53
	s_delay_alu instid0(VALU_DEP_2) | instskip(NEXT) | instid1(VALU_DEP_1)
	v_add_f32_e32 v65, 1.0, v65
	v_add_f32_e32 v53, v53, v65
	v_subrev_co_ci_u32_e64 v21, s3, 0, v21, s3
	s_mov_b32 s3, 0x3e9b6dac
	s_delay_alu instid0(VALU_DEP_1) | instskip(SKIP_1) | instid1(VALU_DEP_2)
	v_sub_nc_u32_e32 v64, 0, v21
	v_cvt_f32_i32_e32 v21, v21
	v_ldexp_f32 v12, v12, v64
	v_ldexp_f32 v53, v53, v64
	s_delay_alu instid0(VALU_DEP_2) | instskip(NEXT) | instid1(VALU_DEP_1)
	v_add_f32_e32 v66, 1.0, v12
	v_dual_add_f32 v65, -1.0, v66 :: v_dual_add_f32 v64, -1.0, v12
	s_delay_alu instid0(VALU_DEP_1) | instskip(NEXT) | instid1(VALU_DEP_2)
	v_sub_f32_e32 v65, v12, v65
	v_add_f32_e32 v67, 1.0, v64
	s_delay_alu instid0(VALU_DEP_1) | instskip(NEXT) | instid1(VALU_DEP_1)
	v_sub_f32_e32 v12, v12, v67
	v_add_f32_e32 v12, v53, v12
	s_delay_alu instid0(VALU_DEP_1) | instskip(NEXT) | instid1(VALU_DEP_1)
	v_dual_add_f32 v65, v53, v65 :: v_dual_add_f32 v68, v64, v12
	v_dual_add_f32 v67, v66, v65 :: v_dual_sub_f32 v64, v64, v68
	s_delay_alu instid0(VALU_DEP_1) | instskip(SKIP_1) | instid1(VALU_DEP_1)
	v_rcp_f32_e32 v53, v67
	v_sub_f32_e32 v66, v66, v67
	v_add_f32_e32 v65, v65, v66
	s_waitcnt_depctr 0xfff
	v_mul_f32_e32 v69, v68, v53
	v_add_f32_e32 v12, v12, v64
	s_delay_alu instid0(VALU_DEP_2) | instskip(NEXT) | instid1(VALU_DEP_1)
	v_mul_f32_e32 v70, v67, v69
	v_fma_f32 v66, v69, v67, -v70
	s_delay_alu instid0(VALU_DEP_1) | instskip(NEXT) | instid1(VALU_DEP_1)
	v_fmac_f32_e32 v66, v69, v65
	v_add_f32_e32 v71, v70, v66
	s_delay_alu instid0(VALU_DEP_1) | instskip(SKIP_1) | instid1(VALU_DEP_2)
	v_sub_f32_e32 v80, v68, v71
	v_sub_f32_e32 v64, v71, v70
	;; [unrolled: 1-line block ×3, first 2 shown]
	s_delay_alu instid0(VALU_DEP_2) | instskip(NEXT) | instid1(VALU_DEP_2)
	v_sub_f32_e32 v64, v64, v66
	v_sub_f32_e32 v68, v68, v71
	s_delay_alu instid0(VALU_DEP_1) | instskip(NEXT) | instid1(VALU_DEP_1)
	v_add_f32_e32 v12, v12, v68
	v_add_f32_e32 v12, v64, v12
	s_delay_alu instid0(VALU_DEP_1) | instskip(NEXT) | instid1(VALU_DEP_1)
	v_add_f32_e32 v64, v80, v12
	v_mul_f32_e32 v66, v53, v64
	s_delay_alu instid0(VALU_DEP_1) | instskip(NEXT) | instid1(VALU_DEP_1)
	v_dual_sub_f32 v71, v80, v64 :: v_dual_mul_f32 v68, v67, v66
	v_add_f32_e32 v12, v12, v71
	s_delay_alu instid0(VALU_DEP_2) | instskip(NEXT) | instid1(VALU_DEP_1)
	v_fma_f32 v67, v66, v67, -v68
	v_fmac_f32_e32 v67, v66, v65
	s_delay_alu instid0(VALU_DEP_1) | instskip(NEXT) | instid1(VALU_DEP_1)
	v_add_f32_e32 v65, v68, v67
	v_sub_f32_e32 v70, v64, v65
	v_sub_f32_e32 v68, v65, v68
	s_delay_alu instid0(VALU_DEP_2) | instskip(NEXT) | instid1(VALU_DEP_1)
	v_sub_f32_e32 v64, v64, v70
	v_sub_f32_e32 v64, v64, v65
	s_delay_alu instid0(VALU_DEP_3) | instskip(NEXT) | instid1(VALU_DEP_2)
	v_sub_f32_e32 v65, v68, v67
	v_add_f32_e32 v12, v12, v64
	v_add_f32_e32 v64, v69, v66
	s_delay_alu instid0(VALU_DEP_1) | instskip(NEXT) | instid1(VALU_DEP_1)
	v_dual_add_f32 v12, v65, v12 :: v_dual_sub_f32 v65, v64, v69
	v_add_f32_e32 v12, v70, v12
	s_delay_alu instid0(VALU_DEP_1) | instskip(NEXT) | instid1(VALU_DEP_1)
	v_dual_sub_f32 v65, v66, v65 :: v_dual_mul_f32 v12, v53, v12
	v_add_f32_e32 v12, v65, v12
	s_delay_alu instid0(VALU_DEP_1) | instskip(NEXT) | instid1(VALU_DEP_1)
	v_add_f32_e32 v53, v64, v12
	v_mul_f32_e32 v65, v53, v53
	s_delay_alu instid0(VALU_DEP_1) | instskip(SKIP_2) | instid1(VALU_DEP_3)
	v_fmaak_f32 v66, s3, v65, 0x3ecc95a3
	v_mul_f32_e32 v67, v53, v65
	v_cmp_eq_f32_e64 s3, 0x7f800000, v6
	v_fmaak_f32 v65, v65, v66, 0x3f2aaada
	v_ldexp_f32 v66, v53, 1
	v_sub_f32_e32 v53, v53, v64
	s_delay_alu instid0(VALU_DEP_4) | instskip(NEXT) | instid1(VALU_DEP_3)
	s_or_b32 s3, s3, s5
	v_mul_f32_e32 v65, v67, v65
	v_mul_f32_e32 v67, 0x3f317218, v21
	s_delay_alu instid0(VALU_DEP_3) | instskip(NEXT) | instid1(VALU_DEP_3)
	v_sub_f32_e32 v12, v12, v53
	v_add_f32_e32 v64, v66, v65
	s_delay_alu instid0(VALU_DEP_2) | instskip(NEXT) | instid1(VALU_DEP_2)
	v_ldexp_f32 v12, v12, 1
	v_sub_f32_e32 v53, v64, v66
	v_fma_f32 v66, 0x3f317218, v21, -v67
	s_delay_alu instid0(VALU_DEP_2) | instskip(NEXT) | instid1(VALU_DEP_1)
	v_sub_f32_e32 v53, v65, v53
	v_dual_fmamk_f32 v21, v21, 0xb102e308, v66 :: v_dual_add_f32 v12, v12, v53
	s_delay_alu instid0(VALU_DEP_1) | instskip(NEXT) | instid1(VALU_DEP_2)
	v_add_f32_e32 v53, v67, v21
	v_add_f32_e32 v65, v64, v12
	s_delay_alu instid0(VALU_DEP_2) | instskip(NEXT) | instid1(VALU_DEP_2)
	v_sub_f32_e32 v67, v53, v67
	v_add_f32_e32 v66, v53, v65
	s_delay_alu instid0(VALU_DEP_1) | instskip(SKIP_1) | instid1(VALU_DEP_2)
	v_dual_sub_f32 v21, v21, v67 :: v_dual_sub_f32 v68, v66, v53
	v_sub_f32_e32 v64, v65, v64
	v_sub_f32_e32 v69, v66, v68
	s_delay_alu instid0(VALU_DEP_2) | instskip(SKIP_1) | instid1(VALU_DEP_3)
	v_sub_f32_e32 v12, v12, v64
	v_sub_f32_e32 v64, v65, v68
	;; [unrolled: 1-line block ×3, first 2 shown]
	s_delay_alu instid0(VALU_DEP_3) | instskip(NEXT) | instid1(VALU_DEP_2)
	v_add_f32_e32 v65, v21, v12
	v_add_f32_e32 v53, v64, v53
	s_delay_alu instid0(VALU_DEP_2) | instskip(NEXT) | instid1(VALU_DEP_1)
	v_sub_f32_e32 v64, v65, v21
	v_dual_add_f32 v53, v65, v53 :: v_dual_sub_f32 v12, v12, v64
	v_sub_f32_e32 v65, v65, v64
	s_delay_alu instid0(VALU_DEP_2) | instskip(NEXT) | instid1(VALU_DEP_1)
	v_add_f32_e32 v67, v66, v53
	v_dual_sub_f32 v21, v21, v65 :: v_dual_sub_f32 v64, v67, v66
	s_delay_alu instid0(VALU_DEP_1) | instskip(NEXT) | instid1(VALU_DEP_1)
	v_dual_add_f32 v12, v12, v21 :: v_dual_sub_f32 v21, v53, v64
	v_add_f32_e32 v12, v12, v21
	s_delay_alu instid0(VALU_DEP_1) | instskip(NEXT) | instid1(VALU_DEP_1)
	v_add_f32_e32 v12, v67, v12
	v_cndmask_b32_e64 v6, v12, v6, s3
	s_delay_alu instid0(VALU_DEP_1)
	v_add_f32_e32 v6, v3, v6
.LBB501_246:
	s_or_b32 exec_lo, exec_lo, s4
	s_delay_alu instid0(VALU_DEP_1) | instskip(SKIP_1) | instid1(VALU_DEP_2)
	v_bfe_u32 v3, v6, 16, 1
	v_cmp_o_f32_e64 s3, v6, v6
	v_add3_u32 v3, v6, v3, 0x7fff
	s_delay_alu instid0(VALU_DEP_1) | instskip(NEXT) | instid1(VALU_DEP_1)
	v_and_b32_e32 v12, 0xffff0000, v3
	v_cndmask_b32_e64 v12, 0x7fc00000, v12, s3
	s_delay_alu instid0(VALU_DEP_1) | instskip(SKIP_2) | instid1(VALU_DEP_2)
	v_max_f32_e32 v6, v12, v12
	v_lshlrev_b32_e32 v3, 16, v52
	v_cmp_u_f32_e64 s3, v12, v12
	v_max_f32_e32 v21, v3, v3
	s_delay_alu instid0(VALU_DEP_1) | instskip(SKIP_1) | instid1(VALU_DEP_2)
	v_min_f32_e32 v52, v6, v21
	v_max_f32_e32 v6, v6, v21
	v_cndmask_b32_e64 v52, v52, v12, s3
	s_delay_alu instid0(VALU_DEP_2) | instskip(SKIP_1) | instid1(VALU_DEP_1)
	v_cndmask_b32_e64 v6, v6, v12, s3
	v_cmp_u_f32_e64 s3, v3, v3
	v_cndmask_b32_e64 v52, v52, v3, s3
	s_delay_alu instid0(VALU_DEP_3) | instskip(NEXT) | instid1(VALU_DEP_2)
	v_cndmask_b32_e64 v6, v6, v3, s3
	v_cmp_class_f32_e64 s5, v52, 0x1f8
	s_delay_alu instid0(VALU_DEP_2) | instskip(NEXT) | instid1(VALU_DEP_1)
	v_cmp_neq_f32_e64 s4, v52, v6
	s_or_b32 s4, s4, s5
	s_delay_alu instid0(SALU_CYCLE_1)
	s_and_saveexec_b32 s5, s4
	s_cbranch_execz .LBB501_248
; %bb.247:
	v_sub_f32_e32 v12, v52, v6
	s_delay_alu instid0(VALU_DEP_1) | instskip(SKIP_1) | instid1(VALU_DEP_2)
	v_mul_f32_e32 v52, 0x3fb8aa3b, v12
	v_cmp_ngt_f32_e64 s4, 0xc2ce8ed0, v12
	v_fma_f32 v53, 0x3fb8aa3b, v12, -v52
	v_rndne_f32_e32 v64, v52
	s_delay_alu instid0(VALU_DEP_2) | instskip(NEXT) | instid1(VALU_DEP_2)
	v_fmamk_f32 v53, v12, 0x32a5705f, v53
	v_sub_f32_e32 v52, v52, v64
	s_delay_alu instid0(VALU_DEP_1) | instskip(SKIP_1) | instid1(VALU_DEP_2)
	v_add_f32_e32 v52, v52, v53
	v_cvt_i32_f32_e32 v53, v64
	v_exp_f32_e32 v52, v52
	s_waitcnt_depctr 0xfff
	v_ldexp_f32 v52, v52, v53
	s_delay_alu instid0(VALU_DEP_1) | instskip(SKIP_1) | instid1(VALU_DEP_1)
	v_cndmask_b32_e64 v52, 0, v52, s4
	v_cmp_nlt_f32_e64 s4, 0x42b17218, v12
	v_cndmask_b32_e64 v12, 0x7f800000, v52, s4
	s_delay_alu instid0(VALU_DEP_1) | instskip(SKIP_1) | instid1(VALU_DEP_2)
	v_add_f32_e32 v64, 1.0, v12
	v_cmp_gt_f32_e64 s6, 0x33800000, |v12|
	v_cvt_f64_f32_e32 v[52:53], v64
	s_delay_alu instid0(VALU_DEP_1) | instskip(SKIP_1) | instid1(VALU_DEP_1)
	v_frexp_exp_i32_f64_e32 v52, v[52:53]
	v_frexp_mant_f32_e32 v53, v64
	v_cmp_gt_f32_e64 s4, 0x3f2aaaab, v53
	v_add_f32_e32 v53, -1.0, v64
	s_delay_alu instid0(VALU_DEP_1) | instskip(NEXT) | instid1(VALU_DEP_3)
	v_dual_sub_f32 v66, v53, v64 :: v_dual_sub_f32 v53, v12, v53
	v_subrev_co_ci_u32_e64 v52, s4, 0, v52, s4
	s_mov_b32 s4, 0x3e9b6dac
	s_delay_alu instid0(VALU_DEP_1) | instskip(SKIP_1) | instid1(VALU_DEP_2)
	v_sub_nc_u32_e32 v65, 0, v52
	v_cvt_f32_i32_e32 v52, v52
	v_ldexp_f32 v64, v64, v65
	s_delay_alu instid0(VALU_DEP_1) | instskip(NEXT) | instid1(VALU_DEP_1)
	v_dual_add_f32 v66, 1.0, v66 :: v_dual_add_f32 v67, 1.0, v64
	v_add_f32_e32 v53, v53, v66
	s_delay_alu instid0(VALU_DEP_1) | instskip(NEXT) | instid1(VALU_DEP_3)
	v_ldexp_f32 v53, v53, v65
	v_dual_add_f32 v65, -1.0, v64 :: v_dual_add_f32 v66, -1.0, v67
	s_delay_alu instid0(VALU_DEP_1) | instskip(NEXT) | instid1(VALU_DEP_2)
	v_add_f32_e32 v68, 1.0, v65
	v_sub_f32_e32 v66, v64, v66
	s_delay_alu instid0(VALU_DEP_2) | instskip(NEXT) | instid1(VALU_DEP_2)
	v_sub_f32_e32 v64, v64, v68
	v_add_f32_e32 v66, v53, v66
	s_delay_alu instid0(VALU_DEP_2) | instskip(NEXT) | instid1(VALU_DEP_1)
	v_add_f32_e32 v53, v53, v64
	v_dual_add_f32 v69, v65, v53 :: v_dual_add_f32 v68, v67, v66
	s_delay_alu instid0(VALU_DEP_1) | instskip(NEXT) | instid1(VALU_DEP_2)
	v_sub_f32_e32 v65, v65, v69
	v_rcp_f32_e32 v64, v68
	v_sub_f32_e32 v67, v67, v68
	s_delay_alu instid0(VALU_DEP_1) | instskip(SKIP_2) | instid1(VALU_DEP_1)
	v_dual_add_f32 v53, v53, v65 :: v_dual_add_f32 v66, v66, v67
	s_waitcnt_depctr 0xfff
	v_mul_f32_e32 v70, v69, v64
	v_mul_f32_e32 v71, v68, v70
	s_delay_alu instid0(VALU_DEP_1) | instskip(NEXT) | instid1(VALU_DEP_1)
	v_fma_f32 v67, v70, v68, -v71
	v_fmac_f32_e32 v67, v70, v66
	s_delay_alu instid0(VALU_DEP_1) | instskip(NEXT) | instid1(VALU_DEP_1)
	v_add_f32_e32 v80, v71, v67
	v_sub_f32_e32 v81, v69, v80
	v_sub_f32_e32 v65, v80, v71
	s_delay_alu instid0(VALU_DEP_2) | instskip(NEXT) | instid1(VALU_DEP_2)
	v_sub_f32_e32 v69, v69, v81
	v_sub_f32_e32 v65, v65, v67
	s_delay_alu instid0(VALU_DEP_2) | instskip(NEXT) | instid1(VALU_DEP_1)
	v_sub_f32_e32 v69, v69, v80
	v_add_f32_e32 v53, v53, v69
	s_delay_alu instid0(VALU_DEP_1) | instskip(NEXT) | instid1(VALU_DEP_1)
	v_add_f32_e32 v53, v65, v53
	v_add_f32_e32 v65, v81, v53
	s_delay_alu instid0(VALU_DEP_1) | instskip(NEXT) | instid1(VALU_DEP_1)
	v_mul_f32_e32 v67, v64, v65
	v_dual_sub_f32 v80, v81, v65 :: v_dual_mul_f32 v69, v68, v67
	s_delay_alu instid0(VALU_DEP_1) | instskip(NEXT) | instid1(VALU_DEP_2)
	v_add_f32_e32 v53, v53, v80
	v_fma_f32 v68, v67, v68, -v69
	s_delay_alu instid0(VALU_DEP_1) | instskip(NEXT) | instid1(VALU_DEP_1)
	v_fmac_f32_e32 v68, v67, v66
	v_add_f32_e32 v66, v69, v68
	s_delay_alu instid0(VALU_DEP_1) | instskip(NEXT) | instid1(VALU_DEP_1)
	v_sub_f32_e32 v71, v65, v66
	v_sub_f32_e32 v65, v65, v71
	s_delay_alu instid0(VALU_DEP_1) | instskip(NEXT) | instid1(VALU_DEP_1)
	v_sub_f32_e32 v65, v65, v66
	v_add_f32_e32 v53, v53, v65
	v_add_f32_e32 v65, v70, v67
	v_sub_f32_e32 v69, v66, v69
	s_delay_alu instid0(VALU_DEP_1) | instskip(NEXT) | instid1(VALU_DEP_1)
	v_sub_f32_e32 v66, v69, v68
	v_dual_add_f32 v53, v66, v53 :: v_dual_sub_f32 v66, v65, v70
	s_delay_alu instid0(VALU_DEP_1) | instskip(NEXT) | instid1(VALU_DEP_1)
	v_add_f32_e32 v53, v71, v53
	v_dual_sub_f32 v66, v67, v66 :: v_dual_mul_f32 v53, v64, v53
	s_delay_alu instid0(VALU_DEP_1) | instskip(NEXT) | instid1(VALU_DEP_1)
	v_add_f32_e32 v53, v66, v53
	v_add_f32_e32 v64, v65, v53
	s_delay_alu instid0(VALU_DEP_1) | instskip(NEXT) | instid1(VALU_DEP_1)
	v_mul_f32_e32 v66, v64, v64
	v_fmaak_f32 v67, s4, v66, 0x3ecc95a3
	v_mul_f32_e32 v68, v64, v66
	v_cmp_eq_f32_e64 s4, 0x7f800000, v12
	s_delay_alu instid0(VALU_DEP_3) | instskip(SKIP_2) | instid1(VALU_DEP_4)
	v_fmaak_f32 v66, v66, v67, 0x3f2aaada
	v_ldexp_f32 v67, v64, 1
	v_sub_f32_e32 v64, v64, v65
	s_or_b32 s4, s4, s6
	s_delay_alu instid0(VALU_DEP_3) | instskip(SKIP_1) | instid1(VALU_DEP_3)
	v_mul_f32_e32 v66, v68, v66
	v_mul_f32_e32 v68, 0x3f317218, v52
	v_sub_f32_e32 v53, v53, v64
	s_delay_alu instid0(VALU_DEP_3) | instskip(NEXT) | instid1(VALU_DEP_2)
	v_add_f32_e32 v65, v67, v66
	v_ldexp_f32 v53, v53, 1
	s_delay_alu instid0(VALU_DEP_2) | instskip(SKIP_1) | instid1(VALU_DEP_2)
	v_sub_f32_e32 v64, v65, v67
	v_fma_f32 v67, 0x3f317218, v52, -v68
	v_sub_f32_e32 v64, v66, v64
	s_delay_alu instid0(VALU_DEP_1) | instskip(NEXT) | instid1(VALU_DEP_1)
	v_dual_fmamk_f32 v52, v52, 0xb102e308, v67 :: v_dual_add_f32 v53, v53, v64
	v_add_f32_e32 v64, v68, v52
	s_delay_alu instid0(VALU_DEP_1) | instskip(NEXT) | instid1(VALU_DEP_1)
	v_sub_f32_e32 v68, v64, v68
	v_sub_f32_e32 v52, v52, v68
	s_delay_alu instid0(VALU_DEP_4) | instskip(NEXT) | instid1(VALU_DEP_1)
	v_add_f32_e32 v66, v65, v53
	v_add_f32_e32 v67, v64, v66
	s_delay_alu instid0(VALU_DEP_1) | instskip(SKIP_1) | instid1(VALU_DEP_2)
	v_sub_f32_e32 v69, v67, v64
	v_sub_f32_e32 v65, v66, v65
	;; [unrolled: 1-line block ×3, first 2 shown]
	s_delay_alu instid0(VALU_DEP_1) | instskip(SKIP_1) | instid1(VALU_DEP_2)
	v_dual_sub_f32 v64, v64, v70 :: v_dual_sub_f32 v53, v53, v65
	v_sub_f32_e32 v65, v66, v69
	v_add_f32_e32 v66, v52, v53
	s_delay_alu instid0(VALU_DEP_2) | instskip(NEXT) | instid1(VALU_DEP_2)
	v_add_f32_e32 v64, v65, v64
	v_sub_f32_e32 v65, v66, v52
	s_delay_alu instid0(VALU_DEP_2) | instskip(NEXT) | instid1(VALU_DEP_1)
	v_add_f32_e32 v64, v66, v64
	v_add_f32_e32 v68, v67, v64
	s_delay_alu instid0(VALU_DEP_3) | instskip(NEXT) | instid1(VALU_DEP_1)
	v_sub_f32_e32 v66, v66, v65
	v_dual_sub_f32 v52, v52, v66 :: v_dual_sub_f32 v53, v53, v65
	s_delay_alu instid0(VALU_DEP_1) | instskip(NEXT) | instid1(VALU_DEP_1)
	v_dual_sub_f32 v65, v68, v67 :: v_dual_add_f32 v52, v53, v52
	v_sub_f32_e32 v53, v64, v65
	s_delay_alu instid0(VALU_DEP_1) | instskip(NEXT) | instid1(VALU_DEP_1)
	v_add_f32_e32 v52, v52, v53
	v_add_f32_e32 v52, v68, v52
	s_delay_alu instid0(VALU_DEP_1) | instskip(NEXT) | instid1(VALU_DEP_1)
	v_cndmask_b32_e64 v12, v52, v12, s4
	v_add_f32_e32 v12, v6, v12
.LBB501_248:
	s_or_b32 exec_lo, exec_lo, s5
	s_delay_alu instid0(VALU_DEP_1) | instskip(SKIP_1) | instid1(VALU_DEP_2)
	v_bfe_u32 v6, v12, 16, 1
	v_cmp_o_f32_e64 s4, v12, v12
	v_add3_u32 v6, v12, v6, 0x7fff
	s_delay_alu instid0(VALU_DEP_1) | instskip(SKIP_1) | instid1(VALU_DEP_2)
	v_and_b32_e32 v52, 0xffff0000, v6
	v_lshlrev_b32_e32 v6, 16, v51
	v_cndmask_b32_e64 v52, 0x7fc00000, v52, s4
	s_delay_alu instid0(VALU_DEP_1) | instskip(SKIP_1) | instid1(VALU_DEP_2)
	v_dual_max_f32 v51, v6, v6 :: v_dual_max_f32 v12, v52, v52
	v_cmp_u_f32_e64 s4, v52, v52
	v_min_f32_e32 v53, v12, v51
	v_max_f32_e32 v12, v12, v51
	s_delay_alu instid0(VALU_DEP_2) | instskip(NEXT) | instid1(VALU_DEP_2)
	v_cndmask_b32_e64 v53, v53, v52, s4
	v_cndmask_b32_e64 v12, v12, v52, s4
	v_cmp_u_f32_e64 s4, v6, v6
	s_delay_alu instid0(VALU_DEP_1) | instskip(NEXT) | instid1(VALU_DEP_3)
	v_cndmask_b32_e64 v53, v53, v6, s4
	v_cndmask_b32_e64 v12, v12, v6, s4
	s_delay_alu instid0(VALU_DEP_2) | instskip(NEXT) | instid1(VALU_DEP_2)
	v_cmp_class_f32_e64 s6, v53, 0x1f8
	v_cmp_neq_f32_e64 s5, v53, v12
	s_delay_alu instid0(VALU_DEP_1) | instskip(NEXT) | instid1(SALU_CYCLE_1)
	s_or_b32 s5, s5, s6
	s_and_saveexec_b32 s6, s5
	s_cbranch_execz .LBB501_250
; %bb.249:
	v_sub_f32_e32 v52, v53, v12
	s_delay_alu instid0(VALU_DEP_1) | instskip(SKIP_1) | instid1(VALU_DEP_2)
	v_mul_f32_e32 v53, 0x3fb8aa3b, v52
	v_cmp_ngt_f32_e64 s5, 0xc2ce8ed0, v52
	v_fma_f32 v64, 0x3fb8aa3b, v52, -v53
	v_rndne_f32_e32 v65, v53
	s_delay_alu instid0(VALU_DEP_1) | instskip(NEXT) | instid1(VALU_DEP_1)
	v_dual_fmamk_f32 v64, v52, 0x32a5705f, v64 :: v_dual_sub_f32 v53, v53, v65
	v_add_f32_e32 v53, v53, v64
	v_cvt_i32_f32_e32 v64, v65
	s_delay_alu instid0(VALU_DEP_2) | instskip(SKIP_2) | instid1(VALU_DEP_1)
	v_exp_f32_e32 v53, v53
	s_waitcnt_depctr 0xfff
	v_ldexp_f32 v53, v53, v64
	v_cndmask_b32_e64 v53, 0, v53, s5
	v_cmp_nlt_f32_e64 s5, 0x42b17218, v52
	s_delay_alu instid0(VALU_DEP_1) | instskip(NEXT) | instid1(VALU_DEP_1)
	v_cndmask_b32_e64 v64, 0x7f800000, v53, s5
	v_add_f32_e32 v65, 1.0, v64
	v_cmp_gt_f32_e64 s7, 0x33800000, |v64|
	s_delay_alu instid0(VALU_DEP_2) | instskip(NEXT) | instid1(VALU_DEP_1)
	v_cvt_f64_f32_e32 v[52:53], v65
	v_frexp_exp_i32_f64_e32 v52, v[52:53]
	v_frexp_mant_f32_e32 v53, v65
	s_delay_alu instid0(VALU_DEP_1) | instskip(SKIP_1) | instid1(VALU_DEP_1)
	v_cmp_gt_f32_e64 s5, 0x3f2aaaab, v53
	v_add_f32_e32 v53, -1.0, v65
	v_sub_f32_e32 v67, v53, v65
	v_sub_f32_e32 v53, v64, v53
	s_delay_alu instid0(VALU_DEP_4) | instskip(SKIP_1) | instid1(VALU_DEP_1)
	v_subrev_co_ci_u32_e64 v52, s5, 0, v52, s5
	s_mov_b32 s5, 0x3e9b6dac
	v_sub_nc_u32_e32 v66, 0, v52
	v_cvt_f32_i32_e32 v52, v52
	s_delay_alu instid0(VALU_DEP_2) | instskip(NEXT) | instid1(VALU_DEP_1)
	v_ldexp_f32 v65, v65, v66
	v_dual_add_f32 v68, 1.0, v65 :: v_dual_add_f32 v67, 1.0, v67
	s_delay_alu instid0(VALU_DEP_1) | instskip(NEXT) | instid1(VALU_DEP_2)
	v_add_f32_e32 v53, v53, v67
	v_add_f32_e32 v67, -1.0, v68
	s_delay_alu instid0(VALU_DEP_2) | instskip(NEXT) | instid1(VALU_DEP_2)
	v_ldexp_f32 v53, v53, v66
	v_dual_add_f32 v66, -1.0, v65 :: v_dual_sub_f32 v67, v65, v67
	s_delay_alu instid0(VALU_DEP_1) | instskip(NEXT) | instid1(VALU_DEP_2)
	v_add_f32_e32 v69, 1.0, v66
	v_add_f32_e32 v67, v53, v67
	s_delay_alu instid0(VALU_DEP_2) | instskip(NEXT) | instid1(VALU_DEP_2)
	v_sub_f32_e32 v65, v65, v69
	v_add_f32_e32 v69, v68, v67
	s_delay_alu instid0(VALU_DEP_2) | instskip(NEXT) | instid1(VALU_DEP_2)
	v_add_f32_e32 v53, v53, v65
	v_rcp_f32_e32 v65, v69
	v_sub_f32_e32 v68, v68, v69
	s_delay_alu instid0(VALU_DEP_1) | instskip(NEXT) | instid1(VALU_DEP_1)
	v_dual_add_f32 v70, v66, v53 :: v_dual_add_f32 v67, v67, v68
	v_sub_f32_e32 v66, v66, v70
	s_waitcnt_depctr 0xfff
	v_mul_f32_e32 v71, v70, v65
	v_add_f32_e32 v53, v53, v66
	s_delay_alu instid0(VALU_DEP_2) | instskip(NEXT) | instid1(VALU_DEP_1)
	v_mul_f32_e32 v80, v69, v71
	v_fma_f32 v68, v71, v69, -v80
	s_delay_alu instid0(VALU_DEP_1) | instskip(NEXT) | instid1(VALU_DEP_1)
	v_fmac_f32_e32 v68, v71, v67
	v_add_f32_e32 v81, v80, v68
	s_delay_alu instid0(VALU_DEP_1) | instskip(SKIP_1) | instid1(VALU_DEP_2)
	v_sub_f32_e32 v82, v70, v81
	v_sub_f32_e32 v66, v81, v80
	;; [unrolled: 1-line block ×3, first 2 shown]
	s_delay_alu instid0(VALU_DEP_2) | instskip(NEXT) | instid1(VALU_DEP_2)
	v_sub_f32_e32 v66, v66, v68
	v_sub_f32_e32 v70, v70, v81
	s_delay_alu instid0(VALU_DEP_1) | instskip(NEXT) | instid1(VALU_DEP_1)
	v_add_f32_e32 v53, v53, v70
	v_add_f32_e32 v53, v66, v53
	s_delay_alu instid0(VALU_DEP_1) | instskip(NEXT) | instid1(VALU_DEP_1)
	v_add_f32_e32 v66, v82, v53
	v_mul_f32_e32 v68, v65, v66
	s_delay_alu instid0(VALU_DEP_1) | instskip(NEXT) | instid1(VALU_DEP_1)
	v_dual_sub_f32 v81, v82, v66 :: v_dual_mul_f32 v70, v69, v68
	v_add_f32_e32 v53, v53, v81
	s_delay_alu instid0(VALU_DEP_2) | instskip(NEXT) | instid1(VALU_DEP_1)
	v_fma_f32 v69, v68, v69, -v70
	v_fmac_f32_e32 v69, v68, v67
	s_delay_alu instid0(VALU_DEP_1) | instskip(NEXT) | instid1(VALU_DEP_1)
	v_add_f32_e32 v67, v70, v69
	v_sub_f32_e32 v80, v66, v67
	v_sub_f32_e32 v70, v67, v70
	s_delay_alu instid0(VALU_DEP_2) | instskip(NEXT) | instid1(VALU_DEP_1)
	v_sub_f32_e32 v66, v66, v80
	v_sub_f32_e32 v66, v66, v67
	s_delay_alu instid0(VALU_DEP_3) | instskip(NEXT) | instid1(VALU_DEP_2)
	v_sub_f32_e32 v67, v70, v69
	v_dual_add_f32 v53, v53, v66 :: v_dual_add_f32 v66, v71, v68
	s_delay_alu instid0(VALU_DEP_1) | instskip(NEXT) | instid1(VALU_DEP_2)
	v_add_f32_e32 v53, v67, v53
	v_sub_f32_e32 v67, v66, v71
	s_delay_alu instid0(VALU_DEP_2) | instskip(NEXT) | instid1(VALU_DEP_2)
	v_add_f32_e32 v53, v80, v53
	v_sub_f32_e32 v67, v68, v67
	s_delay_alu instid0(VALU_DEP_2) | instskip(NEXT) | instid1(VALU_DEP_1)
	v_mul_f32_e32 v53, v65, v53
	v_add_f32_e32 v53, v67, v53
	s_delay_alu instid0(VALU_DEP_1) | instskip(NEXT) | instid1(VALU_DEP_1)
	v_add_f32_e32 v65, v66, v53
	v_mul_f32_e32 v67, v65, v65
	s_delay_alu instid0(VALU_DEP_1) | instskip(SKIP_2) | instid1(VALU_DEP_3)
	v_fmaak_f32 v68, s5, v67, 0x3ecc95a3
	v_mul_f32_e32 v69, v65, v67
	v_cmp_eq_f32_e64 s5, 0x7f800000, v64
	v_fmaak_f32 v67, v67, v68, 0x3f2aaada
	v_ldexp_f32 v68, v65, 1
	v_sub_f32_e32 v65, v65, v66
	s_delay_alu instid0(VALU_DEP_4) | instskip(NEXT) | instid1(VALU_DEP_3)
	s_or_b32 s5, s5, s7
	v_mul_f32_e32 v67, v69, v67
	v_mul_f32_e32 v69, 0x3f317218, v52
	s_delay_alu instid0(VALU_DEP_2) | instskip(NEXT) | instid1(VALU_DEP_1)
	v_dual_sub_f32 v53, v53, v65 :: v_dual_add_f32 v66, v68, v67
	v_ldexp_f32 v53, v53, 1
	s_delay_alu instid0(VALU_DEP_2) | instskip(NEXT) | instid1(VALU_DEP_4)
	v_sub_f32_e32 v65, v66, v68
	v_fma_f32 v68, 0x3f317218, v52, -v69
	s_delay_alu instid0(VALU_DEP_1) | instskip(NEXT) | instid1(VALU_DEP_1)
	v_dual_sub_f32 v65, v67, v65 :: v_dual_fmamk_f32 v52, v52, 0xb102e308, v68
	v_add_f32_e32 v53, v53, v65
	s_delay_alu instid0(VALU_DEP_2) | instskip(NEXT) | instid1(VALU_DEP_2)
	v_add_f32_e32 v65, v69, v52
	v_add_f32_e32 v67, v66, v53
	s_delay_alu instid0(VALU_DEP_2) | instskip(NEXT) | instid1(VALU_DEP_2)
	v_sub_f32_e32 v69, v65, v69
	v_add_f32_e32 v68, v65, v67
	v_sub_f32_e32 v66, v67, v66
	s_delay_alu instid0(VALU_DEP_3) | instskip(NEXT) | instid1(VALU_DEP_2)
	v_sub_f32_e32 v52, v52, v69
	v_dual_sub_f32 v70, v68, v65 :: v_dual_sub_f32 v53, v53, v66
	s_delay_alu instid0(VALU_DEP_1) | instskip(NEXT) | instid1(VALU_DEP_2)
	v_sub_f32_e32 v71, v68, v70
	v_dual_sub_f32 v66, v67, v70 :: v_dual_add_f32 v67, v52, v53
	s_delay_alu instid0(VALU_DEP_2) | instskip(NEXT) | instid1(VALU_DEP_1)
	v_sub_f32_e32 v65, v65, v71
	v_dual_add_f32 v65, v66, v65 :: v_dual_sub_f32 v66, v67, v52
	s_delay_alu instid0(VALU_DEP_1) | instskip(NEXT) | instid1(VALU_DEP_2)
	v_add_f32_e32 v65, v67, v65
	v_sub_f32_e32 v67, v67, v66
	v_sub_f32_e32 v53, v53, v66
	s_delay_alu instid0(VALU_DEP_3) | instskip(NEXT) | instid1(VALU_DEP_3)
	v_add_f32_e32 v69, v68, v65
	v_sub_f32_e32 v52, v52, v67
	s_delay_alu instid0(VALU_DEP_2) | instskip(NEXT) | instid1(VALU_DEP_2)
	v_sub_f32_e32 v66, v69, v68
	v_add_f32_e32 v52, v53, v52
	s_delay_alu instid0(VALU_DEP_2) | instskip(NEXT) | instid1(VALU_DEP_1)
	v_sub_f32_e32 v53, v65, v66
	v_add_f32_e32 v52, v52, v53
	s_delay_alu instid0(VALU_DEP_1) | instskip(NEXT) | instid1(VALU_DEP_1)
	v_add_f32_e32 v52, v69, v52
	v_cndmask_b32_e64 v52, v52, v64, s5
	s_delay_alu instid0(VALU_DEP_1)
	v_add_f32_e32 v52, v12, v52
.LBB501_250:
	s_or_b32 exec_lo, exec_lo, s6
	s_delay_alu instid0(VALU_DEP_1) | instskip(SKIP_1) | instid1(VALU_DEP_2)
	v_bfe_u32 v12, v52, 16, 1
	v_cmp_o_f32_e64 s5, v52, v52
	v_add3_u32 v12, v52, v12, 0x7fff
	s_delay_alu instid0(VALU_DEP_1) | instskip(SKIP_1) | instid1(VALU_DEP_2)
	v_and_b32_e32 v53, 0xffff0000, v12
	v_lshlrev_b32_e32 v12, 16, v50
	v_cndmask_b32_e64 v53, 0x7fc00000, v53, s5
	s_delay_alu instid0(VALU_DEP_2) | instskip(NEXT) | instid1(VALU_DEP_2)
	v_max_f32_e32 v50, v12, v12
	v_max_f32_e32 v52, v53, v53
	v_cmp_u_f32_e64 s5, v53, v53
	s_delay_alu instid0(VALU_DEP_2) | instskip(SKIP_1) | instid1(VALU_DEP_2)
	v_min_f32_e32 v64, v52, v50
	v_max_f32_e32 v52, v52, v50
	v_cndmask_b32_e64 v64, v64, v53, s5
	s_delay_alu instid0(VALU_DEP_2) | instskip(SKIP_1) | instid1(VALU_DEP_1)
	v_cndmask_b32_e64 v52, v52, v53, s5
	v_cmp_u_f32_e64 s5, v12, v12
	v_cndmask_b32_e64 v64, v64, v12, s5
	s_delay_alu instid0(VALU_DEP_3) | instskip(NEXT) | instid1(VALU_DEP_2)
	v_cndmask_b32_e64 v52, v52, v12, s5
	v_cmp_class_f32_e64 s7, v64, 0x1f8
	s_delay_alu instid0(VALU_DEP_2) | instskip(NEXT) | instid1(VALU_DEP_1)
	v_cmp_neq_f32_e64 s6, v64, v52
	s_or_b32 s6, s6, s7
	s_delay_alu instid0(SALU_CYCLE_1)
	s_and_saveexec_b32 s7, s6
	s_cbranch_execz .LBB501_252
; %bb.251:
	v_sub_f32_e32 v53, v64, v52
	s_delay_alu instid0(VALU_DEP_1) | instskip(SKIP_1) | instid1(VALU_DEP_2)
	v_mul_f32_e32 v64, 0x3fb8aa3b, v53
	v_cmp_ngt_f32_e64 s6, 0xc2ce8ed0, v53
	v_fma_f32 v65, 0x3fb8aa3b, v53, -v64
	v_rndne_f32_e32 v66, v64
	s_delay_alu instid0(VALU_DEP_1) | instskip(NEXT) | instid1(VALU_DEP_1)
	v_dual_fmamk_f32 v65, v53, 0x32a5705f, v65 :: v_dual_sub_f32 v64, v64, v66
	v_add_f32_e32 v64, v64, v65
	v_cvt_i32_f32_e32 v65, v66
	s_delay_alu instid0(VALU_DEP_2) | instskip(SKIP_2) | instid1(VALU_DEP_1)
	v_exp_f32_e32 v64, v64
	s_waitcnt_depctr 0xfff
	v_ldexp_f32 v64, v64, v65
	v_cndmask_b32_e64 v64, 0, v64, s6
	v_cmp_nlt_f32_e64 s6, 0x42b17218, v53
	s_delay_alu instid0(VALU_DEP_1) | instskip(NEXT) | instid1(VALU_DEP_1)
	v_cndmask_b32_e64 v53, 0x7f800000, v64, s6
	v_add_f32_e32 v66, 1.0, v53
	v_cmp_gt_f32_e64 s8, 0x33800000, |v53|
	s_delay_alu instid0(VALU_DEP_2) | instskip(NEXT) | instid1(VALU_DEP_1)
	v_cvt_f64_f32_e32 v[64:65], v66
	v_frexp_exp_i32_f64_e32 v64, v[64:65]
	v_frexp_mant_f32_e32 v65, v66
	s_delay_alu instid0(VALU_DEP_1) | instskip(SKIP_1) | instid1(VALU_DEP_1)
	v_cmp_gt_f32_e64 s6, 0x3f2aaaab, v65
	v_add_f32_e32 v65, -1.0, v66
	v_sub_f32_e32 v68, v65, v66
	s_delay_alu instid0(VALU_DEP_1) | instskip(NEXT) | instid1(VALU_DEP_1)
	v_dual_sub_f32 v65, v53, v65 :: v_dual_add_f32 v68, 1.0, v68
	v_add_f32_e32 v65, v65, v68
	v_subrev_co_ci_u32_e64 v64, s6, 0, v64, s6
	s_mov_b32 s6, 0x3e9b6dac
	s_delay_alu instid0(VALU_DEP_1) | instskip(SKIP_1) | instid1(VALU_DEP_2)
	v_sub_nc_u32_e32 v67, 0, v64
	v_cvt_f32_i32_e32 v64, v64
	v_ldexp_f32 v66, v66, v67
	v_ldexp_f32 v65, v65, v67
	s_delay_alu instid0(VALU_DEP_2) | instskip(NEXT) | instid1(VALU_DEP_1)
	v_add_f32_e32 v69, 1.0, v66
	v_dual_add_f32 v67, -1.0, v66 :: v_dual_add_f32 v68, -1.0, v69
	s_delay_alu instid0(VALU_DEP_1) | instskip(NEXT) | instid1(VALU_DEP_2)
	v_add_f32_e32 v70, 1.0, v67
	v_sub_f32_e32 v68, v66, v68
	s_delay_alu instid0(VALU_DEP_2) | instskip(NEXT) | instid1(VALU_DEP_2)
	v_sub_f32_e32 v66, v66, v70
	v_add_f32_e32 v68, v65, v68
	s_delay_alu instid0(VALU_DEP_2) | instskip(NEXT) | instid1(VALU_DEP_1)
	v_add_f32_e32 v65, v65, v66
	v_dual_add_f32 v71, v67, v65 :: v_dual_add_f32 v70, v69, v68
	s_delay_alu instid0(VALU_DEP_1) | instskip(NEXT) | instid1(VALU_DEP_2)
	v_sub_f32_e32 v67, v67, v71
	v_rcp_f32_e32 v66, v70
	v_sub_f32_e32 v69, v69, v70
	s_delay_alu instid0(VALU_DEP_1) | instskip(SKIP_2) | instid1(VALU_DEP_1)
	v_dual_add_f32 v65, v65, v67 :: v_dual_add_f32 v68, v68, v69
	s_waitcnt_depctr 0xfff
	v_mul_f32_e32 v80, v71, v66
	v_mul_f32_e32 v81, v70, v80
	s_delay_alu instid0(VALU_DEP_1) | instskip(NEXT) | instid1(VALU_DEP_1)
	v_fma_f32 v69, v80, v70, -v81
	v_fmac_f32_e32 v69, v80, v68
	s_delay_alu instid0(VALU_DEP_1) | instskip(NEXT) | instid1(VALU_DEP_1)
	v_add_f32_e32 v82, v81, v69
	v_sub_f32_e32 v83, v71, v82
	s_delay_alu instid0(VALU_DEP_1) | instskip(SKIP_1) | instid1(VALU_DEP_2)
	v_sub_f32_e32 v71, v71, v83
	v_sub_f32_e32 v67, v82, v81
	;; [unrolled: 1-line block ×3, first 2 shown]
	s_delay_alu instid0(VALU_DEP_2) | instskip(NEXT) | instid1(VALU_DEP_2)
	v_sub_f32_e32 v67, v67, v69
	v_add_f32_e32 v65, v65, v71
	s_delay_alu instid0(VALU_DEP_1) | instskip(NEXT) | instid1(VALU_DEP_1)
	v_add_f32_e32 v65, v67, v65
	v_add_f32_e32 v67, v83, v65
	s_delay_alu instid0(VALU_DEP_1) | instskip(NEXT) | instid1(VALU_DEP_1)
	v_mul_f32_e32 v69, v66, v67
	v_dual_sub_f32 v82, v83, v67 :: v_dual_mul_f32 v71, v70, v69
	s_delay_alu instid0(VALU_DEP_1) | instskip(NEXT) | instid1(VALU_DEP_2)
	v_add_f32_e32 v65, v65, v82
	v_fma_f32 v70, v69, v70, -v71
	s_delay_alu instid0(VALU_DEP_1) | instskip(NEXT) | instid1(VALU_DEP_1)
	v_fmac_f32_e32 v70, v69, v68
	v_add_f32_e32 v68, v71, v70
	s_delay_alu instid0(VALU_DEP_1) | instskip(SKIP_1) | instid1(VALU_DEP_2)
	v_sub_f32_e32 v81, v67, v68
	v_sub_f32_e32 v71, v68, v71
	;; [unrolled: 1-line block ×3, first 2 shown]
	s_delay_alu instid0(VALU_DEP_1) | instskip(NEXT) | instid1(VALU_DEP_1)
	v_sub_f32_e32 v67, v67, v68
	v_dual_sub_f32 v68, v71, v70 :: v_dual_add_f32 v65, v65, v67
	v_add_f32_e32 v67, v80, v69
	s_delay_alu instid0(VALU_DEP_1) | instskip(NEXT) | instid1(VALU_DEP_1)
	v_dual_add_f32 v65, v68, v65 :: v_dual_sub_f32 v68, v67, v80
	v_add_f32_e32 v65, v81, v65
	s_delay_alu instid0(VALU_DEP_1) | instskip(NEXT) | instid1(VALU_DEP_1)
	v_dual_sub_f32 v68, v69, v68 :: v_dual_mul_f32 v65, v66, v65
	v_add_f32_e32 v65, v68, v65
	s_delay_alu instid0(VALU_DEP_1) | instskip(NEXT) | instid1(VALU_DEP_1)
	v_add_f32_e32 v66, v67, v65
	v_mul_f32_e32 v68, v66, v66
	s_delay_alu instid0(VALU_DEP_1) | instskip(SKIP_2) | instid1(VALU_DEP_3)
	v_fmaak_f32 v69, s6, v68, 0x3ecc95a3
	v_mul_f32_e32 v70, v66, v68
	v_cmp_eq_f32_e64 s6, 0x7f800000, v53
	v_fmaak_f32 v68, v68, v69, 0x3f2aaada
	v_ldexp_f32 v69, v66, 1
	v_sub_f32_e32 v66, v66, v67
	s_delay_alu instid0(VALU_DEP_4) | instskip(NEXT) | instid1(VALU_DEP_3)
	s_or_b32 s6, s6, s8
	v_mul_f32_e32 v68, v70, v68
	s_delay_alu instid0(VALU_DEP_2) | instskip(NEXT) | instid1(VALU_DEP_2)
	v_dual_mul_f32 v70, 0x3f317218, v64 :: v_dual_sub_f32 v65, v65, v66
	v_add_f32_e32 v67, v69, v68
	s_delay_alu instid0(VALU_DEP_2) | instskip(NEXT) | instid1(VALU_DEP_2)
	v_ldexp_f32 v65, v65, 1
	v_sub_f32_e32 v66, v67, v69
	s_delay_alu instid0(VALU_DEP_4) | instskip(NEXT) | instid1(VALU_DEP_2)
	v_fma_f32 v69, 0x3f317218, v64, -v70
	v_sub_f32_e32 v66, v68, v66
	s_delay_alu instid0(VALU_DEP_1) | instskip(NEXT) | instid1(VALU_DEP_1)
	v_dual_fmamk_f32 v64, v64, 0xb102e308, v69 :: v_dual_add_f32 v65, v65, v66
	v_add_f32_e32 v66, v70, v64
	s_delay_alu instid0(VALU_DEP_1) | instskip(NEXT) | instid1(VALU_DEP_1)
	v_sub_f32_e32 v70, v66, v70
	v_sub_f32_e32 v64, v64, v70
	s_delay_alu instid0(VALU_DEP_4) | instskip(NEXT) | instid1(VALU_DEP_1)
	v_add_f32_e32 v68, v67, v65
	v_sub_f32_e32 v67, v68, v67
	s_delay_alu instid0(VALU_DEP_1) | instskip(SKIP_1) | instid1(VALU_DEP_1)
	v_sub_f32_e32 v65, v65, v67
	v_add_f32_e32 v69, v66, v68
	v_sub_f32_e32 v71, v69, v66
	s_delay_alu instid0(VALU_DEP_1) | instskip(NEXT) | instid1(VALU_DEP_4)
	v_sub_f32_e32 v67, v68, v71
	v_add_f32_e32 v68, v64, v65
	v_sub_f32_e32 v80, v69, v71
	s_delay_alu instid0(VALU_DEP_1) | instskip(NEXT) | instid1(VALU_DEP_1)
	v_sub_f32_e32 v66, v66, v80
	v_dual_add_f32 v66, v67, v66 :: v_dual_sub_f32 v67, v68, v64
	s_delay_alu instid0(VALU_DEP_1) | instskip(SKIP_1) | instid1(VALU_DEP_2)
	v_dual_add_f32 v66, v68, v66 :: v_dual_sub_f32 v65, v65, v67
	v_sub_f32_e32 v68, v68, v67
	v_add_f32_e32 v70, v69, v66
	s_delay_alu instid0(VALU_DEP_1) | instskip(NEXT) | instid1(VALU_DEP_1)
	v_dual_sub_f32 v64, v64, v68 :: v_dual_sub_f32 v67, v70, v69
	v_dual_add_f32 v64, v65, v64 :: v_dual_sub_f32 v65, v66, v67
	s_delay_alu instid0(VALU_DEP_1) | instskip(NEXT) | instid1(VALU_DEP_1)
	v_add_f32_e32 v64, v64, v65
	v_add_f32_e32 v64, v70, v64
	s_delay_alu instid0(VALU_DEP_1) | instskip(NEXT) | instid1(VALU_DEP_1)
	v_cndmask_b32_e64 v53, v64, v53, s6
	v_add_f32_e32 v53, v52, v53
.LBB501_252:
	s_or_b32 exec_lo, exec_lo, s7
	s_delay_alu instid0(VALU_DEP_1) | instskip(SKIP_2) | instid1(VALU_DEP_3)
	v_bfe_u32 v52, v53, 16, 1
	v_cmp_o_f32_e64 s6, v53, v53
	v_lshlrev_b32_e32 v49, 16, v49
	v_add3_u32 v52, v53, v52, 0x7fff
	s_delay_alu instid0(VALU_DEP_1) | instskip(NEXT) | instid1(VALU_DEP_1)
	v_and_b32_e32 v52, 0xffff0000, v52
	v_cndmask_b32_e64 v64, 0x7fc00000, v52, s6
	s_delay_alu instid0(VALU_DEP_1) | instskip(SKIP_1) | instid1(VALU_DEP_2)
	v_dual_max_f32 v52, v49, v49 :: v_dual_max_f32 v53, v64, v64
	v_cmp_u_f32_e64 s6, v64, v64
	v_min_f32_e32 v65, v53, v52
	v_max_f32_e32 v53, v53, v52
	s_delay_alu instid0(VALU_DEP_2) | instskip(NEXT) | instid1(VALU_DEP_2)
	v_cndmask_b32_e64 v65, v65, v64, s6
	v_cndmask_b32_e64 v53, v53, v64, s6
	v_cmp_u_f32_e64 s6, v49, v49
	s_delay_alu instid0(VALU_DEP_1) | instskip(NEXT) | instid1(VALU_DEP_3)
	v_cndmask_b32_e64 v65, v65, v49, s6
	v_cndmask_b32_e64 v53, v53, v49, s6
	s_delay_alu instid0(VALU_DEP_2) | instskip(NEXT) | instid1(VALU_DEP_2)
	v_cmp_class_f32_e64 s8, v65, 0x1f8
	v_cmp_neq_f32_e64 s7, v65, v53
	s_delay_alu instid0(VALU_DEP_1) | instskip(NEXT) | instid1(SALU_CYCLE_1)
	s_or_b32 s7, s7, s8
	s_and_saveexec_b32 s8, s7
	s_cbranch_execz .LBB501_254
; %bb.253:
	v_sub_f32_e32 v64, v65, v53
	s_delay_alu instid0(VALU_DEP_1) | instskip(SKIP_1) | instid1(VALU_DEP_2)
	v_mul_f32_e32 v65, 0x3fb8aa3b, v64
	v_cmp_ngt_f32_e64 s7, 0xc2ce8ed0, v64
	v_fma_f32 v66, 0x3fb8aa3b, v64, -v65
	v_rndne_f32_e32 v67, v65
	s_delay_alu instid0(VALU_DEP_1) | instskip(NEXT) | instid1(VALU_DEP_1)
	v_dual_fmamk_f32 v66, v64, 0x32a5705f, v66 :: v_dual_sub_f32 v65, v65, v67
	v_add_f32_e32 v65, v65, v66
	v_cvt_i32_f32_e32 v66, v67
	s_delay_alu instid0(VALU_DEP_2) | instskip(SKIP_2) | instid1(VALU_DEP_1)
	v_exp_f32_e32 v65, v65
	s_waitcnt_depctr 0xfff
	v_ldexp_f32 v65, v65, v66
	v_cndmask_b32_e64 v65, 0, v65, s7
	v_cmp_nlt_f32_e64 s7, 0x42b17218, v64
	s_delay_alu instid0(VALU_DEP_1) | instskip(NEXT) | instid1(VALU_DEP_1)
	v_cndmask_b32_e64 v66, 0x7f800000, v65, s7
	v_add_f32_e32 v67, 1.0, v66
	v_cmp_gt_f32_e64 s9, 0x33800000, |v66|
	s_delay_alu instid0(VALU_DEP_2) | instskip(NEXT) | instid1(VALU_DEP_1)
	v_cvt_f64_f32_e32 v[64:65], v67
	v_frexp_exp_i32_f64_e32 v64, v[64:65]
	v_frexp_mant_f32_e32 v65, v67
	s_delay_alu instid0(VALU_DEP_1) | instskip(SKIP_1) | instid1(VALU_DEP_1)
	v_cmp_gt_f32_e64 s7, 0x3f2aaaab, v65
	v_add_f32_e32 v65, -1.0, v67
	v_sub_f32_e32 v69, v65, v67
	v_sub_f32_e32 v65, v66, v65
	s_delay_alu instid0(VALU_DEP_4) | instskip(SKIP_1) | instid1(VALU_DEP_1)
	v_subrev_co_ci_u32_e64 v64, s7, 0, v64, s7
	s_mov_b32 s7, 0x3e9b6dac
	v_sub_nc_u32_e32 v68, 0, v64
	v_cvt_f32_i32_e32 v64, v64
	s_delay_alu instid0(VALU_DEP_2) | instskip(NEXT) | instid1(VALU_DEP_1)
	v_ldexp_f32 v67, v67, v68
	v_dual_add_f32 v70, 1.0, v67 :: v_dual_add_f32 v69, 1.0, v69
	s_delay_alu instid0(VALU_DEP_1) | instskip(NEXT) | instid1(VALU_DEP_2)
	v_add_f32_e32 v65, v65, v69
	v_add_f32_e32 v69, -1.0, v70
	s_delay_alu instid0(VALU_DEP_2) | instskip(NEXT) | instid1(VALU_DEP_2)
	v_ldexp_f32 v65, v65, v68
	v_dual_add_f32 v68, -1.0, v67 :: v_dual_sub_f32 v69, v67, v69
	s_delay_alu instid0(VALU_DEP_1) | instskip(NEXT) | instid1(VALU_DEP_2)
	v_add_f32_e32 v71, 1.0, v68
	v_add_f32_e32 v69, v65, v69
	s_delay_alu instid0(VALU_DEP_2) | instskip(NEXT) | instid1(VALU_DEP_2)
	v_sub_f32_e32 v67, v67, v71
	v_add_f32_e32 v71, v70, v69
	s_delay_alu instid0(VALU_DEP_2) | instskip(NEXT) | instid1(VALU_DEP_2)
	v_add_f32_e32 v65, v65, v67
	v_rcp_f32_e32 v67, v71
	v_sub_f32_e32 v70, v70, v71
	s_delay_alu instid0(VALU_DEP_1) | instskip(NEXT) | instid1(VALU_DEP_1)
	v_dual_add_f32 v80, v68, v65 :: v_dual_add_f32 v69, v69, v70
	v_sub_f32_e32 v68, v68, v80
	s_waitcnt_depctr 0xfff
	v_mul_f32_e32 v81, v80, v67
	s_delay_alu instid0(VALU_DEP_1) | instskip(NEXT) | instid1(VALU_DEP_1)
	v_dual_add_f32 v65, v65, v68 :: v_dual_mul_f32 v82, v71, v81
	v_fma_f32 v70, v81, v71, -v82
	s_delay_alu instid0(VALU_DEP_1) | instskip(NEXT) | instid1(VALU_DEP_1)
	v_fmac_f32_e32 v70, v81, v69
	v_add_f32_e32 v83, v82, v70
	s_delay_alu instid0(VALU_DEP_1) | instskip(SKIP_1) | instid1(VALU_DEP_2)
	v_sub_f32_e32 v84, v80, v83
	v_sub_f32_e32 v68, v83, v82
	;; [unrolled: 1-line block ×3, first 2 shown]
	s_delay_alu instid0(VALU_DEP_2) | instskip(NEXT) | instid1(VALU_DEP_2)
	v_sub_f32_e32 v68, v68, v70
	v_sub_f32_e32 v80, v80, v83
	s_delay_alu instid0(VALU_DEP_1) | instskip(NEXT) | instid1(VALU_DEP_1)
	v_add_f32_e32 v65, v65, v80
	v_add_f32_e32 v65, v68, v65
	s_delay_alu instid0(VALU_DEP_1) | instskip(NEXT) | instid1(VALU_DEP_1)
	v_add_f32_e32 v68, v84, v65
	v_mul_f32_e32 v70, v67, v68
	s_delay_alu instid0(VALU_DEP_1) | instskip(NEXT) | instid1(VALU_DEP_1)
	v_dual_sub_f32 v83, v84, v68 :: v_dual_mul_f32 v80, v71, v70
	v_add_f32_e32 v65, v65, v83
	s_delay_alu instid0(VALU_DEP_2) | instskip(NEXT) | instid1(VALU_DEP_1)
	v_fma_f32 v71, v70, v71, -v80
	v_fmac_f32_e32 v71, v70, v69
	s_delay_alu instid0(VALU_DEP_1) | instskip(NEXT) | instid1(VALU_DEP_1)
	v_add_f32_e32 v69, v80, v71
	v_sub_f32_e32 v82, v68, v69
	v_sub_f32_e32 v80, v69, v80
	s_delay_alu instid0(VALU_DEP_2) | instskip(NEXT) | instid1(VALU_DEP_1)
	v_sub_f32_e32 v68, v68, v82
	v_sub_f32_e32 v68, v68, v69
	s_delay_alu instid0(VALU_DEP_3) | instskip(NEXT) | instid1(VALU_DEP_2)
	v_sub_f32_e32 v69, v80, v71
	v_add_f32_e32 v65, v65, v68
	v_add_f32_e32 v68, v81, v70
	s_delay_alu instid0(VALU_DEP_2) | instskip(NEXT) | instid1(VALU_DEP_2)
	v_add_f32_e32 v65, v69, v65
	v_sub_f32_e32 v69, v68, v81
	s_delay_alu instid0(VALU_DEP_2) | instskip(NEXT) | instid1(VALU_DEP_2)
	v_add_f32_e32 v65, v82, v65
	v_sub_f32_e32 v69, v70, v69
	s_delay_alu instid0(VALU_DEP_2) | instskip(NEXT) | instid1(VALU_DEP_1)
	v_mul_f32_e32 v65, v67, v65
	v_add_f32_e32 v65, v69, v65
	s_delay_alu instid0(VALU_DEP_1) | instskip(NEXT) | instid1(VALU_DEP_1)
	v_add_f32_e32 v67, v68, v65
	v_mul_f32_e32 v69, v67, v67
	s_delay_alu instid0(VALU_DEP_1) | instskip(SKIP_2) | instid1(VALU_DEP_3)
	v_fmaak_f32 v70, s7, v69, 0x3ecc95a3
	v_mul_f32_e32 v71, v67, v69
	v_cmp_eq_f32_e64 s7, 0x7f800000, v66
	v_fmaak_f32 v69, v69, v70, 0x3f2aaada
	v_ldexp_f32 v70, v67, 1
	v_sub_f32_e32 v67, v67, v68
	s_delay_alu instid0(VALU_DEP_4) | instskip(NEXT) | instid1(VALU_DEP_3)
	s_or_b32 s7, s7, s9
	v_mul_f32_e32 v69, v71, v69
	v_mul_f32_e32 v71, 0x3f317218, v64
	s_delay_alu instid0(VALU_DEP_2) | instskip(NEXT) | instid1(VALU_DEP_1)
	v_dual_sub_f32 v65, v65, v67 :: v_dual_add_f32 v68, v70, v69
	v_ldexp_f32 v65, v65, 1
	s_delay_alu instid0(VALU_DEP_2) | instskip(NEXT) | instid1(VALU_DEP_4)
	v_sub_f32_e32 v67, v68, v70
	v_fma_f32 v70, 0x3f317218, v64, -v71
	s_delay_alu instid0(VALU_DEP_1) | instskip(NEXT) | instid1(VALU_DEP_1)
	v_dual_sub_f32 v67, v69, v67 :: v_dual_fmamk_f32 v64, v64, 0xb102e308, v70
	v_add_f32_e32 v65, v65, v67
	s_delay_alu instid0(VALU_DEP_2) | instskip(NEXT) | instid1(VALU_DEP_2)
	v_add_f32_e32 v67, v71, v64
	v_add_f32_e32 v69, v68, v65
	s_delay_alu instid0(VALU_DEP_2) | instskip(NEXT) | instid1(VALU_DEP_2)
	v_sub_f32_e32 v71, v67, v71
	v_add_f32_e32 v70, v67, v69
	v_sub_f32_e32 v68, v69, v68
	s_delay_alu instid0(VALU_DEP_3) | instskip(NEXT) | instid1(VALU_DEP_2)
	v_sub_f32_e32 v64, v64, v71
	v_dual_sub_f32 v80, v70, v67 :: v_dual_sub_f32 v65, v65, v68
	s_delay_alu instid0(VALU_DEP_1) | instskip(NEXT) | instid1(VALU_DEP_2)
	v_sub_f32_e32 v81, v70, v80
	v_dual_sub_f32 v68, v69, v80 :: v_dual_add_f32 v69, v64, v65
	s_delay_alu instid0(VALU_DEP_2) | instskip(NEXT) | instid1(VALU_DEP_1)
	v_sub_f32_e32 v67, v67, v81
	v_dual_add_f32 v67, v68, v67 :: v_dual_sub_f32 v68, v69, v64
	s_delay_alu instid0(VALU_DEP_1) | instskip(NEXT) | instid1(VALU_DEP_2)
	v_add_f32_e32 v67, v69, v67
	v_sub_f32_e32 v69, v69, v68
	v_sub_f32_e32 v65, v65, v68
	s_delay_alu instid0(VALU_DEP_2) | instskip(NEXT) | instid1(VALU_DEP_1)
	v_dual_add_f32 v71, v70, v67 :: v_dual_sub_f32 v64, v64, v69
	v_sub_f32_e32 v68, v71, v70
	s_delay_alu instid0(VALU_DEP_2) | instskip(NEXT) | instid1(VALU_DEP_2)
	v_add_f32_e32 v64, v65, v64
	v_sub_f32_e32 v65, v67, v68
	s_delay_alu instid0(VALU_DEP_1) | instskip(NEXT) | instid1(VALU_DEP_1)
	v_add_f32_e32 v64, v64, v65
	v_add_f32_e32 v64, v71, v64
	s_delay_alu instid0(VALU_DEP_1) | instskip(NEXT) | instid1(VALU_DEP_1)
	v_cndmask_b32_e64 v64, v64, v66, s7
	v_add_f32_e32 v64, v53, v64
.LBB501_254:
	s_or_b32 exec_lo, exec_lo, s8
	s_delay_alu instid0(VALU_DEP_1) | instskip(SKIP_2) | instid1(VALU_DEP_3)
	v_bfe_u32 v53, v64, 16, 1
	v_cmp_o_f32_e64 s7, v64, v64
	v_lshlrev_b32_e32 v48, 16, v48
	v_add3_u32 v53, v64, v53, 0x7fff
	s_delay_alu instid0(VALU_DEP_1) | instskip(NEXT) | instid1(VALU_DEP_1)
	v_and_b32_e32 v53, 0xffff0000, v53
	v_cndmask_b32_e64 v65, 0x7fc00000, v53, s7
	s_delay_alu instid0(VALU_DEP_1) | instskip(SKIP_1) | instid1(VALU_DEP_2)
	v_dual_max_f32 v53, v48, v48 :: v_dual_max_f32 v64, v65, v65
	v_cmp_u_f32_e64 s7, v65, v65
	v_min_f32_e32 v66, v64, v53
	v_max_f32_e32 v64, v64, v53
	s_delay_alu instid0(VALU_DEP_2) | instskip(NEXT) | instid1(VALU_DEP_2)
	v_cndmask_b32_e64 v66, v66, v65, s7
	v_cndmask_b32_e64 v64, v64, v65, s7
	v_cmp_u_f32_e64 s7, v48, v48
	s_delay_alu instid0(VALU_DEP_1) | instskip(NEXT) | instid1(VALU_DEP_3)
	v_cndmask_b32_e64 v66, v66, v48, s7
	v_cndmask_b32_e64 v64, v64, v48, s7
	s_delay_alu instid0(VALU_DEP_2) | instskip(NEXT) | instid1(VALU_DEP_2)
	v_cmp_class_f32_e64 s9, v66, 0x1f8
	v_cmp_neq_f32_e64 s8, v66, v64
	s_delay_alu instid0(VALU_DEP_1) | instskip(NEXT) | instid1(SALU_CYCLE_1)
	s_or_b32 s8, s8, s9
	s_and_saveexec_b32 s9, s8
	s_cbranch_execz .LBB501_256
; %bb.255:
	v_sub_f32_e32 v65, v66, v64
	s_delay_alu instid0(VALU_DEP_1) | instskip(SKIP_1) | instid1(VALU_DEP_2)
	v_mul_f32_e32 v66, 0x3fb8aa3b, v65
	v_cmp_ngt_f32_e64 s8, 0xc2ce8ed0, v65
	v_fma_f32 v67, 0x3fb8aa3b, v65, -v66
	v_rndne_f32_e32 v68, v66
	s_delay_alu instid0(VALU_DEP_1) | instskip(NEXT) | instid1(VALU_DEP_1)
	v_dual_fmamk_f32 v67, v65, 0x32a5705f, v67 :: v_dual_sub_f32 v66, v66, v68
	v_add_f32_e32 v66, v66, v67
	v_cvt_i32_f32_e32 v67, v68
	s_delay_alu instid0(VALU_DEP_2) | instskip(SKIP_2) | instid1(VALU_DEP_1)
	v_exp_f32_e32 v66, v66
	s_waitcnt_depctr 0xfff
	v_ldexp_f32 v66, v66, v67
	v_cndmask_b32_e64 v66, 0, v66, s8
	v_cmp_nlt_f32_e64 s8, 0x42b17218, v65
	s_delay_alu instid0(VALU_DEP_1) | instskip(NEXT) | instid1(VALU_DEP_1)
	v_cndmask_b32_e64 v67, 0x7f800000, v66, s8
	v_add_f32_e32 v68, 1.0, v67
	v_cmp_gt_f32_e64 s10, 0x33800000, |v67|
	s_delay_alu instid0(VALU_DEP_2) | instskip(NEXT) | instid1(VALU_DEP_1)
	v_cvt_f64_f32_e32 v[65:66], v68
	v_frexp_exp_i32_f64_e32 v65, v[65:66]
	v_frexp_mant_f32_e32 v66, v68
	s_delay_alu instid0(VALU_DEP_1) | instskip(SKIP_1) | instid1(VALU_DEP_1)
	v_cmp_gt_f32_e64 s8, 0x3f2aaaab, v66
	v_add_f32_e32 v66, -1.0, v68
	v_sub_f32_e32 v70, v66, v68
	v_sub_f32_e32 v66, v67, v66
	s_delay_alu instid0(VALU_DEP_4) | instskip(SKIP_1) | instid1(VALU_DEP_1)
	v_subrev_co_ci_u32_e64 v65, s8, 0, v65, s8
	s_mov_b32 s8, 0x3e9b6dac
	v_sub_nc_u32_e32 v69, 0, v65
	v_cvt_f32_i32_e32 v65, v65
	s_delay_alu instid0(VALU_DEP_2) | instskip(NEXT) | instid1(VALU_DEP_1)
	v_ldexp_f32 v68, v68, v69
	v_dual_add_f32 v71, 1.0, v68 :: v_dual_add_f32 v70, 1.0, v70
	s_delay_alu instid0(VALU_DEP_1) | instskip(NEXT) | instid1(VALU_DEP_2)
	v_add_f32_e32 v66, v66, v70
	v_add_f32_e32 v70, -1.0, v71
	s_delay_alu instid0(VALU_DEP_2) | instskip(NEXT) | instid1(VALU_DEP_2)
	v_ldexp_f32 v66, v66, v69
	v_dual_add_f32 v69, -1.0, v68 :: v_dual_sub_f32 v70, v68, v70
	s_delay_alu instid0(VALU_DEP_1) | instskip(NEXT) | instid1(VALU_DEP_2)
	v_add_f32_e32 v80, 1.0, v69
	v_add_f32_e32 v70, v66, v70
	s_delay_alu instid0(VALU_DEP_2) | instskip(NEXT) | instid1(VALU_DEP_2)
	v_sub_f32_e32 v68, v68, v80
	v_add_f32_e32 v80, v71, v70
	s_delay_alu instid0(VALU_DEP_2) | instskip(NEXT) | instid1(VALU_DEP_2)
	v_add_f32_e32 v66, v66, v68
	v_rcp_f32_e32 v68, v80
	v_sub_f32_e32 v71, v71, v80
	s_delay_alu instid0(VALU_DEP_1) | instskip(NEXT) | instid1(VALU_DEP_1)
	v_dual_add_f32 v81, v69, v66 :: v_dual_add_f32 v70, v70, v71
	v_sub_f32_e32 v69, v69, v81
	s_waitcnt_depctr 0xfff
	v_mul_f32_e32 v82, v81, v68
	s_delay_alu instid0(VALU_DEP_1) | instskip(NEXT) | instid1(VALU_DEP_1)
	v_dual_add_f32 v66, v66, v69 :: v_dual_mul_f32 v83, v80, v82
	v_fma_f32 v71, v82, v80, -v83
	s_delay_alu instid0(VALU_DEP_1) | instskip(NEXT) | instid1(VALU_DEP_1)
	v_fmac_f32_e32 v71, v82, v70
	v_add_f32_e32 v84, v83, v71
	s_delay_alu instid0(VALU_DEP_1) | instskip(SKIP_1) | instid1(VALU_DEP_2)
	v_sub_f32_e32 v85, v81, v84
	v_sub_f32_e32 v69, v84, v83
	;; [unrolled: 1-line block ×3, first 2 shown]
	s_delay_alu instid0(VALU_DEP_2) | instskip(NEXT) | instid1(VALU_DEP_2)
	v_sub_f32_e32 v69, v69, v71
	v_sub_f32_e32 v81, v81, v84
	s_delay_alu instid0(VALU_DEP_1) | instskip(NEXT) | instid1(VALU_DEP_1)
	v_add_f32_e32 v66, v66, v81
	v_add_f32_e32 v66, v69, v66
	s_delay_alu instid0(VALU_DEP_1) | instskip(NEXT) | instid1(VALU_DEP_1)
	v_add_f32_e32 v69, v85, v66
	v_mul_f32_e32 v71, v68, v69
	s_delay_alu instid0(VALU_DEP_1) | instskip(NEXT) | instid1(VALU_DEP_1)
	v_dual_sub_f32 v84, v85, v69 :: v_dual_mul_f32 v81, v80, v71
	v_add_f32_e32 v66, v66, v84
	s_delay_alu instid0(VALU_DEP_2) | instskip(NEXT) | instid1(VALU_DEP_1)
	v_fma_f32 v80, v71, v80, -v81
	v_fmac_f32_e32 v80, v71, v70
	s_delay_alu instid0(VALU_DEP_1) | instskip(NEXT) | instid1(VALU_DEP_1)
	v_add_f32_e32 v70, v81, v80
	v_sub_f32_e32 v83, v69, v70
	v_sub_f32_e32 v81, v70, v81
	s_delay_alu instid0(VALU_DEP_2) | instskip(NEXT) | instid1(VALU_DEP_1)
	v_sub_f32_e32 v69, v69, v83
	v_sub_f32_e32 v69, v69, v70
	s_delay_alu instid0(VALU_DEP_3) | instskip(NEXT) | instid1(VALU_DEP_2)
	v_sub_f32_e32 v70, v81, v80
	v_add_f32_e32 v66, v66, v69
	v_add_f32_e32 v69, v82, v71
	s_delay_alu instid0(VALU_DEP_2) | instskip(NEXT) | instid1(VALU_DEP_2)
	v_add_f32_e32 v66, v70, v66
	v_sub_f32_e32 v70, v69, v82
	s_delay_alu instid0(VALU_DEP_2) | instskip(NEXT) | instid1(VALU_DEP_2)
	v_add_f32_e32 v66, v83, v66
	v_sub_f32_e32 v70, v71, v70
	s_delay_alu instid0(VALU_DEP_2) | instskip(NEXT) | instid1(VALU_DEP_1)
	v_mul_f32_e32 v66, v68, v66
	v_add_f32_e32 v66, v70, v66
	s_delay_alu instid0(VALU_DEP_1) | instskip(NEXT) | instid1(VALU_DEP_1)
	v_add_f32_e32 v68, v69, v66
	v_mul_f32_e32 v70, v68, v68
	s_delay_alu instid0(VALU_DEP_1) | instskip(SKIP_2) | instid1(VALU_DEP_3)
	v_fmaak_f32 v71, s8, v70, 0x3ecc95a3
	v_mul_f32_e32 v80, v68, v70
	v_cmp_eq_f32_e64 s8, 0x7f800000, v67
	v_fmaak_f32 v70, v70, v71, 0x3f2aaada
	v_ldexp_f32 v71, v68, 1
	v_sub_f32_e32 v68, v68, v69
	s_delay_alu instid0(VALU_DEP_4) | instskip(NEXT) | instid1(VALU_DEP_3)
	s_or_b32 s8, s8, s10
	v_mul_f32_e32 v70, v80, v70
	v_mul_f32_e32 v80, 0x3f317218, v65
	s_delay_alu instid0(VALU_DEP_2) | instskip(NEXT) | instid1(VALU_DEP_1)
	v_dual_sub_f32 v66, v66, v68 :: v_dual_add_f32 v69, v71, v70
	v_ldexp_f32 v66, v66, 1
	s_delay_alu instid0(VALU_DEP_2) | instskip(NEXT) | instid1(VALU_DEP_4)
	v_sub_f32_e32 v68, v69, v71
	v_fma_f32 v71, 0x3f317218, v65, -v80
	s_delay_alu instid0(VALU_DEP_1) | instskip(NEXT) | instid1(VALU_DEP_1)
	v_dual_sub_f32 v68, v70, v68 :: v_dual_fmamk_f32 v65, v65, 0xb102e308, v71
	v_add_f32_e32 v66, v66, v68
	s_delay_alu instid0(VALU_DEP_2) | instskip(NEXT) | instid1(VALU_DEP_2)
	v_add_f32_e32 v68, v80, v65
	v_add_f32_e32 v70, v69, v66
	s_delay_alu instid0(VALU_DEP_2) | instskip(NEXT) | instid1(VALU_DEP_2)
	v_sub_f32_e32 v80, v68, v80
	v_add_f32_e32 v71, v68, v70
	v_sub_f32_e32 v69, v70, v69
	s_delay_alu instid0(VALU_DEP_3) | instskip(NEXT) | instid1(VALU_DEP_2)
	v_sub_f32_e32 v65, v65, v80
	v_dual_sub_f32 v81, v71, v68 :: v_dual_sub_f32 v66, v66, v69
	s_delay_alu instid0(VALU_DEP_1) | instskip(NEXT) | instid1(VALU_DEP_2)
	v_sub_f32_e32 v82, v71, v81
	v_dual_sub_f32 v69, v70, v81 :: v_dual_add_f32 v70, v65, v66
	s_delay_alu instid0(VALU_DEP_2) | instskip(NEXT) | instid1(VALU_DEP_1)
	v_sub_f32_e32 v68, v68, v82
	v_dual_add_f32 v68, v69, v68 :: v_dual_sub_f32 v69, v70, v65
	s_delay_alu instid0(VALU_DEP_1) | instskip(NEXT) | instid1(VALU_DEP_2)
	v_add_f32_e32 v68, v70, v68
	v_sub_f32_e32 v70, v70, v69
	v_sub_f32_e32 v66, v66, v69
	s_delay_alu instid0(VALU_DEP_2) | instskip(NEXT) | instid1(VALU_DEP_1)
	v_dual_add_f32 v80, v71, v68 :: v_dual_sub_f32 v65, v65, v70
	v_sub_f32_e32 v69, v80, v71
	s_delay_alu instid0(VALU_DEP_2) | instskip(NEXT) | instid1(VALU_DEP_2)
	v_add_f32_e32 v65, v66, v65
	v_sub_f32_e32 v66, v68, v69
	s_delay_alu instid0(VALU_DEP_1) | instskip(NEXT) | instid1(VALU_DEP_1)
	v_add_f32_e32 v65, v65, v66
	v_add_f32_e32 v65, v80, v65
	s_delay_alu instid0(VALU_DEP_1) | instskip(NEXT) | instid1(VALU_DEP_1)
	v_cndmask_b32_e64 v65, v65, v67, s8
	v_add_f32_e32 v65, v64, v65
.LBB501_256:
	s_or_b32 exec_lo, exec_lo, s9
	s_delay_alu instid0(VALU_DEP_1) | instskip(SKIP_2) | instid1(VALU_DEP_3)
	v_bfe_u32 v64, v65, 16, 1
	v_cmp_o_f32_e64 s8, v65, v65
	v_lshlrev_b32_e32 v39, 16, v39
	v_add3_u32 v64, v65, v64, 0x7fff
	s_delay_alu instid0(VALU_DEP_1) | instskip(NEXT) | instid1(VALU_DEP_1)
	v_and_b32_e32 v64, 0xffff0000, v64
	v_cndmask_b32_e64 v66, 0x7fc00000, v64, s8
	s_delay_alu instid0(VALU_DEP_1) | instskip(SKIP_1) | instid1(VALU_DEP_2)
	v_dual_max_f32 v64, v39, v39 :: v_dual_max_f32 v65, v66, v66
	v_cmp_u_f32_e64 s8, v66, v66
	v_min_f32_e32 v67, v65, v64
	v_max_f32_e32 v65, v65, v64
	s_delay_alu instid0(VALU_DEP_2) | instskip(NEXT) | instid1(VALU_DEP_2)
	v_cndmask_b32_e64 v67, v67, v66, s8
	v_cndmask_b32_e64 v65, v65, v66, s8
	v_cmp_u_f32_e64 s8, v39, v39
	s_delay_alu instid0(VALU_DEP_1) | instskip(NEXT) | instid1(VALU_DEP_3)
	v_cndmask_b32_e64 v67, v67, v39, s8
	v_cndmask_b32_e64 v65, v65, v39, s8
	s_delay_alu instid0(VALU_DEP_2) | instskip(NEXT) | instid1(VALU_DEP_2)
	v_cmp_class_f32_e64 s10, v67, 0x1f8
	v_cmp_neq_f32_e64 s9, v67, v65
	s_delay_alu instid0(VALU_DEP_1) | instskip(NEXT) | instid1(SALU_CYCLE_1)
	s_or_b32 s9, s9, s10
	s_and_saveexec_b32 s10, s9
	s_cbranch_execz .LBB501_258
; %bb.257:
	v_sub_f32_e32 v66, v67, v65
	s_delay_alu instid0(VALU_DEP_1) | instskip(SKIP_1) | instid1(VALU_DEP_2)
	v_mul_f32_e32 v67, 0x3fb8aa3b, v66
	v_cmp_ngt_f32_e64 s9, 0xc2ce8ed0, v66
	v_fma_f32 v68, 0x3fb8aa3b, v66, -v67
	v_rndne_f32_e32 v69, v67
	s_delay_alu instid0(VALU_DEP_1) | instskip(NEXT) | instid1(VALU_DEP_1)
	v_dual_fmamk_f32 v68, v66, 0x32a5705f, v68 :: v_dual_sub_f32 v67, v67, v69
	v_add_f32_e32 v67, v67, v68
	v_cvt_i32_f32_e32 v68, v69
	s_delay_alu instid0(VALU_DEP_2) | instskip(SKIP_2) | instid1(VALU_DEP_1)
	v_exp_f32_e32 v67, v67
	s_waitcnt_depctr 0xfff
	v_ldexp_f32 v67, v67, v68
	v_cndmask_b32_e64 v67, 0, v67, s9
	v_cmp_nlt_f32_e64 s9, 0x42b17218, v66
	s_delay_alu instid0(VALU_DEP_1) | instskip(NEXT) | instid1(VALU_DEP_1)
	v_cndmask_b32_e64 v68, 0x7f800000, v67, s9
	v_add_f32_e32 v69, 1.0, v68
	v_cmp_gt_f32_e64 s11, 0x33800000, |v68|
	s_delay_alu instid0(VALU_DEP_2) | instskip(NEXT) | instid1(VALU_DEP_1)
	v_cvt_f64_f32_e32 v[66:67], v69
	v_frexp_exp_i32_f64_e32 v66, v[66:67]
	v_frexp_mant_f32_e32 v67, v69
	s_delay_alu instid0(VALU_DEP_1) | instskip(SKIP_1) | instid1(VALU_DEP_1)
	v_cmp_gt_f32_e64 s9, 0x3f2aaaab, v67
	v_add_f32_e32 v67, -1.0, v69
	v_sub_f32_e32 v71, v67, v69
	v_sub_f32_e32 v67, v68, v67
	s_delay_alu instid0(VALU_DEP_4) | instskip(SKIP_1) | instid1(VALU_DEP_1)
	v_subrev_co_ci_u32_e64 v66, s9, 0, v66, s9
	s_mov_b32 s9, 0x3e9b6dac
	v_sub_nc_u32_e32 v70, 0, v66
	v_cvt_f32_i32_e32 v66, v66
	s_delay_alu instid0(VALU_DEP_2) | instskip(NEXT) | instid1(VALU_DEP_1)
	v_ldexp_f32 v69, v69, v70
	v_dual_add_f32 v80, 1.0, v69 :: v_dual_add_f32 v71, 1.0, v71
	s_delay_alu instid0(VALU_DEP_1) | instskip(NEXT) | instid1(VALU_DEP_2)
	v_add_f32_e32 v67, v67, v71
	v_add_f32_e32 v71, -1.0, v80
	s_delay_alu instid0(VALU_DEP_2) | instskip(NEXT) | instid1(VALU_DEP_2)
	v_ldexp_f32 v67, v67, v70
	v_dual_add_f32 v70, -1.0, v69 :: v_dual_sub_f32 v71, v69, v71
	s_delay_alu instid0(VALU_DEP_1) | instskip(NEXT) | instid1(VALU_DEP_2)
	v_add_f32_e32 v81, 1.0, v70
	v_add_f32_e32 v71, v67, v71
	s_delay_alu instid0(VALU_DEP_2) | instskip(NEXT) | instid1(VALU_DEP_2)
	v_sub_f32_e32 v69, v69, v81
	v_add_f32_e32 v81, v80, v71
	s_delay_alu instid0(VALU_DEP_2) | instskip(NEXT) | instid1(VALU_DEP_2)
	v_add_f32_e32 v67, v67, v69
	v_rcp_f32_e32 v69, v81
	v_sub_f32_e32 v80, v80, v81
	s_delay_alu instid0(VALU_DEP_1) | instskip(NEXT) | instid1(VALU_DEP_1)
	v_dual_add_f32 v82, v70, v67 :: v_dual_add_f32 v71, v71, v80
	v_sub_f32_e32 v70, v70, v82
	s_waitcnt_depctr 0xfff
	v_mul_f32_e32 v83, v82, v69
	s_delay_alu instid0(VALU_DEP_1) | instskip(NEXT) | instid1(VALU_DEP_1)
	v_dual_add_f32 v67, v67, v70 :: v_dual_mul_f32 v84, v81, v83
	v_fma_f32 v80, v83, v81, -v84
	s_delay_alu instid0(VALU_DEP_1) | instskip(NEXT) | instid1(VALU_DEP_1)
	v_fmac_f32_e32 v80, v83, v71
	v_add_f32_e32 v85, v84, v80
	s_delay_alu instid0(VALU_DEP_1) | instskip(NEXT) | instid1(VALU_DEP_1)
	v_dual_sub_f32 v87, v82, v85 :: v_dual_sub_f32 v70, v85, v84
	v_sub_f32_e32 v82, v82, v87
	s_delay_alu instid0(VALU_DEP_2) | instskip(NEXT) | instid1(VALU_DEP_2)
	v_sub_f32_e32 v70, v70, v80
	v_sub_f32_e32 v82, v82, v85
	s_delay_alu instid0(VALU_DEP_1) | instskip(NEXT) | instid1(VALU_DEP_1)
	v_add_f32_e32 v67, v67, v82
	v_add_f32_e32 v67, v70, v67
	s_delay_alu instid0(VALU_DEP_1) | instskip(NEXT) | instid1(VALU_DEP_1)
	v_add_f32_e32 v70, v87, v67
	v_mul_f32_e32 v80, v69, v70
	s_delay_alu instid0(VALU_DEP_1) | instskip(NEXT) | instid1(VALU_DEP_1)
	v_dual_sub_f32 v85, v87, v70 :: v_dual_mul_f32 v82, v81, v80
	v_add_f32_e32 v67, v67, v85
	s_delay_alu instid0(VALU_DEP_2) | instskip(NEXT) | instid1(VALU_DEP_1)
	v_fma_f32 v81, v80, v81, -v82
	v_fmac_f32_e32 v81, v80, v71
	s_delay_alu instid0(VALU_DEP_1) | instskip(NEXT) | instid1(VALU_DEP_1)
	v_add_f32_e32 v71, v82, v81
	v_sub_f32_e32 v84, v70, v71
	v_sub_f32_e32 v82, v71, v82
	s_delay_alu instid0(VALU_DEP_2) | instskip(NEXT) | instid1(VALU_DEP_1)
	v_sub_f32_e32 v70, v70, v84
	v_sub_f32_e32 v70, v70, v71
	s_delay_alu instid0(VALU_DEP_3) | instskip(NEXT) | instid1(VALU_DEP_2)
	v_sub_f32_e32 v71, v82, v81
	v_add_f32_e32 v67, v67, v70
	v_add_f32_e32 v70, v83, v80
	s_delay_alu instid0(VALU_DEP_2) | instskip(NEXT) | instid1(VALU_DEP_2)
	v_add_f32_e32 v67, v71, v67
	v_sub_f32_e32 v71, v70, v83
	s_delay_alu instid0(VALU_DEP_2) | instskip(NEXT) | instid1(VALU_DEP_2)
	v_add_f32_e32 v67, v84, v67
	v_sub_f32_e32 v71, v80, v71
	s_delay_alu instid0(VALU_DEP_2) | instskip(NEXT) | instid1(VALU_DEP_1)
	v_mul_f32_e32 v67, v69, v67
	v_add_f32_e32 v67, v71, v67
	s_delay_alu instid0(VALU_DEP_1) | instskip(NEXT) | instid1(VALU_DEP_1)
	v_add_f32_e32 v69, v70, v67
	v_mul_f32_e32 v71, v69, v69
	s_delay_alu instid0(VALU_DEP_1) | instskip(SKIP_2) | instid1(VALU_DEP_3)
	v_fmaak_f32 v80, s9, v71, 0x3ecc95a3
	v_mul_f32_e32 v81, v69, v71
	v_cmp_eq_f32_e64 s9, 0x7f800000, v68
	v_fmaak_f32 v71, v71, v80, 0x3f2aaada
	v_ldexp_f32 v80, v69, 1
	v_sub_f32_e32 v69, v69, v70
	s_delay_alu instid0(VALU_DEP_4) | instskip(NEXT) | instid1(VALU_DEP_3)
	s_or_b32 s9, s9, s11
	v_mul_f32_e32 v71, v81, v71
	v_mul_f32_e32 v81, 0x3f317218, v66
	s_delay_alu instid0(VALU_DEP_2) | instskip(NEXT) | instid1(VALU_DEP_1)
	v_dual_sub_f32 v67, v67, v69 :: v_dual_add_f32 v70, v80, v71
	v_ldexp_f32 v67, v67, 1
	s_delay_alu instid0(VALU_DEP_2) | instskip(NEXT) | instid1(VALU_DEP_4)
	v_sub_f32_e32 v69, v70, v80
	v_fma_f32 v80, 0x3f317218, v66, -v81
	s_delay_alu instid0(VALU_DEP_1) | instskip(NEXT) | instid1(VALU_DEP_1)
	v_dual_sub_f32 v69, v71, v69 :: v_dual_fmamk_f32 v66, v66, 0xb102e308, v80
	v_add_f32_e32 v67, v67, v69
	s_delay_alu instid0(VALU_DEP_2) | instskip(NEXT) | instid1(VALU_DEP_2)
	v_add_f32_e32 v69, v81, v66
	v_add_f32_e32 v71, v70, v67
	s_delay_alu instid0(VALU_DEP_2) | instskip(NEXT) | instid1(VALU_DEP_2)
	v_sub_f32_e32 v81, v69, v81
	v_add_f32_e32 v80, v69, v71
	v_sub_f32_e32 v70, v71, v70
	s_delay_alu instid0(VALU_DEP_3) | instskip(NEXT) | instid1(VALU_DEP_2)
	v_sub_f32_e32 v66, v66, v81
	v_dual_sub_f32 v82, v80, v69 :: v_dual_sub_f32 v67, v67, v70
	s_delay_alu instid0(VALU_DEP_1) | instskip(NEXT) | instid1(VALU_DEP_2)
	v_sub_f32_e32 v83, v80, v82
	v_dual_sub_f32 v70, v71, v82 :: v_dual_add_f32 v71, v66, v67
	s_delay_alu instid0(VALU_DEP_2) | instskip(NEXT) | instid1(VALU_DEP_1)
	v_sub_f32_e32 v69, v69, v83
	v_dual_add_f32 v69, v70, v69 :: v_dual_sub_f32 v70, v71, v66
	s_delay_alu instid0(VALU_DEP_1) | instskip(NEXT) | instid1(VALU_DEP_2)
	v_add_f32_e32 v69, v71, v69
	v_sub_f32_e32 v71, v71, v70
	v_sub_f32_e32 v67, v67, v70
	s_delay_alu instid0(VALU_DEP_2) | instskip(NEXT) | instid1(VALU_DEP_1)
	v_dual_add_f32 v81, v80, v69 :: v_dual_sub_f32 v66, v66, v71
	v_sub_f32_e32 v70, v81, v80
	s_delay_alu instid0(VALU_DEP_2) | instskip(NEXT) | instid1(VALU_DEP_2)
	v_add_f32_e32 v66, v67, v66
	v_sub_f32_e32 v67, v69, v70
	s_delay_alu instid0(VALU_DEP_1) | instskip(NEXT) | instid1(VALU_DEP_1)
	v_add_f32_e32 v66, v66, v67
	v_add_f32_e32 v66, v81, v66
	s_delay_alu instid0(VALU_DEP_1) | instskip(NEXT) | instid1(VALU_DEP_1)
	v_cndmask_b32_e64 v66, v66, v68, s9
	v_add_f32_e32 v66, v65, v66
.LBB501_258:
	s_or_b32 exec_lo, exec_lo, s10
	s_delay_alu instid0(VALU_DEP_1) | instskip(SKIP_2) | instid1(VALU_DEP_3)
	v_bfe_u32 v65, v66, 16, 1
	v_cmp_o_f32_e64 s9, v66, v66
	v_lshlrev_b32_e32 v38, 16, v38
	v_add3_u32 v65, v66, v65, 0x7fff
	s_delay_alu instid0(VALU_DEP_1) | instskip(NEXT) | instid1(VALU_DEP_1)
	v_and_b32_e32 v65, 0xffff0000, v65
	v_cndmask_b32_e64 v67, 0x7fc00000, v65, s9
	s_delay_alu instid0(VALU_DEP_1) | instskip(SKIP_1) | instid1(VALU_DEP_2)
	v_dual_max_f32 v65, v38, v38 :: v_dual_max_f32 v66, v67, v67
	v_cmp_u_f32_e64 s9, v67, v67
	v_min_f32_e32 v68, v66, v65
	v_max_f32_e32 v66, v66, v65
	s_delay_alu instid0(VALU_DEP_2) | instskip(NEXT) | instid1(VALU_DEP_2)
	v_cndmask_b32_e64 v68, v68, v67, s9
	v_cndmask_b32_e64 v66, v66, v67, s9
	v_cmp_u_f32_e64 s9, v38, v38
	s_delay_alu instid0(VALU_DEP_1) | instskip(NEXT) | instid1(VALU_DEP_3)
	v_cndmask_b32_e64 v68, v68, v38, s9
	v_cndmask_b32_e64 v66, v66, v38, s9
	s_delay_alu instid0(VALU_DEP_2) | instskip(NEXT) | instid1(VALU_DEP_2)
	v_cmp_class_f32_e64 s11, v68, 0x1f8
	v_cmp_neq_f32_e64 s10, v68, v66
	s_delay_alu instid0(VALU_DEP_1) | instskip(NEXT) | instid1(SALU_CYCLE_1)
	s_or_b32 s10, s10, s11
	s_and_saveexec_b32 s11, s10
	s_cbranch_execz .LBB501_260
; %bb.259:
	v_sub_f32_e32 v67, v68, v66
	s_delay_alu instid0(VALU_DEP_1) | instskip(SKIP_1) | instid1(VALU_DEP_2)
	v_mul_f32_e32 v68, 0x3fb8aa3b, v67
	v_cmp_ngt_f32_e64 s10, 0xc2ce8ed0, v67
	v_fma_f32 v69, 0x3fb8aa3b, v67, -v68
	v_rndne_f32_e32 v70, v68
	s_delay_alu instid0(VALU_DEP_1) | instskip(NEXT) | instid1(VALU_DEP_1)
	v_dual_fmamk_f32 v69, v67, 0x32a5705f, v69 :: v_dual_sub_f32 v68, v68, v70
	v_add_f32_e32 v68, v68, v69
	v_cvt_i32_f32_e32 v69, v70
	s_delay_alu instid0(VALU_DEP_2) | instskip(SKIP_2) | instid1(VALU_DEP_1)
	v_exp_f32_e32 v68, v68
	s_waitcnt_depctr 0xfff
	v_ldexp_f32 v68, v68, v69
	v_cndmask_b32_e64 v68, 0, v68, s10
	v_cmp_nlt_f32_e64 s10, 0x42b17218, v67
	s_delay_alu instid0(VALU_DEP_1) | instskip(NEXT) | instid1(VALU_DEP_1)
	v_cndmask_b32_e64 v69, 0x7f800000, v68, s10
	v_add_f32_e32 v70, 1.0, v69
	v_cmp_gt_f32_e64 s12, 0x33800000, |v69|
	s_delay_alu instid0(VALU_DEP_2) | instskip(NEXT) | instid1(VALU_DEP_1)
	v_cvt_f64_f32_e32 v[67:68], v70
	v_frexp_exp_i32_f64_e32 v67, v[67:68]
	v_frexp_mant_f32_e32 v68, v70
	s_delay_alu instid0(VALU_DEP_1) | instskip(SKIP_1) | instid1(VALU_DEP_1)
	v_cmp_gt_f32_e64 s10, 0x3f2aaaab, v68
	v_add_f32_e32 v68, -1.0, v70
	v_sub_f32_e32 v80, v68, v70
	v_sub_f32_e32 v68, v69, v68
	s_delay_alu instid0(VALU_DEP_4) | instskip(SKIP_1) | instid1(VALU_DEP_1)
	v_subrev_co_ci_u32_e64 v67, s10, 0, v67, s10
	s_mov_b32 s10, 0x3e9b6dac
	v_sub_nc_u32_e32 v71, 0, v67
	v_cvt_f32_i32_e32 v67, v67
	s_delay_alu instid0(VALU_DEP_2) | instskip(NEXT) | instid1(VALU_DEP_1)
	v_ldexp_f32 v70, v70, v71
	v_dual_add_f32 v81, 1.0, v70 :: v_dual_add_f32 v80, 1.0, v80
	s_delay_alu instid0(VALU_DEP_1) | instskip(NEXT) | instid1(VALU_DEP_2)
	v_add_f32_e32 v68, v68, v80
	v_add_f32_e32 v80, -1.0, v81
	s_delay_alu instid0(VALU_DEP_2) | instskip(NEXT) | instid1(VALU_DEP_2)
	v_ldexp_f32 v68, v68, v71
	v_dual_add_f32 v71, -1.0, v70 :: v_dual_sub_f32 v80, v70, v80
	s_delay_alu instid0(VALU_DEP_1) | instskip(NEXT) | instid1(VALU_DEP_2)
	v_add_f32_e32 v82, 1.0, v71
	v_add_f32_e32 v80, v68, v80
	s_delay_alu instid0(VALU_DEP_2) | instskip(NEXT) | instid1(VALU_DEP_2)
	v_sub_f32_e32 v70, v70, v82
	v_add_f32_e32 v82, v81, v80
	s_delay_alu instid0(VALU_DEP_2) | instskip(NEXT) | instid1(VALU_DEP_2)
	v_add_f32_e32 v68, v68, v70
	v_rcp_f32_e32 v70, v82
	v_sub_f32_e32 v81, v81, v82
	s_delay_alu instid0(VALU_DEP_1) | instskip(NEXT) | instid1(VALU_DEP_1)
	v_dual_add_f32 v83, v71, v68 :: v_dual_add_f32 v80, v80, v81
	v_sub_f32_e32 v71, v71, v83
	s_waitcnt_depctr 0xfff
	v_mul_f32_e32 v84, v83, v70
	s_delay_alu instid0(VALU_DEP_1) | instskip(NEXT) | instid1(VALU_DEP_1)
	v_dual_add_f32 v68, v68, v71 :: v_dual_mul_f32 v85, v82, v84
	v_fma_f32 v81, v84, v82, -v85
	s_delay_alu instid0(VALU_DEP_1) | instskip(NEXT) | instid1(VALU_DEP_1)
	v_fmac_f32_e32 v81, v84, v80
	v_add_f32_e32 v87, v85, v81
	s_delay_alu instid0(VALU_DEP_1) | instskip(SKIP_1) | instid1(VALU_DEP_2)
	v_sub_f32_e32 v96, v83, v87
	v_sub_f32_e32 v71, v87, v85
	;; [unrolled: 1-line block ×3, first 2 shown]
	s_delay_alu instid0(VALU_DEP_2) | instskip(NEXT) | instid1(VALU_DEP_2)
	v_sub_f32_e32 v71, v71, v81
	v_sub_f32_e32 v83, v83, v87
	s_delay_alu instid0(VALU_DEP_1) | instskip(NEXT) | instid1(VALU_DEP_1)
	v_add_f32_e32 v68, v68, v83
	v_add_f32_e32 v68, v71, v68
	s_delay_alu instid0(VALU_DEP_1) | instskip(NEXT) | instid1(VALU_DEP_1)
	v_add_f32_e32 v71, v96, v68
	v_sub_f32_e32 v87, v96, v71
	v_mul_f32_e32 v81, v70, v71
	s_delay_alu instid0(VALU_DEP_1) | instskip(NEXT) | instid1(VALU_DEP_1)
	v_mul_f32_e32 v83, v82, v81
	v_fma_f32 v82, v81, v82, -v83
	s_delay_alu instid0(VALU_DEP_1) | instskip(NEXT) | instid1(VALU_DEP_1)
	v_fmac_f32_e32 v82, v81, v80
	v_add_f32_e32 v80, v83, v82
	s_delay_alu instid0(VALU_DEP_1) | instskip(SKIP_1) | instid1(VALU_DEP_2)
	v_sub_f32_e32 v85, v71, v80
	v_sub_f32_e32 v83, v80, v83
	v_dual_sub_f32 v71, v71, v85 :: v_dual_add_f32 v68, v68, v87
	s_delay_alu instid0(VALU_DEP_1) | instskip(NEXT) | instid1(VALU_DEP_3)
	v_sub_f32_e32 v71, v71, v80
	v_sub_f32_e32 v80, v83, v82
	s_delay_alu instid0(VALU_DEP_2) | instskip(SKIP_1) | instid1(VALU_DEP_2)
	v_add_f32_e32 v68, v68, v71
	v_add_f32_e32 v71, v84, v81
	;; [unrolled: 1-line block ×3, first 2 shown]
	s_delay_alu instid0(VALU_DEP_2) | instskip(NEXT) | instid1(VALU_DEP_2)
	v_sub_f32_e32 v80, v71, v84
	v_add_f32_e32 v68, v85, v68
	s_delay_alu instid0(VALU_DEP_2) | instskip(NEXT) | instid1(VALU_DEP_2)
	v_sub_f32_e32 v80, v81, v80
	v_mul_f32_e32 v68, v70, v68
	s_delay_alu instid0(VALU_DEP_1) | instskip(NEXT) | instid1(VALU_DEP_1)
	v_add_f32_e32 v68, v80, v68
	v_add_f32_e32 v70, v71, v68
	s_delay_alu instid0(VALU_DEP_1) | instskip(NEXT) | instid1(VALU_DEP_1)
	v_mul_f32_e32 v80, v70, v70
	v_fmaak_f32 v81, s10, v80, 0x3ecc95a3
	v_mul_f32_e32 v82, v70, v80
	v_cmp_eq_f32_e64 s10, 0x7f800000, v69
	s_delay_alu instid0(VALU_DEP_3) | instskip(SKIP_1) | instid1(VALU_DEP_3)
	v_fmaak_f32 v80, v80, v81, 0x3f2aaada
	v_ldexp_f32 v81, v70, 1
	s_or_b32 s10, s10, s12
	s_delay_alu instid0(VALU_DEP_2) | instskip(NEXT) | instid1(VALU_DEP_1)
	v_mul_f32_e32 v80, v82, v80
	v_dual_sub_f32 v70, v70, v71 :: v_dual_add_f32 v71, v81, v80
	s_delay_alu instid0(VALU_DEP_1) | instskip(NEXT) | instid1(VALU_DEP_2)
	v_sub_f32_e32 v68, v68, v70
	v_sub_f32_e32 v70, v71, v81
	s_delay_alu instid0(VALU_DEP_2) | instskip(NEXT) | instid1(VALU_DEP_2)
	v_ldexp_f32 v68, v68, 1
	v_sub_f32_e32 v70, v80, v70
	s_delay_alu instid0(VALU_DEP_1) | instskip(NEXT) | instid1(VALU_DEP_1)
	v_add_f32_e32 v68, v68, v70
	v_add_f32_e32 v80, v71, v68
	v_mul_f32_e32 v82, 0x3f317218, v67
	s_delay_alu instid0(VALU_DEP_2) | instskip(NEXT) | instid1(VALU_DEP_2)
	v_sub_f32_e32 v71, v80, v71
	v_fma_f32 v81, 0x3f317218, v67, -v82
	s_delay_alu instid0(VALU_DEP_1) | instskip(NEXT) | instid1(VALU_DEP_1)
	v_dual_sub_f32 v68, v68, v71 :: v_dual_fmamk_f32 v67, v67, 0xb102e308, v81
	v_add_f32_e32 v70, v82, v67
	s_delay_alu instid0(VALU_DEP_1) | instskip(SKIP_1) | instid1(VALU_DEP_2)
	v_add_f32_e32 v81, v70, v80
	v_sub_f32_e32 v82, v70, v82
	v_sub_f32_e32 v83, v81, v70
	s_delay_alu instid0(VALU_DEP_1) | instskip(NEXT) | instid1(VALU_DEP_1)
	v_dual_sub_f32 v67, v67, v82 :: v_dual_sub_f32 v84, v81, v83
	v_dual_sub_f32 v71, v80, v83 :: v_dual_add_f32 v80, v67, v68
	s_delay_alu instid0(VALU_DEP_2) | instskip(NEXT) | instid1(VALU_DEP_1)
	v_sub_f32_e32 v70, v70, v84
	v_dual_add_f32 v70, v71, v70 :: v_dual_sub_f32 v71, v80, v67
	s_delay_alu instid0(VALU_DEP_1) | instskip(NEXT) | instid1(VALU_DEP_2)
	v_add_f32_e32 v70, v80, v70
	v_sub_f32_e32 v80, v80, v71
	v_sub_f32_e32 v68, v68, v71
	s_delay_alu instid0(VALU_DEP_2) | instskip(NEXT) | instid1(VALU_DEP_1)
	v_dual_add_f32 v82, v81, v70 :: v_dual_sub_f32 v67, v67, v80
	v_sub_f32_e32 v71, v82, v81
	s_delay_alu instid0(VALU_DEP_2) | instskip(NEXT) | instid1(VALU_DEP_2)
	v_add_f32_e32 v67, v68, v67
	v_sub_f32_e32 v68, v70, v71
	s_delay_alu instid0(VALU_DEP_1) | instskip(NEXT) | instid1(VALU_DEP_1)
	v_add_f32_e32 v67, v67, v68
	v_add_f32_e32 v67, v82, v67
	s_delay_alu instid0(VALU_DEP_1) | instskip(NEXT) | instid1(VALU_DEP_1)
	v_cndmask_b32_e64 v67, v67, v69, s10
	v_add_f32_e32 v67, v66, v67
.LBB501_260:
	s_or_b32 exec_lo, exec_lo, s11
	s_delay_alu instid0(VALU_DEP_1) | instskip(SKIP_2) | instid1(VALU_DEP_3)
	v_bfe_u32 v66, v67, 16, 1
	v_cmp_o_f32_e64 s10, v67, v67
	v_lshlrev_b32_e32 v37, 16, v37
	v_add3_u32 v66, v67, v66, 0x7fff
	s_delay_alu instid0(VALU_DEP_1) | instskip(NEXT) | instid1(VALU_DEP_1)
	v_and_b32_e32 v66, 0xffff0000, v66
	v_cndmask_b32_e64 v68, 0x7fc00000, v66, s10
	s_delay_alu instid0(VALU_DEP_1) | instskip(SKIP_1) | instid1(VALU_DEP_2)
	v_dual_max_f32 v66, v37, v37 :: v_dual_max_f32 v67, v68, v68
	v_cmp_u_f32_e64 s10, v68, v68
	v_min_f32_e32 v69, v67, v66
	v_max_f32_e32 v67, v67, v66
	s_delay_alu instid0(VALU_DEP_2) | instskip(NEXT) | instid1(VALU_DEP_2)
	v_cndmask_b32_e64 v69, v69, v68, s10
	v_cndmask_b32_e64 v67, v67, v68, s10
	v_cmp_u_f32_e64 s10, v37, v37
	s_delay_alu instid0(VALU_DEP_1) | instskip(NEXT) | instid1(VALU_DEP_3)
	v_cndmask_b32_e64 v69, v69, v37, s10
	v_cndmask_b32_e64 v67, v67, v37, s10
	s_delay_alu instid0(VALU_DEP_2) | instskip(NEXT) | instid1(VALU_DEP_2)
	v_cmp_class_f32_e64 s12, v69, 0x1f8
	v_cmp_neq_f32_e64 s11, v69, v67
	s_delay_alu instid0(VALU_DEP_1) | instskip(NEXT) | instid1(SALU_CYCLE_1)
	s_or_b32 s11, s11, s12
	s_and_saveexec_b32 s12, s11
	s_cbranch_execz .LBB501_262
; %bb.261:
	v_sub_f32_e32 v68, v69, v67
	s_delay_alu instid0(VALU_DEP_1) | instskip(SKIP_1) | instid1(VALU_DEP_2)
	v_mul_f32_e32 v69, 0x3fb8aa3b, v68
	v_cmp_ngt_f32_e64 s11, 0xc2ce8ed0, v68
	v_fma_f32 v70, 0x3fb8aa3b, v68, -v69
	v_rndne_f32_e32 v71, v69
	s_delay_alu instid0(VALU_DEP_1) | instskip(NEXT) | instid1(VALU_DEP_1)
	v_dual_fmamk_f32 v70, v68, 0x32a5705f, v70 :: v_dual_sub_f32 v69, v69, v71
	v_add_f32_e32 v69, v69, v70
	v_cvt_i32_f32_e32 v70, v71
	s_delay_alu instid0(VALU_DEP_2) | instskip(SKIP_2) | instid1(VALU_DEP_1)
	v_exp_f32_e32 v69, v69
	s_waitcnt_depctr 0xfff
	v_ldexp_f32 v69, v69, v70
	v_cndmask_b32_e64 v69, 0, v69, s11
	v_cmp_nlt_f32_e64 s11, 0x42b17218, v68
	s_delay_alu instid0(VALU_DEP_1) | instskip(NEXT) | instid1(VALU_DEP_1)
	v_cndmask_b32_e64 v70, 0x7f800000, v69, s11
	v_add_f32_e32 v71, 1.0, v70
	v_cmp_gt_f32_e64 s13, 0x33800000, |v70|
	s_delay_alu instid0(VALU_DEP_2) | instskip(NEXT) | instid1(VALU_DEP_1)
	v_cvt_f64_f32_e32 v[68:69], v71
	v_frexp_exp_i32_f64_e32 v68, v[68:69]
	v_frexp_mant_f32_e32 v69, v71
	s_delay_alu instid0(VALU_DEP_1) | instskip(SKIP_1) | instid1(VALU_DEP_1)
	v_cmp_gt_f32_e64 s11, 0x3f2aaaab, v69
	v_add_f32_e32 v69, -1.0, v71
	v_sub_f32_e32 v81, v69, v71
	v_sub_f32_e32 v69, v70, v69
	s_delay_alu instid0(VALU_DEP_4) | instskip(SKIP_1) | instid1(VALU_DEP_1)
	v_subrev_co_ci_u32_e64 v68, s11, 0, v68, s11
	s_mov_b32 s11, 0x3e9b6dac
	v_sub_nc_u32_e32 v80, 0, v68
	v_cvt_f32_i32_e32 v68, v68
	s_delay_alu instid0(VALU_DEP_2) | instskip(NEXT) | instid1(VALU_DEP_1)
	v_ldexp_f32 v71, v71, v80
	v_dual_add_f32 v82, 1.0, v71 :: v_dual_add_f32 v81, 1.0, v81
	s_delay_alu instid0(VALU_DEP_1) | instskip(NEXT) | instid1(VALU_DEP_2)
	v_add_f32_e32 v69, v69, v81
	v_add_f32_e32 v81, -1.0, v82
	s_delay_alu instid0(VALU_DEP_2) | instskip(NEXT) | instid1(VALU_DEP_2)
	v_ldexp_f32 v69, v69, v80
	v_dual_add_f32 v80, -1.0, v71 :: v_dual_sub_f32 v81, v71, v81
	s_delay_alu instid0(VALU_DEP_1) | instskip(NEXT) | instid1(VALU_DEP_2)
	v_add_f32_e32 v83, 1.0, v80
	v_add_f32_e32 v81, v69, v81
	s_delay_alu instid0(VALU_DEP_2) | instskip(NEXT) | instid1(VALU_DEP_2)
	v_sub_f32_e32 v71, v71, v83
	v_add_f32_e32 v83, v82, v81
	s_delay_alu instid0(VALU_DEP_2) | instskip(NEXT) | instid1(VALU_DEP_2)
	v_add_f32_e32 v69, v69, v71
	v_rcp_f32_e32 v71, v83
	v_sub_f32_e32 v82, v82, v83
	s_delay_alu instid0(VALU_DEP_1) | instskip(NEXT) | instid1(VALU_DEP_1)
	v_dual_add_f32 v84, v80, v69 :: v_dual_add_f32 v81, v81, v82
	v_sub_f32_e32 v80, v80, v84
	s_waitcnt_depctr 0xfff
	v_mul_f32_e32 v85, v84, v71
	v_add_f32_e32 v69, v69, v80
	s_delay_alu instid0(VALU_DEP_2) | instskip(NEXT) | instid1(VALU_DEP_1)
	v_mul_f32_e32 v87, v83, v85
	v_fma_f32 v82, v85, v83, -v87
	s_delay_alu instid0(VALU_DEP_1) | instskip(NEXT) | instid1(VALU_DEP_1)
	v_fmac_f32_e32 v82, v85, v81
	v_add_f32_e32 v96, v87, v82
	s_delay_alu instid0(VALU_DEP_1) | instskip(SKIP_1) | instid1(VALU_DEP_2)
	v_sub_f32_e32 v97, v84, v96
	v_sub_f32_e32 v80, v96, v87
	;; [unrolled: 1-line block ×3, first 2 shown]
	s_delay_alu instid0(VALU_DEP_2) | instskip(NEXT) | instid1(VALU_DEP_2)
	v_sub_f32_e32 v80, v80, v82
	v_sub_f32_e32 v84, v84, v96
	s_delay_alu instid0(VALU_DEP_1) | instskip(NEXT) | instid1(VALU_DEP_1)
	v_add_f32_e32 v69, v69, v84
	v_add_f32_e32 v69, v80, v69
	s_delay_alu instid0(VALU_DEP_1) | instskip(NEXT) | instid1(VALU_DEP_1)
	v_add_f32_e32 v80, v97, v69
	v_mul_f32_e32 v82, v71, v80
	v_sub_f32_e32 v96, v97, v80
	s_delay_alu instid0(VALU_DEP_1) | instskip(NEXT) | instid1(VALU_DEP_1)
	v_dual_mul_f32 v84, v83, v82 :: v_dual_add_f32 v69, v69, v96
	v_fma_f32 v83, v82, v83, -v84
	s_delay_alu instid0(VALU_DEP_1) | instskip(NEXT) | instid1(VALU_DEP_1)
	v_fmac_f32_e32 v83, v82, v81
	v_add_f32_e32 v81, v84, v83
	s_delay_alu instid0(VALU_DEP_1) | instskip(NEXT) | instid1(VALU_DEP_1)
	v_dual_sub_f32 v87, v80, v81 :: v_dual_sub_f32 v84, v81, v84
	v_sub_f32_e32 v80, v80, v87
	s_delay_alu instid0(VALU_DEP_1) | instskip(NEXT) | instid1(VALU_DEP_3)
	v_sub_f32_e32 v80, v80, v81
	v_sub_f32_e32 v81, v84, v83
	s_delay_alu instid0(VALU_DEP_2) | instskip(SKIP_1) | instid1(VALU_DEP_2)
	v_add_f32_e32 v69, v69, v80
	v_add_f32_e32 v80, v85, v82
	;; [unrolled: 1-line block ×3, first 2 shown]
	s_delay_alu instid0(VALU_DEP_2) | instskip(NEXT) | instid1(VALU_DEP_2)
	v_sub_f32_e32 v81, v80, v85
	v_add_f32_e32 v69, v87, v69
	s_delay_alu instid0(VALU_DEP_2) | instskip(NEXT) | instid1(VALU_DEP_2)
	v_sub_f32_e32 v81, v82, v81
	v_mul_f32_e32 v69, v71, v69
	s_delay_alu instid0(VALU_DEP_1) | instskip(NEXT) | instid1(VALU_DEP_1)
	v_add_f32_e32 v69, v81, v69
	v_add_f32_e32 v71, v80, v69
	s_delay_alu instid0(VALU_DEP_1) | instskip(NEXT) | instid1(VALU_DEP_1)
	v_mul_f32_e32 v81, v71, v71
	v_fmaak_f32 v82, s11, v81, 0x3ecc95a3
	v_mul_f32_e32 v83, v71, v81
	v_cmp_eq_f32_e64 s11, 0x7f800000, v70
	s_delay_alu instid0(VALU_DEP_3) | instskip(SKIP_2) | instid1(VALU_DEP_4)
	v_fmaak_f32 v81, v81, v82, 0x3f2aaada
	v_ldexp_f32 v82, v71, 1
	v_sub_f32_e32 v71, v71, v80
	s_or_b32 s11, s11, s13
	s_delay_alu instid0(VALU_DEP_3) | instskip(SKIP_1) | instid1(VALU_DEP_2)
	v_mul_f32_e32 v81, v83, v81
	v_mul_f32_e32 v83, 0x3f317218, v68
	v_dual_sub_f32 v69, v69, v71 :: v_dual_add_f32 v80, v82, v81
	s_delay_alu instid0(VALU_DEP_1) | instskip(NEXT) | instid1(VALU_DEP_2)
	v_ldexp_f32 v69, v69, 1
	v_sub_f32_e32 v71, v80, v82
	s_delay_alu instid0(VALU_DEP_4) | instskip(NEXT) | instid1(VALU_DEP_1)
	v_fma_f32 v82, 0x3f317218, v68, -v83
	v_dual_sub_f32 v71, v81, v71 :: v_dual_fmamk_f32 v68, v68, 0xb102e308, v82
	s_delay_alu instid0(VALU_DEP_1) | instskip(NEXT) | instid1(VALU_DEP_2)
	v_add_f32_e32 v69, v69, v71
	v_add_f32_e32 v71, v83, v68
	s_delay_alu instid0(VALU_DEP_2) | instskip(NEXT) | instid1(VALU_DEP_2)
	v_add_f32_e32 v81, v80, v69
	v_sub_f32_e32 v83, v71, v83
	s_delay_alu instid0(VALU_DEP_2) | instskip(SKIP_1) | instid1(VALU_DEP_3)
	v_add_f32_e32 v82, v71, v81
	v_sub_f32_e32 v80, v81, v80
	v_sub_f32_e32 v68, v68, v83
	s_delay_alu instid0(VALU_DEP_2) | instskip(NEXT) | instid1(VALU_DEP_1)
	v_dual_sub_f32 v84, v82, v71 :: v_dual_sub_f32 v69, v69, v80
	v_sub_f32_e32 v85, v82, v84
	s_delay_alu instid0(VALU_DEP_2) | instskip(NEXT) | instid1(VALU_DEP_2)
	v_dual_sub_f32 v80, v81, v84 :: v_dual_add_f32 v81, v68, v69
	v_sub_f32_e32 v71, v71, v85
	s_delay_alu instid0(VALU_DEP_1) | instskip(NEXT) | instid1(VALU_DEP_1)
	v_dual_add_f32 v71, v80, v71 :: v_dual_sub_f32 v80, v81, v68
	v_add_f32_e32 v71, v81, v71
	s_delay_alu instid0(VALU_DEP_2) | instskip(SKIP_1) | instid1(VALU_DEP_2)
	v_sub_f32_e32 v81, v81, v80
	v_sub_f32_e32 v69, v69, v80
	v_dual_add_f32 v83, v82, v71 :: v_dual_sub_f32 v68, v68, v81
	s_delay_alu instid0(VALU_DEP_1) | instskip(NEXT) | instid1(VALU_DEP_2)
	v_sub_f32_e32 v80, v83, v82
	v_add_f32_e32 v68, v69, v68
	s_delay_alu instid0(VALU_DEP_2) | instskip(NEXT) | instid1(VALU_DEP_1)
	v_sub_f32_e32 v69, v71, v80
	v_add_f32_e32 v68, v68, v69
	s_delay_alu instid0(VALU_DEP_1) | instskip(NEXT) | instid1(VALU_DEP_1)
	v_add_f32_e32 v68, v83, v68
	v_cndmask_b32_e64 v68, v68, v70, s11
	s_delay_alu instid0(VALU_DEP_1)
	v_add_f32_e32 v68, v67, v68
.LBB501_262:
	s_or_b32 exec_lo, exec_lo, s12
	s_delay_alu instid0(VALU_DEP_1) | instskip(SKIP_2) | instid1(VALU_DEP_3)
	v_bfe_u32 v67, v68, 16, 1
	v_cmp_o_f32_e64 s11, v68, v68
	v_lshlrev_b32_e32 v36, 16, v36
	v_add3_u32 v67, v68, v67, 0x7fff
	s_delay_alu instid0(VALU_DEP_1) | instskip(NEXT) | instid1(VALU_DEP_1)
	v_and_b32_e32 v67, 0xffff0000, v67
	v_cndmask_b32_e64 v69, 0x7fc00000, v67, s11
	s_delay_alu instid0(VALU_DEP_1) | instskip(SKIP_1) | instid1(VALU_DEP_2)
	v_dual_max_f32 v67, v36, v36 :: v_dual_max_f32 v68, v69, v69
	v_cmp_u_f32_e64 s11, v69, v69
	v_min_f32_e32 v70, v68, v67
	v_max_f32_e32 v68, v68, v67
	s_delay_alu instid0(VALU_DEP_2) | instskip(NEXT) | instid1(VALU_DEP_2)
	v_cndmask_b32_e64 v70, v70, v69, s11
	v_cndmask_b32_e64 v68, v68, v69, s11
	v_cmp_u_f32_e64 s11, v36, v36
	s_delay_alu instid0(VALU_DEP_1) | instskip(NEXT) | instid1(VALU_DEP_3)
	v_cndmask_b32_e64 v70, v70, v36, s11
	v_cndmask_b32_e64 v68, v68, v36, s11
	s_delay_alu instid0(VALU_DEP_2) | instskip(NEXT) | instid1(VALU_DEP_2)
	v_cmp_class_f32_e64 s13, v70, 0x1f8
	v_cmp_neq_f32_e64 s12, v70, v68
	s_delay_alu instid0(VALU_DEP_1) | instskip(NEXT) | instid1(SALU_CYCLE_1)
	s_or_b32 s12, s12, s13
	s_and_saveexec_b32 s13, s12
	s_cbranch_execz .LBB501_264
; %bb.263:
	v_sub_f32_e32 v69, v70, v68
	s_delay_alu instid0(VALU_DEP_1) | instskip(SKIP_1) | instid1(VALU_DEP_2)
	v_mul_f32_e32 v70, 0x3fb8aa3b, v69
	v_cmp_ngt_f32_e64 s12, 0xc2ce8ed0, v69
	v_fma_f32 v71, 0x3fb8aa3b, v69, -v70
	v_rndne_f32_e32 v80, v70
	s_delay_alu instid0(VALU_DEP_1) | instskip(NEXT) | instid1(VALU_DEP_1)
	v_dual_fmamk_f32 v71, v69, 0x32a5705f, v71 :: v_dual_sub_f32 v70, v70, v80
	v_add_f32_e32 v70, v70, v71
	v_cvt_i32_f32_e32 v71, v80
	s_delay_alu instid0(VALU_DEP_2) | instskip(SKIP_2) | instid1(VALU_DEP_1)
	v_exp_f32_e32 v70, v70
	s_waitcnt_depctr 0xfff
	v_ldexp_f32 v70, v70, v71
	v_cndmask_b32_e64 v70, 0, v70, s12
	v_cmp_nlt_f32_e64 s12, 0x42b17218, v69
	s_delay_alu instid0(VALU_DEP_1) | instskip(NEXT) | instid1(VALU_DEP_1)
	v_cndmask_b32_e64 v71, 0x7f800000, v70, s12
	v_add_f32_e32 v80, 1.0, v71
	v_cmp_gt_f32_e64 s14, 0x33800000, |v71|
	s_delay_alu instid0(VALU_DEP_2) | instskip(NEXT) | instid1(VALU_DEP_1)
	v_cvt_f64_f32_e32 v[69:70], v80
	v_frexp_exp_i32_f64_e32 v69, v[69:70]
	v_frexp_mant_f32_e32 v70, v80
	s_delay_alu instid0(VALU_DEP_1) | instskip(SKIP_1) | instid1(VALU_DEP_1)
	v_cmp_gt_f32_e64 s12, 0x3f2aaaab, v70
	v_add_f32_e32 v70, -1.0, v80
	v_sub_f32_e32 v82, v70, v80
	v_sub_f32_e32 v70, v71, v70
	s_delay_alu instid0(VALU_DEP_4) | instskip(SKIP_1) | instid1(VALU_DEP_1)
	v_subrev_co_ci_u32_e64 v69, s12, 0, v69, s12
	s_mov_b32 s12, 0x3e9b6dac
	v_sub_nc_u32_e32 v81, 0, v69
	v_cvt_f32_i32_e32 v69, v69
	s_delay_alu instid0(VALU_DEP_2) | instskip(NEXT) | instid1(VALU_DEP_1)
	v_ldexp_f32 v80, v80, v81
	v_dual_add_f32 v83, 1.0, v80 :: v_dual_add_f32 v82, 1.0, v82
	s_delay_alu instid0(VALU_DEP_1) | instskip(NEXT) | instid1(VALU_DEP_1)
	v_add_f32_e32 v70, v70, v82
	v_ldexp_f32 v70, v70, v81
	s_delay_alu instid0(VALU_DEP_3) | instskip(NEXT) | instid1(VALU_DEP_1)
	v_dual_add_f32 v81, -1.0, v80 :: v_dual_add_f32 v82, -1.0, v83
	v_add_f32_e32 v84, 1.0, v81
	s_delay_alu instid0(VALU_DEP_2) | instskip(NEXT) | instid1(VALU_DEP_2)
	v_sub_f32_e32 v82, v80, v82
	v_sub_f32_e32 v80, v80, v84
	s_delay_alu instid0(VALU_DEP_2) | instskip(NEXT) | instid1(VALU_DEP_1)
	v_add_f32_e32 v82, v70, v82
	v_add_f32_e32 v84, v83, v82
	s_delay_alu instid0(VALU_DEP_3) | instskip(NEXT) | instid1(VALU_DEP_2)
	v_add_f32_e32 v70, v70, v80
	v_rcp_f32_e32 v80, v84
	s_delay_alu instid0(VALU_DEP_1) | instskip(SKIP_1) | instid1(VALU_DEP_1)
	v_add_f32_e32 v85, v81, v70
	v_sub_f32_e32 v83, v83, v84
	v_dual_sub_f32 v81, v81, v85 :: v_dual_add_f32 v82, v82, v83
	s_waitcnt_depctr 0xfff
	v_dual_mul_f32 v87, v85, v80 :: v_dual_add_f32 v70, v70, v81
	s_delay_alu instid0(VALU_DEP_1) | instskip(NEXT) | instid1(VALU_DEP_1)
	v_mul_f32_e32 v96, v84, v87
	v_fma_f32 v83, v87, v84, -v96
	s_delay_alu instid0(VALU_DEP_1) | instskip(NEXT) | instid1(VALU_DEP_1)
	v_fmac_f32_e32 v83, v87, v82
	v_add_f32_e32 v97, v96, v83
	s_delay_alu instid0(VALU_DEP_1) | instskip(SKIP_1) | instid1(VALU_DEP_2)
	v_sub_f32_e32 v98, v85, v97
	v_sub_f32_e32 v81, v97, v96
	;; [unrolled: 1-line block ×3, first 2 shown]
	s_delay_alu instid0(VALU_DEP_2) | instskip(NEXT) | instid1(VALU_DEP_2)
	v_sub_f32_e32 v81, v81, v83
	v_sub_f32_e32 v85, v85, v97
	s_delay_alu instid0(VALU_DEP_1) | instskip(NEXT) | instid1(VALU_DEP_1)
	v_add_f32_e32 v70, v70, v85
	v_add_f32_e32 v70, v81, v70
	s_delay_alu instid0(VALU_DEP_1) | instskip(NEXT) | instid1(VALU_DEP_1)
	v_add_f32_e32 v81, v98, v70
	v_sub_f32_e32 v97, v98, v81
	v_mul_f32_e32 v83, v80, v81
	s_delay_alu instid0(VALU_DEP_1) | instskip(NEXT) | instid1(VALU_DEP_1)
	v_dual_add_f32 v70, v70, v97 :: v_dual_mul_f32 v85, v84, v83
	v_fma_f32 v84, v83, v84, -v85
	s_delay_alu instid0(VALU_DEP_1) | instskip(NEXT) | instid1(VALU_DEP_1)
	v_fmac_f32_e32 v84, v83, v82
	v_add_f32_e32 v82, v85, v84
	s_delay_alu instid0(VALU_DEP_1) | instskip(NEXT) | instid1(VALU_DEP_1)
	v_dual_sub_f32 v96, v81, v82 :: v_dual_sub_f32 v85, v82, v85
	v_sub_f32_e32 v81, v81, v96
	s_delay_alu instid0(VALU_DEP_1) | instskip(NEXT) | instid1(VALU_DEP_3)
	v_sub_f32_e32 v81, v81, v82
	v_sub_f32_e32 v82, v85, v84
	s_delay_alu instid0(VALU_DEP_2) | instskip(NEXT) | instid1(VALU_DEP_1)
	v_dual_add_f32 v70, v70, v81 :: v_dual_add_f32 v81, v87, v83
	v_add_f32_e32 v70, v82, v70
	s_delay_alu instid0(VALU_DEP_2) | instskip(NEXT) | instid1(VALU_DEP_2)
	v_sub_f32_e32 v82, v81, v87
	v_add_f32_e32 v70, v96, v70
	s_delay_alu instid0(VALU_DEP_2) | instskip(NEXT) | instid1(VALU_DEP_2)
	v_sub_f32_e32 v82, v83, v82
	v_mul_f32_e32 v70, v80, v70
	s_delay_alu instid0(VALU_DEP_1) | instskip(NEXT) | instid1(VALU_DEP_1)
	v_add_f32_e32 v70, v82, v70
	v_add_f32_e32 v80, v81, v70
	s_delay_alu instid0(VALU_DEP_1) | instskip(NEXT) | instid1(VALU_DEP_1)
	v_mul_f32_e32 v82, v80, v80
	v_fmaak_f32 v83, s12, v82, 0x3ecc95a3
	v_mul_f32_e32 v84, v80, v82
	v_cmp_eq_f32_e64 s12, 0x7f800000, v71
	s_delay_alu instid0(VALU_DEP_3) | instskip(SKIP_2) | instid1(VALU_DEP_4)
	v_fmaak_f32 v82, v82, v83, 0x3f2aaada
	v_ldexp_f32 v83, v80, 1
	v_sub_f32_e32 v80, v80, v81
	s_or_b32 s12, s12, s14
	s_delay_alu instid0(VALU_DEP_3) | instskip(NEXT) | instid1(VALU_DEP_1)
	v_mul_f32_e32 v82, v84, v82
	v_dual_sub_f32 v70, v70, v80 :: v_dual_add_f32 v81, v83, v82
	s_delay_alu instid0(VALU_DEP_1) | instskip(NEXT) | instid1(VALU_DEP_2)
	v_ldexp_f32 v70, v70, 1
	v_sub_f32_e32 v80, v81, v83
	s_delay_alu instid0(VALU_DEP_1) | instskip(NEXT) | instid1(VALU_DEP_1)
	v_sub_f32_e32 v80, v82, v80
	v_add_f32_e32 v70, v70, v80
	s_delay_alu instid0(VALU_DEP_1) | instskip(SKIP_1) | instid1(VALU_DEP_2)
	v_add_f32_e32 v82, v81, v70
	v_mul_f32_e32 v84, 0x3f317218, v69
	v_sub_f32_e32 v81, v82, v81
	s_delay_alu instid0(VALU_DEP_2) | instskip(NEXT) | instid1(VALU_DEP_1)
	v_fma_f32 v83, 0x3f317218, v69, -v84
	v_dual_sub_f32 v70, v70, v81 :: v_dual_fmamk_f32 v69, v69, 0xb102e308, v83
	s_delay_alu instid0(VALU_DEP_1) | instskip(NEXT) | instid1(VALU_DEP_1)
	v_add_f32_e32 v80, v84, v69
	v_add_f32_e32 v83, v80, v82
	v_sub_f32_e32 v84, v80, v84
	s_delay_alu instid0(VALU_DEP_2) | instskip(NEXT) | instid1(VALU_DEP_2)
	v_sub_f32_e32 v85, v83, v80
	v_sub_f32_e32 v69, v69, v84
	s_delay_alu instid0(VALU_DEP_2) | instskip(NEXT) | instid1(VALU_DEP_2)
	v_sub_f32_e32 v87, v83, v85
	v_dual_sub_f32 v81, v82, v85 :: v_dual_add_f32 v82, v69, v70
	s_delay_alu instid0(VALU_DEP_2) | instskip(NEXT) | instid1(VALU_DEP_1)
	v_sub_f32_e32 v80, v80, v87
	v_dual_add_f32 v80, v81, v80 :: v_dual_sub_f32 v81, v82, v69
	s_delay_alu instid0(VALU_DEP_1) | instskip(NEXT) | instid1(VALU_DEP_2)
	v_add_f32_e32 v80, v82, v80
	v_sub_f32_e32 v82, v82, v81
	v_sub_f32_e32 v70, v70, v81
	s_delay_alu instid0(VALU_DEP_2) | instskip(NEXT) | instid1(VALU_DEP_1)
	v_dual_add_f32 v84, v83, v80 :: v_dual_sub_f32 v69, v69, v82
	v_sub_f32_e32 v81, v84, v83
	s_delay_alu instid0(VALU_DEP_2) | instskip(NEXT) | instid1(VALU_DEP_2)
	v_add_f32_e32 v69, v70, v69
	v_sub_f32_e32 v70, v80, v81
	s_delay_alu instid0(VALU_DEP_1) | instskip(NEXT) | instid1(VALU_DEP_1)
	v_add_f32_e32 v69, v69, v70
	v_add_f32_e32 v69, v84, v69
	s_delay_alu instid0(VALU_DEP_1) | instskip(NEXT) | instid1(VALU_DEP_1)
	v_cndmask_b32_e64 v69, v69, v71, s12
	v_add_f32_e32 v69, v68, v69
.LBB501_264:
	s_or_b32 exec_lo, exec_lo, s13
	s_delay_alu instid0(VALU_DEP_1) | instskip(SKIP_2) | instid1(VALU_DEP_3)
	v_bfe_u32 v68, v69, 16, 1
	v_cmp_o_f32_e64 s12, v69, v69
	v_lshlrev_b32_e32 v35, 16, v35
	v_add3_u32 v68, v69, v68, 0x7fff
	s_delay_alu instid0(VALU_DEP_1) | instskip(NEXT) | instid1(VALU_DEP_1)
	v_and_b32_e32 v68, 0xffff0000, v68
	v_cndmask_b32_e64 v70, 0x7fc00000, v68, s12
	s_delay_alu instid0(VALU_DEP_1) | instskip(SKIP_1) | instid1(VALU_DEP_2)
	v_dual_max_f32 v68, v35, v35 :: v_dual_max_f32 v69, v70, v70
	v_cmp_u_f32_e64 s12, v70, v70
	v_min_f32_e32 v71, v69, v68
	v_max_f32_e32 v69, v69, v68
	s_delay_alu instid0(VALU_DEP_2) | instskip(NEXT) | instid1(VALU_DEP_2)
	v_cndmask_b32_e64 v71, v71, v70, s12
	v_cndmask_b32_e64 v69, v69, v70, s12
	v_cmp_u_f32_e64 s12, v35, v35
	s_delay_alu instid0(VALU_DEP_1) | instskip(NEXT) | instid1(VALU_DEP_3)
	v_cndmask_b32_e64 v71, v71, v35, s12
	v_cndmask_b32_e64 v69, v69, v35, s12
	s_delay_alu instid0(VALU_DEP_2) | instskip(NEXT) | instid1(VALU_DEP_2)
	v_cmp_class_f32_e64 s14, v71, 0x1f8
	v_cmp_neq_f32_e64 s13, v71, v69
	s_delay_alu instid0(VALU_DEP_1) | instskip(NEXT) | instid1(SALU_CYCLE_1)
	s_or_b32 s13, s13, s14
	s_and_saveexec_b32 s14, s13
	s_cbranch_execz .LBB501_266
; %bb.265:
	v_sub_f32_e32 v70, v71, v69
	s_delay_alu instid0(VALU_DEP_1) | instskip(SKIP_1) | instid1(VALU_DEP_2)
	v_mul_f32_e32 v71, 0x3fb8aa3b, v70
	v_cmp_ngt_f32_e64 s13, 0xc2ce8ed0, v70
	v_fma_f32 v80, 0x3fb8aa3b, v70, -v71
	v_rndne_f32_e32 v81, v71
	s_delay_alu instid0(VALU_DEP_1) | instskip(NEXT) | instid1(VALU_DEP_1)
	v_dual_fmamk_f32 v80, v70, 0x32a5705f, v80 :: v_dual_sub_f32 v71, v71, v81
	v_add_f32_e32 v71, v71, v80
	v_cvt_i32_f32_e32 v80, v81
	s_delay_alu instid0(VALU_DEP_2) | instskip(SKIP_2) | instid1(VALU_DEP_1)
	v_exp_f32_e32 v71, v71
	s_waitcnt_depctr 0xfff
	v_ldexp_f32 v71, v71, v80
	v_cndmask_b32_e64 v71, 0, v71, s13
	v_cmp_nlt_f32_e64 s13, 0x42b17218, v70
	s_delay_alu instid0(VALU_DEP_1) | instskip(NEXT) | instid1(VALU_DEP_1)
	v_cndmask_b32_e64 v80, 0x7f800000, v71, s13
	v_add_f32_e32 v81, 1.0, v80
	v_cmp_gt_f32_e64 s15, 0x33800000, |v80|
	s_delay_alu instid0(VALU_DEP_2) | instskip(NEXT) | instid1(VALU_DEP_1)
	v_cvt_f64_f32_e32 v[70:71], v81
	v_frexp_exp_i32_f64_e32 v70, v[70:71]
	v_frexp_mant_f32_e32 v71, v81
	s_delay_alu instid0(VALU_DEP_1) | instskip(SKIP_1) | instid1(VALU_DEP_1)
	v_cmp_gt_f32_e64 s13, 0x3f2aaaab, v71
	v_add_f32_e32 v71, -1.0, v81
	v_sub_f32_e32 v83, v71, v81
	v_sub_f32_e32 v71, v80, v71
	s_delay_alu instid0(VALU_DEP_4) | instskip(SKIP_1) | instid1(VALU_DEP_1)
	v_subrev_co_ci_u32_e64 v70, s13, 0, v70, s13
	s_mov_b32 s13, 0x3e9b6dac
	v_sub_nc_u32_e32 v82, 0, v70
	v_cvt_f32_i32_e32 v70, v70
	s_delay_alu instid0(VALU_DEP_2) | instskip(NEXT) | instid1(VALU_DEP_1)
	v_ldexp_f32 v81, v81, v82
	v_dual_add_f32 v84, 1.0, v81 :: v_dual_add_f32 v83, 1.0, v83
	s_delay_alu instid0(VALU_DEP_1) | instskip(NEXT) | instid1(VALU_DEP_1)
	v_add_f32_e32 v71, v71, v83
	v_ldexp_f32 v71, v71, v82
	s_delay_alu instid0(VALU_DEP_3) | instskip(NEXT) | instid1(VALU_DEP_1)
	v_dual_add_f32 v82, -1.0, v81 :: v_dual_add_f32 v83, -1.0, v84
	v_add_f32_e32 v85, 1.0, v82
	s_delay_alu instid0(VALU_DEP_2) | instskip(NEXT) | instid1(VALU_DEP_2)
	v_sub_f32_e32 v83, v81, v83
	v_sub_f32_e32 v81, v81, v85
	s_delay_alu instid0(VALU_DEP_2) | instskip(NEXT) | instid1(VALU_DEP_2)
	v_add_f32_e32 v83, v71, v83
	v_add_f32_e32 v71, v71, v81
	s_delay_alu instid0(VALU_DEP_2) | instskip(NEXT) | instid1(VALU_DEP_2)
	v_add_f32_e32 v85, v84, v83
	v_add_f32_e32 v87, v82, v71
	s_delay_alu instid0(VALU_DEP_2) | instskip(SKIP_1) | instid1(VALU_DEP_1)
	v_rcp_f32_e32 v81, v85
	v_sub_f32_e32 v84, v84, v85
	v_dual_sub_f32 v82, v82, v87 :: v_dual_add_f32 v83, v83, v84
	s_delay_alu instid0(VALU_DEP_1) | instskip(SKIP_2) | instid1(VALU_DEP_1)
	v_add_f32_e32 v71, v71, v82
	s_waitcnt_depctr 0xfff
	v_mul_f32_e32 v96, v87, v81
	v_mul_f32_e32 v97, v85, v96
	s_delay_alu instid0(VALU_DEP_1) | instskip(NEXT) | instid1(VALU_DEP_1)
	v_fma_f32 v84, v96, v85, -v97
	v_fmac_f32_e32 v84, v96, v83
	s_delay_alu instid0(VALU_DEP_1) | instskip(NEXT) | instid1(VALU_DEP_1)
	v_add_f32_e32 v98, v97, v84
	v_dual_sub_f32 v99, v87, v98 :: v_dual_sub_f32 v82, v98, v97
	s_delay_alu instid0(VALU_DEP_1) | instskip(NEXT) | instid1(VALU_DEP_1)
	v_dual_sub_f32 v87, v87, v99 :: v_dual_sub_f32 v82, v82, v84
	v_sub_f32_e32 v87, v87, v98
	s_delay_alu instid0(VALU_DEP_1) | instskip(NEXT) | instid1(VALU_DEP_1)
	v_add_f32_e32 v71, v71, v87
	v_add_f32_e32 v71, v82, v71
	s_delay_alu instid0(VALU_DEP_1) | instskip(NEXT) | instid1(VALU_DEP_1)
	v_add_f32_e32 v82, v99, v71
	v_mul_f32_e32 v84, v81, v82
	s_delay_alu instid0(VALU_DEP_1) | instskip(NEXT) | instid1(VALU_DEP_1)
	v_dual_sub_f32 v98, v99, v82 :: v_dual_mul_f32 v87, v85, v84
	v_add_f32_e32 v71, v71, v98
	s_delay_alu instid0(VALU_DEP_2) | instskip(NEXT) | instid1(VALU_DEP_1)
	v_fma_f32 v85, v84, v85, -v87
	v_fmac_f32_e32 v85, v84, v83
	s_delay_alu instid0(VALU_DEP_1) | instskip(NEXT) | instid1(VALU_DEP_1)
	v_add_f32_e32 v83, v87, v85
	v_sub_f32_e32 v97, v82, v83
	s_delay_alu instid0(VALU_DEP_1) | instskip(NEXT) | instid1(VALU_DEP_1)
	v_dual_sub_f32 v87, v83, v87 :: v_dual_sub_f32 v82, v82, v97
	v_dual_sub_f32 v82, v82, v83 :: v_dual_sub_f32 v83, v87, v85
	s_delay_alu instid0(VALU_DEP_1) | instskip(NEXT) | instid1(VALU_DEP_1)
	v_dual_add_f32 v71, v71, v82 :: v_dual_add_f32 v82, v96, v84
	v_add_f32_e32 v71, v83, v71
	s_delay_alu instid0(VALU_DEP_2) | instskip(NEXT) | instid1(VALU_DEP_2)
	v_sub_f32_e32 v83, v82, v96
	v_add_f32_e32 v71, v97, v71
	s_delay_alu instid0(VALU_DEP_2) | instskip(NEXT) | instid1(VALU_DEP_2)
	v_sub_f32_e32 v83, v84, v83
	v_mul_f32_e32 v71, v81, v71
	s_delay_alu instid0(VALU_DEP_1) | instskip(NEXT) | instid1(VALU_DEP_1)
	v_add_f32_e32 v71, v83, v71
	v_add_f32_e32 v81, v82, v71
	s_delay_alu instid0(VALU_DEP_1) | instskip(NEXT) | instid1(VALU_DEP_1)
	v_mul_f32_e32 v83, v81, v81
	v_fmaak_f32 v84, s13, v83, 0x3ecc95a3
	v_mul_f32_e32 v85, v81, v83
	v_cmp_eq_f32_e64 s13, 0x7f800000, v80
	s_delay_alu instid0(VALU_DEP_3) | instskip(SKIP_2) | instid1(VALU_DEP_4)
	v_fmaak_f32 v83, v83, v84, 0x3f2aaada
	v_ldexp_f32 v84, v81, 1
	v_sub_f32_e32 v81, v81, v82
	s_or_b32 s13, s13, s15
	s_delay_alu instid0(VALU_DEP_3) | instskip(SKIP_1) | instid1(VALU_DEP_2)
	v_mul_f32_e32 v83, v85, v83
	v_mul_f32_e32 v85, 0x3f317218, v70
	v_dual_sub_f32 v71, v71, v81 :: v_dual_add_f32 v82, v84, v83
	s_delay_alu instid0(VALU_DEP_1) | instskip(NEXT) | instid1(VALU_DEP_2)
	v_ldexp_f32 v71, v71, 1
	v_sub_f32_e32 v81, v82, v84
	s_delay_alu instid0(VALU_DEP_4) | instskip(NEXT) | instid1(VALU_DEP_1)
	v_fma_f32 v84, 0x3f317218, v70, -v85
	v_dual_sub_f32 v81, v83, v81 :: v_dual_fmamk_f32 v70, v70, 0xb102e308, v84
	s_delay_alu instid0(VALU_DEP_1) | instskip(NEXT) | instid1(VALU_DEP_2)
	v_add_f32_e32 v71, v71, v81
	v_add_f32_e32 v81, v85, v70
	s_delay_alu instid0(VALU_DEP_2) | instskip(NEXT) | instid1(VALU_DEP_2)
	v_add_f32_e32 v83, v82, v71
	v_sub_f32_e32 v85, v81, v85
	s_delay_alu instid0(VALU_DEP_2) | instskip(SKIP_1) | instid1(VALU_DEP_3)
	v_add_f32_e32 v84, v81, v83
	v_sub_f32_e32 v82, v83, v82
	v_sub_f32_e32 v70, v70, v85
	s_delay_alu instid0(VALU_DEP_3) | instskip(NEXT) | instid1(VALU_DEP_3)
	v_sub_f32_e32 v87, v84, v81
	v_sub_f32_e32 v71, v71, v82
	s_delay_alu instid0(VALU_DEP_2) | instskip(SKIP_1) | instid1(VALU_DEP_3)
	v_sub_f32_e32 v82, v83, v87
	v_sub_f32_e32 v96, v84, v87
	v_add_f32_e32 v83, v70, v71
	s_delay_alu instid0(VALU_DEP_2) | instskip(NEXT) | instid1(VALU_DEP_1)
	v_sub_f32_e32 v81, v81, v96
	v_dual_add_f32 v81, v82, v81 :: v_dual_sub_f32 v82, v83, v70
	s_delay_alu instid0(VALU_DEP_1) | instskip(NEXT) | instid1(VALU_DEP_2)
	v_add_f32_e32 v81, v83, v81
	v_sub_f32_e32 v83, v83, v82
	v_sub_f32_e32 v71, v71, v82
	s_delay_alu instid0(VALU_DEP_2) | instskip(NEXT) | instid1(VALU_DEP_1)
	v_dual_add_f32 v85, v84, v81 :: v_dual_sub_f32 v70, v70, v83
	v_sub_f32_e32 v82, v85, v84
	s_delay_alu instid0(VALU_DEP_2) | instskip(NEXT) | instid1(VALU_DEP_2)
	v_add_f32_e32 v70, v71, v70
	v_sub_f32_e32 v71, v81, v82
	s_delay_alu instid0(VALU_DEP_1) | instskip(NEXT) | instid1(VALU_DEP_1)
	v_add_f32_e32 v70, v70, v71
	v_add_f32_e32 v70, v85, v70
	s_delay_alu instid0(VALU_DEP_1) | instskip(NEXT) | instid1(VALU_DEP_1)
	v_cndmask_b32_e64 v70, v70, v80, s13
	v_add_f32_e32 v70, v69, v70
.LBB501_266:
	s_or_b32 exec_lo, exec_lo, s14
	s_delay_alu instid0(VALU_DEP_1) | instskip(SKIP_2) | instid1(VALU_DEP_3)
	v_bfe_u32 v69, v70, 16, 1
	v_cmp_o_f32_e64 s13, v70, v70
	v_lshlrev_b32_e32 v34, 16, v34
	v_add3_u32 v69, v70, v69, 0x7fff
	s_delay_alu instid0(VALU_DEP_1) | instskip(NEXT) | instid1(VALU_DEP_1)
	v_and_b32_e32 v69, 0xffff0000, v69
	v_cndmask_b32_e64 v71, 0x7fc00000, v69, s13
	s_delay_alu instid0(VALU_DEP_1) | instskip(SKIP_1) | instid1(VALU_DEP_2)
	v_dual_max_f32 v69, v34, v34 :: v_dual_max_f32 v70, v71, v71
	v_cmp_u_f32_e64 s13, v71, v71
	v_min_f32_e32 v80, v70, v69
	v_max_f32_e32 v70, v70, v69
	s_delay_alu instid0(VALU_DEP_2) | instskip(NEXT) | instid1(VALU_DEP_2)
	v_cndmask_b32_e64 v80, v80, v71, s13
	v_cndmask_b32_e64 v70, v70, v71, s13
	v_cmp_u_f32_e64 s13, v34, v34
	s_delay_alu instid0(VALU_DEP_1) | instskip(NEXT) | instid1(VALU_DEP_3)
	v_cndmask_b32_e64 v80, v80, v34, s13
	v_cndmask_b32_e64 v70, v70, v34, s13
	s_delay_alu instid0(VALU_DEP_2) | instskip(NEXT) | instid1(VALU_DEP_2)
	v_cmp_class_f32_e64 s15, v80, 0x1f8
	v_cmp_neq_f32_e64 s14, v80, v70
	s_delay_alu instid0(VALU_DEP_1) | instskip(NEXT) | instid1(SALU_CYCLE_1)
	s_or_b32 s14, s14, s15
	s_and_saveexec_b32 s15, s14
	s_cbranch_execz .LBB501_268
; %bb.267:
	v_sub_f32_e32 v71, v80, v70
	s_delay_alu instid0(VALU_DEP_1) | instskip(SKIP_1) | instid1(VALU_DEP_2)
	v_mul_f32_e32 v80, 0x3fb8aa3b, v71
	v_cmp_ngt_f32_e64 s14, 0xc2ce8ed0, v71
	v_fma_f32 v81, 0x3fb8aa3b, v71, -v80
	v_rndne_f32_e32 v82, v80
	s_delay_alu instid0(VALU_DEP_1) | instskip(NEXT) | instid1(VALU_DEP_1)
	v_dual_fmamk_f32 v81, v71, 0x32a5705f, v81 :: v_dual_sub_f32 v80, v80, v82
	v_add_f32_e32 v80, v80, v81
	v_cvt_i32_f32_e32 v81, v82
	s_delay_alu instid0(VALU_DEP_2) | instskip(SKIP_2) | instid1(VALU_DEP_1)
	v_exp_f32_e32 v80, v80
	s_waitcnt_depctr 0xfff
	v_ldexp_f32 v80, v80, v81
	v_cndmask_b32_e64 v80, 0, v80, s14
	v_cmp_nlt_f32_e64 s14, 0x42b17218, v71
	s_delay_alu instid0(VALU_DEP_1) | instskip(NEXT) | instid1(VALU_DEP_1)
	v_cndmask_b32_e64 v71, 0x7f800000, v80, s14
	v_add_f32_e32 v82, 1.0, v71
	v_cmp_gt_f32_e64 s16, 0x33800000, |v71|
	s_delay_alu instid0(VALU_DEP_2) | instskip(NEXT) | instid1(VALU_DEP_1)
	v_cvt_f64_f32_e32 v[80:81], v82
	v_frexp_exp_i32_f64_e32 v80, v[80:81]
	v_frexp_mant_f32_e32 v81, v82
	s_delay_alu instid0(VALU_DEP_1) | instskip(SKIP_1) | instid1(VALU_DEP_1)
	v_cmp_gt_f32_e64 s14, 0x3f2aaaab, v81
	v_add_f32_e32 v81, -1.0, v82
	v_dual_sub_f32 v84, v81, v82 :: v_dual_sub_f32 v81, v71, v81
	s_delay_alu instid0(VALU_DEP_1) | instskip(NEXT) | instid1(VALU_DEP_4)
	v_add_f32_e32 v84, 1.0, v84
	v_subrev_co_ci_u32_e64 v80, s14, 0, v80, s14
	s_mov_b32 s14, 0x3e9b6dac
	s_delay_alu instid0(VALU_DEP_1) | instskip(SKIP_1) | instid1(VALU_DEP_2)
	v_sub_nc_u32_e32 v83, 0, v80
	v_cvt_f32_i32_e32 v80, v80
	v_ldexp_f32 v82, v82, v83
	s_delay_alu instid0(VALU_DEP_1) | instskip(NEXT) | instid1(VALU_DEP_1)
	v_add_f32_e32 v85, 1.0, v82
	v_dual_add_f32 v81, v81, v84 :: v_dual_add_f32 v84, -1.0, v85
	s_delay_alu instid0(VALU_DEP_1) | instskip(NEXT) | instid1(VALU_DEP_2)
	v_ldexp_f32 v81, v81, v83
	v_dual_add_f32 v83, -1.0, v82 :: v_dual_sub_f32 v84, v82, v84
	s_delay_alu instid0(VALU_DEP_1) | instskip(NEXT) | instid1(VALU_DEP_1)
	v_dual_add_f32 v87, 1.0, v83 :: v_dual_add_f32 v84, v81, v84
	v_dual_sub_f32 v82, v82, v87 :: v_dual_add_f32 v87, v85, v84
	s_delay_alu instid0(VALU_DEP_1) | instskip(NEXT) | instid1(VALU_DEP_2)
	v_add_f32_e32 v81, v81, v82
	v_rcp_f32_e32 v82, v87
	s_delay_alu instid0(VALU_DEP_1) | instskip(NEXT) | instid1(VALU_DEP_1)
	v_dual_sub_f32 v85, v85, v87 :: v_dual_add_f32 v96, v83, v81
	v_sub_f32_e32 v83, v83, v96
	s_waitcnt_depctr 0xfff
	v_mul_f32_e32 v97, v96, v82
	v_add_f32_e32 v84, v84, v85
	s_delay_alu instid0(VALU_DEP_2) | instskip(NEXT) | instid1(VALU_DEP_1)
	v_dual_mul_f32 v98, v87, v97 :: v_dual_add_f32 v81, v81, v83
	v_fma_f32 v85, v97, v87, -v98
	s_delay_alu instid0(VALU_DEP_1) | instskip(NEXT) | instid1(VALU_DEP_1)
	v_fmac_f32_e32 v85, v97, v84
	v_add_f32_e32 v99, v98, v85
	s_delay_alu instid0(VALU_DEP_1) | instskip(NEXT) | instid1(VALU_DEP_1)
	v_sub_f32_e32 v100, v96, v99
	v_dual_sub_f32 v96, v96, v100 :: v_dual_sub_f32 v83, v99, v98
	s_delay_alu instid0(VALU_DEP_1) | instskip(NEXT) | instid1(VALU_DEP_1)
	v_dual_sub_f32 v96, v96, v99 :: v_dual_sub_f32 v83, v83, v85
	v_add_f32_e32 v81, v81, v96
	s_delay_alu instid0(VALU_DEP_1) | instskip(NEXT) | instid1(VALU_DEP_1)
	v_add_f32_e32 v81, v83, v81
	v_add_f32_e32 v83, v100, v81
	s_delay_alu instid0(VALU_DEP_1) | instskip(NEXT) | instid1(VALU_DEP_1)
	v_mul_f32_e32 v85, v82, v83
	v_dual_sub_f32 v99, v100, v83 :: v_dual_mul_f32 v96, v87, v85
	s_delay_alu instid0(VALU_DEP_1) | instskip(NEXT) | instid1(VALU_DEP_1)
	v_fma_f32 v87, v85, v87, -v96
	v_fmac_f32_e32 v87, v85, v84
	s_delay_alu instid0(VALU_DEP_1) | instskip(NEXT) | instid1(VALU_DEP_1)
	v_add_f32_e32 v84, v96, v87
	v_sub_f32_e32 v98, v83, v84
	v_dual_sub_f32 v96, v84, v96 :: v_dual_add_f32 v81, v81, v99
	s_delay_alu instid0(VALU_DEP_2) | instskip(NEXT) | instid1(VALU_DEP_1)
	v_sub_f32_e32 v83, v83, v98
	v_dual_sub_f32 v83, v83, v84 :: v_dual_sub_f32 v84, v96, v87
	s_delay_alu instid0(VALU_DEP_1) | instskip(SKIP_1) | instid1(VALU_DEP_2)
	v_add_f32_e32 v81, v81, v83
	v_add_f32_e32 v83, v97, v85
	;; [unrolled: 1-line block ×3, first 2 shown]
	s_delay_alu instid0(VALU_DEP_2) | instskip(NEXT) | instid1(VALU_DEP_1)
	v_sub_f32_e32 v84, v83, v97
	v_dual_add_f32 v81, v98, v81 :: v_dual_sub_f32 v84, v85, v84
	s_delay_alu instid0(VALU_DEP_1) | instskip(NEXT) | instid1(VALU_DEP_1)
	v_mul_f32_e32 v81, v82, v81
	v_add_f32_e32 v81, v84, v81
	s_delay_alu instid0(VALU_DEP_1) | instskip(NEXT) | instid1(VALU_DEP_1)
	v_add_f32_e32 v82, v83, v81
	v_mul_f32_e32 v84, v82, v82
	s_delay_alu instid0(VALU_DEP_1) | instskip(SKIP_2) | instid1(VALU_DEP_3)
	v_fmaak_f32 v85, s14, v84, 0x3ecc95a3
	v_mul_f32_e32 v87, v82, v84
	v_cmp_eq_f32_e64 s14, 0x7f800000, v71
	v_fmaak_f32 v84, v84, v85, 0x3f2aaada
	v_ldexp_f32 v85, v82, 1
	v_sub_f32_e32 v82, v82, v83
	s_delay_alu instid0(VALU_DEP_4) | instskip(NEXT) | instid1(VALU_DEP_3)
	s_or_b32 s14, s14, s16
	v_mul_f32_e32 v84, v87, v84
	v_mul_f32_e32 v87, 0x3f317218, v80
	s_delay_alu instid0(VALU_DEP_3) | instskip(NEXT) | instid1(VALU_DEP_3)
	v_sub_f32_e32 v81, v81, v82
	v_add_f32_e32 v83, v85, v84
	s_delay_alu instid0(VALU_DEP_2) | instskip(NEXT) | instid1(VALU_DEP_2)
	v_ldexp_f32 v81, v81, 1
	v_sub_f32_e32 v82, v83, v85
	v_fma_f32 v85, 0x3f317218, v80, -v87
	s_delay_alu instid0(VALU_DEP_2) | instskip(NEXT) | instid1(VALU_DEP_1)
	v_sub_f32_e32 v82, v84, v82
	v_dual_fmamk_f32 v80, v80, 0xb102e308, v85 :: v_dual_add_f32 v81, v81, v82
	s_delay_alu instid0(VALU_DEP_1) | instskip(NEXT) | instid1(VALU_DEP_1)
	v_add_f32_e32 v82, v87, v80
	v_sub_f32_e32 v87, v82, v87
	s_delay_alu instid0(VALU_DEP_1) | instskip(NEXT) | instid1(VALU_DEP_4)
	v_sub_f32_e32 v80, v80, v87
	v_add_f32_e32 v84, v83, v81
	s_delay_alu instid0(VALU_DEP_1) | instskip(NEXT) | instid1(VALU_DEP_1)
	v_sub_f32_e32 v83, v84, v83
	v_sub_f32_e32 v81, v81, v83
	v_add_f32_e32 v85, v82, v84
	s_delay_alu instid0(VALU_DEP_1) | instskip(NEXT) | instid1(VALU_DEP_1)
	v_sub_f32_e32 v96, v85, v82
	v_sub_f32_e32 v83, v84, v96
	s_delay_alu instid0(VALU_DEP_4) | instskip(NEXT) | instid1(VALU_DEP_1)
	v_dual_add_f32 v84, v80, v81 :: v_dual_sub_f32 v97, v85, v96
	v_sub_f32_e32 v82, v82, v97
	s_delay_alu instid0(VALU_DEP_1) | instskip(NEXT) | instid1(VALU_DEP_1)
	v_dual_add_f32 v82, v83, v82 :: v_dual_sub_f32 v83, v84, v80
	v_add_f32_e32 v82, v84, v82
	s_delay_alu instid0(VALU_DEP_2) | instskip(SKIP_1) | instid1(VALU_DEP_2)
	v_sub_f32_e32 v84, v84, v83
	v_sub_f32_e32 v81, v81, v83
	v_dual_add_f32 v87, v85, v82 :: v_dual_sub_f32 v80, v80, v84
	s_delay_alu instid0(VALU_DEP_1) | instskip(NEXT) | instid1(VALU_DEP_1)
	v_dual_sub_f32 v83, v87, v85 :: v_dual_add_f32 v80, v81, v80
	v_sub_f32_e32 v81, v82, v83
	s_delay_alu instid0(VALU_DEP_1) | instskip(NEXT) | instid1(VALU_DEP_1)
	v_add_f32_e32 v80, v80, v81
	v_add_f32_e32 v80, v87, v80
	s_delay_alu instid0(VALU_DEP_1) | instskip(NEXT) | instid1(VALU_DEP_1)
	v_cndmask_b32_e64 v71, v80, v71, s14
	v_add_f32_e32 v71, v70, v71
.LBB501_268:
	s_or_b32 exec_lo, exec_lo, s15
	s_delay_alu instid0(VALU_DEP_1) | instskip(SKIP_2) | instid1(VALU_DEP_3)
	v_bfe_u32 v70, v71, 16, 1
	v_cmp_o_f32_e64 s14, v71, v71
	v_lshlrev_b32_e32 v33, 16, v33
	v_add3_u32 v70, v71, v70, 0x7fff
	s_delay_alu instid0(VALU_DEP_1) | instskip(NEXT) | instid1(VALU_DEP_1)
	v_and_b32_e32 v70, 0xffff0000, v70
	v_cndmask_b32_e64 v80, 0x7fc00000, v70, s14
	s_delay_alu instid0(VALU_DEP_1) | instskip(SKIP_1) | instid1(VALU_DEP_2)
	v_dual_max_f32 v70, v33, v33 :: v_dual_max_f32 v71, v80, v80
	v_cmp_u_f32_e64 s14, v80, v80
	v_min_f32_e32 v81, v71, v70
	v_max_f32_e32 v71, v71, v70
	s_delay_alu instid0(VALU_DEP_2) | instskip(NEXT) | instid1(VALU_DEP_2)
	v_cndmask_b32_e64 v81, v81, v80, s14
	v_cndmask_b32_e64 v71, v71, v80, s14
	v_cmp_u_f32_e64 s14, v33, v33
	s_delay_alu instid0(VALU_DEP_1) | instskip(NEXT) | instid1(VALU_DEP_3)
	v_cndmask_b32_e64 v81, v81, v33, s14
	v_cndmask_b32_e64 v71, v71, v33, s14
	s_delay_alu instid0(VALU_DEP_2) | instskip(NEXT) | instid1(VALU_DEP_2)
	v_cmp_class_f32_e64 s16, v81, 0x1f8
	v_cmp_neq_f32_e64 s15, v81, v71
	s_delay_alu instid0(VALU_DEP_1) | instskip(NEXT) | instid1(SALU_CYCLE_1)
	s_or_b32 s15, s15, s16
	s_and_saveexec_b32 s16, s15
	s_cbranch_execz .LBB501_270
; %bb.269:
	v_sub_f32_e32 v80, v81, v71
	s_delay_alu instid0(VALU_DEP_1) | instskip(SKIP_1) | instid1(VALU_DEP_2)
	v_mul_f32_e32 v81, 0x3fb8aa3b, v80
	v_cmp_ngt_f32_e64 s15, 0xc2ce8ed0, v80
	v_fma_f32 v82, 0x3fb8aa3b, v80, -v81
	v_rndne_f32_e32 v83, v81
	s_delay_alu instid0(VALU_DEP_1) | instskip(NEXT) | instid1(VALU_DEP_1)
	v_dual_fmamk_f32 v82, v80, 0x32a5705f, v82 :: v_dual_sub_f32 v81, v81, v83
	v_add_f32_e32 v81, v81, v82
	v_cvt_i32_f32_e32 v82, v83
	s_delay_alu instid0(VALU_DEP_2) | instskip(SKIP_2) | instid1(VALU_DEP_1)
	v_exp_f32_e32 v81, v81
	s_waitcnt_depctr 0xfff
	v_ldexp_f32 v81, v81, v82
	v_cndmask_b32_e64 v81, 0, v81, s15
	v_cmp_nlt_f32_e64 s15, 0x42b17218, v80
	s_delay_alu instid0(VALU_DEP_1) | instskip(NEXT) | instid1(VALU_DEP_1)
	v_cndmask_b32_e64 v82, 0x7f800000, v81, s15
	v_add_f32_e32 v83, 1.0, v82
	v_cmp_gt_f32_e64 s17, 0x33800000, |v82|
	s_delay_alu instid0(VALU_DEP_2) | instskip(NEXT) | instid1(VALU_DEP_1)
	v_cvt_f64_f32_e32 v[80:81], v83
	v_frexp_exp_i32_f64_e32 v80, v[80:81]
	v_frexp_mant_f32_e32 v81, v83
	s_delay_alu instid0(VALU_DEP_1) | instskip(SKIP_1) | instid1(VALU_DEP_1)
	v_cmp_gt_f32_e64 s15, 0x3f2aaaab, v81
	v_add_f32_e32 v81, -1.0, v83
	v_sub_f32_e32 v85, v81, v83
	v_sub_f32_e32 v81, v82, v81
	s_delay_alu instid0(VALU_DEP_2) | instskip(NEXT) | instid1(VALU_DEP_1)
	v_add_f32_e32 v85, 1.0, v85
	v_add_f32_e32 v81, v81, v85
	v_subrev_co_ci_u32_e64 v80, s15, 0, v80, s15
	s_mov_b32 s15, 0x3e9b6dac
	s_delay_alu instid0(VALU_DEP_1) | instskip(SKIP_1) | instid1(VALU_DEP_2)
	v_sub_nc_u32_e32 v84, 0, v80
	v_cvt_f32_i32_e32 v80, v80
	v_ldexp_f32 v83, v83, v84
	v_ldexp_f32 v81, v81, v84
	s_delay_alu instid0(VALU_DEP_2) | instskip(SKIP_1) | instid1(VALU_DEP_1)
	v_add_f32_e32 v87, 1.0, v83
	v_add_f32_e32 v84, -1.0, v83
	v_dual_add_f32 v85, -1.0, v87 :: v_dual_add_f32 v96, 1.0, v84
	s_delay_alu instid0(VALU_DEP_1) | instskip(NEXT) | instid1(VALU_DEP_2)
	v_sub_f32_e32 v85, v83, v85
	v_sub_f32_e32 v83, v83, v96
	s_delay_alu instid0(VALU_DEP_2) | instskip(NEXT) | instid1(VALU_DEP_1)
	v_add_f32_e32 v85, v81, v85
	v_add_f32_e32 v96, v87, v85
	s_delay_alu instid0(VALU_DEP_1) | instskip(NEXT) | instid1(VALU_DEP_1)
	v_sub_f32_e32 v87, v87, v96
	v_add_f32_e32 v85, v85, v87
	v_add_f32_e32 v81, v81, v83
	v_rcp_f32_e32 v83, v96
	s_delay_alu instid0(VALU_DEP_1) | instskip(NEXT) | instid1(VALU_DEP_1)
	v_add_f32_e32 v97, v84, v81
	v_sub_f32_e32 v84, v84, v97
	s_waitcnt_depctr 0xfff
	v_mul_f32_e32 v98, v97, v83
	v_add_f32_e32 v81, v81, v84
	s_delay_alu instid0(VALU_DEP_2) | instskip(NEXT) | instid1(VALU_DEP_1)
	v_mul_f32_e32 v99, v96, v98
	v_fma_f32 v87, v98, v96, -v99
	s_delay_alu instid0(VALU_DEP_1) | instskip(NEXT) | instid1(VALU_DEP_1)
	v_fmac_f32_e32 v87, v98, v85
	v_add_f32_e32 v100, v99, v87
	s_delay_alu instid0(VALU_DEP_1) | instskip(NEXT) | instid1(VALU_DEP_1)
	v_dual_sub_f32 v101, v97, v100 :: v_dual_sub_f32 v84, v100, v99
	v_dual_sub_f32 v97, v97, v101 :: v_dual_sub_f32 v84, v84, v87
	s_delay_alu instid0(VALU_DEP_1) | instskip(NEXT) | instid1(VALU_DEP_1)
	v_sub_f32_e32 v97, v97, v100
	v_add_f32_e32 v81, v81, v97
	s_delay_alu instid0(VALU_DEP_1) | instskip(NEXT) | instid1(VALU_DEP_1)
	v_add_f32_e32 v81, v84, v81
	v_add_f32_e32 v84, v101, v81
	s_delay_alu instid0(VALU_DEP_1) | instskip(NEXT) | instid1(VALU_DEP_1)
	v_mul_f32_e32 v87, v83, v84
	v_dual_sub_f32 v100, v101, v84 :: v_dual_mul_f32 v97, v96, v87
	s_delay_alu instid0(VALU_DEP_1) | instskip(NEXT) | instid1(VALU_DEP_2)
	v_add_f32_e32 v81, v81, v100
	v_fma_f32 v96, v87, v96, -v97
	s_delay_alu instid0(VALU_DEP_1) | instskip(NEXT) | instid1(VALU_DEP_1)
	v_fmac_f32_e32 v96, v87, v85
	v_add_f32_e32 v85, v97, v96
	s_delay_alu instid0(VALU_DEP_1) | instskip(NEXT) | instid1(VALU_DEP_1)
	v_sub_f32_e32 v99, v84, v85
	v_dual_sub_f32 v97, v85, v97 :: v_dual_sub_f32 v84, v84, v99
	s_delay_alu instid0(VALU_DEP_1) | instskip(NEXT) | instid1(VALU_DEP_1)
	v_dual_sub_f32 v84, v84, v85 :: v_dual_sub_f32 v85, v97, v96
	v_dual_add_f32 v81, v81, v84 :: v_dual_add_f32 v84, v98, v87
	s_delay_alu instid0(VALU_DEP_1) | instskip(NEXT) | instid1(VALU_DEP_2)
	v_add_f32_e32 v81, v85, v81
	v_sub_f32_e32 v85, v84, v98
	s_delay_alu instid0(VALU_DEP_2) | instskip(NEXT) | instid1(VALU_DEP_2)
	v_add_f32_e32 v81, v99, v81
	v_sub_f32_e32 v85, v87, v85
	s_delay_alu instid0(VALU_DEP_2) | instskip(NEXT) | instid1(VALU_DEP_1)
	v_mul_f32_e32 v81, v83, v81
	v_add_f32_e32 v81, v85, v81
	s_delay_alu instid0(VALU_DEP_1) | instskip(NEXT) | instid1(VALU_DEP_1)
	v_add_f32_e32 v83, v84, v81
	v_mul_f32_e32 v85, v83, v83
	s_delay_alu instid0(VALU_DEP_1) | instskip(SKIP_2) | instid1(VALU_DEP_3)
	v_fmaak_f32 v87, s15, v85, 0x3ecc95a3
	v_mul_f32_e32 v96, v83, v85
	v_cmp_eq_f32_e64 s15, 0x7f800000, v82
	v_fmaak_f32 v85, v85, v87, 0x3f2aaada
	v_ldexp_f32 v87, v83, 1
	v_sub_f32_e32 v83, v83, v84
	s_delay_alu instid0(VALU_DEP_4) | instskip(NEXT) | instid1(VALU_DEP_3)
	s_or_b32 s15, s15, s17
	v_dual_mul_f32 v85, v96, v85 :: v_dual_mul_f32 v96, 0x3f317218, v80
	s_delay_alu instid0(VALU_DEP_1) | instskip(NEXT) | instid1(VALU_DEP_1)
	v_dual_sub_f32 v81, v81, v83 :: v_dual_add_f32 v84, v87, v85
	v_ldexp_f32 v81, v81, 1
	s_delay_alu instid0(VALU_DEP_2) | instskip(NEXT) | instid1(VALU_DEP_4)
	v_sub_f32_e32 v83, v84, v87
	v_fma_f32 v87, 0x3f317218, v80, -v96
	s_delay_alu instid0(VALU_DEP_1) | instskip(NEXT) | instid1(VALU_DEP_1)
	v_dual_sub_f32 v83, v85, v83 :: v_dual_fmamk_f32 v80, v80, 0xb102e308, v87
	v_add_f32_e32 v81, v81, v83
	s_delay_alu instid0(VALU_DEP_2) | instskip(NEXT) | instid1(VALU_DEP_1)
	v_add_f32_e32 v83, v96, v80
	v_dual_add_f32 v85, v84, v81 :: v_dual_sub_f32 v96, v83, v96
	s_delay_alu instid0(VALU_DEP_1) | instskip(NEXT) | instid1(VALU_DEP_1)
	v_dual_add_f32 v87, v83, v85 :: v_dual_sub_f32 v84, v85, v84
	v_dual_sub_f32 v80, v80, v96 :: v_dual_sub_f32 v97, v87, v83
	s_delay_alu instid0(VALU_DEP_1) | instskip(SKIP_1) | instid1(VALU_DEP_2)
	v_dual_sub_f32 v81, v81, v84 :: v_dual_sub_f32 v98, v87, v97
	v_sub_f32_e32 v84, v85, v97
	v_add_f32_e32 v85, v80, v81
	s_delay_alu instid0(VALU_DEP_3) | instskip(NEXT) | instid1(VALU_DEP_1)
	v_sub_f32_e32 v83, v83, v98
	v_dual_add_f32 v83, v84, v83 :: v_dual_sub_f32 v84, v85, v80
	s_delay_alu instid0(VALU_DEP_1) | instskip(NEXT) | instid1(VALU_DEP_2)
	v_add_f32_e32 v83, v85, v83
	v_sub_f32_e32 v85, v85, v84
	s_delay_alu instid0(VALU_DEP_2) | instskip(NEXT) | instid1(VALU_DEP_2)
	v_dual_sub_f32 v81, v81, v84 :: v_dual_add_f32 v96, v87, v83
	v_sub_f32_e32 v80, v80, v85
	s_delay_alu instid0(VALU_DEP_2) | instskip(NEXT) | instid1(VALU_DEP_2)
	v_sub_f32_e32 v84, v96, v87
	v_add_f32_e32 v80, v81, v80
	s_delay_alu instid0(VALU_DEP_2) | instskip(NEXT) | instid1(VALU_DEP_1)
	v_sub_f32_e32 v81, v83, v84
	v_add_f32_e32 v80, v80, v81
	s_delay_alu instid0(VALU_DEP_1) | instskip(NEXT) | instid1(VALU_DEP_1)
	v_add_f32_e32 v80, v96, v80
	v_cndmask_b32_e64 v80, v80, v82, s15
	s_delay_alu instid0(VALU_DEP_1)
	v_add_f32_e32 v80, v71, v80
.LBB501_270:
	s_or_b32 exec_lo, exec_lo, s16
	s_delay_alu instid0(VALU_DEP_1) | instskip(SKIP_2) | instid1(VALU_DEP_3)
	v_bfe_u32 v71, v80, 16, 1
	v_cmp_o_f32_e64 s15, v80, v80
	v_lshlrev_b32_e32 v32, 16, v32
	v_add3_u32 v71, v80, v71, 0x7fff
	s_delay_alu instid0(VALU_DEP_1) | instskip(NEXT) | instid1(VALU_DEP_1)
	v_and_b32_e32 v71, 0xffff0000, v71
	v_cndmask_b32_e64 v81, 0x7fc00000, v71, s15
	s_delay_alu instid0(VALU_DEP_1) | instskip(SKIP_1) | instid1(VALU_DEP_2)
	v_dual_max_f32 v71, v32, v32 :: v_dual_max_f32 v80, v81, v81
	v_cmp_u_f32_e64 s15, v81, v81
	v_min_f32_e32 v82, v80, v71
	v_max_f32_e32 v80, v80, v71
	s_delay_alu instid0(VALU_DEP_2) | instskip(NEXT) | instid1(VALU_DEP_2)
	v_cndmask_b32_e64 v82, v82, v81, s15
	v_cndmask_b32_e64 v80, v80, v81, s15
	v_cmp_u_f32_e64 s15, v32, v32
	s_delay_alu instid0(VALU_DEP_1) | instskip(NEXT) | instid1(VALU_DEP_3)
	v_cndmask_b32_e64 v82, v82, v32, s15
	v_cndmask_b32_e64 v80, v80, v32, s15
	s_delay_alu instid0(VALU_DEP_2) | instskip(NEXT) | instid1(VALU_DEP_2)
	v_cmp_class_f32_e64 s17, v82, 0x1f8
	v_cmp_neq_f32_e64 s16, v82, v80
	s_delay_alu instid0(VALU_DEP_1) | instskip(NEXT) | instid1(SALU_CYCLE_1)
	s_or_b32 s16, s16, s17
	s_and_saveexec_b32 s17, s16
	s_cbranch_execz .LBB501_272
; %bb.271:
	v_sub_f32_e32 v81, v82, v80
	s_delay_alu instid0(VALU_DEP_1) | instskip(SKIP_1) | instid1(VALU_DEP_2)
	v_mul_f32_e32 v82, 0x3fb8aa3b, v81
	v_cmp_ngt_f32_e64 s16, 0xc2ce8ed0, v81
	v_fma_f32 v83, 0x3fb8aa3b, v81, -v82
	v_rndne_f32_e32 v84, v82
	s_delay_alu instid0(VALU_DEP_1) | instskip(NEXT) | instid1(VALU_DEP_1)
	v_dual_fmamk_f32 v83, v81, 0x32a5705f, v83 :: v_dual_sub_f32 v82, v82, v84
	v_add_f32_e32 v82, v82, v83
	v_cvt_i32_f32_e32 v83, v84
	s_delay_alu instid0(VALU_DEP_2) | instskip(SKIP_2) | instid1(VALU_DEP_1)
	v_exp_f32_e32 v82, v82
	s_waitcnt_depctr 0xfff
	v_ldexp_f32 v82, v82, v83
	v_cndmask_b32_e64 v82, 0, v82, s16
	v_cmp_nlt_f32_e64 s16, 0x42b17218, v81
	s_delay_alu instid0(VALU_DEP_1) | instskip(NEXT) | instid1(VALU_DEP_1)
	v_cndmask_b32_e64 v83, 0x7f800000, v82, s16
	v_add_f32_e32 v84, 1.0, v83
	v_cmp_gt_f32_e64 s18, 0x33800000, |v83|
	s_delay_alu instid0(VALU_DEP_2) | instskip(NEXT) | instid1(VALU_DEP_1)
	v_cvt_f64_f32_e32 v[81:82], v84
	v_frexp_exp_i32_f64_e32 v81, v[81:82]
	v_frexp_mant_f32_e32 v82, v84
	s_delay_alu instid0(VALU_DEP_1) | instskip(SKIP_1) | instid1(VALU_DEP_1)
	v_cmp_gt_f32_e64 s16, 0x3f2aaaab, v82
	v_add_f32_e32 v82, -1.0, v84
	v_dual_sub_f32 v87, v82, v84 :: v_dual_sub_f32 v82, v83, v82
	s_delay_alu instid0(VALU_DEP_1) | instskip(NEXT) | instid1(VALU_DEP_4)
	v_add_f32_e32 v87, 1.0, v87
	v_subrev_co_ci_u32_e64 v81, s16, 0, v81, s16
	s_mov_b32 s16, 0x3e9b6dac
	s_delay_alu instid0(VALU_DEP_1) | instskip(SKIP_1) | instid1(VALU_DEP_2)
	v_sub_nc_u32_e32 v85, 0, v81
	v_cvt_f32_i32_e32 v81, v81
	v_ldexp_f32 v84, v84, v85
	v_add_f32_e32 v82, v82, v87
	s_delay_alu instid0(VALU_DEP_1) | instskip(NEXT) | instid1(VALU_DEP_3)
	v_ldexp_f32 v82, v82, v85
	v_add_f32_e32 v85, -1.0, v84
	s_delay_alu instid0(VALU_DEP_1) | instskip(NEXT) | instid1(VALU_DEP_1)
	v_dual_add_f32 v96, 1.0, v84 :: v_dual_add_f32 v97, 1.0, v85
	v_add_f32_e32 v87, -1.0, v96
	s_delay_alu instid0(VALU_DEP_1) | instskip(NEXT) | instid1(VALU_DEP_1)
	v_sub_f32_e32 v87, v84, v87
	v_dual_sub_f32 v84, v84, v97 :: v_dual_add_f32 v87, v82, v87
	s_delay_alu instid0(VALU_DEP_1) | instskip(NEXT) | instid1(VALU_DEP_1)
	v_dual_add_f32 v82, v82, v84 :: v_dual_add_f32 v97, v96, v87
	v_rcp_f32_e32 v84, v97
	v_sub_f32_e32 v96, v96, v97
	s_delay_alu instid0(VALU_DEP_1) | instskip(NEXT) | instid1(VALU_DEP_1)
	v_dual_add_f32 v98, v85, v82 :: v_dual_add_f32 v87, v87, v96
	v_sub_f32_e32 v85, v85, v98
	s_waitcnt_depctr 0xfff
	v_mul_f32_e32 v99, v98, v84
	v_add_f32_e32 v82, v82, v85
	s_delay_alu instid0(VALU_DEP_2) | instskip(NEXT) | instid1(VALU_DEP_1)
	v_mul_f32_e32 v100, v97, v99
	v_fma_f32 v96, v99, v97, -v100
	s_delay_alu instid0(VALU_DEP_1) | instskip(NEXT) | instid1(VALU_DEP_1)
	v_fmac_f32_e32 v96, v99, v87
	v_add_f32_e32 v101, v100, v96
	s_delay_alu instid0(VALU_DEP_1) | instskip(NEXT) | instid1(VALU_DEP_1)
	v_sub_f32_e32 v102, v98, v101
	v_dual_sub_f32 v98, v98, v102 :: v_dual_sub_f32 v85, v101, v100
	s_delay_alu instid0(VALU_DEP_1) | instskip(NEXT) | instid1(VALU_DEP_1)
	v_dual_sub_f32 v98, v98, v101 :: v_dual_sub_f32 v85, v85, v96
	v_add_f32_e32 v82, v82, v98
	s_delay_alu instid0(VALU_DEP_1) | instskip(NEXT) | instid1(VALU_DEP_1)
	v_add_f32_e32 v82, v85, v82
	v_add_f32_e32 v85, v102, v82
	s_delay_alu instid0(VALU_DEP_1) | instskip(NEXT) | instid1(VALU_DEP_1)
	v_mul_f32_e32 v96, v84, v85
	v_dual_sub_f32 v101, v102, v85 :: v_dual_mul_f32 v98, v97, v96
	s_delay_alu instid0(VALU_DEP_1) | instskip(NEXT) | instid1(VALU_DEP_2)
	v_add_f32_e32 v82, v82, v101
	v_fma_f32 v97, v96, v97, -v98
	s_delay_alu instid0(VALU_DEP_1) | instskip(NEXT) | instid1(VALU_DEP_1)
	v_fmac_f32_e32 v97, v96, v87
	v_add_f32_e32 v87, v98, v97
	s_delay_alu instid0(VALU_DEP_1) | instskip(SKIP_1) | instid1(VALU_DEP_1)
	v_sub_f32_e32 v98, v87, v98
	v_sub_f32_e32 v100, v85, v87
	;; [unrolled: 1-line block ×3, first 2 shown]
	s_delay_alu instid0(VALU_DEP_1) | instskip(NEXT) | instid1(VALU_DEP_4)
	v_sub_f32_e32 v85, v85, v87
	v_sub_f32_e32 v87, v98, v97
	s_delay_alu instid0(VALU_DEP_2) | instskip(NEXT) | instid1(VALU_DEP_1)
	v_dual_add_f32 v82, v82, v85 :: v_dual_add_f32 v85, v99, v96
	v_dual_add_f32 v82, v87, v82 :: v_dual_sub_f32 v87, v85, v99
	s_delay_alu instid0(VALU_DEP_1) | instskip(NEXT) | instid1(VALU_DEP_2)
	v_add_f32_e32 v82, v100, v82
	v_sub_f32_e32 v87, v96, v87
	s_delay_alu instid0(VALU_DEP_2) | instskip(NEXT) | instid1(VALU_DEP_1)
	v_mul_f32_e32 v82, v84, v82
	v_add_f32_e32 v82, v87, v82
	s_delay_alu instid0(VALU_DEP_1) | instskip(NEXT) | instid1(VALU_DEP_1)
	v_add_f32_e32 v84, v85, v82
	v_mul_f32_e32 v87, v84, v84
	s_delay_alu instid0(VALU_DEP_1) | instskip(SKIP_2) | instid1(VALU_DEP_3)
	v_fmaak_f32 v96, s16, v87, 0x3ecc95a3
	v_mul_f32_e32 v97, v84, v87
	v_cmp_eq_f32_e64 s16, 0x7f800000, v83
	v_fmaak_f32 v87, v87, v96, 0x3f2aaada
	v_ldexp_f32 v96, v84, 1
	v_sub_f32_e32 v84, v84, v85
	s_delay_alu instid0(VALU_DEP_4) | instskip(NEXT) | instid1(VALU_DEP_3)
	s_or_b32 s16, s16, s18
	v_mul_f32_e32 v87, v97, v87
	s_delay_alu instid0(VALU_DEP_2) | instskip(NEXT) | instid1(VALU_DEP_2)
	v_dual_mul_f32 v97, 0x3f317218, v81 :: v_dual_sub_f32 v82, v82, v84
	v_add_f32_e32 v85, v96, v87
	s_delay_alu instid0(VALU_DEP_2) | instskip(NEXT) | instid1(VALU_DEP_2)
	v_ldexp_f32 v82, v82, 1
	v_sub_f32_e32 v84, v85, v96
	s_delay_alu instid0(VALU_DEP_4) | instskip(NEXT) | instid1(VALU_DEP_1)
	v_fma_f32 v96, 0x3f317218, v81, -v97
	v_dual_sub_f32 v84, v87, v84 :: v_dual_fmamk_f32 v81, v81, 0xb102e308, v96
	s_delay_alu instid0(VALU_DEP_1) | instskip(NEXT) | instid1(VALU_DEP_2)
	v_add_f32_e32 v82, v82, v84
	v_add_f32_e32 v84, v97, v81
	s_delay_alu instid0(VALU_DEP_1) | instskip(NEXT) | instid1(VALU_DEP_3)
	v_sub_f32_e32 v97, v84, v97
	v_add_f32_e32 v87, v85, v82
	s_delay_alu instid0(VALU_DEP_1) | instskip(SKIP_1) | instid1(VALU_DEP_1)
	v_dual_sub_f32 v81, v81, v97 :: v_dual_add_f32 v96, v84, v87
	v_sub_f32_e32 v85, v87, v85
	v_sub_f32_e32 v82, v82, v85
	s_delay_alu instid0(VALU_DEP_3) | instskip(NEXT) | instid1(VALU_DEP_1)
	v_sub_f32_e32 v98, v96, v84
	v_sub_f32_e32 v85, v87, v98
	s_delay_alu instid0(VALU_DEP_3) | instskip(SKIP_1) | instid1(VALU_DEP_1)
	v_add_f32_e32 v87, v81, v82
	v_sub_f32_e32 v99, v96, v98
	v_sub_f32_e32 v84, v84, v99
	s_delay_alu instid0(VALU_DEP_1) | instskip(NEXT) | instid1(VALU_DEP_1)
	v_dual_add_f32 v84, v85, v84 :: v_dual_sub_f32 v85, v87, v81
	v_add_f32_e32 v84, v87, v84
	s_delay_alu instid0(VALU_DEP_2) | instskip(NEXT) | instid1(VALU_DEP_1)
	v_sub_f32_e32 v87, v87, v85
	v_sub_f32_e32 v81, v81, v87
	s_delay_alu instid0(VALU_DEP_3) | instskip(NEXT) | instid1(VALU_DEP_1)
	v_dual_add_f32 v97, v96, v84 :: v_dual_sub_f32 v82, v82, v85
	v_sub_f32_e32 v85, v97, v96
	s_delay_alu instid0(VALU_DEP_2) | instskip(NEXT) | instid1(VALU_DEP_2)
	v_add_f32_e32 v81, v82, v81
	v_sub_f32_e32 v82, v84, v85
	s_delay_alu instid0(VALU_DEP_1) | instskip(NEXT) | instid1(VALU_DEP_1)
	v_add_f32_e32 v81, v81, v82
	v_add_f32_e32 v81, v97, v81
	s_delay_alu instid0(VALU_DEP_1) | instskip(NEXT) | instid1(VALU_DEP_1)
	v_cndmask_b32_e64 v81, v81, v83, s16
	v_add_f32_e32 v81, v80, v81
.LBB501_272:
	s_or_b32 exec_lo, exec_lo, s17
	s_delay_alu instid0(VALU_DEP_1) | instskip(SKIP_2) | instid1(VALU_DEP_3)
	v_bfe_u32 v80, v81, 16, 1
	v_cmp_o_f32_e64 s16, v81, v81
	v_lshlrev_b32_e32 v31, 16, v31
	v_add3_u32 v80, v81, v80, 0x7fff
	s_delay_alu instid0(VALU_DEP_1) | instskip(NEXT) | instid1(VALU_DEP_1)
	v_and_b32_e32 v80, 0xffff0000, v80
	v_cndmask_b32_e64 v82, 0x7fc00000, v80, s16
	s_delay_alu instid0(VALU_DEP_1) | instskip(SKIP_1) | instid1(VALU_DEP_2)
	v_dual_max_f32 v80, v31, v31 :: v_dual_max_f32 v81, v82, v82
	v_cmp_u_f32_e64 s16, v82, v82
	v_min_f32_e32 v83, v81, v80
	v_max_f32_e32 v81, v81, v80
	s_delay_alu instid0(VALU_DEP_2) | instskip(NEXT) | instid1(VALU_DEP_2)
	v_cndmask_b32_e64 v83, v83, v82, s16
	v_cndmask_b32_e64 v81, v81, v82, s16
	v_cmp_u_f32_e64 s16, v31, v31
	s_delay_alu instid0(VALU_DEP_1) | instskip(NEXT) | instid1(VALU_DEP_3)
	v_cndmask_b32_e64 v83, v83, v31, s16
	v_cndmask_b32_e64 v81, v81, v31, s16
	s_delay_alu instid0(VALU_DEP_2) | instskip(NEXT) | instid1(VALU_DEP_2)
	v_cmp_class_f32_e64 s18, v83, 0x1f8
	v_cmp_neq_f32_e64 s17, v83, v81
	s_delay_alu instid0(VALU_DEP_1) | instskip(NEXT) | instid1(SALU_CYCLE_1)
	s_or_b32 s17, s17, s18
	s_and_saveexec_b32 s18, s17
	s_cbranch_execz .LBB501_274
; %bb.273:
	v_sub_f32_e32 v82, v83, v81
	s_delay_alu instid0(VALU_DEP_1) | instskip(SKIP_1) | instid1(VALU_DEP_2)
	v_mul_f32_e32 v83, 0x3fb8aa3b, v82
	v_cmp_ngt_f32_e64 s17, 0xc2ce8ed0, v82
	v_fma_f32 v84, 0x3fb8aa3b, v82, -v83
	v_rndne_f32_e32 v85, v83
	s_delay_alu instid0(VALU_DEP_1) | instskip(NEXT) | instid1(VALU_DEP_1)
	v_dual_fmamk_f32 v84, v82, 0x32a5705f, v84 :: v_dual_sub_f32 v83, v83, v85
	v_add_f32_e32 v83, v83, v84
	v_cvt_i32_f32_e32 v84, v85
	s_delay_alu instid0(VALU_DEP_2) | instskip(SKIP_2) | instid1(VALU_DEP_1)
	v_exp_f32_e32 v83, v83
	s_waitcnt_depctr 0xfff
	v_ldexp_f32 v83, v83, v84
	v_cndmask_b32_e64 v83, 0, v83, s17
	v_cmp_nlt_f32_e64 s17, 0x42b17218, v82
	s_delay_alu instid0(VALU_DEP_1) | instskip(NEXT) | instid1(VALU_DEP_1)
	v_cndmask_b32_e64 v84, 0x7f800000, v83, s17
	v_add_f32_e32 v85, 1.0, v84
	v_cmp_gt_f32_e64 s19, 0x33800000, |v84|
	s_delay_alu instid0(VALU_DEP_2) | instskip(NEXT) | instid1(VALU_DEP_1)
	v_cvt_f64_f32_e32 v[82:83], v85
	v_frexp_exp_i32_f64_e32 v82, v[82:83]
	v_frexp_mant_f32_e32 v83, v85
	s_delay_alu instid0(VALU_DEP_1) | instskip(SKIP_1) | instid1(VALU_DEP_1)
	v_cmp_gt_f32_e64 s17, 0x3f2aaaab, v83
	v_add_f32_e32 v83, -1.0, v85
	v_dual_sub_f32 v96, v83, v85 :: v_dual_sub_f32 v83, v84, v83
	s_delay_alu instid0(VALU_DEP_1) | instskip(NEXT) | instid1(VALU_DEP_1)
	v_add_f32_e32 v96, 1.0, v96
	v_add_f32_e32 v83, v83, v96
	v_subrev_co_ci_u32_e64 v82, s17, 0, v82, s17
	s_mov_b32 s17, 0x3e9b6dac
	s_delay_alu instid0(VALU_DEP_1) | instskip(SKIP_1) | instid1(VALU_DEP_2)
	v_sub_nc_u32_e32 v87, 0, v82
	v_cvt_f32_i32_e32 v82, v82
	v_ldexp_f32 v85, v85, v87
	v_ldexp_f32 v83, v83, v87
	s_delay_alu instid0(VALU_DEP_2) | instskip(NEXT) | instid1(VALU_DEP_1)
	v_add_f32_e32 v87, -1.0, v85
	v_dual_add_f32 v97, 1.0, v85 :: v_dual_add_f32 v98, 1.0, v87
	s_delay_alu instid0(VALU_DEP_1) | instskip(NEXT) | instid1(VALU_DEP_1)
	v_add_f32_e32 v96, -1.0, v97
	v_sub_f32_e32 v96, v85, v96
	s_delay_alu instid0(VALU_DEP_1) | instskip(NEXT) | instid1(VALU_DEP_1)
	v_dual_sub_f32 v85, v85, v98 :: v_dual_add_f32 v96, v83, v96
	v_dual_add_f32 v83, v83, v85 :: v_dual_add_f32 v98, v97, v96
	s_delay_alu instid0(VALU_DEP_1) | instskip(NEXT) | instid1(VALU_DEP_2)
	v_add_f32_e32 v99, v87, v83
	v_rcp_f32_e32 v85, v98
	v_sub_f32_e32 v97, v97, v98
	s_delay_alu instid0(VALU_DEP_1) | instskip(SKIP_2) | instid1(VALU_DEP_1)
	v_add_f32_e32 v96, v96, v97
	s_waitcnt_depctr 0xfff
	v_mul_f32_e32 v100, v99, v85
	v_mul_f32_e32 v101, v98, v100
	s_delay_alu instid0(VALU_DEP_1) | instskip(NEXT) | instid1(VALU_DEP_1)
	v_fma_f32 v97, v100, v98, -v101
	v_fmac_f32_e32 v97, v100, v96
	s_delay_alu instid0(VALU_DEP_1) | instskip(NEXT) | instid1(VALU_DEP_1)
	v_dual_add_f32 v102, v101, v97 :: v_dual_sub_f32 v87, v87, v99
	v_sub_f32_e32 v103, v99, v102
	s_delay_alu instid0(VALU_DEP_2) | instskip(SKIP_1) | instid1(VALU_DEP_3)
	v_add_f32_e32 v83, v83, v87
	v_sub_f32_e32 v87, v102, v101
	v_sub_f32_e32 v99, v99, v103
	s_delay_alu instid0(VALU_DEP_2) | instskip(NEXT) | instid1(VALU_DEP_2)
	v_sub_f32_e32 v87, v87, v97
	v_sub_f32_e32 v99, v99, v102
	s_delay_alu instid0(VALU_DEP_1) | instskip(NEXT) | instid1(VALU_DEP_1)
	v_add_f32_e32 v83, v83, v99
	v_add_f32_e32 v83, v87, v83
	s_delay_alu instid0(VALU_DEP_1) | instskip(NEXT) | instid1(VALU_DEP_1)
	v_add_f32_e32 v87, v103, v83
	v_mul_f32_e32 v97, v85, v87
	s_delay_alu instid0(VALU_DEP_1) | instskip(NEXT) | instid1(VALU_DEP_1)
	v_mul_f32_e32 v99, v98, v97
	v_fma_f32 v98, v97, v98, -v99
	s_delay_alu instid0(VALU_DEP_1) | instskip(SKIP_1) | instid1(VALU_DEP_2)
	v_fmac_f32_e32 v98, v97, v96
	v_sub_f32_e32 v102, v103, v87
	v_add_f32_e32 v96, v99, v98
	s_delay_alu instid0(VALU_DEP_2) | instskip(NEXT) | instid1(VALU_DEP_2)
	v_add_f32_e32 v83, v83, v102
	v_sub_f32_e32 v101, v87, v96
	v_sub_f32_e32 v99, v96, v99
	s_delay_alu instid0(VALU_DEP_2) | instskip(NEXT) | instid1(VALU_DEP_1)
	v_sub_f32_e32 v87, v87, v101
	v_sub_f32_e32 v87, v87, v96
	s_delay_alu instid0(VALU_DEP_3) | instskip(NEXT) | instid1(VALU_DEP_2)
	v_sub_f32_e32 v96, v99, v98
	v_add_f32_e32 v83, v83, v87
	v_add_f32_e32 v87, v100, v97
	s_delay_alu instid0(VALU_DEP_1) | instskip(NEXT) | instid1(VALU_DEP_1)
	v_dual_add_f32 v83, v96, v83 :: v_dual_sub_f32 v96, v87, v100
	v_add_f32_e32 v83, v101, v83
	s_delay_alu instid0(VALU_DEP_2) | instskip(NEXT) | instid1(VALU_DEP_2)
	v_sub_f32_e32 v96, v97, v96
	v_mul_f32_e32 v83, v85, v83
	s_delay_alu instid0(VALU_DEP_1) | instskip(NEXT) | instid1(VALU_DEP_1)
	v_add_f32_e32 v83, v96, v83
	v_add_f32_e32 v85, v87, v83
	s_delay_alu instid0(VALU_DEP_1) | instskip(NEXT) | instid1(VALU_DEP_1)
	v_mul_f32_e32 v96, v85, v85
	v_fmaak_f32 v97, s17, v96, 0x3ecc95a3
	v_mul_f32_e32 v98, v85, v96
	v_cmp_eq_f32_e64 s17, 0x7f800000, v84
	s_delay_alu instid0(VALU_DEP_3) | instskip(SKIP_2) | instid1(VALU_DEP_4)
	v_fmaak_f32 v96, v96, v97, 0x3f2aaada
	v_ldexp_f32 v97, v85, 1
	v_sub_f32_e32 v85, v85, v87
	s_or_b32 s17, s17, s19
	s_delay_alu instid0(VALU_DEP_3) | instskip(NEXT) | instid1(VALU_DEP_2)
	v_mul_f32_e32 v96, v98, v96
	v_dual_mul_f32 v98, 0x3f317218, v82 :: v_dual_sub_f32 v83, v83, v85
	s_delay_alu instid0(VALU_DEP_2) | instskip(NEXT) | instid1(VALU_DEP_2)
	v_add_f32_e32 v87, v97, v96
	v_ldexp_f32 v83, v83, 1
	s_delay_alu instid0(VALU_DEP_2) | instskip(NEXT) | instid1(VALU_DEP_4)
	v_sub_f32_e32 v85, v87, v97
	v_fma_f32 v97, 0x3f317218, v82, -v98
	s_delay_alu instid0(VALU_DEP_1) | instskip(NEXT) | instid1(VALU_DEP_1)
	v_dual_sub_f32 v85, v96, v85 :: v_dual_fmamk_f32 v82, v82, 0xb102e308, v97
	v_add_f32_e32 v83, v83, v85
	s_delay_alu instid0(VALU_DEP_1) | instskip(NEXT) | instid1(VALU_DEP_1)
	v_dual_add_f32 v85, v98, v82 :: v_dual_add_f32 v96, v87, v83
	v_sub_f32_e32 v98, v85, v98
	s_delay_alu instid0(VALU_DEP_2) | instskip(NEXT) | instid1(VALU_DEP_2)
	v_add_f32_e32 v97, v85, v96
	v_dual_sub_f32 v87, v96, v87 :: v_dual_sub_f32 v82, v82, v98
	s_delay_alu instid0(VALU_DEP_2) | instskip(NEXT) | instid1(VALU_DEP_2)
	v_sub_f32_e32 v99, v97, v85
	v_sub_f32_e32 v83, v83, v87
	s_delay_alu instid0(VALU_DEP_2) | instskip(SKIP_1) | instid1(VALU_DEP_2)
	v_sub_f32_e32 v100, v97, v99
	v_sub_f32_e32 v87, v96, v99
	v_dual_add_f32 v96, v82, v83 :: v_dual_sub_f32 v85, v85, v100
	s_delay_alu instid0(VALU_DEP_1) | instskip(NEXT) | instid1(VALU_DEP_2)
	v_add_f32_e32 v85, v87, v85
	v_sub_f32_e32 v87, v96, v82
	s_delay_alu instid0(VALU_DEP_2) | instskip(NEXT) | instid1(VALU_DEP_2)
	v_add_f32_e32 v85, v96, v85
	v_sub_f32_e32 v96, v96, v87
	s_delay_alu instid0(VALU_DEP_2) | instskip(NEXT) | instid1(VALU_DEP_2)
	v_dual_sub_f32 v83, v83, v87 :: v_dual_add_f32 v98, v97, v85
	v_sub_f32_e32 v82, v82, v96
	s_delay_alu instid0(VALU_DEP_1) | instskip(NEXT) | instid1(VALU_DEP_1)
	v_dual_sub_f32 v87, v98, v97 :: v_dual_add_f32 v82, v83, v82
	v_sub_f32_e32 v83, v85, v87
	s_delay_alu instid0(VALU_DEP_1) | instskip(NEXT) | instid1(VALU_DEP_1)
	v_add_f32_e32 v82, v82, v83
	v_add_f32_e32 v82, v98, v82
	s_delay_alu instid0(VALU_DEP_1) | instskip(NEXT) | instid1(VALU_DEP_1)
	v_cndmask_b32_e64 v82, v82, v84, s17
	v_add_f32_e32 v82, v81, v82
.LBB501_274:
	s_or_b32 exec_lo, exec_lo, s18
	s_delay_alu instid0(VALU_DEP_1) | instskip(SKIP_2) | instid1(VALU_DEP_3)
	v_bfe_u32 v81, v82, 16, 1
	v_cmp_o_f32_e64 s17, v82, v82
	v_lshlrev_b32_e32 v30, 16, v30
	v_add3_u32 v81, v82, v81, 0x7fff
	s_delay_alu instid0(VALU_DEP_1) | instskip(NEXT) | instid1(VALU_DEP_1)
	v_and_b32_e32 v81, 0xffff0000, v81
	v_cndmask_b32_e64 v83, 0x7fc00000, v81, s17
	s_delay_alu instid0(VALU_DEP_1) | instskip(SKIP_1) | instid1(VALU_DEP_2)
	v_dual_max_f32 v81, v30, v30 :: v_dual_max_f32 v82, v83, v83
	v_cmp_u_f32_e64 s17, v83, v83
	v_min_f32_e32 v84, v82, v81
	v_max_f32_e32 v82, v82, v81
	s_delay_alu instid0(VALU_DEP_2) | instskip(NEXT) | instid1(VALU_DEP_2)
	v_cndmask_b32_e64 v84, v84, v83, s17
	v_cndmask_b32_e64 v82, v82, v83, s17
	v_cmp_u_f32_e64 s17, v30, v30
	s_delay_alu instid0(VALU_DEP_1) | instskip(NEXT) | instid1(VALU_DEP_3)
	v_cndmask_b32_e64 v84, v84, v30, s17
	v_cndmask_b32_e64 v82, v82, v30, s17
	s_delay_alu instid0(VALU_DEP_2) | instskip(NEXT) | instid1(VALU_DEP_2)
	v_cmp_class_f32_e64 s19, v84, 0x1f8
	v_cmp_neq_f32_e64 s18, v84, v82
	s_delay_alu instid0(VALU_DEP_1) | instskip(NEXT) | instid1(SALU_CYCLE_1)
	s_or_b32 s18, s18, s19
	s_and_saveexec_b32 s19, s18
	s_cbranch_execz .LBB501_276
; %bb.275:
	v_sub_f32_e32 v83, v84, v82
	s_delay_alu instid0(VALU_DEP_1) | instskip(SKIP_1) | instid1(VALU_DEP_2)
	v_mul_f32_e32 v84, 0x3fb8aa3b, v83
	v_cmp_ngt_f32_e64 s18, 0xc2ce8ed0, v83
	v_fma_f32 v85, 0x3fb8aa3b, v83, -v84
	v_rndne_f32_e32 v87, v84
	s_delay_alu instid0(VALU_DEP_1) | instskip(NEXT) | instid1(VALU_DEP_1)
	v_dual_fmamk_f32 v85, v83, 0x32a5705f, v85 :: v_dual_sub_f32 v84, v84, v87
	v_add_f32_e32 v84, v84, v85
	v_cvt_i32_f32_e32 v85, v87
	s_delay_alu instid0(VALU_DEP_2) | instskip(SKIP_2) | instid1(VALU_DEP_1)
	v_exp_f32_e32 v84, v84
	s_waitcnt_depctr 0xfff
	v_ldexp_f32 v84, v84, v85
	v_cndmask_b32_e64 v84, 0, v84, s18
	v_cmp_nlt_f32_e64 s18, 0x42b17218, v83
	s_delay_alu instid0(VALU_DEP_1) | instskip(NEXT) | instid1(VALU_DEP_1)
	v_cndmask_b32_e64 v85, 0x7f800000, v84, s18
	v_add_f32_e32 v87, 1.0, v85
	v_cmp_gt_f32_e64 s20, 0x33800000, |v85|
	s_delay_alu instid0(VALU_DEP_2) | instskip(NEXT) | instid1(VALU_DEP_1)
	v_cvt_f64_f32_e32 v[83:84], v87
	v_frexp_exp_i32_f64_e32 v83, v[83:84]
	v_frexp_mant_f32_e32 v84, v87
	s_delay_alu instid0(VALU_DEP_1) | instskip(SKIP_1) | instid1(VALU_DEP_1)
	v_cmp_gt_f32_e64 s18, 0x3f2aaaab, v84
	v_add_f32_e32 v84, -1.0, v87
	v_dual_sub_f32 v97, v84, v87 :: v_dual_sub_f32 v84, v85, v84
	s_delay_alu instid0(VALU_DEP_3) | instskip(SKIP_1) | instid1(VALU_DEP_1)
	v_subrev_co_ci_u32_e64 v83, s18, 0, v83, s18
	s_mov_b32 s18, 0x3e9b6dac
	v_sub_nc_u32_e32 v96, 0, v83
	v_cvt_f32_i32_e32 v83, v83
	s_delay_alu instid0(VALU_DEP_2) | instskip(NEXT) | instid1(VALU_DEP_1)
	v_ldexp_f32 v87, v87, v96
	v_dual_add_f32 v97, 1.0, v97 :: v_dual_add_f32 v98, 1.0, v87
	s_delay_alu instid0(VALU_DEP_1) | instskip(NEXT) | instid1(VALU_DEP_1)
	v_dual_add_f32 v84, v84, v97 :: v_dual_add_f32 v97, -1.0, v98
	v_ldexp_f32 v84, v84, v96
	s_delay_alu instid0(VALU_DEP_2) | instskip(NEXT) | instid1(VALU_DEP_1)
	v_dual_add_f32 v96, -1.0, v87 :: v_dual_sub_f32 v97, v87, v97
	v_add_f32_e32 v99, 1.0, v96
	s_delay_alu instid0(VALU_DEP_2) | instskip(NEXT) | instid1(VALU_DEP_2)
	v_add_f32_e32 v97, v84, v97
	v_sub_f32_e32 v87, v87, v99
	s_delay_alu instid0(VALU_DEP_1) | instskip(NEXT) | instid1(VALU_DEP_1)
	v_dual_add_f32 v99, v98, v97 :: v_dual_add_f32 v84, v84, v87
	v_rcp_f32_e32 v87, v99
	v_sub_f32_e32 v98, v98, v99
	s_delay_alu instid0(VALU_DEP_1) | instskip(NEXT) | instid1(VALU_DEP_1)
	v_dual_add_f32 v100, v96, v84 :: v_dual_add_f32 v97, v97, v98
	v_sub_f32_e32 v96, v96, v100
	s_waitcnt_depctr 0xfff
	v_mul_f32_e32 v101, v100, v87
	v_add_f32_e32 v84, v84, v96
	s_delay_alu instid0(VALU_DEP_2) | instskip(NEXT) | instid1(VALU_DEP_1)
	v_mul_f32_e32 v102, v99, v101
	v_fma_f32 v98, v101, v99, -v102
	s_delay_alu instid0(VALU_DEP_1) | instskip(NEXT) | instid1(VALU_DEP_1)
	v_fmac_f32_e32 v98, v101, v97
	v_add_f32_e32 v103, v102, v98
	s_delay_alu instid0(VALU_DEP_1) | instskip(SKIP_1) | instid1(VALU_DEP_2)
	v_sub_f32_e32 v112, v100, v103
	v_sub_f32_e32 v96, v103, v102
	;; [unrolled: 1-line block ×3, first 2 shown]
	s_delay_alu instid0(VALU_DEP_2) | instskip(NEXT) | instid1(VALU_DEP_2)
	v_sub_f32_e32 v96, v96, v98
	v_sub_f32_e32 v100, v100, v103
	s_delay_alu instid0(VALU_DEP_1) | instskip(NEXT) | instid1(VALU_DEP_1)
	v_add_f32_e32 v84, v84, v100
	v_add_f32_e32 v84, v96, v84
	s_delay_alu instid0(VALU_DEP_1) | instskip(NEXT) | instid1(VALU_DEP_1)
	v_add_f32_e32 v96, v112, v84
	v_mul_f32_e32 v98, v87, v96
	s_delay_alu instid0(VALU_DEP_1) | instskip(NEXT) | instid1(VALU_DEP_1)
	v_mul_f32_e32 v100, v99, v98
	v_fma_f32 v99, v98, v99, -v100
	s_delay_alu instid0(VALU_DEP_1) | instskip(SKIP_1) | instid1(VALU_DEP_2)
	v_fmac_f32_e32 v99, v98, v97
	v_sub_f32_e32 v103, v112, v96
	v_add_f32_e32 v97, v100, v99
	s_delay_alu instid0(VALU_DEP_2) | instskip(NEXT) | instid1(VALU_DEP_2)
	v_add_f32_e32 v84, v84, v103
	v_sub_f32_e32 v102, v96, v97
	v_sub_f32_e32 v100, v97, v100
	s_delay_alu instid0(VALU_DEP_2) | instskip(NEXT) | instid1(VALU_DEP_1)
	v_sub_f32_e32 v96, v96, v102
	v_sub_f32_e32 v96, v96, v97
	s_delay_alu instid0(VALU_DEP_3) | instskip(NEXT) | instid1(VALU_DEP_2)
	v_sub_f32_e32 v97, v100, v99
	v_add_f32_e32 v84, v84, v96
	v_add_f32_e32 v96, v101, v98
	s_delay_alu instid0(VALU_DEP_1) | instskip(NEXT) | instid1(VALU_DEP_1)
	v_dual_add_f32 v84, v97, v84 :: v_dual_sub_f32 v97, v96, v101
	v_add_f32_e32 v84, v102, v84
	s_delay_alu instid0(VALU_DEP_1) | instskip(NEXT) | instid1(VALU_DEP_1)
	v_dual_sub_f32 v97, v98, v97 :: v_dual_mul_f32 v84, v87, v84
	v_add_f32_e32 v84, v97, v84
	s_delay_alu instid0(VALU_DEP_1) | instskip(NEXT) | instid1(VALU_DEP_1)
	v_add_f32_e32 v87, v96, v84
	v_mul_f32_e32 v97, v87, v87
	s_delay_alu instid0(VALU_DEP_1) | instskip(SKIP_2) | instid1(VALU_DEP_3)
	v_fmaak_f32 v98, s18, v97, 0x3ecc95a3
	v_mul_f32_e32 v99, v87, v97
	v_cmp_eq_f32_e64 s18, 0x7f800000, v85
	v_fmaak_f32 v97, v97, v98, 0x3f2aaada
	v_ldexp_f32 v98, v87, 1
	v_sub_f32_e32 v87, v87, v96
	s_delay_alu instid0(VALU_DEP_4) | instskip(NEXT) | instid1(VALU_DEP_3)
	s_or_b32 s18, s18, s20
	v_mul_f32_e32 v97, v99, v97
	v_mul_f32_e32 v99, 0x3f317218, v83
	s_delay_alu instid0(VALU_DEP_3) | instskip(NEXT) | instid1(VALU_DEP_3)
	v_sub_f32_e32 v84, v84, v87
	v_add_f32_e32 v96, v98, v97
	s_delay_alu instid0(VALU_DEP_2) | instskip(NEXT) | instid1(VALU_DEP_2)
	v_ldexp_f32 v84, v84, 1
	v_sub_f32_e32 v87, v96, v98
	v_fma_f32 v98, 0x3f317218, v83, -v99
	s_delay_alu instid0(VALU_DEP_2) | instskip(NEXT) | instid1(VALU_DEP_1)
	v_sub_f32_e32 v87, v97, v87
	v_dual_fmamk_f32 v83, v83, 0xb102e308, v98 :: v_dual_add_f32 v84, v84, v87
	s_delay_alu instid0(VALU_DEP_1) | instskip(NEXT) | instid1(VALU_DEP_2)
	v_add_f32_e32 v87, v99, v83
	v_add_f32_e32 v97, v96, v84
	s_delay_alu instid0(VALU_DEP_2) | instskip(NEXT) | instid1(VALU_DEP_2)
	v_sub_f32_e32 v99, v87, v99
	v_add_f32_e32 v98, v87, v97
	s_delay_alu instid0(VALU_DEP_2) | instskip(NEXT) | instid1(VALU_DEP_2)
	v_sub_f32_e32 v83, v83, v99
	v_sub_f32_e32 v100, v98, v87
	;; [unrolled: 1-line block ×3, first 2 shown]
	s_delay_alu instid0(VALU_DEP_2) | instskip(NEXT) | instid1(VALU_DEP_2)
	v_sub_f32_e32 v101, v98, v100
	v_sub_f32_e32 v84, v84, v96
	s_delay_alu instid0(VALU_DEP_2) | instskip(NEXT) | instid1(VALU_DEP_2)
	v_dual_sub_f32 v96, v97, v100 :: v_dual_sub_f32 v87, v87, v101
	v_add_f32_e32 v97, v83, v84
	s_delay_alu instid0(VALU_DEP_2) | instskip(NEXT) | instid1(VALU_DEP_2)
	v_add_f32_e32 v87, v96, v87
	v_sub_f32_e32 v96, v97, v83
	s_delay_alu instid0(VALU_DEP_2) | instskip(NEXT) | instid1(VALU_DEP_2)
	v_add_f32_e32 v87, v97, v87
	v_sub_f32_e32 v97, v97, v96
	s_delay_alu instid0(VALU_DEP_2) | instskip(NEXT) | instid1(VALU_DEP_2)
	v_dual_sub_f32 v84, v84, v96 :: v_dual_add_f32 v99, v98, v87
	v_sub_f32_e32 v83, v83, v97
	s_delay_alu instid0(VALU_DEP_1) | instskip(NEXT) | instid1(VALU_DEP_1)
	v_dual_sub_f32 v96, v99, v98 :: v_dual_add_f32 v83, v84, v83
	v_sub_f32_e32 v84, v87, v96
	s_delay_alu instid0(VALU_DEP_1) | instskip(NEXT) | instid1(VALU_DEP_1)
	v_add_f32_e32 v83, v83, v84
	v_add_f32_e32 v83, v99, v83
	s_delay_alu instid0(VALU_DEP_1) | instskip(NEXT) | instid1(VALU_DEP_1)
	v_cndmask_b32_e64 v83, v83, v85, s18
	v_add_f32_e32 v83, v82, v83
.LBB501_276:
	s_or_b32 exec_lo, exec_lo, s19
	s_delay_alu instid0(VALU_DEP_1) | instskip(SKIP_2) | instid1(VALU_DEP_3)
	v_bfe_u32 v82, v83, 16, 1
	v_cmp_o_f32_e64 s18, v83, v83
	v_lshlrev_b32_e32 v29, 16, v29
	v_add3_u32 v82, v83, v82, 0x7fff
	s_delay_alu instid0(VALU_DEP_1) | instskip(NEXT) | instid1(VALU_DEP_1)
	v_and_b32_e32 v82, 0xffff0000, v82
	v_cndmask_b32_e64 v84, 0x7fc00000, v82, s18
	s_delay_alu instid0(VALU_DEP_1) | instskip(SKIP_1) | instid1(VALU_DEP_2)
	v_dual_max_f32 v82, v29, v29 :: v_dual_max_f32 v83, v84, v84
	v_cmp_u_f32_e64 s18, v84, v84
	v_min_f32_e32 v85, v83, v82
	v_max_f32_e32 v83, v83, v82
	s_delay_alu instid0(VALU_DEP_2) | instskip(NEXT) | instid1(VALU_DEP_2)
	v_cndmask_b32_e64 v85, v85, v84, s18
	v_cndmask_b32_e64 v83, v83, v84, s18
	v_cmp_u_f32_e64 s18, v29, v29
	s_delay_alu instid0(VALU_DEP_1) | instskip(NEXT) | instid1(VALU_DEP_3)
	v_cndmask_b32_e64 v85, v85, v29, s18
	v_cndmask_b32_e64 v83, v83, v29, s18
	s_delay_alu instid0(VALU_DEP_2) | instskip(NEXT) | instid1(VALU_DEP_2)
	v_cmp_class_f32_e64 s20, v85, 0x1f8
	v_cmp_neq_f32_e64 s19, v85, v83
	s_delay_alu instid0(VALU_DEP_1) | instskip(NEXT) | instid1(SALU_CYCLE_1)
	s_or_b32 s19, s19, s20
	s_and_saveexec_b32 s20, s19
	s_cbranch_execz .LBB501_278
; %bb.277:
	v_sub_f32_e32 v84, v85, v83
	s_delay_alu instid0(VALU_DEP_1) | instskip(SKIP_1) | instid1(VALU_DEP_2)
	v_mul_f32_e32 v85, 0x3fb8aa3b, v84
	v_cmp_ngt_f32_e64 s19, 0xc2ce8ed0, v84
	v_fma_f32 v87, 0x3fb8aa3b, v84, -v85
	v_rndne_f32_e32 v96, v85
	s_delay_alu instid0(VALU_DEP_2) | instskip(NEXT) | instid1(VALU_DEP_2)
	v_fmamk_f32 v87, v84, 0x32a5705f, v87
	v_sub_f32_e32 v85, v85, v96
	s_delay_alu instid0(VALU_DEP_1) | instskip(SKIP_1) | instid1(VALU_DEP_2)
	v_add_f32_e32 v85, v85, v87
	v_cvt_i32_f32_e32 v87, v96
	v_exp_f32_e32 v85, v85
	s_waitcnt_depctr 0xfff
	v_ldexp_f32 v85, v85, v87
	s_delay_alu instid0(VALU_DEP_1) | instskip(SKIP_1) | instid1(VALU_DEP_1)
	v_cndmask_b32_e64 v85, 0, v85, s19
	v_cmp_nlt_f32_e64 s19, 0x42b17218, v84
	v_cndmask_b32_e64 v87, 0x7f800000, v85, s19
	s_delay_alu instid0(VALU_DEP_1) | instskip(SKIP_1) | instid1(VALU_DEP_2)
	v_add_f32_e32 v96, 1.0, v87
	v_cmp_gt_f32_e64 s21, 0x33800000, |v87|
	v_cvt_f64_f32_e32 v[84:85], v96
	s_delay_alu instid0(VALU_DEP_1) | instskip(SKIP_1) | instid1(VALU_DEP_1)
	v_frexp_exp_i32_f64_e32 v84, v[84:85]
	v_frexp_mant_f32_e32 v85, v96
	v_cmp_gt_f32_e64 s19, 0x3f2aaaab, v85
	v_add_f32_e32 v85, -1.0, v96
	s_delay_alu instid0(VALU_DEP_1) | instskip(NEXT) | instid1(VALU_DEP_1)
	v_sub_f32_e32 v98, v85, v96
	v_add_f32_e32 v98, 1.0, v98
	s_delay_alu instid0(VALU_DEP_4) | instskip(SKIP_1) | instid1(VALU_DEP_1)
	v_subrev_co_ci_u32_e64 v84, s19, 0, v84, s19
	s_mov_b32 s19, 0x3e9b6dac
	v_sub_nc_u32_e32 v97, 0, v84
	v_cvt_f32_i32_e32 v84, v84
	s_delay_alu instid0(VALU_DEP_2) | instskip(NEXT) | instid1(VALU_DEP_1)
	v_ldexp_f32 v96, v96, v97
	v_add_f32_e32 v99, 1.0, v96
	v_sub_f32_e32 v85, v87, v85
	s_delay_alu instid0(VALU_DEP_1) | instskip(NEXT) | instid1(VALU_DEP_1)
	v_add_f32_e32 v85, v85, v98
	v_ldexp_f32 v85, v85, v97
	v_add_f32_e32 v97, -1.0, v96
	s_delay_alu instid0(VALU_DEP_1) | instskip(SKIP_1) | instid1(VALU_DEP_1)
	v_add_f32_e32 v100, 1.0, v97
	v_add_f32_e32 v98, -1.0, v99
	v_sub_f32_e32 v98, v96, v98
	s_delay_alu instid0(VALU_DEP_3) | instskip(NEXT) | instid1(VALU_DEP_2)
	v_sub_f32_e32 v96, v96, v100
	v_add_f32_e32 v98, v85, v98
	s_delay_alu instid0(VALU_DEP_1) | instskip(NEXT) | instid1(VALU_DEP_1)
	v_dual_add_f32 v85, v85, v96 :: v_dual_add_f32 v100, v99, v98
	v_rcp_f32_e32 v96, v100
	v_sub_f32_e32 v99, v99, v100
	s_delay_alu instid0(VALU_DEP_1) | instskip(NEXT) | instid1(VALU_DEP_1)
	v_dual_add_f32 v101, v97, v85 :: v_dual_add_f32 v98, v98, v99
	v_sub_f32_e32 v97, v97, v101
	s_waitcnt_depctr 0xfff
	v_mul_f32_e32 v102, v101, v96
	v_add_f32_e32 v85, v85, v97
	s_delay_alu instid0(VALU_DEP_2) | instskip(NEXT) | instid1(VALU_DEP_1)
	v_mul_f32_e32 v103, v100, v102
	v_fma_f32 v99, v102, v100, -v103
	s_delay_alu instid0(VALU_DEP_1) | instskip(NEXT) | instid1(VALU_DEP_1)
	v_fmac_f32_e32 v99, v102, v98
	v_add_f32_e32 v112, v103, v99
	s_delay_alu instid0(VALU_DEP_1) | instskip(SKIP_1) | instid1(VALU_DEP_2)
	v_sub_f32_e32 v113, v101, v112
	v_sub_f32_e32 v97, v112, v103
	;; [unrolled: 1-line block ×3, first 2 shown]
	s_delay_alu instid0(VALU_DEP_2) | instskip(NEXT) | instid1(VALU_DEP_2)
	v_sub_f32_e32 v97, v97, v99
	v_sub_f32_e32 v101, v101, v112
	s_delay_alu instid0(VALU_DEP_1) | instskip(NEXT) | instid1(VALU_DEP_1)
	v_add_f32_e32 v85, v85, v101
	v_add_f32_e32 v85, v97, v85
	s_delay_alu instid0(VALU_DEP_1) | instskip(NEXT) | instid1(VALU_DEP_1)
	v_add_f32_e32 v97, v113, v85
	v_mul_f32_e32 v99, v96, v97
	s_delay_alu instid0(VALU_DEP_1) | instskip(NEXT) | instid1(VALU_DEP_1)
	v_mul_f32_e32 v101, v100, v99
	v_fma_f32 v100, v99, v100, -v101
	s_delay_alu instid0(VALU_DEP_1) | instskip(SKIP_1) | instid1(VALU_DEP_2)
	v_fmac_f32_e32 v100, v99, v98
	v_sub_f32_e32 v112, v113, v97
	v_add_f32_e32 v98, v101, v100
	s_delay_alu instid0(VALU_DEP_2) | instskip(NEXT) | instid1(VALU_DEP_2)
	v_add_f32_e32 v85, v85, v112
	v_sub_f32_e32 v103, v97, v98
	v_sub_f32_e32 v101, v98, v101
	s_delay_alu instid0(VALU_DEP_2) | instskip(NEXT) | instid1(VALU_DEP_1)
	v_sub_f32_e32 v97, v97, v103
	v_sub_f32_e32 v97, v97, v98
	s_delay_alu instid0(VALU_DEP_3) | instskip(NEXT) | instid1(VALU_DEP_2)
	v_sub_f32_e32 v98, v101, v100
	v_add_f32_e32 v85, v85, v97
	v_add_f32_e32 v97, v102, v99
	s_delay_alu instid0(VALU_DEP_1) | instskip(NEXT) | instid1(VALU_DEP_1)
	v_dual_add_f32 v85, v98, v85 :: v_dual_sub_f32 v98, v97, v102
	v_add_f32_e32 v85, v103, v85
	s_delay_alu instid0(VALU_DEP_1) | instskip(NEXT) | instid1(VALU_DEP_1)
	v_dual_sub_f32 v98, v99, v98 :: v_dual_mul_f32 v85, v96, v85
	v_add_f32_e32 v85, v98, v85
	s_delay_alu instid0(VALU_DEP_1) | instskip(NEXT) | instid1(VALU_DEP_1)
	v_add_f32_e32 v96, v97, v85
	v_mul_f32_e32 v98, v96, v96
	s_delay_alu instid0(VALU_DEP_1) | instskip(SKIP_2) | instid1(VALU_DEP_3)
	v_fmaak_f32 v99, s19, v98, 0x3ecc95a3
	v_mul_f32_e32 v100, v96, v98
	v_cmp_eq_f32_e64 s19, 0x7f800000, v87
	v_fmaak_f32 v98, v98, v99, 0x3f2aaada
	v_ldexp_f32 v99, v96, 1
	v_sub_f32_e32 v96, v96, v97
	s_delay_alu instid0(VALU_DEP_4) | instskip(NEXT) | instid1(VALU_DEP_3)
	s_or_b32 s19, s19, s21
	v_mul_f32_e32 v98, v100, v98
	v_mul_f32_e32 v100, 0x3f317218, v84
	s_delay_alu instid0(VALU_DEP_3) | instskip(NEXT) | instid1(VALU_DEP_3)
	v_sub_f32_e32 v85, v85, v96
	v_add_f32_e32 v97, v99, v98
	s_delay_alu instid0(VALU_DEP_2) | instskip(NEXT) | instid1(VALU_DEP_2)
	v_ldexp_f32 v85, v85, 1
	v_sub_f32_e32 v96, v97, v99
	v_fma_f32 v99, 0x3f317218, v84, -v100
	s_delay_alu instid0(VALU_DEP_2) | instskip(NEXT) | instid1(VALU_DEP_1)
	v_sub_f32_e32 v96, v98, v96
	v_dual_fmamk_f32 v84, v84, 0xb102e308, v99 :: v_dual_add_f32 v85, v85, v96
	s_delay_alu instid0(VALU_DEP_1) | instskip(NEXT) | instid1(VALU_DEP_2)
	v_add_f32_e32 v96, v100, v84
	v_add_f32_e32 v98, v97, v85
	s_delay_alu instid0(VALU_DEP_2) | instskip(NEXT) | instid1(VALU_DEP_2)
	v_sub_f32_e32 v100, v96, v100
	v_add_f32_e32 v99, v96, v98
	s_delay_alu instid0(VALU_DEP_2) | instskip(NEXT) | instid1(VALU_DEP_2)
	v_dual_sub_f32 v97, v98, v97 :: v_dual_sub_f32 v84, v84, v100
	v_sub_f32_e32 v101, v99, v96
	s_delay_alu instid0(VALU_DEP_2) | instskip(NEXT) | instid1(VALU_DEP_2)
	v_sub_f32_e32 v85, v85, v97
	v_sub_f32_e32 v102, v99, v101
	;; [unrolled: 1-line block ×3, first 2 shown]
	s_delay_alu instid0(VALU_DEP_3) | instskip(NEXT) | instid1(VALU_DEP_3)
	v_add_f32_e32 v98, v84, v85
	v_sub_f32_e32 v96, v96, v102
	s_delay_alu instid0(VALU_DEP_1) | instskip(NEXT) | instid1(VALU_DEP_3)
	v_add_f32_e32 v96, v97, v96
	v_sub_f32_e32 v97, v98, v84
	s_delay_alu instid0(VALU_DEP_2) | instskip(NEXT) | instid1(VALU_DEP_2)
	v_add_f32_e32 v96, v98, v96
	v_sub_f32_e32 v98, v98, v97
	s_delay_alu instid0(VALU_DEP_1) | instskip(NEXT) | instid1(VALU_DEP_1)
	v_dual_sub_f32 v85, v85, v97 :: v_dual_sub_f32 v84, v84, v98
	v_add_f32_e32 v84, v85, v84
	s_delay_alu instid0(VALU_DEP_4) | instskip(NEXT) | instid1(VALU_DEP_1)
	v_add_f32_e32 v100, v99, v96
	v_sub_f32_e32 v97, v100, v99
	s_delay_alu instid0(VALU_DEP_1) | instskip(NEXT) | instid1(VALU_DEP_1)
	v_sub_f32_e32 v85, v96, v97
	v_add_f32_e32 v84, v84, v85
	s_delay_alu instid0(VALU_DEP_1) | instskip(NEXT) | instid1(VALU_DEP_1)
	v_add_f32_e32 v84, v100, v84
	v_cndmask_b32_e64 v84, v84, v87, s19
	s_delay_alu instid0(VALU_DEP_1)
	v_add_f32_e32 v84, v83, v84
.LBB501_278:
	s_or_b32 exec_lo, exec_lo, s20
	s_delay_alu instid0(VALU_DEP_1) | instskip(SKIP_1) | instid1(VALU_DEP_2)
	v_bfe_u32 v83, v84, 16, 1
	v_cmp_o_f32_e64 s19, v84, v84
	v_add3_u32 v83, v84, v83, 0x7fff
	s_delay_alu instid0(VALU_DEP_1) | instskip(NEXT) | instid1(VALU_DEP_1)
	v_and_b32_e32 v83, 0xffff0000, v83
	v_cndmask_b32_e64 v85, 0x7fc00000, v83, s19
	s_delay_alu instid0(VALU_DEP_1) | instskip(SKIP_2) | instid1(VALU_DEP_2)
	v_max_f32_e32 v84, v85, v85
	v_lshlrev_b32_e32 v28, 16, v28
	v_cmp_u_f32_e64 s19, v85, v85
	v_max_f32_e32 v83, v28, v28
	s_delay_alu instid0(VALU_DEP_1) | instskip(SKIP_1) | instid1(VALU_DEP_2)
	v_min_f32_e32 v87, v84, v83
	v_max_f32_e32 v84, v84, v83
	v_cndmask_b32_e64 v87, v87, v85, s19
	s_delay_alu instid0(VALU_DEP_2) | instskip(SKIP_1) | instid1(VALU_DEP_1)
	v_cndmask_b32_e64 v84, v84, v85, s19
	v_cmp_u_f32_e64 s19, v28, v28
	v_cndmask_b32_e64 v87, v87, v28, s19
	s_delay_alu instid0(VALU_DEP_3) | instskip(NEXT) | instid1(VALU_DEP_2)
	v_cndmask_b32_e64 v84, v84, v28, s19
	v_cmp_class_f32_e64 s21, v87, 0x1f8
	s_delay_alu instid0(VALU_DEP_2) | instskip(NEXT) | instid1(VALU_DEP_1)
	v_cmp_neq_f32_e64 s20, v87, v84
	s_or_b32 s20, s20, s21
	s_delay_alu instid0(SALU_CYCLE_1)
	s_and_saveexec_b32 s21, s20
	s_cbranch_execz .LBB501_280
; %bb.279:
	v_sub_f32_e32 v85, v87, v84
	s_delay_alu instid0(VALU_DEP_1) | instskip(SKIP_1) | instid1(VALU_DEP_2)
	v_mul_f32_e32 v87, 0x3fb8aa3b, v85
	v_cmp_ngt_f32_e64 s20, 0xc2ce8ed0, v85
	v_fma_f32 v96, 0x3fb8aa3b, v85, -v87
	v_rndne_f32_e32 v97, v87
	s_delay_alu instid0(VALU_DEP_1) | instskip(NEXT) | instid1(VALU_DEP_1)
	v_dual_fmamk_f32 v96, v85, 0x32a5705f, v96 :: v_dual_sub_f32 v87, v87, v97
	v_add_f32_e32 v87, v87, v96
	v_cvt_i32_f32_e32 v96, v97
	s_delay_alu instid0(VALU_DEP_2) | instskip(SKIP_2) | instid1(VALU_DEP_1)
	v_exp_f32_e32 v87, v87
	s_waitcnt_depctr 0xfff
	v_ldexp_f32 v87, v87, v96
	v_cndmask_b32_e64 v87, 0, v87, s20
	v_cmp_nlt_f32_e64 s20, 0x42b17218, v85
	s_delay_alu instid0(VALU_DEP_1) | instskip(NEXT) | instid1(VALU_DEP_1)
	v_cndmask_b32_e64 v85, 0x7f800000, v87, s20
	v_add_f32_e32 v87, 1.0, v85
	v_cmp_gt_f32_e64 s24, 0x33800000, |v85|
	s_delay_alu instid0(VALU_DEP_2) | instskip(NEXT) | instid1(VALU_DEP_1)
	v_cvt_f64_f32_e32 v[96:97], v87
	v_frexp_exp_i32_f64_e32 v96, v[96:97]
	v_frexp_mant_f32_e32 v97, v87
	s_delay_alu instid0(VALU_DEP_1) | instskip(SKIP_1) | instid1(VALU_DEP_1)
	v_cmp_gt_f32_e64 s20, 0x3f2aaaab, v97
	v_add_f32_e32 v97, -1.0, v87
	v_sub_f32_e32 v99, v97, v87
	s_delay_alu instid0(VALU_DEP_1) | instskip(NEXT) | instid1(VALU_DEP_4)
	v_add_f32_e32 v99, 1.0, v99
	v_subrev_co_ci_u32_e64 v96, s20, 0, v96, s20
	s_mov_b32 s20, 0x3e9b6dac
	s_delay_alu instid0(VALU_DEP_1) | instskip(SKIP_1) | instid1(VALU_DEP_2)
	v_sub_nc_u32_e32 v98, 0, v96
	v_cvt_f32_i32_e32 v96, v96
	v_ldexp_f32 v87, v87, v98
	s_delay_alu instid0(VALU_DEP_1) | instskip(NEXT) | instid1(VALU_DEP_1)
	v_dual_sub_f32 v97, v85, v97 :: v_dual_add_f32 v100, 1.0, v87
	v_add_f32_e32 v97, v97, v99
	s_delay_alu instid0(VALU_DEP_1) | instskip(NEXT) | instid1(VALU_DEP_3)
	v_ldexp_f32 v97, v97, v98
	v_dual_add_f32 v98, -1.0, v87 :: v_dual_add_f32 v99, -1.0, v100
	s_delay_alu instid0(VALU_DEP_1) | instskip(NEXT) | instid1(VALU_DEP_2)
	v_add_f32_e32 v101, 1.0, v98
	v_sub_f32_e32 v99, v87, v99
	s_delay_alu instid0(VALU_DEP_2) | instskip(NEXT) | instid1(VALU_DEP_2)
	v_sub_f32_e32 v87, v87, v101
	v_add_f32_e32 v99, v97, v99
	s_delay_alu instid0(VALU_DEP_2) | instskip(NEXT) | instid1(VALU_DEP_2)
	v_add_f32_e32 v87, v97, v87
	v_add_f32_e32 v101, v100, v99
	s_delay_alu instid0(VALU_DEP_2) | instskip(NEXT) | instid1(VALU_DEP_2)
	v_add_f32_e32 v102, v98, v87
	v_rcp_f32_e32 v97, v101
	v_sub_f32_e32 v100, v100, v101
	s_delay_alu instid0(VALU_DEP_1) | instskip(NEXT) | instid1(VALU_DEP_1)
	v_dual_sub_f32 v98, v98, v102 :: v_dual_add_f32 v99, v99, v100
	v_add_f32_e32 v87, v87, v98
	s_waitcnt_depctr 0xfff
	v_mul_f32_e32 v103, v102, v97
	s_delay_alu instid0(VALU_DEP_1) | instskip(NEXT) | instid1(VALU_DEP_1)
	v_mul_f32_e32 v112, v101, v103
	v_fma_f32 v100, v103, v101, -v112
	s_delay_alu instid0(VALU_DEP_1) | instskip(NEXT) | instid1(VALU_DEP_1)
	v_fmac_f32_e32 v100, v103, v99
	v_add_f32_e32 v113, v112, v100
	s_delay_alu instid0(VALU_DEP_1) | instskip(SKIP_1) | instid1(VALU_DEP_2)
	v_sub_f32_e32 v114, v102, v113
	v_sub_f32_e32 v98, v113, v112
	;; [unrolled: 1-line block ×3, first 2 shown]
	s_delay_alu instid0(VALU_DEP_2) | instskip(NEXT) | instid1(VALU_DEP_2)
	v_sub_f32_e32 v98, v98, v100
	v_sub_f32_e32 v102, v102, v113
	s_delay_alu instid0(VALU_DEP_1) | instskip(NEXT) | instid1(VALU_DEP_1)
	v_add_f32_e32 v87, v87, v102
	v_add_f32_e32 v87, v98, v87
	s_delay_alu instid0(VALU_DEP_1) | instskip(NEXT) | instid1(VALU_DEP_1)
	v_add_f32_e32 v98, v114, v87
	v_mul_f32_e32 v100, v97, v98
	s_delay_alu instid0(VALU_DEP_1) | instskip(NEXT) | instid1(VALU_DEP_1)
	v_dual_sub_f32 v113, v114, v98 :: v_dual_mul_f32 v102, v101, v100
	v_add_f32_e32 v87, v87, v113
	s_delay_alu instid0(VALU_DEP_2) | instskip(NEXT) | instid1(VALU_DEP_1)
	v_fma_f32 v101, v100, v101, -v102
	v_fmac_f32_e32 v101, v100, v99
	s_delay_alu instid0(VALU_DEP_1) | instskip(NEXT) | instid1(VALU_DEP_1)
	v_add_f32_e32 v99, v102, v101
	v_sub_f32_e32 v112, v98, v99
	v_sub_f32_e32 v102, v99, v102
	s_delay_alu instid0(VALU_DEP_2) | instskip(NEXT) | instid1(VALU_DEP_1)
	v_sub_f32_e32 v98, v98, v112
	v_sub_f32_e32 v98, v98, v99
	s_delay_alu instid0(VALU_DEP_3) | instskip(NEXT) | instid1(VALU_DEP_2)
	v_sub_f32_e32 v99, v102, v101
	v_add_f32_e32 v87, v87, v98
	v_add_f32_e32 v98, v103, v100
	s_delay_alu instid0(VALU_DEP_2) | instskip(NEXT) | instid1(VALU_DEP_2)
	v_add_f32_e32 v87, v99, v87
	v_sub_f32_e32 v99, v98, v103
	s_delay_alu instid0(VALU_DEP_2) | instskip(NEXT) | instid1(VALU_DEP_2)
	v_add_f32_e32 v87, v112, v87
	v_sub_f32_e32 v99, v100, v99
	s_delay_alu instid0(VALU_DEP_2) | instskip(NEXT) | instid1(VALU_DEP_1)
	v_mul_f32_e32 v87, v97, v87
	v_add_f32_e32 v87, v99, v87
	s_delay_alu instid0(VALU_DEP_1) | instskip(NEXT) | instid1(VALU_DEP_1)
	v_add_f32_e32 v97, v98, v87
	v_mul_f32_e32 v99, v97, v97
	s_delay_alu instid0(VALU_DEP_1) | instskip(SKIP_2) | instid1(VALU_DEP_3)
	v_fmaak_f32 v100, s20, v99, 0x3ecc95a3
	v_mul_f32_e32 v101, v97, v99
	v_cmp_eq_f32_e64 s20, 0x7f800000, v85
	v_fmaak_f32 v99, v99, v100, 0x3f2aaada
	v_ldexp_f32 v100, v97, 1
	v_sub_f32_e32 v97, v97, v98
	s_delay_alu instid0(VALU_DEP_4) | instskip(NEXT) | instid1(VALU_DEP_3)
	s_or_b32 s20, s20, s24
	v_mul_f32_e32 v99, v101, v99
	v_mul_f32_e32 v101, 0x3f317218, v96
	s_delay_alu instid0(VALU_DEP_2) | instskip(NEXT) | instid1(VALU_DEP_1)
	v_dual_sub_f32 v87, v87, v97 :: v_dual_add_f32 v98, v100, v99
	v_ldexp_f32 v87, v87, 1
	s_delay_alu instid0(VALU_DEP_2) | instskip(NEXT) | instid1(VALU_DEP_4)
	v_sub_f32_e32 v97, v98, v100
	v_fma_f32 v100, 0x3f317218, v96, -v101
	s_delay_alu instid0(VALU_DEP_1) | instskip(NEXT) | instid1(VALU_DEP_1)
	v_dual_sub_f32 v97, v99, v97 :: v_dual_fmamk_f32 v96, v96, 0xb102e308, v100
	v_add_f32_e32 v87, v87, v97
	s_delay_alu instid0(VALU_DEP_2) | instskip(NEXT) | instid1(VALU_DEP_2)
	v_add_f32_e32 v97, v101, v96
	v_add_f32_e32 v99, v98, v87
	s_delay_alu instid0(VALU_DEP_2) | instskip(NEXT) | instid1(VALU_DEP_2)
	v_sub_f32_e32 v101, v97, v101
	v_add_f32_e32 v100, v97, v99
	v_sub_f32_e32 v98, v99, v98
	s_delay_alu instid0(VALU_DEP_3) | instskip(NEXT) | instid1(VALU_DEP_2)
	v_sub_f32_e32 v96, v96, v101
	v_dual_sub_f32 v102, v100, v97 :: v_dual_sub_f32 v87, v87, v98
	s_delay_alu instid0(VALU_DEP_1) | instskip(NEXT) | instid1(VALU_DEP_2)
	v_sub_f32_e32 v103, v100, v102
	v_dual_sub_f32 v98, v99, v102 :: v_dual_add_f32 v99, v96, v87
	s_delay_alu instid0(VALU_DEP_2) | instskip(NEXT) | instid1(VALU_DEP_1)
	v_sub_f32_e32 v97, v97, v103
	v_dual_add_f32 v97, v98, v97 :: v_dual_sub_f32 v98, v99, v96
	s_delay_alu instid0(VALU_DEP_1) | instskip(NEXT) | instid1(VALU_DEP_2)
	v_add_f32_e32 v97, v99, v97
	v_sub_f32_e32 v99, v99, v98
	v_sub_f32_e32 v87, v87, v98
	s_delay_alu instid0(VALU_DEP_3) | instskip(NEXT) | instid1(VALU_DEP_3)
	v_add_f32_e32 v101, v100, v97
	v_sub_f32_e32 v96, v96, v99
	s_delay_alu instid0(VALU_DEP_2) | instskip(NEXT) | instid1(VALU_DEP_1)
	v_sub_f32_e32 v98, v101, v100
	v_dual_add_f32 v87, v87, v96 :: v_dual_sub_f32 v96, v97, v98
	s_delay_alu instid0(VALU_DEP_1) | instskip(NEXT) | instid1(VALU_DEP_1)
	v_add_f32_e32 v87, v87, v96
	v_add_f32_e32 v87, v101, v87
	s_delay_alu instid0(VALU_DEP_1) | instskip(NEXT) | instid1(VALU_DEP_1)
	v_cndmask_b32_e64 v85, v87, v85, s20
	v_add_f32_e32 v85, v84, v85
.LBB501_280:
	s_or_b32 exec_lo, exec_lo, s21
	s_delay_alu instid0(VALU_DEP_1) | instskip(SKIP_1) | instid1(VALU_DEP_2)
	v_bfe_u32 v84, v85, 16, 1
	v_cmp_o_f32_e64 s20, v85, v85
	v_add3_u32 v84, v85, v84, 0x7fff
	s_delay_alu instid0(VALU_DEP_1) | instskip(NEXT) | instid1(VALU_DEP_1)
	v_and_b32_e32 v84, 0xffff0000, v84
	v_cndmask_b32_e64 v87, 0x7fc00000, v84, s20
	s_delay_alu instid0(VALU_DEP_1) | instskip(SKIP_2) | instid1(VALU_DEP_2)
	v_max_f32_e32 v85, v87, v87
	v_lshlrev_b32_e32 v27, 16, v27
	v_cmp_u_f32_e64 s20, v87, v87
	v_max_f32_e32 v84, v27, v27
	s_delay_alu instid0(VALU_DEP_1) | instskip(SKIP_1) | instid1(VALU_DEP_2)
	v_min_f32_e32 v96, v85, v84
	v_max_f32_e32 v85, v85, v84
	v_cndmask_b32_e64 v96, v96, v87, s20
	s_delay_alu instid0(VALU_DEP_2) | instskip(SKIP_1) | instid1(VALU_DEP_1)
	v_cndmask_b32_e64 v85, v85, v87, s20
	v_cmp_u_f32_e64 s20, v27, v27
	v_cndmask_b32_e64 v96, v96, v27, s20
	s_delay_alu instid0(VALU_DEP_3) | instskip(NEXT) | instid1(VALU_DEP_2)
	v_cndmask_b32_e64 v85, v85, v27, s20
	v_cmp_class_f32_e64 s24, v96, 0x1f8
	s_delay_alu instid0(VALU_DEP_2) | instskip(NEXT) | instid1(VALU_DEP_1)
	v_cmp_neq_f32_e64 s21, v96, v85
	s_or_b32 s21, s21, s24
	s_delay_alu instid0(SALU_CYCLE_1)
	s_and_saveexec_b32 s24, s21
	s_cbranch_execz .LBB501_282
; %bb.281:
	v_sub_f32_e32 v87, v96, v85
	s_delay_alu instid0(VALU_DEP_1) | instskip(SKIP_1) | instid1(VALU_DEP_2)
	v_mul_f32_e32 v96, 0x3fb8aa3b, v87
	v_cmp_ngt_f32_e64 s21, 0xc2ce8ed0, v87
	v_fma_f32 v97, 0x3fb8aa3b, v87, -v96
	v_rndne_f32_e32 v98, v96
	s_delay_alu instid0(VALU_DEP_1) | instskip(NEXT) | instid1(VALU_DEP_1)
	v_dual_fmamk_f32 v97, v87, 0x32a5705f, v97 :: v_dual_sub_f32 v96, v96, v98
	v_add_f32_e32 v96, v96, v97
	v_cvt_i32_f32_e32 v97, v98
	s_delay_alu instid0(VALU_DEP_2) | instskip(SKIP_2) | instid1(VALU_DEP_1)
	v_exp_f32_e32 v96, v96
	s_waitcnt_depctr 0xfff
	v_ldexp_f32 v96, v96, v97
	v_cndmask_b32_e64 v96, 0, v96, s21
	v_cmp_nlt_f32_e64 s21, 0x42b17218, v87
	s_delay_alu instid0(VALU_DEP_1) | instskip(NEXT) | instid1(VALU_DEP_1)
	v_cndmask_b32_e64 v87, 0x7f800000, v96, s21
	v_add_f32_e32 v98, 1.0, v87
	v_cmp_gt_f32_e64 s25, 0x33800000, |v87|
	s_delay_alu instid0(VALU_DEP_2) | instskip(NEXT) | instid1(VALU_DEP_1)
	v_cvt_f64_f32_e32 v[96:97], v98
	v_frexp_exp_i32_f64_e32 v96, v[96:97]
	v_frexp_mant_f32_e32 v97, v98
	s_delay_alu instid0(VALU_DEP_1) | instskip(SKIP_1) | instid1(VALU_DEP_1)
	v_cmp_gt_f32_e64 s21, 0x3f2aaaab, v97
	v_add_f32_e32 v97, -1.0, v98
	v_dual_sub_f32 v100, v97, v98 :: v_dual_sub_f32 v97, v87, v97
	s_delay_alu instid0(VALU_DEP_3) | instskip(SKIP_1) | instid1(VALU_DEP_1)
	v_subrev_co_ci_u32_e64 v96, s21, 0, v96, s21
	s_mov_b32 s21, 0x3e9b6dac
	v_sub_nc_u32_e32 v99, 0, v96
	v_cvt_f32_i32_e32 v96, v96
	s_delay_alu instid0(VALU_DEP_2) | instskip(NEXT) | instid1(VALU_DEP_1)
	v_ldexp_f32 v98, v98, v99
	v_dual_add_f32 v100, 1.0, v100 :: v_dual_add_f32 v101, 1.0, v98
	s_delay_alu instid0(VALU_DEP_1) | instskip(NEXT) | instid1(VALU_DEP_1)
	v_dual_add_f32 v97, v97, v100 :: v_dual_add_f32 v100, -1.0, v101
	v_ldexp_f32 v97, v97, v99
	s_delay_alu instid0(VALU_DEP_2) | instskip(NEXT) | instid1(VALU_DEP_1)
	v_dual_add_f32 v99, -1.0, v98 :: v_dual_sub_f32 v100, v98, v100
	v_add_f32_e32 v102, 1.0, v99
	s_delay_alu instid0(VALU_DEP_2) | instskip(NEXT) | instid1(VALU_DEP_2)
	v_add_f32_e32 v100, v97, v100
	v_sub_f32_e32 v98, v98, v102
	s_delay_alu instid0(VALU_DEP_1) | instskip(NEXT) | instid1(VALU_DEP_1)
	v_add_f32_e32 v97, v97, v98
	v_dual_add_f32 v103, v99, v97 :: v_dual_add_f32 v102, v101, v100
	s_delay_alu instid0(VALU_DEP_1) | instskip(NEXT) | instid1(VALU_DEP_2)
	v_sub_f32_e32 v99, v99, v103
	v_rcp_f32_e32 v98, v102
	v_sub_f32_e32 v101, v101, v102
	s_delay_alu instid0(VALU_DEP_1) | instskip(SKIP_2) | instid1(VALU_DEP_1)
	v_dual_add_f32 v97, v97, v99 :: v_dual_add_f32 v100, v100, v101
	s_waitcnt_depctr 0xfff
	v_mul_f32_e32 v112, v103, v98
	v_mul_f32_e32 v113, v102, v112
	s_delay_alu instid0(VALU_DEP_1) | instskip(NEXT) | instid1(VALU_DEP_1)
	v_fma_f32 v101, v112, v102, -v113
	v_fmac_f32_e32 v101, v112, v100
	s_delay_alu instid0(VALU_DEP_1) | instskip(NEXT) | instid1(VALU_DEP_1)
	v_add_f32_e32 v114, v113, v101
	v_sub_f32_e32 v115, v103, v114
	s_delay_alu instid0(VALU_DEP_1) | instskip(SKIP_1) | instid1(VALU_DEP_2)
	v_sub_f32_e32 v103, v103, v115
	v_sub_f32_e32 v99, v114, v113
	;; [unrolled: 1-line block ×3, first 2 shown]
	s_delay_alu instid0(VALU_DEP_2) | instskip(NEXT) | instid1(VALU_DEP_2)
	v_sub_f32_e32 v99, v99, v101
	v_add_f32_e32 v97, v97, v103
	s_delay_alu instid0(VALU_DEP_1) | instskip(NEXT) | instid1(VALU_DEP_1)
	v_add_f32_e32 v97, v99, v97
	v_add_f32_e32 v99, v115, v97
	s_delay_alu instid0(VALU_DEP_1) | instskip(NEXT) | instid1(VALU_DEP_1)
	v_mul_f32_e32 v101, v98, v99
	v_dual_sub_f32 v114, v115, v99 :: v_dual_mul_f32 v103, v102, v101
	s_delay_alu instid0(VALU_DEP_1) | instskip(NEXT) | instid1(VALU_DEP_2)
	v_add_f32_e32 v97, v97, v114
	v_fma_f32 v102, v101, v102, -v103
	s_delay_alu instid0(VALU_DEP_1) | instskip(NEXT) | instid1(VALU_DEP_1)
	v_fmac_f32_e32 v102, v101, v100
	v_add_f32_e32 v100, v103, v102
	s_delay_alu instid0(VALU_DEP_1) | instskip(SKIP_1) | instid1(VALU_DEP_2)
	v_sub_f32_e32 v113, v99, v100
	v_sub_f32_e32 v103, v100, v103
	;; [unrolled: 1-line block ×3, first 2 shown]
	s_delay_alu instid0(VALU_DEP_1) | instskip(NEXT) | instid1(VALU_DEP_1)
	v_sub_f32_e32 v99, v99, v100
	v_dual_sub_f32 v100, v103, v102 :: v_dual_add_f32 v97, v97, v99
	v_add_f32_e32 v99, v112, v101
	s_delay_alu instid0(VALU_DEP_1) | instskip(NEXT) | instid1(VALU_DEP_1)
	v_dual_add_f32 v97, v100, v97 :: v_dual_sub_f32 v100, v99, v112
	v_add_f32_e32 v97, v113, v97
	s_delay_alu instid0(VALU_DEP_1) | instskip(NEXT) | instid1(VALU_DEP_1)
	v_dual_sub_f32 v100, v101, v100 :: v_dual_mul_f32 v97, v98, v97
	v_add_f32_e32 v97, v100, v97
	s_delay_alu instid0(VALU_DEP_1) | instskip(NEXT) | instid1(VALU_DEP_1)
	v_add_f32_e32 v98, v99, v97
	v_mul_f32_e32 v100, v98, v98
	s_delay_alu instid0(VALU_DEP_1) | instskip(SKIP_2) | instid1(VALU_DEP_3)
	v_fmaak_f32 v101, s21, v100, 0x3ecc95a3
	v_mul_f32_e32 v102, v98, v100
	v_cmp_eq_f32_e64 s21, 0x7f800000, v87
	v_fmaak_f32 v100, v100, v101, 0x3f2aaada
	v_ldexp_f32 v101, v98, 1
	v_sub_f32_e32 v98, v98, v99
	s_delay_alu instid0(VALU_DEP_4) | instskip(NEXT) | instid1(VALU_DEP_3)
	s_or_b32 s21, s21, s25
	v_mul_f32_e32 v100, v102, v100
	s_delay_alu instid0(VALU_DEP_2) | instskip(NEXT) | instid1(VALU_DEP_2)
	v_dual_mul_f32 v102, 0x3f317218, v96 :: v_dual_sub_f32 v97, v97, v98
	v_add_f32_e32 v99, v101, v100
	s_delay_alu instid0(VALU_DEP_2) | instskip(NEXT) | instid1(VALU_DEP_2)
	v_ldexp_f32 v97, v97, 1
	v_sub_f32_e32 v98, v99, v101
	s_delay_alu instid0(VALU_DEP_4) | instskip(NEXT) | instid1(VALU_DEP_2)
	v_fma_f32 v101, 0x3f317218, v96, -v102
	v_sub_f32_e32 v98, v100, v98
	s_delay_alu instid0(VALU_DEP_1) | instskip(NEXT) | instid1(VALU_DEP_1)
	v_dual_fmamk_f32 v96, v96, 0xb102e308, v101 :: v_dual_add_f32 v97, v97, v98
	v_add_f32_e32 v98, v102, v96
	s_delay_alu instid0(VALU_DEP_1) | instskip(NEXT) | instid1(VALU_DEP_1)
	v_sub_f32_e32 v102, v98, v102
	v_sub_f32_e32 v96, v96, v102
	s_delay_alu instid0(VALU_DEP_4) | instskip(NEXT) | instid1(VALU_DEP_1)
	v_add_f32_e32 v100, v99, v97
	v_sub_f32_e32 v99, v100, v99
	s_delay_alu instid0(VALU_DEP_1) | instskip(SKIP_1) | instid1(VALU_DEP_1)
	v_sub_f32_e32 v97, v97, v99
	v_add_f32_e32 v101, v98, v100
	v_sub_f32_e32 v103, v101, v98
	s_delay_alu instid0(VALU_DEP_1) | instskip(NEXT) | instid1(VALU_DEP_4)
	v_sub_f32_e32 v99, v100, v103
	v_add_f32_e32 v100, v96, v97
	v_sub_f32_e32 v112, v101, v103
	s_delay_alu instid0(VALU_DEP_1) | instskip(NEXT) | instid1(VALU_DEP_1)
	v_sub_f32_e32 v98, v98, v112
	v_dual_add_f32 v98, v99, v98 :: v_dual_sub_f32 v99, v100, v96
	s_delay_alu instid0(VALU_DEP_1) | instskip(SKIP_1) | instid1(VALU_DEP_2)
	v_dual_add_f32 v98, v100, v98 :: v_dual_sub_f32 v97, v97, v99
	v_sub_f32_e32 v100, v100, v99
	v_add_f32_e32 v102, v101, v98
	s_delay_alu instid0(VALU_DEP_1) | instskip(NEXT) | instid1(VALU_DEP_1)
	v_dual_sub_f32 v96, v96, v100 :: v_dual_sub_f32 v99, v102, v101
	v_dual_add_f32 v96, v97, v96 :: v_dual_sub_f32 v97, v98, v99
	s_delay_alu instid0(VALU_DEP_1) | instskip(NEXT) | instid1(VALU_DEP_1)
	v_add_f32_e32 v96, v96, v97
	v_add_f32_e32 v96, v102, v96
	s_delay_alu instid0(VALU_DEP_1) | instskip(NEXT) | instid1(VALU_DEP_1)
	v_cndmask_b32_e64 v87, v96, v87, s21
	v_add_f32_e32 v87, v85, v87
.LBB501_282:
	s_or_b32 exec_lo, exec_lo, s24
	s_delay_alu instid0(VALU_DEP_1) | instskip(SKIP_1) | instid1(VALU_DEP_2)
	v_bfe_u32 v85, v87, 16, 1
	v_cmp_o_f32_e64 s21, v87, v87
	v_add3_u32 v85, v87, v85, 0x7fff
	s_delay_alu instid0(VALU_DEP_1) | instskip(NEXT) | instid1(VALU_DEP_1)
	v_and_b32_e32 v85, 0xffff0000, v85
	v_cndmask_b32_e64 v96, 0x7fc00000, v85, s21
	s_delay_alu instid0(VALU_DEP_1) | instskip(NEXT) | instid1(VALU_DEP_1)
	v_dual_max_f32 v87, v96, v96 :: v_dual_lshlrev_b32 v26, 16, v26
	v_max_f32_e32 v85, v26, v26
	v_cmp_u_f32_e64 s21, v96, v96
	s_delay_alu instid0(VALU_DEP_2) | instskip(SKIP_1) | instid1(VALU_DEP_2)
	v_min_f32_e32 v97, v87, v85
	v_max_f32_e32 v87, v87, v85
	v_cndmask_b32_e64 v97, v97, v96, s21
	s_delay_alu instid0(VALU_DEP_2) | instskip(SKIP_1) | instid1(VALU_DEP_1)
	v_cndmask_b32_e64 v87, v87, v96, s21
	v_cmp_u_f32_e64 s21, v26, v26
	v_cndmask_b32_e64 v97, v97, v26, s21
	s_delay_alu instid0(VALU_DEP_3) | instskip(NEXT) | instid1(VALU_DEP_2)
	v_cndmask_b32_e64 v87, v87, v26, s21
	v_cmp_class_f32_e64 s25, v97, 0x1f8
	s_delay_alu instid0(VALU_DEP_2) | instskip(NEXT) | instid1(VALU_DEP_1)
	v_cmp_neq_f32_e64 s24, v97, v87
	s_or_b32 s24, s24, s25
	s_delay_alu instid0(SALU_CYCLE_1)
	s_and_saveexec_b32 s25, s24
	s_cbranch_execz .LBB501_284
; %bb.283:
	v_sub_f32_e32 v96, v97, v87
	s_delay_alu instid0(VALU_DEP_1) | instskip(SKIP_1) | instid1(VALU_DEP_2)
	v_mul_f32_e32 v97, 0x3fb8aa3b, v96
	v_cmp_ngt_f32_e64 s24, 0xc2ce8ed0, v96
	v_fma_f32 v98, 0x3fb8aa3b, v96, -v97
	v_rndne_f32_e32 v99, v97
	s_delay_alu instid0(VALU_DEP_1) | instskip(NEXT) | instid1(VALU_DEP_1)
	v_dual_fmamk_f32 v98, v96, 0x32a5705f, v98 :: v_dual_sub_f32 v97, v97, v99
	v_add_f32_e32 v97, v97, v98
	v_cvt_i32_f32_e32 v98, v99
	s_delay_alu instid0(VALU_DEP_2) | instskip(SKIP_2) | instid1(VALU_DEP_1)
	v_exp_f32_e32 v97, v97
	s_waitcnt_depctr 0xfff
	v_ldexp_f32 v97, v97, v98
	v_cndmask_b32_e64 v97, 0, v97, s24
	v_cmp_nlt_f32_e64 s24, 0x42b17218, v96
	s_delay_alu instid0(VALU_DEP_1) | instskip(NEXT) | instid1(VALU_DEP_1)
	v_cndmask_b32_e64 v98, 0x7f800000, v97, s24
	v_add_f32_e32 v99, 1.0, v98
	v_cmp_gt_f32_e64 s26, 0x33800000, |v98|
	s_delay_alu instid0(VALU_DEP_2) | instskip(NEXT) | instid1(VALU_DEP_1)
	v_cvt_f64_f32_e32 v[96:97], v99
	v_frexp_exp_i32_f64_e32 v96, v[96:97]
	v_frexp_mant_f32_e32 v97, v99
	s_delay_alu instid0(VALU_DEP_1) | instskip(SKIP_1) | instid1(VALU_DEP_1)
	v_cmp_gt_f32_e64 s24, 0x3f2aaaab, v97
	v_add_f32_e32 v97, -1.0, v99
	v_sub_f32_e32 v101, v97, v99
	v_sub_f32_e32 v97, v98, v97
	s_delay_alu instid0(VALU_DEP_4) | instskip(SKIP_1) | instid1(VALU_DEP_1)
	v_subrev_co_ci_u32_e64 v96, s24, 0, v96, s24
	s_mov_b32 s24, 0x3e9b6dac
	v_sub_nc_u32_e32 v100, 0, v96
	v_cvt_f32_i32_e32 v96, v96
	s_delay_alu instid0(VALU_DEP_2) | instskip(NEXT) | instid1(VALU_DEP_1)
	v_ldexp_f32 v99, v99, v100
	v_dual_add_f32 v102, 1.0, v99 :: v_dual_add_f32 v101, 1.0, v101
	s_delay_alu instid0(VALU_DEP_1) | instskip(NEXT) | instid1(VALU_DEP_2)
	v_add_f32_e32 v97, v97, v101
	v_add_f32_e32 v101, -1.0, v102
	s_delay_alu instid0(VALU_DEP_2) | instskip(NEXT) | instid1(VALU_DEP_2)
	v_ldexp_f32 v97, v97, v100
	v_dual_add_f32 v100, -1.0, v99 :: v_dual_sub_f32 v101, v99, v101
	s_delay_alu instid0(VALU_DEP_1) | instskip(NEXT) | instid1(VALU_DEP_2)
	v_add_f32_e32 v103, 1.0, v100
	v_add_f32_e32 v101, v97, v101
	s_delay_alu instid0(VALU_DEP_2) | instskip(NEXT) | instid1(VALU_DEP_2)
	v_sub_f32_e32 v99, v99, v103
	v_add_f32_e32 v103, v102, v101
	s_delay_alu instid0(VALU_DEP_2) | instskip(NEXT) | instid1(VALU_DEP_2)
	v_add_f32_e32 v97, v97, v99
	v_rcp_f32_e32 v99, v103
	v_sub_f32_e32 v102, v102, v103
	s_delay_alu instid0(VALU_DEP_1) | instskip(NEXT) | instid1(VALU_DEP_1)
	v_dual_add_f32 v112, v100, v97 :: v_dual_add_f32 v101, v101, v102
	v_sub_f32_e32 v100, v100, v112
	s_waitcnt_depctr 0xfff
	v_mul_f32_e32 v113, v112, v99
	s_delay_alu instid0(VALU_DEP_1) | instskip(NEXT) | instid1(VALU_DEP_1)
	v_dual_add_f32 v97, v97, v100 :: v_dual_mul_f32 v114, v103, v113
	v_fma_f32 v102, v113, v103, -v114
	s_delay_alu instid0(VALU_DEP_1) | instskip(NEXT) | instid1(VALU_DEP_1)
	v_fmac_f32_e32 v102, v113, v101
	v_add_f32_e32 v115, v114, v102
	s_delay_alu instid0(VALU_DEP_1) | instskip(SKIP_1) | instid1(VALU_DEP_2)
	v_sub_f32_e32 v116, v112, v115
	v_sub_f32_e32 v100, v115, v114
	;; [unrolled: 1-line block ×3, first 2 shown]
	s_delay_alu instid0(VALU_DEP_2) | instskip(NEXT) | instid1(VALU_DEP_2)
	v_sub_f32_e32 v100, v100, v102
	v_sub_f32_e32 v112, v112, v115
	s_delay_alu instid0(VALU_DEP_1) | instskip(NEXT) | instid1(VALU_DEP_1)
	v_add_f32_e32 v97, v97, v112
	v_add_f32_e32 v97, v100, v97
	s_delay_alu instid0(VALU_DEP_1) | instskip(NEXT) | instid1(VALU_DEP_1)
	v_add_f32_e32 v100, v116, v97
	v_mul_f32_e32 v102, v99, v100
	s_delay_alu instid0(VALU_DEP_1) | instskip(NEXT) | instid1(VALU_DEP_1)
	v_dual_sub_f32 v115, v116, v100 :: v_dual_mul_f32 v112, v103, v102
	v_add_f32_e32 v97, v97, v115
	s_delay_alu instid0(VALU_DEP_2) | instskip(NEXT) | instid1(VALU_DEP_1)
	v_fma_f32 v103, v102, v103, -v112
	v_fmac_f32_e32 v103, v102, v101
	s_delay_alu instid0(VALU_DEP_1) | instskip(NEXT) | instid1(VALU_DEP_1)
	v_add_f32_e32 v101, v112, v103
	v_sub_f32_e32 v114, v100, v101
	v_sub_f32_e32 v112, v101, v112
	s_delay_alu instid0(VALU_DEP_2) | instskip(NEXT) | instid1(VALU_DEP_1)
	v_sub_f32_e32 v100, v100, v114
	v_sub_f32_e32 v100, v100, v101
	s_delay_alu instid0(VALU_DEP_3) | instskip(NEXT) | instid1(VALU_DEP_2)
	v_sub_f32_e32 v101, v112, v103
	v_add_f32_e32 v97, v97, v100
	v_add_f32_e32 v100, v113, v102
	s_delay_alu instid0(VALU_DEP_2) | instskip(NEXT) | instid1(VALU_DEP_2)
	v_add_f32_e32 v97, v101, v97
	v_sub_f32_e32 v101, v100, v113
	s_delay_alu instid0(VALU_DEP_2) | instskip(NEXT) | instid1(VALU_DEP_2)
	v_add_f32_e32 v97, v114, v97
	v_sub_f32_e32 v101, v102, v101
	s_delay_alu instid0(VALU_DEP_2) | instskip(NEXT) | instid1(VALU_DEP_1)
	v_mul_f32_e32 v97, v99, v97
	v_add_f32_e32 v97, v101, v97
	s_delay_alu instid0(VALU_DEP_1) | instskip(NEXT) | instid1(VALU_DEP_1)
	v_add_f32_e32 v99, v100, v97
	v_mul_f32_e32 v101, v99, v99
	s_delay_alu instid0(VALU_DEP_1) | instskip(SKIP_2) | instid1(VALU_DEP_3)
	v_fmaak_f32 v102, s24, v101, 0x3ecc95a3
	v_mul_f32_e32 v103, v99, v101
	v_cmp_eq_f32_e64 s24, 0x7f800000, v98
	v_fmaak_f32 v101, v101, v102, 0x3f2aaada
	v_ldexp_f32 v102, v99, 1
	v_sub_f32_e32 v99, v99, v100
	s_delay_alu instid0(VALU_DEP_4) | instskip(NEXT) | instid1(VALU_DEP_3)
	s_or_b32 s24, s24, s26
	v_mul_f32_e32 v101, v103, v101
	v_mul_f32_e32 v103, 0x3f317218, v96
	s_delay_alu instid0(VALU_DEP_2) | instskip(NEXT) | instid1(VALU_DEP_1)
	v_dual_sub_f32 v97, v97, v99 :: v_dual_add_f32 v100, v102, v101
	v_ldexp_f32 v97, v97, 1
	s_delay_alu instid0(VALU_DEP_2) | instskip(NEXT) | instid1(VALU_DEP_4)
	v_sub_f32_e32 v99, v100, v102
	v_fma_f32 v102, 0x3f317218, v96, -v103
	s_delay_alu instid0(VALU_DEP_1) | instskip(NEXT) | instid1(VALU_DEP_1)
	v_dual_sub_f32 v99, v101, v99 :: v_dual_fmamk_f32 v96, v96, 0xb102e308, v102
	v_add_f32_e32 v97, v97, v99
	s_delay_alu instid0(VALU_DEP_2) | instskip(NEXT) | instid1(VALU_DEP_2)
	v_add_f32_e32 v99, v103, v96
	v_add_f32_e32 v101, v100, v97
	s_delay_alu instid0(VALU_DEP_2) | instskip(NEXT) | instid1(VALU_DEP_2)
	v_sub_f32_e32 v103, v99, v103
	v_add_f32_e32 v102, v99, v101
	v_sub_f32_e32 v100, v101, v100
	s_delay_alu instid0(VALU_DEP_3) | instskip(NEXT) | instid1(VALU_DEP_2)
	v_sub_f32_e32 v96, v96, v103
	v_dual_sub_f32 v112, v102, v99 :: v_dual_sub_f32 v97, v97, v100
	s_delay_alu instid0(VALU_DEP_1) | instskip(NEXT) | instid1(VALU_DEP_2)
	v_sub_f32_e32 v113, v102, v112
	v_dual_sub_f32 v100, v101, v112 :: v_dual_add_f32 v101, v96, v97
	s_delay_alu instid0(VALU_DEP_2) | instskip(NEXT) | instid1(VALU_DEP_1)
	v_sub_f32_e32 v99, v99, v113
	v_dual_add_f32 v99, v100, v99 :: v_dual_sub_f32 v100, v101, v96
	s_delay_alu instid0(VALU_DEP_1) | instskip(NEXT) | instid1(VALU_DEP_2)
	v_add_f32_e32 v99, v101, v99
	v_sub_f32_e32 v101, v101, v100
	v_sub_f32_e32 v97, v97, v100
	s_delay_alu instid0(VALU_DEP_2) | instskip(NEXT) | instid1(VALU_DEP_1)
	v_dual_add_f32 v103, v102, v99 :: v_dual_sub_f32 v96, v96, v101
	v_sub_f32_e32 v100, v103, v102
	s_delay_alu instid0(VALU_DEP_2) | instskip(NEXT) | instid1(VALU_DEP_2)
	v_add_f32_e32 v96, v97, v96
	v_sub_f32_e32 v97, v99, v100
	s_delay_alu instid0(VALU_DEP_1) | instskip(NEXT) | instid1(VALU_DEP_1)
	v_add_f32_e32 v96, v96, v97
	v_add_f32_e32 v96, v103, v96
	s_delay_alu instid0(VALU_DEP_1) | instskip(NEXT) | instid1(VALU_DEP_1)
	v_cndmask_b32_e64 v96, v96, v98, s24
	v_add_f32_e32 v96, v87, v96
.LBB501_284:
	s_or_b32 exec_lo, exec_lo, s25
	s_delay_alu instid0(VALU_DEP_1) | instskip(SKIP_3) | instid1(VALU_DEP_3)
	v_bfe_u32 v87, v96, 16, 1
	v_lshrrev_b32_e32 v97, 5, v0
	v_cmp_o_f32_e64 s24, v96, v96
	s_mov_b32 s26, exec_lo
	v_add3_u32 v87, v96, v87, 0x7fff
	s_delay_alu instid0(VALU_DEP_3) | instskip(NEXT) | instid1(VALU_DEP_2)
	v_add_lshl_u32 v97, v97, v0, 1
	v_lshrrev_b32_e32 v87, 16, v87
	s_delay_alu instid0(VALU_DEP_1)
	v_cndmask_b32_e64 v87, 0x7fc0, v87, s24
	ds_store_b16 v97, v87
	s_waitcnt lgkmcnt(0)
	s_barrier
	buffer_gl0_inv
	v_cmpx_gt_u32_e32 32, v0
	s_cbranch_execz .LBB501_312
; %bb.285:
	v_lshrrev_b32_e32 v96, 3, v0
	s_delay_alu instid0(VALU_DEP_1) | instskip(NEXT) | instid1(VALU_DEP_1)
	v_and_b32_e32 v96, 0x7e, v96
	v_lshl_or_b32 v96, v0, 2, v96
	ds_load_u16 v97, v96 offset:2
	ds_load_u16 v98, v96
	s_waitcnt lgkmcnt(1)
	v_lshlrev_b32_e32 v99, 16, v97
	s_waitcnt lgkmcnt(0)
	s_delay_alu instid0(VALU_DEP_1) | instskip(NEXT) | instid1(VALU_DEP_1)
	v_dual_max_f32 v100, v99, v99 :: v_dual_lshlrev_b32 v97, 16, v98
	v_max_f32_e32 v98, v97, v97
	v_cmp_u_f32_e64 s24, v97, v97
	s_delay_alu instid0(VALU_DEP_2) | instskip(SKIP_2) | instid1(VALU_DEP_3)
	v_min_f32_e32 v101, v98, v100
	v_max_f32_e32 v100, v98, v100
	v_cmp_u_f32_e64 s25, v99, v99
	v_cndmask_b32_e64 v101, v101, v97, s24
	s_delay_alu instid0(VALU_DEP_3) | instskip(NEXT) | instid1(VALU_DEP_2)
	v_cndmask_b32_e64 v100, v100, v97, s24
	v_cndmask_b32_e64 v101, v101, v99, s25
	s_delay_alu instid0(VALU_DEP_2) | instskip(SKIP_1) | instid1(VALU_DEP_3)
	v_cndmask_b32_e64 v99, v100, v99, s25
	v_mov_b32_e32 v100, v97
	v_cmp_class_f32_e64 s27, v101, 0x1f8
	s_delay_alu instid0(VALU_DEP_3) | instskip(NEXT) | instid1(VALU_DEP_1)
	v_cmp_neq_f32_e64 s25, v101, v99
	s_or_b32 s25, s25, s27
	s_delay_alu instid0(SALU_CYCLE_1)
	s_and_saveexec_b32 s27, s25
	s_cbranch_execz .LBB501_287
; %bb.286:
	v_sub_f32_e32 v100, v101, v99
	s_delay_alu instid0(VALU_DEP_1) | instskip(SKIP_1) | instid1(VALU_DEP_2)
	v_mul_f32_e32 v101, 0x3fb8aa3b, v100
	v_cmp_ngt_f32_e64 s25, 0xc2ce8ed0, v100
	v_fma_f32 v102, 0x3fb8aa3b, v100, -v101
	v_rndne_f32_e32 v103, v101
	s_delay_alu instid0(VALU_DEP_1) | instskip(NEXT) | instid1(VALU_DEP_1)
	v_dual_fmamk_f32 v102, v100, 0x32a5705f, v102 :: v_dual_sub_f32 v101, v101, v103
	v_add_f32_e32 v101, v101, v102
	v_cvt_i32_f32_e32 v102, v103
	s_delay_alu instid0(VALU_DEP_2) | instskip(SKIP_2) | instid1(VALU_DEP_1)
	v_exp_f32_e32 v101, v101
	s_waitcnt_depctr 0xfff
	v_ldexp_f32 v101, v101, v102
	v_cndmask_b32_e64 v101, 0, v101, s25
	v_cmp_nlt_f32_e64 s25, 0x42b17218, v100
	s_delay_alu instid0(VALU_DEP_1) | instskip(NEXT) | instid1(VALU_DEP_1)
	v_cndmask_b32_e64 v102, 0x7f800000, v101, s25
	v_add_f32_e32 v103, 1.0, v102
	v_cmp_gt_f32_e64 vcc_hi, 0x33800000, |v102|
	s_delay_alu instid0(VALU_DEP_2) | instskip(NEXT) | instid1(VALU_DEP_1)
	v_cvt_f64_f32_e32 v[100:101], v103
	v_frexp_exp_i32_f64_e32 v100, v[100:101]
	v_frexp_mant_f32_e32 v101, v103
	s_delay_alu instid0(VALU_DEP_1) | instskip(SKIP_1) | instid1(VALU_DEP_1)
	v_cmp_gt_f32_e64 s25, 0x3f2aaaab, v101
	v_add_f32_e32 v101, -1.0, v103
	v_sub_f32_e32 v113, v101, v103
	v_sub_f32_e32 v101, v102, v101
	s_delay_alu instid0(VALU_DEP_4) | instskip(SKIP_1) | instid1(VALU_DEP_1)
	v_subrev_co_ci_u32_e64 v100, s25, 0, v100, s25
	s_mov_b32 s25, 0x3e9b6dac
	v_sub_nc_u32_e32 v112, 0, v100
	v_cvt_f32_i32_e32 v100, v100
	s_delay_alu instid0(VALU_DEP_2) | instskip(NEXT) | instid1(VALU_DEP_1)
	v_ldexp_f32 v103, v103, v112
	v_dual_add_f32 v114, 1.0, v103 :: v_dual_add_f32 v113, 1.0, v113
	s_delay_alu instid0(VALU_DEP_1) | instskip(NEXT) | instid1(VALU_DEP_2)
	v_add_f32_e32 v101, v101, v113
	v_add_f32_e32 v113, -1.0, v114
	s_delay_alu instid0(VALU_DEP_2) | instskip(NEXT) | instid1(VALU_DEP_2)
	v_ldexp_f32 v101, v101, v112
	v_dual_add_f32 v112, -1.0, v103 :: v_dual_sub_f32 v113, v103, v113
	s_delay_alu instid0(VALU_DEP_1) | instskip(NEXT) | instid1(VALU_DEP_2)
	v_add_f32_e32 v115, 1.0, v112
	v_add_f32_e32 v113, v101, v113
	s_delay_alu instid0(VALU_DEP_2) | instskip(NEXT) | instid1(VALU_DEP_2)
	v_sub_f32_e32 v103, v103, v115
	v_add_f32_e32 v115, v114, v113
	s_delay_alu instid0(VALU_DEP_2) | instskip(NEXT) | instid1(VALU_DEP_2)
	v_add_f32_e32 v101, v101, v103
	v_rcp_f32_e32 v103, v115
	v_sub_f32_e32 v114, v114, v115
	s_delay_alu instid0(VALU_DEP_1) | instskip(NEXT) | instid1(VALU_DEP_1)
	v_dual_add_f32 v116, v112, v101 :: v_dual_add_f32 v113, v113, v114
	v_sub_f32_e32 v112, v112, v116
	s_waitcnt_depctr 0xfff
	v_mul_f32_e32 v117, v116, v103
	s_delay_alu instid0(VALU_DEP_1) | instskip(NEXT) | instid1(VALU_DEP_1)
	v_dual_add_f32 v101, v101, v112 :: v_dual_mul_f32 v118, v115, v117
	v_fma_f32 v114, v117, v115, -v118
	s_delay_alu instid0(VALU_DEP_1) | instskip(NEXT) | instid1(VALU_DEP_1)
	v_fmac_f32_e32 v114, v117, v113
	v_add_f32_e32 v119, v118, v114
	s_delay_alu instid0(VALU_DEP_1) | instskip(SKIP_1) | instid1(VALU_DEP_2)
	v_sub_f32_e32 v128, v116, v119
	v_sub_f32_e32 v112, v119, v118
	;; [unrolled: 1-line block ×3, first 2 shown]
	s_delay_alu instid0(VALU_DEP_2) | instskip(NEXT) | instid1(VALU_DEP_2)
	v_sub_f32_e32 v112, v112, v114
	v_sub_f32_e32 v116, v116, v119
	s_delay_alu instid0(VALU_DEP_1) | instskip(NEXT) | instid1(VALU_DEP_1)
	v_add_f32_e32 v101, v101, v116
	v_add_f32_e32 v101, v112, v101
	s_delay_alu instid0(VALU_DEP_1) | instskip(NEXT) | instid1(VALU_DEP_1)
	v_add_f32_e32 v112, v128, v101
	v_mul_f32_e32 v114, v103, v112
	s_delay_alu instid0(VALU_DEP_1) | instskip(NEXT) | instid1(VALU_DEP_1)
	v_dual_sub_f32 v119, v128, v112 :: v_dual_mul_f32 v116, v115, v114
	v_add_f32_e32 v101, v101, v119
	s_delay_alu instid0(VALU_DEP_2) | instskip(NEXT) | instid1(VALU_DEP_1)
	v_fma_f32 v115, v114, v115, -v116
	v_fmac_f32_e32 v115, v114, v113
	s_delay_alu instid0(VALU_DEP_1) | instskip(NEXT) | instid1(VALU_DEP_1)
	v_add_f32_e32 v113, v116, v115
	v_sub_f32_e32 v118, v112, v113
	v_sub_f32_e32 v116, v113, v116
	s_delay_alu instid0(VALU_DEP_2) | instskip(NEXT) | instid1(VALU_DEP_1)
	v_sub_f32_e32 v112, v112, v118
	v_sub_f32_e32 v112, v112, v113
	s_delay_alu instid0(VALU_DEP_3) | instskip(NEXT) | instid1(VALU_DEP_2)
	v_sub_f32_e32 v113, v116, v115
	v_add_f32_e32 v101, v101, v112
	v_add_f32_e32 v112, v117, v114
	s_delay_alu instid0(VALU_DEP_2) | instskip(NEXT) | instid1(VALU_DEP_2)
	v_add_f32_e32 v101, v113, v101
	v_sub_f32_e32 v113, v112, v117
	s_delay_alu instid0(VALU_DEP_2) | instskip(NEXT) | instid1(VALU_DEP_2)
	v_add_f32_e32 v101, v118, v101
	v_sub_f32_e32 v113, v114, v113
	s_delay_alu instid0(VALU_DEP_2) | instskip(NEXT) | instid1(VALU_DEP_1)
	v_mul_f32_e32 v101, v103, v101
	v_add_f32_e32 v101, v113, v101
	s_delay_alu instid0(VALU_DEP_1) | instskip(NEXT) | instid1(VALU_DEP_1)
	v_add_f32_e32 v103, v112, v101
	v_mul_f32_e32 v113, v103, v103
	s_delay_alu instid0(VALU_DEP_1) | instskip(SKIP_2) | instid1(VALU_DEP_3)
	v_fmaak_f32 v114, s25, v113, 0x3ecc95a3
	v_mul_f32_e32 v115, v103, v113
	v_cmp_eq_f32_e64 s25, 0x7f800000, v102
	v_fmaak_f32 v113, v113, v114, 0x3f2aaada
	v_ldexp_f32 v114, v103, 1
	v_sub_f32_e32 v103, v103, v112
	s_delay_alu instid0(VALU_DEP_4) | instskip(NEXT) | instid1(VALU_DEP_3)
	s_or_b32 s25, s25, vcc_hi
	v_mul_f32_e32 v113, v115, v113
	v_mul_f32_e32 v115, 0x3f317218, v100
	s_delay_alu instid0(VALU_DEP_2) | instskip(NEXT) | instid1(VALU_DEP_1)
	v_dual_sub_f32 v101, v101, v103 :: v_dual_add_f32 v112, v114, v113
	v_ldexp_f32 v101, v101, 1
	s_delay_alu instid0(VALU_DEP_2) | instskip(NEXT) | instid1(VALU_DEP_4)
	v_sub_f32_e32 v103, v112, v114
	v_fma_f32 v114, 0x3f317218, v100, -v115
	s_delay_alu instid0(VALU_DEP_1) | instskip(NEXT) | instid1(VALU_DEP_1)
	v_dual_sub_f32 v103, v113, v103 :: v_dual_fmamk_f32 v100, v100, 0xb102e308, v114
	v_add_f32_e32 v101, v101, v103
	s_delay_alu instid0(VALU_DEP_2) | instskip(NEXT) | instid1(VALU_DEP_2)
	v_add_f32_e32 v103, v115, v100
	v_add_f32_e32 v113, v112, v101
	s_delay_alu instid0(VALU_DEP_2) | instskip(NEXT) | instid1(VALU_DEP_2)
	v_sub_f32_e32 v115, v103, v115
	v_add_f32_e32 v114, v103, v113
	v_sub_f32_e32 v112, v113, v112
	s_delay_alu instid0(VALU_DEP_3) | instskip(NEXT) | instid1(VALU_DEP_2)
	v_sub_f32_e32 v100, v100, v115
	v_dual_sub_f32 v116, v114, v103 :: v_dual_sub_f32 v101, v101, v112
	s_delay_alu instid0(VALU_DEP_1) | instskip(NEXT) | instid1(VALU_DEP_2)
	v_sub_f32_e32 v117, v114, v116
	v_dual_sub_f32 v112, v113, v116 :: v_dual_add_f32 v113, v100, v101
	s_delay_alu instid0(VALU_DEP_2) | instskip(NEXT) | instid1(VALU_DEP_1)
	v_sub_f32_e32 v103, v103, v117
	v_dual_add_f32 v103, v112, v103 :: v_dual_sub_f32 v112, v113, v100
	s_delay_alu instid0(VALU_DEP_1) | instskip(NEXT) | instid1(VALU_DEP_2)
	v_add_f32_e32 v103, v113, v103
	v_sub_f32_e32 v113, v113, v112
	v_sub_f32_e32 v101, v101, v112
	s_delay_alu instid0(VALU_DEP_2) | instskip(NEXT) | instid1(VALU_DEP_1)
	v_dual_add_f32 v115, v114, v103 :: v_dual_sub_f32 v100, v100, v113
	v_sub_f32_e32 v112, v115, v114
	s_delay_alu instid0(VALU_DEP_2) | instskip(NEXT) | instid1(VALU_DEP_2)
	v_add_f32_e32 v100, v101, v100
	v_sub_f32_e32 v101, v103, v112
	s_delay_alu instid0(VALU_DEP_1) | instskip(NEXT) | instid1(VALU_DEP_1)
	v_add_f32_e32 v100, v100, v101
	v_add_f32_e32 v100, v115, v100
	s_delay_alu instid0(VALU_DEP_1) | instskip(NEXT) | instid1(VALU_DEP_1)
	v_cndmask_b32_e64 v100, v100, v102, s25
	v_add_f32_e32 v100, v99, v100
.LBB501_287:
	s_or_b32 exec_lo, exec_lo, s27
	s_delay_alu instid0(VALU_DEP_1) | instskip(SKIP_2) | instid1(VALU_DEP_2)
	v_bfe_u32 v99, v100, 16, 1
	v_cmp_o_f32_e64 s25, v100, v100
	s_mov_b32 s27, exec_lo
	v_add3_u32 v99, v100, v99, 0x7fff
	s_delay_alu instid0(VALU_DEP_1) | instskip(NEXT) | instid1(VALU_DEP_1)
	v_lshrrev_b32_e32 v99, 16, v99
	v_cndmask_b32_e64 v101, 0x7fc0, v99, s25
	v_mbcnt_lo_u32_b32 v99, -1, 0
	s_delay_alu instid0(VALU_DEP_2) | instskip(NEXT) | instid1(VALU_DEP_2)
	v_and_b32_e32 v102, 0xffff, v101
	v_and_b32_e32 v100, 15, v99
	s_delay_alu instid0(VALU_DEP_2) | instskip(NEXT) | instid1(VALU_DEP_2)
	v_mov_b32_dpp v103, v102 row_shr:1 row_mask:0xf bank_mask:0xf
	v_cmpx_ne_u32_e32 0, v100
	s_cbranch_execz .LBB501_291
; %bb.288:
	v_lshlrev_b32_e32 v101, 16, v102
	s_delay_alu instid0(VALU_DEP_1) | instskip(NEXT) | instid1(VALU_DEP_1)
	v_dual_max_f32 v103, v101, v101 :: v_dual_lshlrev_b32 v102, 16, v103
	v_max_f32_e32 v112, v102, v102
	v_cmp_u_f32_e64 s25, v102, v102
	s_delay_alu instid0(VALU_DEP_2) | instskip(SKIP_1) | instid1(VALU_DEP_2)
	v_min_f32_e32 v113, v112, v103
	v_max_f32_e32 v103, v112, v103
	v_cndmask_b32_e64 v112, v113, v102, s25
	s_delay_alu instid0(VALU_DEP_2) | instskip(SKIP_1) | instid1(VALU_DEP_1)
	v_cndmask_b32_e64 v113, v103, v102, s25
	v_cmp_u_f32_e64 s25, v101, v101
	v_cndmask_b32_e64 v103, v112, v101, s25
	s_delay_alu instid0(VALU_DEP_3) | instskip(NEXT) | instid1(VALU_DEP_2)
	v_cndmask_b32_e64 v101, v113, v101, s25
	v_cmp_class_f32_e64 vcc_hi, v103, 0x1f8
	s_delay_alu instid0(VALU_DEP_2) | instskip(NEXT) | instid1(VALU_DEP_1)
	v_cmp_neq_f32_e64 s25, v103, v101
	s_or_b32 s25, s25, vcc_hi
	s_delay_alu instid0(SALU_CYCLE_1)
	s_and_saveexec_b32 vcc_hi, s25
	s_cbranch_execz .LBB501_290
; %bb.289:
	v_sub_f32_e32 v102, v103, v101
	s_delay_alu instid0(VALU_DEP_1) | instskip(SKIP_1) | instid1(VALU_DEP_2)
	v_mul_f32_e32 v103, 0x3fb8aa3b, v102
	v_cmp_ngt_f32_e64 s25, 0xc2ce8ed0, v102
	v_fma_f32 v112, 0x3fb8aa3b, v102, -v103
	v_rndne_f32_e32 v113, v103
	s_delay_alu instid0(VALU_DEP_1) | instskip(NEXT) | instid1(VALU_DEP_1)
	v_dual_fmamk_f32 v112, v102, 0x32a5705f, v112 :: v_dual_sub_f32 v103, v103, v113
	v_add_f32_e32 v103, v103, v112
	v_cvt_i32_f32_e32 v112, v113
	s_delay_alu instid0(VALU_DEP_2) | instskip(SKIP_2) | instid1(VALU_DEP_1)
	v_exp_f32_e32 v103, v103
	s_waitcnt_depctr 0xfff
	v_ldexp_f32 v103, v103, v112
	v_cndmask_b32_e64 v103, 0, v103, s25
	v_cmp_nlt_f32_e64 s25, 0x42b17218, v102
	s_delay_alu instid0(VALU_DEP_1) | instskip(NEXT) | instid1(VALU_DEP_1)
	v_cndmask_b32_e64 v112, 0x7f800000, v103, s25
	v_add_f32_e32 v113, 1.0, v112
	v_cmp_gt_f32_e64 s30, 0x33800000, |v112|
	s_delay_alu instid0(VALU_DEP_2) | instskip(NEXT) | instid1(VALU_DEP_1)
	v_cvt_f64_f32_e32 v[102:103], v113
	v_frexp_exp_i32_f64_e32 v102, v[102:103]
	v_frexp_mant_f32_e32 v103, v113
	s_delay_alu instid0(VALU_DEP_1) | instskip(SKIP_1) | instid1(VALU_DEP_1)
	v_cmp_gt_f32_e64 s25, 0x3f2aaaab, v103
	v_add_f32_e32 v103, -1.0, v113
	v_sub_f32_e32 v115, v103, v113
	v_sub_f32_e32 v103, v112, v103
	s_delay_alu instid0(VALU_DEP_4) | instskip(SKIP_1) | instid1(VALU_DEP_1)
	v_subrev_co_ci_u32_e64 v102, s25, 0, v102, s25
	s_mov_b32 s25, 0x3e9b6dac
	v_sub_nc_u32_e32 v114, 0, v102
	v_cvt_f32_i32_e32 v102, v102
	s_delay_alu instid0(VALU_DEP_2) | instskip(NEXT) | instid1(VALU_DEP_1)
	v_ldexp_f32 v113, v113, v114
	v_dual_add_f32 v116, 1.0, v113 :: v_dual_add_f32 v115, 1.0, v115
	s_delay_alu instid0(VALU_DEP_1) | instskip(NEXT) | instid1(VALU_DEP_2)
	v_add_f32_e32 v103, v103, v115
	v_add_f32_e32 v115, -1.0, v116
	s_delay_alu instid0(VALU_DEP_2) | instskip(NEXT) | instid1(VALU_DEP_2)
	v_ldexp_f32 v103, v103, v114
	v_dual_add_f32 v114, -1.0, v113 :: v_dual_sub_f32 v115, v113, v115
	s_delay_alu instid0(VALU_DEP_1) | instskip(NEXT) | instid1(VALU_DEP_2)
	v_add_f32_e32 v117, 1.0, v114
	v_add_f32_e32 v115, v103, v115
	s_delay_alu instid0(VALU_DEP_2) | instskip(NEXT) | instid1(VALU_DEP_2)
	v_sub_f32_e32 v113, v113, v117
	v_add_f32_e32 v117, v116, v115
	s_delay_alu instid0(VALU_DEP_2) | instskip(NEXT) | instid1(VALU_DEP_2)
	v_add_f32_e32 v103, v103, v113
	v_rcp_f32_e32 v113, v117
	v_sub_f32_e32 v116, v116, v117
	s_delay_alu instid0(VALU_DEP_1) | instskip(NEXT) | instid1(VALU_DEP_1)
	v_dual_add_f32 v118, v114, v103 :: v_dual_add_f32 v115, v115, v116
	v_sub_f32_e32 v114, v114, v118
	s_waitcnt_depctr 0xfff
	v_mul_f32_e32 v119, v118, v113
	s_delay_alu instid0(VALU_DEP_1) | instskip(NEXT) | instid1(VALU_DEP_1)
	v_dual_add_f32 v103, v103, v114 :: v_dual_mul_f32 v128, v117, v119
	v_fma_f32 v116, v119, v117, -v128
	s_delay_alu instid0(VALU_DEP_1) | instskip(NEXT) | instid1(VALU_DEP_1)
	v_fmac_f32_e32 v116, v119, v115
	v_add_f32_e32 v129, v128, v116
	s_delay_alu instid0(VALU_DEP_1) | instskip(SKIP_1) | instid1(VALU_DEP_2)
	v_sub_f32_e32 v130, v118, v129
	v_sub_f32_e32 v114, v129, v128
	;; [unrolled: 1-line block ×3, first 2 shown]
	s_delay_alu instid0(VALU_DEP_2) | instskip(NEXT) | instid1(VALU_DEP_2)
	v_sub_f32_e32 v114, v114, v116
	v_sub_f32_e32 v118, v118, v129
	s_delay_alu instid0(VALU_DEP_1) | instskip(NEXT) | instid1(VALU_DEP_1)
	v_add_f32_e32 v103, v103, v118
	v_add_f32_e32 v103, v114, v103
	s_delay_alu instid0(VALU_DEP_1) | instskip(NEXT) | instid1(VALU_DEP_1)
	v_add_f32_e32 v114, v130, v103
	v_mul_f32_e32 v116, v113, v114
	s_delay_alu instid0(VALU_DEP_1) | instskip(NEXT) | instid1(VALU_DEP_1)
	v_dual_sub_f32 v129, v130, v114 :: v_dual_mul_f32 v118, v117, v116
	v_add_f32_e32 v103, v103, v129
	s_delay_alu instid0(VALU_DEP_2) | instskip(NEXT) | instid1(VALU_DEP_1)
	v_fma_f32 v117, v116, v117, -v118
	v_fmac_f32_e32 v117, v116, v115
	s_delay_alu instid0(VALU_DEP_1) | instskip(NEXT) | instid1(VALU_DEP_1)
	v_add_f32_e32 v115, v118, v117
	v_sub_f32_e32 v128, v114, v115
	v_sub_f32_e32 v118, v115, v118
	s_delay_alu instid0(VALU_DEP_2) | instskip(NEXT) | instid1(VALU_DEP_1)
	v_sub_f32_e32 v114, v114, v128
	v_sub_f32_e32 v114, v114, v115
	s_delay_alu instid0(VALU_DEP_3) | instskip(NEXT) | instid1(VALU_DEP_2)
	v_sub_f32_e32 v115, v118, v117
	v_add_f32_e32 v103, v103, v114
	v_add_f32_e32 v114, v119, v116
	s_delay_alu instid0(VALU_DEP_2) | instskip(NEXT) | instid1(VALU_DEP_2)
	v_add_f32_e32 v103, v115, v103
	v_sub_f32_e32 v115, v114, v119
	s_delay_alu instid0(VALU_DEP_2) | instskip(NEXT) | instid1(VALU_DEP_2)
	v_add_f32_e32 v103, v128, v103
	v_sub_f32_e32 v115, v116, v115
	s_delay_alu instid0(VALU_DEP_2) | instskip(NEXT) | instid1(VALU_DEP_1)
	v_mul_f32_e32 v103, v113, v103
	v_add_f32_e32 v103, v115, v103
	s_delay_alu instid0(VALU_DEP_1) | instskip(NEXT) | instid1(VALU_DEP_1)
	v_add_f32_e32 v113, v114, v103
	v_mul_f32_e32 v115, v113, v113
	s_delay_alu instid0(VALU_DEP_1) | instskip(SKIP_2) | instid1(VALU_DEP_3)
	v_fmaak_f32 v116, s25, v115, 0x3ecc95a3
	v_mul_f32_e32 v117, v113, v115
	v_cmp_eq_f32_e64 s25, 0x7f800000, v112
	v_fmaak_f32 v115, v115, v116, 0x3f2aaada
	v_ldexp_f32 v116, v113, 1
	v_sub_f32_e32 v113, v113, v114
	s_delay_alu instid0(VALU_DEP_4) | instskip(NEXT) | instid1(VALU_DEP_3)
	s_or_b32 s25, s25, s30
	v_mul_f32_e32 v115, v117, v115
	v_mul_f32_e32 v117, 0x3f317218, v102
	s_delay_alu instid0(VALU_DEP_2) | instskip(NEXT) | instid1(VALU_DEP_1)
	v_dual_sub_f32 v103, v103, v113 :: v_dual_add_f32 v114, v116, v115
	v_ldexp_f32 v103, v103, 1
	s_delay_alu instid0(VALU_DEP_2) | instskip(NEXT) | instid1(VALU_DEP_4)
	v_sub_f32_e32 v113, v114, v116
	v_fma_f32 v116, 0x3f317218, v102, -v117
	s_delay_alu instid0(VALU_DEP_1) | instskip(NEXT) | instid1(VALU_DEP_1)
	v_dual_sub_f32 v113, v115, v113 :: v_dual_fmamk_f32 v102, v102, 0xb102e308, v116
	v_add_f32_e32 v103, v103, v113
	s_delay_alu instid0(VALU_DEP_2) | instskip(NEXT) | instid1(VALU_DEP_2)
	v_add_f32_e32 v113, v117, v102
	v_add_f32_e32 v115, v114, v103
	s_delay_alu instid0(VALU_DEP_2) | instskip(NEXT) | instid1(VALU_DEP_2)
	v_sub_f32_e32 v117, v113, v117
	v_add_f32_e32 v116, v113, v115
	v_sub_f32_e32 v114, v115, v114
	s_delay_alu instid0(VALU_DEP_3) | instskip(NEXT) | instid1(VALU_DEP_2)
	v_sub_f32_e32 v102, v102, v117
	v_dual_sub_f32 v118, v116, v113 :: v_dual_sub_f32 v103, v103, v114
	s_delay_alu instid0(VALU_DEP_1) | instskip(NEXT) | instid1(VALU_DEP_2)
	v_sub_f32_e32 v119, v116, v118
	v_dual_sub_f32 v114, v115, v118 :: v_dual_add_f32 v115, v102, v103
	s_delay_alu instid0(VALU_DEP_2) | instskip(NEXT) | instid1(VALU_DEP_1)
	v_sub_f32_e32 v113, v113, v119
	v_dual_add_f32 v113, v114, v113 :: v_dual_sub_f32 v114, v115, v102
	s_delay_alu instid0(VALU_DEP_1) | instskip(NEXT) | instid1(VALU_DEP_2)
	v_add_f32_e32 v113, v115, v113
	v_sub_f32_e32 v115, v115, v114
	v_sub_f32_e32 v103, v103, v114
	s_delay_alu instid0(VALU_DEP_2) | instskip(NEXT) | instid1(VALU_DEP_1)
	v_dual_add_f32 v117, v116, v113 :: v_dual_sub_f32 v102, v102, v115
	v_sub_f32_e32 v114, v117, v116
	s_delay_alu instid0(VALU_DEP_2) | instskip(NEXT) | instid1(VALU_DEP_2)
	v_add_f32_e32 v102, v103, v102
	v_sub_f32_e32 v103, v113, v114
	s_delay_alu instid0(VALU_DEP_1) | instskip(NEXT) | instid1(VALU_DEP_1)
	v_add_f32_e32 v102, v102, v103
	v_add_f32_e32 v102, v117, v102
	s_delay_alu instid0(VALU_DEP_1) | instskip(NEXT) | instid1(VALU_DEP_1)
	v_cndmask_b32_e64 v102, v102, v112, s25
	v_add_f32_e32 v102, v101, v102
.LBB501_290:
	s_or_b32 exec_lo, exec_lo, vcc_hi
	s_delay_alu instid0(VALU_DEP_1) | instskip(SKIP_1) | instid1(VALU_DEP_2)
	v_bfe_u32 v101, v102, 16, 1
	v_cmp_o_f32_e64 s25, v102, v102
	v_add3_u32 v101, v102, v101, 0x7fff
	s_delay_alu instid0(VALU_DEP_1) | instskip(NEXT) | instid1(VALU_DEP_1)
	v_lshrrev_b32_e32 v101, 16, v101
	v_cndmask_b32_e64 v101, 0x7fc0, v101, s25
	s_delay_alu instid0(VALU_DEP_1)
	v_and_b32_e32 v102, 0xffff, v101
.LBB501_291:
	s_or_b32 exec_lo, exec_lo, s27
	s_delay_alu instid0(VALU_DEP_1)
	v_mov_b32_dpp v103, v102 row_shr:2 row_mask:0xf bank_mask:0xf
	s_mov_b32 s27, exec_lo
	v_cmpx_lt_u32_e32 1, v100
	s_cbranch_execz .LBB501_295
; %bb.292:
	v_lshlrev_b32_e32 v101, 16, v102
	s_delay_alu instid0(VALU_DEP_1) | instskip(NEXT) | instid1(VALU_DEP_1)
	v_dual_max_f32 v103, v101, v101 :: v_dual_lshlrev_b32 v102, 16, v103
	v_max_f32_e32 v112, v102, v102
	v_cmp_u_f32_e64 s25, v102, v102
	s_delay_alu instid0(VALU_DEP_2) | instskip(SKIP_1) | instid1(VALU_DEP_2)
	v_min_f32_e32 v113, v112, v103
	v_max_f32_e32 v103, v112, v103
	v_cndmask_b32_e64 v112, v113, v102, s25
	s_delay_alu instid0(VALU_DEP_2) | instskip(SKIP_1) | instid1(VALU_DEP_1)
	v_cndmask_b32_e64 v113, v103, v102, s25
	v_cmp_u_f32_e64 s25, v101, v101
	v_cndmask_b32_e64 v103, v112, v101, s25
	s_delay_alu instid0(VALU_DEP_3) | instskip(NEXT) | instid1(VALU_DEP_2)
	v_cndmask_b32_e64 v101, v113, v101, s25
	v_cmp_class_f32_e64 vcc_hi, v103, 0x1f8
	s_delay_alu instid0(VALU_DEP_2) | instskip(NEXT) | instid1(VALU_DEP_1)
	v_cmp_neq_f32_e64 s25, v103, v101
	s_or_b32 s25, s25, vcc_hi
	s_delay_alu instid0(SALU_CYCLE_1)
	s_and_saveexec_b32 vcc_hi, s25
	s_cbranch_execz .LBB501_294
; %bb.293:
	v_sub_f32_e32 v102, v103, v101
	s_delay_alu instid0(VALU_DEP_1) | instskip(SKIP_1) | instid1(VALU_DEP_2)
	v_mul_f32_e32 v103, 0x3fb8aa3b, v102
	v_cmp_ngt_f32_e64 s25, 0xc2ce8ed0, v102
	v_fma_f32 v112, 0x3fb8aa3b, v102, -v103
	v_rndne_f32_e32 v113, v103
	s_delay_alu instid0(VALU_DEP_1) | instskip(NEXT) | instid1(VALU_DEP_1)
	v_dual_fmamk_f32 v112, v102, 0x32a5705f, v112 :: v_dual_sub_f32 v103, v103, v113
	v_add_f32_e32 v103, v103, v112
	v_cvt_i32_f32_e32 v112, v113
	s_delay_alu instid0(VALU_DEP_2) | instskip(SKIP_2) | instid1(VALU_DEP_1)
	v_exp_f32_e32 v103, v103
	s_waitcnt_depctr 0xfff
	v_ldexp_f32 v103, v103, v112
	v_cndmask_b32_e64 v103, 0, v103, s25
	v_cmp_nlt_f32_e64 s25, 0x42b17218, v102
	s_delay_alu instid0(VALU_DEP_1) | instskip(NEXT) | instid1(VALU_DEP_1)
	v_cndmask_b32_e64 v112, 0x7f800000, v103, s25
	v_add_f32_e32 v113, 1.0, v112
	v_cmp_gt_f32_e64 s30, 0x33800000, |v112|
	s_delay_alu instid0(VALU_DEP_2) | instskip(NEXT) | instid1(VALU_DEP_1)
	v_cvt_f64_f32_e32 v[102:103], v113
	v_frexp_exp_i32_f64_e32 v102, v[102:103]
	v_frexp_mant_f32_e32 v103, v113
	s_delay_alu instid0(VALU_DEP_1) | instskip(SKIP_1) | instid1(VALU_DEP_1)
	v_cmp_gt_f32_e64 s25, 0x3f2aaaab, v103
	v_add_f32_e32 v103, -1.0, v113
	v_sub_f32_e32 v115, v103, v113
	v_sub_f32_e32 v103, v112, v103
	s_delay_alu instid0(VALU_DEP_4) | instskip(SKIP_1) | instid1(VALU_DEP_1)
	v_subrev_co_ci_u32_e64 v102, s25, 0, v102, s25
	s_mov_b32 s25, 0x3e9b6dac
	v_sub_nc_u32_e32 v114, 0, v102
	v_cvt_f32_i32_e32 v102, v102
	s_delay_alu instid0(VALU_DEP_2) | instskip(NEXT) | instid1(VALU_DEP_1)
	v_ldexp_f32 v113, v113, v114
	v_dual_add_f32 v116, 1.0, v113 :: v_dual_add_f32 v115, 1.0, v115
	s_delay_alu instid0(VALU_DEP_1) | instskip(NEXT) | instid1(VALU_DEP_2)
	v_add_f32_e32 v103, v103, v115
	v_add_f32_e32 v115, -1.0, v116
	s_delay_alu instid0(VALU_DEP_2) | instskip(NEXT) | instid1(VALU_DEP_2)
	v_ldexp_f32 v103, v103, v114
	v_dual_add_f32 v114, -1.0, v113 :: v_dual_sub_f32 v115, v113, v115
	s_delay_alu instid0(VALU_DEP_1) | instskip(NEXT) | instid1(VALU_DEP_2)
	v_add_f32_e32 v117, 1.0, v114
	v_add_f32_e32 v115, v103, v115
	s_delay_alu instid0(VALU_DEP_2) | instskip(NEXT) | instid1(VALU_DEP_2)
	v_sub_f32_e32 v113, v113, v117
	v_add_f32_e32 v117, v116, v115
	s_delay_alu instid0(VALU_DEP_2) | instskip(NEXT) | instid1(VALU_DEP_2)
	v_add_f32_e32 v103, v103, v113
	v_rcp_f32_e32 v113, v117
	v_sub_f32_e32 v116, v116, v117
	s_delay_alu instid0(VALU_DEP_1) | instskip(NEXT) | instid1(VALU_DEP_1)
	v_dual_add_f32 v118, v114, v103 :: v_dual_add_f32 v115, v115, v116
	v_sub_f32_e32 v114, v114, v118
	s_waitcnt_depctr 0xfff
	v_mul_f32_e32 v119, v118, v113
	s_delay_alu instid0(VALU_DEP_1) | instskip(NEXT) | instid1(VALU_DEP_1)
	v_dual_add_f32 v103, v103, v114 :: v_dual_mul_f32 v128, v117, v119
	v_fma_f32 v116, v119, v117, -v128
	s_delay_alu instid0(VALU_DEP_1) | instskip(NEXT) | instid1(VALU_DEP_1)
	v_fmac_f32_e32 v116, v119, v115
	v_add_f32_e32 v129, v128, v116
	s_delay_alu instid0(VALU_DEP_1) | instskip(SKIP_1) | instid1(VALU_DEP_2)
	v_sub_f32_e32 v130, v118, v129
	v_sub_f32_e32 v114, v129, v128
	;; [unrolled: 1-line block ×3, first 2 shown]
	s_delay_alu instid0(VALU_DEP_2) | instskip(NEXT) | instid1(VALU_DEP_2)
	v_sub_f32_e32 v114, v114, v116
	v_sub_f32_e32 v118, v118, v129
	s_delay_alu instid0(VALU_DEP_1) | instskip(NEXT) | instid1(VALU_DEP_1)
	v_add_f32_e32 v103, v103, v118
	v_add_f32_e32 v103, v114, v103
	s_delay_alu instid0(VALU_DEP_1) | instskip(NEXT) | instid1(VALU_DEP_1)
	v_add_f32_e32 v114, v130, v103
	v_mul_f32_e32 v116, v113, v114
	s_delay_alu instid0(VALU_DEP_1) | instskip(NEXT) | instid1(VALU_DEP_1)
	v_dual_sub_f32 v129, v130, v114 :: v_dual_mul_f32 v118, v117, v116
	v_add_f32_e32 v103, v103, v129
	s_delay_alu instid0(VALU_DEP_2) | instskip(NEXT) | instid1(VALU_DEP_1)
	v_fma_f32 v117, v116, v117, -v118
	v_fmac_f32_e32 v117, v116, v115
	s_delay_alu instid0(VALU_DEP_1) | instskip(NEXT) | instid1(VALU_DEP_1)
	v_add_f32_e32 v115, v118, v117
	v_sub_f32_e32 v128, v114, v115
	v_sub_f32_e32 v118, v115, v118
	s_delay_alu instid0(VALU_DEP_2) | instskip(NEXT) | instid1(VALU_DEP_1)
	v_sub_f32_e32 v114, v114, v128
	v_sub_f32_e32 v114, v114, v115
	s_delay_alu instid0(VALU_DEP_3) | instskip(NEXT) | instid1(VALU_DEP_2)
	v_sub_f32_e32 v115, v118, v117
	v_add_f32_e32 v103, v103, v114
	v_add_f32_e32 v114, v119, v116
	s_delay_alu instid0(VALU_DEP_2) | instskip(NEXT) | instid1(VALU_DEP_2)
	v_add_f32_e32 v103, v115, v103
	v_sub_f32_e32 v115, v114, v119
	s_delay_alu instid0(VALU_DEP_2) | instskip(NEXT) | instid1(VALU_DEP_2)
	v_add_f32_e32 v103, v128, v103
	v_sub_f32_e32 v115, v116, v115
	s_delay_alu instid0(VALU_DEP_2) | instskip(NEXT) | instid1(VALU_DEP_1)
	v_mul_f32_e32 v103, v113, v103
	v_add_f32_e32 v103, v115, v103
	s_delay_alu instid0(VALU_DEP_1) | instskip(NEXT) | instid1(VALU_DEP_1)
	v_add_f32_e32 v113, v114, v103
	v_mul_f32_e32 v115, v113, v113
	s_delay_alu instid0(VALU_DEP_1) | instskip(SKIP_2) | instid1(VALU_DEP_3)
	v_fmaak_f32 v116, s25, v115, 0x3ecc95a3
	v_mul_f32_e32 v117, v113, v115
	v_cmp_eq_f32_e64 s25, 0x7f800000, v112
	v_fmaak_f32 v115, v115, v116, 0x3f2aaada
	v_ldexp_f32 v116, v113, 1
	v_sub_f32_e32 v113, v113, v114
	s_delay_alu instid0(VALU_DEP_4) | instskip(NEXT) | instid1(VALU_DEP_3)
	s_or_b32 s25, s25, s30
	v_mul_f32_e32 v115, v117, v115
	v_mul_f32_e32 v117, 0x3f317218, v102
	s_delay_alu instid0(VALU_DEP_2) | instskip(NEXT) | instid1(VALU_DEP_1)
	v_dual_sub_f32 v103, v103, v113 :: v_dual_add_f32 v114, v116, v115
	v_ldexp_f32 v103, v103, 1
	s_delay_alu instid0(VALU_DEP_2) | instskip(NEXT) | instid1(VALU_DEP_4)
	v_sub_f32_e32 v113, v114, v116
	v_fma_f32 v116, 0x3f317218, v102, -v117
	s_delay_alu instid0(VALU_DEP_1) | instskip(NEXT) | instid1(VALU_DEP_1)
	v_dual_sub_f32 v113, v115, v113 :: v_dual_fmamk_f32 v102, v102, 0xb102e308, v116
	v_add_f32_e32 v103, v103, v113
	s_delay_alu instid0(VALU_DEP_2) | instskip(NEXT) | instid1(VALU_DEP_2)
	v_add_f32_e32 v113, v117, v102
	v_add_f32_e32 v115, v114, v103
	s_delay_alu instid0(VALU_DEP_2) | instskip(NEXT) | instid1(VALU_DEP_2)
	v_sub_f32_e32 v117, v113, v117
	v_add_f32_e32 v116, v113, v115
	v_sub_f32_e32 v114, v115, v114
	s_delay_alu instid0(VALU_DEP_3) | instskip(NEXT) | instid1(VALU_DEP_2)
	v_sub_f32_e32 v102, v102, v117
	v_dual_sub_f32 v118, v116, v113 :: v_dual_sub_f32 v103, v103, v114
	s_delay_alu instid0(VALU_DEP_1) | instskip(NEXT) | instid1(VALU_DEP_2)
	v_sub_f32_e32 v119, v116, v118
	v_dual_sub_f32 v114, v115, v118 :: v_dual_add_f32 v115, v102, v103
	s_delay_alu instid0(VALU_DEP_2) | instskip(NEXT) | instid1(VALU_DEP_1)
	v_sub_f32_e32 v113, v113, v119
	v_dual_add_f32 v113, v114, v113 :: v_dual_sub_f32 v114, v115, v102
	s_delay_alu instid0(VALU_DEP_1) | instskip(NEXT) | instid1(VALU_DEP_2)
	v_add_f32_e32 v113, v115, v113
	v_sub_f32_e32 v115, v115, v114
	v_sub_f32_e32 v103, v103, v114
	s_delay_alu instid0(VALU_DEP_2) | instskip(NEXT) | instid1(VALU_DEP_1)
	v_dual_add_f32 v117, v116, v113 :: v_dual_sub_f32 v102, v102, v115
	v_sub_f32_e32 v114, v117, v116
	s_delay_alu instid0(VALU_DEP_2) | instskip(NEXT) | instid1(VALU_DEP_2)
	v_add_f32_e32 v102, v103, v102
	v_sub_f32_e32 v103, v113, v114
	s_delay_alu instid0(VALU_DEP_1) | instskip(NEXT) | instid1(VALU_DEP_1)
	v_add_f32_e32 v102, v102, v103
	v_add_f32_e32 v102, v117, v102
	s_delay_alu instid0(VALU_DEP_1) | instskip(NEXT) | instid1(VALU_DEP_1)
	v_cndmask_b32_e64 v102, v102, v112, s25
	v_add_f32_e32 v102, v101, v102
.LBB501_294:
	s_or_b32 exec_lo, exec_lo, vcc_hi
	s_delay_alu instid0(VALU_DEP_1) | instskip(SKIP_1) | instid1(VALU_DEP_2)
	v_bfe_u32 v101, v102, 16, 1
	v_cmp_o_f32_e64 s25, v102, v102
	v_add3_u32 v101, v102, v101, 0x7fff
	s_delay_alu instid0(VALU_DEP_1) | instskip(NEXT) | instid1(VALU_DEP_1)
	v_lshrrev_b32_e32 v101, 16, v101
	v_cndmask_b32_e64 v101, 0x7fc0, v101, s25
	s_delay_alu instid0(VALU_DEP_1)
	v_and_b32_e32 v102, 0xffff, v101
.LBB501_295:
	s_or_b32 exec_lo, exec_lo, s27
	s_delay_alu instid0(VALU_DEP_1)
	v_mov_b32_dpp v103, v102 row_shr:4 row_mask:0xf bank_mask:0xf
	s_mov_b32 s27, exec_lo
	v_cmpx_lt_u32_e32 3, v100
	s_cbranch_execz .LBB501_299
; %bb.296:
	v_lshlrev_b32_e32 v101, 16, v102
	s_delay_alu instid0(VALU_DEP_1) | instskip(NEXT) | instid1(VALU_DEP_1)
	v_dual_max_f32 v103, v101, v101 :: v_dual_lshlrev_b32 v102, 16, v103
	v_max_f32_e32 v112, v102, v102
	v_cmp_u_f32_e64 s25, v102, v102
	s_delay_alu instid0(VALU_DEP_2) | instskip(SKIP_1) | instid1(VALU_DEP_2)
	v_min_f32_e32 v113, v112, v103
	v_max_f32_e32 v103, v112, v103
	v_cndmask_b32_e64 v112, v113, v102, s25
	s_delay_alu instid0(VALU_DEP_2) | instskip(SKIP_1) | instid1(VALU_DEP_1)
	v_cndmask_b32_e64 v113, v103, v102, s25
	v_cmp_u_f32_e64 s25, v101, v101
	v_cndmask_b32_e64 v103, v112, v101, s25
	s_delay_alu instid0(VALU_DEP_3) | instskip(NEXT) | instid1(VALU_DEP_2)
	v_cndmask_b32_e64 v101, v113, v101, s25
	v_cmp_class_f32_e64 vcc_hi, v103, 0x1f8
	s_delay_alu instid0(VALU_DEP_2) | instskip(NEXT) | instid1(VALU_DEP_1)
	v_cmp_neq_f32_e64 s25, v103, v101
	s_or_b32 s25, s25, vcc_hi
	s_delay_alu instid0(SALU_CYCLE_1)
	s_and_saveexec_b32 vcc_hi, s25
	s_cbranch_execz .LBB501_298
; %bb.297:
	v_sub_f32_e32 v102, v103, v101
	s_delay_alu instid0(VALU_DEP_1) | instskip(SKIP_1) | instid1(VALU_DEP_2)
	v_mul_f32_e32 v103, 0x3fb8aa3b, v102
	v_cmp_ngt_f32_e64 s25, 0xc2ce8ed0, v102
	v_fma_f32 v112, 0x3fb8aa3b, v102, -v103
	v_rndne_f32_e32 v113, v103
	s_delay_alu instid0(VALU_DEP_1) | instskip(NEXT) | instid1(VALU_DEP_1)
	v_dual_fmamk_f32 v112, v102, 0x32a5705f, v112 :: v_dual_sub_f32 v103, v103, v113
	v_add_f32_e32 v103, v103, v112
	v_cvt_i32_f32_e32 v112, v113
	s_delay_alu instid0(VALU_DEP_2) | instskip(SKIP_2) | instid1(VALU_DEP_1)
	v_exp_f32_e32 v103, v103
	s_waitcnt_depctr 0xfff
	v_ldexp_f32 v103, v103, v112
	v_cndmask_b32_e64 v103, 0, v103, s25
	v_cmp_nlt_f32_e64 s25, 0x42b17218, v102
	s_delay_alu instid0(VALU_DEP_1) | instskip(NEXT) | instid1(VALU_DEP_1)
	v_cndmask_b32_e64 v112, 0x7f800000, v103, s25
	v_add_f32_e32 v113, 1.0, v112
	v_cmp_gt_f32_e64 s30, 0x33800000, |v112|
	s_delay_alu instid0(VALU_DEP_2) | instskip(NEXT) | instid1(VALU_DEP_1)
	v_cvt_f64_f32_e32 v[102:103], v113
	v_frexp_exp_i32_f64_e32 v102, v[102:103]
	v_frexp_mant_f32_e32 v103, v113
	s_delay_alu instid0(VALU_DEP_1) | instskip(SKIP_1) | instid1(VALU_DEP_1)
	v_cmp_gt_f32_e64 s25, 0x3f2aaaab, v103
	v_add_f32_e32 v103, -1.0, v113
	v_sub_f32_e32 v115, v103, v113
	v_sub_f32_e32 v103, v112, v103
	s_delay_alu instid0(VALU_DEP_4) | instskip(SKIP_1) | instid1(VALU_DEP_1)
	v_subrev_co_ci_u32_e64 v102, s25, 0, v102, s25
	s_mov_b32 s25, 0x3e9b6dac
	v_sub_nc_u32_e32 v114, 0, v102
	v_cvt_f32_i32_e32 v102, v102
	s_delay_alu instid0(VALU_DEP_2) | instskip(NEXT) | instid1(VALU_DEP_1)
	v_ldexp_f32 v113, v113, v114
	v_dual_add_f32 v116, 1.0, v113 :: v_dual_add_f32 v115, 1.0, v115
	s_delay_alu instid0(VALU_DEP_1) | instskip(NEXT) | instid1(VALU_DEP_2)
	v_add_f32_e32 v103, v103, v115
	v_add_f32_e32 v115, -1.0, v116
	s_delay_alu instid0(VALU_DEP_2) | instskip(NEXT) | instid1(VALU_DEP_2)
	v_ldexp_f32 v103, v103, v114
	v_dual_add_f32 v114, -1.0, v113 :: v_dual_sub_f32 v115, v113, v115
	s_delay_alu instid0(VALU_DEP_1) | instskip(NEXT) | instid1(VALU_DEP_2)
	v_add_f32_e32 v117, 1.0, v114
	v_add_f32_e32 v115, v103, v115
	s_delay_alu instid0(VALU_DEP_2) | instskip(NEXT) | instid1(VALU_DEP_2)
	v_sub_f32_e32 v113, v113, v117
	v_add_f32_e32 v117, v116, v115
	s_delay_alu instid0(VALU_DEP_2) | instskip(NEXT) | instid1(VALU_DEP_2)
	v_add_f32_e32 v103, v103, v113
	v_rcp_f32_e32 v113, v117
	v_sub_f32_e32 v116, v116, v117
	s_delay_alu instid0(VALU_DEP_1) | instskip(NEXT) | instid1(VALU_DEP_1)
	v_dual_add_f32 v118, v114, v103 :: v_dual_add_f32 v115, v115, v116
	v_sub_f32_e32 v114, v114, v118
	s_waitcnt_depctr 0xfff
	v_mul_f32_e32 v119, v118, v113
	s_delay_alu instid0(VALU_DEP_1) | instskip(NEXT) | instid1(VALU_DEP_1)
	v_dual_add_f32 v103, v103, v114 :: v_dual_mul_f32 v128, v117, v119
	v_fma_f32 v116, v119, v117, -v128
	s_delay_alu instid0(VALU_DEP_1) | instskip(NEXT) | instid1(VALU_DEP_1)
	v_fmac_f32_e32 v116, v119, v115
	v_add_f32_e32 v129, v128, v116
	s_delay_alu instid0(VALU_DEP_1) | instskip(SKIP_1) | instid1(VALU_DEP_2)
	v_sub_f32_e32 v130, v118, v129
	v_sub_f32_e32 v114, v129, v128
	;; [unrolled: 1-line block ×3, first 2 shown]
	s_delay_alu instid0(VALU_DEP_2) | instskip(NEXT) | instid1(VALU_DEP_2)
	v_sub_f32_e32 v114, v114, v116
	v_sub_f32_e32 v118, v118, v129
	s_delay_alu instid0(VALU_DEP_1) | instskip(NEXT) | instid1(VALU_DEP_1)
	v_add_f32_e32 v103, v103, v118
	v_add_f32_e32 v103, v114, v103
	s_delay_alu instid0(VALU_DEP_1) | instskip(NEXT) | instid1(VALU_DEP_1)
	v_add_f32_e32 v114, v130, v103
	v_mul_f32_e32 v116, v113, v114
	s_delay_alu instid0(VALU_DEP_1) | instskip(NEXT) | instid1(VALU_DEP_1)
	v_dual_sub_f32 v129, v130, v114 :: v_dual_mul_f32 v118, v117, v116
	v_add_f32_e32 v103, v103, v129
	s_delay_alu instid0(VALU_DEP_2) | instskip(NEXT) | instid1(VALU_DEP_1)
	v_fma_f32 v117, v116, v117, -v118
	v_fmac_f32_e32 v117, v116, v115
	s_delay_alu instid0(VALU_DEP_1) | instskip(NEXT) | instid1(VALU_DEP_1)
	v_add_f32_e32 v115, v118, v117
	v_sub_f32_e32 v128, v114, v115
	v_sub_f32_e32 v118, v115, v118
	s_delay_alu instid0(VALU_DEP_2) | instskip(NEXT) | instid1(VALU_DEP_1)
	v_sub_f32_e32 v114, v114, v128
	v_sub_f32_e32 v114, v114, v115
	s_delay_alu instid0(VALU_DEP_3) | instskip(NEXT) | instid1(VALU_DEP_2)
	v_sub_f32_e32 v115, v118, v117
	v_add_f32_e32 v103, v103, v114
	v_add_f32_e32 v114, v119, v116
	s_delay_alu instid0(VALU_DEP_2) | instskip(NEXT) | instid1(VALU_DEP_2)
	v_add_f32_e32 v103, v115, v103
	v_sub_f32_e32 v115, v114, v119
	s_delay_alu instid0(VALU_DEP_2) | instskip(NEXT) | instid1(VALU_DEP_2)
	v_add_f32_e32 v103, v128, v103
	v_sub_f32_e32 v115, v116, v115
	s_delay_alu instid0(VALU_DEP_2) | instskip(NEXT) | instid1(VALU_DEP_1)
	v_mul_f32_e32 v103, v113, v103
	v_add_f32_e32 v103, v115, v103
	s_delay_alu instid0(VALU_DEP_1) | instskip(NEXT) | instid1(VALU_DEP_1)
	v_add_f32_e32 v113, v114, v103
	v_mul_f32_e32 v115, v113, v113
	s_delay_alu instid0(VALU_DEP_1) | instskip(SKIP_2) | instid1(VALU_DEP_3)
	v_fmaak_f32 v116, s25, v115, 0x3ecc95a3
	v_mul_f32_e32 v117, v113, v115
	v_cmp_eq_f32_e64 s25, 0x7f800000, v112
	v_fmaak_f32 v115, v115, v116, 0x3f2aaada
	v_ldexp_f32 v116, v113, 1
	v_sub_f32_e32 v113, v113, v114
	s_delay_alu instid0(VALU_DEP_4) | instskip(NEXT) | instid1(VALU_DEP_3)
	s_or_b32 s25, s25, s30
	v_mul_f32_e32 v115, v117, v115
	v_mul_f32_e32 v117, 0x3f317218, v102
	s_delay_alu instid0(VALU_DEP_2) | instskip(NEXT) | instid1(VALU_DEP_1)
	v_dual_sub_f32 v103, v103, v113 :: v_dual_add_f32 v114, v116, v115
	v_ldexp_f32 v103, v103, 1
	s_delay_alu instid0(VALU_DEP_2) | instskip(NEXT) | instid1(VALU_DEP_4)
	v_sub_f32_e32 v113, v114, v116
	v_fma_f32 v116, 0x3f317218, v102, -v117
	s_delay_alu instid0(VALU_DEP_1) | instskip(NEXT) | instid1(VALU_DEP_1)
	v_dual_sub_f32 v113, v115, v113 :: v_dual_fmamk_f32 v102, v102, 0xb102e308, v116
	v_add_f32_e32 v103, v103, v113
	s_delay_alu instid0(VALU_DEP_2) | instskip(NEXT) | instid1(VALU_DEP_2)
	v_add_f32_e32 v113, v117, v102
	v_add_f32_e32 v115, v114, v103
	s_delay_alu instid0(VALU_DEP_2) | instskip(NEXT) | instid1(VALU_DEP_2)
	v_sub_f32_e32 v117, v113, v117
	v_add_f32_e32 v116, v113, v115
	v_sub_f32_e32 v114, v115, v114
	s_delay_alu instid0(VALU_DEP_3) | instskip(NEXT) | instid1(VALU_DEP_2)
	v_sub_f32_e32 v102, v102, v117
	v_dual_sub_f32 v118, v116, v113 :: v_dual_sub_f32 v103, v103, v114
	s_delay_alu instid0(VALU_DEP_1) | instskip(NEXT) | instid1(VALU_DEP_2)
	v_sub_f32_e32 v119, v116, v118
	v_dual_sub_f32 v114, v115, v118 :: v_dual_add_f32 v115, v102, v103
	s_delay_alu instid0(VALU_DEP_2) | instskip(NEXT) | instid1(VALU_DEP_1)
	v_sub_f32_e32 v113, v113, v119
	v_dual_add_f32 v113, v114, v113 :: v_dual_sub_f32 v114, v115, v102
	s_delay_alu instid0(VALU_DEP_1) | instskip(NEXT) | instid1(VALU_DEP_2)
	v_add_f32_e32 v113, v115, v113
	v_sub_f32_e32 v115, v115, v114
	v_sub_f32_e32 v103, v103, v114
	s_delay_alu instid0(VALU_DEP_2) | instskip(NEXT) | instid1(VALU_DEP_1)
	v_dual_add_f32 v117, v116, v113 :: v_dual_sub_f32 v102, v102, v115
	v_sub_f32_e32 v114, v117, v116
	s_delay_alu instid0(VALU_DEP_2) | instskip(NEXT) | instid1(VALU_DEP_2)
	v_add_f32_e32 v102, v103, v102
	v_sub_f32_e32 v103, v113, v114
	s_delay_alu instid0(VALU_DEP_1) | instskip(NEXT) | instid1(VALU_DEP_1)
	v_add_f32_e32 v102, v102, v103
	v_add_f32_e32 v102, v117, v102
	s_delay_alu instid0(VALU_DEP_1) | instskip(NEXT) | instid1(VALU_DEP_1)
	v_cndmask_b32_e64 v102, v102, v112, s25
	v_add_f32_e32 v102, v101, v102
.LBB501_298:
	s_or_b32 exec_lo, exec_lo, vcc_hi
	s_delay_alu instid0(VALU_DEP_1) | instskip(SKIP_1) | instid1(VALU_DEP_2)
	v_bfe_u32 v101, v102, 16, 1
	v_cmp_o_f32_e64 s25, v102, v102
	v_add3_u32 v101, v102, v101, 0x7fff
	s_delay_alu instid0(VALU_DEP_1) | instskip(NEXT) | instid1(VALU_DEP_1)
	v_lshrrev_b32_e32 v101, 16, v101
	v_cndmask_b32_e64 v101, 0x7fc0, v101, s25
	s_delay_alu instid0(VALU_DEP_1)
	v_and_b32_e32 v102, 0xffff, v101
.LBB501_299:
	s_or_b32 exec_lo, exec_lo, s27
	s_delay_alu instid0(VALU_DEP_1)
	v_mov_b32_dpp v103, v102 row_shr:8 row_mask:0xf bank_mask:0xf
	s_mov_b32 s27, exec_lo
	v_cmpx_lt_u32_e32 7, v100
	s_cbranch_execz .LBB501_303
; %bb.300:
	s_delay_alu instid0(VALU_DEP_2) | instskip(NEXT) | instid1(VALU_DEP_1)
	v_lshlrev_b32_e32 v101, 16, v103
	v_dual_max_f32 v103, v101, v101 :: v_dual_lshlrev_b32 v100, 16, v102
	s_delay_alu instid0(VALU_DEP_1) | instskip(SKIP_1) | instid1(VALU_DEP_2)
	v_max_f32_e32 v102, v100, v100
	v_cmp_u_f32_e64 s25, v101, v101
	v_min_f32_e32 v112, v103, v102
	v_max_f32_e32 v102, v103, v102
	s_delay_alu instid0(VALU_DEP_2) | instskip(NEXT) | instid1(VALU_DEP_2)
	v_cndmask_b32_e64 v103, v112, v101, s25
	v_cndmask_b32_e64 v112, v102, v101, s25
	v_cmp_u_f32_e64 s25, v100, v100
	s_delay_alu instid0(VALU_DEP_1) | instskip(NEXT) | instid1(VALU_DEP_3)
	v_cndmask_b32_e64 v102, v103, v100, s25
	v_cndmask_b32_e64 v100, v112, v100, s25
	s_delay_alu instid0(VALU_DEP_2) | instskip(NEXT) | instid1(VALU_DEP_2)
	v_cmp_class_f32_e64 vcc_hi, v102, 0x1f8
	v_cmp_neq_f32_e64 s25, v102, v100
	s_delay_alu instid0(VALU_DEP_1) | instskip(NEXT) | instid1(SALU_CYCLE_1)
	s_or_b32 s25, s25, vcc_hi
	s_and_saveexec_b32 vcc_hi, s25
	s_cbranch_execz .LBB501_302
; %bb.301:
	v_sub_f32_e32 v101, v102, v100
	s_delay_alu instid0(VALU_DEP_1) | instskip(SKIP_1) | instid1(VALU_DEP_2)
	v_mul_f32_e32 v102, 0x3fb8aa3b, v101
	v_cmp_ngt_f32_e64 s25, 0xc2ce8ed0, v101
	v_fma_f32 v103, 0x3fb8aa3b, v101, -v102
	v_rndne_f32_e32 v112, v102
	s_delay_alu instid0(VALU_DEP_1) | instskip(NEXT) | instid1(VALU_DEP_1)
	v_dual_fmamk_f32 v103, v101, 0x32a5705f, v103 :: v_dual_sub_f32 v102, v102, v112
	v_add_f32_e32 v102, v102, v103
	v_cvt_i32_f32_e32 v103, v112
	s_delay_alu instid0(VALU_DEP_2) | instskip(SKIP_2) | instid1(VALU_DEP_1)
	v_exp_f32_e32 v102, v102
	s_waitcnt_depctr 0xfff
	v_ldexp_f32 v102, v102, v103
	v_cndmask_b32_e64 v102, 0, v102, s25
	v_cmp_nlt_f32_e64 s25, 0x42b17218, v101
	s_delay_alu instid0(VALU_DEP_1) | instskip(NEXT) | instid1(VALU_DEP_1)
	v_cndmask_b32_e64 v103, 0x7f800000, v102, s25
	v_add_f32_e32 v112, 1.0, v103
	v_cmp_gt_f32_e64 s30, 0x33800000, |v103|
	s_delay_alu instid0(VALU_DEP_2) | instskip(NEXT) | instid1(VALU_DEP_1)
	v_cvt_f64_f32_e32 v[101:102], v112
	v_frexp_exp_i32_f64_e32 v101, v[101:102]
	v_frexp_mant_f32_e32 v102, v112
	s_delay_alu instid0(VALU_DEP_1) | instskip(SKIP_1) | instid1(VALU_DEP_1)
	v_cmp_gt_f32_e64 s25, 0x3f2aaaab, v102
	v_add_f32_e32 v102, -1.0, v112
	v_sub_f32_e32 v114, v102, v112
	v_sub_f32_e32 v102, v103, v102
	s_delay_alu instid0(VALU_DEP_4) | instskip(SKIP_1) | instid1(VALU_DEP_1)
	v_subrev_co_ci_u32_e64 v101, s25, 0, v101, s25
	s_mov_b32 s25, 0x3e9b6dac
	v_sub_nc_u32_e32 v113, 0, v101
	v_cvt_f32_i32_e32 v101, v101
	s_delay_alu instid0(VALU_DEP_2) | instskip(NEXT) | instid1(VALU_DEP_1)
	v_ldexp_f32 v112, v112, v113
	v_dual_add_f32 v115, 1.0, v112 :: v_dual_add_f32 v114, 1.0, v114
	s_delay_alu instid0(VALU_DEP_1) | instskip(NEXT) | instid1(VALU_DEP_2)
	v_add_f32_e32 v102, v102, v114
	v_add_f32_e32 v114, -1.0, v115
	s_delay_alu instid0(VALU_DEP_2) | instskip(NEXT) | instid1(VALU_DEP_2)
	v_ldexp_f32 v102, v102, v113
	v_dual_add_f32 v113, -1.0, v112 :: v_dual_sub_f32 v114, v112, v114
	s_delay_alu instid0(VALU_DEP_1) | instskip(NEXT) | instid1(VALU_DEP_2)
	v_add_f32_e32 v116, 1.0, v113
	v_add_f32_e32 v114, v102, v114
	s_delay_alu instid0(VALU_DEP_2) | instskip(NEXT) | instid1(VALU_DEP_2)
	v_sub_f32_e32 v112, v112, v116
	v_add_f32_e32 v116, v115, v114
	s_delay_alu instid0(VALU_DEP_2) | instskip(NEXT) | instid1(VALU_DEP_2)
	v_add_f32_e32 v102, v102, v112
	v_rcp_f32_e32 v112, v116
	v_sub_f32_e32 v115, v115, v116
	s_delay_alu instid0(VALU_DEP_1) | instskip(NEXT) | instid1(VALU_DEP_1)
	v_dual_add_f32 v117, v113, v102 :: v_dual_add_f32 v114, v114, v115
	v_sub_f32_e32 v113, v113, v117
	s_waitcnt_depctr 0xfff
	v_mul_f32_e32 v118, v117, v112
	s_delay_alu instid0(VALU_DEP_1) | instskip(NEXT) | instid1(VALU_DEP_1)
	v_dual_add_f32 v102, v102, v113 :: v_dual_mul_f32 v119, v116, v118
	v_fma_f32 v115, v118, v116, -v119
	s_delay_alu instid0(VALU_DEP_1) | instskip(NEXT) | instid1(VALU_DEP_1)
	v_fmac_f32_e32 v115, v118, v114
	v_add_f32_e32 v128, v119, v115
	s_delay_alu instid0(VALU_DEP_1) | instskip(SKIP_1) | instid1(VALU_DEP_2)
	v_sub_f32_e32 v129, v117, v128
	v_sub_f32_e32 v113, v128, v119
	;; [unrolled: 1-line block ×3, first 2 shown]
	s_delay_alu instid0(VALU_DEP_2) | instskip(NEXT) | instid1(VALU_DEP_2)
	v_sub_f32_e32 v113, v113, v115
	v_sub_f32_e32 v117, v117, v128
	s_delay_alu instid0(VALU_DEP_1) | instskip(NEXT) | instid1(VALU_DEP_1)
	v_add_f32_e32 v102, v102, v117
	v_add_f32_e32 v102, v113, v102
	s_delay_alu instid0(VALU_DEP_1) | instskip(NEXT) | instid1(VALU_DEP_1)
	v_add_f32_e32 v113, v129, v102
	v_mul_f32_e32 v115, v112, v113
	s_delay_alu instid0(VALU_DEP_1) | instskip(NEXT) | instid1(VALU_DEP_1)
	v_dual_sub_f32 v128, v129, v113 :: v_dual_mul_f32 v117, v116, v115
	v_add_f32_e32 v102, v102, v128
	s_delay_alu instid0(VALU_DEP_2) | instskip(NEXT) | instid1(VALU_DEP_1)
	v_fma_f32 v116, v115, v116, -v117
	v_fmac_f32_e32 v116, v115, v114
	s_delay_alu instid0(VALU_DEP_1) | instskip(NEXT) | instid1(VALU_DEP_1)
	v_add_f32_e32 v114, v117, v116
	v_sub_f32_e32 v119, v113, v114
	v_sub_f32_e32 v117, v114, v117
	s_delay_alu instid0(VALU_DEP_2) | instskip(NEXT) | instid1(VALU_DEP_1)
	v_sub_f32_e32 v113, v113, v119
	v_sub_f32_e32 v113, v113, v114
	s_delay_alu instid0(VALU_DEP_3) | instskip(NEXT) | instid1(VALU_DEP_2)
	v_sub_f32_e32 v114, v117, v116
	v_add_f32_e32 v102, v102, v113
	v_add_f32_e32 v113, v118, v115
	s_delay_alu instid0(VALU_DEP_2) | instskip(NEXT) | instid1(VALU_DEP_2)
	v_add_f32_e32 v102, v114, v102
	v_sub_f32_e32 v114, v113, v118
	s_delay_alu instid0(VALU_DEP_2) | instskip(NEXT) | instid1(VALU_DEP_2)
	v_add_f32_e32 v102, v119, v102
	v_sub_f32_e32 v114, v115, v114
	s_delay_alu instid0(VALU_DEP_2) | instskip(NEXT) | instid1(VALU_DEP_1)
	v_mul_f32_e32 v102, v112, v102
	v_add_f32_e32 v102, v114, v102
	s_delay_alu instid0(VALU_DEP_1) | instskip(NEXT) | instid1(VALU_DEP_1)
	v_add_f32_e32 v112, v113, v102
	v_mul_f32_e32 v114, v112, v112
	s_delay_alu instid0(VALU_DEP_1) | instskip(SKIP_2) | instid1(VALU_DEP_3)
	v_fmaak_f32 v115, s25, v114, 0x3ecc95a3
	v_mul_f32_e32 v116, v112, v114
	v_cmp_eq_f32_e64 s25, 0x7f800000, v103
	v_fmaak_f32 v114, v114, v115, 0x3f2aaada
	v_ldexp_f32 v115, v112, 1
	v_sub_f32_e32 v112, v112, v113
	s_delay_alu instid0(VALU_DEP_4) | instskip(NEXT) | instid1(VALU_DEP_3)
	s_or_b32 s25, s25, s30
	v_mul_f32_e32 v114, v116, v114
	v_mul_f32_e32 v116, 0x3f317218, v101
	s_delay_alu instid0(VALU_DEP_2) | instskip(NEXT) | instid1(VALU_DEP_1)
	v_dual_sub_f32 v102, v102, v112 :: v_dual_add_f32 v113, v115, v114
	v_ldexp_f32 v102, v102, 1
	s_delay_alu instid0(VALU_DEP_2) | instskip(NEXT) | instid1(VALU_DEP_4)
	v_sub_f32_e32 v112, v113, v115
	v_fma_f32 v115, 0x3f317218, v101, -v116
	s_delay_alu instid0(VALU_DEP_1) | instskip(NEXT) | instid1(VALU_DEP_1)
	v_dual_sub_f32 v112, v114, v112 :: v_dual_fmamk_f32 v101, v101, 0xb102e308, v115
	v_add_f32_e32 v102, v102, v112
	s_delay_alu instid0(VALU_DEP_2) | instskip(NEXT) | instid1(VALU_DEP_2)
	v_add_f32_e32 v112, v116, v101
	v_add_f32_e32 v114, v113, v102
	s_delay_alu instid0(VALU_DEP_2) | instskip(NEXT) | instid1(VALU_DEP_2)
	v_sub_f32_e32 v116, v112, v116
	v_add_f32_e32 v115, v112, v114
	v_sub_f32_e32 v113, v114, v113
	s_delay_alu instid0(VALU_DEP_3) | instskip(NEXT) | instid1(VALU_DEP_2)
	v_sub_f32_e32 v101, v101, v116
	v_dual_sub_f32 v117, v115, v112 :: v_dual_sub_f32 v102, v102, v113
	s_delay_alu instid0(VALU_DEP_1) | instskip(NEXT) | instid1(VALU_DEP_2)
	v_sub_f32_e32 v118, v115, v117
	v_dual_sub_f32 v113, v114, v117 :: v_dual_add_f32 v114, v101, v102
	s_delay_alu instid0(VALU_DEP_2) | instskip(NEXT) | instid1(VALU_DEP_1)
	v_sub_f32_e32 v112, v112, v118
	v_dual_add_f32 v112, v113, v112 :: v_dual_sub_f32 v113, v114, v101
	s_delay_alu instid0(VALU_DEP_1) | instskip(NEXT) | instid1(VALU_DEP_2)
	v_add_f32_e32 v112, v114, v112
	v_sub_f32_e32 v114, v114, v113
	v_sub_f32_e32 v102, v102, v113
	s_delay_alu instid0(VALU_DEP_2) | instskip(NEXT) | instid1(VALU_DEP_1)
	v_dual_add_f32 v116, v115, v112 :: v_dual_sub_f32 v101, v101, v114
	v_sub_f32_e32 v113, v116, v115
	s_delay_alu instid0(VALU_DEP_2) | instskip(NEXT) | instid1(VALU_DEP_2)
	v_add_f32_e32 v101, v102, v101
	v_sub_f32_e32 v102, v112, v113
	s_delay_alu instid0(VALU_DEP_1) | instskip(NEXT) | instid1(VALU_DEP_1)
	v_add_f32_e32 v101, v101, v102
	v_add_f32_e32 v101, v116, v101
	s_delay_alu instid0(VALU_DEP_1) | instskip(NEXT) | instid1(VALU_DEP_1)
	v_cndmask_b32_e64 v101, v101, v103, s25
	v_add_f32_e32 v101, v100, v101
.LBB501_302:
	s_or_b32 exec_lo, exec_lo, vcc_hi
	s_delay_alu instid0(VALU_DEP_1) | instskip(SKIP_1) | instid1(VALU_DEP_2)
	v_bfe_u32 v100, v101, 16, 1
	v_cmp_o_f32_e64 s25, v101, v101
	v_add3_u32 v100, v101, v100, 0x7fff
	s_delay_alu instid0(VALU_DEP_1) | instskip(NEXT) | instid1(VALU_DEP_1)
	v_lshrrev_b32_e32 v100, 16, v100
	v_cndmask_b32_e64 v101, 0x7fc0, v100, s25
	s_delay_alu instid0(VALU_DEP_1)
	v_and_b32_e32 v102, 0xffff, v101
.LBB501_303:
	s_or_b32 exec_lo, exec_lo, s27
	ds_swizzle_b32 v100, v102 offset:swizzle(BROADCAST,32,15)
	v_and_b32_e32 v103, 16, v99
	s_mov_b32 s27, exec_lo
	s_delay_alu instid0(VALU_DEP_1)
	v_cmpx_ne_u32_e32 0, v103
	s_cbranch_execz .LBB501_307
; %bb.304:
	s_waitcnt lgkmcnt(0)
	v_lshlrev_b32_e32 v101, 16, v100
	s_delay_alu instid0(VALU_DEP_1) | instskip(NEXT) | instid1(VALU_DEP_1)
	v_dual_max_f32 v102, v101, v101 :: v_dual_lshlrev_b32 v103, 16, v102
	v_max_f32_e32 v100, v103, v103
	v_cmp_u_f32_e64 s25, v101, v101
	s_delay_alu instid0(VALU_DEP_2) | instskip(SKIP_1) | instid1(VALU_DEP_2)
	v_min_f32_e32 v112, v102, v100
	v_max_f32_e32 v100, v102, v100
	v_cndmask_b32_e64 v102, v112, v101, s25
	s_delay_alu instid0(VALU_DEP_2) | instskip(SKIP_1) | instid1(VALU_DEP_1)
	v_cndmask_b32_e64 v100, v100, v101, s25
	v_cmp_u_f32_e64 s25, v103, v103
	v_cndmask_b32_e64 v102, v102, v103, s25
	s_delay_alu instid0(VALU_DEP_3) | instskip(NEXT) | instid1(VALU_DEP_2)
	v_cndmask_b32_e64 v100, v100, v103, s25
	v_cmp_class_f32_e64 vcc_hi, v102, 0x1f8
	s_delay_alu instid0(VALU_DEP_2) | instskip(NEXT) | instid1(VALU_DEP_1)
	v_cmp_neq_f32_e64 s25, v102, v100
	s_or_b32 s25, s25, vcc_hi
	s_delay_alu instid0(SALU_CYCLE_1)
	s_and_saveexec_b32 vcc_hi, s25
	s_cbranch_execz .LBB501_306
; %bb.305:
	v_sub_f32_e32 v101, v102, v100
	s_delay_alu instid0(VALU_DEP_1) | instskip(SKIP_1) | instid1(VALU_DEP_2)
	v_mul_f32_e32 v102, 0x3fb8aa3b, v101
	v_cmp_ngt_f32_e64 s25, 0xc2ce8ed0, v101
	v_fma_f32 v103, 0x3fb8aa3b, v101, -v102
	v_rndne_f32_e32 v112, v102
	s_delay_alu instid0(VALU_DEP_1) | instskip(NEXT) | instid1(VALU_DEP_1)
	v_dual_fmamk_f32 v103, v101, 0x32a5705f, v103 :: v_dual_sub_f32 v102, v102, v112
	v_add_f32_e32 v102, v102, v103
	v_cvt_i32_f32_e32 v103, v112
	s_delay_alu instid0(VALU_DEP_2) | instskip(SKIP_2) | instid1(VALU_DEP_1)
	v_exp_f32_e32 v102, v102
	s_waitcnt_depctr 0xfff
	v_ldexp_f32 v102, v102, v103
	v_cndmask_b32_e64 v102, 0, v102, s25
	v_cmp_nlt_f32_e64 s25, 0x42b17218, v101
	s_delay_alu instid0(VALU_DEP_1) | instskip(NEXT) | instid1(VALU_DEP_1)
	v_cndmask_b32_e64 v103, 0x7f800000, v102, s25
	v_add_f32_e32 v112, 1.0, v103
	v_cmp_gt_f32_e64 s30, 0x33800000, |v103|
	s_delay_alu instid0(VALU_DEP_2) | instskip(NEXT) | instid1(VALU_DEP_1)
	v_cvt_f64_f32_e32 v[101:102], v112
	v_frexp_exp_i32_f64_e32 v101, v[101:102]
	v_frexp_mant_f32_e32 v102, v112
	s_delay_alu instid0(VALU_DEP_1) | instskip(SKIP_1) | instid1(VALU_DEP_1)
	v_cmp_gt_f32_e64 s25, 0x3f2aaaab, v102
	v_add_f32_e32 v102, -1.0, v112
	v_sub_f32_e32 v114, v102, v112
	v_sub_f32_e32 v102, v103, v102
	s_delay_alu instid0(VALU_DEP_4) | instskip(SKIP_1) | instid1(VALU_DEP_1)
	v_subrev_co_ci_u32_e64 v101, s25, 0, v101, s25
	s_mov_b32 s25, 0x3e9b6dac
	v_sub_nc_u32_e32 v113, 0, v101
	v_cvt_f32_i32_e32 v101, v101
	s_delay_alu instid0(VALU_DEP_2) | instskip(NEXT) | instid1(VALU_DEP_1)
	v_ldexp_f32 v112, v112, v113
	v_dual_add_f32 v115, 1.0, v112 :: v_dual_add_f32 v114, 1.0, v114
	s_delay_alu instid0(VALU_DEP_1) | instskip(NEXT) | instid1(VALU_DEP_2)
	v_add_f32_e32 v102, v102, v114
	v_add_f32_e32 v114, -1.0, v115
	s_delay_alu instid0(VALU_DEP_2) | instskip(NEXT) | instid1(VALU_DEP_2)
	v_ldexp_f32 v102, v102, v113
	v_dual_add_f32 v113, -1.0, v112 :: v_dual_sub_f32 v114, v112, v114
	s_delay_alu instid0(VALU_DEP_1) | instskip(NEXT) | instid1(VALU_DEP_2)
	v_add_f32_e32 v116, 1.0, v113
	v_add_f32_e32 v114, v102, v114
	s_delay_alu instid0(VALU_DEP_2) | instskip(NEXT) | instid1(VALU_DEP_2)
	v_sub_f32_e32 v112, v112, v116
	v_add_f32_e32 v116, v115, v114
	s_delay_alu instid0(VALU_DEP_2) | instskip(NEXT) | instid1(VALU_DEP_2)
	v_add_f32_e32 v102, v102, v112
	v_rcp_f32_e32 v112, v116
	v_sub_f32_e32 v115, v115, v116
	s_delay_alu instid0(VALU_DEP_1) | instskip(NEXT) | instid1(VALU_DEP_1)
	v_dual_add_f32 v117, v113, v102 :: v_dual_add_f32 v114, v114, v115
	v_sub_f32_e32 v113, v113, v117
	s_waitcnt_depctr 0xfff
	v_mul_f32_e32 v118, v117, v112
	s_delay_alu instid0(VALU_DEP_1) | instskip(NEXT) | instid1(VALU_DEP_1)
	v_dual_add_f32 v102, v102, v113 :: v_dual_mul_f32 v119, v116, v118
	v_fma_f32 v115, v118, v116, -v119
	s_delay_alu instid0(VALU_DEP_1) | instskip(NEXT) | instid1(VALU_DEP_1)
	v_fmac_f32_e32 v115, v118, v114
	v_add_f32_e32 v128, v119, v115
	s_delay_alu instid0(VALU_DEP_1) | instskip(SKIP_1) | instid1(VALU_DEP_2)
	v_sub_f32_e32 v129, v117, v128
	v_sub_f32_e32 v113, v128, v119
	v_sub_f32_e32 v117, v117, v129
	s_delay_alu instid0(VALU_DEP_2) | instskip(NEXT) | instid1(VALU_DEP_2)
	v_sub_f32_e32 v113, v113, v115
	v_sub_f32_e32 v117, v117, v128
	s_delay_alu instid0(VALU_DEP_1) | instskip(NEXT) | instid1(VALU_DEP_1)
	v_add_f32_e32 v102, v102, v117
	v_add_f32_e32 v102, v113, v102
	s_delay_alu instid0(VALU_DEP_1) | instskip(NEXT) | instid1(VALU_DEP_1)
	v_add_f32_e32 v113, v129, v102
	v_mul_f32_e32 v115, v112, v113
	s_delay_alu instid0(VALU_DEP_1) | instskip(NEXT) | instid1(VALU_DEP_1)
	v_dual_sub_f32 v128, v129, v113 :: v_dual_mul_f32 v117, v116, v115
	v_add_f32_e32 v102, v102, v128
	s_delay_alu instid0(VALU_DEP_2) | instskip(NEXT) | instid1(VALU_DEP_1)
	v_fma_f32 v116, v115, v116, -v117
	v_fmac_f32_e32 v116, v115, v114
	s_delay_alu instid0(VALU_DEP_1) | instskip(NEXT) | instid1(VALU_DEP_1)
	v_add_f32_e32 v114, v117, v116
	v_sub_f32_e32 v119, v113, v114
	v_sub_f32_e32 v117, v114, v117
	s_delay_alu instid0(VALU_DEP_2) | instskip(NEXT) | instid1(VALU_DEP_1)
	v_sub_f32_e32 v113, v113, v119
	v_sub_f32_e32 v113, v113, v114
	s_delay_alu instid0(VALU_DEP_3) | instskip(NEXT) | instid1(VALU_DEP_2)
	v_sub_f32_e32 v114, v117, v116
	v_add_f32_e32 v102, v102, v113
	v_add_f32_e32 v113, v118, v115
	s_delay_alu instid0(VALU_DEP_2) | instskip(NEXT) | instid1(VALU_DEP_2)
	v_add_f32_e32 v102, v114, v102
	v_sub_f32_e32 v114, v113, v118
	s_delay_alu instid0(VALU_DEP_2) | instskip(NEXT) | instid1(VALU_DEP_2)
	v_add_f32_e32 v102, v119, v102
	v_sub_f32_e32 v114, v115, v114
	s_delay_alu instid0(VALU_DEP_2) | instskip(NEXT) | instid1(VALU_DEP_1)
	v_mul_f32_e32 v102, v112, v102
	v_add_f32_e32 v102, v114, v102
	s_delay_alu instid0(VALU_DEP_1) | instskip(NEXT) | instid1(VALU_DEP_1)
	v_add_f32_e32 v112, v113, v102
	v_mul_f32_e32 v114, v112, v112
	s_delay_alu instid0(VALU_DEP_1) | instskip(SKIP_2) | instid1(VALU_DEP_3)
	v_fmaak_f32 v115, s25, v114, 0x3ecc95a3
	v_mul_f32_e32 v116, v112, v114
	v_cmp_eq_f32_e64 s25, 0x7f800000, v103
	v_fmaak_f32 v114, v114, v115, 0x3f2aaada
	v_ldexp_f32 v115, v112, 1
	v_sub_f32_e32 v112, v112, v113
	s_delay_alu instid0(VALU_DEP_4) | instskip(NEXT) | instid1(VALU_DEP_3)
	s_or_b32 s25, s25, s30
	v_mul_f32_e32 v114, v116, v114
	v_mul_f32_e32 v116, 0x3f317218, v101
	s_delay_alu instid0(VALU_DEP_2) | instskip(NEXT) | instid1(VALU_DEP_1)
	v_dual_sub_f32 v102, v102, v112 :: v_dual_add_f32 v113, v115, v114
	v_ldexp_f32 v102, v102, 1
	s_delay_alu instid0(VALU_DEP_2) | instskip(NEXT) | instid1(VALU_DEP_4)
	v_sub_f32_e32 v112, v113, v115
	v_fma_f32 v115, 0x3f317218, v101, -v116
	s_delay_alu instid0(VALU_DEP_1) | instskip(NEXT) | instid1(VALU_DEP_1)
	v_dual_sub_f32 v112, v114, v112 :: v_dual_fmamk_f32 v101, v101, 0xb102e308, v115
	v_add_f32_e32 v102, v102, v112
	s_delay_alu instid0(VALU_DEP_2) | instskip(NEXT) | instid1(VALU_DEP_2)
	v_add_f32_e32 v112, v116, v101
	v_add_f32_e32 v114, v113, v102
	s_delay_alu instid0(VALU_DEP_2) | instskip(NEXT) | instid1(VALU_DEP_2)
	v_sub_f32_e32 v116, v112, v116
	v_add_f32_e32 v115, v112, v114
	v_sub_f32_e32 v113, v114, v113
	s_delay_alu instid0(VALU_DEP_3) | instskip(NEXT) | instid1(VALU_DEP_2)
	v_sub_f32_e32 v101, v101, v116
	v_dual_sub_f32 v117, v115, v112 :: v_dual_sub_f32 v102, v102, v113
	s_delay_alu instid0(VALU_DEP_1) | instskip(NEXT) | instid1(VALU_DEP_2)
	v_sub_f32_e32 v118, v115, v117
	v_dual_sub_f32 v113, v114, v117 :: v_dual_add_f32 v114, v101, v102
	s_delay_alu instid0(VALU_DEP_2) | instskip(NEXT) | instid1(VALU_DEP_1)
	v_sub_f32_e32 v112, v112, v118
	v_dual_add_f32 v112, v113, v112 :: v_dual_sub_f32 v113, v114, v101
	s_delay_alu instid0(VALU_DEP_1) | instskip(NEXT) | instid1(VALU_DEP_2)
	v_add_f32_e32 v112, v114, v112
	v_sub_f32_e32 v114, v114, v113
	v_sub_f32_e32 v102, v102, v113
	s_delay_alu instid0(VALU_DEP_2) | instskip(NEXT) | instid1(VALU_DEP_1)
	v_dual_add_f32 v116, v115, v112 :: v_dual_sub_f32 v101, v101, v114
	v_sub_f32_e32 v113, v116, v115
	s_delay_alu instid0(VALU_DEP_2) | instskip(NEXT) | instid1(VALU_DEP_2)
	v_add_f32_e32 v101, v102, v101
	v_sub_f32_e32 v102, v112, v113
	s_delay_alu instid0(VALU_DEP_1) | instskip(NEXT) | instid1(VALU_DEP_1)
	v_add_f32_e32 v101, v101, v102
	v_add_f32_e32 v101, v116, v101
	s_delay_alu instid0(VALU_DEP_1) | instskip(NEXT) | instid1(VALU_DEP_1)
	v_cndmask_b32_e64 v101, v101, v103, s25
	v_add_f32_e32 v101, v100, v101
.LBB501_306:
	s_or_b32 exec_lo, exec_lo, vcc_hi
	s_delay_alu instid0(VALU_DEP_1) | instskip(SKIP_1) | instid1(VALU_DEP_2)
	v_bfe_u32 v100, v101, 16, 1
	v_cmp_o_f32_e64 s25, v101, v101
	v_add3_u32 v100, v101, v100, 0x7fff
	s_delay_alu instid0(VALU_DEP_1) | instskip(NEXT) | instid1(VALU_DEP_1)
	v_lshrrev_b32_e32 v100, 16, v100
	v_cndmask_b32_e64 v101, 0x7fc0, v100, s25
.LBB501_307:
	s_or_b32 exec_lo, exec_lo, s27
	s_waitcnt lgkmcnt(0)
	v_add_nc_u32_e32 v100, -1, v99
	s_delay_alu instid0(VALU_DEP_1) | instskip(NEXT) | instid1(VALU_DEP_1)
	v_cmp_gt_i32_e64 s25, 0, v100
	v_cndmask_b32_e64 v99, v100, v99, s25
	v_and_b32_e32 v100, 0xffff, v101
	s_delay_alu instid0(VALU_DEP_2) | instskip(SKIP_3) | instid1(VALU_DEP_1)
	v_lshlrev_b32_e32 v99, 2, v99
	ds_bpermute_b32 v99, v99, v100
	s_waitcnt lgkmcnt(0)
	v_lshlrev_b32_e32 v99, 16, v99
	v_max_f32_e32 v100, v99, v99
	v_cmp_u_f32_e64 s25, v99, v99
	s_delay_alu instid0(VALU_DEP_2) | instskip(SKIP_1) | instid1(VALU_DEP_2)
	v_min_f32_e32 v101, v100, v98
	v_max_f32_e32 v98, v100, v98
	v_cndmask_b32_e64 v100, v101, v99, s25
	s_delay_alu instid0(VALU_DEP_2) | instskip(NEXT) | instid1(VALU_DEP_2)
	v_cndmask_b32_e64 v101, v98, v99, s25
	v_cndmask_b32_e64 v98, v100, v97, s24
	s_delay_alu instid0(VALU_DEP_2) | instskip(NEXT) | instid1(VALU_DEP_2)
	v_cndmask_b32_e64 v97, v101, v97, s24
	v_cmp_class_f32_e64 s25, v98, 0x1f8
	s_delay_alu instid0(VALU_DEP_2) | instskip(NEXT) | instid1(VALU_DEP_1)
	v_cmp_neq_f32_e64 s24, v98, v97
	s_or_b32 s24, s24, s25
	s_delay_alu instid0(SALU_CYCLE_1)
	s_and_saveexec_b32 s25, s24
	s_cbranch_execz .LBB501_309
; %bb.308:
	v_sub_f32_e32 v98, v98, v97
	s_delay_alu instid0(VALU_DEP_1) | instskip(NEXT) | instid1(VALU_DEP_1)
	v_mul_f32_e32 v99, 0x3fb8aa3b, v98
	v_fma_f32 v100, 0x3fb8aa3b, v98, -v99
	v_rndne_f32_e32 v101, v99
	s_delay_alu instid0(VALU_DEP_1) | instskip(NEXT) | instid1(VALU_DEP_1)
	v_dual_fmamk_f32 v100, v98, 0x32a5705f, v100 :: v_dual_sub_f32 v99, v99, v101
	v_add_f32_e32 v99, v99, v100
	v_cvt_i32_f32_e32 v100, v101
	v_cmp_ngt_f32_e64 s24, 0xc2ce8ed0, v98
	s_delay_alu instid0(VALU_DEP_3) | instskip(SKIP_2) | instid1(VALU_DEP_1)
	v_exp_f32_e32 v99, v99
	s_waitcnt_depctr 0xfff
	v_ldexp_f32 v99, v99, v100
	v_cndmask_b32_e64 v99, 0, v99, s24
	v_cmp_nlt_f32_e64 s24, 0x42b17218, v98
	s_delay_alu instid0(VALU_DEP_1) | instskip(NEXT) | instid1(VALU_DEP_1)
	v_cndmask_b32_e64 v100, 0x7f800000, v99, s24
	v_add_f32_e32 v101, 1.0, v100
	v_cmp_gt_f32_e64 s27, 0x33800000, |v100|
	s_delay_alu instid0(VALU_DEP_2) | instskip(NEXT) | instid1(VALU_DEP_1)
	v_cvt_f64_f32_e32 v[98:99], v101
	v_frexp_exp_i32_f64_e32 v98, v[98:99]
	v_frexp_mant_f32_e32 v99, v101
	s_delay_alu instid0(VALU_DEP_1) | instskip(SKIP_1) | instid1(VALU_DEP_1)
	v_cmp_gt_f32_e64 s24, 0x3f2aaaab, v99
	v_add_f32_e32 v99, -1.0, v101
	v_sub_f32_e32 v103, v99, v101
	s_delay_alu instid0(VALU_DEP_3) | instskip(SKIP_1) | instid1(VALU_DEP_1)
	v_subrev_co_ci_u32_e64 v98, s24, 0, v98, s24
	s_mov_b32 s24, 0x3e9b6dac
	v_sub_nc_u32_e32 v102, 0, v98
	v_cvt_f32_i32_e32 v98, v98
	s_delay_alu instid0(VALU_DEP_2) | instskip(NEXT) | instid1(VALU_DEP_1)
	v_ldexp_f32 v101, v101, v102
	v_dual_sub_f32 v99, v100, v99 :: v_dual_add_f32 v112, 1.0, v101
	v_add_f32_e32 v103, 1.0, v103
	s_delay_alu instid0(VALU_DEP_1) | instskip(NEXT) | instid1(VALU_DEP_3)
	v_add_f32_e32 v99, v99, v103
	v_add_f32_e32 v103, -1.0, v112
	s_delay_alu instid0(VALU_DEP_2) | instskip(NEXT) | instid1(VALU_DEP_2)
	v_ldexp_f32 v99, v99, v102
	v_dual_add_f32 v102, -1.0, v101 :: v_dual_sub_f32 v103, v101, v103
	s_delay_alu instid0(VALU_DEP_1) | instskip(NEXT) | instid1(VALU_DEP_2)
	v_add_f32_e32 v113, 1.0, v102
	v_add_f32_e32 v103, v99, v103
	s_delay_alu instid0(VALU_DEP_2) | instskip(NEXT) | instid1(VALU_DEP_2)
	v_sub_f32_e32 v101, v101, v113
	v_add_f32_e32 v113, v112, v103
	s_delay_alu instid0(VALU_DEP_2) | instskip(NEXT) | instid1(VALU_DEP_2)
	v_add_f32_e32 v99, v99, v101
	v_rcp_f32_e32 v101, v113
	v_sub_f32_e32 v112, v112, v113
	s_delay_alu instid0(VALU_DEP_1) | instskip(NEXT) | instid1(VALU_DEP_1)
	v_dual_add_f32 v114, v102, v99 :: v_dual_add_f32 v103, v103, v112
	v_sub_f32_e32 v102, v102, v114
	s_waitcnt_depctr 0xfff
	v_mul_f32_e32 v115, v114, v101
	s_delay_alu instid0(VALU_DEP_1) | instskip(NEXT) | instid1(VALU_DEP_1)
	v_dual_add_f32 v99, v99, v102 :: v_dual_mul_f32 v116, v113, v115
	v_fma_f32 v112, v115, v113, -v116
	s_delay_alu instid0(VALU_DEP_1) | instskip(NEXT) | instid1(VALU_DEP_1)
	v_fmac_f32_e32 v112, v115, v103
	v_add_f32_e32 v117, v116, v112
	s_delay_alu instid0(VALU_DEP_1) | instskip(SKIP_1) | instid1(VALU_DEP_2)
	v_sub_f32_e32 v118, v114, v117
	v_sub_f32_e32 v102, v117, v116
	;; [unrolled: 1-line block ×3, first 2 shown]
	s_delay_alu instid0(VALU_DEP_2) | instskip(NEXT) | instid1(VALU_DEP_2)
	v_sub_f32_e32 v102, v102, v112
	v_sub_f32_e32 v114, v114, v117
	s_delay_alu instid0(VALU_DEP_1) | instskip(NEXT) | instid1(VALU_DEP_1)
	v_add_f32_e32 v99, v99, v114
	v_add_f32_e32 v99, v102, v99
	s_delay_alu instid0(VALU_DEP_1) | instskip(NEXT) | instid1(VALU_DEP_1)
	v_add_f32_e32 v102, v118, v99
	v_mul_f32_e32 v112, v101, v102
	s_delay_alu instid0(VALU_DEP_1) | instskip(NEXT) | instid1(VALU_DEP_1)
	v_dual_sub_f32 v117, v118, v102 :: v_dual_mul_f32 v114, v113, v112
	v_add_f32_e32 v99, v99, v117
	s_delay_alu instid0(VALU_DEP_2) | instskip(NEXT) | instid1(VALU_DEP_1)
	v_fma_f32 v113, v112, v113, -v114
	v_fmac_f32_e32 v113, v112, v103
	s_delay_alu instid0(VALU_DEP_1) | instskip(NEXT) | instid1(VALU_DEP_1)
	v_add_f32_e32 v103, v114, v113
	v_sub_f32_e32 v116, v102, v103
	v_sub_f32_e32 v114, v103, v114
	s_delay_alu instid0(VALU_DEP_2) | instskip(NEXT) | instid1(VALU_DEP_1)
	v_sub_f32_e32 v102, v102, v116
	v_sub_f32_e32 v102, v102, v103
	s_delay_alu instid0(VALU_DEP_3) | instskip(NEXT) | instid1(VALU_DEP_2)
	v_sub_f32_e32 v103, v114, v113
	v_add_f32_e32 v99, v99, v102
	v_add_f32_e32 v102, v115, v112
	s_delay_alu instid0(VALU_DEP_2) | instskip(NEXT) | instid1(VALU_DEP_2)
	v_add_f32_e32 v99, v103, v99
	v_sub_f32_e32 v103, v102, v115
	s_delay_alu instid0(VALU_DEP_2) | instskip(NEXT) | instid1(VALU_DEP_2)
	v_add_f32_e32 v99, v116, v99
	v_sub_f32_e32 v103, v112, v103
	s_delay_alu instid0(VALU_DEP_2) | instskip(NEXT) | instid1(VALU_DEP_1)
	v_mul_f32_e32 v99, v101, v99
	v_add_f32_e32 v99, v103, v99
	s_delay_alu instid0(VALU_DEP_1) | instskip(NEXT) | instid1(VALU_DEP_1)
	v_add_f32_e32 v101, v102, v99
	v_mul_f32_e32 v103, v101, v101
	s_delay_alu instid0(VALU_DEP_1) | instskip(SKIP_2) | instid1(VALU_DEP_3)
	v_fmaak_f32 v112, s24, v103, 0x3ecc95a3
	v_mul_f32_e32 v113, v101, v103
	v_cmp_eq_f32_e64 s24, 0x7f800000, v100
	v_fmaak_f32 v103, v103, v112, 0x3f2aaada
	v_ldexp_f32 v112, v101, 1
	v_sub_f32_e32 v101, v101, v102
	s_delay_alu instid0(VALU_DEP_4) | instskip(NEXT) | instid1(VALU_DEP_3)
	s_or_b32 s24, s24, s27
	v_mul_f32_e32 v103, v113, v103
	v_mul_f32_e32 v113, 0x3f317218, v98
	s_delay_alu instid0(VALU_DEP_2) | instskip(NEXT) | instid1(VALU_DEP_1)
	v_dual_sub_f32 v99, v99, v101 :: v_dual_add_f32 v102, v112, v103
	v_ldexp_f32 v99, v99, 1
	s_delay_alu instid0(VALU_DEP_2) | instskip(NEXT) | instid1(VALU_DEP_4)
	v_sub_f32_e32 v101, v102, v112
	v_fma_f32 v112, 0x3f317218, v98, -v113
	s_delay_alu instid0(VALU_DEP_1) | instskip(NEXT) | instid1(VALU_DEP_1)
	v_dual_sub_f32 v101, v103, v101 :: v_dual_fmamk_f32 v98, v98, 0xb102e308, v112
	v_add_f32_e32 v99, v99, v101
	s_delay_alu instid0(VALU_DEP_2) | instskip(NEXT) | instid1(VALU_DEP_2)
	v_add_f32_e32 v101, v113, v98
	v_add_f32_e32 v103, v102, v99
	s_delay_alu instid0(VALU_DEP_2) | instskip(NEXT) | instid1(VALU_DEP_2)
	v_sub_f32_e32 v113, v101, v113
	v_add_f32_e32 v112, v101, v103
	v_sub_f32_e32 v102, v103, v102
	s_delay_alu instid0(VALU_DEP_3) | instskip(NEXT) | instid1(VALU_DEP_2)
	v_sub_f32_e32 v98, v98, v113
	v_dual_sub_f32 v114, v112, v101 :: v_dual_sub_f32 v99, v99, v102
	s_delay_alu instid0(VALU_DEP_1) | instskip(NEXT) | instid1(VALU_DEP_2)
	v_sub_f32_e32 v115, v112, v114
	v_dual_sub_f32 v102, v103, v114 :: v_dual_add_f32 v103, v98, v99
	s_delay_alu instid0(VALU_DEP_2) | instskip(NEXT) | instid1(VALU_DEP_1)
	v_sub_f32_e32 v101, v101, v115
	v_dual_add_f32 v101, v102, v101 :: v_dual_sub_f32 v102, v103, v98
	s_delay_alu instid0(VALU_DEP_1) | instskip(NEXT) | instid1(VALU_DEP_2)
	v_add_f32_e32 v101, v103, v101
	v_sub_f32_e32 v103, v103, v102
	v_sub_f32_e32 v99, v99, v102
	s_delay_alu instid0(VALU_DEP_2) | instskip(NEXT) | instid1(VALU_DEP_1)
	v_dual_add_f32 v113, v112, v101 :: v_dual_sub_f32 v98, v98, v103
	v_sub_f32_e32 v102, v113, v112
	s_delay_alu instid0(VALU_DEP_2) | instskip(NEXT) | instid1(VALU_DEP_2)
	v_add_f32_e32 v98, v99, v98
	v_sub_f32_e32 v99, v101, v102
	s_delay_alu instid0(VALU_DEP_1) | instskip(NEXT) | instid1(VALU_DEP_1)
	v_add_f32_e32 v98, v98, v99
	v_add_f32_e32 v98, v113, v98
	s_delay_alu instid0(VALU_DEP_1) | instskip(NEXT) | instid1(VALU_DEP_1)
	v_cndmask_b32_e64 v98, v98, v100, s24
	v_add_f32_e32 v99, v97, v98
.LBB501_309:
	s_or_b32 exec_lo, exec_lo, s25
	s_delay_alu instid0(VALU_DEP_1) | instskip(SKIP_1) | instid1(VALU_DEP_2)
	v_bfe_u32 v97, v99, 16, 1
	v_cmp_o_f32_e64 s24, v99, v99
	; wave barrier
	v_add3_u32 v97, v99, v97, 0x7fff
	s_delay_alu instid0(VALU_DEP_1) | instskip(NEXT) | instid1(VALU_DEP_1)
	v_lshrrev_b32_e32 v97, 16, v97
	v_cndmask_b32_e64 v97, 0x7fc0, v97, s24
	s_delay_alu instid0(VALU_DEP_1)
	v_cndmask_b32_e64 v97, v97, v87, s23
	ds_store_b16 v96, v97
	; wave barrier
	ds_load_u16 v99, v96 offset:2
	v_lshlrev_b32_e32 v98, 16, v97
	s_waitcnt lgkmcnt(0)
	v_lshlrev_b32_e32 v97, 16, v99
	s_delay_alu instid0(VALU_DEP_1) | instskip(NEXT) | instid1(VALU_DEP_1)
	v_dual_max_f32 v99, v98, v98 :: v_dual_max_f32 v100, v97, v97
	v_min_f32_e32 v101, v99, v100
	v_max_f32_e32 v99, v99, v100
	v_cmp_u_f32_e64 s23, v98, v98
	s_delay_alu instid0(VALU_DEP_1) | instskip(NEXT) | instid1(VALU_DEP_3)
	v_cndmask_b32_e64 v100, v101, v98, s23
	v_cndmask_b32_e64 v101, v99, v98, s23
	v_cmp_u_f32_e64 s23, v97, v97
	s_delay_alu instid0(VALU_DEP_1) | instskip(NEXT) | instid1(VALU_DEP_3)
	v_cndmask_b32_e64 v99, v100, v97, s23
	v_cndmask_b32_e64 v97, v101, v97, s23
	s_delay_alu instid0(VALU_DEP_2) | instskip(NEXT) | instid1(VALU_DEP_2)
	v_cmp_class_f32_e64 s24, v99, 0x1f8
	v_cmp_neq_f32_e64 s23, v99, v97
	s_delay_alu instid0(VALU_DEP_1) | instskip(NEXT) | instid1(SALU_CYCLE_1)
	s_or_b32 s23, s23, s24
	s_and_saveexec_b32 s24, s23
	s_cbranch_execz .LBB501_311
; %bb.310:
	v_sub_f32_e32 v98, v99, v97
	s_delay_alu instid0(VALU_DEP_1) | instskip(SKIP_1) | instid1(VALU_DEP_2)
	v_mul_f32_e32 v99, 0x3fb8aa3b, v98
	v_cmp_ngt_f32_e64 s23, 0xc2ce8ed0, v98
	v_fma_f32 v100, 0x3fb8aa3b, v98, -v99
	v_rndne_f32_e32 v101, v99
	s_delay_alu instid0(VALU_DEP_1) | instskip(NEXT) | instid1(VALU_DEP_1)
	v_dual_fmamk_f32 v100, v98, 0x32a5705f, v100 :: v_dual_sub_f32 v99, v99, v101
	v_add_f32_e32 v99, v99, v100
	v_cvt_i32_f32_e32 v100, v101
	s_delay_alu instid0(VALU_DEP_2) | instskip(SKIP_2) | instid1(VALU_DEP_1)
	v_exp_f32_e32 v99, v99
	s_waitcnt_depctr 0xfff
	v_ldexp_f32 v99, v99, v100
	v_cndmask_b32_e64 v99, 0, v99, s23
	v_cmp_nlt_f32_e64 s23, 0x42b17218, v98
	s_delay_alu instid0(VALU_DEP_1) | instskip(NEXT) | instid1(VALU_DEP_1)
	v_cndmask_b32_e64 v100, 0x7f800000, v99, s23
	v_add_f32_e32 v101, 1.0, v100
	v_cmp_gt_f32_e64 s25, 0x33800000, |v100|
	s_delay_alu instid0(VALU_DEP_2) | instskip(NEXT) | instid1(VALU_DEP_1)
	v_cvt_f64_f32_e32 v[98:99], v101
	v_frexp_exp_i32_f64_e32 v98, v[98:99]
	v_frexp_mant_f32_e32 v99, v101
	s_delay_alu instid0(VALU_DEP_1) | instskip(SKIP_1) | instid1(VALU_DEP_1)
	v_cmp_gt_f32_e64 s23, 0x3f2aaaab, v99
	v_add_f32_e32 v99, -1.0, v101
	v_sub_f32_e32 v103, v99, v101
	v_sub_f32_e32 v99, v100, v99
	s_delay_alu instid0(VALU_DEP_4) | instskip(SKIP_1) | instid1(VALU_DEP_1)
	v_subrev_co_ci_u32_e64 v98, s23, 0, v98, s23
	s_mov_b32 s23, 0x3e9b6dac
	v_sub_nc_u32_e32 v102, 0, v98
	v_cvt_f32_i32_e32 v98, v98
	s_delay_alu instid0(VALU_DEP_2) | instskip(NEXT) | instid1(VALU_DEP_1)
	v_ldexp_f32 v101, v101, v102
	v_dual_add_f32 v112, 1.0, v101 :: v_dual_add_f32 v103, 1.0, v103
	s_delay_alu instid0(VALU_DEP_1) | instskip(NEXT) | instid1(VALU_DEP_2)
	v_add_f32_e32 v99, v99, v103
	v_add_f32_e32 v103, -1.0, v112
	s_delay_alu instid0(VALU_DEP_2) | instskip(NEXT) | instid1(VALU_DEP_2)
	v_ldexp_f32 v99, v99, v102
	v_dual_add_f32 v102, -1.0, v101 :: v_dual_sub_f32 v103, v101, v103
	s_delay_alu instid0(VALU_DEP_1) | instskip(NEXT) | instid1(VALU_DEP_2)
	v_add_f32_e32 v113, 1.0, v102
	v_add_f32_e32 v103, v99, v103
	s_delay_alu instid0(VALU_DEP_2) | instskip(NEXT) | instid1(VALU_DEP_2)
	v_sub_f32_e32 v101, v101, v113
	v_add_f32_e32 v113, v112, v103
	s_delay_alu instid0(VALU_DEP_2) | instskip(NEXT) | instid1(VALU_DEP_2)
	v_add_f32_e32 v99, v99, v101
	v_rcp_f32_e32 v101, v113
	v_sub_f32_e32 v112, v112, v113
	s_delay_alu instid0(VALU_DEP_1) | instskip(NEXT) | instid1(VALU_DEP_1)
	v_dual_add_f32 v114, v102, v99 :: v_dual_add_f32 v103, v103, v112
	v_sub_f32_e32 v102, v102, v114
	s_waitcnt_depctr 0xfff
	v_mul_f32_e32 v115, v114, v101
	s_delay_alu instid0(VALU_DEP_1) | instskip(NEXT) | instid1(VALU_DEP_1)
	v_dual_add_f32 v99, v99, v102 :: v_dual_mul_f32 v116, v113, v115
	v_fma_f32 v112, v115, v113, -v116
	s_delay_alu instid0(VALU_DEP_1) | instskip(NEXT) | instid1(VALU_DEP_1)
	v_fmac_f32_e32 v112, v115, v103
	v_add_f32_e32 v117, v116, v112
	s_delay_alu instid0(VALU_DEP_1) | instskip(SKIP_1) | instid1(VALU_DEP_2)
	v_sub_f32_e32 v118, v114, v117
	v_sub_f32_e32 v102, v117, v116
	v_sub_f32_e32 v114, v114, v118
	s_delay_alu instid0(VALU_DEP_2) | instskip(NEXT) | instid1(VALU_DEP_2)
	v_sub_f32_e32 v102, v102, v112
	v_sub_f32_e32 v114, v114, v117
	s_delay_alu instid0(VALU_DEP_1) | instskip(NEXT) | instid1(VALU_DEP_1)
	v_add_f32_e32 v99, v99, v114
	v_add_f32_e32 v99, v102, v99
	s_delay_alu instid0(VALU_DEP_1) | instskip(NEXT) | instid1(VALU_DEP_1)
	v_add_f32_e32 v102, v118, v99
	v_mul_f32_e32 v112, v101, v102
	s_delay_alu instid0(VALU_DEP_1) | instskip(NEXT) | instid1(VALU_DEP_1)
	v_dual_sub_f32 v117, v118, v102 :: v_dual_mul_f32 v114, v113, v112
	v_add_f32_e32 v99, v99, v117
	s_delay_alu instid0(VALU_DEP_2) | instskip(NEXT) | instid1(VALU_DEP_1)
	v_fma_f32 v113, v112, v113, -v114
	v_fmac_f32_e32 v113, v112, v103
	s_delay_alu instid0(VALU_DEP_1) | instskip(NEXT) | instid1(VALU_DEP_1)
	v_add_f32_e32 v103, v114, v113
	v_sub_f32_e32 v116, v102, v103
	v_sub_f32_e32 v114, v103, v114
	s_delay_alu instid0(VALU_DEP_2) | instskip(NEXT) | instid1(VALU_DEP_1)
	v_sub_f32_e32 v102, v102, v116
	v_sub_f32_e32 v102, v102, v103
	s_delay_alu instid0(VALU_DEP_3) | instskip(NEXT) | instid1(VALU_DEP_2)
	v_sub_f32_e32 v103, v114, v113
	v_add_f32_e32 v99, v99, v102
	v_add_f32_e32 v102, v115, v112
	s_delay_alu instid0(VALU_DEP_2) | instskip(NEXT) | instid1(VALU_DEP_2)
	v_add_f32_e32 v99, v103, v99
	v_sub_f32_e32 v103, v102, v115
	s_delay_alu instid0(VALU_DEP_2) | instskip(NEXT) | instid1(VALU_DEP_2)
	v_add_f32_e32 v99, v116, v99
	v_sub_f32_e32 v103, v112, v103
	s_delay_alu instid0(VALU_DEP_2) | instskip(NEXT) | instid1(VALU_DEP_1)
	v_mul_f32_e32 v99, v101, v99
	v_add_f32_e32 v99, v103, v99
	s_delay_alu instid0(VALU_DEP_1) | instskip(NEXT) | instid1(VALU_DEP_1)
	v_add_f32_e32 v101, v102, v99
	v_mul_f32_e32 v103, v101, v101
	s_delay_alu instid0(VALU_DEP_1) | instskip(SKIP_2) | instid1(VALU_DEP_3)
	v_fmaak_f32 v112, s23, v103, 0x3ecc95a3
	v_mul_f32_e32 v113, v101, v103
	v_cmp_eq_f32_e64 s23, 0x7f800000, v100
	v_fmaak_f32 v103, v103, v112, 0x3f2aaada
	v_ldexp_f32 v112, v101, 1
	v_sub_f32_e32 v101, v101, v102
	s_delay_alu instid0(VALU_DEP_4) | instskip(NEXT) | instid1(VALU_DEP_3)
	s_or_b32 s23, s23, s25
	v_mul_f32_e32 v103, v113, v103
	v_mul_f32_e32 v113, 0x3f317218, v98
	s_delay_alu instid0(VALU_DEP_2) | instskip(NEXT) | instid1(VALU_DEP_1)
	v_dual_sub_f32 v99, v99, v101 :: v_dual_add_f32 v102, v112, v103
	v_ldexp_f32 v99, v99, 1
	s_delay_alu instid0(VALU_DEP_2) | instskip(NEXT) | instid1(VALU_DEP_4)
	v_sub_f32_e32 v101, v102, v112
	v_fma_f32 v112, 0x3f317218, v98, -v113
	s_delay_alu instid0(VALU_DEP_1) | instskip(NEXT) | instid1(VALU_DEP_1)
	v_dual_sub_f32 v101, v103, v101 :: v_dual_fmamk_f32 v98, v98, 0xb102e308, v112
	v_add_f32_e32 v99, v99, v101
	s_delay_alu instid0(VALU_DEP_2) | instskip(NEXT) | instid1(VALU_DEP_2)
	v_add_f32_e32 v101, v113, v98
	v_add_f32_e32 v103, v102, v99
	s_delay_alu instid0(VALU_DEP_2) | instskip(NEXT) | instid1(VALU_DEP_2)
	v_sub_f32_e32 v113, v101, v113
	v_add_f32_e32 v112, v101, v103
	v_sub_f32_e32 v102, v103, v102
	s_delay_alu instid0(VALU_DEP_3) | instskip(NEXT) | instid1(VALU_DEP_2)
	v_sub_f32_e32 v98, v98, v113
	v_dual_sub_f32 v114, v112, v101 :: v_dual_sub_f32 v99, v99, v102
	s_delay_alu instid0(VALU_DEP_1) | instskip(NEXT) | instid1(VALU_DEP_2)
	v_sub_f32_e32 v115, v112, v114
	v_dual_sub_f32 v102, v103, v114 :: v_dual_add_f32 v103, v98, v99
	s_delay_alu instid0(VALU_DEP_2) | instskip(NEXT) | instid1(VALU_DEP_1)
	v_sub_f32_e32 v101, v101, v115
	v_dual_add_f32 v101, v102, v101 :: v_dual_sub_f32 v102, v103, v98
	s_delay_alu instid0(VALU_DEP_1) | instskip(NEXT) | instid1(VALU_DEP_2)
	v_add_f32_e32 v101, v103, v101
	v_sub_f32_e32 v103, v103, v102
	v_sub_f32_e32 v99, v99, v102
	s_delay_alu instid0(VALU_DEP_2) | instskip(NEXT) | instid1(VALU_DEP_1)
	v_dual_add_f32 v113, v112, v101 :: v_dual_sub_f32 v98, v98, v103
	v_sub_f32_e32 v102, v113, v112
	s_delay_alu instid0(VALU_DEP_2) | instskip(NEXT) | instid1(VALU_DEP_2)
	v_add_f32_e32 v98, v99, v98
	v_sub_f32_e32 v99, v101, v102
	s_delay_alu instid0(VALU_DEP_1) | instskip(NEXT) | instid1(VALU_DEP_1)
	v_add_f32_e32 v98, v98, v99
	v_add_f32_e32 v98, v113, v98
	s_delay_alu instid0(VALU_DEP_1) | instskip(NEXT) | instid1(VALU_DEP_1)
	v_cndmask_b32_e64 v98, v98, v100, s23
	v_add_f32_e32 v98, v97, v98
.LBB501_311:
	s_or_b32 exec_lo, exec_lo, s24
	s_delay_alu instid0(VALU_DEP_1) | instskip(SKIP_1) | instid1(VALU_DEP_2)
	v_bfe_u32 v97, v98, 16, 1
	v_cmp_o_f32_e64 s23, v98, v98
	v_add3_u32 v97, v98, v97, 0x7fff
	s_delay_alu instid0(VALU_DEP_1) | instskip(NEXT) | instid1(VALU_DEP_1)
	v_lshrrev_b32_e32 v97, 16, v97
	v_cndmask_b32_e64 v97, 0x7fc0, v97, s23
	ds_store_b16 v96, v97 offset:2
.LBB501_312:
	s_or_b32 exec_lo, exec_lo, s26
	s_waitcnt lgkmcnt(0)
	s_barrier
	buffer_gl0_inv
	s_and_saveexec_b32 s23, vcc_lo
	s_cbranch_execz .LBB501_314
; %bb.313:
	v_add_nc_u32_e32 v87, -1, v0
	s_delay_alu instid0(VALU_DEP_1) | instskip(NEXT) | instid1(VALU_DEP_1)
	v_lshrrev_b32_e32 v96, 5, v87
	v_add_lshl_u32 v87, v96, v87, 1
	ds_load_u16 v87, v87
.LBB501_314:
	s_or_b32 exec_lo, exec_lo, s23
	s_and_saveexec_b32 s23, vcc_lo
	s_cbranch_execz .LBB501_318
; %bb.315:
	s_waitcnt lgkmcnt(0)
	v_lshlrev_b32_e32 v54, 16, v87
	s_delay_alu instid0(VALU_DEP_1) | instskip(NEXT) | instid1(VALU_DEP_1)
	v_max_f32_e32 v18, v54, v54
	v_min_f32_e32 v55, v18, v86
	v_max_f32_e32 v18, v18, v86
	v_cmp_u_f32_e32 vcc_lo, v54, v54
	s_delay_alu instid0(VALU_DEP_3) | instskip(NEXT) | instid1(VALU_DEP_3)
	v_cndmask_b32_e32 v55, v55, v54, vcc_lo
	v_cndmask_b32_e32 v18, v18, v54, vcc_lo
	s_delay_alu instid0(VALU_DEP_2) | instskip(NEXT) | instid1(VALU_DEP_2)
	v_cndmask_b32_e64 v55, v55, v20, s22
	v_cndmask_b32_e64 v18, v18, v20, s22
	s_delay_alu instid0(VALU_DEP_2) | instskip(NEXT) | instid1(VALU_DEP_2)
	v_cmp_class_f32_e64 s22, v55, 0x1f8
	v_cmp_neq_f32_e32 vcc_lo, v55, v18
	s_delay_alu instid0(VALU_DEP_2) | instskip(NEXT) | instid1(SALU_CYCLE_1)
	s_or_b32 s24, vcc_lo, s22
	s_and_saveexec_b32 s22, s24
	s_cbranch_execz .LBB501_317
; %bb.316:
	v_sub_f32_e32 v20, v55, v18
	s_mov_b32 s24, 0x3e9b6dac
	s_delay_alu instid0(VALU_DEP_1) | instskip(SKIP_1) | instid1(VALU_DEP_2)
	v_mul_f32_e32 v54, 0x3fb8aa3b, v20
	v_cmp_ngt_f32_e32 vcc_lo, 0xc2ce8ed0, v20
	v_fma_f32 v55, 0x3fb8aa3b, v20, -v54
	v_rndne_f32_e32 v86, v54
	s_delay_alu instid0(VALU_DEP_1) | instskip(NEXT) | instid1(VALU_DEP_1)
	v_dual_fmamk_f32 v55, v20, 0x32a5705f, v55 :: v_dual_sub_f32 v54, v54, v86
	v_add_f32_e32 v54, v54, v55
	v_cvt_i32_f32_e32 v55, v86
	s_delay_alu instid0(VALU_DEP_2) | instskip(SKIP_2) | instid1(VALU_DEP_1)
	v_exp_f32_e32 v54, v54
	s_waitcnt_depctr 0xfff
	v_ldexp_f32 v54, v54, v55
	v_cndmask_b32_e32 v54, 0, v54, vcc_lo
	v_cmp_nlt_f32_e32 vcc_lo, 0x42b17218, v20
	s_delay_alu instid0(VALU_DEP_2) | instskip(NEXT) | instid1(VALU_DEP_1)
	v_cndmask_b32_e32 v20, 0x7f800000, v54, vcc_lo
	v_add_f32_e32 v86, 1.0, v20
	s_delay_alu instid0(VALU_DEP_1) | instskip(NEXT) | instid1(VALU_DEP_1)
	v_cvt_f64_f32_e32 v[54:55], v86
	v_frexp_exp_i32_f64_e32 v54, v[54:55]
	v_frexp_mant_f32_e32 v55, v86
	s_delay_alu instid0(VALU_DEP_1) | instskip(SKIP_1) | instid1(VALU_DEP_1)
	v_cmp_gt_f32_e32 vcc_lo, 0x3f2aaaab, v55
	v_add_f32_e32 v55, -1.0, v86
	v_dual_sub_f32 v96, v55, v86 :: v_dual_sub_f32 v55, v20, v55
	v_subrev_co_ci_u32_e32 v54, vcc_lo, 0, v54, vcc_lo
	s_delay_alu instid0(VALU_DEP_1) | instskip(SKIP_1) | instid1(VALU_DEP_2)
	v_sub_nc_u32_e32 v87, 0, v54
	v_cvt_f32_i32_e32 v54, v54
	v_ldexp_f32 v86, v86, v87
	s_delay_alu instid0(VALU_DEP_1) | instskip(NEXT) | instid1(VALU_DEP_1)
	v_dual_add_f32 v96, 1.0, v96 :: v_dual_add_f32 v97, 1.0, v86
	v_add_f32_e32 v55, v55, v96
	v_cmp_eq_f32_e32 vcc_lo, 0x7f800000, v20
	s_delay_alu instid0(VALU_DEP_2) | instskip(NEXT) | instid1(VALU_DEP_4)
	v_ldexp_f32 v55, v55, v87
	v_dual_add_f32 v87, -1.0, v86 :: v_dual_add_f32 v96, -1.0, v97
	s_delay_alu instid0(VALU_DEP_1) | instskip(NEXT) | instid1(VALU_DEP_2)
	v_add_f32_e32 v98, 1.0, v87
	v_sub_f32_e32 v96, v86, v96
	s_delay_alu instid0(VALU_DEP_2) | instskip(NEXT) | instid1(VALU_DEP_2)
	v_sub_f32_e32 v86, v86, v98
	v_add_f32_e32 v96, v55, v96
	s_delay_alu instid0(VALU_DEP_2) | instskip(NEXT) | instid1(VALU_DEP_1)
	v_add_f32_e32 v55, v55, v86
	v_dual_add_f32 v99, v87, v55 :: v_dual_add_f32 v98, v97, v96
	s_delay_alu instid0(VALU_DEP_1) | instskip(NEXT) | instid1(VALU_DEP_2)
	v_sub_f32_e32 v87, v87, v99
	v_rcp_f32_e32 v86, v98
	v_sub_f32_e32 v97, v97, v98
	s_delay_alu instid0(VALU_DEP_1) | instskip(SKIP_2) | instid1(VALU_DEP_1)
	v_dual_add_f32 v55, v55, v87 :: v_dual_add_f32 v96, v96, v97
	s_waitcnt_depctr 0xfff
	v_mul_f32_e32 v100, v99, v86
	v_mul_f32_e32 v101, v98, v100
	s_delay_alu instid0(VALU_DEP_1) | instskip(NEXT) | instid1(VALU_DEP_1)
	v_fma_f32 v97, v100, v98, -v101
	v_fmac_f32_e32 v97, v100, v96
	s_delay_alu instid0(VALU_DEP_1) | instskip(NEXT) | instid1(VALU_DEP_1)
	v_add_f32_e32 v102, v101, v97
	v_sub_f32_e32 v103, v99, v102
	v_sub_f32_e32 v87, v102, v101
	s_delay_alu instid0(VALU_DEP_2) | instskip(NEXT) | instid1(VALU_DEP_2)
	v_sub_f32_e32 v99, v99, v103
	v_sub_f32_e32 v87, v87, v97
	s_delay_alu instid0(VALU_DEP_2) | instskip(NEXT) | instid1(VALU_DEP_1)
	v_sub_f32_e32 v99, v99, v102
	v_add_f32_e32 v55, v55, v99
	s_delay_alu instid0(VALU_DEP_1) | instskip(NEXT) | instid1(VALU_DEP_1)
	v_add_f32_e32 v55, v87, v55
	v_add_f32_e32 v87, v103, v55
	s_delay_alu instid0(VALU_DEP_1) | instskip(NEXT) | instid1(VALU_DEP_1)
	v_mul_f32_e32 v97, v86, v87
	v_dual_sub_f32 v102, v103, v87 :: v_dual_mul_f32 v99, v98, v97
	s_delay_alu instid0(VALU_DEP_1) | instskip(NEXT) | instid1(VALU_DEP_2)
	v_add_f32_e32 v55, v55, v102
	v_fma_f32 v98, v97, v98, -v99
	s_delay_alu instid0(VALU_DEP_1) | instskip(NEXT) | instid1(VALU_DEP_1)
	v_fmac_f32_e32 v98, v97, v96
	v_add_f32_e32 v96, v99, v98
	s_delay_alu instid0(VALU_DEP_1) | instskip(NEXT) | instid1(VALU_DEP_1)
	v_sub_f32_e32 v101, v87, v96
	v_sub_f32_e32 v87, v87, v101
	s_delay_alu instid0(VALU_DEP_1) | instskip(NEXT) | instid1(VALU_DEP_1)
	v_sub_f32_e32 v87, v87, v96
	v_add_f32_e32 v55, v55, v87
	v_add_f32_e32 v87, v100, v97
	v_sub_f32_e32 v99, v96, v99
	s_delay_alu instid0(VALU_DEP_1) | instskip(NEXT) | instid1(VALU_DEP_1)
	v_sub_f32_e32 v96, v99, v98
	v_dual_add_f32 v55, v96, v55 :: v_dual_sub_f32 v96, v87, v100
	s_delay_alu instid0(VALU_DEP_1) | instskip(NEXT) | instid1(VALU_DEP_1)
	v_add_f32_e32 v55, v101, v55
	v_dual_sub_f32 v96, v97, v96 :: v_dual_mul_f32 v55, v86, v55
	s_delay_alu instid0(VALU_DEP_1) | instskip(NEXT) | instid1(VALU_DEP_1)
	v_add_f32_e32 v55, v96, v55
	v_add_f32_e32 v86, v87, v55
	s_delay_alu instid0(VALU_DEP_1) | instskip(NEXT) | instid1(VALU_DEP_1)
	v_mul_f32_e32 v96, v86, v86
	v_fmaak_f32 v97, s24, v96, 0x3ecc95a3
	v_mul_f32_e32 v98, v86, v96
	v_cmp_gt_f32_e64 s24, 0x33800000, |v20|
	s_delay_alu instid0(VALU_DEP_3) | instskip(SKIP_2) | instid1(VALU_DEP_4)
	v_fmaak_f32 v96, v96, v97, 0x3f2aaada
	v_ldexp_f32 v97, v86, 1
	v_sub_f32_e32 v86, v86, v87
	s_or_b32 vcc_lo, vcc_lo, s24
	s_delay_alu instid0(VALU_DEP_3) | instskip(SKIP_1) | instid1(VALU_DEP_3)
	v_mul_f32_e32 v96, v98, v96
	v_mul_f32_e32 v98, 0x3f317218, v54
	v_sub_f32_e32 v55, v55, v86
	s_delay_alu instid0(VALU_DEP_3) | instskip(NEXT) | instid1(VALU_DEP_2)
	v_add_f32_e32 v87, v97, v96
	v_ldexp_f32 v55, v55, 1
	s_delay_alu instid0(VALU_DEP_2) | instskip(SKIP_1) | instid1(VALU_DEP_2)
	v_sub_f32_e32 v86, v87, v97
	v_fma_f32 v97, 0x3f317218, v54, -v98
	v_sub_f32_e32 v86, v96, v86
	s_delay_alu instid0(VALU_DEP_1) | instskip(NEXT) | instid1(VALU_DEP_1)
	v_dual_fmamk_f32 v54, v54, 0xb102e308, v97 :: v_dual_add_f32 v55, v55, v86
	v_add_f32_e32 v86, v98, v54
	s_delay_alu instid0(VALU_DEP_2) | instskip(NEXT) | instid1(VALU_DEP_1)
	v_add_f32_e32 v96, v87, v55
	v_add_f32_e32 v97, v86, v96
	s_delay_alu instid0(VALU_DEP_1) | instskip(SKIP_1) | instid1(VALU_DEP_2)
	v_sub_f32_e32 v99, v97, v86
	v_dual_sub_f32 v98, v86, v98 :: v_dual_sub_f32 v87, v96, v87
	v_sub_f32_e32 v100, v97, v99
	s_delay_alu instid0(VALU_DEP_1) | instskip(NEXT) | instid1(VALU_DEP_3)
	v_sub_f32_e32 v86, v86, v100
	v_dual_sub_f32 v54, v54, v98 :: v_dual_sub_f32 v55, v55, v87
	v_sub_f32_e32 v87, v96, v99
	s_delay_alu instid0(VALU_DEP_2) | instskip(NEXT) | instid1(VALU_DEP_2)
	v_add_f32_e32 v96, v54, v55
	v_add_f32_e32 v86, v87, v86
	s_delay_alu instid0(VALU_DEP_2) | instskip(NEXT) | instid1(VALU_DEP_2)
	v_sub_f32_e32 v87, v96, v54
	v_add_f32_e32 v86, v96, v86
	s_delay_alu instid0(VALU_DEP_1) | instskip(NEXT) | instid1(VALU_DEP_3)
	v_add_f32_e32 v98, v97, v86
	v_sub_f32_e32 v96, v96, v87
	s_delay_alu instid0(VALU_DEP_1) | instskip(NEXT) | instid1(VALU_DEP_1)
	v_dual_sub_f32 v54, v54, v96 :: v_dual_sub_f32 v55, v55, v87
	v_dual_sub_f32 v87, v98, v97 :: v_dual_add_f32 v54, v55, v54
	s_delay_alu instid0(VALU_DEP_1) | instskip(NEXT) | instid1(VALU_DEP_1)
	v_sub_f32_e32 v55, v86, v87
	v_add_f32_e32 v54, v54, v55
	s_delay_alu instid0(VALU_DEP_1) | instskip(NEXT) | instid1(VALU_DEP_1)
	v_add_f32_e32 v54, v98, v54
	v_cndmask_b32_e32 v20, v54, v20, vcc_lo
	s_delay_alu instid0(VALU_DEP_1)
	v_add_f32_e32 v54, v18, v20
.LBB501_317:
	s_or_b32 exec_lo, exec_lo, s22
	s_delay_alu instid0(VALU_DEP_1) | instskip(SKIP_2) | instid1(VALU_DEP_2)
	v_bfe_u32 v18, v54, 16, 1
	v_cmp_o_f32_e32 vcc_lo, v54, v54
	;;#ASMSTART
	;;#ASMEND
	v_add3_u32 v18, v54, v18, 0x7fff
	s_delay_alu instid0(VALU_DEP_1) | instskip(NEXT) | instid1(VALU_DEP_1)
	v_lshrrev_b32_e32 v18, 16, v18
	v_cndmask_b32_e32 v18, 0x7fc0, v18, vcc_lo
	s_delay_alu instid0(VALU_DEP_1) | instskip(NEXT) | instid1(VALU_DEP_1)
	v_lshlrev_b32_e32 v20, 16, v18
	v_max_f32_e32 v55, v20, v20
	s_delay_alu instid0(VALU_DEP_1)
	v_min_f32_e32 v54, v55, v19
	v_max_f32_e32 v55, v55, v19
.LBB501_318:
	s_or_b32 exec_lo, exec_lo, s23
	v_cmp_u_f32_e32 vcc_lo, v20, v20
	s_delay_alu instid0(VALU_DEP_3) | instskip(NEXT) | instid1(VALU_DEP_3)
	v_cndmask_b32_e32 v19, v54, v20, vcc_lo
	v_cndmask_b32_e32 v54, v55, v20, vcc_lo
	s_delay_alu instid0(VALU_DEP_2) | instskip(NEXT) | instid1(VALU_DEP_2)
	v_cndmask_b32_e64 v19, v19, v13, s1
	v_cndmask_b32_e64 v13, v54, v13, s1
	s_delay_alu instid0(VALU_DEP_2) | instskip(NEXT) | instid1(VALU_DEP_2)
	v_cmp_class_f32_e64 s1, v19, 0x1f8
	v_cmp_neq_f32_e32 vcc_lo, v19, v13
	s_delay_alu instid0(VALU_DEP_2) | instskip(NEXT) | instid1(SALU_CYCLE_1)
	s_or_b32 s22, vcc_lo, s1
	s_and_saveexec_b32 s1, s22
	s_cbranch_execz .LBB501_320
; %bb.319:
	v_sub_f32_e32 v19, v19, v13
	s_mov_b32 s22, 0x3e9b6dac
	s_delay_alu instid0(VALU_DEP_1) | instskip(NEXT) | instid1(VALU_DEP_1)
	v_mul_f32_e32 v20, 0x3fb8aa3b, v19
	v_fma_f32 v54, 0x3fb8aa3b, v19, -v20
	v_rndne_f32_e32 v55, v20
	s_delay_alu instid0(VALU_DEP_1) | instskip(NEXT) | instid1(VALU_DEP_3)
	v_sub_f32_e32 v20, v20, v55
	v_fmamk_f32 v54, v19, 0x32a5705f, v54
	v_cmp_ngt_f32_e32 vcc_lo, 0xc2ce8ed0, v19
	s_delay_alu instid0(VALU_DEP_2) | instskip(SKIP_1) | instid1(VALU_DEP_2)
	v_add_f32_e32 v20, v20, v54
	v_cvt_i32_f32_e32 v54, v55
	v_exp_f32_e32 v20, v20
	s_waitcnt_depctr 0xfff
	v_ldexp_f32 v20, v20, v54
	s_delay_alu instid0(VALU_DEP_1) | instskip(SKIP_1) | instid1(VALU_DEP_2)
	v_cndmask_b32_e32 v20, 0, v20, vcc_lo
	v_cmp_nlt_f32_e32 vcc_lo, 0x42b17218, v19
	v_cndmask_b32_e32 v54, 0x7f800000, v20, vcc_lo
	s_delay_alu instid0(VALU_DEP_1) | instskip(NEXT) | instid1(VALU_DEP_1)
	v_add_f32_e32 v55, 1.0, v54
	v_cvt_f64_f32_e32 v[19:20], v55
	s_delay_alu instid0(VALU_DEP_1) | instskip(SKIP_1) | instid1(VALU_DEP_1)
	v_frexp_exp_i32_f64_e32 v19, v[19:20]
	v_frexp_mant_f32_e32 v20, v55
	v_cmp_gt_f32_e32 vcc_lo, 0x3f2aaaab, v20
	v_add_f32_e32 v20, -1.0, v55
	s_waitcnt lgkmcnt(0)
	s_delay_alu instid0(VALU_DEP_1) | instskip(NEXT) | instid1(VALU_DEP_1)
	v_sub_f32_e32 v87, v20, v55
	v_add_f32_e32 v87, 1.0, v87
	v_subrev_co_ci_u32_e32 v19, vcc_lo, 0, v19, vcc_lo
	s_delay_alu instid0(VALU_DEP_1) | instskip(SKIP_1) | instid1(VALU_DEP_2)
	v_sub_nc_u32_e32 v86, 0, v19
	v_cvt_f32_i32_e32 v19, v19
	v_ldexp_f32 v55, v55, v86
	v_sub_f32_e32 v20, v54, v20
	s_delay_alu instid0(VALU_DEP_2) | instskip(NEXT) | instid1(VALU_DEP_1)
	v_add_f32_e32 v96, 1.0, v55
	v_dual_add_f32 v20, v20, v87 :: v_dual_add_f32 v87, -1.0, v96
	s_delay_alu instid0(VALU_DEP_1) | instskip(SKIP_1) | instid1(VALU_DEP_3)
	v_ldexp_f32 v20, v20, v86
	v_add_f32_e32 v86, -1.0, v55
	v_sub_f32_e32 v87, v55, v87
	s_delay_alu instid0(VALU_DEP_2) | instskip(SKIP_1) | instid1(VALU_DEP_3)
	v_add_f32_e32 v97, 1.0, v86
	v_cmp_eq_f32_e32 vcc_lo, 0x7f800000, v54
	v_add_f32_e32 v87, v20, v87
	s_delay_alu instid0(VALU_DEP_3) | instskip(NEXT) | instid1(VALU_DEP_1)
	v_sub_f32_e32 v55, v55, v97
	v_add_f32_e32 v20, v20, v55
	s_delay_alu instid0(VALU_DEP_1) | instskip(NEXT) | instid1(VALU_DEP_1)
	v_dual_add_f32 v98, v86, v20 :: v_dual_add_f32 v97, v96, v87
	v_rcp_f32_e32 v55, v97
	v_sub_f32_e32 v96, v96, v97
	s_delay_alu instid0(VALU_DEP_1) | instskip(SKIP_2) | instid1(VALU_DEP_1)
	v_add_f32_e32 v87, v87, v96
	s_waitcnt_depctr 0xfff
	v_mul_f32_e32 v99, v98, v55
	v_mul_f32_e32 v100, v97, v99
	s_delay_alu instid0(VALU_DEP_1) | instskip(NEXT) | instid1(VALU_DEP_1)
	v_fma_f32 v96, v99, v97, -v100
	v_fmac_f32_e32 v96, v99, v87
	s_delay_alu instid0(VALU_DEP_1) | instskip(NEXT) | instid1(VALU_DEP_1)
	v_dual_add_f32 v101, v100, v96 :: v_dual_sub_f32 v86, v86, v98
	v_sub_f32_e32 v102, v98, v101
	s_delay_alu instid0(VALU_DEP_2) | instskip(SKIP_1) | instid1(VALU_DEP_3)
	v_add_f32_e32 v20, v20, v86
	v_sub_f32_e32 v86, v101, v100
	v_sub_f32_e32 v98, v98, v102
	s_delay_alu instid0(VALU_DEP_2) | instskip(NEXT) | instid1(VALU_DEP_2)
	v_sub_f32_e32 v86, v86, v96
	v_sub_f32_e32 v98, v98, v101
	s_delay_alu instid0(VALU_DEP_1) | instskip(NEXT) | instid1(VALU_DEP_1)
	v_add_f32_e32 v20, v20, v98
	v_add_f32_e32 v20, v86, v20
	s_delay_alu instid0(VALU_DEP_1) | instskip(NEXT) | instid1(VALU_DEP_1)
	v_add_f32_e32 v86, v102, v20
	v_mul_f32_e32 v96, v55, v86
	s_delay_alu instid0(VALU_DEP_1) | instskip(NEXT) | instid1(VALU_DEP_1)
	v_dual_sub_f32 v101, v102, v86 :: v_dual_mul_f32 v98, v97, v96
	v_add_f32_e32 v20, v20, v101
	s_delay_alu instid0(VALU_DEP_2) | instskip(NEXT) | instid1(VALU_DEP_1)
	v_fma_f32 v97, v96, v97, -v98
	v_fmac_f32_e32 v97, v96, v87
	s_delay_alu instid0(VALU_DEP_1) | instskip(NEXT) | instid1(VALU_DEP_1)
	v_add_f32_e32 v87, v98, v97
	v_sub_f32_e32 v100, v86, v87
	v_sub_f32_e32 v98, v87, v98
	s_delay_alu instid0(VALU_DEP_2) | instskip(NEXT) | instid1(VALU_DEP_1)
	v_sub_f32_e32 v86, v86, v100
	v_sub_f32_e32 v86, v86, v87
	s_delay_alu instid0(VALU_DEP_1) | instskip(SKIP_1) | instid1(VALU_DEP_1)
	v_dual_sub_f32 v87, v98, v97 :: v_dual_add_f32 v20, v20, v86
	v_add_f32_e32 v86, v99, v96
	v_dual_add_f32 v20, v87, v20 :: v_dual_sub_f32 v87, v86, v99
	s_delay_alu instid0(VALU_DEP_1) | instskip(NEXT) | instid1(VALU_DEP_1)
	v_add_f32_e32 v20, v100, v20
	v_dual_sub_f32 v87, v96, v87 :: v_dual_mul_f32 v20, v55, v20
	s_delay_alu instid0(VALU_DEP_1) | instskip(NEXT) | instid1(VALU_DEP_1)
	v_add_f32_e32 v20, v87, v20
	v_add_f32_e32 v55, v86, v20
	s_delay_alu instid0(VALU_DEP_1) | instskip(NEXT) | instid1(VALU_DEP_1)
	v_mul_f32_e32 v87, v55, v55
	v_fmaak_f32 v96, s22, v87, 0x3ecc95a3
	v_mul_f32_e32 v97, v55, v87
	v_cmp_gt_f32_e64 s22, 0x33800000, |v54|
	s_delay_alu instid0(VALU_DEP_3) | instskip(SKIP_2) | instid1(VALU_DEP_4)
	v_fmaak_f32 v87, v87, v96, 0x3f2aaada
	v_ldexp_f32 v96, v55, 1
	v_sub_f32_e32 v55, v55, v86
	s_or_b32 vcc_lo, vcc_lo, s22
	s_delay_alu instid0(VALU_DEP_3) | instskip(SKIP_1) | instid1(VALU_DEP_3)
	v_mul_f32_e32 v87, v97, v87
	v_mul_f32_e32 v97, 0x3f317218, v19
	v_sub_f32_e32 v20, v20, v55
	s_delay_alu instid0(VALU_DEP_3) | instskip(NEXT) | instid1(VALU_DEP_2)
	v_add_f32_e32 v86, v96, v87
	v_ldexp_f32 v20, v20, 1
	s_delay_alu instid0(VALU_DEP_2) | instskip(SKIP_1) | instid1(VALU_DEP_2)
	v_sub_f32_e32 v55, v86, v96
	v_fma_f32 v96, 0x3f317218, v19, -v97
	v_sub_f32_e32 v55, v87, v55
	s_delay_alu instid0(VALU_DEP_1) | instskip(NEXT) | instid1(VALU_DEP_1)
	v_dual_fmamk_f32 v19, v19, 0xb102e308, v96 :: v_dual_add_f32 v20, v20, v55
	v_add_f32_e32 v55, v97, v19
	s_delay_alu instid0(VALU_DEP_2) | instskip(NEXT) | instid1(VALU_DEP_2)
	v_add_f32_e32 v87, v86, v20
	v_sub_f32_e32 v97, v55, v97
	s_delay_alu instid0(VALU_DEP_2) | instskip(SKIP_1) | instid1(VALU_DEP_2)
	v_add_f32_e32 v96, v55, v87
	v_sub_f32_e32 v86, v87, v86
	v_dual_sub_f32 v19, v19, v97 :: v_dual_sub_f32 v98, v96, v55
	s_delay_alu instid0(VALU_DEP_2) | instskip(NEXT) | instid1(VALU_DEP_2)
	v_sub_f32_e32 v20, v20, v86
	v_sub_f32_e32 v99, v96, v98
	;; [unrolled: 1-line block ×3, first 2 shown]
	s_delay_alu instid0(VALU_DEP_3) | instskip(NEXT) | instid1(VALU_DEP_3)
	v_add_f32_e32 v87, v19, v20
	v_sub_f32_e32 v55, v55, v99
	s_delay_alu instid0(VALU_DEP_1) | instskip(NEXT) | instid1(VALU_DEP_3)
	v_add_f32_e32 v55, v86, v55
	v_sub_f32_e32 v86, v87, v19
	s_delay_alu instid0(VALU_DEP_2) | instskip(NEXT) | instid1(VALU_DEP_2)
	v_add_f32_e32 v55, v87, v55
	v_sub_f32_e32 v87, v87, v86
	v_sub_f32_e32 v20, v20, v86
	s_delay_alu instid0(VALU_DEP_3) | instskip(NEXT) | instid1(VALU_DEP_1)
	v_add_f32_e32 v97, v96, v55
	v_dual_sub_f32 v19, v19, v87 :: v_dual_sub_f32 v86, v97, v96
	s_delay_alu instid0(VALU_DEP_1) | instskip(NEXT) | instid1(VALU_DEP_1)
	v_dual_add_f32 v19, v20, v19 :: v_dual_sub_f32 v20, v55, v86
	v_add_f32_e32 v19, v19, v20
	s_delay_alu instid0(VALU_DEP_1) | instskip(NEXT) | instid1(VALU_DEP_1)
	v_add_f32_e32 v19, v97, v19
	v_cndmask_b32_e32 v19, v19, v54, vcc_lo
	s_delay_alu instid0(VALU_DEP_1)
	v_add_f32_e32 v20, v13, v19
.LBB501_320:
	s_or_b32 exec_lo, exec_lo, s1
	s_delay_alu instid0(VALU_DEP_1) | instskip(SKIP_1) | instid1(VALU_DEP_2)
	v_bfe_u32 v13, v20, 16, 1
	v_cmp_o_f32_e32 vcc_lo, v20, v20
	v_add3_u32 v13, v20, v13, 0x7fff
	s_delay_alu instid0(VALU_DEP_1) | instskip(NEXT) | instid1(VALU_DEP_1)
	v_lshrrev_b32_e32 v13, 16, v13
	v_cndmask_b32_e32 v19, 0x7fc0, v13, vcc_lo
	s_delay_alu instid0(VALU_DEP_1) | instskip(NEXT) | instid1(VALU_DEP_1)
	v_lshlrev_b32_e32 v13, 16, v19
	v_max_f32_e32 v20, v13, v13
	v_cmp_u_f32_e32 vcc_lo, v13, v13
	s_delay_alu instid0(VALU_DEP_2) | instskip(NEXT) | instid1(VALU_DEP_1)
	v_min_f32_e32 v54, v20, v7
	v_dual_max_f32 v7, v20, v7 :: v_dual_cndmask_b32 v20, v54, v13
	s_delay_alu instid0(VALU_DEP_1) | instskip(NEXT) | instid1(VALU_DEP_2)
	v_cndmask_b32_e32 v54, v7, v13, vcc_lo
	v_cndmask_b32_e64 v7, v20, v2, s2
	s_delay_alu instid0(VALU_DEP_2) | instskip(NEXT) | instid1(VALU_DEP_2)
	v_cndmask_b32_e64 v2, v54, v2, s2
	v_cmp_class_f32_e64 s1, v7, 0x1f8
	s_delay_alu instid0(VALU_DEP_2) | instskip(NEXT) | instid1(VALU_DEP_2)
	v_cmp_neq_f32_e32 vcc_lo, v7, v2
	s_or_b32 s2, vcc_lo, s1
	s_delay_alu instid0(SALU_CYCLE_1)
	s_and_saveexec_b32 s1, s2
	s_cbranch_execz .LBB501_322
; %bb.321:
	v_sub_f32_e32 v7, v7, v2
	s_mov_b32 s2, 0x3e9b6dac
	s_delay_alu instid0(VALU_DEP_1) | instskip(SKIP_1) | instid1(VALU_DEP_2)
	v_mul_f32_e32 v13, 0x3fb8aa3b, v7
	v_cmp_ngt_f32_e32 vcc_lo, 0xc2ce8ed0, v7
	v_fma_f32 v20, 0x3fb8aa3b, v7, -v13
	v_rndne_f32_e32 v54, v13
	s_delay_alu instid0(VALU_DEP_1) | instskip(NEXT) | instid1(VALU_DEP_1)
	v_dual_fmamk_f32 v20, v7, 0x32a5705f, v20 :: v_dual_sub_f32 v13, v13, v54
	v_add_f32_e32 v13, v13, v20
	v_cvt_i32_f32_e32 v20, v54
	s_delay_alu instid0(VALU_DEP_2) | instskip(SKIP_2) | instid1(VALU_DEP_1)
	v_exp_f32_e32 v13, v13
	s_waitcnt_depctr 0xfff
	v_ldexp_f32 v13, v13, v20
	v_cndmask_b32_e32 v13, 0, v13, vcc_lo
	v_cmp_nlt_f32_e32 vcc_lo, 0x42b17218, v7
	s_delay_alu instid0(VALU_DEP_2) | instskip(NEXT) | instid1(VALU_DEP_1)
	v_cndmask_b32_e32 v7, 0x7f800000, v13, vcc_lo
	v_add_f32_e32 v13, 1.0, v7
	s_delay_alu instid0(VALU_DEP_1) | instskip(NEXT) | instid1(VALU_DEP_1)
	v_cvt_f64_f32_e32 v[54:55], v13
	v_frexp_exp_i32_f64_e32 v20, v[54:55]
	v_frexp_mant_f32_e32 v54, v13
	s_delay_alu instid0(VALU_DEP_1) | instskip(SKIP_1) | instid1(VALU_DEP_1)
	v_cmp_gt_f32_e32 vcc_lo, 0x3f2aaaab, v54
	v_add_f32_e32 v54, -1.0, v13
	v_sub_f32_e32 v86, v54, v13
	v_sub_f32_e32 v54, v7, v54
	s_delay_alu instid0(VALU_DEP_2) | instskip(NEXT) | instid1(VALU_DEP_1)
	v_add_f32_e32 v86, 1.0, v86
	v_add_f32_e32 v54, v54, v86
	v_subrev_co_ci_u32_e32 v20, vcc_lo, 0, v20, vcc_lo
	s_delay_alu instid0(VALU_DEP_1) | instskip(SKIP_1) | instid1(VALU_DEP_2)
	v_sub_nc_u32_e32 v55, 0, v20
	v_cvt_f32_i32_e32 v20, v20
	v_ldexp_f32 v13, v13, v55
	v_ldexp_f32 v54, v54, v55
	s_waitcnt lgkmcnt(0)
	s_delay_alu instid0(VALU_DEP_2) | instskip(NEXT) | instid1(VALU_DEP_1)
	v_add_f32_e32 v87, 1.0, v13
	v_add_f32_e32 v86, -1.0, v87
	v_cmp_eq_f32_e32 vcc_lo, 0x7f800000, v7
	s_delay_alu instid0(VALU_DEP_2) | instskip(NEXT) | instid1(VALU_DEP_1)
	v_sub_f32_e32 v86, v13, v86
	v_dual_add_f32 v86, v54, v86 :: v_dual_add_f32 v55, -1.0, v13
	s_delay_alu instid0(VALU_DEP_1) | instskip(NEXT) | instid1(VALU_DEP_1)
	v_add_f32_e32 v96, 1.0, v55
	v_dual_sub_f32 v13, v13, v96 :: v_dual_add_f32 v96, v87, v86
	s_delay_alu instid0(VALU_DEP_1) | instskip(NEXT) | instid1(VALU_DEP_2)
	v_add_f32_e32 v13, v54, v13
	v_rcp_f32_e32 v54, v96
	v_sub_f32_e32 v87, v87, v96
	s_delay_alu instid0(VALU_DEP_1) | instskip(SKIP_2) | instid1(VALU_DEP_1)
	v_dual_add_f32 v97, v55, v13 :: v_dual_add_f32 v86, v86, v87
	s_waitcnt_depctr 0xfff
	v_dual_sub_f32 v55, v55, v97 :: v_dual_mul_f32 v98, v97, v54
	v_add_f32_e32 v13, v13, v55
	s_delay_alu instid0(VALU_DEP_2) | instskip(NEXT) | instid1(VALU_DEP_1)
	v_mul_f32_e32 v99, v96, v98
	v_fma_f32 v87, v98, v96, -v99
	s_delay_alu instid0(VALU_DEP_1) | instskip(NEXT) | instid1(VALU_DEP_1)
	v_fmac_f32_e32 v87, v98, v86
	v_add_f32_e32 v100, v99, v87
	s_delay_alu instid0(VALU_DEP_1) | instskip(NEXT) | instid1(VALU_DEP_1)
	v_sub_f32_e32 v101, v97, v100
	v_sub_f32_e32 v97, v97, v101
	;; [unrolled: 1-line block ×3, first 2 shown]
	s_delay_alu instid0(VALU_DEP_2) | instskip(NEXT) | instid1(VALU_DEP_2)
	v_sub_f32_e32 v97, v97, v100
	v_sub_f32_e32 v55, v55, v87
	s_delay_alu instid0(VALU_DEP_2) | instskip(NEXT) | instid1(VALU_DEP_1)
	v_add_f32_e32 v13, v13, v97
	v_add_f32_e32 v13, v55, v13
	s_delay_alu instid0(VALU_DEP_1) | instskip(NEXT) | instid1(VALU_DEP_1)
	v_add_f32_e32 v55, v101, v13
	v_mul_f32_e32 v87, v54, v55
	s_delay_alu instid0(VALU_DEP_1) | instskip(NEXT) | instid1(VALU_DEP_1)
	v_mul_f32_e32 v97, v96, v87
	v_fma_f32 v96, v87, v96, -v97
	s_delay_alu instid0(VALU_DEP_1) | instskip(SKIP_1) | instid1(VALU_DEP_2)
	v_fmac_f32_e32 v96, v87, v86
	v_sub_f32_e32 v100, v101, v55
	v_add_f32_e32 v86, v97, v96
	s_delay_alu instid0(VALU_DEP_2) | instskip(NEXT) | instid1(VALU_DEP_2)
	v_add_f32_e32 v13, v13, v100
	v_sub_f32_e32 v99, v55, v86
	v_sub_f32_e32 v97, v86, v97
	s_delay_alu instid0(VALU_DEP_2) | instskip(NEXT) | instid1(VALU_DEP_1)
	v_sub_f32_e32 v55, v55, v99
	v_dual_sub_f32 v55, v55, v86 :: v_dual_sub_f32 v86, v97, v96
	s_delay_alu instid0(VALU_DEP_1) | instskip(SKIP_1) | instid1(VALU_DEP_1)
	v_add_f32_e32 v13, v13, v55
	v_add_f32_e32 v55, v98, v87
	v_dual_add_f32 v13, v86, v13 :: v_dual_sub_f32 v86, v55, v98
	s_delay_alu instid0(VALU_DEP_1) | instskip(NEXT) | instid1(VALU_DEP_1)
	v_add_f32_e32 v13, v99, v13
	v_dual_sub_f32 v86, v87, v86 :: v_dual_mul_f32 v13, v54, v13
	s_delay_alu instid0(VALU_DEP_1) | instskip(NEXT) | instid1(VALU_DEP_1)
	v_add_f32_e32 v13, v86, v13
	v_add_f32_e32 v54, v55, v13
	s_delay_alu instid0(VALU_DEP_1) | instskip(NEXT) | instid1(VALU_DEP_1)
	v_mul_f32_e32 v86, v54, v54
	v_fmaak_f32 v87, s2, v86, 0x3ecc95a3
	v_mul_f32_e32 v96, v54, v86
	v_cmp_gt_f32_e64 s2, 0x33800000, |v7|
	s_delay_alu instid0(VALU_DEP_3) | instskip(SKIP_2) | instid1(VALU_DEP_4)
	v_fmaak_f32 v86, v86, v87, 0x3f2aaada
	v_ldexp_f32 v87, v54, 1
	v_sub_f32_e32 v54, v54, v55
	s_or_b32 vcc_lo, vcc_lo, s2
	s_delay_alu instid0(VALU_DEP_3) | instskip(NEXT) | instid1(VALU_DEP_2)
	v_mul_f32_e32 v86, v96, v86
	v_dual_mul_f32 v96, 0x3f317218, v20 :: v_dual_sub_f32 v13, v13, v54
	s_delay_alu instid0(VALU_DEP_2) | instskip(NEXT) | instid1(VALU_DEP_2)
	v_add_f32_e32 v55, v87, v86
	v_ldexp_f32 v13, v13, 1
	s_delay_alu instid0(VALU_DEP_2) | instskip(NEXT) | instid1(VALU_DEP_4)
	v_sub_f32_e32 v54, v55, v87
	v_fma_f32 v87, 0x3f317218, v20, -v96
	s_delay_alu instid0(VALU_DEP_2) | instskip(NEXT) | instid1(VALU_DEP_1)
	v_sub_f32_e32 v54, v86, v54
	v_dual_fmamk_f32 v20, v20, 0xb102e308, v87 :: v_dual_add_f32 v13, v13, v54
	s_delay_alu instid0(VALU_DEP_1) | instskip(NEXT) | instid1(VALU_DEP_2)
	v_add_f32_e32 v54, v96, v20
	v_add_f32_e32 v86, v55, v13
	s_delay_alu instid0(VALU_DEP_2) | instskip(NEXT) | instid1(VALU_DEP_2)
	v_sub_f32_e32 v96, v54, v96
	v_add_f32_e32 v87, v54, v86
	s_delay_alu instid0(VALU_DEP_2) | instskip(NEXT) | instid1(VALU_DEP_2)
	v_dual_sub_f32 v55, v86, v55 :: v_dual_sub_f32 v20, v20, v96
	v_sub_f32_e32 v97, v87, v54
	s_delay_alu instid0(VALU_DEP_1) | instskip(SKIP_1) | instid1(VALU_DEP_2)
	v_dual_sub_f32 v13, v13, v55 :: v_dual_sub_f32 v98, v87, v97
	v_sub_f32_e32 v55, v86, v97
	v_add_f32_e32 v86, v20, v13
	s_delay_alu instid0(VALU_DEP_3) | instskip(NEXT) | instid1(VALU_DEP_1)
	v_sub_f32_e32 v54, v54, v98
	v_dual_add_f32 v54, v55, v54 :: v_dual_sub_f32 v55, v86, v20
	s_delay_alu instid0(VALU_DEP_1) | instskip(NEXT) | instid1(VALU_DEP_2)
	v_add_f32_e32 v54, v86, v54
	v_sub_f32_e32 v86, v86, v55
	s_delay_alu instid0(VALU_DEP_2) | instskip(NEXT) | instid1(VALU_DEP_2)
	v_dual_sub_f32 v13, v13, v55 :: v_dual_add_f32 v96, v87, v54
	v_sub_f32_e32 v20, v20, v86
	s_delay_alu instid0(VALU_DEP_2) | instskip(NEXT) | instid1(VALU_DEP_1)
	v_sub_f32_e32 v55, v96, v87
	v_dual_add_f32 v13, v13, v20 :: v_dual_sub_f32 v20, v54, v55
	s_delay_alu instid0(VALU_DEP_1) | instskip(NEXT) | instid1(VALU_DEP_1)
	v_add_f32_e32 v13, v13, v20
	v_add_f32_e32 v13, v96, v13
	s_delay_alu instid0(VALU_DEP_1) | instskip(NEXT) | instid1(VALU_DEP_1)
	v_cndmask_b32_e32 v7, v13, v7, vcc_lo
	v_add_f32_e32 v13, v2, v7
.LBB501_322:
	s_or_b32 exec_lo, exec_lo, s1
	s_delay_alu instid0(VALU_DEP_1) | instskip(SKIP_1) | instid1(VALU_DEP_2)
	v_bfe_u32 v2, v13, 16, 1
	v_cmp_o_f32_e32 vcc_lo, v13, v13
	v_add3_u32 v2, v13, v2, 0x7fff
	s_delay_alu instid0(VALU_DEP_1) | instskip(NEXT) | instid1(VALU_DEP_1)
	v_lshrrev_b32_e32 v2, 16, v2
	v_cndmask_b32_e32 v20, 0x7fc0, v2, vcc_lo
	s_delay_alu instid0(VALU_DEP_1) | instskip(NEXT) | instid1(VALU_DEP_1)
	v_lshlrev_b32_e32 v7, 16, v20
	v_max_f32_e32 v2, v7, v7
	s_delay_alu instid0(VALU_DEP_1) | instskip(SKIP_2) | instid1(VALU_DEP_3)
	v_min_f32_e32 v13, v2, v21
	v_max_f32_e32 v2, v2, v21
	v_cmp_u_f32_e32 vcc_lo, v7, v7
	v_cndmask_b32_e32 v13, v13, v7, vcc_lo
	s_delay_alu instid0(VALU_DEP_3) | instskip(NEXT) | instid1(VALU_DEP_2)
	v_cndmask_b32_e32 v2, v2, v7, vcc_lo
	v_cndmask_b32_e64 v13, v13, v3, s3
	s_delay_alu instid0(VALU_DEP_2) | instskip(NEXT) | instid1(VALU_DEP_2)
	v_cndmask_b32_e64 v2, v2, v3, s3
	v_cmp_class_f32_e64 s1, v13, 0x1f8
	s_delay_alu instid0(VALU_DEP_2) | instskip(NEXT) | instid1(VALU_DEP_2)
	v_cmp_neq_f32_e32 vcc_lo, v13, v2
	s_or_b32 s2, vcc_lo, s1
	s_delay_alu instid0(SALU_CYCLE_1)
	s_and_saveexec_b32 s1, s2
	s_cbranch_execz .LBB501_324
; %bb.323:
	v_sub_f32_e32 v3, v13, v2
	s_mov_b32 s2, 0x3e9b6dac
	s_delay_alu instid0(VALU_DEP_1) | instskip(SKIP_1) | instid1(VALU_DEP_2)
	v_mul_f32_e32 v7, 0x3fb8aa3b, v3
	v_cmp_ngt_f32_e32 vcc_lo, 0xc2ce8ed0, v3
	v_fma_f32 v13, 0x3fb8aa3b, v3, -v7
	v_rndne_f32_e32 v21, v7
	s_delay_alu instid0(VALU_DEP_2) | instskip(NEXT) | instid1(VALU_DEP_2)
	v_fmamk_f32 v13, v3, 0x32a5705f, v13
	v_sub_f32_e32 v7, v7, v21
	s_delay_alu instid0(VALU_DEP_1) | instskip(SKIP_1) | instid1(VALU_DEP_2)
	v_add_f32_e32 v7, v7, v13
	v_cvt_i32_f32_e32 v13, v21
	v_exp_f32_e32 v7, v7
	s_waitcnt_depctr 0xfff
	v_ldexp_f32 v7, v7, v13
	s_delay_alu instid0(VALU_DEP_1) | instskip(SKIP_1) | instid1(VALU_DEP_2)
	v_cndmask_b32_e32 v7, 0, v7, vcc_lo
	v_cmp_nlt_f32_e32 vcc_lo, 0x42b17218, v3
	v_cndmask_b32_e32 v3, 0x7f800000, v7, vcc_lo
	s_delay_alu instid0(VALU_DEP_1) | instskip(NEXT) | instid1(VALU_DEP_1)
	v_add_f32_e32 v7, 1.0, v3
	v_cvt_f64_f32_e32 v[54:55], v7
	v_frexp_mant_f32_e32 v21, v7
	s_delay_alu instid0(VALU_DEP_1) | instskip(SKIP_1) | instid1(VALU_DEP_4)
	v_cmp_gt_f32_e32 vcc_lo, 0x3f2aaaab, v21
	v_add_f32_e32 v21, -1.0, v7
	v_frexp_exp_i32_f64_e32 v13, v[54:55]
	s_delay_alu instid0(VALU_DEP_2) | instskip(SKIP_1) | instid1(VALU_DEP_2)
	v_sub_f32_e32 v55, v21, v7
	v_sub_f32_e32 v21, v3, v21
	v_add_f32_e32 v55, 1.0, v55
	s_delay_alu instid0(VALU_DEP_1) | instskip(SKIP_1) | instid1(VALU_DEP_1)
	v_add_f32_e32 v21, v21, v55
	v_subrev_co_ci_u32_e32 v13, vcc_lo, 0, v13, vcc_lo
	v_sub_nc_u32_e32 v54, 0, v13
	v_cvt_f32_i32_e32 v13, v13
	s_delay_alu instid0(VALU_DEP_2) | instskip(SKIP_1) | instid1(VALU_DEP_2)
	v_ldexp_f32 v7, v7, v54
	v_ldexp_f32 v21, v21, v54
	v_add_f32_e32 v86, 1.0, v7
	s_delay_alu instid0(VALU_DEP_1) | instskip(SKIP_1) | instid1(VALU_DEP_1)
	v_dual_add_f32 v54, -1.0, v7 :: v_dual_add_f32 v55, -1.0, v86
	s_waitcnt lgkmcnt(0)
	v_add_f32_e32 v87, 1.0, v54
	s_delay_alu instid0(VALU_DEP_2) | instskip(NEXT) | instid1(VALU_DEP_2)
	v_sub_f32_e32 v55, v7, v55
	v_sub_f32_e32 v7, v7, v87
	s_delay_alu instid0(VALU_DEP_2) | instskip(NEXT) | instid1(VALU_DEP_2)
	v_add_f32_e32 v55, v21, v55
	v_add_f32_e32 v7, v21, v7
	s_delay_alu instid0(VALU_DEP_2) | instskip(NEXT) | instid1(VALU_DEP_2)
	v_add_f32_e32 v87, v86, v55
	v_add_f32_e32 v96, v54, v7
	s_delay_alu instid0(VALU_DEP_2) | instskip(SKIP_1) | instid1(VALU_DEP_1)
	v_rcp_f32_e32 v21, v87
	v_sub_f32_e32 v86, v86, v87
	v_dual_sub_f32 v54, v54, v96 :: v_dual_add_f32 v55, v55, v86
	s_delay_alu instid0(VALU_DEP_1) | instskip(SKIP_2) | instid1(VALU_DEP_1)
	v_add_f32_e32 v7, v7, v54
	s_waitcnt_depctr 0xfff
	v_mul_f32_e32 v97, v96, v21
	v_mul_f32_e32 v98, v87, v97
	s_delay_alu instid0(VALU_DEP_1) | instskip(NEXT) | instid1(VALU_DEP_1)
	v_fma_f32 v86, v97, v87, -v98
	v_fmac_f32_e32 v86, v97, v55
	s_delay_alu instid0(VALU_DEP_1) | instskip(NEXT) | instid1(VALU_DEP_1)
	v_add_f32_e32 v99, v98, v86
	v_sub_f32_e32 v100, v96, v99
	v_sub_f32_e32 v54, v99, v98
	s_delay_alu instid0(VALU_DEP_2) | instskip(NEXT) | instid1(VALU_DEP_2)
	v_sub_f32_e32 v96, v96, v100
	v_sub_f32_e32 v54, v54, v86
	v_cmp_eq_f32_e32 vcc_lo, 0x7f800000, v3
	s_delay_alu instid0(VALU_DEP_3) | instskip(NEXT) | instid1(VALU_DEP_1)
	v_sub_f32_e32 v96, v96, v99
	v_add_f32_e32 v7, v7, v96
	s_delay_alu instid0(VALU_DEP_1) | instskip(NEXT) | instid1(VALU_DEP_1)
	v_add_f32_e32 v7, v54, v7
	v_add_f32_e32 v54, v100, v7
	s_delay_alu instid0(VALU_DEP_1) | instskip(SKIP_1) | instid1(VALU_DEP_2)
	v_mul_f32_e32 v86, v21, v54
	v_sub_f32_e32 v99, v100, v54
	v_mul_f32_e32 v96, v87, v86
	s_delay_alu instid0(VALU_DEP_2) | instskip(NEXT) | instid1(VALU_DEP_2)
	v_add_f32_e32 v7, v7, v99
	v_fma_f32 v87, v86, v87, -v96
	s_delay_alu instid0(VALU_DEP_1) | instskip(NEXT) | instid1(VALU_DEP_1)
	v_fmac_f32_e32 v87, v86, v55
	v_add_f32_e32 v55, v96, v87
	s_delay_alu instid0(VALU_DEP_1) | instskip(SKIP_1) | instid1(VALU_DEP_2)
	v_sub_f32_e32 v98, v54, v55
	v_sub_f32_e32 v96, v55, v96
	v_sub_f32_e32 v54, v54, v98
	s_delay_alu instid0(VALU_DEP_1) | instskip(NEXT) | instid1(VALU_DEP_3)
	v_sub_f32_e32 v54, v54, v55
	v_sub_f32_e32 v55, v96, v87
	s_delay_alu instid0(VALU_DEP_2) | instskip(NEXT) | instid1(VALU_DEP_1)
	v_add_f32_e32 v7, v7, v54
	v_dual_add_f32 v54, v97, v86 :: v_dual_add_f32 v7, v55, v7
	s_delay_alu instid0(VALU_DEP_1) | instskip(NEXT) | instid1(VALU_DEP_2)
	v_sub_f32_e32 v55, v54, v97
	v_add_f32_e32 v7, v98, v7
	s_delay_alu instid0(VALU_DEP_2) | instskip(NEXT) | instid1(VALU_DEP_2)
	v_sub_f32_e32 v55, v86, v55
	v_mul_f32_e32 v7, v21, v7
	s_delay_alu instid0(VALU_DEP_1) | instskip(NEXT) | instid1(VALU_DEP_1)
	v_add_f32_e32 v7, v55, v7
	v_add_f32_e32 v21, v54, v7
	s_delay_alu instid0(VALU_DEP_1) | instskip(NEXT) | instid1(VALU_DEP_1)
	v_mul_f32_e32 v55, v21, v21
	v_fmaak_f32 v86, s2, v55, 0x3ecc95a3
	v_mul_f32_e32 v87, v21, v55
	v_cmp_gt_f32_e64 s2, 0x33800000, |v3|
	s_delay_alu instid0(VALU_DEP_3) | instskip(SKIP_2) | instid1(VALU_DEP_4)
	v_fmaak_f32 v55, v55, v86, 0x3f2aaada
	v_ldexp_f32 v86, v21, 1
	v_sub_f32_e32 v21, v21, v54
	s_or_b32 vcc_lo, vcc_lo, s2
	s_delay_alu instid0(VALU_DEP_3) | instskip(SKIP_1) | instid1(VALU_DEP_2)
	v_mul_f32_e32 v55, v87, v55
	v_mul_f32_e32 v87, 0x3f317218, v13
	v_dual_sub_f32 v7, v7, v21 :: v_dual_add_f32 v54, v86, v55
	s_delay_alu instid0(VALU_DEP_1) | instskip(NEXT) | instid1(VALU_DEP_2)
	v_ldexp_f32 v7, v7, 1
	v_sub_f32_e32 v21, v54, v86
	s_delay_alu instid0(VALU_DEP_4) | instskip(NEXT) | instid1(VALU_DEP_2)
	v_fma_f32 v86, 0x3f317218, v13, -v87
	v_sub_f32_e32 v21, v55, v21
	s_delay_alu instid0(VALU_DEP_2) | instskip(NEXT) | instid1(VALU_DEP_2)
	v_fmamk_f32 v13, v13, 0xb102e308, v86
	v_add_f32_e32 v7, v7, v21
	s_delay_alu instid0(VALU_DEP_2) | instskip(NEXT) | instid1(VALU_DEP_2)
	v_add_f32_e32 v21, v87, v13
	v_add_f32_e32 v55, v54, v7
	s_delay_alu instid0(VALU_DEP_2) | instskip(NEXT) | instid1(VALU_DEP_2)
	v_sub_f32_e32 v87, v21, v87
	v_add_f32_e32 v86, v21, v55
	s_delay_alu instid0(VALU_DEP_2) | instskip(NEXT) | instid1(VALU_DEP_1)
	v_dual_sub_f32 v54, v55, v54 :: v_dual_sub_f32 v13, v13, v87
	v_dual_sub_f32 v96, v86, v21 :: v_dual_sub_f32 v7, v7, v54
	s_delay_alu instid0(VALU_DEP_1) | instskip(NEXT) | instid1(VALU_DEP_2)
	v_sub_f32_e32 v97, v86, v96
	v_dual_sub_f32 v54, v55, v96 :: v_dual_add_f32 v55, v13, v7
	s_delay_alu instid0(VALU_DEP_2) | instskip(NEXT) | instid1(VALU_DEP_1)
	v_sub_f32_e32 v21, v21, v97
	v_add_f32_e32 v21, v54, v21
	s_delay_alu instid0(VALU_DEP_3) | instskip(NEXT) | instid1(VALU_DEP_2)
	v_sub_f32_e32 v54, v55, v13
	v_add_f32_e32 v21, v55, v21
	s_delay_alu instid0(VALU_DEP_2) | instskip(SKIP_1) | instid1(VALU_DEP_3)
	v_sub_f32_e32 v55, v55, v54
	v_sub_f32_e32 v7, v7, v54
	v_add_f32_e32 v87, v86, v21
	s_delay_alu instid0(VALU_DEP_1) | instskip(NEXT) | instid1(VALU_DEP_1)
	v_dual_sub_f32 v13, v13, v55 :: v_dual_sub_f32 v54, v87, v86
	v_add_f32_e32 v7, v7, v13
	s_delay_alu instid0(VALU_DEP_2) | instskip(NEXT) | instid1(VALU_DEP_1)
	v_sub_f32_e32 v13, v21, v54
	v_add_f32_e32 v7, v7, v13
	s_delay_alu instid0(VALU_DEP_1) | instskip(NEXT) | instid1(VALU_DEP_1)
	v_add_f32_e32 v7, v87, v7
	v_cndmask_b32_e32 v3, v7, v3, vcc_lo
	s_delay_alu instid0(VALU_DEP_1)
	v_add_f32_e32 v7, v2, v3
.LBB501_324:
	s_or_b32 exec_lo, exec_lo, s1
	s_delay_alu instid0(VALU_DEP_1) | instskip(SKIP_1) | instid1(VALU_DEP_2)
	v_bfe_u32 v2, v7, 16, 1
	v_cmp_o_f32_e32 vcc_lo, v7, v7
	v_add3_u32 v2, v7, v2, 0x7fff
	s_delay_alu instid0(VALU_DEP_1) | instskip(NEXT) | instid1(VALU_DEP_1)
	v_lshrrev_b32_e32 v2, 16, v2
	v_cndmask_b32_e32 v21, 0x7fc0, v2, vcc_lo
	s_delay_alu instid0(VALU_DEP_1) | instskip(NEXT) | instid1(VALU_DEP_1)
	v_lshlrev_b32_e32 v3, 16, v21
	v_max_f32_e32 v2, v3, v3
	s_delay_alu instid0(VALU_DEP_1) | instskip(SKIP_2) | instid1(VALU_DEP_3)
	v_min_f32_e32 v7, v2, v51
	v_max_f32_e32 v2, v2, v51
	v_cmp_u_f32_e32 vcc_lo, v3, v3
	v_cndmask_b32_e32 v7, v7, v3, vcc_lo
	s_delay_alu instid0(VALU_DEP_3) | instskip(NEXT) | instid1(VALU_DEP_2)
	v_cndmask_b32_e32 v2, v2, v3, vcc_lo
	v_cndmask_b32_e64 v7, v7, v6, s4
	s_delay_alu instid0(VALU_DEP_2) | instskip(NEXT) | instid1(VALU_DEP_2)
	v_cndmask_b32_e64 v2, v2, v6, s4
	v_cmp_class_f32_e64 s1, v7, 0x1f8
	s_delay_alu instid0(VALU_DEP_2) | instskip(NEXT) | instid1(VALU_DEP_2)
	v_cmp_neq_f32_e32 vcc_lo, v7, v2
	s_or_b32 s2, vcc_lo, s1
	s_delay_alu instid0(SALU_CYCLE_1)
	s_and_saveexec_b32 s1, s2
	s_cbranch_execz .LBB501_326
; %bb.325:
	v_sub_f32_e32 v3, v7, v2
	s_mov_b32 s2, 0x3e9b6dac
	s_delay_alu instid0(VALU_DEP_1) | instskip(NEXT) | instid1(VALU_DEP_1)
	v_mul_f32_e32 v6, 0x3fb8aa3b, v3
	v_fma_f32 v7, 0x3fb8aa3b, v3, -v6
	v_rndne_f32_e32 v13, v6
	s_delay_alu instid0(VALU_DEP_1) | instskip(SKIP_1) | instid1(VALU_DEP_4)
	v_sub_f32_e32 v6, v6, v13
	v_cmp_ngt_f32_e32 vcc_lo, 0xc2ce8ed0, v3
	v_fmamk_f32 v7, v3, 0x32a5705f, v7
	s_delay_alu instid0(VALU_DEP_1) | instskip(SKIP_1) | instid1(VALU_DEP_2)
	v_add_f32_e32 v6, v6, v7
	v_cvt_i32_f32_e32 v7, v13
	v_exp_f32_e32 v6, v6
	s_waitcnt_depctr 0xfff
	v_ldexp_f32 v6, v6, v7
	s_delay_alu instid0(VALU_DEP_1) | instskip(SKIP_1) | instid1(VALU_DEP_2)
	v_cndmask_b32_e32 v6, 0, v6, vcc_lo
	v_cmp_nlt_f32_e32 vcc_lo, 0x42b17218, v3
	v_cndmask_b32_e32 v3, 0x7f800000, v6, vcc_lo
	s_delay_alu instid0(VALU_DEP_1) | instskip(NEXT) | instid1(VALU_DEP_1)
	v_add_f32_e32 v13, 1.0, v3
	v_cvt_f64_f32_e32 v[6:7], v13
	s_delay_alu instid0(VALU_DEP_1) | instskip(SKIP_1) | instid1(VALU_DEP_1)
	v_frexp_exp_i32_f64_e32 v6, v[6:7]
	v_frexp_mant_f32_e32 v7, v13
	v_cmp_gt_f32_e32 vcc_lo, 0x3f2aaaab, v7
	v_add_f32_e32 v7, -1.0, v13
	s_delay_alu instid0(VALU_DEP_1) | instskip(NEXT) | instid1(VALU_DEP_1)
	v_sub_f32_e32 v54, v7, v13
	v_add_f32_e32 v54, 1.0, v54
	v_subrev_co_ci_u32_e32 v6, vcc_lo, 0, v6, vcc_lo
	v_cmp_eq_f32_e32 vcc_lo, 0x7f800000, v3
	s_delay_alu instid0(VALU_DEP_2) | instskip(SKIP_1) | instid1(VALU_DEP_2)
	v_sub_nc_u32_e32 v51, 0, v6
	v_cvt_f32_i32_e32 v6, v6
	v_ldexp_f32 v13, v13, v51
	v_sub_f32_e32 v7, v3, v7
	s_delay_alu instid0(VALU_DEP_2) | instskip(NEXT) | instid1(VALU_DEP_1)
	v_add_f32_e32 v55, 1.0, v13
	v_dual_add_f32 v7, v7, v54 :: v_dual_add_f32 v54, -1.0, v55
	s_delay_alu instid0(VALU_DEP_1) | instskip(NEXT) | instid1(VALU_DEP_2)
	v_ldexp_f32 v7, v7, v51
	v_dual_sub_f32 v54, v13, v54 :: v_dual_add_f32 v51, -1.0, v13
	s_delay_alu instid0(VALU_DEP_1) | instskip(NEXT) | instid1(VALU_DEP_2)
	v_add_f32_e32 v54, v7, v54
	v_add_f32_e32 v86, 1.0, v51
	s_delay_alu instid0(VALU_DEP_1) | instskip(NEXT) | instid1(VALU_DEP_3)
	v_sub_f32_e32 v13, v13, v86
	v_add_f32_e32 v86, v55, v54
	s_delay_alu instid0(VALU_DEP_1) | instskip(NEXT) | instid1(VALU_DEP_1)
	v_sub_f32_e32 v55, v55, v86
	v_dual_add_f32 v54, v54, v55 :: v_dual_add_f32 v7, v7, v13
	v_rcp_f32_e32 v13, v86
	s_waitcnt lgkmcnt(0)
	s_delay_alu instid0(VALU_DEP_1) | instskip(NEXT) | instid1(VALU_DEP_1)
	v_add_f32_e32 v87, v51, v7
	v_sub_f32_e32 v51, v51, v87
	s_waitcnt_depctr 0xfff
	v_mul_f32_e32 v96, v87, v13
	v_add_f32_e32 v7, v7, v51
	s_delay_alu instid0(VALU_DEP_2) | instskip(NEXT) | instid1(VALU_DEP_1)
	v_mul_f32_e32 v97, v86, v96
	v_fma_f32 v55, v96, v86, -v97
	s_delay_alu instid0(VALU_DEP_1) | instskip(NEXT) | instid1(VALU_DEP_1)
	v_fmac_f32_e32 v55, v96, v54
	v_add_f32_e32 v98, v97, v55
	s_delay_alu instid0(VALU_DEP_1) | instskip(SKIP_1) | instid1(VALU_DEP_2)
	v_sub_f32_e32 v99, v87, v98
	v_sub_f32_e32 v51, v98, v97
	;; [unrolled: 1-line block ×3, first 2 shown]
	s_delay_alu instid0(VALU_DEP_2) | instskip(NEXT) | instid1(VALU_DEP_2)
	v_sub_f32_e32 v51, v51, v55
	v_sub_f32_e32 v87, v87, v98
	s_delay_alu instid0(VALU_DEP_1) | instskip(NEXT) | instid1(VALU_DEP_1)
	v_add_f32_e32 v7, v7, v87
	v_add_f32_e32 v7, v51, v7
	s_delay_alu instid0(VALU_DEP_1) | instskip(NEXT) | instid1(VALU_DEP_1)
	v_add_f32_e32 v51, v99, v7
	v_mul_f32_e32 v55, v13, v51
	v_sub_f32_e32 v98, v99, v51
	s_delay_alu instid0(VALU_DEP_2) | instskip(NEXT) | instid1(VALU_DEP_2)
	v_mul_f32_e32 v87, v86, v55
	v_add_f32_e32 v7, v7, v98
	s_delay_alu instid0(VALU_DEP_2) | instskip(NEXT) | instid1(VALU_DEP_1)
	v_fma_f32 v86, v55, v86, -v87
	v_fmac_f32_e32 v86, v55, v54
	s_delay_alu instid0(VALU_DEP_1) | instskip(NEXT) | instid1(VALU_DEP_1)
	v_add_f32_e32 v54, v87, v86
	v_sub_f32_e32 v97, v51, v54
	s_delay_alu instid0(VALU_DEP_1) | instskip(NEXT) | instid1(VALU_DEP_1)
	v_sub_f32_e32 v51, v51, v97
	v_sub_f32_e32 v51, v51, v54
	s_delay_alu instid0(VALU_DEP_1) | instskip(SKIP_2) | instid1(VALU_DEP_1)
	v_add_f32_e32 v7, v7, v51
	v_add_f32_e32 v51, v96, v55
	v_sub_f32_e32 v87, v54, v87
	v_sub_f32_e32 v54, v87, v86
	s_delay_alu instid0(VALU_DEP_1) | instskip(NEXT) | instid1(VALU_DEP_1)
	v_dual_add_f32 v7, v54, v7 :: v_dual_sub_f32 v54, v51, v96
	v_dual_add_f32 v7, v97, v7 :: v_dual_sub_f32 v54, v55, v54
	s_delay_alu instid0(VALU_DEP_1) | instskip(NEXT) | instid1(VALU_DEP_1)
	v_mul_f32_e32 v7, v13, v7
	v_add_f32_e32 v7, v54, v7
	s_delay_alu instid0(VALU_DEP_1) | instskip(NEXT) | instid1(VALU_DEP_1)
	v_add_f32_e32 v13, v51, v7
	v_mul_f32_e32 v54, v13, v13
	s_delay_alu instid0(VALU_DEP_1) | instskip(SKIP_2) | instid1(VALU_DEP_3)
	v_fmaak_f32 v55, s2, v54, 0x3ecc95a3
	v_mul_f32_e32 v86, v13, v54
	v_cmp_gt_f32_e64 s2, 0x33800000, |v3|
	v_fmaak_f32 v54, v54, v55, 0x3f2aaada
	v_ldexp_f32 v55, v13, 1
	v_sub_f32_e32 v13, v13, v51
	s_delay_alu instid0(VALU_DEP_4) | instskip(NEXT) | instid1(VALU_DEP_3)
	s_or_b32 vcc_lo, vcc_lo, s2
	v_mul_f32_e32 v54, v86, v54
	s_delay_alu instid0(VALU_DEP_2) | instskip(NEXT) | instid1(VALU_DEP_2)
	v_dual_mul_f32 v86, 0x3f317218, v6 :: v_dual_sub_f32 v7, v7, v13
	v_add_f32_e32 v51, v55, v54
	s_delay_alu instid0(VALU_DEP_2) | instskip(NEXT) | instid1(VALU_DEP_2)
	v_ldexp_f32 v7, v7, 1
	v_sub_f32_e32 v13, v51, v55
	s_delay_alu instid0(VALU_DEP_4) | instskip(NEXT) | instid1(VALU_DEP_2)
	v_fma_f32 v55, 0x3f317218, v6, -v86
	v_sub_f32_e32 v13, v54, v13
	s_delay_alu instid0(VALU_DEP_1) | instskip(NEXT) | instid1(VALU_DEP_1)
	v_dual_fmamk_f32 v6, v6, 0xb102e308, v55 :: v_dual_add_f32 v7, v7, v13
	v_dual_add_f32 v13, v86, v6 :: v_dual_add_f32 v54, v51, v7
	s_delay_alu instid0(VALU_DEP_1) | instskip(NEXT) | instid1(VALU_DEP_2)
	v_sub_f32_e32 v86, v13, v86
	v_add_f32_e32 v55, v13, v54
	v_sub_f32_e32 v51, v54, v51
	s_delay_alu instid0(VALU_DEP_2) | instskip(NEXT) | instid1(VALU_DEP_2)
	v_dual_sub_f32 v6, v6, v86 :: v_dual_sub_f32 v87, v55, v13
	v_sub_f32_e32 v7, v7, v51
	s_delay_alu instid0(VALU_DEP_2) | instskip(SKIP_1) | instid1(VALU_DEP_2)
	v_sub_f32_e32 v96, v55, v87
	v_sub_f32_e32 v51, v54, v87
	v_dual_add_f32 v54, v6, v7 :: v_dual_sub_f32 v13, v13, v96
	s_delay_alu instid0(VALU_DEP_1) | instskip(NEXT) | instid1(VALU_DEP_2)
	v_add_f32_e32 v13, v51, v13
	v_sub_f32_e32 v51, v54, v6
	s_delay_alu instid0(VALU_DEP_2) | instskip(NEXT) | instid1(VALU_DEP_2)
	v_add_f32_e32 v13, v54, v13
	v_sub_f32_e32 v54, v54, v51
	v_sub_f32_e32 v7, v7, v51
	s_delay_alu instid0(VALU_DEP_3) | instskip(NEXT) | instid1(VALU_DEP_3)
	v_add_f32_e32 v86, v55, v13
	v_sub_f32_e32 v6, v6, v54
	s_delay_alu instid0(VALU_DEP_1) | instskip(NEXT) | instid1(VALU_DEP_1)
	v_dual_sub_f32 v51, v86, v55 :: v_dual_add_f32 v6, v7, v6
	v_sub_f32_e32 v7, v13, v51
	s_delay_alu instid0(VALU_DEP_1) | instskip(NEXT) | instid1(VALU_DEP_1)
	v_add_f32_e32 v6, v6, v7
	v_add_f32_e32 v6, v86, v6
	s_delay_alu instid0(VALU_DEP_1) | instskip(NEXT) | instid1(VALU_DEP_1)
	v_cndmask_b32_e32 v3, v6, v3, vcc_lo
	v_add_f32_e32 v3, v2, v3
.LBB501_326:
	s_or_b32 exec_lo, exec_lo, s1
	s_delay_alu instid0(VALU_DEP_1) | instskip(SKIP_1) | instid1(VALU_DEP_2)
	v_bfe_u32 v2, v3, 16, 1
	v_cmp_o_f32_e32 vcc_lo, v3, v3
	v_add3_u32 v2, v3, v2, 0x7fff
	s_delay_alu instid0(VALU_DEP_1) | instskip(NEXT) | instid1(VALU_DEP_1)
	v_lshrrev_b32_e32 v2, 16, v2
	v_cndmask_b32_e32 v54, 0x7fc0, v2, vcc_lo
	s_delay_alu instid0(VALU_DEP_1) | instskip(NEXT) | instid1(VALU_DEP_1)
	v_lshlrev_b32_e32 v3, 16, v54
	v_max_f32_e32 v2, v3, v3
	v_cmp_u_f32_e32 vcc_lo, v3, v3
	s_delay_alu instid0(VALU_DEP_2) | instskip(SKIP_1) | instid1(VALU_DEP_2)
	v_min_f32_e32 v6, v2, v50
	v_max_f32_e32 v2, v2, v50
	v_cndmask_b32_e32 v6, v6, v3, vcc_lo
	s_delay_alu instid0(VALU_DEP_2) | instskip(NEXT) | instid1(VALU_DEP_2)
	v_cndmask_b32_e32 v2, v2, v3, vcc_lo
	v_cndmask_b32_e64 v6, v6, v12, s5
	s_delay_alu instid0(VALU_DEP_2) | instskip(NEXT) | instid1(VALU_DEP_2)
	v_cndmask_b32_e64 v2, v2, v12, s5
	v_cmp_class_f32_e64 s1, v6, 0x1f8
	s_delay_alu instid0(VALU_DEP_2) | instskip(NEXT) | instid1(VALU_DEP_2)
	v_cmp_neq_f32_e32 vcc_lo, v6, v2
	s_or_b32 s2, vcc_lo, s1
	s_delay_alu instid0(SALU_CYCLE_1)
	s_and_saveexec_b32 s1, s2
	s_cbranch_execz .LBB501_328
; %bb.327:
	v_sub_f32_e32 v3, v6, v2
	s_mov_b32 s2, 0x3e9b6dac
	s_delay_alu instid0(VALU_DEP_1) | instskip(SKIP_1) | instid1(VALU_DEP_2)
	v_mul_f32_e32 v6, 0x3fb8aa3b, v3
	v_cmp_ngt_f32_e32 vcc_lo, 0xc2ce8ed0, v3
	v_fma_f32 v7, 0x3fb8aa3b, v3, -v6
	v_rndne_f32_e32 v12, v6
	s_delay_alu instid0(VALU_DEP_1) | instskip(NEXT) | instid1(VALU_DEP_1)
	v_dual_fmamk_f32 v7, v3, 0x32a5705f, v7 :: v_dual_sub_f32 v6, v6, v12
	v_add_f32_e32 v6, v6, v7
	v_cvt_i32_f32_e32 v7, v12
	s_delay_alu instid0(VALU_DEP_2) | instskip(SKIP_2) | instid1(VALU_DEP_1)
	v_exp_f32_e32 v6, v6
	s_waitcnt_depctr 0xfff
	v_ldexp_f32 v6, v6, v7
	v_cndmask_b32_e32 v6, 0, v6, vcc_lo
	v_cmp_nlt_f32_e32 vcc_lo, 0x42b17218, v3
	s_delay_alu instid0(VALU_DEP_2) | instskip(NEXT) | instid1(VALU_DEP_1)
	v_cndmask_b32_e32 v3, 0x7f800000, v6, vcc_lo
	v_add_f32_e32 v12, 1.0, v3
	s_delay_alu instid0(VALU_DEP_1) | instskip(NEXT) | instid1(VALU_DEP_1)
	v_cvt_f64_f32_e32 v[6:7], v12
	v_frexp_exp_i32_f64_e32 v6, v[6:7]
	v_frexp_mant_f32_e32 v7, v12
	s_delay_alu instid0(VALU_DEP_1) | instskip(SKIP_1) | instid1(VALU_DEP_1)
	v_cmp_gt_f32_e32 vcc_lo, 0x3f2aaaab, v7
	v_add_f32_e32 v7, -1.0, v12
	v_sub_f32_e32 v50, v7, v12
	s_delay_alu instid0(VALU_DEP_1) | instskip(NEXT) | instid1(VALU_DEP_1)
	v_dual_sub_f32 v7, v3, v7 :: v_dual_add_f32 v50, 1.0, v50
	v_add_f32_e32 v7, v7, v50
	v_subrev_co_ci_u32_e32 v6, vcc_lo, 0, v6, vcc_lo
	s_delay_alu instid0(VALU_DEP_1) | instskip(SKIP_1) | instid1(VALU_DEP_2)
	v_sub_nc_u32_e32 v13, 0, v6
	v_cvt_f32_i32_e32 v6, v6
	v_ldexp_f32 v12, v12, v13
	v_ldexp_f32 v7, v7, v13
	s_delay_alu instid0(VALU_DEP_2) | instskip(SKIP_1) | instid1(VALU_DEP_1)
	v_add_f32_e32 v13, -1.0, v12
	v_add_f32_e32 v51, 1.0, v12
	v_dual_add_f32 v55, 1.0, v13 :: v_dual_add_f32 v50, -1.0, v51
	v_cmp_eq_f32_e32 vcc_lo, 0x7f800000, v3
	s_delay_alu instid0(VALU_DEP_2) | instskip(NEXT) | instid1(VALU_DEP_1)
	v_sub_f32_e32 v50, v12, v50
	v_add_f32_e32 v50, v7, v50
	s_delay_alu instid0(VALU_DEP_1) | instskip(NEXT) | instid1(VALU_DEP_1)
	v_dual_sub_f32 v12, v12, v55 :: v_dual_add_f32 v55, v51, v50
	v_sub_f32_e32 v51, v51, v55
	s_delay_alu instid0(VALU_DEP_2) | instskip(SKIP_1) | instid1(VALU_DEP_1)
	v_add_f32_e32 v7, v7, v12
	v_rcp_f32_e32 v12, v55
	v_add_f32_e32 v86, v13, v7
	s_waitcnt lgkmcnt(0)
	s_waitcnt_depctr 0xfff
	v_mul_f32_e32 v87, v86, v12
	v_add_f32_e32 v50, v50, v51
	s_delay_alu instid0(VALU_DEP_2) | instskip(NEXT) | instid1(VALU_DEP_1)
	v_mul_f32_e32 v96, v55, v87
	v_fma_f32 v51, v87, v55, -v96
	s_delay_alu instid0(VALU_DEP_1) | instskip(SKIP_1) | instid1(VALU_DEP_2)
	v_fmac_f32_e32 v51, v87, v50
	v_sub_f32_e32 v13, v13, v86
	v_add_f32_e32 v97, v96, v51
	s_delay_alu instid0(VALU_DEP_2) | instskip(NEXT) | instid1(VALU_DEP_2)
	v_add_f32_e32 v7, v7, v13
	v_sub_f32_e32 v98, v86, v97
	s_delay_alu instid0(VALU_DEP_1) | instskip(NEXT) | instid1(VALU_DEP_1)
	v_dual_sub_f32 v86, v86, v98 :: v_dual_sub_f32 v13, v97, v96
	v_dual_sub_f32 v86, v86, v97 :: v_dual_sub_f32 v13, v13, v51
	s_delay_alu instid0(VALU_DEP_1) | instskip(NEXT) | instid1(VALU_DEP_1)
	v_add_f32_e32 v7, v7, v86
	v_add_f32_e32 v7, v13, v7
	s_delay_alu instid0(VALU_DEP_1) | instskip(NEXT) | instid1(VALU_DEP_1)
	v_add_f32_e32 v13, v98, v7
	v_mul_f32_e32 v51, v12, v13
	s_delay_alu instid0(VALU_DEP_1) | instskip(NEXT) | instid1(VALU_DEP_1)
	v_dual_sub_f32 v97, v98, v13 :: v_dual_mul_f32 v86, v55, v51
	v_add_f32_e32 v7, v7, v97
	s_delay_alu instid0(VALU_DEP_2) | instskip(NEXT) | instid1(VALU_DEP_1)
	v_fma_f32 v55, v51, v55, -v86
	v_fmac_f32_e32 v55, v51, v50
	s_delay_alu instid0(VALU_DEP_1) | instskip(NEXT) | instid1(VALU_DEP_1)
	v_add_f32_e32 v50, v86, v55
	v_sub_f32_e32 v96, v13, v50
	s_delay_alu instid0(VALU_DEP_1) | instskip(NEXT) | instid1(VALU_DEP_1)
	v_dual_sub_f32 v86, v50, v86 :: v_dual_sub_f32 v13, v13, v96
	v_dual_sub_f32 v13, v13, v50 :: v_dual_sub_f32 v50, v86, v55
	s_delay_alu instid0(VALU_DEP_1) | instskip(SKIP_1) | instid1(VALU_DEP_2)
	v_add_f32_e32 v7, v7, v13
	v_add_f32_e32 v13, v87, v51
	;; [unrolled: 1-line block ×3, first 2 shown]
	s_delay_alu instid0(VALU_DEP_2) | instskip(NEXT) | instid1(VALU_DEP_1)
	v_sub_f32_e32 v50, v13, v87
	v_dual_add_f32 v7, v96, v7 :: v_dual_sub_f32 v50, v51, v50
	s_delay_alu instid0(VALU_DEP_1) | instskip(NEXT) | instid1(VALU_DEP_1)
	v_mul_f32_e32 v7, v12, v7
	v_add_f32_e32 v7, v50, v7
	s_delay_alu instid0(VALU_DEP_1) | instskip(NEXT) | instid1(VALU_DEP_1)
	v_add_f32_e32 v12, v13, v7
	v_mul_f32_e32 v50, v12, v12
	s_delay_alu instid0(VALU_DEP_1) | instskip(SKIP_2) | instid1(VALU_DEP_3)
	v_fmaak_f32 v51, s2, v50, 0x3ecc95a3
	v_mul_f32_e32 v55, v12, v50
	v_cmp_gt_f32_e64 s2, 0x33800000, |v3|
	v_fmaak_f32 v50, v50, v51, 0x3f2aaada
	v_ldexp_f32 v51, v12, 1
	v_sub_f32_e32 v12, v12, v13
	s_delay_alu instid0(VALU_DEP_4) | instskip(NEXT) | instid1(VALU_DEP_3)
	s_or_b32 vcc_lo, vcc_lo, s2
	v_mul_f32_e32 v50, v55, v50
	v_mul_f32_e32 v55, 0x3f317218, v6
	s_delay_alu instid0(VALU_DEP_3) | instskip(NEXT) | instid1(VALU_DEP_3)
	v_sub_f32_e32 v7, v7, v12
	v_add_f32_e32 v13, v51, v50
	s_delay_alu instid0(VALU_DEP_2) | instskip(NEXT) | instid1(VALU_DEP_2)
	v_ldexp_f32 v7, v7, 1
	v_sub_f32_e32 v12, v13, v51
	v_fma_f32 v51, 0x3f317218, v6, -v55
	s_delay_alu instid0(VALU_DEP_2) | instskip(NEXT) | instid1(VALU_DEP_1)
	v_sub_f32_e32 v12, v50, v12
	v_dual_fmamk_f32 v6, v6, 0xb102e308, v51 :: v_dual_add_f32 v7, v7, v12
	s_delay_alu instid0(VALU_DEP_1) | instskip(NEXT) | instid1(VALU_DEP_1)
	v_add_f32_e32 v12, v55, v6
	v_sub_f32_e32 v55, v12, v55
	s_delay_alu instid0(VALU_DEP_1) | instskip(NEXT) | instid1(VALU_DEP_4)
	v_sub_f32_e32 v6, v6, v55
	v_add_f32_e32 v50, v13, v7
	s_delay_alu instid0(VALU_DEP_1) | instskip(NEXT) | instid1(VALU_DEP_1)
	v_sub_f32_e32 v13, v50, v13
	v_sub_f32_e32 v7, v7, v13
	v_add_f32_e32 v51, v12, v50
	s_delay_alu instid0(VALU_DEP_1) | instskip(NEXT) | instid1(VALU_DEP_1)
	v_sub_f32_e32 v86, v51, v12
	v_sub_f32_e32 v13, v50, v86
	s_delay_alu instid0(VALU_DEP_4) | instskip(NEXT) | instid1(VALU_DEP_1)
	v_dual_add_f32 v50, v6, v7 :: v_dual_sub_f32 v87, v51, v86
	v_sub_f32_e32 v12, v12, v87
	s_delay_alu instid0(VALU_DEP_1) | instskip(NEXT) | instid1(VALU_DEP_1)
	v_dual_add_f32 v12, v13, v12 :: v_dual_sub_f32 v13, v50, v6
	v_add_f32_e32 v12, v50, v12
	s_delay_alu instid0(VALU_DEP_2) | instskip(SKIP_1) | instid1(VALU_DEP_2)
	v_sub_f32_e32 v50, v50, v13
	v_sub_f32_e32 v7, v7, v13
	v_dual_add_f32 v55, v51, v12 :: v_dual_sub_f32 v6, v6, v50
	s_delay_alu instid0(VALU_DEP_1) | instskip(NEXT) | instid1(VALU_DEP_1)
	v_sub_f32_e32 v13, v55, v51
	v_dual_add_f32 v6, v7, v6 :: v_dual_sub_f32 v7, v12, v13
	s_delay_alu instid0(VALU_DEP_1) | instskip(NEXT) | instid1(VALU_DEP_1)
	v_add_f32_e32 v6, v6, v7
	v_add_f32_e32 v6, v55, v6
	s_delay_alu instid0(VALU_DEP_1) | instskip(NEXT) | instid1(VALU_DEP_1)
	v_cndmask_b32_e32 v3, v6, v3, vcc_lo
	v_add_f32_e32 v3, v2, v3
.LBB501_328:
	s_or_b32 exec_lo, exec_lo, s1
	s_delay_alu instid0(VALU_DEP_1) | instskip(SKIP_1) | instid1(VALU_DEP_2)
	v_bfe_u32 v2, v3, 16, 1
	v_cmp_o_f32_e32 vcc_lo, v3, v3
	v_add3_u32 v2, v3, v2, 0x7fff
	s_delay_alu instid0(VALU_DEP_1) | instskip(NEXT) | instid1(VALU_DEP_1)
	v_lshrrev_b32_e32 v2, 16, v2
	v_cndmask_b32_e32 v55, 0x7fc0, v2, vcc_lo
	s_delay_alu instid0(VALU_DEP_1) | instskip(NEXT) | instid1(VALU_DEP_1)
	v_lshlrev_b32_e32 v3, 16, v55
	v_max_f32_e32 v2, v3, v3
	s_delay_alu instid0(VALU_DEP_1) | instskip(SKIP_2) | instid1(VALU_DEP_3)
	v_min_f32_e32 v6, v2, v52
	v_max_f32_e32 v2, v2, v52
	v_cmp_u_f32_e32 vcc_lo, v3, v3
	v_cndmask_b32_e32 v6, v6, v3, vcc_lo
	s_delay_alu instid0(VALU_DEP_3) | instskip(NEXT) | instid1(VALU_DEP_2)
	v_cndmask_b32_e32 v2, v2, v3, vcc_lo
	v_cndmask_b32_e64 v6, v6, v49, s6
	s_delay_alu instid0(VALU_DEP_2) | instskip(NEXT) | instid1(VALU_DEP_2)
	v_cndmask_b32_e64 v2, v2, v49, s6
	v_cmp_class_f32_e64 s1, v6, 0x1f8
	s_delay_alu instid0(VALU_DEP_2) | instskip(NEXT) | instid1(VALU_DEP_2)
	v_cmp_neq_f32_e32 vcc_lo, v6, v2
	s_or_b32 s2, vcc_lo, s1
	s_delay_alu instid0(SALU_CYCLE_1)
	s_and_saveexec_b32 s1, s2
	s_cbranch_execz .LBB501_330
; %bb.329:
	v_sub_f32_e32 v3, v6, v2
	s_mov_b32 s2, 0x3e9b6dac
	s_delay_alu instid0(VALU_DEP_1) | instskip(SKIP_1) | instid1(VALU_DEP_2)
	v_mul_f32_e32 v6, 0x3fb8aa3b, v3
	v_cmp_ngt_f32_e32 vcc_lo, 0xc2ce8ed0, v3
	v_fma_f32 v7, 0x3fb8aa3b, v3, -v6
	v_rndne_f32_e32 v12, v6
	s_delay_alu instid0(VALU_DEP_1) | instskip(NEXT) | instid1(VALU_DEP_1)
	v_dual_fmamk_f32 v7, v3, 0x32a5705f, v7 :: v_dual_sub_f32 v6, v6, v12
	v_add_f32_e32 v6, v6, v7
	v_cvt_i32_f32_e32 v7, v12
	s_delay_alu instid0(VALU_DEP_2) | instskip(SKIP_2) | instid1(VALU_DEP_1)
	v_exp_f32_e32 v6, v6
	s_waitcnt_depctr 0xfff
	v_ldexp_f32 v6, v6, v7
	v_cndmask_b32_e32 v6, 0, v6, vcc_lo
	v_cmp_nlt_f32_e32 vcc_lo, 0x42b17218, v3
	s_delay_alu instid0(VALU_DEP_2) | instskip(NEXT) | instid1(VALU_DEP_1)
	v_cndmask_b32_e32 v3, 0x7f800000, v6, vcc_lo
	v_add_f32_e32 v12, 1.0, v3
	s_delay_alu instid0(VALU_DEP_1) | instskip(NEXT) | instid1(VALU_DEP_1)
	v_cvt_f64_f32_e32 v[6:7], v12
	v_frexp_exp_i32_f64_e32 v6, v[6:7]
	v_frexp_mant_f32_e32 v7, v12
	s_delay_alu instid0(VALU_DEP_1) | instskip(SKIP_1) | instid1(VALU_DEP_1)
	v_cmp_gt_f32_e32 vcc_lo, 0x3f2aaaab, v7
	v_add_f32_e32 v7, -1.0, v12
	v_sub_f32_e32 v49, v7, v12
	v_sub_f32_e32 v7, v3, v7
	s_delay_alu instid0(VALU_DEP_2) | instskip(NEXT) | instid1(VALU_DEP_1)
	v_add_f32_e32 v49, 1.0, v49
	v_add_f32_e32 v7, v7, v49
	v_subrev_co_ci_u32_e32 v6, vcc_lo, 0, v6, vcc_lo
	s_delay_alu instid0(VALU_DEP_1) | instskip(SKIP_1) | instid1(VALU_DEP_2)
	v_sub_nc_u32_e32 v13, 0, v6
	v_cvt_f32_i32_e32 v6, v6
	v_ldexp_f32 v12, v12, v13
	v_ldexp_f32 v7, v7, v13
	s_delay_alu instid0(VALU_DEP_2) | instskip(SKIP_1) | instid1(VALU_DEP_2)
	v_add_f32_e32 v50, 1.0, v12
	v_add_f32_e32 v13, -1.0, v12
	v_add_f32_e32 v49, -1.0, v50
	s_delay_alu instid0(VALU_DEP_2) | instskip(NEXT) | instid1(VALU_DEP_2)
	v_add_f32_e32 v51, 1.0, v13
	v_sub_f32_e32 v49, v12, v49
	s_delay_alu instid0(VALU_DEP_2) | instskip(SKIP_1) | instid1(VALU_DEP_3)
	v_sub_f32_e32 v12, v12, v51
	v_cmp_eq_f32_e32 vcc_lo, 0x7f800000, v3
	v_add_f32_e32 v49, v7, v49
	s_delay_alu instid0(VALU_DEP_1) | instskip(NEXT) | instid1(VALU_DEP_1)
	v_add_f32_e32 v51, v50, v49
	v_sub_f32_e32 v50, v50, v51
	s_delay_alu instid0(VALU_DEP_1) | instskip(SKIP_2) | instid1(VALU_DEP_1)
	v_add_f32_e32 v49, v49, v50
	v_add_f32_e32 v7, v7, v12
	v_rcp_f32_e32 v12, v51
	v_add_f32_e32 v52, v13, v7
	s_delay_alu instid0(VALU_DEP_1) | instskip(SKIP_3) | instid1(VALU_DEP_1)
	v_sub_f32_e32 v13, v13, v52
	s_waitcnt_depctr 0xfff
	v_mul_f32_e32 v86, v52, v12
	s_waitcnt lgkmcnt(0)
	v_mul_f32_e32 v87, v51, v86
	s_delay_alu instid0(VALU_DEP_1) | instskip(NEXT) | instid1(VALU_DEP_1)
	v_fma_f32 v50, v86, v51, -v87
	v_fmac_f32_e32 v50, v86, v49
	v_add_f32_e32 v7, v7, v13
	s_delay_alu instid0(VALU_DEP_2) | instskip(NEXT) | instid1(VALU_DEP_1)
	v_add_f32_e32 v96, v87, v50
	v_sub_f32_e32 v97, v52, v96
	s_delay_alu instid0(VALU_DEP_1) | instskip(SKIP_1) | instid1(VALU_DEP_1)
	v_sub_f32_e32 v52, v52, v97
	v_sub_f32_e32 v13, v96, v87
	v_dual_sub_f32 v52, v52, v96 :: v_dual_sub_f32 v13, v13, v50
	s_delay_alu instid0(VALU_DEP_1) | instskip(NEXT) | instid1(VALU_DEP_1)
	v_add_f32_e32 v7, v7, v52
	v_add_f32_e32 v7, v13, v7
	s_delay_alu instid0(VALU_DEP_1) | instskip(NEXT) | instid1(VALU_DEP_1)
	v_add_f32_e32 v13, v97, v7
	v_mul_f32_e32 v50, v12, v13
	s_delay_alu instid0(VALU_DEP_1) | instskip(SKIP_1) | instid1(VALU_DEP_2)
	v_mul_f32_e32 v52, v51, v50
	v_sub_f32_e32 v96, v97, v13
	v_fma_f32 v51, v50, v51, -v52
	s_delay_alu instid0(VALU_DEP_2) | instskip(NEXT) | instid1(VALU_DEP_2)
	v_add_f32_e32 v7, v7, v96
	v_fmac_f32_e32 v51, v50, v49
	s_delay_alu instid0(VALU_DEP_1) | instskip(NEXT) | instid1(VALU_DEP_1)
	v_add_f32_e32 v49, v52, v51
	v_sub_f32_e32 v87, v13, v49
	v_sub_f32_e32 v52, v49, v52
	s_delay_alu instid0(VALU_DEP_2) | instskip(NEXT) | instid1(VALU_DEP_1)
	v_sub_f32_e32 v13, v13, v87
	v_sub_f32_e32 v13, v13, v49
	s_delay_alu instid0(VALU_DEP_3) | instskip(NEXT) | instid1(VALU_DEP_2)
	v_sub_f32_e32 v49, v52, v51
	v_add_f32_e32 v7, v7, v13
	v_add_f32_e32 v13, v86, v50
	s_delay_alu instid0(VALU_DEP_2) | instskip(NEXT) | instid1(VALU_DEP_2)
	v_add_f32_e32 v7, v49, v7
	v_sub_f32_e32 v49, v13, v86
	s_delay_alu instid0(VALU_DEP_2) | instskip(NEXT) | instid1(VALU_DEP_2)
	v_add_f32_e32 v7, v87, v7
	v_sub_f32_e32 v49, v50, v49
	s_delay_alu instid0(VALU_DEP_2) | instskip(NEXT) | instid1(VALU_DEP_1)
	v_mul_f32_e32 v7, v12, v7
	v_add_f32_e32 v7, v49, v7
	s_delay_alu instid0(VALU_DEP_1) | instskip(NEXT) | instid1(VALU_DEP_1)
	v_add_f32_e32 v12, v13, v7
	v_mul_f32_e32 v49, v12, v12
	s_delay_alu instid0(VALU_DEP_1) | instskip(SKIP_2) | instid1(VALU_DEP_3)
	v_fmaak_f32 v50, s2, v49, 0x3ecc95a3
	v_mul_f32_e32 v51, v12, v49
	v_cmp_gt_f32_e64 s2, 0x33800000, |v3|
	v_fmaak_f32 v49, v49, v50, 0x3f2aaada
	v_ldexp_f32 v50, v12, 1
	v_sub_f32_e32 v12, v12, v13
	s_delay_alu instid0(VALU_DEP_4) | instskip(NEXT) | instid1(VALU_DEP_3)
	s_or_b32 vcc_lo, vcc_lo, s2
	v_mul_f32_e32 v49, v51, v49
	v_mul_f32_e32 v51, 0x3f317218, v6
	s_delay_alu instid0(VALU_DEP_3) | instskip(NEXT) | instid1(VALU_DEP_3)
	v_sub_f32_e32 v7, v7, v12
	v_add_f32_e32 v13, v50, v49
	s_delay_alu instid0(VALU_DEP_2) | instskip(NEXT) | instid1(VALU_DEP_2)
	v_ldexp_f32 v7, v7, 1
	v_sub_f32_e32 v12, v13, v50
	v_fma_f32 v50, 0x3f317218, v6, -v51
	s_delay_alu instid0(VALU_DEP_2) | instskip(NEXT) | instid1(VALU_DEP_1)
	v_sub_f32_e32 v12, v49, v12
	v_dual_fmamk_f32 v6, v6, 0xb102e308, v50 :: v_dual_add_f32 v7, v7, v12
	s_delay_alu instid0(VALU_DEP_1) | instskip(NEXT) | instid1(VALU_DEP_1)
	v_dual_add_f32 v12, v51, v6 :: v_dual_add_f32 v49, v13, v7
	v_sub_f32_e32 v51, v12, v51
	s_delay_alu instid0(VALU_DEP_2) | instskip(NEXT) | instid1(VALU_DEP_2)
	v_add_f32_e32 v50, v12, v49
	v_dual_sub_f32 v13, v49, v13 :: v_dual_sub_f32 v6, v6, v51
	s_delay_alu instid0(VALU_DEP_1) | instskip(NEXT) | instid1(VALU_DEP_1)
	v_dual_sub_f32 v52, v50, v12 :: v_dual_sub_f32 v7, v7, v13
	v_sub_f32_e32 v86, v50, v52
	v_sub_f32_e32 v13, v49, v52
	s_delay_alu instid0(VALU_DEP_2) | instskip(NEXT) | instid1(VALU_DEP_1)
	v_dual_add_f32 v49, v6, v7 :: v_dual_sub_f32 v12, v12, v86
	v_add_f32_e32 v12, v13, v12
	s_delay_alu instid0(VALU_DEP_2) | instskip(NEXT) | instid1(VALU_DEP_2)
	v_sub_f32_e32 v13, v49, v6
	v_add_f32_e32 v12, v49, v12
	s_delay_alu instid0(VALU_DEP_2) | instskip(SKIP_1) | instid1(VALU_DEP_3)
	v_sub_f32_e32 v49, v49, v13
	v_sub_f32_e32 v7, v7, v13
	v_add_f32_e32 v51, v50, v12
	s_delay_alu instid0(VALU_DEP_1) | instskip(NEXT) | instid1(VALU_DEP_1)
	v_dual_sub_f32 v6, v6, v49 :: v_dual_sub_f32 v13, v51, v50
	v_dual_add_f32 v6, v7, v6 :: v_dual_sub_f32 v7, v12, v13
	s_delay_alu instid0(VALU_DEP_1) | instskip(NEXT) | instid1(VALU_DEP_1)
	v_add_f32_e32 v6, v6, v7
	v_add_f32_e32 v6, v51, v6
	s_delay_alu instid0(VALU_DEP_1) | instskip(NEXT) | instid1(VALU_DEP_1)
	v_cndmask_b32_e32 v3, v6, v3, vcc_lo
	v_add_f32_e32 v3, v2, v3
.LBB501_330:
	s_or_b32 exec_lo, exec_lo, s1
	s_delay_alu instid0(VALU_DEP_1) | instskip(SKIP_1) | instid1(VALU_DEP_2)
	v_bfe_u32 v2, v3, 16, 1
	v_cmp_o_f32_e32 vcc_lo, v3, v3
	v_add3_u32 v2, v3, v2, 0x7fff
	s_delay_alu instid0(VALU_DEP_1) | instskip(NEXT) | instid1(VALU_DEP_1)
	v_lshrrev_b32_e32 v2, 16, v2
	v_cndmask_b32_e32 v135, 0x7fc0, v2, vcc_lo
	s_delay_alu instid0(VALU_DEP_1) | instskip(NEXT) | instid1(VALU_DEP_1)
	v_lshlrev_b32_e32 v3, 16, v135
	v_max_f32_e32 v2, v3, v3
	s_delay_alu instid0(VALU_DEP_1) | instskip(SKIP_2) | instid1(VALU_DEP_3)
	v_min_f32_e32 v6, v2, v53
	v_max_f32_e32 v2, v2, v53
	v_cmp_u_f32_e32 vcc_lo, v3, v3
	v_cndmask_b32_e32 v6, v6, v3, vcc_lo
	s_delay_alu instid0(VALU_DEP_3) | instskip(NEXT) | instid1(VALU_DEP_2)
	v_cndmask_b32_e32 v2, v2, v3, vcc_lo
	v_cndmask_b32_e64 v6, v6, v48, s7
	s_delay_alu instid0(VALU_DEP_2) | instskip(NEXT) | instid1(VALU_DEP_2)
	v_cndmask_b32_e64 v2, v2, v48, s7
	v_cmp_class_f32_e64 s1, v6, 0x1f8
	s_delay_alu instid0(VALU_DEP_2) | instskip(NEXT) | instid1(VALU_DEP_2)
	v_cmp_neq_f32_e32 vcc_lo, v6, v2
	s_or_b32 s2, vcc_lo, s1
	s_delay_alu instid0(SALU_CYCLE_1)
	s_and_saveexec_b32 s1, s2
	s_cbranch_execz .LBB501_332
; %bb.331:
	v_sub_f32_e32 v3, v6, v2
	s_mov_b32 s2, 0x3e9b6dac
	s_delay_alu instid0(VALU_DEP_1) | instskip(SKIP_1) | instid1(VALU_DEP_2)
	v_mul_f32_e32 v6, 0x3fb8aa3b, v3
	v_cmp_ngt_f32_e32 vcc_lo, 0xc2ce8ed0, v3
	v_fma_f32 v7, 0x3fb8aa3b, v3, -v6
	v_rndne_f32_e32 v12, v6
	s_delay_alu instid0(VALU_DEP_1) | instskip(NEXT) | instid1(VALU_DEP_1)
	v_dual_fmamk_f32 v7, v3, 0x32a5705f, v7 :: v_dual_sub_f32 v6, v6, v12
	v_add_f32_e32 v6, v6, v7
	v_cvt_i32_f32_e32 v7, v12
	s_delay_alu instid0(VALU_DEP_2) | instskip(SKIP_2) | instid1(VALU_DEP_1)
	v_exp_f32_e32 v6, v6
	s_waitcnt_depctr 0xfff
	v_ldexp_f32 v6, v6, v7
	v_cndmask_b32_e32 v6, 0, v6, vcc_lo
	v_cmp_nlt_f32_e32 vcc_lo, 0x42b17218, v3
	s_delay_alu instid0(VALU_DEP_2) | instskip(NEXT) | instid1(VALU_DEP_1)
	v_cndmask_b32_e32 v3, 0x7f800000, v6, vcc_lo
	v_add_f32_e32 v12, 1.0, v3
	s_delay_alu instid0(VALU_DEP_1) | instskip(NEXT) | instid1(VALU_DEP_1)
	v_cvt_f64_f32_e32 v[6:7], v12
	v_frexp_exp_i32_f64_e32 v6, v[6:7]
	v_frexp_mant_f32_e32 v7, v12
	s_delay_alu instid0(VALU_DEP_1) | instskip(SKIP_1) | instid1(VALU_DEP_1)
	v_cmp_gt_f32_e32 vcc_lo, 0x3f2aaaab, v7
	v_add_f32_e32 v7, -1.0, v12
	v_sub_f32_e32 v48, v7, v12
	s_delay_alu instid0(VALU_DEP_1) | instskip(NEXT) | instid1(VALU_DEP_1)
	v_dual_add_f32 v48, 1.0, v48 :: v_dual_sub_f32 v7, v3, v7
	v_add_f32_e32 v7, v7, v48
	v_subrev_co_ci_u32_e32 v6, vcc_lo, 0, v6, vcc_lo
	v_cmp_eq_f32_e32 vcc_lo, 0x7f800000, v3
	s_delay_alu instid0(VALU_DEP_2) | instskip(SKIP_1) | instid1(VALU_DEP_2)
	v_sub_nc_u32_e32 v13, 0, v6
	v_cvt_f32_i32_e32 v6, v6
	v_ldexp_f32 v12, v12, v13
	v_ldexp_f32 v7, v7, v13
	s_delay_alu instid0(VALU_DEP_2) | instskip(NEXT) | instid1(VALU_DEP_1)
	v_add_f32_e32 v49, 1.0, v12
	v_dual_add_f32 v13, -1.0, v12 :: v_dual_add_f32 v48, -1.0, v49
	s_delay_alu instid0(VALU_DEP_1) | instskip(NEXT) | instid1(VALU_DEP_2)
	v_add_f32_e32 v50, 1.0, v13
	v_sub_f32_e32 v48, v12, v48
	s_delay_alu instid0(VALU_DEP_2) | instskip(NEXT) | instid1(VALU_DEP_2)
	v_sub_f32_e32 v12, v12, v50
	v_add_f32_e32 v48, v7, v48
	s_delay_alu instid0(VALU_DEP_2) | instskip(NEXT) | instid1(VALU_DEP_1)
	v_add_f32_e32 v7, v7, v12
	v_add_f32_e32 v51, v13, v7
	s_delay_alu instid0(VALU_DEP_3) | instskip(NEXT) | instid1(VALU_DEP_2)
	v_add_f32_e32 v50, v49, v48
	v_sub_f32_e32 v13, v13, v51
	s_delay_alu instid0(VALU_DEP_2) | instskip(SKIP_1) | instid1(VALU_DEP_1)
	v_rcp_f32_e32 v12, v50
	v_sub_f32_e32 v49, v49, v50
	v_add_f32_e32 v48, v48, v49
	s_delay_alu instid0(VALU_DEP_3) | instskip(SKIP_2) | instid1(VALU_DEP_1)
	v_add_f32_e32 v7, v7, v13
	s_waitcnt_depctr 0xfff
	v_mul_f32_e32 v52, v51, v12
	v_mul_f32_e32 v53, v50, v52
	s_delay_alu instid0(VALU_DEP_1) | instskip(NEXT) | instid1(VALU_DEP_1)
	v_fma_f32 v49, v52, v50, -v53
	v_fmac_f32_e32 v49, v52, v48
	s_delay_alu instid0(VALU_DEP_1) | instskip(SKIP_1) | instid1(VALU_DEP_1)
	v_add_f32_e32 v86, v53, v49
	s_waitcnt lgkmcnt(0)
	v_sub_f32_e32 v87, v51, v86
	s_delay_alu instid0(VALU_DEP_1) | instskip(NEXT) | instid1(VALU_DEP_1)
	v_sub_f32_e32 v51, v51, v87
	v_sub_f32_e32 v51, v51, v86
	s_delay_alu instid0(VALU_DEP_1) | instskip(SKIP_1) | instid1(VALU_DEP_1)
	v_add_f32_e32 v7, v7, v51
	v_sub_f32_e32 v13, v86, v53
	v_sub_f32_e32 v13, v13, v49
	s_delay_alu instid0(VALU_DEP_1) | instskip(NEXT) | instid1(VALU_DEP_1)
	v_add_f32_e32 v7, v13, v7
	v_add_f32_e32 v13, v87, v7
	s_delay_alu instid0(VALU_DEP_1) | instskip(SKIP_1) | instid1(VALU_DEP_2)
	v_mul_f32_e32 v49, v12, v13
	v_sub_f32_e32 v86, v87, v13
	v_mul_f32_e32 v51, v50, v49
	s_delay_alu instid0(VALU_DEP_2) | instskip(NEXT) | instid1(VALU_DEP_2)
	v_add_f32_e32 v7, v7, v86
	v_fma_f32 v50, v49, v50, -v51
	s_delay_alu instid0(VALU_DEP_1) | instskip(NEXT) | instid1(VALU_DEP_1)
	v_fmac_f32_e32 v50, v49, v48
	v_add_f32_e32 v48, v51, v50
	s_delay_alu instid0(VALU_DEP_1) | instskip(SKIP_1) | instid1(VALU_DEP_2)
	v_sub_f32_e32 v53, v13, v48
	v_sub_f32_e32 v51, v48, v51
	;; [unrolled: 1-line block ×3, first 2 shown]
	s_delay_alu instid0(VALU_DEP_1) | instskip(NEXT) | instid1(VALU_DEP_1)
	v_dual_sub_f32 v13, v13, v48 :: v_dual_sub_f32 v48, v51, v50
	v_add_f32_e32 v7, v7, v13
	v_add_f32_e32 v13, v52, v49
	s_delay_alu instid0(VALU_DEP_1) | instskip(NEXT) | instid1(VALU_DEP_1)
	v_dual_add_f32 v7, v48, v7 :: v_dual_sub_f32 v48, v13, v52
	v_add_f32_e32 v7, v53, v7
	s_delay_alu instid0(VALU_DEP_1) | instskip(NEXT) | instid1(VALU_DEP_1)
	v_dual_sub_f32 v48, v49, v48 :: v_dual_mul_f32 v7, v12, v7
	v_add_f32_e32 v7, v48, v7
	s_delay_alu instid0(VALU_DEP_1) | instskip(NEXT) | instid1(VALU_DEP_1)
	v_add_f32_e32 v12, v13, v7
	v_mul_f32_e32 v48, v12, v12
	s_delay_alu instid0(VALU_DEP_1) | instskip(SKIP_2) | instid1(VALU_DEP_3)
	v_fmaak_f32 v49, s2, v48, 0x3ecc95a3
	v_mul_f32_e32 v50, v12, v48
	v_cmp_gt_f32_e64 s2, 0x33800000, |v3|
	v_fmaak_f32 v48, v48, v49, 0x3f2aaada
	v_ldexp_f32 v49, v12, 1
	v_sub_f32_e32 v12, v12, v13
	s_delay_alu instid0(VALU_DEP_4) | instskip(NEXT) | instid1(VALU_DEP_3)
	s_or_b32 vcc_lo, vcc_lo, s2
	v_mul_f32_e32 v48, v50, v48
	s_delay_alu instid0(VALU_DEP_2) | instskip(NEXT) | instid1(VALU_DEP_2)
	v_dual_mul_f32 v50, 0x3f317218, v6 :: v_dual_sub_f32 v7, v7, v12
	v_add_f32_e32 v13, v49, v48
	s_delay_alu instid0(VALU_DEP_2) | instskip(NEXT) | instid1(VALU_DEP_2)
	v_ldexp_f32 v7, v7, 1
	v_sub_f32_e32 v12, v13, v49
	s_delay_alu instid0(VALU_DEP_4) | instskip(NEXT) | instid1(VALU_DEP_2)
	v_fma_f32 v49, 0x3f317218, v6, -v50
	v_sub_f32_e32 v12, v48, v12
	s_delay_alu instid0(VALU_DEP_1) | instskip(NEXT) | instid1(VALU_DEP_1)
	v_dual_fmamk_f32 v6, v6, 0xb102e308, v49 :: v_dual_add_f32 v7, v7, v12
	v_add_f32_e32 v12, v50, v6
	s_delay_alu instid0(VALU_DEP_2) | instskip(NEXT) | instid1(VALU_DEP_2)
	v_add_f32_e32 v48, v13, v7
	v_sub_f32_e32 v50, v12, v50
	s_delay_alu instid0(VALU_DEP_2) | instskip(NEXT) | instid1(VALU_DEP_2)
	v_add_f32_e32 v49, v12, v48
	v_dual_sub_f32 v13, v48, v13 :: v_dual_sub_f32 v6, v6, v50
	s_delay_alu instid0(VALU_DEP_2) | instskip(NEXT) | instid1(VALU_DEP_1)
	v_sub_f32_e32 v51, v49, v12
	v_dual_sub_f32 v52, v49, v51 :: v_dual_sub_f32 v7, v7, v13
	v_sub_f32_e32 v13, v48, v51
	s_delay_alu instid0(VALU_DEP_2) | instskip(NEXT) | instid1(VALU_DEP_3)
	v_sub_f32_e32 v12, v12, v52
	v_add_f32_e32 v48, v6, v7
	s_delay_alu instid0(VALU_DEP_1) | instskip(NEXT) | instid1(VALU_DEP_1)
	v_dual_add_f32 v12, v13, v12 :: v_dual_sub_f32 v13, v48, v6
	v_dual_add_f32 v12, v48, v12 :: v_dual_sub_f32 v7, v7, v13
	v_sub_f32_e32 v48, v48, v13
	s_delay_alu instid0(VALU_DEP_1) | instskip(NEXT) | instid1(VALU_DEP_1)
	v_sub_f32_e32 v6, v6, v48
	v_add_f32_e32 v6, v7, v6
	s_delay_alu instid0(VALU_DEP_4) | instskip(NEXT) | instid1(VALU_DEP_1)
	v_add_f32_e32 v50, v49, v12
	v_sub_f32_e32 v13, v50, v49
	s_delay_alu instid0(VALU_DEP_1) | instskip(NEXT) | instid1(VALU_DEP_1)
	v_sub_f32_e32 v7, v12, v13
	v_add_f32_e32 v6, v6, v7
	s_delay_alu instid0(VALU_DEP_1) | instskip(NEXT) | instid1(VALU_DEP_1)
	v_add_f32_e32 v6, v50, v6
	v_cndmask_b32_e32 v3, v6, v3, vcc_lo
	s_delay_alu instid0(VALU_DEP_1)
	v_add_f32_e32 v3, v2, v3
.LBB501_332:
	s_or_b32 exec_lo, exec_lo, s1
	s_delay_alu instid0(VALU_DEP_1) | instskip(SKIP_1) | instid1(VALU_DEP_2)
	v_bfe_u32 v2, v3, 16, 1
	v_cmp_o_f32_e32 vcc_lo, v3, v3
	v_add3_u32 v2, v3, v2, 0x7fff
	s_delay_alu instid0(VALU_DEP_1) | instskip(NEXT) | instid1(VALU_DEP_1)
	v_lshrrev_b32_e32 v2, 16, v2
	v_cndmask_b32_e32 v144, 0x7fc0, v2, vcc_lo
	s_delay_alu instid0(VALU_DEP_1) | instskip(NEXT) | instid1(VALU_DEP_1)
	v_lshlrev_b32_e32 v3, 16, v144
	v_max_f32_e32 v2, v3, v3
	v_cmp_u_f32_e32 vcc_lo, v3, v3
	s_delay_alu instid0(VALU_DEP_2) | instskip(SKIP_1) | instid1(VALU_DEP_2)
	v_min_f32_e32 v6, v2, v64
	v_max_f32_e32 v2, v2, v64
	v_cndmask_b32_e32 v6, v6, v3, vcc_lo
	s_delay_alu instid0(VALU_DEP_2) | instskip(NEXT) | instid1(VALU_DEP_2)
	v_cndmask_b32_e32 v2, v2, v3, vcc_lo
	v_cndmask_b32_e64 v6, v6, v39, s8
	s_delay_alu instid0(VALU_DEP_2) | instskip(NEXT) | instid1(VALU_DEP_2)
	v_cndmask_b32_e64 v2, v2, v39, s8
	v_cmp_class_f32_e64 s1, v6, 0x1f8
	s_delay_alu instid0(VALU_DEP_2) | instskip(NEXT) | instid1(VALU_DEP_2)
	v_cmp_neq_f32_e32 vcc_lo, v6, v2
	s_or_b32 s2, vcc_lo, s1
	s_delay_alu instid0(SALU_CYCLE_1)
	s_and_saveexec_b32 s1, s2
	s_cbranch_execz .LBB501_334
; %bb.333:
	v_sub_f32_e32 v3, v6, v2
	s_mov_b32 s2, 0x3e9b6dac
	s_delay_alu instid0(VALU_DEP_1) | instskip(SKIP_1) | instid1(VALU_DEP_2)
	v_mul_f32_e32 v6, 0x3fb8aa3b, v3
	v_cmp_ngt_f32_e32 vcc_lo, 0xc2ce8ed0, v3
	v_fma_f32 v7, 0x3fb8aa3b, v3, -v6
	v_rndne_f32_e32 v12, v6
	s_delay_alu instid0(VALU_DEP_1) | instskip(NEXT) | instid1(VALU_DEP_1)
	v_dual_fmamk_f32 v7, v3, 0x32a5705f, v7 :: v_dual_sub_f32 v6, v6, v12
	v_add_f32_e32 v6, v6, v7
	v_cvt_i32_f32_e32 v7, v12
	s_delay_alu instid0(VALU_DEP_2) | instskip(SKIP_2) | instid1(VALU_DEP_1)
	v_exp_f32_e32 v6, v6
	s_waitcnt_depctr 0xfff
	v_ldexp_f32 v6, v6, v7
	v_cndmask_b32_e32 v6, 0, v6, vcc_lo
	v_cmp_nlt_f32_e32 vcc_lo, 0x42b17218, v3
	s_delay_alu instid0(VALU_DEP_2) | instskip(NEXT) | instid1(VALU_DEP_1)
	v_cndmask_b32_e32 v3, 0x7f800000, v6, vcc_lo
	v_add_f32_e32 v12, 1.0, v3
	s_delay_alu instid0(VALU_DEP_1) | instskip(NEXT) | instid1(VALU_DEP_1)
	v_cvt_f64_f32_e32 v[6:7], v12
	v_frexp_exp_i32_f64_e32 v6, v[6:7]
	v_frexp_mant_f32_e32 v7, v12
	s_delay_alu instid0(VALU_DEP_1) | instskip(SKIP_1) | instid1(VALU_DEP_1)
	v_cmp_gt_f32_e32 vcc_lo, 0x3f2aaaab, v7
	v_add_f32_e32 v7, -1.0, v12
	v_sub_f32_e32 v39, v7, v12
	v_sub_f32_e32 v7, v3, v7
	v_subrev_co_ci_u32_e32 v6, vcc_lo, 0, v6, vcc_lo
	s_delay_alu instid0(VALU_DEP_1) | instskip(SKIP_1) | instid1(VALU_DEP_2)
	v_sub_nc_u32_e32 v13, 0, v6
	v_cvt_f32_i32_e32 v6, v6
	v_ldexp_f32 v12, v12, v13
	s_delay_alu instid0(VALU_DEP_1) | instskip(NEXT) | instid1(VALU_DEP_1)
	v_dual_add_f32 v48, 1.0, v12 :: v_dual_add_f32 v39, 1.0, v39
	v_add_f32_e32 v7, v7, v39
	s_delay_alu instid0(VALU_DEP_2) | instskip(NEXT) | instid1(VALU_DEP_2)
	v_add_f32_e32 v39, -1.0, v48
	v_ldexp_f32 v7, v7, v13
	v_add_f32_e32 v13, -1.0, v12
	s_delay_alu instid0(VALU_DEP_3) | instskip(NEXT) | instid1(VALU_DEP_2)
	v_sub_f32_e32 v39, v12, v39
	v_add_f32_e32 v49, 1.0, v13
	s_delay_alu instid0(VALU_DEP_1) | instskip(NEXT) | instid1(VALU_DEP_1)
	v_dual_add_f32 v39, v7, v39 :: v_dual_sub_f32 v12, v12, v49
	v_add_f32_e32 v49, v48, v39
	v_cmp_eq_f32_e32 vcc_lo, 0x7f800000, v3
	s_delay_alu instid0(VALU_DEP_3) | instskip(NEXT) | instid1(VALU_DEP_3)
	v_add_f32_e32 v7, v7, v12
	v_rcp_f32_e32 v12, v49
	v_sub_f32_e32 v48, v48, v49
	s_delay_alu instid0(VALU_DEP_1) | instskip(SKIP_2) | instid1(VALU_DEP_1)
	v_dual_add_f32 v50, v13, v7 :: v_dual_add_f32 v39, v39, v48
	s_waitcnt_depctr 0xfff
	v_mul_f32_e32 v51, v50, v12
	v_mul_f32_e32 v52, v49, v51
	v_sub_f32_e32 v13, v13, v50
	s_delay_alu instid0(VALU_DEP_2) | instskip(NEXT) | instid1(VALU_DEP_2)
	v_fma_f32 v48, v51, v49, -v52
	v_add_f32_e32 v7, v7, v13
	s_delay_alu instid0(VALU_DEP_2) | instskip(NEXT) | instid1(VALU_DEP_1)
	v_fmac_f32_e32 v48, v51, v39
	v_add_f32_e32 v53, v52, v48
	s_delay_alu instid0(VALU_DEP_1) | instskip(NEXT) | instid1(VALU_DEP_1)
	v_dual_sub_f32 v64, v50, v53 :: v_dual_sub_f32 v13, v53, v52
	v_sub_f32_e32 v50, v50, v64
	s_delay_alu instid0(VALU_DEP_1) | instskip(NEXT) | instid1(VALU_DEP_1)
	v_dual_sub_f32 v13, v13, v48 :: v_dual_sub_f32 v50, v50, v53
	v_add_f32_e32 v7, v7, v50
	s_delay_alu instid0(VALU_DEP_1) | instskip(NEXT) | instid1(VALU_DEP_1)
	v_add_f32_e32 v7, v13, v7
	v_add_f32_e32 v13, v64, v7
	s_delay_alu instid0(VALU_DEP_1) | instskip(NEXT) | instid1(VALU_DEP_1)
	v_mul_f32_e32 v48, v12, v13
	v_dual_sub_f32 v53, v64, v13 :: v_dual_mul_f32 v50, v49, v48
	s_delay_alu instid0(VALU_DEP_1) | instskip(NEXT) | instid1(VALU_DEP_2)
	v_add_f32_e32 v7, v7, v53
	v_fma_f32 v49, v48, v49, -v50
	s_delay_alu instid0(VALU_DEP_1) | instskip(NEXT) | instid1(VALU_DEP_1)
	v_fmac_f32_e32 v49, v48, v39
	v_add_f32_e32 v39, v50, v49
	s_delay_alu instid0(VALU_DEP_1) | instskip(NEXT) | instid1(VALU_DEP_1)
	v_sub_f32_e32 v52, v13, v39
	v_dual_sub_f32 v50, v39, v50 :: v_dual_sub_f32 v13, v13, v52
	s_delay_alu instid0(VALU_DEP_1) | instskip(NEXT) | instid1(VALU_DEP_2)
	v_sub_f32_e32 v13, v13, v39
	v_sub_f32_e32 v39, v50, v49
	s_delay_alu instid0(VALU_DEP_2) | instskip(SKIP_1) | instid1(VALU_DEP_2)
	v_add_f32_e32 v7, v7, v13
	v_add_f32_e32 v13, v51, v48
	;; [unrolled: 1-line block ×3, first 2 shown]
	s_delay_alu instid0(VALU_DEP_2) | instskip(NEXT) | instid1(VALU_DEP_2)
	v_sub_f32_e32 v39, v13, v51
	v_add_f32_e32 v7, v52, v7
	s_delay_alu instid0(VALU_DEP_2) | instskip(NEXT) | instid1(VALU_DEP_2)
	v_sub_f32_e32 v39, v48, v39
	v_mul_f32_e32 v7, v12, v7
	s_delay_alu instid0(VALU_DEP_1) | instskip(NEXT) | instid1(VALU_DEP_1)
	v_add_f32_e32 v7, v39, v7
	v_add_f32_e32 v12, v13, v7
	s_delay_alu instid0(VALU_DEP_1) | instskip(NEXT) | instid1(VALU_DEP_1)
	v_mul_f32_e32 v39, v12, v12
	v_fmaak_f32 v48, s2, v39, 0x3ecc95a3
	v_mul_f32_e32 v49, v12, v39
	v_cmp_gt_f32_e64 s2, 0x33800000, |v3|
	s_delay_alu instid0(VALU_DEP_3) | instskip(SKIP_2) | instid1(VALU_DEP_4)
	v_fmaak_f32 v39, v39, v48, 0x3f2aaada
	v_ldexp_f32 v48, v12, 1
	v_sub_f32_e32 v12, v12, v13
	s_or_b32 vcc_lo, vcc_lo, s2
	s_delay_alu instid0(VALU_DEP_3) | instskip(SKIP_1) | instid1(VALU_DEP_3)
	v_mul_f32_e32 v39, v49, v39
	v_mul_f32_e32 v49, 0x3f317218, v6
	v_sub_f32_e32 v7, v7, v12
	s_delay_alu instid0(VALU_DEP_3) | instskip(NEXT) | instid1(VALU_DEP_2)
	v_add_f32_e32 v13, v48, v39
	v_ldexp_f32 v7, v7, 1
	s_delay_alu instid0(VALU_DEP_2) | instskip(SKIP_1) | instid1(VALU_DEP_2)
	v_sub_f32_e32 v12, v13, v48
	v_fma_f32 v48, 0x3f317218, v6, -v49
	v_sub_f32_e32 v12, v39, v12
	s_delay_alu instid0(VALU_DEP_1) | instskip(NEXT) | instid1(VALU_DEP_1)
	v_dual_fmamk_f32 v6, v6, 0xb102e308, v48 :: v_dual_add_f32 v7, v7, v12
	v_add_f32_e32 v12, v49, v6
	s_delay_alu instid0(VALU_DEP_2) | instskip(NEXT) | instid1(VALU_DEP_2)
	v_add_f32_e32 v39, v13, v7
	v_sub_f32_e32 v49, v12, v49
	s_delay_alu instid0(VALU_DEP_2) | instskip(NEXT) | instid1(VALU_DEP_2)
	v_dual_add_f32 v48, v12, v39 :: v_dual_sub_f32 v13, v39, v13
	v_sub_f32_e32 v6, v6, v49
	s_delay_alu instid0(VALU_DEP_2) | instskip(NEXT) | instid1(VALU_DEP_1)
	v_dual_sub_f32 v50, v48, v12 :: v_dual_sub_f32 v7, v7, v13
	v_sub_f32_e32 v51, v48, v50
	v_sub_f32_e32 v13, v39, v50
	s_delay_alu instid0(VALU_DEP_3) | instskip(NEXT) | instid1(VALU_DEP_3)
	v_add_f32_e32 v39, v6, v7
	v_sub_f32_e32 v12, v12, v51
	s_delay_alu instid0(VALU_DEP_1) | instskip(NEXT) | instid1(VALU_DEP_1)
	v_dual_add_f32 v12, v13, v12 :: v_dual_sub_f32 v13, v39, v6
	v_add_f32_e32 v12, v39, v12
	s_delay_alu instid0(VALU_DEP_2) | instskip(SKIP_1) | instid1(VALU_DEP_2)
	v_sub_f32_e32 v39, v39, v13
	v_sub_f32_e32 v7, v7, v13
	v_dual_add_f32 v49, v48, v12 :: v_dual_sub_f32 v6, v6, v39
	s_delay_alu instid0(VALU_DEP_1) | instskip(NEXT) | instid1(VALU_DEP_1)
	v_dual_sub_f32 v13, v49, v48 :: v_dual_add_f32 v6, v7, v6
	v_sub_f32_e32 v7, v12, v13
	s_delay_alu instid0(VALU_DEP_1) | instskip(NEXT) | instid1(VALU_DEP_1)
	v_add_f32_e32 v6, v6, v7
	v_add_f32_e32 v6, v49, v6
	s_delay_alu instid0(VALU_DEP_1) | instskip(NEXT) | instid1(VALU_DEP_1)
	v_cndmask_b32_e32 v3, v6, v3, vcc_lo
	v_add_f32_e32 v3, v2, v3
.LBB501_334:
	s_or_b32 exec_lo, exec_lo, s1
	s_delay_alu instid0(VALU_DEP_1) | instskip(SKIP_1) | instid1(VALU_DEP_2)
	v_bfe_u32 v2, v3, 16, 1
	v_cmp_o_f32_e32 vcc_lo, v3, v3
	v_add3_u32 v2, v3, v2, 0x7fff
	s_delay_alu instid0(VALU_DEP_1) | instskip(NEXT) | instid1(VALU_DEP_1)
	v_lshrrev_b32_e32 v2, 16, v2
	v_cndmask_b32_e32 v64, 0x7fc0, v2, vcc_lo
	s_delay_alu instid0(VALU_DEP_1) | instskip(NEXT) | instid1(VALU_DEP_1)
	v_lshlrev_b32_e32 v3, 16, v64
	v_max_f32_e32 v2, v3, v3
	s_delay_alu instid0(VALU_DEP_1) | instskip(SKIP_2) | instid1(VALU_DEP_3)
	v_min_f32_e32 v6, v2, v65
	v_max_f32_e32 v2, v2, v65
	v_cmp_u_f32_e32 vcc_lo, v3, v3
	v_cndmask_b32_e32 v6, v6, v3, vcc_lo
	s_delay_alu instid0(VALU_DEP_3) | instskip(NEXT) | instid1(VALU_DEP_2)
	v_cndmask_b32_e32 v2, v2, v3, vcc_lo
	v_cndmask_b32_e64 v6, v6, v38, s9
	s_delay_alu instid0(VALU_DEP_2) | instskip(NEXT) | instid1(VALU_DEP_2)
	v_cndmask_b32_e64 v2, v2, v38, s9
	v_cmp_class_f32_e64 s1, v6, 0x1f8
	s_delay_alu instid0(VALU_DEP_2) | instskip(NEXT) | instid1(VALU_DEP_2)
	v_cmp_neq_f32_e32 vcc_lo, v6, v2
	s_or_b32 s2, vcc_lo, s1
	s_delay_alu instid0(SALU_CYCLE_1)
	s_and_saveexec_b32 s1, s2
	s_cbranch_execz .LBB501_336
; %bb.335:
	v_sub_f32_e32 v3, v6, v2
	s_mov_b32 s2, 0x3e9b6dac
	s_delay_alu instid0(VALU_DEP_1) | instskip(SKIP_1) | instid1(VALU_DEP_2)
	v_mul_f32_e32 v6, 0x3fb8aa3b, v3
	v_cmp_ngt_f32_e32 vcc_lo, 0xc2ce8ed0, v3
	v_fma_f32 v7, 0x3fb8aa3b, v3, -v6
	v_rndne_f32_e32 v12, v6
	s_delay_alu instid0(VALU_DEP_1) | instskip(NEXT) | instid1(VALU_DEP_1)
	v_dual_fmamk_f32 v7, v3, 0x32a5705f, v7 :: v_dual_sub_f32 v6, v6, v12
	v_add_f32_e32 v6, v6, v7
	v_cvt_i32_f32_e32 v7, v12
	s_delay_alu instid0(VALU_DEP_2) | instskip(SKIP_2) | instid1(VALU_DEP_1)
	v_exp_f32_e32 v6, v6
	s_waitcnt_depctr 0xfff
	v_ldexp_f32 v6, v6, v7
	v_cndmask_b32_e32 v6, 0, v6, vcc_lo
	v_cmp_nlt_f32_e32 vcc_lo, 0x42b17218, v3
	s_delay_alu instid0(VALU_DEP_2) | instskip(NEXT) | instid1(VALU_DEP_1)
	v_cndmask_b32_e32 v3, 0x7f800000, v6, vcc_lo
	v_add_f32_e32 v12, 1.0, v3
	s_delay_alu instid0(VALU_DEP_1) | instskip(NEXT) | instid1(VALU_DEP_1)
	v_cvt_f64_f32_e32 v[6:7], v12
	v_frexp_exp_i32_f64_e32 v6, v[6:7]
	v_frexp_mant_f32_e32 v7, v12
	s_delay_alu instid0(VALU_DEP_1) | instskip(SKIP_1) | instid1(VALU_DEP_1)
	v_cmp_gt_f32_e32 vcc_lo, 0x3f2aaaab, v7
	v_add_f32_e32 v7, -1.0, v12
	v_sub_f32_e32 v38, v7, v12
	s_delay_alu instid0(VALU_DEP_1) | instskip(NEXT) | instid1(VALU_DEP_1)
	v_dual_sub_f32 v7, v3, v7 :: v_dual_add_f32 v38, 1.0, v38
	v_add_f32_e32 v7, v7, v38
	v_subrev_co_ci_u32_e32 v6, vcc_lo, 0, v6, vcc_lo
	s_delay_alu instid0(VALU_DEP_1) | instskip(SKIP_1) | instid1(VALU_DEP_2)
	v_sub_nc_u32_e32 v13, 0, v6
	v_cvt_f32_i32_e32 v6, v6
	v_ldexp_f32 v12, v12, v13
	v_ldexp_f32 v7, v7, v13
	s_delay_alu instid0(VALU_DEP_2) | instskip(NEXT) | instid1(VALU_DEP_1)
	v_add_f32_e32 v13, -1.0, v12
	v_dual_add_f32 v39, 1.0, v12 :: v_dual_add_f32 v48, 1.0, v13
	s_delay_alu instid0(VALU_DEP_1) | instskip(SKIP_1) | instid1(VALU_DEP_2)
	v_add_f32_e32 v38, -1.0, v39
	v_cmp_eq_f32_e32 vcc_lo, 0x7f800000, v3
	v_sub_f32_e32 v38, v12, v38
	s_delay_alu instid0(VALU_DEP_4) | instskip(NEXT) | instid1(VALU_DEP_2)
	v_sub_f32_e32 v12, v12, v48
	v_add_f32_e32 v38, v7, v38
	s_delay_alu instid0(VALU_DEP_2) | instskip(NEXT) | instid1(VALU_DEP_1)
	v_add_f32_e32 v7, v7, v12
	v_dual_add_f32 v49, v13, v7 :: v_dual_add_f32 v48, v39, v38
	s_delay_alu instid0(VALU_DEP_1) | instskip(NEXT) | instid1(VALU_DEP_2)
	v_sub_f32_e32 v13, v13, v49
	v_rcp_f32_e32 v12, v48
	v_sub_f32_e32 v39, v39, v48
	s_delay_alu instid0(VALU_DEP_1) | instskip(SKIP_2) | instid1(VALU_DEP_1)
	v_dual_add_f32 v7, v7, v13 :: v_dual_add_f32 v38, v38, v39
	s_waitcnt_depctr 0xfff
	v_mul_f32_e32 v50, v49, v12
	v_mul_f32_e32 v51, v48, v50
	s_delay_alu instid0(VALU_DEP_1) | instskip(NEXT) | instid1(VALU_DEP_1)
	v_fma_f32 v39, v50, v48, -v51
	v_fmac_f32_e32 v39, v50, v38
	s_delay_alu instid0(VALU_DEP_1) | instskip(NEXT) | instid1(VALU_DEP_1)
	v_add_f32_e32 v52, v51, v39
	v_sub_f32_e32 v53, v49, v52
	s_delay_alu instid0(VALU_DEP_1) | instskip(SKIP_1) | instid1(VALU_DEP_2)
	v_sub_f32_e32 v49, v49, v53
	v_sub_f32_e32 v13, v52, v51
	;; [unrolled: 1-line block ×3, first 2 shown]
	s_delay_alu instid0(VALU_DEP_2) | instskip(NEXT) | instid1(VALU_DEP_2)
	v_sub_f32_e32 v13, v13, v39
	v_add_f32_e32 v7, v7, v49
	s_delay_alu instid0(VALU_DEP_1) | instskip(NEXT) | instid1(VALU_DEP_1)
	v_add_f32_e32 v7, v13, v7
	v_add_f32_e32 v13, v53, v7
	s_delay_alu instid0(VALU_DEP_1) | instskip(NEXT) | instid1(VALU_DEP_1)
	v_mul_f32_e32 v39, v12, v13
	v_dual_sub_f32 v52, v53, v13 :: v_dual_mul_f32 v49, v48, v39
	s_delay_alu instid0(VALU_DEP_1) | instskip(NEXT) | instid1(VALU_DEP_2)
	v_add_f32_e32 v7, v7, v52
	v_fma_f32 v48, v39, v48, -v49
	s_delay_alu instid0(VALU_DEP_1) | instskip(NEXT) | instid1(VALU_DEP_1)
	v_fmac_f32_e32 v48, v39, v38
	v_add_f32_e32 v38, v49, v48
	s_delay_alu instid0(VALU_DEP_1) | instskip(SKIP_1) | instid1(VALU_DEP_2)
	v_sub_f32_e32 v51, v13, v38
	v_sub_f32_e32 v49, v38, v49
	;; [unrolled: 1-line block ×3, first 2 shown]
	s_delay_alu instid0(VALU_DEP_1) | instskip(NEXT) | instid1(VALU_DEP_1)
	v_sub_f32_e32 v13, v13, v38
	v_dual_sub_f32 v38, v49, v48 :: v_dual_add_f32 v7, v7, v13
	v_add_f32_e32 v13, v50, v39
	s_delay_alu instid0(VALU_DEP_1) | instskip(NEXT) | instid1(VALU_DEP_1)
	v_dual_add_f32 v7, v38, v7 :: v_dual_sub_f32 v38, v13, v50
	v_add_f32_e32 v7, v51, v7
	s_delay_alu instid0(VALU_DEP_1) | instskip(NEXT) | instid1(VALU_DEP_1)
	v_dual_sub_f32 v38, v39, v38 :: v_dual_mul_f32 v7, v12, v7
	v_add_f32_e32 v7, v38, v7
	s_delay_alu instid0(VALU_DEP_1) | instskip(NEXT) | instid1(VALU_DEP_1)
	v_add_f32_e32 v12, v13, v7
	v_mul_f32_e32 v38, v12, v12
	s_delay_alu instid0(VALU_DEP_1) | instskip(SKIP_2) | instid1(VALU_DEP_3)
	v_fmaak_f32 v39, s2, v38, 0x3ecc95a3
	v_mul_f32_e32 v48, v12, v38
	v_cmp_gt_f32_e64 s2, 0x33800000, |v3|
	v_fmaak_f32 v38, v38, v39, 0x3f2aaada
	v_ldexp_f32 v39, v12, 1
	v_sub_f32_e32 v12, v12, v13
	s_delay_alu instid0(VALU_DEP_4) | instskip(NEXT) | instid1(VALU_DEP_3)
	s_or_b32 vcc_lo, vcc_lo, s2
	v_mul_f32_e32 v38, v48, v38
	s_delay_alu instid0(VALU_DEP_2) | instskip(NEXT) | instid1(VALU_DEP_2)
	v_dual_mul_f32 v48, 0x3f317218, v6 :: v_dual_sub_f32 v7, v7, v12
	v_add_f32_e32 v13, v39, v38
	s_delay_alu instid0(VALU_DEP_2) | instskip(NEXT) | instid1(VALU_DEP_2)
	v_ldexp_f32 v7, v7, 1
	v_sub_f32_e32 v12, v13, v39
	s_delay_alu instid0(VALU_DEP_4) | instskip(NEXT) | instid1(VALU_DEP_2)
	v_fma_f32 v39, 0x3f317218, v6, -v48
	v_sub_f32_e32 v12, v38, v12
	s_delay_alu instid0(VALU_DEP_1) | instskip(NEXT) | instid1(VALU_DEP_1)
	v_dual_fmamk_f32 v6, v6, 0xb102e308, v39 :: v_dual_add_f32 v7, v7, v12
	v_add_f32_e32 v12, v48, v6
	s_delay_alu instid0(VALU_DEP_1) | instskip(NEXT) | instid1(VALU_DEP_1)
	v_sub_f32_e32 v48, v12, v48
	v_sub_f32_e32 v6, v6, v48
	s_delay_alu instid0(VALU_DEP_4) | instskip(NEXT) | instid1(VALU_DEP_1)
	v_add_f32_e32 v38, v13, v7
	v_sub_f32_e32 v13, v38, v13
	s_delay_alu instid0(VALU_DEP_1) | instskip(SKIP_1) | instid1(VALU_DEP_1)
	v_sub_f32_e32 v7, v7, v13
	v_add_f32_e32 v39, v12, v38
	v_sub_f32_e32 v49, v39, v12
	s_delay_alu instid0(VALU_DEP_1) | instskip(NEXT) | instid1(VALU_DEP_4)
	v_sub_f32_e32 v13, v38, v49
	v_add_f32_e32 v38, v6, v7
	v_sub_f32_e32 v50, v39, v49
	s_delay_alu instid0(VALU_DEP_1) | instskip(NEXT) | instid1(VALU_DEP_1)
	v_sub_f32_e32 v12, v12, v50
	v_dual_add_f32 v12, v13, v12 :: v_dual_sub_f32 v13, v38, v6
	s_delay_alu instid0(VALU_DEP_1) | instskip(SKIP_1) | instid1(VALU_DEP_2)
	v_dual_add_f32 v12, v38, v12 :: v_dual_sub_f32 v7, v7, v13
	v_sub_f32_e32 v38, v38, v13
	v_add_f32_e32 v48, v39, v12
	s_delay_alu instid0(VALU_DEP_1) | instskip(NEXT) | instid1(VALU_DEP_1)
	v_dual_sub_f32 v6, v6, v38 :: v_dual_sub_f32 v13, v48, v39
	v_dual_add_f32 v6, v7, v6 :: v_dual_sub_f32 v7, v12, v13
	s_delay_alu instid0(VALU_DEP_1) | instskip(NEXT) | instid1(VALU_DEP_1)
	v_add_f32_e32 v6, v6, v7
	v_add_f32_e32 v6, v48, v6
	s_delay_alu instid0(VALU_DEP_1) | instskip(NEXT) | instid1(VALU_DEP_1)
	v_cndmask_b32_e32 v3, v6, v3, vcc_lo
	v_add_f32_e32 v3, v2, v3
.LBB501_336:
	s_or_b32 exec_lo, exec_lo, s1
	s_delay_alu instid0(VALU_DEP_1) | instskip(SKIP_1) | instid1(VALU_DEP_2)
	v_bfe_u32 v2, v3, 16, 1
	v_cmp_o_f32_e32 vcc_lo, v3, v3
	v_add3_u32 v2, v3, v2, 0x7fff
	s_delay_alu instid0(VALU_DEP_1) | instskip(NEXT) | instid1(VALU_DEP_1)
	v_lshrrev_b32_e32 v2, 16, v2
	v_cndmask_b32_e32 v65, 0x7fc0, v2, vcc_lo
	s_delay_alu instid0(VALU_DEP_1) | instskip(NEXT) | instid1(VALU_DEP_1)
	v_lshlrev_b32_e32 v3, 16, v65
	v_max_f32_e32 v2, v3, v3
	s_delay_alu instid0(VALU_DEP_1) | instskip(SKIP_2) | instid1(VALU_DEP_3)
	v_min_f32_e32 v6, v2, v66
	v_max_f32_e32 v2, v2, v66
	v_cmp_u_f32_e32 vcc_lo, v3, v3
	v_cndmask_b32_e32 v6, v6, v3, vcc_lo
	s_delay_alu instid0(VALU_DEP_3) | instskip(NEXT) | instid1(VALU_DEP_2)
	v_cndmask_b32_e32 v2, v2, v3, vcc_lo
	v_cndmask_b32_e64 v6, v6, v37, s10
	s_delay_alu instid0(VALU_DEP_2) | instskip(NEXT) | instid1(VALU_DEP_2)
	v_cndmask_b32_e64 v2, v2, v37, s10
	v_cmp_class_f32_e64 s1, v6, 0x1f8
	s_delay_alu instid0(VALU_DEP_2) | instskip(NEXT) | instid1(VALU_DEP_2)
	v_cmp_neq_f32_e32 vcc_lo, v6, v2
	s_or_b32 s2, vcc_lo, s1
	s_delay_alu instid0(SALU_CYCLE_1)
	s_and_saveexec_b32 s1, s2
	s_cbranch_execz .LBB501_338
; %bb.337:
	v_sub_f32_e32 v3, v6, v2
	s_mov_b32 s2, 0x3e9b6dac
	s_delay_alu instid0(VALU_DEP_1) | instskip(SKIP_1) | instid1(VALU_DEP_2)
	v_mul_f32_e32 v6, 0x3fb8aa3b, v3
	v_cmp_ngt_f32_e32 vcc_lo, 0xc2ce8ed0, v3
	v_fma_f32 v7, 0x3fb8aa3b, v3, -v6
	v_rndne_f32_e32 v12, v6
	s_delay_alu instid0(VALU_DEP_1) | instskip(NEXT) | instid1(VALU_DEP_1)
	v_dual_fmamk_f32 v7, v3, 0x32a5705f, v7 :: v_dual_sub_f32 v6, v6, v12
	v_add_f32_e32 v6, v6, v7
	v_cvt_i32_f32_e32 v7, v12
	s_delay_alu instid0(VALU_DEP_2) | instskip(SKIP_2) | instid1(VALU_DEP_1)
	v_exp_f32_e32 v6, v6
	s_waitcnt_depctr 0xfff
	v_ldexp_f32 v6, v6, v7
	v_cndmask_b32_e32 v6, 0, v6, vcc_lo
	v_cmp_nlt_f32_e32 vcc_lo, 0x42b17218, v3
	s_delay_alu instid0(VALU_DEP_2) | instskip(NEXT) | instid1(VALU_DEP_1)
	v_cndmask_b32_e32 v3, 0x7f800000, v6, vcc_lo
	v_add_f32_e32 v12, 1.0, v3
	s_delay_alu instid0(VALU_DEP_1) | instskip(NEXT) | instid1(VALU_DEP_1)
	v_cvt_f64_f32_e32 v[6:7], v12
	v_frexp_exp_i32_f64_e32 v6, v[6:7]
	v_frexp_mant_f32_e32 v7, v12
	s_delay_alu instid0(VALU_DEP_1) | instskip(SKIP_1) | instid1(VALU_DEP_1)
	v_cmp_gt_f32_e32 vcc_lo, 0x3f2aaaab, v7
	v_add_f32_e32 v7, -1.0, v12
	v_sub_f32_e32 v37, v7, v12
	v_sub_f32_e32 v7, v3, v7
	s_delay_alu instid0(VALU_DEP_2) | instskip(SKIP_1) | instid1(VALU_DEP_1)
	v_add_f32_e32 v37, 1.0, v37
	v_subrev_co_ci_u32_e32 v6, vcc_lo, 0, v6, vcc_lo
	v_sub_nc_u32_e32 v13, 0, v6
	v_cvt_f32_i32_e32 v6, v6
	s_delay_alu instid0(VALU_DEP_2) | instskip(NEXT) | instid1(VALU_DEP_1)
	v_ldexp_f32 v12, v12, v13
	v_dual_add_f32 v38, 1.0, v12 :: v_dual_add_f32 v7, v7, v37
	s_delay_alu instid0(VALU_DEP_1) | instskip(SKIP_1) | instid1(VALU_DEP_3)
	v_ldexp_f32 v7, v7, v13
	v_add_f32_e32 v13, -1.0, v12
	v_add_f32_e32 v37, -1.0, v38
	s_delay_alu instid0(VALU_DEP_2) | instskip(NEXT) | instid1(VALU_DEP_2)
	v_add_f32_e32 v39, 1.0, v13
	v_sub_f32_e32 v37, v12, v37
	s_delay_alu instid0(VALU_DEP_1) | instskip(SKIP_1) | instid1(VALU_DEP_2)
	v_dual_sub_f32 v12, v12, v39 :: v_dual_add_f32 v37, v7, v37
	v_cmp_eq_f32_e32 vcc_lo, 0x7f800000, v3
	v_add_f32_e32 v39, v38, v37
	s_delay_alu instid0(VALU_DEP_1) | instskip(NEXT) | instid1(VALU_DEP_1)
	v_sub_f32_e32 v38, v38, v39
	v_add_f32_e32 v37, v37, v38
	v_add_f32_e32 v7, v7, v12
	v_rcp_f32_e32 v12, v39
	s_delay_alu instid0(VALU_DEP_1) | instskip(SKIP_2) | instid1(VALU_DEP_1)
	v_add_f32_e32 v48, v13, v7
	s_waitcnt_depctr 0xfff
	v_mul_f32_e32 v49, v48, v12
	v_dual_mul_f32 v50, v39, v49 :: v_dual_sub_f32 v13, v13, v48
	s_delay_alu instid0(VALU_DEP_1) | instskip(NEXT) | instid1(VALU_DEP_1)
	v_fma_f32 v38, v49, v39, -v50
	v_fmac_f32_e32 v38, v49, v37
	s_delay_alu instid0(VALU_DEP_3) | instskip(NEXT) | instid1(VALU_DEP_2)
	v_add_f32_e32 v7, v7, v13
	v_add_f32_e32 v51, v50, v38
	s_delay_alu instid0(VALU_DEP_1) | instskip(NEXT) | instid1(VALU_DEP_1)
	v_dual_sub_f32 v52, v48, v51 :: v_dual_sub_f32 v13, v51, v50
	v_dual_sub_f32 v48, v48, v52 :: v_dual_sub_f32 v13, v13, v38
	s_delay_alu instid0(VALU_DEP_1) | instskip(NEXT) | instid1(VALU_DEP_1)
	v_sub_f32_e32 v48, v48, v51
	v_add_f32_e32 v7, v7, v48
	s_delay_alu instid0(VALU_DEP_1) | instskip(NEXT) | instid1(VALU_DEP_1)
	v_add_f32_e32 v7, v13, v7
	v_add_f32_e32 v13, v52, v7
	s_delay_alu instid0(VALU_DEP_1) | instskip(NEXT) | instid1(VALU_DEP_1)
	v_mul_f32_e32 v38, v12, v13
	v_dual_sub_f32 v51, v52, v13 :: v_dual_mul_f32 v48, v39, v38
	s_delay_alu instid0(VALU_DEP_1) | instskip(NEXT) | instid1(VALU_DEP_2)
	v_add_f32_e32 v7, v7, v51
	v_fma_f32 v39, v38, v39, -v48
	s_delay_alu instid0(VALU_DEP_1) | instskip(NEXT) | instid1(VALU_DEP_1)
	v_fmac_f32_e32 v39, v38, v37
	v_add_f32_e32 v37, v48, v39
	s_delay_alu instid0(VALU_DEP_1) | instskip(SKIP_1) | instid1(VALU_DEP_2)
	v_sub_f32_e32 v50, v13, v37
	v_sub_f32_e32 v48, v37, v48
	v_sub_f32_e32 v13, v13, v50
	s_delay_alu instid0(VALU_DEP_1) | instskip(NEXT) | instid1(VALU_DEP_3)
	v_sub_f32_e32 v13, v13, v37
	v_sub_f32_e32 v37, v48, v39
	s_delay_alu instid0(VALU_DEP_2) | instskip(SKIP_1) | instid1(VALU_DEP_2)
	v_add_f32_e32 v7, v7, v13
	v_add_f32_e32 v13, v49, v38
	;; [unrolled: 1-line block ×3, first 2 shown]
	s_delay_alu instid0(VALU_DEP_2) | instskip(NEXT) | instid1(VALU_DEP_2)
	v_sub_f32_e32 v37, v13, v49
	v_add_f32_e32 v7, v50, v7
	s_delay_alu instid0(VALU_DEP_2) | instskip(NEXT) | instid1(VALU_DEP_2)
	v_sub_f32_e32 v37, v38, v37
	v_mul_f32_e32 v7, v12, v7
	s_delay_alu instid0(VALU_DEP_1) | instskip(NEXT) | instid1(VALU_DEP_1)
	v_add_f32_e32 v7, v37, v7
	v_add_f32_e32 v12, v13, v7
	s_delay_alu instid0(VALU_DEP_1) | instskip(NEXT) | instid1(VALU_DEP_1)
	v_mul_f32_e32 v37, v12, v12
	v_fmaak_f32 v38, s2, v37, 0x3ecc95a3
	v_mul_f32_e32 v39, v12, v37
	v_cmp_gt_f32_e64 s2, 0x33800000, |v3|
	s_delay_alu instid0(VALU_DEP_3) | instskip(SKIP_2) | instid1(VALU_DEP_4)
	v_fmaak_f32 v37, v37, v38, 0x3f2aaada
	v_ldexp_f32 v38, v12, 1
	v_sub_f32_e32 v12, v12, v13
	s_or_b32 vcc_lo, vcc_lo, s2
	s_delay_alu instid0(VALU_DEP_3) | instskip(SKIP_1) | instid1(VALU_DEP_3)
	v_mul_f32_e32 v37, v39, v37
	v_mul_f32_e32 v39, 0x3f317218, v6
	v_sub_f32_e32 v7, v7, v12
	s_delay_alu instid0(VALU_DEP_3) | instskip(NEXT) | instid1(VALU_DEP_2)
	v_add_f32_e32 v13, v38, v37
	v_ldexp_f32 v7, v7, 1
	s_delay_alu instid0(VALU_DEP_2) | instskip(SKIP_1) | instid1(VALU_DEP_2)
	v_sub_f32_e32 v12, v13, v38
	v_fma_f32 v38, 0x3f317218, v6, -v39
	v_sub_f32_e32 v12, v37, v12
	s_delay_alu instid0(VALU_DEP_1) | instskip(NEXT) | instid1(VALU_DEP_1)
	v_dual_fmamk_f32 v6, v6, 0xb102e308, v38 :: v_dual_add_f32 v7, v7, v12
	v_dual_add_f32 v12, v39, v6 :: v_dual_add_f32 v37, v13, v7
	s_delay_alu instid0(VALU_DEP_1) | instskip(NEXT) | instid1(VALU_DEP_2)
	v_sub_f32_e32 v39, v12, v39
	v_add_f32_e32 v38, v12, v37
	s_delay_alu instid0(VALU_DEP_2) | instskip(NEXT) | instid1(VALU_DEP_1)
	v_dual_sub_f32 v13, v37, v13 :: v_dual_sub_f32 v6, v6, v39
	v_dual_sub_f32 v48, v38, v12 :: v_dual_sub_f32 v7, v7, v13
	s_delay_alu instid0(VALU_DEP_1) | instskip(SKIP_1) | instid1(VALU_DEP_2)
	v_sub_f32_e32 v49, v38, v48
	v_sub_f32_e32 v13, v37, v48
	v_dual_add_f32 v37, v6, v7 :: v_dual_sub_f32 v12, v12, v49
	s_delay_alu instid0(VALU_DEP_1) | instskip(NEXT) | instid1(VALU_DEP_2)
	v_add_f32_e32 v12, v13, v12
	v_sub_f32_e32 v13, v37, v6
	s_delay_alu instid0(VALU_DEP_2) | instskip(NEXT) | instid1(VALU_DEP_2)
	v_add_f32_e32 v12, v37, v12
	v_sub_f32_e32 v37, v37, v13
	v_sub_f32_e32 v7, v7, v13
	s_delay_alu instid0(VALU_DEP_3) | instskip(NEXT) | instid1(VALU_DEP_1)
	v_add_f32_e32 v39, v38, v12
	v_dual_sub_f32 v6, v6, v37 :: v_dual_sub_f32 v13, v39, v38
	s_delay_alu instid0(VALU_DEP_1) | instskip(NEXT) | instid1(VALU_DEP_1)
	v_dual_add_f32 v6, v7, v6 :: v_dual_sub_f32 v7, v12, v13
	v_add_f32_e32 v6, v6, v7
	s_delay_alu instid0(VALU_DEP_1) | instskip(NEXT) | instid1(VALU_DEP_1)
	v_add_f32_e32 v6, v39, v6
	v_cndmask_b32_e32 v3, v6, v3, vcc_lo
	s_delay_alu instid0(VALU_DEP_1)
	v_add_f32_e32 v3, v2, v3
.LBB501_338:
	s_or_b32 exec_lo, exec_lo, s1
	s_delay_alu instid0(VALU_DEP_1) | instskip(SKIP_1) | instid1(VALU_DEP_2)
	v_bfe_u32 v2, v3, 16, 1
	v_cmp_o_f32_e32 vcc_lo, v3, v3
	v_add3_u32 v2, v3, v2, 0x7fff
	s_delay_alu instid0(VALU_DEP_1) | instskip(NEXT) | instid1(VALU_DEP_1)
	v_lshrrev_b32_e32 v2, 16, v2
	v_cndmask_b32_e32 v66, 0x7fc0, v2, vcc_lo
	s_delay_alu instid0(VALU_DEP_1) | instskip(NEXT) | instid1(VALU_DEP_1)
	v_lshlrev_b32_e32 v3, 16, v66
	v_max_f32_e32 v2, v3, v3
	s_delay_alu instid0(VALU_DEP_1) | instskip(SKIP_2) | instid1(VALU_DEP_3)
	v_min_f32_e32 v6, v2, v67
	v_max_f32_e32 v2, v2, v67
	v_cmp_u_f32_e32 vcc_lo, v3, v3
	v_cndmask_b32_e32 v6, v6, v3, vcc_lo
	s_delay_alu instid0(VALU_DEP_3) | instskip(NEXT) | instid1(VALU_DEP_2)
	v_cndmask_b32_e32 v2, v2, v3, vcc_lo
	v_cndmask_b32_e64 v6, v6, v36, s11
	s_delay_alu instid0(VALU_DEP_2) | instskip(NEXT) | instid1(VALU_DEP_2)
	v_cndmask_b32_e64 v2, v2, v36, s11
	v_cmp_class_f32_e64 s1, v6, 0x1f8
	s_delay_alu instid0(VALU_DEP_2) | instskip(NEXT) | instid1(VALU_DEP_2)
	v_cmp_neq_f32_e32 vcc_lo, v6, v2
	s_or_b32 s2, vcc_lo, s1
	s_delay_alu instid0(SALU_CYCLE_1)
	s_and_saveexec_b32 s1, s2
	s_cbranch_execz .LBB501_340
; %bb.339:
	v_sub_f32_e32 v3, v6, v2
	s_mov_b32 s2, 0x3e9b6dac
	s_delay_alu instid0(VALU_DEP_1) | instskip(SKIP_1) | instid1(VALU_DEP_2)
	v_mul_f32_e32 v6, 0x3fb8aa3b, v3
	v_cmp_ngt_f32_e32 vcc_lo, 0xc2ce8ed0, v3
	v_fma_f32 v7, 0x3fb8aa3b, v3, -v6
	v_rndne_f32_e32 v12, v6
	s_delay_alu instid0(VALU_DEP_1) | instskip(NEXT) | instid1(VALU_DEP_1)
	v_dual_fmamk_f32 v7, v3, 0x32a5705f, v7 :: v_dual_sub_f32 v6, v6, v12
	v_add_f32_e32 v6, v6, v7
	v_cvt_i32_f32_e32 v7, v12
	s_delay_alu instid0(VALU_DEP_2) | instskip(SKIP_2) | instid1(VALU_DEP_1)
	v_exp_f32_e32 v6, v6
	s_waitcnt_depctr 0xfff
	v_ldexp_f32 v6, v6, v7
	v_cndmask_b32_e32 v6, 0, v6, vcc_lo
	v_cmp_nlt_f32_e32 vcc_lo, 0x42b17218, v3
	s_delay_alu instid0(VALU_DEP_2) | instskip(NEXT) | instid1(VALU_DEP_1)
	v_cndmask_b32_e32 v3, 0x7f800000, v6, vcc_lo
	v_add_f32_e32 v12, 1.0, v3
	s_delay_alu instid0(VALU_DEP_1) | instskip(NEXT) | instid1(VALU_DEP_1)
	v_cvt_f64_f32_e32 v[6:7], v12
	v_frexp_exp_i32_f64_e32 v6, v[6:7]
	v_frexp_mant_f32_e32 v7, v12
	s_delay_alu instid0(VALU_DEP_1) | instskip(SKIP_1) | instid1(VALU_DEP_1)
	v_cmp_gt_f32_e32 vcc_lo, 0x3f2aaaab, v7
	v_add_f32_e32 v7, -1.0, v12
	v_sub_f32_e32 v36, v7, v12
	s_delay_alu instid0(VALU_DEP_1) | instskip(NEXT) | instid1(VALU_DEP_1)
	v_dual_add_f32 v36, 1.0, v36 :: v_dual_sub_f32 v7, v3, v7
	v_add_f32_e32 v7, v7, v36
	v_subrev_co_ci_u32_e32 v6, vcc_lo, 0, v6, vcc_lo
	v_cmp_eq_f32_e32 vcc_lo, 0x7f800000, v3
	s_delay_alu instid0(VALU_DEP_2) | instskip(SKIP_1) | instid1(VALU_DEP_2)
	v_sub_nc_u32_e32 v13, 0, v6
	v_cvt_f32_i32_e32 v6, v6
	v_ldexp_f32 v12, v12, v13
	v_ldexp_f32 v7, v7, v13
	s_delay_alu instid0(VALU_DEP_2) | instskip(NEXT) | instid1(VALU_DEP_1)
	v_add_f32_e32 v37, 1.0, v12
	v_dual_add_f32 v13, -1.0, v12 :: v_dual_add_f32 v36, -1.0, v37
	s_delay_alu instid0(VALU_DEP_1) | instskip(NEXT) | instid1(VALU_DEP_2)
	v_add_f32_e32 v38, 1.0, v13
	v_sub_f32_e32 v36, v12, v36
	s_delay_alu instid0(VALU_DEP_2) | instskip(NEXT) | instid1(VALU_DEP_2)
	v_sub_f32_e32 v12, v12, v38
	v_add_f32_e32 v36, v7, v36
	s_delay_alu instid0(VALU_DEP_2) | instskip(NEXT) | instid1(VALU_DEP_1)
	v_add_f32_e32 v7, v7, v12
	v_add_f32_e32 v39, v13, v7
	s_delay_alu instid0(VALU_DEP_3) | instskip(NEXT) | instid1(VALU_DEP_2)
	v_add_f32_e32 v38, v37, v36
	v_sub_f32_e32 v13, v13, v39
	s_delay_alu instid0(VALU_DEP_2) | instskip(SKIP_1) | instid1(VALU_DEP_1)
	v_rcp_f32_e32 v12, v38
	v_sub_f32_e32 v37, v37, v38
	v_add_f32_e32 v36, v36, v37
	s_delay_alu instid0(VALU_DEP_3) | instskip(SKIP_2) | instid1(VALU_DEP_1)
	v_add_f32_e32 v7, v7, v13
	s_waitcnt_depctr 0xfff
	v_mul_f32_e32 v48, v39, v12
	v_mul_f32_e32 v49, v38, v48
	s_delay_alu instid0(VALU_DEP_1) | instskip(NEXT) | instid1(VALU_DEP_1)
	v_fma_f32 v37, v48, v38, -v49
	v_fmac_f32_e32 v37, v48, v36
	s_delay_alu instid0(VALU_DEP_1) | instskip(NEXT) | instid1(VALU_DEP_1)
	v_add_f32_e32 v50, v49, v37
	v_sub_f32_e32 v51, v39, v50
	s_delay_alu instid0(VALU_DEP_1) | instskip(NEXT) | instid1(VALU_DEP_1)
	v_sub_f32_e32 v39, v39, v51
	v_sub_f32_e32 v39, v39, v50
	s_delay_alu instid0(VALU_DEP_1) | instskip(SKIP_1) | instid1(VALU_DEP_1)
	v_add_f32_e32 v7, v7, v39
	v_sub_f32_e32 v13, v50, v49
	v_sub_f32_e32 v13, v13, v37
	s_delay_alu instid0(VALU_DEP_1) | instskip(NEXT) | instid1(VALU_DEP_1)
	v_add_f32_e32 v7, v13, v7
	v_add_f32_e32 v13, v51, v7
	s_delay_alu instid0(VALU_DEP_1) | instskip(SKIP_1) | instid1(VALU_DEP_2)
	v_mul_f32_e32 v37, v12, v13
	v_sub_f32_e32 v50, v51, v13
	v_mul_f32_e32 v39, v38, v37
	s_delay_alu instid0(VALU_DEP_2) | instskip(NEXT) | instid1(VALU_DEP_2)
	v_add_f32_e32 v7, v7, v50
	v_fma_f32 v38, v37, v38, -v39
	s_delay_alu instid0(VALU_DEP_1) | instskip(NEXT) | instid1(VALU_DEP_1)
	v_fmac_f32_e32 v38, v37, v36
	v_add_f32_e32 v36, v39, v38
	s_delay_alu instid0(VALU_DEP_1) | instskip(SKIP_1) | instid1(VALU_DEP_2)
	v_sub_f32_e32 v49, v13, v36
	v_sub_f32_e32 v39, v36, v39
	;; [unrolled: 1-line block ×3, first 2 shown]
	s_delay_alu instid0(VALU_DEP_1) | instskip(NEXT) | instid1(VALU_DEP_1)
	v_dual_sub_f32 v13, v13, v36 :: v_dual_sub_f32 v36, v39, v38
	v_add_f32_e32 v7, v7, v13
	v_add_f32_e32 v13, v48, v37
	s_delay_alu instid0(VALU_DEP_1) | instskip(NEXT) | instid1(VALU_DEP_1)
	v_dual_add_f32 v7, v36, v7 :: v_dual_sub_f32 v36, v13, v48
	v_add_f32_e32 v7, v49, v7
	s_delay_alu instid0(VALU_DEP_1) | instskip(NEXT) | instid1(VALU_DEP_1)
	v_dual_sub_f32 v36, v37, v36 :: v_dual_mul_f32 v7, v12, v7
	v_add_f32_e32 v7, v36, v7
	s_delay_alu instid0(VALU_DEP_1) | instskip(NEXT) | instid1(VALU_DEP_1)
	v_add_f32_e32 v12, v13, v7
	v_mul_f32_e32 v36, v12, v12
	s_delay_alu instid0(VALU_DEP_1) | instskip(SKIP_2) | instid1(VALU_DEP_3)
	v_fmaak_f32 v37, s2, v36, 0x3ecc95a3
	v_mul_f32_e32 v38, v12, v36
	v_cmp_gt_f32_e64 s2, 0x33800000, |v3|
	v_fmaak_f32 v36, v36, v37, 0x3f2aaada
	v_ldexp_f32 v37, v12, 1
	v_sub_f32_e32 v12, v12, v13
	s_delay_alu instid0(VALU_DEP_4) | instskip(NEXT) | instid1(VALU_DEP_3)
	s_or_b32 vcc_lo, vcc_lo, s2
	v_mul_f32_e32 v36, v38, v36
	s_delay_alu instid0(VALU_DEP_2) | instskip(NEXT) | instid1(VALU_DEP_2)
	v_dual_mul_f32 v38, 0x3f317218, v6 :: v_dual_sub_f32 v7, v7, v12
	v_add_f32_e32 v13, v37, v36
	s_delay_alu instid0(VALU_DEP_2) | instskip(NEXT) | instid1(VALU_DEP_2)
	v_ldexp_f32 v7, v7, 1
	v_sub_f32_e32 v12, v13, v37
	s_delay_alu instid0(VALU_DEP_4) | instskip(NEXT) | instid1(VALU_DEP_2)
	v_fma_f32 v37, 0x3f317218, v6, -v38
	v_sub_f32_e32 v12, v36, v12
	s_delay_alu instid0(VALU_DEP_1) | instskip(NEXT) | instid1(VALU_DEP_1)
	v_dual_fmamk_f32 v6, v6, 0xb102e308, v37 :: v_dual_add_f32 v7, v7, v12
	v_add_f32_e32 v12, v38, v6
	s_delay_alu instid0(VALU_DEP_2) | instskip(NEXT) | instid1(VALU_DEP_2)
	v_add_f32_e32 v36, v13, v7
	v_sub_f32_e32 v38, v12, v38
	s_delay_alu instid0(VALU_DEP_2) | instskip(NEXT) | instid1(VALU_DEP_2)
	v_add_f32_e32 v37, v12, v36
	v_dual_sub_f32 v13, v36, v13 :: v_dual_sub_f32 v6, v6, v38
	s_delay_alu instid0(VALU_DEP_2) | instskip(NEXT) | instid1(VALU_DEP_1)
	v_sub_f32_e32 v39, v37, v12
	v_dual_sub_f32 v48, v37, v39 :: v_dual_sub_f32 v7, v7, v13
	v_sub_f32_e32 v13, v36, v39
	s_delay_alu instid0(VALU_DEP_2) | instskip(NEXT) | instid1(VALU_DEP_3)
	v_sub_f32_e32 v12, v12, v48
	v_add_f32_e32 v36, v6, v7
	s_delay_alu instid0(VALU_DEP_1) | instskip(NEXT) | instid1(VALU_DEP_1)
	v_dual_add_f32 v12, v13, v12 :: v_dual_sub_f32 v13, v36, v6
	v_dual_add_f32 v12, v36, v12 :: v_dual_sub_f32 v7, v7, v13
	v_sub_f32_e32 v36, v36, v13
	s_delay_alu instid0(VALU_DEP_1) | instskip(NEXT) | instid1(VALU_DEP_1)
	v_sub_f32_e32 v6, v6, v36
	v_add_f32_e32 v6, v7, v6
	s_delay_alu instid0(VALU_DEP_4) | instskip(NEXT) | instid1(VALU_DEP_1)
	v_add_f32_e32 v38, v37, v12
	v_sub_f32_e32 v13, v38, v37
	s_delay_alu instid0(VALU_DEP_1) | instskip(NEXT) | instid1(VALU_DEP_1)
	v_sub_f32_e32 v7, v12, v13
	v_add_f32_e32 v6, v6, v7
	s_delay_alu instid0(VALU_DEP_1) | instskip(NEXT) | instid1(VALU_DEP_1)
	v_add_f32_e32 v6, v38, v6
	v_cndmask_b32_e32 v3, v6, v3, vcc_lo
	s_delay_alu instid0(VALU_DEP_1)
	v_add_f32_e32 v3, v2, v3
.LBB501_340:
	s_or_b32 exec_lo, exec_lo, s1
	s_delay_alu instid0(VALU_DEP_1) | instskip(SKIP_1) | instid1(VALU_DEP_2)
	v_bfe_u32 v2, v3, 16, 1
	v_cmp_o_f32_e32 vcc_lo, v3, v3
	v_add3_u32 v2, v3, v2, 0x7fff
	s_delay_alu instid0(VALU_DEP_1) | instskip(NEXT) | instid1(VALU_DEP_1)
	v_lshrrev_b32_e32 v2, 16, v2
	v_cndmask_b32_e32 v67, 0x7fc0, v2, vcc_lo
	s_delay_alu instid0(VALU_DEP_1) | instskip(NEXT) | instid1(VALU_DEP_1)
	v_lshlrev_b32_e32 v3, 16, v67
	v_max_f32_e32 v2, v3, v3
	s_delay_alu instid0(VALU_DEP_1) | instskip(SKIP_2) | instid1(VALU_DEP_3)
	v_min_f32_e32 v6, v2, v68
	v_max_f32_e32 v2, v2, v68
	v_cmp_u_f32_e32 vcc_lo, v3, v3
	v_cndmask_b32_e32 v6, v6, v3, vcc_lo
	s_delay_alu instid0(VALU_DEP_3) | instskip(NEXT) | instid1(VALU_DEP_2)
	v_cndmask_b32_e32 v2, v2, v3, vcc_lo
	v_cndmask_b32_e64 v6, v6, v35, s12
	s_delay_alu instid0(VALU_DEP_2) | instskip(NEXT) | instid1(VALU_DEP_2)
	v_cndmask_b32_e64 v2, v2, v35, s12
	v_cmp_class_f32_e64 s1, v6, 0x1f8
	s_delay_alu instid0(VALU_DEP_2) | instskip(NEXT) | instid1(VALU_DEP_2)
	v_cmp_neq_f32_e32 vcc_lo, v6, v2
	s_or_b32 s2, vcc_lo, s1
	s_delay_alu instid0(SALU_CYCLE_1)
	s_and_saveexec_b32 s1, s2
	s_cbranch_execz .LBB501_342
; %bb.341:
	v_sub_f32_e32 v3, v6, v2
	s_mov_b32 s2, 0x3e9b6dac
	s_delay_alu instid0(VALU_DEP_1) | instskip(SKIP_1) | instid1(VALU_DEP_2)
	v_mul_f32_e32 v6, 0x3fb8aa3b, v3
	v_cmp_ngt_f32_e32 vcc_lo, 0xc2ce8ed0, v3
	v_fma_f32 v7, 0x3fb8aa3b, v3, -v6
	v_rndne_f32_e32 v12, v6
	s_delay_alu instid0(VALU_DEP_1) | instskip(NEXT) | instid1(VALU_DEP_1)
	v_dual_fmamk_f32 v7, v3, 0x32a5705f, v7 :: v_dual_sub_f32 v6, v6, v12
	v_add_f32_e32 v6, v6, v7
	v_cvt_i32_f32_e32 v7, v12
	s_delay_alu instid0(VALU_DEP_2) | instskip(SKIP_2) | instid1(VALU_DEP_1)
	v_exp_f32_e32 v6, v6
	s_waitcnt_depctr 0xfff
	v_ldexp_f32 v6, v6, v7
	v_cndmask_b32_e32 v6, 0, v6, vcc_lo
	v_cmp_nlt_f32_e32 vcc_lo, 0x42b17218, v3
	s_delay_alu instid0(VALU_DEP_2) | instskip(NEXT) | instid1(VALU_DEP_1)
	v_cndmask_b32_e32 v3, 0x7f800000, v6, vcc_lo
	v_add_f32_e32 v12, 1.0, v3
	s_delay_alu instid0(VALU_DEP_1) | instskip(NEXT) | instid1(VALU_DEP_1)
	v_cvt_f64_f32_e32 v[6:7], v12
	v_frexp_exp_i32_f64_e32 v6, v[6:7]
	v_frexp_mant_f32_e32 v7, v12
	s_delay_alu instid0(VALU_DEP_1) | instskip(SKIP_1) | instid1(VALU_DEP_1)
	v_cmp_gt_f32_e32 vcc_lo, 0x3f2aaaab, v7
	v_add_f32_e32 v7, -1.0, v12
	v_sub_f32_e32 v35, v7, v12
	v_sub_f32_e32 v7, v3, v7
	v_subrev_co_ci_u32_e32 v6, vcc_lo, 0, v6, vcc_lo
	s_delay_alu instid0(VALU_DEP_1) | instskip(SKIP_1) | instid1(VALU_DEP_2)
	v_sub_nc_u32_e32 v13, 0, v6
	v_cvt_f32_i32_e32 v6, v6
	v_ldexp_f32 v12, v12, v13
	s_delay_alu instid0(VALU_DEP_1) | instskip(NEXT) | instid1(VALU_DEP_1)
	v_dual_add_f32 v36, 1.0, v12 :: v_dual_add_f32 v35, 1.0, v35
	v_add_f32_e32 v7, v7, v35
	s_delay_alu instid0(VALU_DEP_2) | instskip(NEXT) | instid1(VALU_DEP_2)
	v_add_f32_e32 v35, -1.0, v36
	v_ldexp_f32 v7, v7, v13
	v_add_f32_e32 v13, -1.0, v12
	s_delay_alu instid0(VALU_DEP_3) | instskip(NEXT) | instid1(VALU_DEP_2)
	v_sub_f32_e32 v35, v12, v35
	v_add_f32_e32 v37, 1.0, v13
	s_delay_alu instid0(VALU_DEP_1) | instskip(NEXT) | instid1(VALU_DEP_1)
	v_dual_add_f32 v35, v7, v35 :: v_dual_sub_f32 v12, v12, v37
	v_add_f32_e32 v37, v36, v35
	v_cmp_eq_f32_e32 vcc_lo, 0x7f800000, v3
	s_delay_alu instid0(VALU_DEP_3) | instskip(NEXT) | instid1(VALU_DEP_3)
	v_add_f32_e32 v7, v7, v12
	v_rcp_f32_e32 v12, v37
	v_sub_f32_e32 v36, v36, v37
	s_delay_alu instid0(VALU_DEP_1) | instskip(SKIP_2) | instid1(VALU_DEP_1)
	v_dual_add_f32 v38, v13, v7 :: v_dual_add_f32 v35, v35, v36
	s_waitcnt_depctr 0xfff
	v_mul_f32_e32 v39, v38, v12
	v_mul_f32_e32 v48, v37, v39
	v_sub_f32_e32 v13, v13, v38
	s_delay_alu instid0(VALU_DEP_2) | instskip(NEXT) | instid1(VALU_DEP_2)
	v_fma_f32 v36, v39, v37, -v48
	v_add_f32_e32 v7, v7, v13
	s_delay_alu instid0(VALU_DEP_2) | instskip(NEXT) | instid1(VALU_DEP_1)
	v_fmac_f32_e32 v36, v39, v35
	v_add_f32_e32 v49, v48, v36
	s_delay_alu instid0(VALU_DEP_1) | instskip(NEXT) | instid1(VALU_DEP_1)
	v_dual_sub_f32 v50, v38, v49 :: v_dual_sub_f32 v13, v49, v48
	v_dual_sub_f32 v38, v38, v50 :: v_dual_sub_f32 v13, v13, v36
	s_delay_alu instid0(VALU_DEP_1) | instskip(NEXT) | instid1(VALU_DEP_1)
	v_sub_f32_e32 v38, v38, v49
	v_add_f32_e32 v7, v7, v38
	s_delay_alu instid0(VALU_DEP_1) | instskip(NEXT) | instid1(VALU_DEP_1)
	v_add_f32_e32 v7, v13, v7
	v_add_f32_e32 v13, v50, v7
	s_delay_alu instid0(VALU_DEP_1) | instskip(NEXT) | instid1(VALU_DEP_1)
	v_mul_f32_e32 v36, v12, v13
	v_dual_sub_f32 v49, v50, v13 :: v_dual_mul_f32 v38, v37, v36
	s_delay_alu instid0(VALU_DEP_1) | instskip(NEXT) | instid1(VALU_DEP_2)
	v_add_f32_e32 v7, v7, v49
	v_fma_f32 v37, v36, v37, -v38
	s_delay_alu instid0(VALU_DEP_1) | instskip(NEXT) | instid1(VALU_DEP_1)
	v_fmac_f32_e32 v37, v36, v35
	v_add_f32_e32 v35, v38, v37
	s_delay_alu instid0(VALU_DEP_1) | instskip(NEXT) | instid1(VALU_DEP_1)
	v_sub_f32_e32 v48, v13, v35
	v_dual_sub_f32 v38, v35, v38 :: v_dual_sub_f32 v13, v13, v48
	s_delay_alu instid0(VALU_DEP_1) | instskip(NEXT) | instid1(VALU_DEP_2)
	v_sub_f32_e32 v13, v13, v35
	v_sub_f32_e32 v35, v38, v37
	s_delay_alu instid0(VALU_DEP_2) | instskip(SKIP_1) | instid1(VALU_DEP_2)
	v_add_f32_e32 v7, v7, v13
	v_add_f32_e32 v13, v39, v36
	;; [unrolled: 1-line block ×3, first 2 shown]
	s_delay_alu instid0(VALU_DEP_2) | instskip(NEXT) | instid1(VALU_DEP_2)
	v_sub_f32_e32 v35, v13, v39
	v_add_f32_e32 v7, v48, v7
	s_delay_alu instid0(VALU_DEP_2) | instskip(NEXT) | instid1(VALU_DEP_2)
	v_sub_f32_e32 v35, v36, v35
	v_mul_f32_e32 v7, v12, v7
	s_delay_alu instid0(VALU_DEP_1) | instskip(NEXT) | instid1(VALU_DEP_1)
	v_add_f32_e32 v7, v35, v7
	v_add_f32_e32 v12, v13, v7
	s_delay_alu instid0(VALU_DEP_1) | instskip(NEXT) | instid1(VALU_DEP_1)
	v_mul_f32_e32 v35, v12, v12
	v_fmaak_f32 v36, s2, v35, 0x3ecc95a3
	v_mul_f32_e32 v37, v12, v35
	v_cmp_gt_f32_e64 s2, 0x33800000, |v3|
	s_delay_alu instid0(VALU_DEP_3) | instskip(SKIP_2) | instid1(VALU_DEP_4)
	v_fmaak_f32 v35, v35, v36, 0x3f2aaada
	v_ldexp_f32 v36, v12, 1
	v_sub_f32_e32 v12, v12, v13
	s_or_b32 vcc_lo, vcc_lo, s2
	s_delay_alu instid0(VALU_DEP_3) | instskip(SKIP_1) | instid1(VALU_DEP_3)
	v_mul_f32_e32 v35, v37, v35
	v_mul_f32_e32 v37, 0x3f317218, v6
	v_sub_f32_e32 v7, v7, v12
	s_delay_alu instid0(VALU_DEP_3) | instskip(NEXT) | instid1(VALU_DEP_2)
	v_add_f32_e32 v13, v36, v35
	v_ldexp_f32 v7, v7, 1
	s_delay_alu instid0(VALU_DEP_2) | instskip(SKIP_1) | instid1(VALU_DEP_2)
	v_sub_f32_e32 v12, v13, v36
	v_fma_f32 v36, 0x3f317218, v6, -v37
	v_sub_f32_e32 v12, v35, v12
	s_delay_alu instid0(VALU_DEP_1) | instskip(NEXT) | instid1(VALU_DEP_1)
	v_dual_fmamk_f32 v6, v6, 0xb102e308, v36 :: v_dual_add_f32 v7, v7, v12
	v_add_f32_e32 v12, v37, v6
	s_delay_alu instid0(VALU_DEP_2) | instskip(NEXT) | instid1(VALU_DEP_2)
	v_add_f32_e32 v35, v13, v7
	v_sub_f32_e32 v37, v12, v37
	s_delay_alu instid0(VALU_DEP_2) | instskip(NEXT) | instid1(VALU_DEP_2)
	v_dual_add_f32 v36, v12, v35 :: v_dual_sub_f32 v13, v35, v13
	v_sub_f32_e32 v6, v6, v37
	s_delay_alu instid0(VALU_DEP_2) | instskip(NEXT) | instid1(VALU_DEP_1)
	v_dual_sub_f32 v38, v36, v12 :: v_dual_sub_f32 v7, v7, v13
	v_sub_f32_e32 v39, v36, v38
	v_sub_f32_e32 v13, v35, v38
	s_delay_alu instid0(VALU_DEP_3) | instskip(NEXT) | instid1(VALU_DEP_3)
	v_add_f32_e32 v35, v6, v7
	v_sub_f32_e32 v12, v12, v39
	s_delay_alu instid0(VALU_DEP_1) | instskip(NEXT) | instid1(VALU_DEP_1)
	v_dual_add_f32 v12, v13, v12 :: v_dual_sub_f32 v13, v35, v6
	v_add_f32_e32 v12, v35, v12
	s_delay_alu instid0(VALU_DEP_2) | instskip(SKIP_1) | instid1(VALU_DEP_2)
	v_sub_f32_e32 v35, v35, v13
	v_sub_f32_e32 v7, v7, v13
	v_dual_add_f32 v37, v36, v12 :: v_dual_sub_f32 v6, v6, v35
	s_delay_alu instid0(VALU_DEP_1) | instskip(NEXT) | instid1(VALU_DEP_1)
	v_dual_sub_f32 v13, v37, v36 :: v_dual_add_f32 v6, v7, v6
	v_sub_f32_e32 v7, v12, v13
	s_delay_alu instid0(VALU_DEP_1) | instskip(NEXT) | instid1(VALU_DEP_1)
	v_add_f32_e32 v6, v6, v7
	v_add_f32_e32 v6, v37, v6
	s_delay_alu instid0(VALU_DEP_1) | instskip(NEXT) | instid1(VALU_DEP_1)
	v_cndmask_b32_e32 v3, v6, v3, vcc_lo
	v_add_f32_e32 v3, v2, v3
.LBB501_342:
	s_or_b32 exec_lo, exec_lo, s1
	s_delay_alu instid0(VALU_DEP_1) | instskip(SKIP_1) | instid1(VALU_DEP_2)
	v_bfe_u32 v2, v3, 16, 1
	v_cmp_o_f32_e32 vcc_lo, v3, v3
	v_add3_u32 v2, v3, v2, 0x7fff
	s_delay_alu instid0(VALU_DEP_1) | instskip(NEXT) | instid1(VALU_DEP_1)
	v_lshrrev_b32_e32 v2, 16, v2
	v_cndmask_b32_e32 v68, 0x7fc0, v2, vcc_lo
	s_delay_alu instid0(VALU_DEP_1) | instskip(NEXT) | instid1(VALU_DEP_1)
	v_lshlrev_b32_e32 v3, 16, v68
	v_max_f32_e32 v2, v3, v3
	s_delay_alu instid0(VALU_DEP_1) | instskip(SKIP_2) | instid1(VALU_DEP_3)
	v_min_f32_e32 v6, v2, v69
	v_max_f32_e32 v2, v2, v69
	v_cmp_u_f32_e32 vcc_lo, v3, v3
	v_cndmask_b32_e32 v6, v6, v3, vcc_lo
	s_delay_alu instid0(VALU_DEP_3) | instskip(NEXT) | instid1(VALU_DEP_2)
	v_cndmask_b32_e32 v2, v2, v3, vcc_lo
	v_cndmask_b32_e64 v6, v6, v34, s13
	s_delay_alu instid0(VALU_DEP_2) | instskip(NEXT) | instid1(VALU_DEP_2)
	v_cndmask_b32_e64 v2, v2, v34, s13
	v_cmp_class_f32_e64 s1, v6, 0x1f8
	s_delay_alu instid0(VALU_DEP_2) | instskip(NEXT) | instid1(VALU_DEP_2)
	v_cmp_neq_f32_e32 vcc_lo, v6, v2
	s_or_b32 s2, vcc_lo, s1
	s_delay_alu instid0(SALU_CYCLE_1)
	s_and_saveexec_b32 s1, s2
	s_cbranch_execz .LBB501_344
; %bb.343:
	v_sub_f32_e32 v3, v6, v2
	s_mov_b32 s2, 0x3e9b6dac
	s_delay_alu instid0(VALU_DEP_1) | instskip(SKIP_1) | instid1(VALU_DEP_2)
	v_mul_f32_e32 v6, 0x3fb8aa3b, v3
	v_cmp_ngt_f32_e32 vcc_lo, 0xc2ce8ed0, v3
	v_fma_f32 v7, 0x3fb8aa3b, v3, -v6
	v_rndne_f32_e32 v12, v6
	s_delay_alu instid0(VALU_DEP_1) | instskip(NEXT) | instid1(VALU_DEP_1)
	v_dual_fmamk_f32 v7, v3, 0x32a5705f, v7 :: v_dual_sub_f32 v6, v6, v12
	v_add_f32_e32 v6, v6, v7
	v_cvt_i32_f32_e32 v7, v12
	s_delay_alu instid0(VALU_DEP_2) | instskip(SKIP_2) | instid1(VALU_DEP_1)
	v_exp_f32_e32 v6, v6
	s_waitcnt_depctr 0xfff
	v_ldexp_f32 v6, v6, v7
	v_cndmask_b32_e32 v6, 0, v6, vcc_lo
	v_cmp_nlt_f32_e32 vcc_lo, 0x42b17218, v3
	s_delay_alu instid0(VALU_DEP_2) | instskip(NEXT) | instid1(VALU_DEP_1)
	v_cndmask_b32_e32 v3, 0x7f800000, v6, vcc_lo
	v_add_f32_e32 v12, 1.0, v3
	s_delay_alu instid0(VALU_DEP_1) | instskip(NEXT) | instid1(VALU_DEP_1)
	v_cvt_f64_f32_e32 v[6:7], v12
	v_frexp_exp_i32_f64_e32 v6, v[6:7]
	v_frexp_mant_f32_e32 v7, v12
	s_delay_alu instid0(VALU_DEP_1) | instskip(SKIP_1) | instid1(VALU_DEP_1)
	v_cmp_gt_f32_e32 vcc_lo, 0x3f2aaaab, v7
	v_add_f32_e32 v7, -1.0, v12
	v_sub_f32_e32 v34, v7, v12
	s_delay_alu instid0(VALU_DEP_1) | instskip(NEXT) | instid1(VALU_DEP_1)
	v_dual_sub_f32 v7, v3, v7 :: v_dual_add_f32 v34, 1.0, v34
	v_add_f32_e32 v7, v7, v34
	v_subrev_co_ci_u32_e32 v6, vcc_lo, 0, v6, vcc_lo
	s_delay_alu instid0(VALU_DEP_1) | instskip(SKIP_1) | instid1(VALU_DEP_2)
	v_sub_nc_u32_e32 v13, 0, v6
	v_cvt_f32_i32_e32 v6, v6
	v_ldexp_f32 v12, v12, v13
	v_ldexp_f32 v7, v7, v13
	s_delay_alu instid0(VALU_DEP_2) | instskip(NEXT) | instid1(VALU_DEP_1)
	v_add_f32_e32 v13, -1.0, v12
	v_dual_add_f32 v35, 1.0, v12 :: v_dual_add_f32 v36, 1.0, v13
	s_delay_alu instid0(VALU_DEP_1) | instskip(SKIP_1) | instid1(VALU_DEP_2)
	v_add_f32_e32 v34, -1.0, v35
	v_cmp_eq_f32_e32 vcc_lo, 0x7f800000, v3
	v_sub_f32_e32 v34, v12, v34
	s_delay_alu instid0(VALU_DEP_4) | instskip(NEXT) | instid1(VALU_DEP_2)
	v_sub_f32_e32 v12, v12, v36
	v_add_f32_e32 v34, v7, v34
	s_delay_alu instid0(VALU_DEP_2) | instskip(NEXT) | instid1(VALU_DEP_1)
	v_add_f32_e32 v7, v7, v12
	v_dual_add_f32 v37, v13, v7 :: v_dual_add_f32 v36, v35, v34
	s_delay_alu instid0(VALU_DEP_1) | instskip(NEXT) | instid1(VALU_DEP_2)
	v_sub_f32_e32 v13, v13, v37
	v_rcp_f32_e32 v12, v36
	v_sub_f32_e32 v35, v35, v36
	s_delay_alu instid0(VALU_DEP_1) | instskip(SKIP_2) | instid1(VALU_DEP_1)
	v_dual_add_f32 v7, v7, v13 :: v_dual_add_f32 v34, v34, v35
	s_waitcnt_depctr 0xfff
	v_mul_f32_e32 v38, v37, v12
	v_mul_f32_e32 v39, v36, v38
	s_delay_alu instid0(VALU_DEP_1) | instskip(NEXT) | instid1(VALU_DEP_1)
	v_fma_f32 v35, v38, v36, -v39
	v_fmac_f32_e32 v35, v38, v34
	s_delay_alu instid0(VALU_DEP_1) | instskip(NEXT) | instid1(VALU_DEP_1)
	v_add_f32_e32 v48, v39, v35
	v_sub_f32_e32 v49, v37, v48
	s_delay_alu instid0(VALU_DEP_1) | instskip(SKIP_1) | instid1(VALU_DEP_2)
	v_sub_f32_e32 v37, v37, v49
	v_sub_f32_e32 v13, v48, v39
	;; [unrolled: 1-line block ×3, first 2 shown]
	s_delay_alu instid0(VALU_DEP_2) | instskip(NEXT) | instid1(VALU_DEP_2)
	v_sub_f32_e32 v13, v13, v35
	v_add_f32_e32 v7, v7, v37
	s_delay_alu instid0(VALU_DEP_1) | instskip(NEXT) | instid1(VALU_DEP_1)
	v_add_f32_e32 v7, v13, v7
	v_add_f32_e32 v13, v49, v7
	s_delay_alu instid0(VALU_DEP_1) | instskip(NEXT) | instid1(VALU_DEP_1)
	v_mul_f32_e32 v35, v12, v13
	v_dual_sub_f32 v48, v49, v13 :: v_dual_mul_f32 v37, v36, v35
	s_delay_alu instid0(VALU_DEP_1) | instskip(NEXT) | instid1(VALU_DEP_2)
	v_add_f32_e32 v7, v7, v48
	v_fma_f32 v36, v35, v36, -v37
	s_delay_alu instid0(VALU_DEP_1) | instskip(NEXT) | instid1(VALU_DEP_1)
	v_fmac_f32_e32 v36, v35, v34
	v_add_f32_e32 v34, v37, v36
	s_delay_alu instid0(VALU_DEP_1) | instskip(SKIP_1) | instid1(VALU_DEP_2)
	v_sub_f32_e32 v39, v13, v34
	v_sub_f32_e32 v37, v34, v37
	v_sub_f32_e32 v13, v13, v39
	s_delay_alu instid0(VALU_DEP_1) | instskip(NEXT) | instid1(VALU_DEP_1)
	v_sub_f32_e32 v13, v13, v34
	v_dual_sub_f32 v34, v37, v36 :: v_dual_add_f32 v7, v7, v13
	v_add_f32_e32 v13, v38, v35
	s_delay_alu instid0(VALU_DEP_1) | instskip(NEXT) | instid1(VALU_DEP_1)
	v_dual_add_f32 v7, v34, v7 :: v_dual_sub_f32 v34, v13, v38
	v_add_f32_e32 v7, v39, v7
	s_delay_alu instid0(VALU_DEP_1) | instskip(NEXT) | instid1(VALU_DEP_1)
	v_dual_sub_f32 v34, v35, v34 :: v_dual_mul_f32 v7, v12, v7
	v_add_f32_e32 v7, v34, v7
	s_delay_alu instid0(VALU_DEP_1) | instskip(NEXT) | instid1(VALU_DEP_1)
	v_add_f32_e32 v12, v13, v7
	v_mul_f32_e32 v34, v12, v12
	s_delay_alu instid0(VALU_DEP_1) | instskip(SKIP_2) | instid1(VALU_DEP_3)
	v_fmaak_f32 v35, s2, v34, 0x3ecc95a3
	v_mul_f32_e32 v36, v12, v34
	v_cmp_gt_f32_e64 s2, 0x33800000, |v3|
	v_fmaak_f32 v34, v34, v35, 0x3f2aaada
	v_ldexp_f32 v35, v12, 1
	v_sub_f32_e32 v12, v12, v13
	s_delay_alu instid0(VALU_DEP_4) | instskip(NEXT) | instid1(VALU_DEP_3)
	s_or_b32 vcc_lo, vcc_lo, s2
	v_mul_f32_e32 v34, v36, v34
	s_delay_alu instid0(VALU_DEP_2) | instskip(NEXT) | instid1(VALU_DEP_2)
	v_dual_mul_f32 v36, 0x3f317218, v6 :: v_dual_sub_f32 v7, v7, v12
	v_add_f32_e32 v13, v35, v34
	s_delay_alu instid0(VALU_DEP_2) | instskip(NEXT) | instid1(VALU_DEP_2)
	v_ldexp_f32 v7, v7, 1
	v_sub_f32_e32 v12, v13, v35
	s_delay_alu instid0(VALU_DEP_4) | instskip(NEXT) | instid1(VALU_DEP_2)
	v_fma_f32 v35, 0x3f317218, v6, -v36
	v_sub_f32_e32 v12, v34, v12
	s_delay_alu instid0(VALU_DEP_1) | instskip(NEXT) | instid1(VALU_DEP_1)
	v_dual_fmamk_f32 v6, v6, 0xb102e308, v35 :: v_dual_add_f32 v7, v7, v12
	v_add_f32_e32 v12, v36, v6
	s_delay_alu instid0(VALU_DEP_1) | instskip(NEXT) | instid1(VALU_DEP_1)
	v_sub_f32_e32 v36, v12, v36
	v_sub_f32_e32 v6, v6, v36
	s_delay_alu instid0(VALU_DEP_4) | instskip(NEXT) | instid1(VALU_DEP_1)
	v_add_f32_e32 v34, v13, v7
	v_sub_f32_e32 v13, v34, v13
	s_delay_alu instid0(VALU_DEP_1) | instskip(SKIP_1) | instid1(VALU_DEP_1)
	v_sub_f32_e32 v7, v7, v13
	v_add_f32_e32 v35, v12, v34
	v_sub_f32_e32 v37, v35, v12
	s_delay_alu instid0(VALU_DEP_1) | instskip(NEXT) | instid1(VALU_DEP_4)
	v_sub_f32_e32 v13, v34, v37
	v_add_f32_e32 v34, v6, v7
	v_sub_f32_e32 v38, v35, v37
	s_delay_alu instid0(VALU_DEP_1) | instskip(NEXT) | instid1(VALU_DEP_1)
	v_sub_f32_e32 v12, v12, v38
	v_dual_add_f32 v12, v13, v12 :: v_dual_sub_f32 v13, v34, v6
	s_delay_alu instid0(VALU_DEP_1) | instskip(SKIP_1) | instid1(VALU_DEP_2)
	v_dual_add_f32 v12, v34, v12 :: v_dual_sub_f32 v7, v7, v13
	v_sub_f32_e32 v34, v34, v13
	v_add_f32_e32 v36, v35, v12
	s_delay_alu instid0(VALU_DEP_1) | instskip(NEXT) | instid1(VALU_DEP_1)
	v_dual_sub_f32 v6, v6, v34 :: v_dual_sub_f32 v13, v36, v35
	v_dual_add_f32 v6, v7, v6 :: v_dual_sub_f32 v7, v12, v13
	s_delay_alu instid0(VALU_DEP_1) | instskip(NEXT) | instid1(VALU_DEP_1)
	v_add_f32_e32 v6, v6, v7
	v_add_f32_e32 v6, v36, v6
	s_delay_alu instid0(VALU_DEP_1) | instskip(NEXT) | instid1(VALU_DEP_1)
	v_cndmask_b32_e32 v3, v6, v3, vcc_lo
	v_add_f32_e32 v3, v2, v3
.LBB501_344:
	s_or_b32 exec_lo, exec_lo, s1
	s_delay_alu instid0(VALU_DEP_1) | instskip(SKIP_1) | instid1(VALU_DEP_2)
	v_bfe_u32 v2, v3, 16, 1
	v_cmp_o_f32_e32 vcc_lo, v3, v3
	v_add3_u32 v2, v3, v2, 0x7fff
	s_delay_alu instid0(VALU_DEP_1) | instskip(NEXT) | instid1(VALU_DEP_1)
	v_lshrrev_b32_e32 v2, 16, v2
	v_cndmask_b32_e32 v69, 0x7fc0, v2, vcc_lo
	s_delay_alu instid0(VALU_DEP_1) | instskip(NEXT) | instid1(VALU_DEP_1)
	v_lshlrev_b32_e32 v3, 16, v69
	v_max_f32_e32 v2, v3, v3
	s_delay_alu instid0(VALU_DEP_1) | instskip(SKIP_2) | instid1(VALU_DEP_3)
	v_min_f32_e32 v6, v2, v70
	v_max_f32_e32 v2, v2, v70
	v_cmp_u_f32_e32 vcc_lo, v3, v3
	v_cndmask_b32_e32 v6, v6, v3, vcc_lo
	s_delay_alu instid0(VALU_DEP_3) | instskip(NEXT) | instid1(VALU_DEP_2)
	v_cndmask_b32_e32 v2, v2, v3, vcc_lo
	v_cndmask_b32_e64 v6, v6, v33, s14
	s_delay_alu instid0(VALU_DEP_2) | instskip(NEXT) | instid1(VALU_DEP_2)
	v_cndmask_b32_e64 v2, v2, v33, s14
	v_cmp_class_f32_e64 s1, v6, 0x1f8
	s_delay_alu instid0(VALU_DEP_2) | instskip(NEXT) | instid1(VALU_DEP_2)
	v_cmp_neq_f32_e32 vcc_lo, v6, v2
	s_or_b32 s2, vcc_lo, s1
	s_delay_alu instid0(SALU_CYCLE_1)
	s_and_saveexec_b32 s1, s2
	s_cbranch_execz .LBB501_346
; %bb.345:
	v_sub_f32_e32 v3, v6, v2
	s_mov_b32 s2, 0x3e9b6dac
	s_delay_alu instid0(VALU_DEP_1) | instskip(SKIP_1) | instid1(VALU_DEP_2)
	v_mul_f32_e32 v6, 0x3fb8aa3b, v3
	v_cmp_ngt_f32_e32 vcc_lo, 0xc2ce8ed0, v3
	v_fma_f32 v7, 0x3fb8aa3b, v3, -v6
	v_rndne_f32_e32 v12, v6
	s_delay_alu instid0(VALU_DEP_1) | instskip(NEXT) | instid1(VALU_DEP_1)
	v_dual_fmamk_f32 v7, v3, 0x32a5705f, v7 :: v_dual_sub_f32 v6, v6, v12
	v_add_f32_e32 v6, v6, v7
	v_cvt_i32_f32_e32 v7, v12
	s_delay_alu instid0(VALU_DEP_2) | instskip(SKIP_2) | instid1(VALU_DEP_1)
	v_exp_f32_e32 v6, v6
	s_waitcnt_depctr 0xfff
	v_ldexp_f32 v6, v6, v7
	v_cndmask_b32_e32 v6, 0, v6, vcc_lo
	v_cmp_nlt_f32_e32 vcc_lo, 0x42b17218, v3
	s_delay_alu instid0(VALU_DEP_2) | instskip(NEXT) | instid1(VALU_DEP_1)
	v_cndmask_b32_e32 v3, 0x7f800000, v6, vcc_lo
	v_add_f32_e32 v12, 1.0, v3
	s_delay_alu instid0(VALU_DEP_1) | instskip(NEXT) | instid1(VALU_DEP_1)
	v_cvt_f64_f32_e32 v[6:7], v12
	v_frexp_exp_i32_f64_e32 v6, v[6:7]
	v_frexp_mant_f32_e32 v7, v12
	s_delay_alu instid0(VALU_DEP_1) | instskip(SKIP_1) | instid1(VALU_DEP_1)
	v_cmp_gt_f32_e32 vcc_lo, 0x3f2aaaab, v7
	v_add_f32_e32 v7, -1.0, v12
	v_sub_f32_e32 v33, v7, v12
	v_sub_f32_e32 v7, v3, v7
	s_delay_alu instid0(VALU_DEP_2) | instskip(SKIP_1) | instid1(VALU_DEP_1)
	v_add_f32_e32 v33, 1.0, v33
	v_subrev_co_ci_u32_e32 v6, vcc_lo, 0, v6, vcc_lo
	v_sub_nc_u32_e32 v13, 0, v6
	v_cvt_f32_i32_e32 v6, v6
	s_delay_alu instid0(VALU_DEP_2) | instskip(NEXT) | instid1(VALU_DEP_1)
	v_ldexp_f32 v12, v12, v13
	v_dual_add_f32 v34, 1.0, v12 :: v_dual_add_f32 v7, v7, v33
	s_delay_alu instid0(VALU_DEP_1) | instskip(SKIP_1) | instid1(VALU_DEP_3)
	v_ldexp_f32 v7, v7, v13
	v_add_f32_e32 v13, -1.0, v12
	v_add_f32_e32 v33, -1.0, v34
	s_delay_alu instid0(VALU_DEP_2) | instskip(NEXT) | instid1(VALU_DEP_2)
	v_add_f32_e32 v35, 1.0, v13
	v_sub_f32_e32 v33, v12, v33
	s_delay_alu instid0(VALU_DEP_1) | instskip(SKIP_1) | instid1(VALU_DEP_2)
	v_dual_sub_f32 v12, v12, v35 :: v_dual_add_f32 v33, v7, v33
	v_cmp_eq_f32_e32 vcc_lo, 0x7f800000, v3
	v_add_f32_e32 v35, v34, v33
	s_delay_alu instid0(VALU_DEP_1) | instskip(NEXT) | instid1(VALU_DEP_1)
	v_sub_f32_e32 v34, v34, v35
	v_add_f32_e32 v33, v33, v34
	v_add_f32_e32 v7, v7, v12
	v_rcp_f32_e32 v12, v35
	s_delay_alu instid0(VALU_DEP_1) | instskip(SKIP_2) | instid1(VALU_DEP_1)
	v_add_f32_e32 v36, v13, v7
	s_waitcnt_depctr 0xfff
	v_mul_f32_e32 v37, v36, v12
	v_dual_mul_f32 v38, v35, v37 :: v_dual_sub_f32 v13, v13, v36
	s_delay_alu instid0(VALU_DEP_1) | instskip(NEXT) | instid1(VALU_DEP_1)
	v_fma_f32 v34, v37, v35, -v38
	v_fmac_f32_e32 v34, v37, v33
	s_delay_alu instid0(VALU_DEP_3) | instskip(NEXT) | instid1(VALU_DEP_2)
	v_add_f32_e32 v7, v7, v13
	v_add_f32_e32 v39, v38, v34
	s_delay_alu instid0(VALU_DEP_1) | instskip(NEXT) | instid1(VALU_DEP_1)
	v_dual_sub_f32 v48, v36, v39 :: v_dual_sub_f32 v13, v39, v38
	v_dual_sub_f32 v36, v36, v48 :: v_dual_sub_f32 v13, v13, v34
	s_delay_alu instid0(VALU_DEP_1) | instskip(NEXT) | instid1(VALU_DEP_1)
	v_sub_f32_e32 v36, v36, v39
	v_add_f32_e32 v7, v7, v36
	s_delay_alu instid0(VALU_DEP_1) | instskip(NEXT) | instid1(VALU_DEP_1)
	v_add_f32_e32 v7, v13, v7
	v_add_f32_e32 v13, v48, v7
	s_delay_alu instid0(VALU_DEP_1) | instskip(NEXT) | instid1(VALU_DEP_1)
	v_mul_f32_e32 v34, v12, v13
	v_dual_sub_f32 v39, v48, v13 :: v_dual_mul_f32 v36, v35, v34
	s_delay_alu instid0(VALU_DEP_1) | instskip(NEXT) | instid1(VALU_DEP_2)
	v_add_f32_e32 v7, v7, v39
	v_fma_f32 v35, v34, v35, -v36
	s_delay_alu instid0(VALU_DEP_1) | instskip(NEXT) | instid1(VALU_DEP_1)
	v_fmac_f32_e32 v35, v34, v33
	v_add_f32_e32 v33, v36, v35
	s_delay_alu instid0(VALU_DEP_1) | instskip(SKIP_1) | instid1(VALU_DEP_2)
	v_sub_f32_e32 v38, v13, v33
	v_sub_f32_e32 v36, v33, v36
	;; [unrolled: 1-line block ×3, first 2 shown]
	s_delay_alu instid0(VALU_DEP_1) | instskip(NEXT) | instid1(VALU_DEP_3)
	v_sub_f32_e32 v13, v13, v33
	v_sub_f32_e32 v33, v36, v35
	s_delay_alu instid0(VALU_DEP_2) | instskip(SKIP_1) | instid1(VALU_DEP_2)
	v_add_f32_e32 v7, v7, v13
	v_add_f32_e32 v13, v37, v34
	;; [unrolled: 1-line block ×3, first 2 shown]
	s_delay_alu instid0(VALU_DEP_2) | instskip(NEXT) | instid1(VALU_DEP_2)
	v_sub_f32_e32 v33, v13, v37
	v_add_f32_e32 v7, v38, v7
	s_delay_alu instid0(VALU_DEP_2) | instskip(NEXT) | instid1(VALU_DEP_2)
	v_sub_f32_e32 v33, v34, v33
	v_mul_f32_e32 v7, v12, v7
	s_delay_alu instid0(VALU_DEP_1) | instskip(NEXT) | instid1(VALU_DEP_1)
	v_add_f32_e32 v7, v33, v7
	v_add_f32_e32 v12, v13, v7
	s_delay_alu instid0(VALU_DEP_1) | instskip(NEXT) | instid1(VALU_DEP_1)
	v_mul_f32_e32 v33, v12, v12
	v_fmaak_f32 v34, s2, v33, 0x3ecc95a3
	v_mul_f32_e32 v35, v12, v33
	v_cmp_gt_f32_e64 s2, 0x33800000, |v3|
	s_delay_alu instid0(VALU_DEP_3) | instskip(SKIP_2) | instid1(VALU_DEP_4)
	v_fmaak_f32 v33, v33, v34, 0x3f2aaada
	v_ldexp_f32 v34, v12, 1
	v_sub_f32_e32 v12, v12, v13
	s_or_b32 vcc_lo, vcc_lo, s2
	s_delay_alu instid0(VALU_DEP_3) | instskip(SKIP_1) | instid1(VALU_DEP_3)
	v_mul_f32_e32 v33, v35, v33
	v_mul_f32_e32 v35, 0x3f317218, v6
	v_sub_f32_e32 v7, v7, v12
	s_delay_alu instid0(VALU_DEP_3) | instskip(NEXT) | instid1(VALU_DEP_2)
	v_add_f32_e32 v13, v34, v33
	v_ldexp_f32 v7, v7, 1
	s_delay_alu instid0(VALU_DEP_2) | instskip(SKIP_1) | instid1(VALU_DEP_2)
	v_sub_f32_e32 v12, v13, v34
	v_fma_f32 v34, 0x3f317218, v6, -v35
	v_sub_f32_e32 v12, v33, v12
	s_delay_alu instid0(VALU_DEP_1) | instskip(NEXT) | instid1(VALU_DEP_1)
	v_dual_fmamk_f32 v6, v6, 0xb102e308, v34 :: v_dual_add_f32 v7, v7, v12
	v_dual_add_f32 v12, v35, v6 :: v_dual_add_f32 v33, v13, v7
	s_delay_alu instid0(VALU_DEP_1) | instskip(NEXT) | instid1(VALU_DEP_2)
	v_sub_f32_e32 v35, v12, v35
	v_add_f32_e32 v34, v12, v33
	s_delay_alu instid0(VALU_DEP_2) | instskip(NEXT) | instid1(VALU_DEP_1)
	v_dual_sub_f32 v13, v33, v13 :: v_dual_sub_f32 v6, v6, v35
	v_dual_sub_f32 v36, v34, v12 :: v_dual_sub_f32 v7, v7, v13
	s_delay_alu instid0(VALU_DEP_1) | instskip(SKIP_1) | instid1(VALU_DEP_2)
	v_sub_f32_e32 v37, v34, v36
	v_sub_f32_e32 v13, v33, v36
	v_dual_add_f32 v33, v6, v7 :: v_dual_sub_f32 v12, v12, v37
	s_delay_alu instid0(VALU_DEP_1) | instskip(NEXT) | instid1(VALU_DEP_2)
	v_add_f32_e32 v12, v13, v12
	v_sub_f32_e32 v13, v33, v6
	s_delay_alu instid0(VALU_DEP_2) | instskip(NEXT) | instid1(VALU_DEP_2)
	v_add_f32_e32 v12, v33, v12
	v_sub_f32_e32 v33, v33, v13
	v_sub_f32_e32 v7, v7, v13
	s_delay_alu instid0(VALU_DEP_3) | instskip(NEXT) | instid1(VALU_DEP_1)
	v_add_f32_e32 v35, v34, v12
	v_dual_sub_f32 v6, v6, v33 :: v_dual_sub_f32 v13, v35, v34
	s_delay_alu instid0(VALU_DEP_1) | instskip(NEXT) | instid1(VALU_DEP_1)
	v_dual_add_f32 v6, v7, v6 :: v_dual_sub_f32 v7, v12, v13
	v_add_f32_e32 v6, v6, v7
	s_delay_alu instid0(VALU_DEP_1) | instskip(NEXT) | instid1(VALU_DEP_1)
	v_add_f32_e32 v6, v35, v6
	v_cndmask_b32_e32 v3, v6, v3, vcc_lo
	s_delay_alu instid0(VALU_DEP_1)
	v_add_f32_e32 v3, v2, v3
.LBB501_346:
	s_or_b32 exec_lo, exec_lo, s1
	s_delay_alu instid0(VALU_DEP_1) | instskip(SKIP_1) | instid1(VALU_DEP_2)
	v_bfe_u32 v2, v3, 16, 1
	v_cmp_o_f32_e32 vcc_lo, v3, v3
	v_add3_u32 v2, v3, v2, 0x7fff
	s_delay_alu instid0(VALU_DEP_1) | instskip(NEXT) | instid1(VALU_DEP_1)
	v_lshrrev_b32_e32 v2, 16, v2
	v_cndmask_b32_e32 v70, 0x7fc0, v2, vcc_lo
	s_delay_alu instid0(VALU_DEP_1) | instskip(NEXT) | instid1(VALU_DEP_1)
	v_lshlrev_b32_e32 v3, 16, v70
	v_max_f32_e32 v2, v3, v3
	s_delay_alu instid0(VALU_DEP_1) | instskip(SKIP_2) | instid1(VALU_DEP_3)
	v_min_f32_e32 v6, v2, v71
	v_max_f32_e32 v2, v2, v71
	v_cmp_u_f32_e32 vcc_lo, v3, v3
	v_cndmask_b32_e32 v6, v6, v3, vcc_lo
	s_delay_alu instid0(VALU_DEP_3) | instskip(NEXT) | instid1(VALU_DEP_2)
	v_cndmask_b32_e32 v2, v2, v3, vcc_lo
	v_cndmask_b32_e64 v6, v6, v32, s15
	s_delay_alu instid0(VALU_DEP_2) | instskip(NEXT) | instid1(VALU_DEP_2)
	v_cndmask_b32_e64 v2, v2, v32, s15
	v_cmp_class_f32_e64 s1, v6, 0x1f8
	s_delay_alu instid0(VALU_DEP_2) | instskip(NEXT) | instid1(VALU_DEP_2)
	v_cmp_neq_f32_e32 vcc_lo, v6, v2
	s_or_b32 s2, vcc_lo, s1
	s_delay_alu instid0(SALU_CYCLE_1)
	s_and_saveexec_b32 s1, s2
	s_cbranch_execz .LBB501_348
; %bb.347:
	v_sub_f32_e32 v3, v6, v2
	s_mov_b32 s2, 0x3e9b6dac
	s_delay_alu instid0(VALU_DEP_1) | instskip(SKIP_1) | instid1(VALU_DEP_2)
	v_mul_f32_e32 v6, 0x3fb8aa3b, v3
	v_cmp_ngt_f32_e32 vcc_lo, 0xc2ce8ed0, v3
	v_fma_f32 v7, 0x3fb8aa3b, v3, -v6
	v_rndne_f32_e32 v12, v6
	s_delay_alu instid0(VALU_DEP_1) | instskip(NEXT) | instid1(VALU_DEP_1)
	v_dual_fmamk_f32 v7, v3, 0x32a5705f, v7 :: v_dual_sub_f32 v6, v6, v12
	v_add_f32_e32 v6, v6, v7
	v_cvt_i32_f32_e32 v7, v12
	s_delay_alu instid0(VALU_DEP_2) | instskip(SKIP_2) | instid1(VALU_DEP_1)
	v_exp_f32_e32 v6, v6
	s_waitcnt_depctr 0xfff
	v_ldexp_f32 v6, v6, v7
	v_cndmask_b32_e32 v6, 0, v6, vcc_lo
	v_cmp_nlt_f32_e32 vcc_lo, 0x42b17218, v3
	s_delay_alu instid0(VALU_DEP_2) | instskip(NEXT) | instid1(VALU_DEP_1)
	v_cndmask_b32_e32 v3, 0x7f800000, v6, vcc_lo
	v_add_f32_e32 v12, 1.0, v3
	s_delay_alu instid0(VALU_DEP_1) | instskip(NEXT) | instid1(VALU_DEP_1)
	v_cvt_f64_f32_e32 v[6:7], v12
	v_frexp_exp_i32_f64_e32 v6, v[6:7]
	v_frexp_mant_f32_e32 v7, v12
	s_delay_alu instid0(VALU_DEP_1) | instskip(SKIP_1) | instid1(VALU_DEP_1)
	v_cmp_gt_f32_e32 vcc_lo, 0x3f2aaaab, v7
	v_add_f32_e32 v7, -1.0, v12
	v_sub_f32_e32 v32, v7, v12
	s_delay_alu instid0(VALU_DEP_1) | instskip(NEXT) | instid1(VALU_DEP_1)
	v_dual_add_f32 v32, 1.0, v32 :: v_dual_sub_f32 v7, v3, v7
	v_add_f32_e32 v7, v7, v32
	v_subrev_co_ci_u32_e32 v6, vcc_lo, 0, v6, vcc_lo
	v_cmp_eq_f32_e32 vcc_lo, 0x7f800000, v3
	s_delay_alu instid0(VALU_DEP_2) | instskip(SKIP_1) | instid1(VALU_DEP_2)
	v_sub_nc_u32_e32 v13, 0, v6
	v_cvt_f32_i32_e32 v6, v6
	v_ldexp_f32 v12, v12, v13
	v_ldexp_f32 v7, v7, v13
	s_delay_alu instid0(VALU_DEP_2) | instskip(NEXT) | instid1(VALU_DEP_1)
	v_add_f32_e32 v33, 1.0, v12
	v_dual_add_f32 v13, -1.0, v12 :: v_dual_add_f32 v32, -1.0, v33
	s_delay_alu instid0(VALU_DEP_1) | instskip(NEXT) | instid1(VALU_DEP_2)
	v_add_f32_e32 v34, 1.0, v13
	v_sub_f32_e32 v32, v12, v32
	s_delay_alu instid0(VALU_DEP_2) | instskip(NEXT) | instid1(VALU_DEP_2)
	v_sub_f32_e32 v12, v12, v34
	v_add_f32_e32 v32, v7, v32
	s_delay_alu instid0(VALU_DEP_2) | instskip(NEXT) | instid1(VALU_DEP_1)
	v_add_f32_e32 v7, v7, v12
	v_add_f32_e32 v35, v13, v7
	s_delay_alu instid0(VALU_DEP_3) | instskip(NEXT) | instid1(VALU_DEP_2)
	v_add_f32_e32 v34, v33, v32
	v_sub_f32_e32 v13, v13, v35
	s_delay_alu instid0(VALU_DEP_2) | instskip(SKIP_1) | instid1(VALU_DEP_1)
	v_rcp_f32_e32 v12, v34
	v_sub_f32_e32 v33, v33, v34
	v_add_f32_e32 v32, v32, v33
	s_delay_alu instid0(VALU_DEP_3) | instskip(SKIP_2) | instid1(VALU_DEP_1)
	v_add_f32_e32 v7, v7, v13
	s_waitcnt_depctr 0xfff
	v_mul_f32_e32 v36, v35, v12
	v_mul_f32_e32 v37, v34, v36
	s_delay_alu instid0(VALU_DEP_1) | instskip(NEXT) | instid1(VALU_DEP_1)
	v_fma_f32 v33, v36, v34, -v37
	v_fmac_f32_e32 v33, v36, v32
	s_delay_alu instid0(VALU_DEP_1) | instskip(NEXT) | instid1(VALU_DEP_1)
	v_add_f32_e32 v38, v37, v33
	v_sub_f32_e32 v39, v35, v38
	s_delay_alu instid0(VALU_DEP_1) | instskip(NEXT) | instid1(VALU_DEP_1)
	v_sub_f32_e32 v35, v35, v39
	v_sub_f32_e32 v35, v35, v38
	s_delay_alu instid0(VALU_DEP_1) | instskip(SKIP_1) | instid1(VALU_DEP_1)
	v_add_f32_e32 v7, v7, v35
	v_sub_f32_e32 v13, v38, v37
	v_sub_f32_e32 v13, v13, v33
	s_delay_alu instid0(VALU_DEP_1) | instskip(NEXT) | instid1(VALU_DEP_1)
	v_add_f32_e32 v7, v13, v7
	v_add_f32_e32 v13, v39, v7
	s_delay_alu instid0(VALU_DEP_1) | instskip(SKIP_1) | instid1(VALU_DEP_2)
	v_mul_f32_e32 v33, v12, v13
	v_sub_f32_e32 v38, v39, v13
	v_mul_f32_e32 v35, v34, v33
	s_delay_alu instid0(VALU_DEP_2) | instskip(NEXT) | instid1(VALU_DEP_2)
	v_add_f32_e32 v7, v7, v38
	v_fma_f32 v34, v33, v34, -v35
	s_delay_alu instid0(VALU_DEP_1) | instskip(NEXT) | instid1(VALU_DEP_1)
	v_fmac_f32_e32 v34, v33, v32
	v_add_f32_e32 v32, v35, v34
	s_delay_alu instid0(VALU_DEP_1) | instskip(SKIP_1) | instid1(VALU_DEP_2)
	v_sub_f32_e32 v37, v13, v32
	v_sub_f32_e32 v35, v32, v35
	;; [unrolled: 1-line block ×3, first 2 shown]
	s_delay_alu instid0(VALU_DEP_1) | instskip(NEXT) | instid1(VALU_DEP_1)
	v_dual_sub_f32 v13, v13, v32 :: v_dual_sub_f32 v32, v35, v34
	v_add_f32_e32 v7, v7, v13
	v_add_f32_e32 v13, v36, v33
	s_delay_alu instid0(VALU_DEP_1) | instskip(NEXT) | instid1(VALU_DEP_1)
	v_dual_add_f32 v7, v32, v7 :: v_dual_sub_f32 v32, v13, v36
	v_add_f32_e32 v7, v37, v7
	s_delay_alu instid0(VALU_DEP_1) | instskip(NEXT) | instid1(VALU_DEP_1)
	v_dual_sub_f32 v32, v33, v32 :: v_dual_mul_f32 v7, v12, v7
	v_add_f32_e32 v7, v32, v7
	s_delay_alu instid0(VALU_DEP_1) | instskip(NEXT) | instid1(VALU_DEP_1)
	v_add_f32_e32 v12, v13, v7
	v_mul_f32_e32 v32, v12, v12
	s_delay_alu instid0(VALU_DEP_1) | instskip(SKIP_2) | instid1(VALU_DEP_3)
	v_fmaak_f32 v33, s2, v32, 0x3ecc95a3
	v_mul_f32_e32 v34, v12, v32
	v_cmp_gt_f32_e64 s2, 0x33800000, |v3|
	v_fmaak_f32 v32, v32, v33, 0x3f2aaada
	v_ldexp_f32 v33, v12, 1
	v_sub_f32_e32 v12, v12, v13
	s_delay_alu instid0(VALU_DEP_4) | instskip(NEXT) | instid1(VALU_DEP_3)
	s_or_b32 vcc_lo, vcc_lo, s2
	v_mul_f32_e32 v32, v34, v32
	s_delay_alu instid0(VALU_DEP_2) | instskip(NEXT) | instid1(VALU_DEP_2)
	v_dual_mul_f32 v34, 0x3f317218, v6 :: v_dual_sub_f32 v7, v7, v12
	v_add_f32_e32 v13, v33, v32
	s_delay_alu instid0(VALU_DEP_2) | instskip(NEXT) | instid1(VALU_DEP_2)
	v_ldexp_f32 v7, v7, 1
	v_sub_f32_e32 v12, v13, v33
	s_delay_alu instid0(VALU_DEP_4) | instskip(NEXT) | instid1(VALU_DEP_2)
	v_fma_f32 v33, 0x3f317218, v6, -v34
	v_sub_f32_e32 v12, v32, v12
	s_delay_alu instid0(VALU_DEP_1) | instskip(NEXT) | instid1(VALU_DEP_1)
	v_dual_fmamk_f32 v6, v6, 0xb102e308, v33 :: v_dual_add_f32 v7, v7, v12
	v_add_f32_e32 v12, v34, v6
	s_delay_alu instid0(VALU_DEP_2) | instskip(NEXT) | instid1(VALU_DEP_2)
	v_add_f32_e32 v32, v13, v7
	v_sub_f32_e32 v34, v12, v34
	s_delay_alu instid0(VALU_DEP_2) | instskip(NEXT) | instid1(VALU_DEP_2)
	v_add_f32_e32 v33, v12, v32
	v_dual_sub_f32 v13, v32, v13 :: v_dual_sub_f32 v6, v6, v34
	s_delay_alu instid0(VALU_DEP_2) | instskip(NEXT) | instid1(VALU_DEP_1)
	v_sub_f32_e32 v35, v33, v12
	v_dual_sub_f32 v36, v33, v35 :: v_dual_sub_f32 v7, v7, v13
	v_sub_f32_e32 v13, v32, v35
	s_delay_alu instid0(VALU_DEP_2) | instskip(NEXT) | instid1(VALU_DEP_3)
	v_sub_f32_e32 v12, v12, v36
	v_add_f32_e32 v32, v6, v7
	s_delay_alu instid0(VALU_DEP_1) | instskip(NEXT) | instid1(VALU_DEP_1)
	v_dual_add_f32 v12, v13, v12 :: v_dual_sub_f32 v13, v32, v6
	v_dual_add_f32 v12, v32, v12 :: v_dual_sub_f32 v7, v7, v13
	v_sub_f32_e32 v32, v32, v13
	s_delay_alu instid0(VALU_DEP_1) | instskip(NEXT) | instid1(VALU_DEP_1)
	v_sub_f32_e32 v6, v6, v32
	v_add_f32_e32 v6, v7, v6
	s_delay_alu instid0(VALU_DEP_4) | instskip(NEXT) | instid1(VALU_DEP_1)
	v_add_f32_e32 v34, v33, v12
	v_sub_f32_e32 v13, v34, v33
	s_delay_alu instid0(VALU_DEP_1) | instskip(NEXT) | instid1(VALU_DEP_1)
	v_sub_f32_e32 v7, v12, v13
	v_add_f32_e32 v6, v6, v7
	s_delay_alu instid0(VALU_DEP_1) | instskip(NEXT) | instid1(VALU_DEP_1)
	v_add_f32_e32 v6, v34, v6
	v_cndmask_b32_e32 v3, v6, v3, vcc_lo
	s_delay_alu instid0(VALU_DEP_1)
	v_add_f32_e32 v3, v2, v3
.LBB501_348:
	s_or_b32 exec_lo, exec_lo, s1
	s_delay_alu instid0(VALU_DEP_1) | instskip(SKIP_1) | instid1(VALU_DEP_2)
	v_bfe_u32 v2, v3, 16, 1
	v_cmp_o_f32_e32 vcc_lo, v3, v3
	v_add3_u32 v2, v3, v2, 0x7fff
	s_delay_alu instid0(VALU_DEP_1) | instskip(NEXT) | instid1(VALU_DEP_1)
	v_lshrrev_b32_e32 v2, 16, v2
	v_cndmask_b32_e32 v71, 0x7fc0, v2, vcc_lo
	s_delay_alu instid0(VALU_DEP_1) | instskip(NEXT) | instid1(VALU_DEP_1)
	v_lshlrev_b32_e32 v3, 16, v71
	v_max_f32_e32 v2, v3, v3
	s_delay_alu instid0(VALU_DEP_1) | instskip(SKIP_2) | instid1(VALU_DEP_3)
	v_min_f32_e32 v6, v2, v80
	v_max_f32_e32 v2, v2, v80
	v_cmp_u_f32_e32 vcc_lo, v3, v3
	v_cndmask_b32_e32 v6, v6, v3, vcc_lo
	s_delay_alu instid0(VALU_DEP_3) | instskip(NEXT) | instid1(VALU_DEP_2)
	v_cndmask_b32_e32 v2, v2, v3, vcc_lo
	v_cndmask_b32_e64 v6, v6, v31, s16
	s_delay_alu instid0(VALU_DEP_2) | instskip(NEXT) | instid1(VALU_DEP_2)
	v_cndmask_b32_e64 v2, v2, v31, s16
	v_cmp_class_f32_e64 s1, v6, 0x1f8
	s_delay_alu instid0(VALU_DEP_2) | instskip(NEXT) | instid1(VALU_DEP_2)
	v_cmp_neq_f32_e32 vcc_lo, v6, v2
	s_or_b32 s2, vcc_lo, s1
	s_delay_alu instid0(SALU_CYCLE_1)
	s_and_saveexec_b32 s1, s2
	s_cbranch_execz .LBB501_350
; %bb.349:
	v_sub_f32_e32 v3, v6, v2
	s_mov_b32 s2, 0x3e9b6dac
	s_delay_alu instid0(VALU_DEP_1) | instskip(SKIP_1) | instid1(VALU_DEP_2)
	v_mul_f32_e32 v6, 0x3fb8aa3b, v3
	v_cmp_ngt_f32_e32 vcc_lo, 0xc2ce8ed0, v3
	v_fma_f32 v7, 0x3fb8aa3b, v3, -v6
	v_rndne_f32_e32 v12, v6
	s_delay_alu instid0(VALU_DEP_1) | instskip(NEXT) | instid1(VALU_DEP_1)
	v_dual_fmamk_f32 v7, v3, 0x32a5705f, v7 :: v_dual_sub_f32 v6, v6, v12
	v_add_f32_e32 v6, v6, v7
	v_cvt_i32_f32_e32 v7, v12
	s_delay_alu instid0(VALU_DEP_2) | instskip(SKIP_2) | instid1(VALU_DEP_1)
	v_exp_f32_e32 v6, v6
	s_waitcnt_depctr 0xfff
	v_ldexp_f32 v6, v6, v7
	v_cndmask_b32_e32 v6, 0, v6, vcc_lo
	v_cmp_nlt_f32_e32 vcc_lo, 0x42b17218, v3
	s_delay_alu instid0(VALU_DEP_2) | instskip(NEXT) | instid1(VALU_DEP_1)
	v_cndmask_b32_e32 v3, 0x7f800000, v6, vcc_lo
	v_add_f32_e32 v12, 1.0, v3
	s_delay_alu instid0(VALU_DEP_1) | instskip(NEXT) | instid1(VALU_DEP_1)
	v_cvt_f64_f32_e32 v[6:7], v12
	v_frexp_exp_i32_f64_e32 v6, v[6:7]
	v_frexp_mant_f32_e32 v7, v12
	s_delay_alu instid0(VALU_DEP_1) | instskip(SKIP_1) | instid1(VALU_DEP_1)
	v_cmp_gt_f32_e32 vcc_lo, 0x3f2aaaab, v7
	v_add_f32_e32 v7, -1.0, v12
	v_sub_f32_e32 v31, v7, v12
	v_sub_f32_e32 v7, v3, v7
	v_subrev_co_ci_u32_e32 v6, vcc_lo, 0, v6, vcc_lo
	s_delay_alu instid0(VALU_DEP_1) | instskip(SKIP_1) | instid1(VALU_DEP_2)
	v_sub_nc_u32_e32 v13, 0, v6
	v_cvt_f32_i32_e32 v6, v6
	v_ldexp_f32 v12, v12, v13
	s_delay_alu instid0(VALU_DEP_1) | instskip(NEXT) | instid1(VALU_DEP_1)
	v_dual_add_f32 v32, 1.0, v12 :: v_dual_add_f32 v31, 1.0, v31
	v_add_f32_e32 v7, v7, v31
	s_delay_alu instid0(VALU_DEP_2) | instskip(NEXT) | instid1(VALU_DEP_2)
	v_add_f32_e32 v31, -1.0, v32
	v_ldexp_f32 v7, v7, v13
	v_add_f32_e32 v13, -1.0, v12
	s_delay_alu instid0(VALU_DEP_3) | instskip(NEXT) | instid1(VALU_DEP_2)
	v_sub_f32_e32 v31, v12, v31
	v_add_f32_e32 v33, 1.0, v13
	s_delay_alu instid0(VALU_DEP_1) | instskip(NEXT) | instid1(VALU_DEP_1)
	v_dual_add_f32 v31, v7, v31 :: v_dual_sub_f32 v12, v12, v33
	v_add_f32_e32 v33, v32, v31
	v_cmp_eq_f32_e32 vcc_lo, 0x7f800000, v3
	s_delay_alu instid0(VALU_DEP_3) | instskip(NEXT) | instid1(VALU_DEP_3)
	v_add_f32_e32 v7, v7, v12
	v_rcp_f32_e32 v12, v33
	v_sub_f32_e32 v32, v32, v33
	s_delay_alu instid0(VALU_DEP_1) | instskip(SKIP_2) | instid1(VALU_DEP_1)
	v_dual_add_f32 v34, v13, v7 :: v_dual_add_f32 v31, v31, v32
	s_waitcnt_depctr 0xfff
	v_mul_f32_e32 v35, v34, v12
	v_mul_f32_e32 v36, v33, v35
	v_sub_f32_e32 v13, v13, v34
	s_delay_alu instid0(VALU_DEP_2) | instskip(NEXT) | instid1(VALU_DEP_2)
	v_fma_f32 v32, v35, v33, -v36
	v_add_f32_e32 v7, v7, v13
	s_delay_alu instid0(VALU_DEP_2) | instskip(NEXT) | instid1(VALU_DEP_1)
	v_fmac_f32_e32 v32, v35, v31
	v_add_f32_e32 v37, v36, v32
	s_delay_alu instid0(VALU_DEP_1) | instskip(NEXT) | instid1(VALU_DEP_1)
	v_dual_sub_f32 v38, v34, v37 :: v_dual_sub_f32 v13, v37, v36
	v_dual_sub_f32 v34, v34, v38 :: v_dual_sub_f32 v13, v13, v32
	s_delay_alu instid0(VALU_DEP_1) | instskip(NEXT) | instid1(VALU_DEP_1)
	v_sub_f32_e32 v34, v34, v37
	v_add_f32_e32 v7, v7, v34
	s_delay_alu instid0(VALU_DEP_1) | instskip(NEXT) | instid1(VALU_DEP_1)
	v_add_f32_e32 v7, v13, v7
	v_add_f32_e32 v13, v38, v7
	s_delay_alu instid0(VALU_DEP_1) | instskip(NEXT) | instid1(VALU_DEP_1)
	v_mul_f32_e32 v32, v12, v13
	v_dual_sub_f32 v37, v38, v13 :: v_dual_mul_f32 v34, v33, v32
	s_delay_alu instid0(VALU_DEP_1) | instskip(NEXT) | instid1(VALU_DEP_2)
	v_add_f32_e32 v7, v7, v37
	v_fma_f32 v33, v32, v33, -v34
	s_delay_alu instid0(VALU_DEP_1) | instskip(NEXT) | instid1(VALU_DEP_1)
	v_fmac_f32_e32 v33, v32, v31
	v_add_f32_e32 v31, v34, v33
	s_delay_alu instid0(VALU_DEP_1) | instskip(NEXT) | instid1(VALU_DEP_1)
	v_sub_f32_e32 v36, v13, v31
	v_dual_sub_f32 v34, v31, v34 :: v_dual_sub_f32 v13, v13, v36
	s_delay_alu instid0(VALU_DEP_1) | instskip(NEXT) | instid1(VALU_DEP_2)
	v_sub_f32_e32 v13, v13, v31
	v_sub_f32_e32 v31, v34, v33
	s_delay_alu instid0(VALU_DEP_2) | instskip(SKIP_1) | instid1(VALU_DEP_2)
	v_add_f32_e32 v7, v7, v13
	v_add_f32_e32 v13, v35, v32
	;; [unrolled: 1-line block ×3, first 2 shown]
	s_delay_alu instid0(VALU_DEP_2) | instskip(NEXT) | instid1(VALU_DEP_2)
	v_sub_f32_e32 v31, v13, v35
	v_add_f32_e32 v7, v36, v7
	s_delay_alu instid0(VALU_DEP_2) | instskip(NEXT) | instid1(VALU_DEP_2)
	v_sub_f32_e32 v31, v32, v31
	v_mul_f32_e32 v7, v12, v7
	s_delay_alu instid0(VALU_DEP_1) | instskip(NEXT) | instid1(VALU_DEP_1)
	v_add_f32_e32 v7, v31, v7
	v_add_f32_e32 v12, v13, v7
	s_delay_alu instid0(VALU_DEP_1) | instskip(NEXT) | instid1(VALU_DEP_1)
	v_mul_f32_e32 v31, v12, v12
	v_fmaak_f32 v32, s2, v31, 0x3ecc95a3
	v_mul_f32_e32 v33, v12, v31
	v_cmp_gt_f32_e64 s2, 0x33800000, |v3|
	s_delay_alu instid0(VALU_DEP_3) | instskip(SKIP_2) | instid1(VALU_DEP_4)
	v_fmaak_f32 v31, v31, v32, 0x3f2aaada
	v_ldexp_f32 v32, v12, 1
	v_sub_f32_e32 v12, v12, v13
	s_or_b32 vcc_lo, vcc_lo, s2
	s_delay_alu instid0(VALU_DEP_3) | instskip(SKIP_1) | instid1(VALU_DEP_3)
	v_mul_f32_e32 v31, v33, v31
	v_mul_f32_e32 v33, 0x3f317218, v6
	v_sub_f32_e32 v7, v7, v12
	s_delay_alu instid0(VALU_DEP_3) | instskip(NEXT) | instid1(VALU_DEP_2)
	v_add_f32_e32 v13, v32, v31
	v_ldexp_f32 v7, v7, 1
	s_delay_alu instid0(VALU_DEP_2) | instskip(SKIP_1) | instid1(VALU_DEP_2)
	v_sub_f32_e32 v12, v13, v32
	v_fma_f32 v32, 0x3f317218, v6, -v33
	v_sub_f32_e32 v12, v31, v12
	s_delay_alu instid0(VALU_DEP_1) | instskip(NEXT) | instid1(VALU_DEP_1)
	v_dual_fmamk_f32 v6, v6, 0xb102e308, v32 :: v_dual_add_f32 v7, v7, v12
	v_add_f32_e32 v12, v33, v6
	s_delay_alu instid0(VALU_DEP_2) | instskip(NEXT) | instid1(VALU_DEP_2)
	v_add_f32_e32 v31, v13, v7
	v_sub_f32_e32 v33, v12, v33
	s_delay_alu instid0(VALU_DEP_2) | instskip(NEXT) | instid1(VALU_DEP_2)
	v_dual_add_f32 v32, v12, v31 :: v_dual_sub_f32 v13, v31, v13
	v_sub_f32_e32 v6, v6, v33
	s_delay_alu instid0(VALU_DEP_2) | instskip(NEXT) | instid1(VALU_DEP_1)
	v_dual_sub_f32 v34, v32, v12 :: v_dual_sub_f32 v7, v7, v13
	v_sub_f32_e32 v35, v32, v34
	v_sub_f32_e32 v13, v31, v34
	s_delay_alu instid0(VALU_DEP_3) | instskip(NEXT) | instid1(VALU_DEP_3)
	v_add_f32_e32 v31, v6, v7
	v_sub_f32_e32 v12, v12, v35
	s_delay_alu instid0(VALU_DEP_1) | instskip(NEXT) | instid1(VALU_DEP_1)
	v_dual_add_f32 v12, v13, v12 :: v_dual_sub_f32 v13, v31, v6
	v_add_f32_e32 v12, v31, v12
	s_delay_alu instid0(VALU_DEP_2) | instskip(SKIP_1) | instid1(VALU_DEP_2)
	v_sub_f32_e32 v31, v31, v13
	v_sub_f32_e32 v7, v7, v13
	v_dual_add_f32 v33, v32, v12 :: v_dual_sub_f32 v6, v6, v31
	s_delay_alu instid0(VALU_DEP_1) | instskip(NEXT) | instid1(VALU_DEP_1)
	v_dual_sub_f32 v13, v33, v32 :: v_dual_add_f32 v6, v7, v6
	v_sub_f32_e32 v7, v12, v13
	s_delay_alu instid0(VALU_DEP_1) | instskip(NEXT) | instid1(VALU_DEP_1)
	v_add_f32_e32 v6, v6, v7
	v_add_f32_e32 v6, v33, v6
	s_delay_alu instid0(VALU_DEP_1) | instskip(NEXT) | instid1(VALU_DEP_1)
	v_cndmask_b32_e32 v3, v6, v3, vcc_lo
	v_add_f32_e32 v3, v2, v3
.LBB501_350:
	s_or_b32 exec_lo, exec_lo, s1
	s_delay_alu instid0(VALU_DEP_1) | instskip(SKIP_1) | instid1(VALU_DEP_2)
	v_bfe_u32 v2, v3, 16, 1
	v_cmp_o_f32_e32 vcc_lo, v3, v3
	v_add3_u32 v2, v3, v2, 0x7fff
	s_delay_alu instid0(VALU_DEP_1) | instskip(NEXT) | instid1(VALU_DEP_1)
	v_lshrrev_b32_e32 v2, 16, v2
	v_cndmask_b32_e32 v80, 0x7fc0, v2, vcc_lo
	s_delay_alu instid0(VALU_DEP_1) | instskip(NEXT) | instid1(VALU_DEP_1)
	v_lshlrev_b32_e32 v3, 16, v80
	v_max_f32_e32 v2, v3, v3
	s_delay_alu instid0(VALU_DEP_1) | instskip(SKIP_2) | instid1(VALU_DEP_3)
	v_min_f32_e32 v6, v2, v81
	v_max_f32_e32 v2, v2, v81
	v_cmp_u_f32_e32 vcc_lo, v3, v3
	v_cndmask_b32_e32 v6, v6, v3, vcc_lo
	s_delay_alu instid0(VALU_DEP_3) | instskip(NEXT) | instid1(VALU_DEP_2)
	v_cndmask_b32_e32 v2, v2, v3, vcc_lo
	v_cndmask_b32_e64 v6, v6, v30, s17
	s_delay_alu instid0(VALU_DEP_2) | instskip(NEXT) | instid1(VALU_DEP_2)
	v_cndmask_b32_e64 v2, v2, v30, s17
	v_cmp_class_f32_e64 s1, v6, 0x1f8
	s_delay_alu instid0(VALU_DEP_2) | instskip(NEXT) | instid1(VALU_DEP_2)
	v_cmp_neq_f32_e32 vcc_lo, v6, v2
	s_or_b32 s2, vcc_lo, s1
	s_delay_alu instid0(SALU_CYCLE_1)
	s_and_saveexec_b32 s1, s2
	s_cbranch_execz .LBB501_352
; %bb.351:
	v_sub_f32_e32 v3, v6, v2
	s_mov_b32 s2, 0x3e9b6dac
	s_delay_alu instid0(VALU_DEP_1) | instskip(SKIP_1) | instid1(VALU_DEP_2)
	v_mul_f32_e32 v6, 0x3fb8aa3b, v3
	v_cmp_ngt_f32_e32 vcc_lo, 0xc2ce8ed0, v3
	v_fma_f32 v7, 0x3fb8aa3b, v3, -v6
	v_rndne_f32_e32 v12, v6
	s_delay_alu instid0(VALU_DEP_1) | instskip(NEXT) | instid1(VALU_DEP_1)
	v_dual_fmamk_f32 v7, v3, 0x32a5705f, v7 :: v_dual_sub_f32 v6, v6, v12
	v_add_f32_e32 v6, v6, v7
	v_cvt_i32_f32_e32 v7, v12
	s_delay_alu instid0(VALU_DEP_2) | instskip(SKIP_2) | instid1(VALU_DEP_1)
	v_exp_f32_e32 v6, v6
	s_waitcnt_depctr 0xfff
	v_ldexp_f32 v6, v6, v7
	v_cndmask_b32_e32 v6, 0, v6, vcc_lo
	v_cmp_nlt_f32_e32 vcc_lo, 0x42b17218, v3
	s_delay_alu instid0(VALU_DEP_2) | instskip(NEXT) | instid1(VALU_DEP_1)
	v_cndmask_b32_e32 v3, 0x7f800000, v6, vcc_lo
	v_add_f32_e32 v12, 1.0, v3
	s_delay_alu instid0(VALU_DEP_1) | instskip(NEXT) | instid1(VALU_DEP_1)
	v_cvt_f64_f32_e32 v[6:7], v12
	v_frexp_exp_i32_f64_e32 v6, v[6:7]
	v_frexp_mant_f32_e32 v7, v12
	s_delay_alu instid0(VALU_DEP_1) | instskip(SKIP_1) | instid1(VALU_DEP_1)
	v_cmp_gt_f32_e32 vcc_lo, 0x3f2aaaab, v7
	v_add_f32_e32 v7, -1.0, v12
	v_sub_f32_e32 v30, v7, v12
	s_delay_alu instid0(VALU_DEP_1) | instskip(NEXT) | instid1(VALU_DEP_1)
	v_dual_sub_f32 v7, v3, v7 :: v_dual_add_f32 v30, 1.0, v30
	v_add_f32_e32 v7, v7, v30
	v_subrev_co_ci_u32_e32 v6, vcc_lo, 0, v6, vcc_lo
	s_delay_alu instid0(VALU_DEP_1) | instskip(SKIP_1) | instid1(VALU_DEP_2)
	v_sub_nc_u32_e32 v13, 0, v6
	v_cvt_f32_i32_e32 v6, v6
	v_ldexp_f32 v12, v12, v13
	v_ldexp_f32 v7, v7, v13
	s_delay_alu instid0(VALU_DEP_2) | instskip(NEXT) | instid1(VALU_DEP_1)
	v_add_f32_e32 v13, -1.0, v12
	v_dual_add_f32 v31, 1.0, v12 :: v_dual_add_f32 v32, 1.0, v13
	s_delay_alu instid0(VALU_DEP_1) | instskip(SKIP_1) | instid1(VALU_DEP_2)
	v_add_f32_e32 v30, -1.0, v31
	v_cmp_eq_f32_e32 vcc_lo, 0x7f800000, v3
	v_sub_f32_e32 v30, v12, v30
	s_delay_alu instid0(VALU_DEP_4) | instskip(NEXT) | instid1(VALU_DEP_2)
	v_sub_f32_e32 v12, v12, v32
	v_add_f32_e32 v30, v7, v30
	s_delay_alu instid0(VALU_DEP_2) | instskip(NEXT) | instid1(VALU_DEP_1)
	v_add_f32_e32 v7, v7, v12
	v_dual_add_f32 v33, v13, v7 :: v_dual_add_f32 v32, v31, v30
	s_delay_alu instid0(VALU_DEP_1) | instskip(NEXT) | instid1(VALU_DEP_2)
	v_sub_f32_e32 v13, v13, v33
	v_rcp_f32_e32 v12, v32
	v_sub_f32_e32 v31, v31, v32
	s_delay_alu instid0(VALU_DEP_1) | instskip(SKIP_2) | instid1(VALU_DEP_1)
	v_dual_add_f32 v7, v7, v13 :: v_dual_add_f32 v30, v30, v31
	s_waitcnt_depctr 0xfff
	v_mul_f32_e32 v34, v33, v12
	v_mul_f32_e32 v35, v32, v34
	s_delay_alu instid0(VALU_DEP_1) | instskip(NEXT) | instid1(VALU_DEP_1)
	v_fma_f32 v31, v34, v32, -v35
	v_fmac_f32_e32 v31, v34, v30
	s_delay_alu instid0(VALU_DEP_1) | instskip(NEXT) | instid1(VALU_DEP_1)
	v_add_f32_e32 v36, v35, v31
	v_sub_f32_e32 v37, v33, v36
	s_delay_alu instid0(VALU_DEP_1) | instskip(SKIP_1) | instid1(VALU_DEP_2)
	v_sub_f32_e32 v33, v33, v37
	v_sub_f32_e32 v13, v36, v35
	;; [unrolled: 1-line block ×3, first 2 shown]
	s_delay_alu instid0(VALU_DEP_2) | instskip(NEXT) | instid1(VALU_DEP_2)
	v_sub_f32_e32 v13, v13, v31
	v_add_f32_e32 v7, v7, v33
	s_delay_alu instid0(VALU_DEP_1) | instskip(NEXT) | instid1(VALU_DEP_1)
	v_add_f32_e32 v7, v13, v7
	v_add_f32_e32 v13, v37, v7
	s_delay_alu instid0(VALU_DEP_1) | instskip(NEXT) | instid1(VALU_DEP_1)
	v_mul_f32_e32 v31, v12, v13
	v_dual_sub_f32 v36, v37, v13 :: v_dual_mul_f32 v33, v32, v31
	s_delay_alu instid0(VALU_DEP_1) | instskip(NEXT) | instid1(VALU_DEP_2)
	v_add_f32_e32 v7, v7, v36
	v_fma_f32 v32, v31, v32, -v33
	s_delay_alu instid0(VALU_DEP_1) | instskip(NEXT) | instid1(VALU_DEP_1)
	v_fmac_f32_e32 v32, v31, v30
	v_add_f32_e32 v30, v33, v32
	s_delay_alu instid0(VALU_DEP_1) | instskip(SKIP_1) | instid1(VALU_DEP_2)
	v_sub_f32_e32 v35, v13, v30
	v_sub_f32_e32 v33, v30, v33
	;; [unrolled: 1-line block ×3, first 2 shown]
	s_delay_alu instid0(VALU_DEP_1) | instskip(NEXT) | instid1(VALU_DEP_1)
	v_sub_f32_e32 v13, v13, v30
	v_dual_sub_f32 v30, v33, v32 :: v_dual_add_f32 v7, v7, v13
	v_add_f32_e32 v13, v34, v31
	s_delay_alu instid0(VALU_DEP_1) | instskip(NEXT) | instid1(VALU_DEP_1)
	v_dual_add_f32 v7, v30, v7 :: v_dual_sub_f32 v30, v13, v34
	v_add_f32_e32 v7, v35, v7
	s_delay_alu instid0(VALU_DEP_1) | instskip(NEXT) | instid1(VALU_DEP_1)
	v_dual_sub_f32 v30, v31, v30 :: v_dual_mul_f32 v7, v12, v7
	v_add_f32_e32 v7, v30, v7
	s_delay_alu instid0(VALU_DEP_1) | instskip(NEXT) | instid1(VALU_DEP_1)
	v_add_f32_e32 v12, v13, v7
	v_mul_f32_e32 v30, v12, v12
	s_delay_alu instid0(VALU_DEP_1) | instskip(SKIP_2) | instid1(VALU_DEP_3)
	v_fmaak_f32 v31, s2, v30, 0x3ecc95a3
	v_mul_f32_e32 v32, v12, v30
	v_cmp_gt_f32_e64 s2, 0x33800000, |v3|
	v_fmaak_f32 v30, v30, v31, 0x3f2aaada
	v_ldexp_f32 v31, v12, 1
	v_sub_f32_e32 v12, v12, v13
	s_delay_alu instid0(VALU_DEP_4) | instskip(NEXT) | instid1(VALU_DEP_3)
	s_or_b32 vcc_lo, vcc_lo, s2
	v_mul_f32_e32 v30, v32, v30
	s_delay_alu instid0(VALU_DEP_2) | instskip(NEXT) | instid1(VALU_DEP_2)
	v_dual_mul_f32 v32, 0x3f317218, v6 :: v_dual_sub_f32 v7, v7, v12
	v_add_f32_e32 v13, v31, v30
	s_delay_alu instid0(VALU_DEP_2) | instskip(NEXT) | instid1(VALU_DEP_2)
	v_ldexp_f32 v7, v7, 1
	v_sub_f32_e32 v12, v13, v31
	s_delay_alu instid0(VALU_DEP_4) | instskip(NEXT) | instid1(VALU_DEP_2)
	v_fma_f32 v31, 0x3f317218, v6, -v32
	v_sub_f32_e32 v12, v30, v12
	s_delay_alu instid0(VALU_DEP_1) | instskip(NEXT) | instid1(VALU_DEP_1)
	v_dual_fmamk_f32 v6, v6, 0xb102e308, v31 :: v_dual_add_f32 v7, v7, v12
	v_add_f32_e32 v12, v32, v6
	s_delay_alu instid0(VALU_DEP_1) | instskip(NEXT) | instid1(VALU_DEP_1)
	v_sub_f32_e32 v32, v12, v32
	v_sub_f32_e32 v6, v6, v32
	s_delay_alu instid0(VALU_DEP_4) | instskip(NEXT) | instid1(VALU_DEP_1)
	v_add_f32_e32 v30, v13, v7
	v_sub_f32_e32 v13, v30, v13
	s_delay_alu instid0(VALU_DEP_1) | instskip(SKIP_1) | instid1(VALU_DEP_1)
	v_sub_f32_e32 v7, v7, v13
	v_add_f32_e32 v31, v12, v30
	v_sub_f32_e32 v33, v31, v12
	s_delay_alu instid0(VALU_DEP_1) | instskip(NEXT) | instid1(VALU_DEP_4)
	v_sub_f32_e32 v13, v30, v33
	v_add_f32_e32 v30, v6, v7
	v_sub_f32_e32 v34, v31, v33
	s_delay_alu instid0(VALU_DEP_1) | instskip(NEXT) | instid1(VALU_DEP_1)
	v_sub_f32_e32 v12, v12, v34
	v_dual_add_f32 v12, v13, v12 :: v_dual_sub_f32 v13, v30, v6
	s_delay_alu instid0(VALU_DEP_1) | instskip(SKIP_1) | instid1(VALU_DEP_2)
	v_dual_add_f32 v12, v30, v12 :: v_dual_sub_f32 v7, v7, v13
	v_sub_f32_e32 v30, v30, v13
	v_add_f32_e32 v32, v31, v12
	s_delay_alu instid0(VALU_DEP_1) | instskip(NEXT) | instid1(VALU_DEP_1)
	v_dual_sub_f32 v6, v6, v30 :: v_dual_sub_f32 v13, v32, v31
	v_dual_add_f32 v6, v7, v6 :: v_dual_sub_f32 v7, v12, v13
	s_delay_alu instid0(VALU_DEP_1) | instskip(NEXT) | instid1(VALU_DEP_1)
	v_add_f32_e32 v6, v6, v7
	v_add_f32_e32 v6, v32, v6
	s_delay_alu instid0(VALU_DEP_1) | instskip(NEXT) | instid1(VALU_DEP_1)
	v_cndmask_b32_e32 v3, v6, v3, vcc_lo
	v_add_f32_e32 v3, v2, v3
.LBB501_352:
	s_or_b32 exec_lo, exec_lo, s1
	s_delay_alu instid0(VALU_DEP_1) | instskip(SKIP_1) | instid1(VALU_DEP_2)
	v_bfe_u32 v2, v3, 16, 1
	v_cmp_o_f32_e32 vcc_lo, v3, v3
	v_add3_u32 v2, v3, v2, 0x7fff
	s_delay_alu instid0(VALU_DEP_1) | instskip(NEXT) | instid1(VALU_DEP_1)
	v_lshrrev_b32_e32 v2, 16, v2
	v_cndmask_b32_e32 v81, 0x7fc0, v2, vcc_lo
	s_delay_alu instid0(VALU_DEP_1) | instskip(NEXT) | instid1(VALU_DEP_1)
	v_lshlrev_b32_e32 v3, 16, v81
	v_max_f32_e32 v2, v3, v3
	s_delay_alu instid0(VALU_DEP_1) | instskip(SKIP_2) | instid1(VALU_DEP_3)
	v_min_f32_e32 v6, v2, v82
	v_max_f32_e32 v2, v2, v82
	v_cmp_u_f32_e32 vcc_lo, v3, v3
	v_cndmask_b32_e32 v6, v6, v3, vcc_lo
	s_delay_alu instid0(VALU_DEP_3) | instskip(NEXT) | instid1(VALU_DEP_2)
	v_cndmask_b32_e32 v2, v2, v3, vcc_lo
	v_cndmask_b32_e64 v6, v6, v29, s18
	s_delay_alu instid0(VALU_DEP_2) | instskip(NEXT) | instid1(VALU_DEP_2)
	v_cndmask_b32_e64 v2, v2, v29, s18
	v_cmp_class_f32_e64 s1, v6, 0x1f8
	s_delay_alu instid0(VALU_DEP_2) | instskip(NEXT) | instid1(VALU_DEP_2)
	v_cmp_neq_f32_e32 vcc_lo, v6, v2
	s_or_b32 s2, vcc_lo, s1
	s_delay_alu instid0(SALU_CYCLE_1)
	s_and_saveexec_b32 s1, s2
	s_cbranch_execz .LBB501_354
; %bb.353:
	v_sub_f32_e32 v3, v6, v2
	s_mov_b32 s2, 0x3e9b6dac
	s_delay_alu instid0(VALU_DEP_1) | instskip(SKIP_1) | instid1(VALU_DEP_2)
	v_mul_f32_e32 v6, 0x3fb8aa3b, v3
	v_cmp_ngt_f32_e32 vcc_lo, 0xc2ce8ed0, v3
	v_fma_f32 v7, 0x3fb8aa3b, v3, -v6
	v_rndne_f32_e32 v12, v6
	s_delay_alu instid0(VALU_DEP_1) | instskip(NEXT) | instid1(VALU_DEP_1)
	v_dual_fmamk_f32 v7, v3, 0x32a5705f, v7 :: v_dual_sub_f32 v6, v6, v12
	v_add_f32_e32 v6, v6, v7
	v_cvt_i32_f32_e32 v7, v12
	s_delay_alu instid0(VALU_DEP_2) | instskip(SKIP_2) | instid1(VALU_DEP_1)
	v_exp_f32_e32 v6, v6
	s_waitcnt_depctr 0xfff
	v_ldexp_f32 v6, v6, v7
	v_cndmask_b32_e32 v6, 0, v6, vcc_lo
	v_cmp_nlt_f32_e32 vcc_lo, 0x42b17218, v3
	s_delay_alu instid0(VALU_DEP_2) | instskip(NEXT) | instid1(VALU_DEP_1)
	v_cndmask_b32_e32 v3, 0x7f800000, v6, vcc_lo
	v_add_f32_e32 v12, 1.0, v3
	s_delay_alu instid0(VALU_DEP_1) | instskip(NEXT) | instid1(VALU_DEP_1)
	v_cvt_f64_f32_e32 v[6:7], v12
	v_frexp_exp_i32_f64_e32 v6, v[6:7]
	v_frexp_mant_f32_e32 v7, v12
	s_delay_alu instid0(VALU_DEP_1) | instskip(SKIP_1) | instid1(VALU_DEP_1)
	v_cmp_gt_f32_e32 vcc_lo, 0x3f2aaaab, v7
	v_add_f32_e32 v7, -1.0, v12
	v_sub_f32_e32 v29, v7, v12
	v_sub_f32_e32 v7, v3, v7
	s_delay_alu instid0(VALU_DEP_2) | instskip(SKIP_1) | instid1(VALU_DEP_1)
	v_add_f32_e32 v29, 1.0, v29
	v_subrev_co_ci_u32_e32 v6, vcc_lo, 0, v6, vcc_lo
	v_sub_nc_u32_e32 v13, 0, v6
	v_cvt_f32_i32_e32 v6, v6
	s_delay_alu instid0(VALU_DEP_2) | instskip(NEXT) | instid1(VALU_DEP_1)
	v_ldexp_f32 v12, v12, v13
	v_dual_add_f32 v30, 1.0, v12 :: v_dual_add_f32 v7, v7, v29
	s_delay_alu instid0(VALU_DEP_1) | instskip(SKIP_1) | instid1(VALU_DEP_3)
	v_ldexp_f32 v7, v7, v13
	v_add_f32_e32 v13, -1.0, v12
	v_add_f32_e32 v29, -1.0, v30
	s_delay_alu instid0(VALU_DEP_2) | instskip(NEXT) | instid1(VALU_DEP_2)
	v_add_f32_e32 v31, 1.0, v13
	v_sub_f32_e32 v29, v12, v29
	s_delay_alu instid0(VALU_DEP_1) | instskip(SKIP_1) | instid1(VALU_DEP_2)
	v_dual_sub_f32 v12, v12, v31 :: v_dual_add_f32 v29, v7, v29
	v_cmp_eq_f32_e32 vcc_lo, 0x7f800000, v3
	v_add_f32_e32 v31, v30, v29
	s_delay_alu instid0(VALU_DEP_1) | instskip(NEXT) | instid1(VALU_DEP_1)
	v_sub_f32_e32 v30, v30, v31
	v_add_f32_e32 v29, v29, v30
	v_add_f32_e32 v7, v7, v12
	v_rcp_f32_e32 v12, v31
	s_delay_alu instid0(VALU_DEP_1) | instskip(SKIP_2) | instid1(VALU_DEP_1)
	v_add_f32_e32 v32, v13, v7
	s_waitcnt_depctr 0xfff
	v_mul_f32_e32 v33, v32, v12
	v_dual_mul_f32 v34, v31, v33 :: v_dual_sub_f32 v13, v13, v32
	s_delay_alu instid0(VALU_DEP_1) | instskip(NEXT) | instid1(VALU_DEP_1)
	v_fma_f32 v30, v33, v31, -v34
	v_fmac_f32_e32 v30, v33, v29
	s_delay_alu instid0(VALU_DEP_3) | instskip(NEXT) | instid1(VALU_DEP_2)
	v_add_f32_e32 v7, v7, v13
	v_add_f32_e32 v35, v34, v30
	s_delay_alu instid0(VALU_DEP_1) | instskip(NEXT) | instid1(VALU_DEP_1)
	v_dual_sub_f32 v36, v32, v35 :: v_dual_sub_f32 v13, v35, v34
	v_dual_sub_f32 v32, v32, v36 :: v_dual_sub_f32 v13, v13, v30
	s_delay_alu instid0(VALU_DEP_1) | instskip(NEXT) | instid1(VALU_DEP_1)
	v_sub_f32_e32 v32, v32, v35
	v_add_f32_e32 v7, v7, v32
	s_delay_alu instid0(VALU_DEP_1) | instskip(NEXT) | instid1(VALU_DEP_1)
	v_add_f32_e32 v7, v13, v7
	v_add_f32_e32 v13, v36, v7
	s_delay_alu instid0(VALU_DEP_1) | instskip(NEXT) | instid1(VALU_DEP_1)
	v_mul_f32_e32 v30, v12, v13
	v_dual_sub_f32 v35, v36, v13 :: v_dual_mul_f32 v32, v31, v30
	s_delay_alu instid0(VALU_DEP_1) | instskip(NEXT) | instid1(VALU_DEP_2)
	v_add_f32_e32 v7, v7, v35
	v_fma_f32 v31, v30, v31, -v32
	s_delay_alu instid0(VALU_DEP_1) | instskip(NEXT) | instid1(VALU_DEP_1)
	v_fmac_f32_e32 v31, v30, v29
	v_add_f32_e32 v29, v32, v31
	s_delay_alu instid0(VALU_DEP_1) | instskip(SKIP_1) | instid1(VALU_DEP_2)
	v_sub_f32_e32 v34, v13, v29
	v_sub_f32_e32 v32, v29, v32
	;; [unrolled: 1-line block ×3, first 2 shown]
	s_delay_alu instid0(VALU_DEP_1) | instskip(NEXT) | instid1(VALU_DEP_3)
	v_sub_f32_e32 v13, v13, v29
	v_sub_f32_e32 v29, v32, v31
	s_delay_alu instid0(VALU_DEP_2) | instskip(SKIP_1) | instid1(VALU_DEP_2)
	v_add_f32_e32 v7, v7, v13
	v_add_f32_e32 v13, v33, v30
	;; [unrolled: 1-line block ×3, first 2 shown]
	s_delay_alu instid0(VALU_DEP_2) | instskip(NEXT) | instid1(VALU_DEP_2)
	v_sub_f32_e32 v29, v13, v33
	v_add_f32_e32 v7, v34, v7
	s_delay_alu instid0(VALU_DEP_2) | instskip(NEXT) | instid1(VALU_DEP_2)
	v_sub_f32_e32 v29, v30, v29
	v_mul_f32_e32 v7, v12, v7
	s_delay_alu instid0(VALU_DEP_1) | instskip(NEXT) | instid1(VALU_DEP_1)
	v_add_f32_e32 v7, v29, v7
	v_add_f32_e32 v12, v13, v7
	s_delay_alu instid0(VALU_DEP_1) | instskip(NEXT) | instid1(VALU_DEP_1)
	v_mul_f32_e32 v29, v12, v12
	v_fmaak_f32 v30, s2, v29, 0x3ecc95a3
	v_mul_f32_e32 v31, v12, v29
	v_cmp_gt_f32_e64 s2, 0x33800000, |v3|
	s_delay_alu instid0(VALU_DEP_3) | instskip(SKIP_2) | instid1(VALU_DEP_4)
	v_fmaak_f32 v29, v29, v30, 0x3f2aaada
	v_ldexp_f32 v30, v12, 1
	v_sub_f32_e32 v12, v12, v13
	s_or_b32 vcc_lo, vcc_lo, s2
	s_delay_alu instid0(VALU_DEP_3) | instskip(SKIP_1) | instid1(VALU_DEP_3)
	v_mul_f32_e32 v29, v31, v29
	v_mul_f32_e32 v31, 0x3f317218, v6
	v_sub_f32_e32 v7, v7, v12
	s_delay_alu instid0(VALU_DEP_3) | instskip(NEXT) | instid1(VALU_DEP_2)
	v_add_f32_e32 v13, v30, v29
	v_ldexp_f32 v7, v7, 1
	s_delay_alu instid0(VALU_DEP_2) | instskip(SKIP_1) | instid1(VALU_DEP_2)
	v_sub_f32_e32 v12, v13, v30
	v_fma_f32 v30, 0x3f317218, v6, -v31
	v_sub_f32_e32 v12, v29, v12
	s_delay_alu instid0(VALU_DEP_1) | instskip(NEXT) | instid1(VALU_DEP_1)
	v_dual_fmamk_f32 v6, v6, 0xb102e308, v30 :: v_dual_add_f32 v7, v7, v12
	v_dual_add_f32 v12, v31, v6 :: v_dual_add_f32 v29, v13, v7
	s_delay_alu instid0(VALU_DEP_1) | instskip(NEXT) | instid1(VALU_DEP_2)
	v_sub_f32_e32 v31, v12, v31
	v_add_f32_e32 v30, v12, v29
	s_delay_alu instid0(VALU_DEP_2) | instskip(NEXT) | instid1(VALU_DEP_1)
	v_dual_sub_f32 v13, v29, v13 :: v_dual_sub_f32 v6, v6, v31
	v_dual_sub_f32 v32, v30, v12 :: v_dual_sub_f32 v7, v7, v13
	s_delay_alu instid0(VALU_DEP_1) | instskip(SKIP_1) | instid1(VALU_DEP_2)
	v_sub_f32_e32 v33, v30, v32
	v_sub_f32_e32 v13, v29, v32
	v_dual_add_f32 v29, v6, v7 :: v_dual_sub_f32 v12, v12, v33
	s_delay_alu instid0(VALU_DEP_1) | instskip(NEXT) | instid1(VALU_DEP_2)
	v_add_f32_e32 v12, v13, v12
	v_sub_f32_e32 v13, v29, v6
	s_delay_alu instid0(VALU_DEP_2) | instskip(NEXT) | instid1(VALU_DEP_2)
	v_add_f32_e32 v12, v29, v12
	v_sub_f32_e32 v29, v29, v13
	v_sub_f32_e32 v7, v7, v13
	s_delay_alu instid0(VALU_DEP_3) | instskip(NEXT) | instid1(VALU_DEP_1)
	v_add_f32_e32 v31, v30, v12
	v_dual_sub_f32 v6, v6, v29 :: v_dual_sub_f32 v13, v31, v30
	s_delay_alu instid0(VALU_DEP_1) | instskip(NEXT) | instid1(VALU_DEP_1)
	v_dual_add_f32 v6, v7, v6 :: v_dual_sub_f32 v7, v12, v13
	v_add_f32_e32 v6, v6, v7
	s_delay_alu instid0(VALU_DEP_1) | instskip(NEXT) | instid1(VALU_DEP_1)
	v_add_f32_e32 v6, v31, v6
	v_cndmask_b32_e32 v3, v6, v3, vcc_lo
	s_delay_alu instid0(VALU_DEP_1)
	v_add_f32_e32 v3, v2, v3
.LBB501_354:
	s_or_b32 exec_lo, exec_lo, s1
	s_delay_alu instid0(VALU_DEP_1) | instskip(SKIP_1) | instid1(VALU_DEP_2)
	v_bfe_u32 v2, v3, 16, 1
	v_cmp_o_f32_e32 vcc_lo, v3, v3
	v_add3_u32 v2, v3, v2, 0x7fff
	s_delay_alu instid0(VALU_DEP_1) | instskip(NEXT) | instid1(VALU_DEP_1)
	v_lshrrev_b32_e32 v2, 16, v2
	v_cndmask_b32_e32 v82, 0x7fc0, v2, vcc_lo
	s_delay_alu instid0(VALU_DEP_1) | instskip(NEXT) | instid1(VALU_DEP_1)
	v_lshlrev_b32_e32 v3, 16, v82
	v_max_f32_e32 v2, v3, v3
	s_delay_alu instid0(VALU_DEP_1) | instskip(SKIP_2) | instid1(VALU_DEP_3)
	v_min_f32_e32 v6, v2, v83
	v_max_f32_e32 v2, v2, v83
	v_cmp_u_f32_e32 vcc_lo, v3, v3
	v_cndmask_b32_e32 v6, v6, v3, vcc_lo
	s_delay_alu instid0(VALU_DEP_3) | instskip(NEXT) | instid1(VALU_DEP_2)
	v_cndmask_b32_e32 v2, v2, v3, vcc_lo
	v_cndmask_b32_e64 v6, v6, v28, s19
	s_delay_alu instid0(VALU_DEP_2) | instskip(NEXT) | instid1(VALU_DEP_2)
	v_cndmask_b32_e64 v2, v2, v28, s19
	v_cmp_class_f32_e64 s1, v6, 0x1f8
	s_delay_alu instid0(VALU_DEP_2) | instskip(NEXT) | instid1(VALU_DEP_2)
	v_cmp_neq_f32_e32 vcc_lo, v6, v2
	s_or_b32 s2, vcc_lo, s1
	s_delay_alu instid0(SALU_CYCLE_1)
	s_and_saveexec_b32 s1, s2
	s_cbranch_execz .LBB501_356
; %bb.355:
	v_sub_f32_e32 v3, v6, v2
	s_mov_b32 s2, 0x3e9b6dac
	s_delay_alu instid0(VALU_DEP_1) | instskip(SKIP_1) | instid1(VALU_DEP_2)
	v_mul_f32_e32 v6, 0x3fb8aa3b, v3
	v_cmp_ngt_f32_e32 vcc_lo, 0xc2ce8ed0, v3
	v_fma_f32 v7, 0x3fb8aa3b, v3, -v6
	v_rndne_f32_e32 v12, v6
	s_delay_alu instid0(VALU_DEP_1) | instskip(NEXT) | instid1(VALU_DEP_1)
	v_dual_fmamk_f32 v7, v3, 0x32a5705f, v7 :: v_dual_sub_f32 v6, v6, v12
	v_add_f32_e32 v6, v6, v7
	v_cvt_i32_f32_e32 v7, v12
	s_delay_alu instid0(VALU_DEP_2) | instskip(SKIP_2) | instid1(VALU_DEP_1)
	v_exp_f32_e32 v6, v6
	s_waitcnt_depctr 0xfff
	v_ldexp_f32 v6, v6, v7
	v_cndmask_b32_e32 v6, 0, v6, vcc_lo
	v_cmp_nlt_f32_e32 vcc_lo, 0x42b17218, v3
	s_delay_alu instid0(VALU_DEP_2) | instskip(NEXT) | instid1(VALU_DEP_1)
	v_cndmask_b32_e32 v3, 0x7f800000, v6, vcc_lo
	v_add_f32_e32 v12, 1.0, v3
	s_delay_alu instid0(VALU_DEP_1) | instskip(NEXT) | instid1(VALU_DEP_1)
	v_cvt_f64_f32_e32 v[6:7], v12
	v_frexp_exp_i32_f64_e32 v6, v[6:7]
	v_frexp_mant_f32_e32 v7, v12
	s_delay_alu instid0(VALU_DEP_1) | instskip(SKIP_1) | instid1(VALU_DEP_1)
	v_cmp_gt_f32_e32 vcc_lo, 0x3f2aaaab, v7
	v_add_f32_e32 v7, -1.0, v12
	v_sub_f32_e32 v28, v7, v12
	s_delay_alu instid0(VALU_DEP_1) | instskip(NEXT) | instid1(VALU_DEP_1)
	v_dual_add_f32 v28, 1.0, v28 :: v_dual_sub_f32 v7, v3, v7
	v_add_f32_e32 v7, v7, v28
	v_subrev_co_ci_u32_e32 v6, vcc_lo, 0, v6, vcc_lo
	v_cmp_eq_f32_e32 vcc_lo, 0x7f800000, v3
	s_delay_alu instid0(VALU_DEP_2) | instskip(SKIP_1) | instid1(VALU_DEP_2)
	v_sub_nc_u32_e32 v13, 0, v6
	v_cvt_f32_i32_e32 v6, v6
	v_ldexp_f32 v12, v12, v13
	v_ldexp_f32 v7, v7, v13
	s_delay_alu instid0(VALU_DEP_2) | instskip(NEXT) | instid1(VALU_DEP_1)
	v_add_f32_e32 v29, 1.0, v12
	v_dual_add_f32 v13, -1.0, v12 :: v_dual_add_f32 v28, -1.0, v29
	s_delay_alu instid0(VALU_DEP_1) | instskip(NEXT) | instid1(VALU_DEP_2)
	v_add_f32_e32 v30, 1.0, v13
	v_sub_f32_e32 v28, v12, v28
	s_delay_alu instid0(VALU_DEP_2) | instskip(NEXT) | instid1(VALU_DEP_2)
	v_sub_f32_e32 v12, v12, v30
	v_add_f32_e32 v28, v7, v28
	s_delay_alu instid0(VALU_DEP_2) | instskip(NEXT) | instid1(VALU_DEP_1)
	v_add_f32_e32 v7, v7, v12
	v_add_f32_e32 v31, v13, v7
	s_delay_alu instid0(VALU_DEP_3) | instskip(NEXT) | instid1(VALU_DEP_2)
	v_add_f32_e32 v30, v29, v28
	v_sub_f32_e32 v13, v13, v31
	s_delay_alu instid0(VALU_DEP_2) | instskip(SKIP_1) | instid1(VALU_DEP_1)
	v_rcp_f32_e32 v12, v30
	v_sub_f32_e32 v29, v29, v30
	v_add_f32_e32 v28, v28, v29
	s_delay_alu instid0(VALU_DEP_3) | instskip(SKIP_2) | instid1(VALU_DEP_1)
	v_add_f32_e32 v7, v7, v13
	s_waitcnt_depctr 0xfff
	v_mul_f32_e32 v32, v31, v12
	v_mul_f32_e32 v33, v30, v32
	s_delay_alu instid0(VALU_DEP_1) | instskip(NEXT) | instid1(VALU_DEP_1)
	v_fma_f32 v29, v32, v30, -v33
	v_fmac_f32_e32 v29, v32, v28
	s_delay_alu instid0(VALU_DEP_1) | instskip(NEXT) | instid1(VALU_DEP_1)
	v_add_f32_e32 v34, v33, v29
	v_sub_f32_e32 v35, v31, v34
	s_delay_alu instid0(VALU_DEP_1) | instskip(NEXT) | instid1(VALU_DEP_1)
	v_sub_f32_e32 v31, v31, v35
	v_sub_f32_e32 v31, v31, v34
	s_delay_alu instid0(VALU_DEP_1) | instskip(SKIP_1) | instid1(VALU_DEP_1)
	v_add_f32_e32 v7, v7, v31
	v_sub_f32_e32 v13, v34, v33
	v_sub_f32_e32 v13, v13, v29
	s_delay_alu instid0(VALU_DEP_1) | instskip(NEXT) | instid1(VALU_DEP_1)
	v_add_f32_e32 v7, v13, v7
	v_add_f32_e32 v13, v35, v7
	s_delay_alu instid0(VALU_DEP_1) | instskip(SKIP_1) | instid1(VALU_DEP_2)
	v_mul_f32_e32 v29, v12, v13
	v_sub_f32_e32 v34, v35, v13
	v_mul_f32_e32 v31, v30, v29
	s_delay_alu instid0(VALU_DEP_2) | instskip(NEXT) | instid1(VALU_DEP_2)
	v_add_f32_e32 v7, v7, v34
	v_fma_f32 v30, v29, v30, -v31
	s_delay_alu instid0(VALU_DEP_1) | instskip(NEXT) | instid1(VALU_DEP_1)
	v_fmac_f32_e32 v30, v29, v28
	v_add_f32_e32 v28, v31, v30
	s_delay_alu instid0(VALU_DEP_1) | instskip(SKIP_1) | instid1(VALU_DEP_2)
	v_sub_f32_e32 v33, v13, v28
	v_sub_f32_e32 v31, v28, v31
	;; [unrolled: 1-line block ×3, first 2 shown]
	s_delay_alu instid0(VALU_DEP_1) | instskip(NEXT) | instid1(VALU_DEP_1)
	v_dual_sub_f32 v13, v13, v28 :: v_dual_sub_f32 v28, v31, v30
	v_add_f32_e32 v7, v7, v13
	v_add_f32_e32 v13, v32, v29
	s_delay_alu instid0(VALU_DEP_1) | instskip(NEXT) | instid1(VALU_DEP_1)
	v_dual_add_f32 v7, v28, v7 :: v_dual_sub_f32 v28, v13, v32
	v_add_f32_e32 v7, v33, v7
	s_delay_alu instid0(VALU_DEP_1) | instskip(NEXT) | instid1(VALU_DEP_1)
	v_dual_sub_f32 v28, v29, v28 :: v_dual_mul_f32 v7, v12, v7
	v_add_f32_e32 v7, v28, v7
	s_delay_alu instid0(VALU_DEP_1) | instskip(NEXT) | instid1(VALU_DEP_1)
	v_add_f32_e32 v12, v13, v7
	v_mul_f32_e32 v28, v12, v12
	s_delay_alu instid0(VALU_DEP_1) | instskip(SKIP_2) | instid1(VALU_DEP_3)
	v_fmaak_f32 v29, s2, v28, 0x3ecc95a3
	v_mul_f32_e32 v30, v12, v28
	v_cmp_gt_f32_e64 s2, 0x33800000, |v3|
	v_fmaak_f32 v28, v28, v29, 0x3f2aaada
	v_ldexp_f32 v29, v12, 1
	v_sub_f32_e32 v12, v12, v13
	s_delay_alu instid0(VALU_DEP_4) | instskip(NEXT) | instid1(VALU_DEP_3)
	s_or_b32 vcc_lo, vcc_lo, s2
	v_mul_f32_e32 v28, v30, v28
	s_delay_alu instid0(VALU_DEP_2) | instskip(NEXT) | instid1(VALU_DEP_2)
	v_dual_mul_f32 v30, 0x3f317218, v6 :: v_dual_sub_f32 v7, v7, v12
	v_add_f32_e32 v13, v29, v28
	s_delay_alu instid0(VALU_DEP_2) | instskip(NEXT) | instid1(VALU_DEP_2)
	v_ldexp_f32 v7, v7, 1
	v_sub_f32_e32 v12, v13, v29
	s_delay_alu instid0(VALU_DEP_4) | instskip(NEXT) | instid1(VALU_DEP_2)
	v_fma_f32 v29, 0x3f317218, v6, -v30
	v_sub_f32_e32 v12, v28, v12
	s_delay_alu instid0(VALU_DEP_1) | instskip(NEXT) | instid1(VALU_DEP_1)
	v_dual_fmamk_f32 v6, v6, 0xb102e308, v29 :: v_dual_add_f32 v7, v7, v12
	v_add_f32_e32 v12, v30, v6
	s_delay_alu instid0(VALU_DEP_2) | instskip(NEXT) | instid1(VALU_DEP_2)
	v_add_f32_e32 v28, v13, v7
	v_sub_f32_e32 v30, v12, v30
	s_delay_alu instid0(VALU_DEP_2) | instskip(NEXT) | instid1(VALU_DEP_2)
	v_add_f32_e32 v29, v12, v28
	v_dual_sub_f32 v13, v28, v13 :: v_dual_sub_f32 v6, v6, v30
	s_delay_alu instid0(VALU_DEP_2) | instskip(NEXT) | instid1(VALU_DEP_1)
	v_sub_f32_e32 v31, v29, v12
	v_dual_sub_f32 v32, v29, v31 :: v_dual_sub_f32 v7, v7, v13
	v_sub_f32_e32 v13, v28, v31
	s_delay_alu instid0(VALU_DEP_2) | instskip(NEXT) | instid1(VALU_DEP_3)
	v_sub_f32_e32 v12, v12, v32
	v_add_f32_e32 v28, v6, v7
	s_delay_alu instid0(VALU_DEP_1) | instskip(NEXT) | instid1(VALU_DEP_1)
	v_dual_add_f32 v12, v13, v12 :: v_dual_sub_f32 v13, v28, v6
	v_dual_add_f32 v12, v28, v12 :: v_dual_sub_f32 v7, v7, v13
	v_sub_f32_e32 v28, v28, v13
	s_delay_alu instid0(VALU_DEP_1) | instskip(NEXT) | instid1(VALU_DEP_1)
	v_sub_f32_e32 v6, v6, v28
	v_add_f32_e32 v6, v7, v6
	s_delay_alu instid0(VALU_DEP_4) | instskip(NEXT) | instid1(VALU_DEP_1)
	v_add_f32_e32 v30, v29, v12
	v_sub_f32_e32 v13, v30, v29
	s_delay_alu instid0(VALU_DEP_1) | instskip(NEXT) | instid1(VALU_DEP_1)
	v_sub_f32_e32 v7, v12, v13
	v_add_f32_e32 v6, v6, v7
	s_delay_alu instid0(VALU_DEP_1) | instskip(NEXT) | instid1(VALU_DEP_1)
	v_add_f32_e32 v6, v30, v6
	v_cndmask_b32_e32 v3, v6, v3, vcc_lo
	s_delay_alu instid0(VALU_DEP_1)
	v_add_f32_e32 v3, v2, v3
.LBB501_356:
	s_or_b32 exec_lo, exec_lo, s1
	s_delay_alu instid0(VALU_DEP_1) | instskip(SKIP_1) | instid1(VALU_DEP_2)
	v_bfe_u32 v2, v3, 16, 1
	v_cmp_o_f32_e32 vcc_lo, v3, v3
	v_add3_u32 v2, v3, v2, 0x7fff
	s_delay_alu instid0(VALU_DEP_1) | instskip(NEXT) | instid1(VALU_DEP_1)
	v_lshrrev_b32_e32 v2, 16, v2
	v_cndmask_b32_e32 v83, 0x7fc0, v2, vcc_lo
	s_delay_alu instid0(VALU_DEP_1) | instskip(NEXT) | instid1(VALU_DEP_1)
	v_lshlrev_b32_e32 v3, 16, v83
	v_max_f32_e32 v2, v3, v3
	s_delay_alu instid0(VALU_DEP_1) | instskip(SKIP_2) | instid1(VALU_DEP_3)
	v_min_f32_e32 v6, v2, v84
	v_max_f32_e32 v2, v2, v84
	v_cmp_u_f32_e32 vcc_lo, v3, v3
	v_cndmask_b32_e32 v6, v6, v3, vcc_lo
	s_delay_alu instid0(VALU_DEP_3) | instskip(NEXT) | instid1(VALU_DEP_2)
	v_cndmask_b32_e32 v2, v2, v3, vcc_lo
	v_cndmask_b32_e64 v6, v6, v27, s20
	s_delay_alu instid0(VALU_DEP_2) | instskip(NEXT) | instid1(VALU_DEP_2)
	v_cndmask_b32_e64 v2, v2, v27, s20
	v_cmp_class_f32_e64 s1, v6, 0x1f8
	s_delay_alu instid0(VALU_DEP_2) | instskip(NEXT) | instid1(VALU_DEP_2)
	v_cmp_neq_f32_e32 vcc_lo, v6, v2
	s_or_b32 s2, vcc_lo, s1
	s_delay_alu instid0(SALU_CYCLE_1)
	s_and_saveexec_b32 s1, s2
	s_cbranch_execz .LBB501_358
; %bb.357:
	v_sub_f32_e32 v3, v6, v2
	s_mov_b32 s2, 0x3e9b6dac
	s_delay_alu instid0(VALU_DEP_1) | instskip(SKIP_1) | instid1(VALU_DEP_2)
	v_mul_f32_e32 v6, 0x3fb8aa3b, v3
	v_cmp_ngt_f32_e32 vcc_lo, 0xc2ce8ed0, v3
	v_fma_f32 v7, 0x3fb8aa3b, v3, -v6
	v_rndne_f32_e32 v12, v6
	s_delay_alu instid0(VALU_DEP_1) | instskip(NEXT) | instid1(VALU_DEP_1)
	v_dual_fmamk_f32 v7, v3, 0x32a5705f, v7 :: v_dual_sub_f32 v6, v6, v12
	v_add_f32_e32 v6, v6, v7
	v_cvt_i32_f32_e32 v7, v12
	s_delay_alu instid0(VALU_DEP_2) | instskip(SKIP_2) | instid1(VALU_DEP_1)
	v_exp_f32_e32 v6, v6
	s_waitcnt_depctr 0xfff
	v_ldexp_f32 v6, v6, v7
	v_cndmask_b32_e32 v6, 0, v6, vcc_lo
	v_cmp_nlt_f32_e32 vcc_lo, 0x42b17218, v3
	s_delay_alu instid0(VALU_DEP_2) | instskip(NEXT) | instid1(VALU_DEP_1)
	v_cndmask_b32_e32 v3, 0x7f800000, v6, vcc_lo
	v_add_f32_e32 v12, 1.0, v3
	s_delay_alu instid0(VALU_DEP_1) | instskip(NEXT) | instid1(VALU_DEP_1)
	v_cvt_f64_f32_e32 v[6:7], v12
	v_frexp_exp_i32_f64_e32 v6, v[6:7]
	v_frexp_mant_f32_e32 v7, v12
	s_delay_alu instid0(VALU_DEP_1) | instskip(SKIP_1) | instid1(VALU_DEP_1)
	v_cmp_gt_f32_e32 vcc_lo, 0x3f2aaaab, v7
	v_add_f32_e32 v7, -1.0, v12
	v_sub_f32_e32 v27, v7, v12
	v_sub_f32_e32 v7, v3, v7
	v_subrev_co_ci_u32_e32 v6, vcc_lo, 0, v6, vcc_lo
	s_delay_alu instid0(VALU_DEP_1) | instskip(SKIP_1) | instid1(VALU_DEP_2)
	v_sub_nc_u32_e32 v13, 0, v6
	v_cvt_f32_i32_e32 v6, v6
	v_ldexp_f32 v12, v12, v13
	s_delay_alu instid0(VALU_DEP_1) | instskip(NEXT) | instid1(VALU_DEP_1)
	v_dual_add_f32 v28, 1.0, v12 :: v_dual_add_f32 v27, 1.0, v27
	v_add_f32_e32 v7, v7, v27
	s_delay_alu instid0(VALU_DEP_2) | instskip(NEXT) | instid1(VALU_DEP_2)
	v_add_f32_e32 v27, -1.0, v28
	v_ldexp_f32 v7, v7, v13
	v_add_f32_e32 v13, -1.0, v12
	s_delay_alu instid0(VALU_DEP_3) | instskip(NEXT) | instid1(VALU_DEP_2)
	v_sub_f32_e32 v27, v12, v27
	v_add_f32_e32 v29, 1.0, v13
	s_delay_alu instid0(VALU_DEP_1) | instskip(NEXT) | instid1(VALU_DEP_1)
	v_dual_add_f32 v27, v7, v27 :: v_dual_sub_f32 v12, v12, v29
	v_add_f32_e32 v29, v28, v27
	v_cmp_eq_f32_e32 vcc_lo, 0x7f800000, v3
	s_delay_alu instid0(VALU_DEP_3) | instskip(NEXT) | instid1(VALU_DEP_3)
	v_add_f32_e32 v7, v7, v12
	v_rcp_f32_e32 v12, v29
	v_sub_f32_e32 v28, v28, v29
	s_delay_alu instid0(VALU_DEP_1) | instskip(SKIP_2) | instid1(VALU_DEP_1)
	v_dual_add_f32 v30, v13, v7 :: v_dual_add_f32 v27, v27, v28
	s_waitcnt_depctr 0xfff
	v_mul_f32_e32 v31, v30, v12
	v_mul_f32_e32 v32, v29, v31
	v_sub_f32_e32 v13, v13, v30
	s_delay_alu instid0(VALU_DEP_2) | instskip(NEXT) | instid1(VALU_DEP_2)
	v_fma_f32 v28, v31, v29, -v32
	v_add_f32_e32 v7, v7, v13
	s_delay_alu instid0(VALU_DEP_2) | instskip(NEXT) | instid1(VALU_DEP_1)
	v_fmac_f32_e32 v28, v31, v27
	v_add_f32_e32 v33, v32, v28
	s_delay_alu instid0(VALU_DEP_1) | instskip(NEXT) | instid1(VALU_DEP_1)
	v_dual_sub_f32 v34, v30, v33 :: v_dual_sub_f32 v13, v33, v32
	v_dual_sub_f32 v30, v30, v34 :: v_dual_sub_f32 v13, v13, v28
	s_delay_alu instid0(VALU_DEP_1) | instskip(NEXT) | instid1(VALU_DEP_1)
	v_sub_f32_e32 v30, v30, v33
	v_add_f32_e32 v7, v7, v30
	s_delay_alu instid0(VALU_DEP_1) | instskip(NEXT) | instid1(VALU_DEP_1)
	v_add_f32_e32 v7, v13, v7
	v_add_f32_e32 v13, v34, v7
	s_delay_alu instid0(VALU_DEP_1) | instskip(NEXT) | instid1(VALU_DEP_1)
	v_mul_f32_e32 v28, v12, v13
	v_dual_sub_f32 v33, v34, v13 :: v_dual_mul_f32 v30, v29, v28
	s_delay_alu instid0(VALU_DEP_1) | instskip(NEXT) | instid1(VALU_DEP_2)
	v_add_f32_e32 v7, v7, v33
	v_fma_f32 v29, v28, v29, -v30
	s_delay_alu instid0(VALU_DEP_1) | instskip(NEXT) | instid1(VALU_DEP_1)
	v_fmac_f32_e32 v29, v28, v27
	v_add_f32_e32 v27, v30, v29
	s_delay_alu instid0(VALU_DEP_1) | instskip(NEXT) | instid1(VALU_DEP_1)
	v_sub_f32_e32 v32, v13, v27
	v_dual_sub_f32 v30, v27, v30 :: v_dual_sub_f32 v13, v13, v32
	s_delay_alu instid0(VALU_DEP_1) | instskip(NEXT) | instid1(VALU_DEP_2)
	v_sub_f32_e32 v13, v13, v27
	v_sub_f32_e32 v27, v30, v29
	s_delay_alu instid0(VALU_DEP_2) | instskip(SKIP_1) | instid1(VALU_DEP_2)
	v_add_f32_e32 v7, v7, v13
	v_add_f32_e32 v13, v31, v28
	;; [unrolled: 1-line block ×3, first 2 shown]
	s_delay_alu instid0(VALU_DEP_2) | instskip(NEXT) | instid1(VALU_DEP_2)
	v_sub_f32_e32 v27, v13, v31
	v_add_f32_e32 v7, v32, v7
	s_delay_alu instid0(VALU_DEP_2) | instskip(NEXT) | instid1(VALU_DEP_2)
	v_sub_f32_e32 v27, v28, v27
	v_mul_f32_e32 v7, v12, v7
	s_delay_alu instid0(VALU_DEP_1) | instskip(NEXT) | instid1(VALU_DEP_1)
	v_add_f32_e32 v7, v27, v7
	v_add_f32_e32 v12, v13, v7
	s_delay_alu instid0(VALU_DEP_1) | instskip(NEXT) | instid1(VALU_DEP_1)
	v_mul_f32_e32 v27, v12, v12
	v_fmaak_f32 v28, s2, v27, 0x3ecc95a3
	v_mul_f32_e32 v29, v12, v27
	v_cmp_gt_f32_e64 s2, 0x33800000, |v3|
	s_delay_alu instid0(VALU_DEP_3) | instskip(SKIP_2) | instid1(VALU_DEP_4)
	v_fmaak_f32 v27, v27, v28, 0x3f2aaada
	v_ldexp_f32 v28, v12, 1
	v_sub_f32_e32 v12, v12, v13
	s_or_b32 vcc_lo, vcc_lo, s2
	s_delay_alu instid0(VALU_DEP_3) | instskip(SKIP_1) | instid1(VALU_DEP_3)
	v_mul_f32_e32 v27, v29, v27
	v_mul_f32_e32 v29, 0x3f317218, v6
	v_sub_f32_e32 v7, v7, v12
	s_delay_alu instid0(VALU_DEP_3) | instskip(NEXT) | instid1(VALU_DEP_2)
	v_add_f32_e32 v13, v28, v27
	v_ldexp_f32 v7, v7, 1
	s_delay_alu instid0(VALU_DEP_2) | instskip(SKIP_1) | instid1(VALU_DEP_2)
	v_sub_f32_e32 v12, v13, v28
	v_fma_f32 v28, 0x3f317218, v6, -v29
	v_sub_f32_e32 v12, v27, v12
	s_delay_alu instid0(VALU_DEP_1) | instskip(NEXT) | instid1(VALU_DEP_1)
	v_dual_fmamk_f32 v6, v6, 0xb102e308, v28 :: v_dual_add_f32 v7, v7, v12
	v_add_f32_e32 v12, v29, v6
	s_delay_alu instid0(VALU_DEP_2) | instskip(NEXT) | instid1(VALU_DEP_2)
	v_add_f32_e32 v27, v13, v7
	v_sub_f32_e32 v29, v12, v29
	s_delay_alu instid0(VALU_DEP_2) | instskip(NEXT) | instid1(VALU_DEP_2)
	v_dual_add_f32 v28, v12, v27 :: v_dual_sub_f32 v13, v27, v13
	v_sub_f32_e32 v6, v6, v29
	s_delay_alu instid0(VALU_DEP_2) | instskip(NEXT) | instid1(VALU_DEP_1)
	v_dual_sub_f32 v30, v28, v12 :: v_dual_sub_f32 v7, v7, v13
	v_sub_f32_e32 v31, v28, v30
	v_sub_f32_e32 v13, v27, v30
	s_delay_alu instid0(VALU_DEP_3) | instskip(NEXT) | instid1(VALU_DEP_3)
	v_add_f32_e32 v27, v6, v7
	v_sub_f32_e32 v12, v12, v31
	s_delay_alu instid0(VALU_DEP_1) | instskip(NEXT) | instid1(VALU_DEP_1)
	v_dual_add_f32 v12, v13, v12 :: v_dual_sub_f32 v13, v27, v6
	v_add_f32_e32 v12, v27, v12
	s_delay_alu instid0(VALU_DEP_2) | instskip(SKIP_1) | instid1(VALU_DEP_2)
	v_sub_f32_e32 v27, v27, v13
	v_sub_f32_e32 v7, v7, v13
	v_dual_add_f32 v29, v28, v12 :: v_dual_sub_f32 v6, v6, v27
	s_delay_alu instid0(VALU_DEP_1) | instskip(NEXT) | instid1(VALU_DEP_1)
	v_dual_sub_f32 v13, v29, v28 :: v_dual_add_f32 v6, v7, v6
	v_sub_f32_e32 v7, v12, v13
	s_delay_alu instid0(VALU_DEP_1) | instskip(NEXT) | instid1(VALU_DEP_1)
	v_add_f32_e32 v6, v6, v7
	v_add_f32_e32 v6, v29, v6
	s_delay_alu instid0(VALU_DEP_1) | instskip(NEXT) | instid1(VALU_DEP_1)
	v_cndmask_b32_e32 v3, v6, v3, vcc_lo
	v_add_f32_e32 v3, v2, v3
.LBB501_358:
	s_or_b32 exec_lo, exec_lo, s1
	s_delay_alu instid0(VALU_DEP_1) | instskip(SKIP_1) | instid1(VALU_DEP_2)
	v_bfe_u32 v2, v3, 16, 1
	v_cmp_o_f32_e32 vcc_lo, v3, v3
	v_add3_u32 v2, v3, v2, 0x7fff
	s_delay_alu instid0(VALU_DEP_1) | instskip(NEXT) | instid1(VALU_DEP_1)
	v_lshrrev_b32_e32 v2, 16, v2
	v_cndmask_b32_e32 v84, 0x7fc0, v2, vcc_lo
	s_delay_alu instid0(VALU_DEP_1) | instskip(NEXT) | instid1(VALU_DEP_1)
	v_lshlrev_b32_e32 v3, 16, v84
	v_max_f32_e32 v2, v3, v3
	s_delay_alu instid0(VALU_DEP_1) | instskip(SKIP_2) | instid1(VALU_DEP_3)
	v_min_f32_e32 v6, v2, v85
	v_max_f32_e32 v2, v2, v85
	v_cmp_u_f32_e32 vcc_lo, v3, v3
	v_cndmask_b32_e32 v6, v6, v3, vcc_lo
	s_delay_alu instid0(VALU_DEP_3) | instskip(NEXT) | instid1(VALU_DEP_2)
	v_cndmask_b32_e32 v2, v2, v3, vcc_lo
	v_cndmask_b32_e64 v6, v6, v26, s21
	s_delay_alu instid0(VALU_DEP_2) | instskip(NEXT) | instid1(VALU_DEP_2)
	v_cndmask_b32_e64 v2, v2, v26, s21
	v_cmp_class_f32_e64 s1, v6, 0x1f8
	s_delay_alu instid0(VALU_DEP_2) | instskip(NEXT) | instid1(VALU_DEP_2)
	v_cmp_neq_f32_e32 vcc_lo, v6, v2
	s_or_b32 s2, vcc_lo, s1
	s_delay_alu instid0(SALU_CYCLE_1)
	s_and_saveexec_b32 s1, s2
	s_cbranch_execz .LBB501_360
; %bb.359:
	v_sub_f32_e32 v3, v6, v2
	s_mov_b32 s2, 0x3e9b6dac
	s_delay_alu instid0(VALU_DEP_1) | instskip(SKIP_1) | instid1(VALU_DEP_2)
	v_mul_f32_e32 v6, 0x3fb8aa3b, v3
	v_cmp_ngt_f32_e32 vcc_lo, 0xc2ce8ed0, v3
	v_fma_f32 v7, 0x3fb8aa3b, v3, -v6
	v_rndne_f32_e32 v12, v6
	s_delay_alu instid0(VALU_DEP_1) | instskip(NEXT) | instid1(VALU_DEP_1)
	v_dual_fmamk_f32 v7, v3, 0x32a5705f, v7 :: v_dual_sub_f32 v6, v6, v12
	v_add_f32_e32 v6, v6, v7
	v_cvt_i32_f32_e32 v7, v12
	s_delay_alu instid0(VALU_DEP_2) | instskip(SKIP_2) | instid1(VALU_DEP_1)
	v_exp_f32_e32 v6, v6
	s_waitcnt_depctr 0xfff
	v_ldexp_f32 v6, v6, v7
	v_cndmask_b32_e32 v6, 0, v6, vcc_lo
	v_cmp_nlt_f32_e32 vcc_lo, 0x42b17218, v3
	s_delay_alu instid0(VALU_DEP_2) | instskip(NEXT) | instid1(VALU_DEP_1)
	v_cndmask_b32_e32 v3, 0x7f800000, v6, vcc_lo
	v_add_f32_e32 v12, 1.0, v3
	s_delay_alu instid0(VALU_DEP_1) | instskip(NEXT) | instid1(VALU_DEP_1)
	v_cvt_f64_f32_e32 v[6:7], v12
	v_frexp_exp_i32_f64_e32 v6, v[6:7]
	v_frexp_mant_f32_e32 v7, v12
	s_delay_alu instid0(VALU_DEP_1) | instskip(SKIP_1) | instid1(VALU_DEP_1)
	v_cmp_gt_f32_e32 vcc_lo, 0x3f2aaaab, v7
	v_add_f32_e32 v7, -1.0, v12
	v_sub_f32_e32 v26, v7, v12
	s_delay_alu instid0(VALU_DEP_1) | instskip(NEXT) | instid1(VALU_DEP_1)
	v_dual_sub_f32 v7, v3, v7 :: v_dual_add_f32 v26, 1.0, v26
	v_add_f32_e32 v7, v7, v26
	v_subrev_co_ci_u32_e32 v6, vcc_lo, 0, v6, vcc_lo
	s_delay_alu instid0(VALU_DEP_1) | instskip(SKIP_1) | instid1(VALU_DEP_2)
	v_sub_nc_u32_e32 v13, 0, v6
	v_cvt_f32_i32_e32 v6, v6
	v_ldexp_f32 v12, v12, v13
	v_ldexp_f32 v7, v7, v13
	s_delay_alu instid0(VALU_DEP_2) | instskip(NEXT) | instid1(VALU_DEP_1)
	v_add_f32_e32 v13, -1.0, v12
	v_dual_add_f32 v27, 1.0, v12 :: v_dual_add_f32 v28, 1.0, v13
	s_delay_alu instid0(VALU_DEP_1) | instskip(SKIP_1) | instid1(VALU_DEP_2)
	v_add_f32_e32 v26, -1.0, v27
	v_cmp_eq_f32_e32 vcc_lo, 0x7f800000, v3
	v_sub_f32_e32 v26, v12, v26
	s_delay_alu instid0(VALU_DEP_4) | instskip(NEXT) | instid1(VALU_DEP_2)
	v_sub_f32_e32 v12, v12, v28
	v_add_f32_e32 v26, v7, v26
	s_delay_alu instid0(VALU_DEP_2) | instskip(NEXT) | instid1(VALU_DEP_1)
	v_add_f32_e32 v7, v7, v12
	v_dual_add_f32 v29, v13, v7 :: v_dual_add_f32 v28, v27, v26
	s_delay_alu instid0(VALU_DEP_1) | instskip(NEXT) | instid1(VALU_DEP_2)
	v_sub_f32_e32 v13, v13, v29
	v_rcp_f32_e32 v12, v28
	v_sub_f32_e32 v27, v27, v28
	s_delay_alu instid0(VALU_DEP_1) | instskip(SKIP_2) | instid1(VALU_DEP_1)
	v_dual_add_f32 v7, v7, v13 :: v_dual_add_f32 v26, v26, v27
	s_waitcnt_depctr 0xfff
	v_mul_f32_e32 v30, v29, v12
	v_mul_f32_e32 v31, v28, v30
	s_delay_alu instid0(VALU_DEP_1) | instskip(NEXT) | instid1(VALU_DEP_1)
	v_fma_f32 v27, v30, v28, -v31
	v_fmac_f32_e32 v27, v30, v26
	s_delay_alu instid0(VALU_DEP_1) | instskip(NEXT) | instid1(VALU_DEP_1)
	v_add_f32_e32 v32, v31, v27
	v_sub_f32_e32 v33, v29, v32
	s_delay_alu instid0(VALU_DEP_1) | instskip(SKIP_1) | instid1(VALU_DEP_2)
	v_sub_f32_e32 v29, v29, v33
	v_sub_f32_e32 v13, v32, v31
	;; [unrolled: 1-line block ×3, first 2 shown]
	s_delay_alu instid0(VALU_DEP_2) | instskip(NEXT) | instid1(VALU_DEP_2)
	v_sub_f32_e32 v13, v13, v27
	v_add_f32_e32 v7, v7, v29
	s_delay_alu instid0(VALU_DEP_1) | instskip(NEXT) | instid1(VALU_DEP_1)
	v_add_f32_e32 v7, v13, v7
	v_add_f32_e32 v13, v33, v7
	s_delay_alu instid0(VALU_DEP_1) | instskip(NEXT) | instid1(VALU_DEP_1)
	v_mul_f32_e32 v27, v12, v13
	v_dual_sub_f32 v32, v33, v13 :: v_dual_mul_f32 v29, v28, v27
	s_delay_alu instid0(VALU_DEP_1) | instskip(NEXT) | instid1(VALU_DEP_2)
	v_add_f32_e32 v7, v7, v32
	v_fma_f32 v28, v27, v28, -v29
	s_delay_alu instid0(VALU_DEP_1) | instskip(NEXT) | instid1(VALU_DEP_1)
	v_fmac_f32_e32 v28, v27, v26
	v_add_f32_e32 v26, v29, v28
	s_delay_alu instid0(VALU_DEP_1) | instskip(SKIP_1) | instid1(VALU_DEP_2)
	v_sub_f32_e32 v31, v13, v26
	v_sub_f32_e32 v29, v26, v29
	;; [unrolled: 1-line block ×3, first 2 shown]
	s_delay_alu instid0(VALU_DEP_1) | instskip(NEXT) | instid1(VALU_DEP_1)
	v_sub_f32_e32 v13, v13, v26
	v_dual_sub_f32 v26, v29, v28 :: v_dual_add_f32 v7, v7, v13
	v_add_f32_e32 v13, v30, v27
	s_delay_alu instid0(VALU_DEP_1) | instskip(NEXT) | instid1(VALU_DEP_1)
	v_dual_add_f32 v7, v26, v7 :: v_dual_sub_f32 v26, v13, v30
	v_add_f32_e32 v7, v31, v7
	s_delay_alu instid0(VALU_DEP_1) | instskip(NEXT) | instid1(VALU_DEP_1)
	v_dual_sub_f32 v26, v27, v26 :: v_dual_mul_f32 v7, v12, v7
	v_add_f32_e32 v7, v26, v7
	s_delay_alu instid0(VALU_DEP_1) | instskip(NEXT) | instid1(VALU_DEP_1)
	v_add_f32_e32 v12, v13, v7
	v_mul_f32_e32 v26, v12, v12
	s_delay_alu instid0(VALU_DEP_1) | instskip(SKIP_2) | instid1(VALU_DEP_3)
	v_fmaak_f32 v27, s2, v26, 0x3ecc95a3
	v_mul_f32_e32 v28, v12, v26
	v_cmp_gt_f32_e64 s2, 0x33800000, |v3|
	v_fmaak_f32 v26, v26, v27, 0x3f2aaada
	v_ldexp_f32 v27, v12, 1
	v_sub_f32_e32 v12, v12, v13
	s_delay_alu instid0(VALU_DEP_4) | instskip(NEXT) | instid1(VALU_DEP_3)
	s_or_b32 vcc_lo, vcc_lo, s2
	v_mul_f32_e32 v26, v28, v26
	s_delay_alu instid0(VALU_DEP_2) | instskip(NEXT) | instid1(VALU_DEP_2)
	v_dual_mul_f32 v28, 0x3f317218, v6 :: v_dual_sub_f32 v7, v7, v12
	v_add_f32_e32 v13, v27, v26
	s_delay_alu instid0(VALU_DEP_2) | instskip(NEXT) | instid1(VALU_DEP_2)
	v_ldexp_f32 v7, v7, 1
	v_sub_f32_e32 v12, v13, v27
	s_delay_alu instid0(VALU_DEP_4) | instskip(NEXT) | instid1(VALU_DEP_2)
	v_fma_f32 v27, 0x3f317218, v6, -v28
	v_sub_f32_e32 v12, v26, v12
	s_delay_alu instid0(VALU_DEP_1) | instskip(NEXT) | instid1(VALU_DEP_1)
	v_dual_fmamk_f32 v6, v6, 0xb102e308, v27 :: v_dual_add_f32 v7, v7, v12
	v_add_f32_e32 v12, v28, v6
	s_delay_alu instid0(VALU_DEP_1) | instskip(NEXT) | instid1(VALU_DEP_1)
	v_sub_f32_e32 v28, v12, v28
	v_sub_f32_e32 v6, v6, v28
	s_delay_alu instid0(VALU_DEP_4) | instskip(NEXT) | instid1(VALU_DEP_1)
	v_add_f32_e32 v26, v13, v7
	v_sub_f32_e32 v13, v26, v13
	s_delay_alu instid0(VALU_DEP_1) | instskip(SKIP_1) | instid1(VALU_DEP_1)
	v_sub_f32_e32 v7, v7, v13
	v_add_f32_e32 v27, v12, v26
	v_sub_f32_e32 v29, v27, v12
	s_delay_alu instid0(VALU_DEP_1) | instskip(NEXT) | instid1(VALU_DEP_4)
	v_sub_f32_e32 v13, v26, v29
	v_add_f32_e32 v26, v6, v7
	v_sub_f32_e32 v30, v27, v29
	s_delay_alu instid0(VALU_DEP_1) | instskip(NEXT) | instid1(VALU_DEP_1)
	v_sub_f32_e32 v12, v12, v30
	v_dual_add_f32 v12, v13, v12 :: v_dual_sub_f32 v13, v26, v6
	s_delay_alu instid0(VALU_DEP_1) | instskip(SKIP_1) | instid1(VALU_DEP_2)
	v_dual_add_f32 v12, v26, v12 :: v_dual_sub_f32 v7, v7, v13
	v_sub_f32_e32 v26, v26, v13
	v_add_f32_e32 v28, v27, v12
	s_delay_alu instid0(VALU_DEP_1) | instskip(NEXT) | instid1(VALU_DEP_1)
	v_dual_sub_f32 v6, v6, v26 :: v_dual_sub_f32 v13, v28, v27
	v_dual_add_f32 v6, v7, v6 :: v_dual_sub_f32 v7, v12, v13
	s_delay_alu instid0(VALU_DEP_1) | instskip(NEXT) | instid1(VALU_DEP_1)
	v_add_f32_e32 v6, v6, v7
	v_add_f32_e32 v6, v28, v6
	s_delay_alu instid0(VALU_DEP_1) | instskip(NEXT) | instid1(VALU_DEP_1)
	v_cndmask_b32_e32 v3, v6, v3, vcc_lo
	v_add_f32_e32 v3, v2, v3
.LBB501_360:
	s_or_b32 exec_lo, exec_lo, s1
	s_delay_alu instid0(VALU_DEP_1) | instskip(SKIP_2) | instid1(VALU_DEP_2)
	v_bfe_u32 v2, v3, 16, 1
	v_cmp_o_f32_e32 vcc_lo, v3, v3
	s_mov_b32 s1, exec_lo
	v_add3_u32 v2, v3, v2, 0x7fff
	s_delay_alu instid0(VALU_DEP_1) | instskip(NEXT) | instid1(VALU_DEP_1)
	v_lshrrev_b32_e32 v2, 16, v2
	v_cndmask_b32_e32 v85, 0x7fc0, v2, vcc_lo
	v_cmpx_eq_u32_e32 63, v0
	s_cbranch_execz .LBB501_362
; %bb.361:
	s_delay_alu instid0(VALU_DEP_2) | instskip(NEXT) | instid1(VALU_DEP_1)
	v_and_b32_e32 v2, 0xffff, v85
	v_or_b32_e32 v2, 0x20000, v2
	flat_store_b32 v[14:15], v2 offset:128
.LBB501_362:
	s_or_b32 exec_lo, exec_lo, s1
.LBB501_363:
	v_add_co_u32 v2, vcc_lo, v10, v16
	v_add_co_ci_u32_e32 v3, vcc_lo, v11, v17, vcc_lo
	v_perm_b32 v6, v21, v20, 0x5040100
	s_delay_alu instid0(VALU_DEP_3) | instskip(NEXT) | instid1(VALU_DEP_3)
	v_add_co_u32 v2, vcc_lo, v2, s28
	v_add_co_ci_u32_e32 v3, vcc_lo, s29, v3, vcc_lo
	v_perm_b32 v7, v19, v18, 0x5040100
	v_perm_b32 v10, v144, v135, 0x5040100
	;; [unrolled: 1-line block ×10, first 2 shown]
	s_waitcnt lgkmcnt(0)
	s_waitcnt_vscnt null, 0x0
	s_barrier
	buffer_gl0_inv
	s_and_saveexec_b32 s1, s0
	s_delay_alu instid0(SALU_CYCLE_1)
	s_xor_b32 s0, exec_lo, s1
	s_cbranch_execz .LBB501_365
; %bb.364:
	v_add_co_u32 v0, vcc_lo, v2, v24
	ds_store_2addr_b32 v1, v7, v6 offset1:1
	ds_store_2addr_b32 v1, v11, v10 offset0:2 offset1:3
	ds_store_2addr_b32 v1, v13, v12 offset0:4 offset1:5
	;; [unrolled: 1-line block ×4, first 2 shown]
	ds_store_b32 v1, v18 offset:40
	s_waitcnt lgkmcnt(0)
	s_barrier
	buffer_gl0_inv
	ds_load_u16 v4, v24
	ds_load_u16 v5, v24 offset:128
	ds_load_u16 v6, v24 offset:256
	;; [unrolled: 1-line block ×15, first 2 shown]
	v_add_co_ci_u32_e32 v1, vcc_lo, 0, v3, vcc_lo
	ds_load_u16 v2, v24 offset:2048
	ds_load_u16 v3, v24 offset:2176
	;; [unrolled: 1-line block ×6, first 2 shown]
                                        ; implicit-def: $vgpr25
                                        ; implicit-def: $vgpr24
	s_waitcnt lgkmcnt(21)
	flat_store_b16 v[0:1], v4
	s_waitcnt lgkmcnt(21)
	flat_store_b16 v[0:1], v5 offset:128
	s_waitcnt lgkmcnt(21)
	flat_store_b16 v[0:1], v6 offset:256
	;; [unrolled: 2-line block ×21, first 2 shown]
                                        ; implicit-def: $vgpr2_vgpr3_vgpr4_vgpr5
                                        ; implicit-def: $vgpr6_vgpr7_vgpr8_vgpr9
                                        ; implicit-def: $vgpr0
                                        ; implicit-def: $vgpr1
                                        ; implicit-def: $vgpr22
                                        ; implicit-def: $vgpr23
                                        ; implicit-def: $vgpr2
                                        ; implicit-def: $vgpr3
                                        ; implicit-def: $vgpr6
                                        ; implicit-def: $vgpr7
                                        ; implicit-def: $vgpr10
                                        ; implicit-def: $vgpr11
                                        ; implicit-def: $vgpr12
                                        ; implicit-def: $vgpr13
                                        ; implicit-def: $vgpr14
                                        ; implicit-def: $vgpr15
                                        ; implicit-def: $vgpr16
                                        ; implicit-def: $vgpr17
                                        ; implicit-def: $vgpr18
.LBB501_365:
	s_and_not1_saveexec_b32 s1, s0
	s_cbranch_execz .LBB501_493
; %bb.366:
	ds_store_2addr_b32 v1, v7, v6 offset1:1
	ds_store_2addr_b32 v1, v11, v10 offset0:2 offset1:3
	ds_store_2addr_b32 v1, v13, v12 offset0:4 offset1:5
	;; [unrolled: 1-line block ×4, first 2 shown]
	ds_store_b32 v1, v18 offset:40
	s_waitcnt lgkmcnt(0)
	s_waitcnt_vscnt null, 0x0
	s_barrier
	buffer_gl0_inv
	ds_load_u16 v7, v24
	ds_load_u16 v6, v24 offset:128
	ds_load_u16 v11, v24 offset:256
	ds_load_u16 v12, v24 offset:384
	ds_load_u16 v10, v24 offset:512
	ds_load_u16 v13, v24 offset:640
	ds_load_u16 v14, v24 offset:768
	ds_load_u16 v15, v24 offset:896
	ds_load_u16 v18, v24 offset:1024
	ds_load_u16 v19, v24 offset:1152
	ds_load_u16 v17, v24 offset:1280
	ds_load_u16 v16, v24 offset:1408
	ds_load_u16 v26, v24 offset:1536
	ds_load_u16 v28, v24 offset:1664
	ds_load_u16 v20, v24 offset:1792
	ds_load_u16 v30, v24 offset:1920
	ds_load_u16 v29, v24 offset:2048
	ds_load_u16 v27, v24 offset:2176
	ds_load_u16 v31, v24 offset:2304
	ds_load_u16 v32, v24 offset:2432
	ds_load_u16 v21, v24 offset:2560
	ds_load_u16 v33, v24 offset:2688
	v_add_co_u32 v2, vcc_lo, v2, v24
	v_mov_b32_e32 v1, 0
	v_add_co_ci_u32_e32 v3, vcc_lo, 0, v3, vcc_lo
	s_mov_b32 s0, exec_lo
	v_cmpx_lt_u32_e64 v0, v22
	s_cbranch_execz .LBB501_368
; %bb.367:
	s_waitcnt lgkmcnt(21)
	flat_store_b16 v[2:3], v7
.LBB501_368:
	s_or_b32 exec_lo, exec_lo, s0
	v_add_nc_u32_e32 v24, 64, v0
	s_mov_b32 s0, exec_lo
	s_delay_alu instid0(VALU_DEP_1)
	v_cmpx_lt_u32_e64 v24, v22
	s_cbranch_execz .LBB501_370
; %bb.369:
	s_waitcnt lgkmcnt(20)
	flat_store_b16 v[2:3], v6 offset:128
.LBB501_370:
	s_or_b32 exec_lo, exec_lo, s0
	v_add_nc_u32_e32 v24, 0x80, v0
	s_mov_b32 s0, exec_lo
	s_delay_alu instid0(VALU_DEP_1)
	v_cmpx_lt_u32_e64 v24, v22
	s_cbranch_execz .LBB501_372
; %bb.371:
	s_waitcnt lgkmcnt(19)
	flat_store_b16 v[2:3], v11 offset:256
.LBB501_372:
	;; [unrolled: 10-line block ×15, first 2 shown]
	s_or_b32 exec_lo, exec_lo, s0
	v_or_b32_e32 v24, 0x400, v0
	s_mov_b32 s0, exec_lo
	s_delay_alu instid0(VALU_DEP_1)
	v_cmpx_lt_u32_e64 v24, v22
	s_cbranch_execz .LBB501_400
; %bb.399:
	s_waitcnt lgkmcnt(5)
	flat_store_b16 v[2:3], v29 offset:2048
.LBB501_400:
	s_or_b32 exec_lo, exec_lo, s0
	v_add_nc_u32_e32 v24, 0x440, v0
	s_mov_b32 s0, exec_lo
	s_delay_alu instid0(VALU_DEP_1)
	v_cmpx_lt_u32_e64 v24, v22
	s_cbranch_execz .LBB501_402
; %bb.401:
	s_waitcnt lgkmcnt(4)
	flat_store_b16 v[2:3], v27 offset:2176
.LBB501_402:
	s_or_b32 exec_lo, exec_lo, s0
	v_add_nc_u32_e32 v24, 0x480, v0
	;; [unrolled: 10-line block ×5, first 2 shown]
	s_mov_b32 s0, exec_lo
	s_delay_alu instid0(VALU_DEP_1)
	v_cmpx_lt_u32_e64 v24, v22
	s_cbranch_execz .LBB501_410
; %bb.409:
	s_waitcnt lgkmcnt(0)
	flat_store_b16 v[2:3], v33 offset:2688
.LBB501_410:
	s_or_b32 exec_lo, exec_lo, s0
	s_delay_alu instid0(SALU_CYCLE_1)
	s_mov_b32 s2, exec_lo
	v_cmpx_lt_u64_e32 1, v[8:9]
	s_cbranch_execz .LBB501_492
; %bb.411:
	s_add_u32 s0, 0, 0x2e8b0a00
	s_addc_u32 s3, 0, 42
	s_mul_hi_u32 s5, s0, 0xffffffea
	s_add_i32 s3, s3, 0xba2e890
	s_sub_i32 s5, s5, s0
	s_mul_i32 s6, s3, 0xffffffea
	s_mul_i32 s4, s0, 0xffffffea
	s_add_i32 s5, s5, s6
	s_mul_hi_u32 s7, s3, s4
	s_mul_i32 s6, s3, s4
	s_mul_i32 s8, s0, s5
	s_mul_hi_u32 s4, s0, s4
	s_mul_hi_u32 s9, s0, s5
	s_add_u32 s4, s4, s8
	s_addc_u32 s8, 0, s9
	s_mul_hi_u32 s9, s3, s5
	s_add_u32 s4, s4, s6
	s_addc_u32 s4, s8, s7
	s_mul_i32 s5, s3, s5
	s_addc_u32 s6, s9, 0
	s_add_u32 s4, s4, s5
	v_add_co_u32 v2, vcc_lo, v22, -1
	v_add_co_u32 v24, s0, s0, s4
	s_addc_u32 s4, 0, s6
	s_cmp_lg_u32 s0, 0
	v_add_co_ci_u32_e32 v3, vcc_lo, -1, v23, vcc_lo
	s_addc_u32 s0, s3, s4
	v_mul_hi_u32 v34, v2, v24
	v_mad_u64_u32 v[8:9], null, v2, s0, 0
	s_delay_alu instid0(VALU_DEP_3) | instskip(NEXT) | instid1(VALU_DEP_2)
	v_mad_u64_u32 v[22:23], null, v3, v24, 0
	v_add_co_u32 v24, vcc_lo, v34, v8
	s_delay_alu instid0(VALU_DEP_3) | instskip(SKIP_1) | instid1(VALU_DEP_3)
	v_add_co_ci_u32_e32 v34, vcc_lo, 0, v9, vcc_lo
	v_mad_u64_u32 v[8:9], null, v3, s0, 0
	v_add_co_u32 v22, vcc_lo, v24, v22
	s_delay_alu instid0(VALU_DEP_3) | instskip(NEXT) | instid1(VALU_DEP_3)
	v_add_co_ci_u32_e32 v22, vcc_lo, v34, v23, vcc_lo
	v_add_co_ci_u32_e32 v9, vcc_lo, 0, v9, vcc_lo
	s_delay_alu instid0(VALU_DEP_2) | instskip(NEXT) | instid1(VALU_DEP_2)
	v_add_co_u32 v24, vcc_lo, v22, v8
	v_add_co_ci_u32_e32 v34, vcc_lo, 0, v9, vcc_lo
	s_delay_alu instid0(VALU_DEP_2) | instskip(SKIP_1) | instid1(VALU_DEP_1)
	v_mad_u64_u32 v[8:9], null, v24, 22, 0
	s_waitcnt lgkmcnt(17)
	v_mad_u64_u32 v[22:23], null, v34, 22, v[9:10]
	s_delay_alu instid0(VALU_DEP_2) | instskip(NEXT) | instid1(VALU_DEP_2)
	v_sub_co_u32 v8, vcc_lo, v2, v8
	v_sub_co_ci_u32_e32 v9, vcc_lo, v3, v22, vcc_lo
	s_delay_alu instid0(VALU_DEP_2) | instskip(NEXT) | instid1(VALU_DEP_2)
	v_sub_co_u32 v22, vcc_lo, v8, 22
	v_subrev_co_ci_u32_e32 v23, vcc_lo, 0, v9, vcc_lo
	s_delay_alu instid0(VALU_DEP_2)
	v_cmp_lt_u32_e32 vcc_lo, 21, v22
	v_cmp_eq_u32_e64 s0, 0, v9
	v_cndmask_b32_e64 v22, 0, -1, vcc_lo
	v_add_co_u32 v35, vcc_lo, v24, 2
	v_add_co_ci_u32_e32 v36, vcc_lo, 0, v34, vcc_lo
	v_cmp_lt_u32_e32 vcc_lo, 21, v8
	v_cndmask_b32_e64 v8, 0, -1, vcc_lo
	v_cmp_eq_u32_e32 vcc_lo, 0, v23
	s_delay_alu instid0(VALU_DEP_2) | instskip(SKIP_3) | instid1(VALU_DEP_3)
	v_cndmask_b32_e64 v8, -1, v8, s0
	v_cndmask_b32_e32 v22, -1, v22, vcc_lo
	v_add_co_u32 v23, vcc_lo, v24, 1
	v_add_co_ci_u32_e32 v37, vcc_lo, 0, v34, vcc_lo
	v_cmp_ne_u32_e32 vcc_lo, 0, v22
	s_delay_alu instid0(VALU_DEP_2) | instskip(SKIP_1) | instid1(VALU_DEP_2)
	v_dual_cndmask_b32 v9, v37, v36 :: v_dual_cndmask_b32 v22, v23, v35
	v_cmp_ne_u32_e32 vcc_lo, 0, v8
	v_dual_cndmask_b32 v9, v34, v9 :: v_dual_cndmask_b32 v8, v24, v22
	s_delay_alu instid0(VALU_DEP_1)
	v_cmp_eq_u64_e32 vcc_lo, v[8:9], v[0:1]
	s_and_b32 exec_lo, exec_lo, vcc_lo
	s_cbranch_execz .LBB501_492
; %bb.412:
	v_mul_hi_u32_u24_e32 v1, 22, v0
	v_sub_co_u32 v0, vcc_lo, v2, v25
	s_mov_b32 s0, 0
	s_mov_b32 s4, 0
	s_delay_alu instid0(VALU_DEP_2) | instskip(SKIP_1) | instid1(VALU_DEP_1)
	v_sub_co_ci_u32_e32 v1, vcc_lo, v3, v1, vcc_lo
	s_mov_b32 s3, exec_lo
	v_cmpx_lt_i64_e32 10, v[0:1]
	s_xor_b32 s3, exec_lo, s3
	s_cbranch_execnz .LBB501_416
; %bb.413:
	s_or_saveexec_b32 s3, s3
	s_mov_b32 s5, 0
	s_xor_b32 exec_lo, exec_lo, s3
	s_cbranch_execnz .LBB501_457
.LBB501_414:
	s_or_b32 exec_lo, exec_lo, s3
	s_and_saveexec_b32 s3, s4
	s_cbranch_execnz .LBB501_468
.LBB501_415:
	s_or_b32 exec_lo, exec_lo, s3
	s_and_saveexec_b32 s3, s0
	s_cbranch_execnz .LBB501_469
	s_branch .LBB501_473
.LBB501_416:
	s_mov_b32 s5, 0
	s_mov_b32 s4, exec_lo
	v_cmpx_lt_i64_e32 15, v[0:1]
	s_xor_b32 s4, exec_lo, s4
	s_cbranch_execz .LBB501_438
; %bb.417:
	s_mov_b32 s6, exec_lo
                                        ; implicit-def: $vgpr16
	v_cmpx_lt_i64_e32 18, v[0:1]
	s_xor_b32 s6, exec_lo, s6
	s_cbranch_execz .LBB501_427
; %bb.418:
	s_mov_b32 s7, 0
	s_mov_b32 s5, exec_lo
                                        ; implicit-def: $vgpr16
	v_cmpx_lt_i64_e32 19, v[0:1]
	s_xor_b32 s5, exec_lo, s5
	s_cbranch_execz .LBB501_424
; %bb.419:
	s_mov_b32 s7, exec_lo
	v_cmpx_lt_i64_e32 20, v[0:1]
	s_xor_b32 s7, exec_lo, s7
	s_cbranch_execz .LBB501_421
; %bb.420:
	s_waitcnt lgkmcnt(0)
	flat_store_b16 v[4:5], v33
                                        ; implicit-def: $vgpr21
.LBB501_421:
	s_or_saveexec_b32 s7, s7
	s_mov_b32 s8, 0
	s_xor_b32 exec_lo, exec_lo, s7
; %bb.422:
	s_delay_alu instid0(SALU_CYCLE_1)
	s_mov_b32 s8, exec_lo
; %bb.423:
	s_or_b32 exec_lo, exec_lo, s7
	s_waitcnt lgkmcnt(1)
	v_mov_b32_e32 v16, v21
	s_and_b32 s7, s8, exec_lo
                                        ; implicit-def: $vgpr32
.LBB501_424:
	s_and_not1_saveexec_b32 s5, s5
	s_cbranch_execz .LBB501_426
; %bb.425:
	s_waitcnt lgkmcnt(2)
	flat_store_b16 v[4:5], v32
                                        ; implicit-def: $vgpr16
.LBB501_426:
	s_or_b32 exec_lo, exec_lo, s5
	s_delay_alu instid0(SALU_CYCLE_1)
	s_and_b32 s5, s7, exec_lo
                                        ; implicit-def: $vgpr29
                                        ; implicit-def: $vgpr27
                                        ; implicit-def: $vgpr31
.LBB501_427:
	s_and_not1_saveexec_b32 s6, s6
	s_cbranch_execz .LBB501_437
; %bb.428:
	s_mov_b32 s7, exec_lo
	v_cmpx_lt_i64_e32 16, v[0:1]
	s_xor_b32 s7, exec_lo, s7
	s_cbranch_execz .LBB501_434
; %bb.429:
	s_mov_b32 s8, exec_lo
	v_cmpx_lt_i64_e32 17, v[0:1]
	s_xor_b32 s8, exec_lo, s8
	s_cbranch_execz .LBB501_431
; %bb.430:
	s_waitcnt lgkmcnt(3)
	flat_store_b16 v[4:5], v31
                                        ; implicit-def: $vgpr27
.LBB501_431:
	s_and_not1_saveexec_b32 s8, s8
	s_cbranch_execz .LBB501_433
; %bb.432:
	s_waitcnt lgkmcnt(4)
	flat_store_b16 v[4:5], v27
.LBB501_433:
	s_or_b32 exec_lo, exec_lo, s8
                                        ; implicit-def: $vgpr29
.LBB501_434:
	s_and_not1_saveexec_b32 s7, s7
	s_cbranch_execz .LBB501_436
; %bb.435:
	s_waitcnt lgkmcnt(5)
	flat_store_b16 v[4:5], v29
.LBB501_436:
	s_or_b32 exec_lo, exec_lo, s7
                                        ; implicit-def: $vgpr16
.LBB501_437:
	s_delay_alu instid0(SALU_CYCLE_1) | instskip(NEXT) | instid1(SALU_CYCLE_1)
	s_or_b32 exec_lo, exec_lo, s6
	s_and_b32 s5, s5, exec_lo
                                        ; implicit-def: $vgpr28
                                        ; implicit-def: $vgpr26
                                        ; implicit-def: $vgpr20
                                        ; implicit-def: $vgpr30
.LBB501_438:
	s_and_not1_saveexec_b32 s4, s4
	s_cbranch_execz .LBB501_456
; %bb.439:
	s_mov_b32 s6, exec_lo
	v_cmpx_lt_i64_e32 12, v[0:1]
	s_xor_b32 s6, exec_lo, s6
	s_cbranch_execz .LBB501_449
; %bb.440:
	s_mov_b32 s7, exec_lo
	v_cmpx_lt_i64_e32 13, v[0:1]
	s_xor_b32 s7, exec_lo, s7
	;; [unrolled: 5-line block ×3, first 2 shown]
	s_cbranch_execz .LBB501_443
; %bb.442:
	s_waitcnt lgkmcnt(6)
	flat_store_b16 v[4:5], v30
                                        ; implicit-def: $vgpr20
.LBB501_443:
	s_and_not1_saveexec_b32 s8, s8
	s_cbranch_execz .LBB501_445
; %bb.444:
	s_waitcnt lgkmcnt(7)
	flat_store_b16 v[4:5], v20
.LBB501_445:
	s_or_b32 exec_lo, exec_lo, s8
                                        ; implicit-def: $vgpr28
.LBB501_446:
	s_and_not1_saveexec_b32 s7, s7
	s_cbranch_execz .LBB501_448
; %bb.447:
	s_waitcnt lgkmcnt(8)
	flat_store_b16 v[4:5], v28
.LBB501_448:
	s_or_b32 exec_lo, exec_lo, s7
                                        ; implicit-def: $vgpr16
                                        ; implicit-def: $vgpr26
.LBB501_449:
	s_or_saveexec_b32 s6, s6
	s_mov_b32 s7, s5
	s_xor_b32 exec_lo, exec_lo, s6
	s_cbranch_execz .LBB501_455
; %bb.450:
	s_mov_b32 s7, exec_lo
	v_cmpx_lt_i64_e32 11, v[0:1]
	s_xor_b32 s7, exec_lo, s7
	s_cbranch_execz .LBB501_452
; %bb.451:
	s_waitcnt lgkmcnt(9)
	flat_store_b16 v[4:5], v26
                                        ; implicit-def: $vgpr16
.LBB501_452:
	s_or_saveexec_b32 s7, s7
	s_mov_b32 s8, s5
	s_xor_b32 exec_lo, exec_lo, s7
; %bb.453:
	s_delay_alu instid0(SALU_CYCLE_1)
	s_or_b32 s8, s5, exec_lo
; %bb.454:
	s_or_b32 exec_lo, exec_lo, s7
	s_delay_alu instid0(SALU_CYCLE_1) | instskip(SKIP_1) | instid1(SALU_CYCLE_1)
	s_and_not1_b32 s7, s5, exec_lo
	s_and_b32 s8, s8, exec_lo
	s_or_b32 s7, s7, s8
.LBB501_455:
	s_or_b32 exec_lo, exec_lo, s6
	s_delay_alu instid0(SALU_CYCLE_1) | instskip(SKIP_1) | instid1(SALU_CYCLE_1)
	s_and_not1_b32 s5, s5, exec_lo
	s_and_b32 s6, s7, exec_lo
	s_or_b32 s5, s5, s6
.LBB501_456:
	s_or_b32 exec_lo, exec_lo, s4
	s_delay_alu instid0(SALU_CYCLE_1)
	s_and_b32 s4, s5, exec_lo
                                        ; implicit-def: $vgpr18
                                        ; implicit-def: $vgpr19
                                        ; implicit-def: $vgpr17
	s_or_saveexec_b32 s3, s3
	s_mov_b32 s5, 0
	s_xor_b32 exec_lo, exec_lo, s3
	s_cbranch_execz .LBB501_414
.LBB501_457:
	s_mov_b32 s6, 0
	s_mov_b32 s5, -1
	s_mov_b32 s7, s4
	s_mov_b32 s0, exec_lo
                                        ; implicit-def: $vgpr16
	v_cmpx_lt_i64_e32 5, v[0:1]
	s_cbranch_execz .LBB501_467
; %bb.458:
	s_mov_b32 s6, -1
	s_mov_b32 s7, s4
	s_mov_b32 s5, exec_lo
	v_cmpx_lt_i64_e32 7, v[0:1]
	s_cbranch_execz .LBB501_466
; %bb.459:
	s_mov_b32 s6, exec_lo
	v_cmpx_lt_i64_e32 8, v[0:1]
	s_cbranch_execz .LBB501_465
; %bb.460:
	s_mov_b32 s7, exec_lo
	v_cmpx_lt_i64_e32 9, v[0:1]
	s_xor_b32 s7, exec_lo, s7
; %bb.461:
                                        ; implicit-def: $vgpr19
; %bb.462:
	s_delay_alu instid0(SALU_CYCLE_1)
	s_and_not1_saveexec_b32 s7, s7
	s_cbranch_execz .LBB501_464
; %bb.463:
	s_waitcnt lgkmcnt(11)
	v_mov_b32_e32 v17, v19
.LBB501_464:
	s_or_b32 exec_lo, exec_lo, s7
	s_waitcnt lgkmcnt(11)
	s_delay_alu instid0(VALU_DEP_1)
	v_mov_b32_e32 v18, v17
.LBB501_465:
	s_or_b32 exec_lo, exec_lo, s6
	s_delay_alu instid0(SALU_CYCLE_1)
	s_xor_b32 s6, exec_lo, -1
	s_or_b32 s7, s4, exec_lo
.LBB501_466:
	s_or_b32 exec_lo, exec_lo, s5
	s_waitcnt lgkmcnt(10)
	v_mov_b32_e32 v16, v18
	s_and_not1_b32 s8, s4, exec_lo
	s_and_b32 s7, s7, exec_lo
	s_xor_b32 s5, exec_lo, -1
	s_and_b32 s6, s6, exec_lo
	s_or_b32 s7, s8, s7
.LBB501_467:
	s_or_b32 exec_lo, exec_lo, s0
	s_delay_alu instid0(SALU_CYCLE_1)
	s_and_not1_b32 s4, s4, exec_lo
	s_and_b32 s7, s7, exec_lo
	s_and_b32 s5, s5, exec_lo
	;; [unrolled: 1-line block ×3, first 2 shown]
	s_or_b32 s4, s4, s7
	s_or_b32 exec_lo, exec_lo, s3
	s_and_saveexec_b32 s3, s4
	s_cbranch_execz .LBB501_415
.LBB501_468:
	s_waitcnt lgkmcnt(10)
	flat_store_b16 v[4:5], v16
	s_or_b32 exec_lo, exec_lo, s3
	s_and_saveexec_b32 s3, s0
	s_cbranch_execz .LBB501_473
.LBB501_469:
	s_mov_b32 s0, exec_lo
	v_cmpx_lt_i64_e32 6, v[0:1]
	s_xor_b32 s0, exec_lo, s0
	s_cbranch_execz .LBB501_471
; %bb.470:
	s_waitcnt lgkmcnt(14)
	flat_store_b16 v[4:5], v15
                                        ; implicit-def: $vgpr14
.LBB501_471:
	s_and_not1_saveexec_b32 s0, s0
	s_cbranch_execz .LBB501_473
; %bb.472:
	s_waitcnt lgkmcnt(15)
	flat_store_b16 v[4:5], v14
.LBB501_473:
	s_or_b32 exec_lo, exec_lo, s3
	s_delay_alu instid0(SALU_CYCLE_1)
	s_and_b32 exec_lo, exec_lo, s5
	s_cbranch_execz .LBB501_492
; %bb.474:
	s_mov_b32 s0, exec_lo
	v_cmpx_lt_i64_e32 2, v[0:1]
	s_xor_b32 s0, exec_lo, s0
	s_cbranch_execz .LBB501_484
; %bb.475:
	s_mov_b32 s3, exec_lo
	v_cmpx_lt_i64_e32 3, v[0:1]
	s_xor_b32 s3, exec_lo, s3
	;; [unrolled: 5-line block ×3, first 2 shown]
	s_cbranch_execz .LBB501_478
; %bb.477:
	s_waitcnt lgkmcnt(16)
	flat_store_b16 v[4:5], v13
                                        ; implicit-def: $vgpr4_vgpr5
                                        ; implicit-def: $vgpr10
.LBB501_478:
	s_and_not1_saveexec_b32 s4, s4
	s_cbranch_execz .LBB501_480
; %bb.479:
	flat_store_b16 v[4:5], v10
.LBB501_480:
	s_or_b32 exec_lo, exec_lo, s4
                                        ; implicit-def: $vgpr4_vgpr5
                                        ; implicit-def: $vgpr12
.LBB501_481:
	s_and_not1_saveexec_b32 s3, s3
	s_cbranch_execz .LBB501_483
; %bb.482:
	flat_store_b16 v[4:5], v12
.LBB501_483:
	s_or_b32 exec_lo, exec_lo, s3
                                        ; implicit-def: $vgpr0_vgpr1
                                        ; implicit-def: $vgpr4_vgpr5
                                        ; implicit-def: $vgpr11
                                        ; implicit-def: $vgpr6
                                        ; implicit-def: $vgpr7
.LBB501_484:
	s_and_not1_saveexec_b32 s0, s0
	s_cbranch_execz .LBB501_492
; %bb.485:
	s_mov_b32 s0, exec_lo
	v_cmpx_lt_i64_e32 1, v[0:1]
	s_xor_b32 s0, exec_lo, s0
	s_cbranch_execz .LBB501_487
; %bb.486:
	flat_store_b16 v[4:5], v11
                                        ; implicit-def: $vgpr4_vgpr5
                                        ; implicit-def: $vgpr6
                                        ; implicit-def: $vgpr0_vgpr1
                                        ; implicit-def: $vgpr7
.LBB501_487:
	s_and_not1_saveexec_b32 s0, s0
	s_cbranch_execz .LBB501_492
; %bb.488:
	s_mov_b32 s0, exec_lo
	v_cmpx_ne_u64_e32 1, v[0:1]
	s_xor_b32 s0, exec_lo, s0
	s_cbranch_execz .LBB501_490
; %bb.489:
	flat_store_b16 v[4:5], v7
                                        ; implicit-def: $vgpr4_vgpr5
                                        ; implicit-def: $vgpr6
.LBB501_490:
	s_and_not1_saveexec_b32 s0, s0
	s_cbranch_execz .LBB501_492
; %bb.491:
	flat_store_b16 v[4:5], v6
.LBB501_492:
	s_or_b32 exec_lo, exec_lo, s2
.LBB501_493:
	s_delay_alu instid0(SALU_CYCLE_1)
	s_or_b32 exec_lo, exec_lo, s1
	v_readlane_b32 s30, v40, 0
	v_readlane_b32 s31, v40, 1
	s_or_saveexec_b32 s0, -1
	scratch_load_b32 v40, off, s32          ; 4-byte Folded Reload
	s_mov_b32 exec_lo, s0
	s_waitcnt vmcnt(0) lgkmcnt(0)
	s_setpc_b64 s[30:31]
.Lfunc_end501:
	.size	_ZZZN7rocprim17ROCPRIM_400000_NS6detail9scan_implILNS1_25lookback_scan_determinismE0ELb0ELb0ENS0_14default_configEPKN3c108BFloat16EPS6_S6_ZZZN2at6native31launch_logcumsumexp_cuda_kernelERKNSA_10TensorBaseESE_lENKUlvE_clEvENKUlvE4_clEvEUlS6_S6_E_S6_EEDaPvRmT3_T4_T5_mT6_P12ihipStream_tbENKUlT_T0_E_clISt17integral_constantIbLb1EESU_IbLb0EEEEDaSQ_SR_ENKUlSQ_E_clINS1_13target_configIS4_NS1_20scan_config_selectorIS6_EENS1_11comp_targetILNS1_3genE9ELNS1_11target_archE1100ELNS1_3gpuE3ELNS1_3repE0EEELNS0_4arch9wavefront6targetE0EEEEEDaSQ_, .Lfunc_end501-_ZZZN7rocprim17ROCPRIM_400000_NS6detail9scan_implILNS1_25lookback_scan_determinismE0ELb0ELb0ENS0_14default_configEPKN3c108BFloat16EPS6_S6_ZZZN2at6native31launch_logcumsumexp_cuda_kernelERKNSA_10TensorBaseESE_lENKUlvE_clEvENKUlvE4_clEvEUlS6_S6_E_S6_EEDaPvRmT3_T4_T5_mT6_P12ihipStream_tbENKUlT_T0_E_clISt17integral_constantIbLb1EESU_IbLb0EEEEDaSQ_SR_ENKUlSQ_E_clINS1_13target_configIS4_NS1_20scan_config_selectorIS6_EENS1_11comp_targetILNS1_3genE9ELNS1_11target_archE1100ELNS1_3gpuE3ELNS1_3repE0EEELNS0_4arch9wavefront6targetE0EEEEEDaSQ_
                                        ; -- End function
	.section	.AMDGPU.csdata,"",@progbits
; Function info:
; codeLenInByte = 118116
; NumSgprs: 38
; NumVgprs: 197
; ScratchSize: 8
; MemoryBound: 0
	.section	.text._ZN7rocprim17ROCPRIM_400000_NS6detail17trampoline_kernelINS0_14default_configENS1_20scan_config_selectorIN3c108BFloat16EEEZZNS1_9scan_implILNS1_25lookback_scan_determinismE0ELb0ELb0ES3_PKS6_PS6_S6_ZZZN2at6native31launch_logcumsumexp_cuda_kernelERKNSD_10TensorBaseESH_lENKUlvE_clEvENKUlvE4_clEvEUlS6_S6_E_S6_EEDaPvRmT3_T4_T5_mT6_P12ihipStream_tbENKUlT_T0_E_clISt17integral_constantIbLb1EESX_IbLb0EEEEDaST_SU_EUlST_E_NS1_11comp_targetILNS1_3genE9ELNS1_11target_archE1100ELNS1_3gpuE3ELNS1_3repE0EEENS1_30default_config_static_selectorELNS0_4arch9wavefront6targetE0EEEvT1_,"axG",@progbits,_ZN7rocprim17ROCPRIM_400000_NS6detail17trampoline_kernelINS0_14default_configENS1_20scan_config_selectorIN3c108BFloat16EEEZZNS1_9scan_implILNS1_25lookback_scan_determinismE0ELb0ELb0ES3_PKS6_PS6_S6_ZZZN2at6native31launch_logcumsumexp_cuda_kernelERKNSD_10TensorBaseESH_lENKUlvE_clEvENKUlvE4_clEvEUlS6_S6_E_S6_EEDaPvRmT3_T4_T5_mT6_P12ihipStream_tbENKUlT_T0_E_clISt17integral_constantIbLb1EESX_IbLb0EEEEDaST_SU_EUlST_E_NS1_11comp_targetILNS1_3genE9ELNS1_11target_archE1100ELNS1_3gpuE3ELNS1_3repE0EEENS1_30default_config_static_selectorELNS0_4arch9wavefront6targetE0EEEvT1_,comdat
	.globl	_ZN7rocprim17ROCPRIM_400000_NS6detail17trampoline_kernelINS0_14default_configENS1_20scan_config_selectorIN3c108BFloat16EEEZZNS1_9scan_implILNS1_25lookback_scan_determinismE0ELb0ELb0ES3_PKS6_PS6_S6_ZZZN2at6native31launch_logcumsumexp_cuda_kernelERKNSD_10TensorBaseESH_lENKUlvE_clEvENKUlvE4_clEvEUlS6_S6_E_S6_EEDaPvRmT3_T4_T5_mT6_P12ihipStream_tbENKUlT_T0_E_clISt17integral_constantIbLb1EESX_IbLb0EEEEDaST_SU_EUlST_E_NS1_11comp_targetILNS1_3genE9ELNS1_11target_archE1100ELNS1_3gpuE3ELNS1_3repE0EEENS1_30default_config_static_selectorELNS0_4arch9wavefront6targetE0EEEvT1_ ; -- Begin function _ZN7rocprim17ROCPRIM_400000_NS6detail17trampoline_kernelINS0_14default_configENS1_20scan_config_selectorIN3c108BFloat16EEEZZNS1_9scan_implILNS1_25lookback_scan_determinismE0ELb0ELb0ES3_PKS6_PS6_S6_ZZZN2at6native31launch_logcumsumexp_cuda_kernelERKNSD_10TensorBaseESH_lENKUlvE_clEvENKUlvE4_clEvEUlS6_S6_E_S6_EEDaPvRmT3_T4_T5_mT6_P12ihipStream_tbENKUlT_T0_E_clISt17integral_constantIbLb1EESX_IbLb0EEEEDaST_SU_EUlST_E_NS1_11comp_targetILNS1_3genE9ELNS1_11target_archE1100ELNS1_3gpuE3ELNS1_3repE0EEENS1_30default_config_static_selectorELNS0_4arch9wavefront6targetE0EEEvT1_
	.p2align	8
	.type	_ZN7rocprim17ROCPRIM_400000_NS6detail17trampoline_kernelINS0_14default_configENS1_20scan_config_selectorIN3c108BFloat16EEEZZNS1_9scan_implILNS1_25lookback_scan_determinismE0ELb0ELb0ES3_PKS6_PS6_S6_ZZZN2at6native31launch_logcumsumexp_cuda_kernelERKNSD_10TensorBaseESH_lENKUlvE_clEvENKUlvE4_clEvEUlS6_S6_E_S6_EEDaPvRmT3_T4_T5_mT6_P12ihipStream_tbENKUlT_T0_E_clISt17integral_constantIbLb1EESX_IbLb0EEEEDaST_SU_EUlST_E_NS1_11comp_targetILNS1_3genE9ELNS1_11target_archE1100ELNS1_3gpuE3ELNS1_3repE0EEENS1_30default_config_static_selectorELNS0_4arch9wavefront6targetE0EEEvT1_,@function
_ZN7rocprim17ROCPRIM_400000_NS6detail17trampoline_kernelINS0_14default_configENS1_20scan_config_selectorIN3c108BFloat16EEEZZNS1_9scan_implILNS1_25lookback_scan_determinismE0ELb0ELb0ES3_PKS6_PS6_S6_ZZZN2at6native31launch_logcumsumexp_cuda_kernelERKNSD_10TensorBaseESH_lENKUlvE_clEvENKUlvE4_clEvEUlS6_S6_E_S6_EEDaPvRmT3_T4_T5_mT6_P12ihipStream_tbENKUlT_T0_E_clISt17integral_constantIbLb1EESX_IbLb0EEEEDaST_SU_EUlST_E_NS1_11comp_targetILNS1_3genE9ELNS1_11target_archE1100ELNS1_3gpuE3ELNS1_3repE0EEENS1_30default_config_static_selectorELNS0_4arch9wavefront6targetE0EEEvT1_: ; @_ZN7rocprim17ROCPRIM_400000_NS6detail17trampoline_kernelINS0_14default_configENS1_20scan_config_selectorIN3c108BFloat16EEEZZNS1_9scan_implILNS1_25lookback_scan_determinismE0ELb0ELb0ES3_PKS6_PS6_S6_ZZZN2at6native31launch_logcumsumexp_cuda_kernelERKNSD_10TensorBaseESH_lENKUlvE_clEvENKUlvE4_clEvEUlS6_S6_E_S6_EEDaPvRmT3_T4_T5_mT6_P12ihipStream_tbENKUlT_T0_E_clISt17integral_constantIbLb1EESX_IbLb0EEEEDaST_SU_EUlST_E_NS1_11comp_targetILNS1_3genE9ELNS1_11target_archE1100ELNS1_3gpuE3ELNS1_3repE0EEENS1_30default_config_static_selectorELNS0_4arch9wavefront6targetE0EEEvT1_
; %bb.0:
	s_clause 0x2
	s_load_b256 s[16:23], s[0:1], 0x0
	s_load_b256 s[24:31], s[0:1], 0x20
	;; [unrolled: 1-line block ×3, first 2 shown]
	v_mov_b32_e32 v31, v0
	s_mov_b64 s[2:3], src_private_base
	s_add_u32 s8, s0, 0x60
	s_mov_b32 s12, s15
	s_addc_u32 s9, s1, 0
	s_movk_i32 s32, 0x70
	s_getpc_b64 s[0:1]
	s_add_u32 s0, s0, _ZZZN7rocprim17ROCPRIM_400000_NS6detail9scan_implILNS1_25lookback_scan_determinismE0ELb0ELb0ENS0_14default_configEPKN3c108BFloat16EPS6_S6_ZZZN2at6native31launch_logcumsumexp_cuda_kernelERKNSA_10TensorBaseESE_lENKUlvE_clEvENKUlvE4_clEvEUlS6_S6_E_S6_EEDaPvRmT3_T4_T5_mT6_P12ihipStream_tbENKUlT_T0_E_clISt17integral_constantIbLb1EESU_IbLb0EEEEDaSQ_SR_ENKUlSQ_E_clINS1_13target_configIS4_NS1_20scan_config_selectorIS6_EENS1_11comp_targetILNS1_3genE9ELNS1_11target_archE1100ELNS1_3gpuE3ELNS1_3repE0EEELNS0_4arch9wavefront6targetE0EEEEEDaSQ_@rel32@lo+4
	s_addc_u32 s1, s1, _ZZZN7rocprim17ROCPRIM_400000_NS6detail9scan_implILNS1_25lookback_scan_determinismE0ELb0ELb0ENS0_14default_configEPKN3c108BFloat16EPS6_S6_ZZZN2at6native31launch_logcumsumexp_cuda_kernelERKNSA_10TensorBaseESE_lENKUlvE_clEvENKUlvE4_clEvEUlS6_S6_E_S6_EEDaPvRmT3_T4_T5_mT6_P12ihipStream_tbENKUlT_T0_E_clISt17integral_constantIbLb1EESU_IbLb0EEEEDaSQ_SR_ENKUlSQ_E_clINS1_13target_configIS4_NS1_20scan_config_selectorIS6_EENS1_11comp_targetILNS1_3genE9ELNS1_11target_archE1100ELNS1_3gpuE3ELNS1_3repE0EEELNS0_4arch9wavefront6targetE0EEEEEDaSQ_@rel32@hi+12
	s_waitcnt lgkmcnt(0)
	v_dual_mov_b32 v0, s16 :: v_dual_mov_b32 v1, s17
	v_dual_mov_b32 v2, s18 :: v_dual_mov_b32 v3, s19
	;; [unrolled: 1-line block ×12, first 2 shown]
	s_clause 0x5
	scratch_store_b128 off, v[0:3], off
	scratch_store_b128 off, v[4:7], off offset:16
	scratch_store_b128 off, v[8:11], off offset:32
	;; [unrolled: 1-line block ×5, first 2 shown]
	v_dual_mov_b32 v0, 0 :: v_dual_mov_b32 v1, s3
	s_swappc_b64 s[30:31], s[0:1]
	s_endpgm
	.section	.rodata,"a",@progbits
	.p2align	6, 0x0
	.amdhsa_kernel _ZN7rocprim17ROCPRIM_400000_NS6detail17trampoline_kernelINS0_14default_configENS1_20scan_config_selectorIN3c108BFloat16EEEZZNS1_9scan_implILNS1_25lookback_scan_determinismE0ELb0ELb0ES3_PKS6_PS6_S6_ZZZN2at6native31launch_logcumsumexp_cuda_kernelERKNSD_10TensorBaseESH_lENKUlvE_clEvENKUlvE4_clEvEUlS6_S6_E_S6_EEDaPvRmT3_T4_T5_mT6_P12ihipStream_tbENKUlT_T0_E_clISt17integral_constantIbLb1EESX_IbLb0EEEEDaST_SU_EUlST_E_NS1_11comp_targetILNS1_3genE9ELNS1_11target_archE1100ELNS1_3gpuE3ELNS1_3repE0EEENS1_30default_config_static_selectorELNS0_4arch9wavefront6targetE0EEEvT1_
		.amdhsa_group_segment_fixed_size 2816
		.amdhsa_private_segment_fixed_size 120
		.amdhsa_kernarg_size 352
		.amdhsa_user_sgpr_count 15
		.amdhsa_user_sgpr_dispatch_ptr 0
		.amdhsa_user_sgpr_queue_ptr 0
		.amdhsa_user_sgpr_kernarg_segment_ptr 1
		.amdhsa_user_sgpr_dispatch_id 0
		.amdhsa_user_sgpr_private_segment_size 0
		.amdhsa_wavefront_size32 1
		.amdhsa_uses_dynamic_stack 0
		.amdhsa_enable_private_segment 1
		.amdhsa_system_sgpr_workgroup_id_x 1
		.amdhsa_system_sgpr_workgroup_id_y 0
		.amdhsa_system_sgpr_workgroup_id_z 0
		.amdhsa_system_sgpr_workgroup_info 0
		.amdhsa_system_vgpr_workitem_id 0
		.amdhsa_next_free_vgpr 197
		.amdhsa_next_free_sgpr 44
		.amdhsa_reserve_vcc 1
		.amdhsa_float_round_mode_32 0
		.amdhsa_float_round_mode_16_64 0
		.amdhsa_float_denorm_mode_32 3
		.amdhsa_float_denorm_mode_16_64 3
		.amdhsa_dx10_clamp 1
		.amdhsa_ieee_mode 1
		.amdhsa_fp16_overflow 0
		.amdhsa_workgroup_processor_mode 1
		.amdhsa_memory_ordered 1
		.amdhsa_forward_progress 0
		.amdhsa_shared_vgpr_count 0
		.amdhsa_exception_fp_ieee_invalid_op 0
		.amdhsa_exception_fp_denorm_src 0
		.amdhsa_exception_fp_ieee_div_zero 0
		.amdhsa_exception_fp_ieee_overflow 0
		.amdhsa_exception_fp_ieee_underflow 0
		.amdhsa_exception_fp_ieee_inexact 0
		.amdhsa_exception_int_div_zero 0
	.end_amdhsa_kernel
	.section	.text._ZN7rocprim17ROCPRIM_400000_NS6detail17trampoline_kernelINS0_14default_configENS1_20scan_config_selectorIN3c108BFloat16EEEZZNS1_9scan_implILNS1_25lookback_scan_determinismE0ELb0ELb0ES3_PKS6_PS6_S6_ZZZN2at6native31launch_logcumsumexp_cuda_kernelERKNSD_10TensorBaseESH_lENKUlvE_clEvENKUlvE4_clEvEUlS6_S6_E_S6_EEDaPvRmT3_T4_T5_mT6_P12ihipStream_tbENKUlT_T0_E_clISt17integral_constantIbLb1EESX_IbLb0EEEEDaST_SU_EUlST_E_NS1_11comp_targetILNS1_3genE9ELNS1_11target_archE1100ELNS1_3gpuE3ELNS1_3repE0EEENS1_30default_config_static_selectorELNS0_4arch9wavefront6targetE0EEEvT1_,"axG",@progbits,_ZN7rocprim17ROCPRIM_400000_NS6detail17trampoline_kernelINS0_14default_configENS1_20scan_config_selectorIN3c108BFloat16EEEZZNS1_9scan_implILNS1_25lookback_scan_determinismE0ELb0ELb0ES3_PKS6_PS6_S6_ZZZN2at6native31launch_logcumsumexp_cuda_kernelERKNSD_10TensorBaseESH_lENKUlvE_clEvENKUlvE4_clEvEUlS6_S6_E_S6_EEDaPvRmT3_T4_T5_mT6_P12ihipStream_tbENKUlT_T0_E_clISt17integral_constantIbLb1EESX_IbLb0EEEEDaST_SU_EUlST_E_NS1_11comp_targetILNS1_3genE9ELNS1_11target_archE1100ELNS1_3gpuE3ELNS1_3repE0EEENS1_30default_config_static_selectorELNS0_4arch9wavefront6targetE0EEEvT1_,comdat
.Lfunc_end502:
	.size	_ZN7rocprim17ROCPRIM_400000_NS6detail17trampoline_kernelINS0_14default_configENS1_20scan_config_selectorIN3c108BFloat16EEEZZNS1_9scan_implILNS1_25lookback_scan_determinismE0ELb0ELb0ES3_PKS6_PS6_S6_ZZZN2at6native31launch_logcumsumexp_cuda_kernelERKNSD_10TensorBaseESH_lENKUlvE_clEvENKUlvE4_clEvEUlS6_S6_E_S6_EEDaPvRmT3_T4_T5_mT6_P12ihipStream_tbENKUlT_T0_E_clISt17integral_constantIbLb1EESX_IbLb0EEEEDaST_SU_EUlST_E_NS1_11comp_targetILNS1_3genE9ELNS1_11target_archE1100ELNS1_3gpuE3ELNS1_3repE0EEENS1_30default_config_static_selectorELNS0_4arch9wavefront6targetE0EEEvT1_, .Lfunc_end502-_ZN7rocprim17ROCPRIM_400000_NS6detail17trampoline_kernelINS0_14default_configENS1_20scan_config_selectorIN3c108BFloat16EEEZZNS1_9scan_implILNS1_25lookback_scan_determinismE0ELb0ELb0ES3_PKS6_PS6_S6_ZZZN2at6native31launch_logcumsumexp_cuda_kernelERKNSD_10TensorBaseESH_lENKUlvE_clEvENKUlvE4_clEvEUlS6_S6_E_S6_EEDaPvRmT3_T4_T5_mT6_P12ihipStream_tbENKUlT_T0_E_clISt17integral_constantIbLb1EESX_IbLb0EEEEDaST_SU_EUlST_E_NS1_11comp_targetILNS1_3genE9ELNS1_11target_archE1100ELNS1_3gpuE3ELNS1_3repE0EEENS1_30default_config_static_selectorELNS0_4arch9wavefront6targetE0EEEvT1_
                                        ; -- End function
	.section	.AMDGPU.csdata,"",@progbits
; Kernel info:
; codeLenInByte = 244
; NumSgprs: 46
; NumVgprs: 197
; ScratchSize: 120
; MemoryBound: 0
; FloatMode: 240
; IeeeMode: 1
; LDSByteSize: 2816 bytes/workgroup (compile time only)
; SGPRBlocks: 5
; VGPRBlocks: 24
; NumSGPRsForWavesPerEU: 46
; NumVGPRsForWavesPerEU: 197
; Occupancy: 7
; WaveLimiterHint : 1
; COMPUTE_PGM_RSRC2:SCRATCH_EN: 1
; COMPUTE_PGM_RSRC2:USER_SGPR: 15
; COMPUTE_PGM_RSRC2:TRAP_HANDLER: 0
; COMPUTE_PGM_RSRC2:TGID_X_EN: 1
; COMPUTE_PGM_RSRC2:TGID_Y_EN: 0
; COMPUTE_PGM_RSRC2:TGID_Z_EN: 0
; COMPUTE_PGM_RSRC2:TIDIG_COMP_CNT: 0
	.section	.text._ZN7rocprim17ROCPRIM_400000_NS6detail17trampoline_kernelINS0_14default_configENS1_20scan_config_selectorIN3c108BFloat16EEEZZNS1_9scan_implILNS1_25lookback_scan_determinismE0ELb0ELb0ES3_PKS6_PS6_S6_ZZZN2at6native31launch_logcumsumexp_cuda_kernelERKNSD_10TensorBaseESH_lENKUlvE_clEvENKUlvE4_clEvEUlS6_S6_E_S6_EEDaPvRmT3_T4_T5_mT6_P12ihipStream_tbENKUlT_T0_E_clISt17integral_constantIbLb1EESX_IbLb0EEEEDaST_SU_EUlST_E_NS1_11comp_targetILNS1_3genE8ELNS1_11target_archE1030ELNS1_3gpuE2ELNS1_3repE0EEENS1_30default_config_static_selectorELNS0_4arch9wavefront6targetE0EEEvT1_,"axG",@progbits,_ZN7rocprim17ROCPRIM_400000_NS6detail17trampoline_kernelINS0_14default_configENS1_20scan_config_selectorIN3c108BFloat16EEEZZNS1_9scan_implILNS1_25lookback_scan_determinismE0ELb0ELb0ES3_PKS6_PS6_S6_ZZZN2at6native31launch_logcumsumexp_cuda_kernelERKNSD_10TensorBaseESH_lENKUlvE_clEvENKUlvE4_clEvEUlS6_S6_E_S6_EEDaPvRmT3_T4_T5_mT6_P12ihipStream_tbENKUlT_T0_E_clISt17integral_constantIbLb1EESX_IbLb0EEEEDaST_SU_EUlST_E_NS1_11comp_targetILNS1_3genE8ELNS1_11target_archE1030ELNS1_3gpuE2ELNS1_3repE0EEENS1_30default_config_static_selectorELNS0_4arch9wavefront6targetE0EEEvT1_,comdat
	.globl	_ZN7rocprim17ROCPRIM_400000_NS6detail17trampoline_kernelINS0_14default_configENS1_20scan_config_selectorIN3c108BFloat16EEEZZNS1_9scan_implILNS1_25lookback_scan_determinismE0ELb0ELb0ES3_PKS6_PS6_S6_ZZZN2at6native31launch_logcumsumexp_cuda_kernelERKNSD_10TensorBaseESH_lENKUlvE_clEvENKUlvE4_clEvEUlS6_S6_E_S6_EEDaPvRmT3_T4_T5_mT6_P12ihipStream_tbENKUlT_T0_E_clISt17integral_constantIbLb1EESX_IbLb0EEEEDaST_SU_EUlST_E_NS1_11comp_targetILNS1_3genE8ELNS1_11target_archE1030ELNS1_3gpuE2ELNS1_3repE0EEENS1_30default_config_static_selectorELNS0_4arch9wavefront6targetE0EEEvT1_ ; -- Begin function _ZN7rocprim17ROCPRIM_400000_NS6detail17trampoline_kernelINS0_14default_configENS1_20scan_config_selectorIN3c108BFloat16EEEZZNS1_9scan_implILNS1_25lookback_scan_determinismE0ELb0ELb0ES3_PKS6_PS6_S6_ZZZN2at6native31launch_logcumsumexp_cuda_kernelERKNSD_10TensorBaseESH_lENKUlvE_clEvENKUlvE4_clEvEUlS6_S6_E_S6_EEDaPvRmT3_T4_T5_mT6_P12ihipStream_tbENKUlT_T0_E_clISt17integral_constantIbLb1EESX_IbLb0EEEEDaST_SU_EUlST_E_NS1_11comp_targetILNS1_3genE8ELNS1_11target_archE1030ELNS1_3gpuE2ELNS1_3repE0EEENS1_30default_config_static_selectorELNS0_4arch9wavefront6targetE0EEEvT1_
	.p2align	8
	.type	_ZN7rocprim17ROCPRIM_400000_NS6detail17trampoline_kernelINS0_14default_configENS1_20scan_config_selectorIN3c108BFloat16EEEZZNS1_9scan_implILNS1_25lookback_scan_determinismE0ELb0ELb0ES3_PKS6_PS6_S6_ZZZN2at6native31launch_logcumsumexp_cuda_kernelERKNSD_10TensorBaseESH_lENKUlvE_clEvENKUlvE4_clEvEUlS6_S6_E_S6_EEDaPvRmT3_T4_T5_mT6_P12ihipStream_tbENKUlT_T0_E_clISt17integral_constantIbLb1EESX_IbLb0EEEEDaST_SU_EUlST_E_NS1_11comp_targetILNS1_3genE8ELNS1_11target_archE1030ELNS1_3gpuE2ELNS1_3repE0EEENS1_30default_config_static_selectorELNS0_4arch9wavefront6targetE0EEEvT1_,@function
_ZN7rocprim17ROCPRIM_400000_NS6detail17trampoline_kernelINS0_14default_configENS1_20scan_config_selectorIN3c108BFloat16EEEZZNS1_9scan_implILNS1_25lookback_scan_determinismE0ELb0ELb0ES3_PKS6_PS6_S6_ZZZN2at6native31launch_logcumsumexp_cuda_kernelERKNSD_10TensorBaseESH_lENKUlvE_clEvENKUlvE4_clEvEUlS6_S6_E_S6_EEDaPvRmT3_T4_T5_mT6_P12ihipStream_tbENKUlT_T0_E_clISt17integral_constantIbLb1EESX_IbLb0EEEEDaST_SU_EUlST_E_NS1_11comp_targetILNS1_3genE8ELNS1_11target_archE1030ELNS1_3gpuE2ELNS1_3repE0EEENS1_30default_config_static_selectorELNS0_4arch9wavefront6targetE0EEEvT1_: ; @_ZN7rocprim17ROCPRIM_400000_NS6detail17trampoline_kernelINS0_14default_configENS1_20scan_config_selectorIN3c108BFloat16EEEZZNS1_9scan_implILNS1_25lookback_scan_determinismE0ELb0ELb0ES3_PKS6_PS6_S6_ZZZN2at6native31launch_logcumsumexp_cuda_kernelERKNSD_10TensorBaseESH_lENKUlvE_clEvENKUlvE4_clEvEUlS6_S6_E_S6_EEDaPvRmT3_T4_T5_mT6_P12ihipStream_tbENKUlT_T0_E_clISt17integral_constantIbLb1EESX_IbLb0EEEEDaST_SU_EUlST_E_NS1_11comp_targetILNS1_3genE8ELNS1_11target_archE1030ELNS1_3gpuE2ELNS1_3repE0EEENS1_30default_config_static_selectorELNS0_4arch9wavefront6targetE0EEEvT1_
; %bb.0:
	.section	.rodata,"a",@progbits
	.p2align	6, 0x0
	.amdhsa_kernel _ZN7rocprim17ROCPRIM_400000_NS6detail17trampoline_kernelINS0_14default_configENS1_20scan_config_selectorIN3c108BFloat16EEEZZNS1_9scan_implILNS1_25lookback_scan_determinismE0ELb0ELb0ES3_PKS6_PS6_S6_ZZZN2at6native31launch_logcumsumexp_cuda_kernelERKNSD_10TensorBaseESH_lENKUlvE_clEvENKUlvE4_clEvEUlS6_S6_E_S6_EEDaPvRmT3_T4_T5_mT6_P12ihipStream_tbENKUlT_T0_E_clISt17integral_constantIbLb1EESX_IbLb0EEEEDaST_SU_EUlST_E_NS1_11comp_targetILNS1_3genE8ELNS1_11target_archE1030ELNS1_3gpuE2ELNS1_3repE0EEENS1_30default_config_static_selectorELNS0_4arch9wavefront6targetE0EEEvT1_
		.amdhsa_group_segment_fixed_size 0
		.amdhsa_private_segment_fixed_size 0
		.amdhsa_kernarg_size 96
		.amdhsa_user_sgpr_count 15
		.amdhsa_user_sgpr_dispatch_ptr 0
		.amdhsa_user_sgpr_queue_ptr 0
		.amdhsa_user_sgpr_kernarg_segment_ptr 1
		.amdhsa_user_sgpr_dispatch_id 0
		.amdhsa_user_sgpr_private_segment_size 0
		.amdhsa_wavefront_size32 1
		.amdhsa_uses_dynamic_stack 0
		.amdhsa_enable_private_segment 0
		.amdhsa_system_sgpr_workgroup_id_x 1
		.amdhsa_system_sgpr_workgroup_id_y 0
		.amdhsa_system_sgpr_workgroup_id_z 0
		.amdhsa_system_sgpr_workgroup_info 0
		.amdhsa_system_vgpr_workitem_id 0
		.amdhsa_next_free_vgpr 1
		.amdhsa_next_free_sgpr 1
		.amdhsa_reserve_vcc 0
		.amdhsa_float_round_mode_32 0
		.amdhsa_float_round_mode_16_64 0
		.amdhsa_float_denorm_mode_32 3
		.amdhsa_float_denorm_mode_16_64 3
		.amdhsa_dx10_clamp 1
		.amdhsa_ieee_mode 1
		.amdhsa_fp16_overflow 0
		.amdhsa_workgroup_processor_mode 1
		.amdhsa_memory_ordered 1
		.amdhsa_forward_progress 0
		.amdhsa_shared_vgpr_count 0
		.amdhsa_exception_fp_ieee_invalid_op 0
		.amdhsa_exception_fp_denorm_src 0
		.amdhsa_exception_fp_ieee_div_zero 0
		.amdhsa_exception_fp_ieee_overflow 0
		.amdhsa_exception_fp_ieee_underflow 0
		.amdhsa_exception_fp_ieee_inexact 0
		.amdhsa_exception_int_div_zero 0
	.end_amdhsa_kernel
	.section	.text._ZN7rocprim17ROCPRIM_400000_NS6detail17trampoline_kernelINS0_14default_configENS1_20scan_config_selectorIN3c108BFloat16EEEZZNS1_9scan_implILNS1_25lookback_scan_determinismE0ELb0ELb0ES3_PKS6_PS6_S6_ZZZN2at6native31launch_logcumsumexp_cuda_kernelERKNSD_10TensorBaseESH_lENKUlvE_clEvENKUlvE4_clEvEUlS6_S6_E_S6_EEDaPvRmT3_T4_T5_mT6_P12ihipStream_tbENKUlT_T0_E_clISt17integral_constantIbLb1EESX_IbLb0EEEEDaST_SU_EUlST_E_NS1_11comp_targetILNS1_3genE8ELNS1_11target_archE1030ELNS1_3gpuE2ELNS1_3repE0EEENS1_30default_config_static_selectorELNS0_4arch9wavefront6targetE0EEEvT1_,"axG",@progbits,_ZN7rocprim17ROCPRIM_400000_NS6detail17trampoline_kernelINS0_14default_configENS1_20scan_config_selectorIN3c108BFloat16EEEZZNS1_9scan_implILNS1_25lookback_scan_determinismE0ELb0ELb0ES3_PKS6_PS6_S6_ZZZN2at6native31launch_logcumsumexp_cuda_kernelERKNSD_10TensorBaseESH_lENKUlvE_clEvENKUlvE4_clEvEUlS6_S6_E_S6_EEDaPvRmT3_T4_T5_mT6_P12ihipStream_tbENKUlT_T0_E_clISt17integral_constantIbLb1EESX_IbLb0EEEEDaST_SU_EUlST_E_NS1_11comp_targetILNS1_3genE8ELNS1_11target_archE1030ELNS1_3gpuE2ELNS1_3repE0EEENS1_30default_config_static_selectorELNS0_4arch9wavefront6targetE0EEEvT1_,comdat
.Lfunc_end503:
	.size	_ZN7rocprim17ROCPRIM_400000_NS6detail17trampoline_kernelINS0_14default_configENS1_20scan_config_selectorIN3c108BFloat16EEEZZNS1_9scan_implILNS1_25lookback_scan_determinismE0ELb0ELb0ES3_PKS6_PS6_S6_ZZZN2at6native31launch_logcumsumexp_cuda_kernelERKNSD_10TensorBaseESH_lENKUlvE_clEvENKUlvE4_clEvEUlS6_S6_E_S6_EEDaPvRmT3_T4_T5_mT6_P12ihipStream_tbENKUlT_T0_E_clISt17integral_constantIbLb1EESX_IbLb0EEEEDaST_SU_EUlST_E_NS1_11comp_targetILNS1_3genE8ELNS1_11target_archE1030ELNS1_3gpuE2ELNS1_3repE0EEENS1_30default_config_static_selectorELNS0_4arch9wavefront6targetE0EEEvT1_, .Lfunc_end503-_ZN7rocprim17ROCPRIM_400000_NS6detail17trampoline_kernelINS0_14default_configENS1_20scan_config_selectorIN3c108BFloat16EEEZZNS1_9scan_implILNS1_25lookback_scan_determinismE0ELb0ELb0ES3_PKS6_PS6_S6_ZZZN2at6native31launch_logcumsumexp_cuda_kernelERKNSD_10TensorBaseESH_lENKUlvE_clEvENKUlvE4_clEvEUlS6_S6_E_S6_EEDaPvRmT3_T4_T5_mT6_P12ihipStream_tbENKUlT_T0_E_clISt17integral_constantIbLb1EESX_IbLb0EEEEDaST_SU_EUlST_E_NS1_11comp_targetILNS1_3genE8ELNS1_11target_archE1030ELNS1_3gpuE2ELNS1_3repE0EEENS1_30default_config_static_selectorELNS0_4arch9wavefront6targetE0EEEvT1_
                                        ; -- End function
	.section	.AMDGPU.csdata,"",@progbits
; Kernel info:
; codeLenInByte = 0
; NumSgprs: 0
; NumVgprs: 0
; ScratchSize: 0
; MemoryBound: 0
; FloatMode: 240
; IeeeMode: 1
; LDSByteSize: 0 bytes/workgroup (compile time only)
; SGPRBlocks: 0
; VGPRBlocks: 0
; NumSGPRsForWavesPerEU: 1
; NumVGPRsForWavesPerEU: 1
; Occupancy: 16
; WaveLimiterHint : 0
; COMPUTE_PGM_RSRC2:SCRATCH_EN: 0
; COMPUTE_PGM_RSRC2:USER_SGPR: 15
; COMPUTE_PGM_RSRC2:TRAP_HANDLER: 0
; COMPUTE_PGM_RSRC2:TGID_X_EN: 1
; COMPUTE_PGM_RSRC2:TGID_Y_EN: 0
; COMPUTE_PGM_RSRC2:TGID_Z_EN: 0
; COMPUTE_PGM_RSRC2:TIDIG_COMP_CNT: 0
	.section	.text._ZN7rocprim17ROCPRIM_400000_NS6detail17trampoline_kernelINS0_14default_configENS1_20scan_config_selectorIN3c108BFloat16EEEZZNS1_9scan_implILNS1_25lookback_scan_determinismE0ELb0ELb0ES3_PKS6_PS6_S6_ZZZN2at6native31launch_logcumsumexp_cuda_kernelERKNSD_10TensorBaseESH_lENKUlvE_clEvENKUlvE4_clEvEUlS6_S6_E_S6_EEDaPvRmT3_T4_T5_mT6_P12ihipStream_tbENKUlT_T0_E_clISt17integral_constantIbLb1EESX_IbLb0EEEEDaST_SU_EUlST_E0_NS1_11comp_targetILNS1_3genE0ELNS1_11target_archE4294967295ELNS1_3gpuE0ELNS1_3repE0EEENS1_30default_config_static_selectorELNS0_4arch9wavefront6targetE0EEEvT1_,"axG",@progbits,_ZN7rocprim17ROCPRIM_400000_NS6detail17trampoline_kernelINS0_14default_configENS1_20scan_config_selectorIN3c108BFloat16EEEZZNS1_9scan_implILNS1_25lookback_scan_determinismE0ELb0ELb0ES3_PKS6_PS6_S6_ZZZN2at6native31launch_logcumsumexp_cuda_kernelERKNSD_10TensorBaseESH_lENKUlvE_clEvENKUlvE4_clEvEUlS6_S6_E_S6_EEDaPvRmT3_T4_T5_mT6_P12ihipStream_tbENKUlT_T0_E_clISt17integral_constantIbLb1EESX_IbLb0EEEEDaST_SU_EUlST_E0_NS1_11comp_targetILNS1_3genE0ELNS1_11target_archE4294967295ELNS1_3gpuE0ELNS1_3repE0EEENS1_30default_config_static_selectorELNS0_4arch9wavefront6targetE0EEEvT1_,comdat
	.globl	_ZN7rocprim17ROCPRIM_400000_NS6detail17trampoline_kernelINS0_14default_configENS1_20scan_config_selectorIN3c108BFloat16EEEZZNS1_9scan_implILNS1_25lookback_scan_determinismE0ELb0ELb0ES3_PKS6_PS6_S6_ZZZN2at6native31launch_logcumsumexp_cuda_kernelERKNSD_10TensorBaseESH_lENKUlvE_clEvENKUlvE4_clEvEUlS6_S6_E_S6_EEDaPvRmT3_T4_T5_mT6_P12ihipStream_tbENKUlT_T0_E_clISt17integral_constantIbLb1EESX_IbLb0EEEEDaST_SU_EUlST_E0_NS1_11comp_targetILNS1_3genE0ELNS1_11target_archE4294967295ELNS1_3gpuE0ELNS1_3repE0EEENS1_30default_config_static_selectorELNS0_4arch9wavefront6targetE0EEEvT1_ ; -- Begin function _ZN7rocprim17ROCPRIM_400000_NS6detail17trampoline_kernelINS0_14default_configENS1_20scan_config_selectorIN3c108BFloat16EEEZZNS1_9scan_implILNS1_25lookback_scan_determinismE0ELb0ELb0ES3_PKS6_PS6_S6_ZZZN2at6native31launch_logcumsumexp_cuda_kernelERKNSD_10TensorBaseESH_lENKUlvE_clEvENKUlvE4_clEvEUlS6_S6_E_S6_EEDaPvRmT3_T4_T5_mT6_P12ihipStream_tbENKUlT_T0_E_clISt17integral_constantIbLb1EESX_IbLb0EEEEDaST_SU_EUlST_E0_NS1_11comp_targetILNS1_3genE0ELNS1_11target_archE4294967295ELNS1_3gpuE0ELNS1_3repE0EEENS1_30default_config_static_selectorELNS0_4arch9wavefront6targetE0EEEvT1_
	.p2align	8
	.type	_ZN7rocprim17ROCPRIM_400000_NS6detail17trampoline_kernelINS0_14default_configENS1_20scan_config_selectorIN3c108BFloat16EEEZZNS1_9scan_implILNS1_25lookback_scan_determinismE0ELb0ELb0ES3_PKS6_PS6_S6_ZZZN2at6native31launch_logcumsumexp_cuda_kernelERKNSD_10TensorBaseESH_lENKUlvE_clEvENKUlvE4_clEvEUlS6_S6_E_S6_EEDaPvRmT3_T4_T5_mT6_P12ihipStream_tbENKUlT_T0_E_clISt17integral_constantIbLb1EESX_IbLb0EEEEDaST_SU_EUlST_E0_NS1_11comp_targetILNS1_3genE0ELNS1_11target_archE4294967295ELNS1_3gpuE0ELNS1_3repE0EEENS1_30default_config_static_selectorELNS0_4arch9wavefront6targetE0EEEvT1_,@function
_ZN7rocprim17ROCPRIM_400000_NS6detail17trampoline_kernelINS0_14default_configENS1_20scan_config_selectorIN3c108BFloat16EEEZZNS1_9scan_implILNS1_25lookback_scan_determinismE0ELb0ELb0ES3_PKS6_PS6_S6_ZZZN2at6native31launch_logcumsumexp_cuda_kernelERKNSD_10TensorBaseESH_lENKUlvE_clEvENKUlvE4_clEvEUlS6_S6_E_S6_EEDaPvRmT3_T4_T5_mT6_P12ihipStream_tbENKUlT_T0_E_clISt17integral_constantIbLb1EESX_IbLb0EEEEDaST_SU_EUlST_E0_NS1_11comp_targetILNS1_3genE0ELNS1_11target_archE4294967295ELNS1_3gpuE0ELNS1_3repE0EEENS1_30default_config_static_selectorELNS0_4arch9wavefront6targetE0EEEvT1_: ; @_ZN7rocprim17ROCPRIM_400000_NS6detail17trampoline_kernelINS0_14default_configENS1_20scan_config_selectorIN3c108BFloat16EEEZZNS1_9scan_implILNS1_25lookback_scan_determinismE0ELb0ELb0ES3_PKS6_PS6_S6_ZZZN2at6native31launch_logcumsumexp_cuda_kernelERKNSD_10TensorBaseESH_lENKUlvE_clEvENKUlvE4_clEvEUlS6_S6_E_S6_EEDaPvRmT3_T4_T5_mT6_P12ihipStream_tbENKUlT_T0_E_clISt17integral_constantIbLb1EESX_IbLb0EEEEDaST_SU_EUlST_E0_NS1_11comp_targetILNS1_3genE0ELNS1_11target_archE4294967295ELNS1_3gpuE0ELNS1_3repE0EEENS1_30default_config_static_selectorELNS0_4arch9wavefront6targetE0EEEvT1_
; %bb.0:
	.section	.rodata,"a",@progbits
	.p2align	6, 0x0
	.amdhsa_kernel _ZN7rocprim17ROCPRIM_400000_NS6detail17trampoline_kernelINS0_14default_configENS1_20scan_config_selectorIN3c108BFloat16EEEZZNS1_9scan_implILNS1_25lookback_scan_determinismE0ELb0ELb0ES3_PKS6_PS6_S6_ZZZN2at6native31launch_logcumsumexp_cuda_kernelERKNSD_10TensorBaseESH_lENKUlvE_clEvENKUlvE4_clEvEUlS6_S6_E_S6_EEDaPvRmT3_T4_T5_mT6_P12ihipStream_tbENKUlT_T0_E_clISt17integral_constantIbLb1EESX_IbLb0EEEEDaST_SU_EUlST_E0_NS1_11comp_targetILNS1_3genE0ELNS1_11target_archE4294967295ELNS1_3gpuE0ELNS1_3repE0EEENS1_30default_config_static_selectorELNS0_4arch9wavefront6targetE0EEEvT1_
		.amdhsa_group_segment_fixed_size 0
		.amdhsa_private_segment_fixed_size 0
		.amdhsa_kernarg_size 32
		.amdhsa_user_sgpr_count 15
		.amdhsa_user_sgpr_dispatch_ptr 0
		.amdhsa_user_sgpr_queue_ptr 0
		.amdhsa_user_sgpr_kernarg_segment_ptr 1
		.amdhsa_user_sgpr_dispatch_id 0
		.amdhsa_user_sgpr_private_segment_size 0
		.amdhsa_wavefront_size32 1
		.amdhsa_uses_dynamic_stack 0
		.amdhsa_enable_private_segment 0
		.amdhsa_system_sgpr_workgroup_id_x 1
		.amdhsa_system_sgpr_workgroup_id_y 0
		.amdhsa_system_sgpr_workgroup_id_z 0
		.amdhsa_system_sgpr_workgroup_info 0
		.amdhsa_system_vgpr_workitem_id 0
		.amdhsa_next_free_vgpr 1
		.amdhsa_next_free_sgpr 1
		.amdhsa_reserve_vcc 0
		.amdhsa_float_round_mode_32 0
		.amdhsa_float_round_mode_16_64 0
		.amdhsa_float_denorm_mode_32 3
		.amdhsa_float_denorm_mode_16_64 3
		.amdhsa_dx10_clamp 1
		.amdhsa_ieee_mode 1
		.amdhsa_fp16_overflow 0
		.amdhsa_workgroup_processor_mode 1
		.amdhsa_memory_ordered 1
		.amdhsa_forward_progress 0
		.amdhsa_shared_vgpr_count 0
		.amdhsa_exception_fp_ieee_invalid_op 0
		.amdhsa_exception_fp_denorm_src 0
		.amdhsa_exception_fp_ieee_div_zero 0
		.amdhsa_exception_fp_ieee_overflow 0
		.amdhsa_exception_fp_ieee_underflow 0
		.amdhsa_exception_fp_ieee_inexact 0
		.amdhsa_exception_int_div_zero 0
	.end_amdhsa_kernel
	.section	.text._ZN7rocprim17ROCPRIM_400000_NS6detail17trampoline_kernelINS0_14default_configENS1_20scan_config_selectorIN3c108BFloat16EEEZZNS1_9scan_implILNS1_25lookback_scan_determinismE0ELb0ELb0ES3_PKS6_PS6_S6_ZZZN2at6native31launch_logcumsumexp_cuda_kernelERKNSD_10TensorBaseESH_lENKUlvE_clEvENKUlvE4_clEvEUlS6_S6_E_S6_EEDaPvRmT3_T4_T5_mT6_P12ihipStream_tbENKUlT_T0_E_clISt17integral_constantIbLb1EESX_IbLb0EEEEDaST_SU_EUlST_E0_NS1_11comp_targetILNS1_3genE0ELNS1_11target_archE4294967295ELNS1_3gpuE0ELNS1_3repE0EEENS1_30default_config_static_selectorELNS0_4arch9wavefront6targetE0EEEvT1_,"axG",@progbits,_ZN7rocprim17ROCPRIM_400000_NS6detail17trampoline_kernelINS0_14default_configENS1_20scan_config_selectorIN3c108BFloat16EEEZZNS1_9scan_implILNS1_25lookback_scan_determinismE0ELb0ELb0ES3_PKS6_PS6_S6_ZZZN2at6native31launch_logcumsumexp_cuda_kernelERKNSD_10TensorBaseESH_lENKUlvE_clEvENKUlvE4_clEvEUlS6_S6_E_S6_EEDaPvRmT3_T4_T5_mT6_P12ihipStream_tbENKUlT_T0_E_clISt17integral_constantIbLb1EESX_IbLb0EEEEDaST_SU_EUlST_E0_NS1_11comp_targetILNS1_3genE0ELNS1_11target_archE4294967295ELNS1_3gpuE0ELNS1_3repE0EEENS1_30default_config_static_selectorELNS0_4arch9wavefront6targetE0EEEvT1_,comdat
.Lfunc_end504:
	.size	_ZN7rocprim17ROCPRIM_400000_NS6detail17trampoline_kernelINS0_14default_configENS1_20scan_config_selectorIN3c108BFloat16EEEZZNS1_9scan_implILNS1_25lookback_scan_determinismE0ELb0ELb0ES3_PKS6_PS6_S6_ZZZN2at6native31launch_logcumsumexp_cuda_kernelERKNSD_10TensorBaseESH_lENKUlvE_clEvENKUlvE4_clEvEUlS6_S6_E_S6_EEDaPvRmT3_T4_T5_mT6_P12ihipStream_tbENKUlT_T0_E_clISt17integral_constantIbLb1EESX_IbLb0EEEEDaST_SU_EUlST_E0_NS1_11comp_targetILNS1_3genE0ELNS1_11target_archE4294967295ELNS1_3gpuE0ELNS1_3repE0EEENS1_30default_config_static_selectorELNS0_4arch9wavefront6targetE0EEEvT1_, .Lfunc_end504-_ZN7rocprim17ROCPRIM_400000_NS6detail17trampoline_kernelINS0_14default_configENS1_20scan_config_selectorIN3c108BFloat16EEEZZNS1_9scan_implILNS1_25lookback_scan_determinismE0ELb0ELb0ES3_PKS6_PS6_S6_ZZZN2at6native31launch_logcumsumexp_cuda_kernelERKNSD_10TensorBaseESH_lENKUlvE_clEvENKUlvE4_clEvEUlS6_S6_E_S6_EEDaPvRmT3_T4_T5_mT6_P12ihipStream_tbENKUlT_T0_E_clISt17integral_constantIbLb1EESX_IbLb0EEEEDaST_SU_EUlST_E0_NS1_11comp_targetILNS1_3genE0ELNS1_11target_archE4294967295ELNS1_3gpuE0ELNS1_3repE0EEENS1_30default_config_static_selectorELNS0_4arch9wavefront6targetE0EEEvT1_
                                        ; -- End function
	.section	.AMDGPU.csdata,"",@progbits
; Kernel info:
; codeLenInByte = 0
; NumSgprs: 0
; NumVgprs: 0
; ScratchSize: 0
; MemoryBound: 0
; FloatMode: 240
; IeeeMode: 1
; LDSByteSize: 0 bytes/workgroup (compile time only)
; SGPRBlocks: 0
; VGPRBlocks: 0
; NumSGPRsForWavesPerEU: 1
; NumVGPRsForWavesPerEU: 1
; Occupancy: 16
; WaveLimiterHint : 0
; COMPUTE_PGM_RSRC2:SCRATCH_EN: 0
; COMPUTE_PGM_RSRC2:USER_SGPR: 15
; COMPUTE_PGM_RSRC2:TRAP_HANDLER: 0
; COMPUTE_PGM_RSRC2:TGID_X_EN: 1
; COMPUTE_PGM_RSRC2:TGID_Y_EN: 0
; COMPUTE_PGM_RSRC2:TGID_Z_EN: 0
; COMPUTE_PGM_RSRC2:TIDIG_COMP_CNT: 0
	.section	.text._ZN7rocprim17ROCPRIM_400000_NS6detail17trampoline_kernelINS0_14default_configENS1_20scan_config_selectorIN3c108BFloat16EEEZZNS1_9scan_implILNS1_25lookback_scan_determinismE0ELb0ELb0ES3_PKS6_PS6_S6_ZZZN2at6native31launch_logcumsumexp_cuda_kernelERKNSD_10TensorBaseESH_lENKUlvE_clEvENKUlvE4_clEvEUlS6_S6_E_S6_EEDaPvRmT3_T4_T5_mT6_P12ihipStream_tbENKUlT_T0_E_clISt17integral_constantIbLb1EESX_IbLb0EEEEDaST_SU_EUlST_E0_NS1_11comp_targetILNS1_3genE5ELNS1_11target_archE942ELNS1_3gpuE9ELNS1_3repE0EEENS1_30default_config_static_selectorELNS0_4arch9wavefront6targetE0EEEvT1_,"axG",@progbits,_ZN7rocprim17ROCPRIM_400000_NS6detail17trampoline_kernelINS0_14default_configENS1_20scan_config_selectorIN3c108BFloat16EEEZZNS1_9scan_implILNS1_25lookback_scan_determinismE0ELb0ELb0ES3_PKS6_PS6_S6_ZZZN2at6native31launch_logcumsumexp_cuda_kernelERKNSD_10TensorBaseESH_lENKUlvE_clEvENKUlvE4_clEvEUlS6_S6_E_S6_EEDaPvRmT3_T4_T5_mT6_P12ihipStream_tbENKUlT_T0_E_clISt17integral_constantIbLb1EESX_IbLb0EEEEDaST_SU_EUlST_E0_NS1_11comp_targetILNS1_3genE5ELNS1_11target_archE942ELNS1_3gpuE9ELNS1_3repE0EEENS1_30default_config_static_selectorELNS0_4arch9wavefront6targetE0EEEvT1_,comdat
	.globl	_ZN7rocprim17ROCPRIM_400000_NS6detail17trampoline_kernelINS0_14default_configENS1_20scan_config_selectorIN3c108BFloat16EEEZZNS1_9scan_implILNS1_25lookback_scan_determinismE0ELb0ELb0ES3_PKS6_PS6_S6_ZZZN2at6native31launch_logcumsumexp_cuda_kernelERKNSD_10TensorBaseESH_lENKUlvE_clEvENKUlvE4_clEvEUlS6_S6_E_S6_EEDaPvRmT3_T4_T5_mT6_P12ihipStream_tbENKUlT_T0_E_clISt17integral_constantIbLb1EESX_IbLb0EEEEDaST_SU_EUlST_E0_NS1_11comp_targetILNS1_3genE5ELNS1_11target_archE942ELNS1_3gpuE9ELNS1_3repE0EEENS1_30default_config_static_selectorELNS0_4arch9wavefront6targetE0EEEvT1_ ; -- Begin function _ZN7rocprim17ROCPRIM_400000_NS6detail17trampoline_kernelINS0_14default_configENS1_20scan_config_selectorIN3c108BFloat16EEEZZNS1_9scan_implILNS1_25lookback_scan_determinismE0ELb0ELb0ES3_PKS6_PS6_S6_ZZZN2at6native31launch_logcumsumexp_cuda_kernelERKNSD_10TensorBaseESH_lENKUlvE_clEvENKUlvE4_clEvEUlS6_S6_E_S6_EEDaPvRmT3_T4_T5_mT6_P12ihipStream_tbENKUlT_T0_E_clISt17integral_constantIbLb1EESX_IbLb0EEEEDaST_SU_EUlST_E0_NS1_11comp_targetILNS1_3genE5ELNS1_11target_archE942ELNS1_3gpuE9ELNS1_3repE0EEENS1_30default_config_static_selectorELNS0_4arch9wavefront6targetE0EEEvT1_
	.p2align	8
	.type	_ZN7rocprim17ROCPRIM_400000_NS6detail17trampoline_kernelINS0_14default_configENS1_20scan_config_selectorIN3c108BFloat16EEEZZNS1_9scan_implILNS1_25lookback_scan_determinismE0ELb0ELb0ES3_PKS6_PS6_S6_ZZZN2at6native31launch_logcumsumexp_cuda_kernelERKNSD_10TensorBaseESH_lENKUlvE_clEvENKUlvE4_clEvEUlS6_S6_E_S6_EEDaPvRmT3_T4_T5_mT6_P12ihipStream_tbENKUlT_T0_E_clISt17integral_constantIbLb1EESX_IbLb0EEEEDaST_SU_EUlST_E0_NS1_11comp_targetILNS1_3genE5ELNS1_11target_archE942ELNS1_3gpuE9ELNS1_3repE0EEENS1_30default_config_static_selectorELNS0_4arch9wavefront6targetE0EEEvT1_,@function
_ZN7rocprim17ROCPRIM_400000_NS6detail17trampoline_kernelINS0_14default_configENS1_20scan_config_selectorIN3c108BFloat16EEEZZNS1_9scan_implILNS1_25lookback_scan_determinismE0ELb0ELb0ES3_PKS6_PS6_S6_ZZZN2at6native31launch_logcumsumexp_cuda_kernelERKNSD_10TensorBaseESH_lENKUlvE_clEvENKUlvE4_clEvEUlS6_S6_E_S6_EEDaPvRmT3_T4_T5_mT6_P12ihipStream_tbENKUlT_T0_E_clISt17integral_constantIbLb1EESX_IbLb0EEEEDaST_SU_EUlST_E0_NS1_11comp_targetILNS1_3genE5ELNS1_11target_archE942ELNS1_3gpuE9ELNS1_3repE0EEENS1_30default_config_static_selectorELNS0_4arch9wavefront6targetE0EEEvT1_: ; @_ZN7rocprim17ROCPRIM_400000_NS6detail17trampoline_kernelINS0_14default_configENS1_20scan_config_selectorIN3c108BFloat16EEEZZNS1_9scan_implILNS1_25lookback_scan_determinismE0ELb0ELb0ES3_PKS6_PS6_S6_ZZZN2at6native31launch_logcumsumexp_cuda_kernelERKNSD_10TensorBaseESH_lENKUlvE_clEvENKUlvE4_clEvEUlS6_S6_E_S6_EEDaPvRmT3_T4_T5_mT6_P12ihipStream_tbENKUlT_T0_E_clISt17integral_constantIbLb1EESX_IbLb0EEEEDaST_SU_EUlST_E0_NS1_11comp_targetILNS1_3genE5ELNS1_11target_archE942ELNS1_3gpuE9ELNS1_3repE0EEENS1_30default_config_static_selectorELNS0_4arch9wavefront6targetE0EEEvT1_
; %bb.0:
	.section	.rodata,"a",@progbits
	.p2align	6, 0x0
	.amdhsa_kernel _ZN7rocprim17ROCPRIM_400000_NS6detail17trampoline_kernelINS0_14default_configENS1_20scan_config_selectorIN3c108BFloat16EEEZZNS1_9scan_implILNS1_25lookback_scan_determinismE0ELb0ELb0ES3_PKS6_PS6_S6_ZZZN2at6native31launch_logcumsumexp_cuda_kernelERKNSD_10TensorBaseESH_lENKUlvE_clEvENKUlvE4_clEvEUlS6_S6_E_S6_EEDaPvRmT3_T4_T5_mT6_P12ihipStream_tbENKUlT_T0_E_clISt17integral_constantIbLb1EESX_IbLb0EEEEDaST_SU_EUlST_E0_NS1_11comp_targetILNS1_3genE5ELNS1_11target_archE942ELNS1_3gpuE9ELNS1_3repE0EEENS1_30default_config_static_selectorELNS0_4arch9wavefront6targetE0EEEvT1_
		.amdhsa_group_segment_fixed_size 0
		.amdhsa_private_segment_fixed_size 0
		.amdhsa_kernarg_size 32
		.amdhsa_user_sgpr_count 15
		.amdhsa_user_sgpr_dispatch_ptr 0
		.amdhsa_user_sgpr_queue_ptr 0
		.amdhsa_user_sgpr_kernarg_segment_ptr 1
		.amdhsa_user_sgpr_dispatch_id 0
		.amdhsa_user_sgpr_private_segment_size 0
		.amdhsa_wavefront_size32 1
		.amdhsa_uses_dynamic_stack 0
		.amdhsa_enable_private_segment 0
		.amdhsa_system_sgpr_workgroup_id_x 1
		.amdhsa_system_sgpr_workgroup_id_y 0
		.amdhsa_system_sgpr_workgroup_id_z 0
		.amdhsa_system_sgpr_workgroup_info 0
		.amdhsa_system_vgpr_workitem_id 0
		.amdhsa_next_free_vgpr 1
		.amdhsa_next_free_sgpr 1
		.amdhsa_reserve_vcc 0
		.amdhsa_float_round_mode_32 0
		.amdhsa_float_round_mode_16_64 0
		.amdhsa_float_denorm_mode_32 3
		.amdhsa_float_denorm_mode_16_64 3
		.amdhsa_dx10_clamp 1
		.amdhsa_ieee_mode 1
		.amdhsa_fp16_overflow 0
		.amdhsa_workgroup_processor_mode 1
		.amdhsa_memory_ordered 1
		.amdhsa_forward_progress 0
		.amdhsa_shared_vgpr_count 0
		.amdhsa_exception_fp_ieee_invalid_op 0
		.amdhsa_exception_fp_denorm_src 0
		.amdhsa_exception_fp_ieee_div_zero 0
		.amdhsa_exception_fp_ieee_overflow 0
		.amdhsa_exception_fp_ieee_underflow 0
		.amdhsa_exception_fp_ieee_inexact 0
		.amdhsa_exception_int_div_zero 0
	.end_amdhsa_kernel
	.section	.text._ZN7rocprim17ROCPRIM_400000_NS6detail17trampoline_kernelINS0_14default_configENS1_20scan_config_selectorIN3c108BFloat16EEEZZNS1_9scan_implILNS1_25lookback_scan_determinismE0ELb0ELb0ES3_PKS6_PS6_S6_ZZZN2at6native31launch_logcumsumexp_cuda_kernelERKNSD_10TensorBaseESH_lENKUlvE_clEvENKUlvE4_clEvEUlS6_S6_E_S6_EEDaPvRmT3_T4_T5_mT6_P12ihipStream_tbENKUlT_T0_E_clISt17integral_constantIbLb1EESX_IbLb0EEEEDaST_SU_EUlST_E0_NS1_11comp_targetILNS1_3genE5ELNS1_11target_archE942ELNS1_3gpuE9ELNS1_3repE0EEENS1_30default_config_static_selectorELNS0_4arch9wavefront6targetE0EEEvT1_,"axG",@progbits,_ZN7rocprim17ROCPRIM_400000_NS6detail17trampoline_kernelINS0_14default_configENS1_20scan_config_selectorIN3c108BFloat16EEEZZNS1_9scan_implILNS1_25lookback_scan_determinismE0ELb0ELb0ES3_PKS6_PS6_S6_ZZZN2at6native31launch_logcumsumexp_cuda_kernelERKNSD_10TensorBaseESH_lENKUlvE_clEvENKUlvE4_clEvEUlS6_S6_E_S6_EEDaPvRmT3_T4_T5_mT6_P12ihipStream_tbENKUlT_T0_E_clISt17integral_constantIbLb1EESX_IbLb0EEEEDaST_SU_EUlST_E0_NS1_11comp_targetILNS1_3genE5ELNS1_11target_archE942ELNS1_3gpuE9ELNS1_3repE0EEENS1_30default_config_static_selectorELNS0_4arch9wavefront6targetE0EEEvT1_,comdat
.Lfunc_end505:
	.size	_ZN7rocprim17ROCPRIM_400000_NS6detail17trampoline_kernelINS0_14default_configENS1_20scan_config_selectorIN3c108BFloat16EEEZZNS1_9scan_implILNS1_25lookback_scan_determinismE0ELb0ELb0ES3_PKS6_PS6_S6_ZZZN2at6native31launch_logcumsumexp_cuda_kernelERKNSD_10TensorBaseESH_lENKUlvE_clEvENKUlvE4_clEvEUlS6_S6_E_S6_EEDaPvRmT3_T4_T5_mT6_P12ihipStream_tbENKUlT_T0_E_clISt17integral_constantIbLb1EESX_IbLb0EEEEDaST_SU_EUlST_E0_NS1_11comp_targetILNS1_3genE5ELNS1_11target_archE942ELNS1_3gpuE9ELNS1_3repE0EEENS1_30default_config_static_selectorELNS0_4arch9wavefront6targetE0EEEvT1_, .Lfunc_end505-_ZN7rocprim17ROCPRIM_400000_NS6detail17trampoline_kernelINS0_14default_configENS1_20scan_config_selectorIN3c108BFloat16EEEZZNS1_9scan_implILNS1_25lookback_scan_determinismE0ELb0ELb0ES3_PKS6_PS6_S6_ZZZN2at6native31launch_logcumsumexp_cuda_kernelERKNSD_10TensorBaseESH_lENKUlvE_clEvENKUlvE4_clEvEUlS6_S6_E_S6_EEDaPvRmT3_T4_T5_mT6_P12ihipStream_tbENKUlT_T0_E_clISt17integral_constantIbLb1EESX_IbLb0EEEEDaST_SU_EUlST_E0_NS1_11comp_targetILNS1_3genE5ELNS1_11target_archE942ELNS1_3gpuE9ELNS1_3repE0EEENS1_30default_config_static_selectorELNS0_4arch9wavefront6targetE0EEEvT1_
                                        ; -- End function
	.section	.AMDGPU.csdata,"",@progbits
; Kernel info:
; codeLenInByte = 0
; NumSgprs: 0
; NumVgprs: 0
; ScratchSize: 0
; MemoryBound: 0
; FloatMode: 240
; IeeeMode: 1
; LDSByteSize: 0 bytes/workgroup (compile time only)
; SGPRBlocks: 0
; VGPRBlocks: 0
; NumSGPRsForWavesPerEU: 1
; NumVGPRsForWavesPerEU: 1
; Occupancy: 16
; WaveLimiterHint : 0
; COMPUTE_PGM_RSRC2:SCRATCH_EN: 0
; COMPUTE_PGM_RSRC2:USER_SGPR: 15
; COMPUTE_PGM_RSRC2:TRAP_HANDLER: 0
; COMPUTE_PGM_RSRC2:TGID_X_EN: 1
; COMPUTE_PGM_RSRC2:TGID_Y_EN: 0
; COMPUTE_PGM_RSRC2:TGID_Z_EN: 0
; COMPUTE_PGM_RSRC2:TIDIG_COMP_CNT: 0
	.section	.text._ZN7rocprim17ROCPRIM_400000_NS6detail17trampoline_kernelINS0_14default_configENS1_20scan_config_selectorIN3c108BFloat16EEEZZNS1_9scan_implILNS1_25lookback_scan_determinismE0ELb0ELb0ES3_PKS6_PS6_S6_ZZZN2at6native31launch_logcumsumexp_cuda_kernelERKNSD_10TensorBaseESH_lENKUlvE_clEvENKUlvE4_clEvEUlS6_S6_E_S6_EEDaPvRmT3_T4_T5_mT6_P12ihipStream_tbENKUlT_T0_E_clISt17integral_constantIbLb1EESX_IbLb0EEEEDaST_SU_EUlST_E0_NS1_11comp_targetILNS1_3genE4ELNS1_11target_archE910ELNS1_3gpuE8ELNS1_3repE0EEENS1_30default_config_static_selectorELNS0_4arch9wavefront6targetE0EEEvT1_,"axG",@progbits,_ZN7rocprim17ROCPRIM_400000_NS6detail17trampoline_kernelINS0_14default_configENS1_20scan_config_selectorIN3c108BFloat16EEEZZNS1_9scan_implILNS1_25lookback_scan_determinismE0ELb0ELb0ES3_PKS6_PS6_S6_ZZZN2at6native31launch_logcumsumexp_cuda_kernelERKNSD_10TensorBaseESH_lENKUlvE_clEvENKUlvE4_clEvEUlS6_S6_E_S6_EEDaPvRmT3_T4_T5_mT6_P12ihipStream_tbENKUlT_T0_E_clISt17integral_constantIbLb1EESX_IbLb0EEEEDaST_SU_EUlST_E0_NS1_11comp_targetILNS1_3genE4ELNS1_11target_archE910ELNS1_3gpuE8ELNS1_3repE0EEENS1_30default_config_static_selectorELNS0_4arch9wavefront6targetE0EEEvT1_,comdat
	.globl	_ZN7rocprim17ROCPRIM_400000_NS6detail17trampoline_kernelINS0_14default_configENS1_20scan_config_selectorIN3c108BFloat16EEEZZNS1_9scan_implILNS1_25lookback_scan_determinismE0ELb0ELb0ES3_PKS6_PS6_S6_ZZZN2at6native31launch_logcumsumexp_cuda_kernelERKNSD_10TensorBaseESH_lENKUlvE_clEvENKUlvE4_clEvEUlS6_S6_E_S6_EEDaPvRmT3_T4_T5_mT6_P12ihipStream_tbENKUlT_T0_E_clISt17integral_constantIbLb1EESX_IbLb0EEEEDaST_SU_EUlST_E0_NS1_11comp_targetILNS1_3genE4ELNS1_11target_archE910ELNS1_3gpuE8ELNS1_3repE0EEENS1_30default_config_static_selectorELNS0_4arch9wavefront6targetE0EEEvT1_ ; -- Begin function _ZN7rocprim17ROCPRIM_400000_NS6detail17trampoline_kernelINS0_14default_configENS1_20scan_config_selectorIN3c108BFloat16EEEZZNS1_9scan_implILNS1_25lookback_scan_determinismE0ELb0ELb0ES3_PKS6_PS6_S6_ZZZN2at6native31launch_logcumsumexp_cuda_kernelERKNSD_10TensorBaseESH_lENKUlvE_clEvENKUlvE4_clEvEUlS6_S6_E_S6_EEDaPvRmT3_T4_T5_mT6_P12ihipStream_tbENKUlT_T0_E_clISt17integral_constantIbLb1EESX_IbLb0EEEEDaST_SU_EUlST_E0_NS1_11comp_targetILNS1_3genE4ELNS1_11target_archE910ELNS1_3gpuE8ELNS1_3repE0EEENS1_30default_config_static_selectorELNS0_4arch9wavefront6targetE0EEEvT1_
	.p2align	8
	.type	_ZN7rocprim17ROCPRIM_400000_NS6detail17trampoline_kernelINS0_14default_configENS1_20scan_config_selectorIN3c108BFloat16EEEZZNS1_9scan_implILNS1_25lookback_scan_determinismE0ELb0ELb0ES3_PKS6_PS6_S6_ZZZN2at6native31launch_logcumsumexp_cuda_kernelERKNSD_10TensorBaseESH_lENKUlvE_clEvENKUlvE4_clEvEUlS6_S6_E_S6_EEDaPvRmT3_T4_T5_mT6_P12ihipStream_tbENKUlT_T0_E_clISt17integral_constantIbLb1EESX_IbLb0EEEEDaST_SU_EUlST_E0_NS1_11comp_targetILNS1_3genE4ELNS1_11target_archE910ELNS1_3gpuE8ELNS1_3repE0EEENS1_30default_config_static_selectorELNS0_4arch9wavefront6targetE0EEEvT1_,@function
_ZN7rocprim17ROCPRIM_400000_NS6detail17trampoline_kernelINS0_14default_configENS1_20scan_config_selectorIN3c108BFloat16EEEZZNS1_9scan_implILNS1_25lookback_scan_determinismE0ELb0ELb0ES3_PKS6_PS6_S6_ZZZN2at6native31launch_logcumsumexp_cuda_kernelERKNSD_10TensorBaseESH_lENKUlvE_clEvENKUlvE4_clEvEUlS6_S6_E_S6_EEDaPvRmT3_T4_T5_mT6_P12ihipStream_tbENKUlT_T0_E_clISt17integral_constantIbLb1EESX_IbLb0EEEEDaST_SU_EUlST_E0_NS1_11comp_targetILNS1_3genE4ELNS1_11target_archE910ELNS1_3gpuE8ELNS1_3repE0EEENS1_30default_config_static_selectorELNS0_4arch9wavefront6targetE0EEEvT1_: ; @_ZN7rocprim17ROCPRIM_400000_NS6detail17trampoline_kernelINS0_14default_configENS1_20scan_config_selectorIN3c108BFloat16EEEZZNS1_9scan_implILNS1_25lookback_scan_determinismE0ELb0ELb0ES3_PKS6_PS6_S6_ZZZN2at6native31launch_logcumsumexp_cuda_kernelERKNSD_10TensorBaseESH_lENKUlvE_clEvENKUlvE4_clEvEUlS6_S6_E_S6_EEDaPvRmT3_T4_T5_mT6_P12ihipStream_tbENKUlT_T0_E_clISt17integral_constantIbLb1EESX_IbLb0EEEEDaST_SU_EUlST_E0_NS1_11comp_targetILNS1_3genE4ELNS1_11target_archE910ELNS1_3gpuE8ELNS1_3repE0EEENS1_30default_config_static_selectorELNS0_4arch9wavefront6targetE0EEEvT1_
; %bb.0:
	.section	.rodata,"a",@progbits
	.p2align	6, 0x0
	.amdhsa_kernel _ZN7rocprim17ROCPRIM_400000_NS6detail17trampoline_kernelINS0_14default_configENS1_20scan_config_selectorIN3c108BFloat16EEEZZNS1_9scan_implILNS1_25lookback_scan_determinismE0ELb0ELb0ES3_PKS6_PS6_S6_ZZZN2at6native31launch_logcumsumexp_cuda_kernelERKNSD_10TensorBaseESH_lENKUlvE_clEvENKUlvE4_clEvEUlS6_S6_E_S6_EEDaPvRmT3_T4_T5_mT6_P12ihipStream_tbENKUlT_T0_E_clISt17integral_constantIbLb1EESX_IbLb0EEEEDaST_SU_EUlST_E0_NS1_11comp_targetILNS1_3genE4ELNS1_11target_archE910ELNS1_3gpuE8ELNS1_3repE0EEENS1_30default_config_static_selectorELNS0_4arch9wavefront6targetE0EEEvT1_
		.amdhsa_group_segment_fixed_size 0
		.amdhsa_private_segment_fixed_size 0
		.amdhsa_kernarg_size 32
		.amdhsa_user_sgpr_count 15
		.amdhsa_user_sgpr_dispatch_ptr 0
		.amdhsa_user_sgpr_queue_ptr 0
		.amdhsa_user_sgpr_kernarg_segment_ptr 1
		.amdhsa_user_sgpr_dispatch_id 0
		.amdhsa_user_sgpr_private_segment_size 0
		.amdhsa_wavefront_size32 1
		.amdhsa_uses_dynamic_stack 0
		.amdhsa_enable_private_segment 0
		.amdhsa_system_sgpr_workgroup_id_x 1
		.amdhsa_system_sgpr_workgroup_id_y 0
		.amdhsa_system_sgpr_workgroup_id_z 0
		.amdhsa_system_sgpr_workgroup_info 0
		.amdhsa_system_vgpr_workitem_id 0
		.amdhsa_next_free_vgpr 1
		.amdhsa_next_free_sgpr 1
		.amdhsa_reserve_vcc 0
		.amdhsa_float_round_mode_32 0
		.amdhsa_float_round_mode_16_64 0
		.amdhsa_float_denorm_mode_32 3
		.amdhsa_float_denorm_mode_16_64 3
		.amdhsa_dx10_clamp 1
		.amdhsa_ieee_mode 1
		.amdhsa_fp16_overflow 0
		.amdhsa_workgroup_processor_mode 1
		.amdhsa_memory_ordered 1
		.amdhsa_forward_progress 0
		.amdhsa_shared_vgpr_count 0
		.amdhsa_exception_fp_ieee_invalid_op 0
		.amdhsa_exception_fp_denorm_src 0
		.amdhsa_exception_fp_ieee_div_zero 0
		.amdhsa_exception_fp_ieee_overflow 0
		.amdhsa_exception_fp_ieee_underflow 0
		.amdhsa_exception_fp_ieee_inexact 0
		.amdhsa_exception_int_div_zero 0
	.end_amdhsa_kernel
	.section	.text._ZN7rocprim17ROCPRIM_400000_NS6detail17trampoline_kernelINS0_14default_configENS1_20scan_config_selectorIN3c108BFloat16EEEZZNS1_9scan_implILNS1_25lookback_scan_determinismE0ELb0ELb0ES3_PKS6_PS6_S6_ZZZN2at6native31launch_logcumsumexp_cuda_kernelERKNSD_10TensorBaseESH_lENKUlvE_clEvENKUlvE4_clEvEUlS6_S6_E_S6_EEDaPvRmT3_T4_T5_mT6_P12ihipStream_tbENKUlT_T0_E_clISt17integral_constantIbLb1EESX_IbLb0EEEEDaST_SU_EUlST_E0_NS1_11comp_targetILNS1_3genE4ELNS1_11target_archE910ELNS1_3gpuE8ELNS1_3repE0EEENS1_30default_config_static_selectorELNS0_4arch9wavefront6targetE0EEEvT1_,"axG",@progbits,_ZN7rocprim17ROCPRIM_400000_NS6detail17trampoline_kernelINS0_14default_configENS1_20scan_config_selectorIN3c108BFloat16EEEZZNS1_9scan_implILNS1_25lookback_scan_determinismE0ELb0ELb0ES3_PKS6_PS6_S6_ZZZN2at6native31launch_logcumsumexp_cuda_kernelERKNSD_10TensorBaseESH_lENKUlvE_clEvENKUlvE4_clEvEUlS6_S6_E_S6_EEDaPvRmT3_T4_T5_mT6_P12ihipStream_tbENKUlT_T0_E_clISt17integral_constantIbLb1EESX_IbLb0EEEEDaST_SU_EUlST_E0_NS1_11comp_targetILNS1_3genE4ELNS1_11target_archE910ELNS1_3gpuE8ELNS1_3repE0EEENS1_30default_config_static_selectorELNS0_4arch9wavefront6targetE0EEEvT1_,comdat
.Lfunc_end506:
	.size	_ZN7rocprim17ROCPRIM_400000_NS6detail17trampoline_kernelINS0_14default_configENS1_20scan_config_selectorIN3c108BFloat16EEEZZNS1_9scan_implILNS1_25lookback_scan_determinismE0ELb0ELb0ES3_PKS6_PS6_S6_ZZZN2at6native31launch_logcumsumexp_cuda_kernelERKNSD_10TensorBaseESH_lENKUlvE_clEvENKUlvE4_clEvEUlS6_S6_E_S6_EEDaPvRmT3_T4_T5_mT6_P12ihipStream_tbENKUlT_T0_E_clISt17integral_constantIbLb1EESX_IbLb0EEEEDaST_SU_EUlST_E0_NS1_11comp_targetILNS1_3genE4ELNS1_11target_archE910ELNS1_3gpuE8ELNS1_3repE0EEENS1_30default_config_static_selectorELNS0_4arch9wavefront6targetE0EEEvT1_, .Lfunc_end506-_ZN7rocprim17ROCPRIM_400000_NS6detail17trampoline_kernelINS0_14default_configENS1_20scan_config_selectorIN3c108BFloat16EEEZZNS1_9scan_implILNS1_25lookback_scan_determinismE0ELb0ELb0ES3_PKS6_PS6_S6_ZZZN2at6native31launch_logcumsumexp_cuda_kernelERKNSD_10TensorBaseESH_lENKUlvE_clEvENKUlvE4_clEvEUlS6_S6_E_S6_EEDaPvRmT3_T4_T5_mT6_P12ihipStream_tbENKUlT_T0_E_clISt17integral_constantIbLb1EESX_IbLb0EEEEDaST_SU_EUlST_E0_NS1_11comp_targetILNS1_3genE4ELNS1_11target_archE910ELNS1_3gpuE8ELNS1_3repE0EEENS1_30default_config_static_selectorELNS0_4arch9wavefront6targetE0EEEvT1_
                                        ; -- End function
	.section	.AMDGPU.csdata,"",@progbits
; Kernel info:
; codeLenInByte = 0
; NumSgprs: 0
; NumVgprs: 0
; ScratchSize: 0
; MemoryBound: 0
; FloatMode: 240
; IeeeMode: 1
; LDSByteSize: 0 bytes/workgroup (compile time only)
; SGPRBlocks: 0
; VGPRBlocks: 0
; NumSGPRsForWavesPerEU: 1
; NumVGPRsForWavesPerEU: 1
; Occupancy: 16
; WaveLimiterHint : 0
; COMPUTE_PGM_RSRC2:SCRATCH_EN: 0
; COMPUTE_PGM_RSRC2:USER_SGPR: 15
; COMPUTE_PGM_RSRC2:TRAP_HANDLER: 0
; COMPUTE_PGM_RSRC2:TGID_X_EN: 1
; COMPUTE_PGM_RSRC2:TGID_Y_EN: 0
; COMPUTE_PGM_RSRC2:TGID_Z_EN: 0
; COMPUTE_PGM_RSRC2:TIDIG_COMP_CNT: 0
	.section	.text._ZN7rocprim17ROCPRIM_400000_NS6detail17trampoline_kernelINS0_14default_configENS1_20scan_config_selectorIN3c108BFloat16EEEZZNS1_9scan_implILNS1_25lookback_scan_determinismE0ELb0ELb0ES3_PKS6_PS6_S6_ZZZN2at6native31launch_logcumsumexp_cuda_kernelERKNSD_10TensorBaseESH_lENKUlvE_clEvENKUlvE4_clEvEUlS6_S6_E_S6_EEDaPvRmT3_T4_T5_mT6_P12ihipStream_tbENKUlT_T0_E_clISt17integral_constantIbLb1EESX_IbLb0EEEEDaST_SU_EUlST_E0_NS1_11comp_targetILNS1_3genE3ELNS1_11target_archE908ELNS1_3gpuE7ELNS1_3repE0EEENS1_30default_config_static_selectorELNS0_4arch9wavefront6targetE0EEEvT1_,"axG",@progbits,_ZN7rocprim17ROCPRIM_400000_NS6detail17trampoline_kernelINS0_14default_configENS1_20scan_config_selectorIN3c108BFloat16EEEZZNS1_9scan_implILNS1_25lookback_scan_determinismE0ELb0ELb0ES3_PKS6_PS6_S6_ZZZN2at6native31launch_logcumsumexp_cuda_kernelERKNSD_10TensorBaseESH_lENKUlvE_clEvENKUlvE4_clEvEUlS6_S6_E_S6_EEDaPvRmT3_T4_T5_mT6_P12ihipStream_tbENKUlT_T0_E_clISt17integral_constantIbLb1EESX_IbLb0EEEEDaST_SU_EUlST_E0_NS1_11comp_targetILNS1_3genE3ELNS1_11target_archE908ELNS1_3gpuE7ELNS1_3repE0EEENS1_30default_config_static_selectorELNS0_4arch9wavefront6targetE0EEEvT1_,comdat
	.globl	_ZN7rocprim17ROCPRIM_400000_NS6detail17trampoline_kernelINS0_14default_configENS1_20scan_config_selectorIN3c108BFloat16EEEZZNS1_9scan_implILNS1_25lookback_scan_determinismE0ELb0ELb0ES3_PKS6_PS6_S6_ZZZN2at6native31launch_logcumsumexp_cuda_kernelERKNSD_10TensorBaseESH_lENKUlvE_clEvENKUlvE4_clEvEUlS6_S6_E_S6_EEDaPvRmT3_T4_T5_mT6_P12ihipStream_tbENKUlT_T0_E_clISt17integral_constantIbLb1EESX_IbLb0EEEEDaST_SU_EUlST_E0_NS1_11comp_targetILNS1_3genE3ELNS1_11target_archE908ELNS1_3gpuE7ELNS1_3repE0EEENS1_30default_config_static_selectorELNS0_4arch9wavefront6targetE0EEEvT1_ ; -- Begin function _ZN7rocprim17ROCPRIM_400000_NS6detail17trampoline_kernelINS0_14default_configENS1_20scan_config_selectorIN3c108BFloat16EEEZZNS1_9scan_implILNS1_25lookback_scan_determinismE0ELb0ELb0ES3_PKS6_PS6_S6_ZZZN2at6native31launch_logcumsumexp_cuda_kernelERKNSD_10TensorBaseESH_lENKUlvE_clEvENKUlvE4_clEvEUlS6_S6_E_S6_EEDaPvRmT3_T4_T5_mT6_P12ihipStream_tbENKUlT_T0_E_clISt17integral_constantIbLb1EESX_IbLb0EEEEDaST_SU_EUlST_E0_NS1_11comp_targetILNS1_3genE3ELNS1_11target_archE908ELNS1_3gpuE7ELNS1_3repE0EEENS1_30default_config_static_selectorELNS0_4arch9wavefront6targetE0EEEvT1_
	.p2align	8
	.type	_ZN7rocprim17ROCPRIM_400000_NS6detail17trampoline_kernelINS0_14default_configENS1_20scan_config_selectorIN3c108BFloat16EEEZZNS1_9scan_implILNS1_25lookback_scan_determinismE0ELb0ELb0ES3_PKS6_PS6_S6_ZZZN2at6native31launch_logcumsumexp_cuda_kernelERKNSD_10TensorBaseESH_lENKUlvE_clEvENKUlvE4_clEvEUlS6_S6_E_S6_EEDaPvRmT3_T4_T5_mT6_P12ihipStream_tbENKUlT_T0_E_clISt17integral_constantIbLb1EESX_IbLb0EEEEDaST_SU_EUlST_E0_NS1_11comp_targetILNS1_3genE3ELNS1_11target_archE908ELNS1_3gpuE7ELNS1_3repE0EEENS1_30default_config_static_selectorELNS0_4arch9wavefront6targetE0EEEvT1_,@function
_ZN7rocprim17ROCPRIM_400000_NS6detail17trampoline_kernelINS0_14default_configENS1_20scan_config_selectorIN3c108BFloat16EEEZZNS1_9scan_implILNS1_25lookback_scan_determinismE0ELb0ELb0ES3_PKS6_PS6_S6_ZZZN2at6native31launch_logcumsumexp_cuda_kernelERKNSD_10TensorBaseESH_lENKUlvE_clEvENKUlvE4_clEvEUlS6_S6_E_S6_EEDaPvRmT3_T4_T5_mT6_P12ihipStream_tbENKUlT_T0_E_clISt17integral_constantIbLb1EESX_IbLb0EEEEDaST_SU_EUlST_E0_NS1_11comp_targetILNS1_3genE3ELNS1_11target_archE908ELNS1_3gpuE7ELNS1_3repE0EEENS1_30default_config_static_selectorELNS0_4arch9wavefront6targetE0EEEvT1_: ; @_ZN7rocprim17ROCPRIM_400000_NS6detail17trampoline_kernelINS0_14default_configENS1_20scan_config_selectorIN3c108BFloat16EEEZZNS1_9scan_implILNS1_25lookback_scan_determinismE0ELb0ELb0ES3_PKS6_PS6_S6_ZZZN2at6native31launch_logcumsumexp_cuda_kernelERKNSD_10TensorBaseESH_lENKUlvE_clEvENKUlvE4_clEvEUlS6_S6_E_S6_EEDaPvRmT3_T4_T5_mT6_P12ihipStream_tbENKUlT_T0_E_clISt17integral_constantIbLb1EESX_IbLb0EEEEDaST_SU_EUlST_E0_NS1_11comp_targetILNS1_3genE3ELNS1_11target_archE908ELNS1_3gpuE7ELNS1_3repE0EEENS1_30default_config_static_selectorELNS0_4arch9wavefront6targetE0EEEvT1_
; %bb.0:
	.section	.rodata,"a",@progbits
	.p2align	6, 0x0
	.amdhsa_kernel _ZN7rocprim17ROCPRIM_400000_NS6detail17trampoline_kernelINS0_14default_configENS1_20scan_config_selectorIN3c108BFloat16EEEZZNS1_9scan_implILNS1_25lookback_scan_determinismE0ELb0ELb0ES3_PKS6_PS6_S6_ZZZN2at6native31launch_logcumsumexp_cuda_kernelERKNSD_10TensorBaseESH_lENKUlvE_clEvENKUlvE4_clEvEUlS6_S6_E_S6_EEDaPvRmT3_T4_T5_mT6_P12ihipStream_tbENKUlT_T0_E_clISt17integral_constantIbLb1EESX_IbLb0EEEEDaST_SU_EUlST_E0_NS1_11comp_targetILNS1_3genE3ELNS1_11target_archE908ELNS1_3gpuE7ELNS1_3repE0EEENS1_30default_config_static_selectorELNS0_4arch9wavefront6targetE0EEEvT1_
		.amdhsa_group_segment_fixed_size 0
		.amdhsa_private_segment_fixed_size 0
		.amdhsa_kernarg_size 32
		.amdhsa_user_sgpr_count 15
		.amdhsa_user_sgpr_dispatch_ptr 0
		.amdhsa_user_sgpr_queue_ptr 0
		.amdhsa_user_sgpr_kernarg_segment_ptr 1
		.amdhsa_user_sgpr_dispatch_id 0
		.amdhsa_user_sgpr_private_segment_size 0
		.amdhsa_wavefront_size32 1
		.amdhsa_uses_dynamic_stack 0
		.amdhsa_enable_private_segment 0
		.amdhsa_system_sgpr_workgroup_id_x 1
		.amdhsa_system_sgpr_workgroup_id_y 0
		.amdhsa_system_sgpr_workgroup_id_z 0
		.amdhsa_system_sgpr_workgroup_info 0
		.amdhsa_system_vgpr_workitem_id 0
		.amdhsa_next_free_vgpr 1
		.amdhsa_next_free_sgpr 1
		.amdhsa_reserve_vcc 0
		.amdhsa_float_round_mode_32 0
		.amdhsa_float_round_mode_16_64 0
		.amdhsa_float_denorm_mode_32 3
		.amdhsa_float_denorm_mode_16_64 3
		.amdhsa_dx10_clamp 1
		.amdhsa_ieee_mode 1
		.amdhsa_fp16_overflow 0
		.amdhsa_workgroup_processor_mode 1
		.amdhsa_memory_ordered 1
		.amdhsa_forward_progress 0
		.amdhsa_shared_vgpr_count 0
		.amdhsa_exception_fp_ieee_invalid_op 0
		.amdhsa_exception_fp_denorm_src 0
		.amdhsa_exception_fp_ieee_div_zero 0
		.amdhsa_exception_fp_ieee_overflow 0
		.amdhsa_exception_fp_ieee_underflow 0
		.amdhsa_exception_fp_ieee_inexact 0
		.amdhsa_exception_int_div_zero 0
	.end_amdhsa_kernel
	.section	.text._ZN7rocprim17ROCPRIM_400000_NS6detail17trampoline_kernelINS0_14default_configENS1_20scan_config_selectorIN3c108BFloat16EEEZZNS1_9scan_implILNS1_25lookback_scan_determinismE0ELb0ELb0ES3_PKS6_PS6_S6_ZZZN2at6native31launch_logcumsumexp_cuda_kernelERKNSD_10TensorBaseESH_lENKUlvE_clEvENKUlvE4_clEvEUlS6_S6_E_S6_EEDaPvRmT3_T4_T5_mT6_P12ihipStream_tbENKUlT_T0_E_clISt17integral_constantIbLb1EESX_IbLb0EEEEDaST_SU_EUlST_E0_NS1_11comp_targetILNS1_3genE3ELNS1_11target_archE908ELNS1_3gpuE7ELNS1_3repE0EEENS1_30default_config_static_selectorELNS0_4arch9wavefront6targetE0EEEvT1_,"axG",@progbits,_ZN7rocprim17ROCPRIM_400000_NS6detail17trampoline_kernelINS0_14default_configENS1_20scan_config_selectorIN3c108BFloat16EEEZZNS1_9scan_implILNS1_25lookback_scan_determinismE0ELb0ELb0ES3_PKS6_PS6_S6_ZZZN2at6native31launch_logcumsumexp_cuda_kernelERKNSD_10TensorBaseESH_lENKUlvE_clEvENKUlvE4_clEvEUlS6_S6_E_S6_EEDaPvRmT3_T4_T5_mT6_P12ihipStream_tbENKUlT_T0_E_clISt17integral_constantIbLb1EESX_IbLb0EEEEDaST_SU_EUlST_E0_NS1_11comp_targetILNS1_3genE3ELNS1_11target_archE908ELNS1_3gpuE7ELNS1_3repE0EEENS1_30default_config_static_selectorELNS0_4arch9wavefront6targetE0EEEvT1_,comdat
.Lfunc_end507:
	.size	_ZN7rocprim17ROCPRIM_400000_NS6detail17trampoline_kernelINS0_14default_configENS1_20scan_config_selectorIN3c108BFloat16EEEZZNS1_9scan_implILNS1_25lookback_scan_determinismE0ELb0ELb0ES3_PKS6_PS6_S6_ZZZN2at6native31launch_logcumsumexp_cuda_kernelERKNSD_10TensorBaseESH_lENKUlvE_clEvENKUlvE4_clEvEUlS6_S6_E_S6_EEDaPvRmT3_T4_T5_mT6_P12ihipStream_tbENKUlT_T0_E_clISt17integral_constantIbLb1EESX_IbLb0EEEEDaST_SU_EUlST_E0_NS1_11comp_targetILNS1_3genE3ELNS1_11target_archE908ELNS1_3gpuE7ELNS1_3repE0EEENS1_30default_config_static_selectorELNS0_4arch9wavefront6targetE0EEEvT1_, .Lfunc_end507-_ZN7rocprim17ROCPRIM_400000_NS6detail17trampoline_kernelINS0_14default_configENS1_20scan_config_selectorIN3c108BFloat16EEEZZNS1_9scan_implILNS1_25lookback_scan_determinismE0ELb0ELb0ES3_PKS6_PS6_S6_ZZZN2at6native31launch_logcumsumexp_cuda_kernelERKNSD_10TensorBaseESH_lENKUlvE_clEvENKUlvE4_clEvEUlS6_S6_E_S6_EEDaPvRmT3_T4_T5_mT6_P12ihipStream_tbENKUlT_T0_E_clISt17integral_constantIbLb1EESX_IbLb0EEEEDaST_SU_EUlST_E0_NS1_11comp_targetILNS1_3genE3ELNS1_11target_archE908ELNS1_3gpuE7ELNS1_3repE0EEENS1_30default_config_static_selectorELNS0_4arch9wavefront6targetE0EEEvT1_
                                        ; -- End function
	.section	.AMDGPU.csdata,"",@progbits
; Kernel info:
; codeLenInByte = 0
; NumSgprs: 0
; NumVgprs: 0
; ScratchSize: 0
; MemoryBound: 0
; FloatMode: 240
; IeeeMode: 1
; LDSByteSize: 0 bytes/workgroup (compile time only)
; SGPRBlocks: 0
; VGPRBlocks: 0
; NumSGPRsForWavesPerEU: 1
; NumVGPRsForWavesPerEU: 1
; Occupancy: 16
; WaveLimiterHint : 0
; COMPUTE_PGM_RSRC2:SCRATCH_EN: 0
; COMPUTE_PGM_RSRC2:USER_SGPR: 15
; COMPUTE_PGM_RSRC2:TRAP_HANDLER: 0
; COMPUTE_PGM_RSRC2:TGID_X_EN: 1
; COMPUTE_PGM_RSRC2:TGID_Y_EN: 0
; COMPUTE_PGM_RSRC2:TGID_Z_EN: 0
; COMPUTE_PGM_RSRC2:TIDIG_COMP_CNT: 0
	.section	.text._ZN7rocprim17ROCPRIM_400000_NS6detail17trampoline_kernelINS0_14default_configENS1_20scan_config_selectorIN3c108BFloat16EEEZZNS1_9scan_implILNS1_25lookback_scan_determinismE0ELb0ELb0ES3_PKS6_PS6_S6_ZZZN2at6native31launch_logcumsumexp_cuda_kernelERKNSD_10TensorBaseESH_lENKUlvE_clEvENKUlvE4_clEvEUlS6_S6_E_S6_EEDaPvRmT3_T4_T5_mT6_P12ihipStream_tbENKUlT_T0_E_clISt17integral_constantIbLb1EESX_IbLb0EEEEDaST_SU_EUlST_E0_NS1_11comp_targetILNS1_3genE2ELNS1_11target_archE906ELNS1_3gpuE6ELNS1_3repE0EEENS1_30default_config_static_selectorELNS0_4arch9wavefront6targetE0EEEvT1_,"axG",@progbits,_ZN7rocprim17ROCPRIM_400000_NS6detail17trampoline_kernelINS0_14default_configENS1_20scan_config_selectorIN3c108BFloat16EEEZZNS1_9scan_implILNS1_25lookback_scan_determinismE0ELb0ELb0ES3_PKS6_PS6_S6_ZZZN2at6native31launch_logcumsumexp_cuda_kernelERKNSD_10TensorBaseESH_lENKUlvE_clEvENKUlvE4_clEvEUlS6_S6_E_S6_EEDaPvRmT3_T4_T5_mT6_P12ihipStream_tbENKUlT_T0_E_clISt17integral_constantIbLb1EESX_IbLb0EEEEDaST_SU_EUlST_E0_NS1_11comp_targetILNS1_3genE2ELNS1_11target_archE906ELNS1_3gpuE6ELNS1_3repE0EEENS1_30default_config_static_selectorELNS0_4arch9wavefront6targetE0EEEvT1_,comdat
	.globl	_ZN7rocprim17ROCPRIM_400000_NS6detail17trampoline_kernelINS0_14default_configENS1_20scan_config_selectorIN3c108BFloat16EEEZZNS1_9scan_implILNS1_25lookback_scan_determinismE0ELb0ELb0ES3_PKS6_PS6_S6_ZZZN2at6native31launch_logcumsumexp_cuda_kernelERKNSD_10TensorBaseESH_lENKUlvE_clEvENKUlvE4_clEvEUlS6_S6_E_S6_EEDaPvRmT3_T4_T5_mT6_P12ihipStream_tbENKUlT_T0_E_clISt17integral_constantIbLb1EESX_IbLb0EEEEDaST_SU_EUlST_E0_NS1_11comp_targetILNS1_3genE2ELNS1_11target_archE906ELNS1_3gpuE6ELNS1_3repE0EEENS1_30default_config_static_selectorELNS0_4arch9wavefront6targetE0EEEvT1_ ; -- Begin function _ZN7rocprim17ROCPRIM_400000_NS6detail17trampoline_kernelINS0_14default_configENS1_20scan_config_selectorIN3c108BFloat16EEEZZNS1_9scan_implILNS1_25lookback_scan_determinismE0ELb0ELb0ES3_PKS6_PS6_S6_ZZZN2at6native31launch_logcumsumexp_cuda_kernelERKNSD_10TensorBaseESH_lENKUlvE_clEvENKUlvE4_clEvEUlS6_S6_E_S6_EEDaPvRmT3_T4_T5_mT6_P12ihipStream_tbENKUlT_T0_E_clISt17integral_constantIbLb1EESX_IbLb0EEEEDaST_SU_EUlST_E0_NS1_11comp_targetILNS1_3genE2ELNS1_11target_archE906ELNS1_3gpuE6ELNS1_3repE0EEENS1_30default_config_static_selectorELNS0_4arch9wavefront6targetE0EEEvT1_
	.p2align	8
	.type	_ZN7rocprim17ROCPRIM_400000_NS6detail17trampoline_kernelINS0_14default_configENS1_20scan_config_selectorIN3c108BFloat16EEEZZNS1_9scan_implILNS1_25lookback_scan_determinismE0ELb0ELb0ES3_PKS6_PS6_S6_ZZZN2at6native31launch_logcumsumexp_cuda_kernelERKNSD_10TensorBaseESH_lENKUlvE_clEvENKUlvE4_clEvEUlS6_S6_E_S6_EEDaPvRmT3_T4_T5_mT6_P12ihipStream_tbENKUlT_T0_E_clISt17integral_constantIbLb1EESX_IbLb0EEEEDaST_SU_EUlST_E0_NS1_11comp_targetILNS1_3genE2ELNS1_11target_archE906ELNS1_3gpuE6ELNS1_3repE0EEENS1_30default_config_static_selectorELNS0_4arch9wavefront6targetE0EEEvT1_,@function
_ZN7rocprim17ROCPRIM_400000_NS6detail17trampoline_kernelINS0_14default_configENS1_20scan_config_selectorIN3c108BFloat16EEEZZNS1_9scan_implILNS1_25lookback_scan_determinismE0ELb0ELb0ES3_PKS6_PS6_S6_ZZZN2at6native31launch_logcumsumexp_cuda_kernelERKNSD_10TensorBaseESH_lENKUlvE_clEvENKUlvE4_clEvEUlS6_S6_E_S6_EEDaPvRmT3_T4_T5_mT6_P12ihipStream_tbENKUlT_T0_E_clISt17integral_constantIbLb1EESX_IbLb0EEEEDaST_SU_EUlST_E0_NS1_11comp_targetILNS1_3genE2ELNS1_11target_archE906ELNS1_3gpuE6ELNS1_3repE0EEENS1_30default_config_static_selectorELNS0_4arch9wavefront6targetE0EEEvT1_: ; @_ZN7rocprim17ROCPRIM_400000_NS6detail17trampoline_kernelINS0_14default_configENS1_20scan_config_selectorIN3c108BFloat16EEEZZNS1_9scan_implILNS1_25lookback_scan_determinismE0ELb0ELb0ES3_PKS6_PS6_S6_ZZZN2at6native31launch_logcumsumexp_cuda_kernelERKNSD_10TensorBaseESH_lENKUlvE_clEvENKUlvE4_clEvEUlS6_S6_E_S6_EEDaPvRmT3_T4_T5_mT6_P12ihipStream_tbENKUlT_T0_E_clISt17integral_constantIbLb1EESX_IbLb0EEEEDaST_SU_EUlST_E0_NS1_11comp_targetILNS1_3genE2ELNS1_11target_archE906ELNS1_3gpuE6ELNS1_3repE0EEENS1_30default_config_static_selectorELNS0_4arch9wavefront6targetE0EEEvT1_
; %bb.0:
	.section	.rodata,"a",@progbits
	.p2align	6, 0x0
	.amdhsa_kernel _ZN7rocprim17ROCPRIM_400000_NS6detail17trampoline_kernelINS0_14default_configENS1_20scan_config_selectorIN3c108BFloat16EEEZZNS1_9scan_implILNS1_25lookback_scan_determinismE0ELb0ELb0ES3_PKS6_PS6_S6_ZZZN2at6native31launch_logcumsumexp_cuda_kernelERKNSD_10TensorBaseESH_lENKUlvE_clEvENKUlvE4_clEvEUlS6_S6_E_S6_EEDaPvRmT3_T4_T5_mT6_P12ihipStream_tbENKUlT_T0_E_clISt17integral_constantIbLb1EESX_IbLb0EEEEDaST_SU_EUlST_E0_NS1_11comp_targetILNS1_3genE2ELNS1_11target_archE906ELNS1_3gpuE6ELNS1_3repE0EEENS1_30default_config_static_selectorELNS0_4arch9wavefront6targetE0EEEvT1_
		.amdhsa_group_segment_fixed_size 0
		.amdhsa_private_segment_fixed_size 0
		.amdhsa_kernarg_size 32
		.amdhsa_user_sgpr_count 15
		.amdhsa_user_sgpr_dispatch_ptr 0
		.amdhsa_user_sgpr_queue_ptr 0
		.amdhsa_user_sgpr_kernarg_segment_ptr 1
		.amdhsa_user_sgpr_dispatch_id 0
		.amdhsa_user_sgpr_private_segment_size 0
		.amdhsa_wavefront_size32 1
		.amdhsa_uses_dynamic_stack 0
		.amdhsa_enable_private_segment 0
		.amdhsa_system_sgpr_workgroup_id_x 1
		.amdhsa_system_sgpr_workgroup_id_y 0
		.amdhsa_system_sgpr_workgroup_id_z 0
		.amdhsa_system_sgpr_workgroup_info 0
		.amdhsa_system_vgpr_workitem_id 0
		.amdhsa_next_free_vgpr 1
		.amdhsa_next_free_sgpr 1
		.amdhsa_reserve_vcc 0
		.amdhsa_float_round_mode_32 0
		.amdhsa_float_round_mode_16_64 0
		.amdhsa_float_denorm_mode_32 3
		.amdhsa_float_denorm_mode_16_64 3
		.amdhsa_dx10_clamp 1
		.amdhsa_ieee_mode 1
		.amdhsa_fp16_overflow 0
		.amdhsa_workgroup_processor_mode 1
		.amdhsa_memory_ordered 1
		.amdhsa_forward_progress 0
		.amdhsa_shared_vgpr_count 0
		.amdhsa_exception_fp_ieee_invalid_op 0
		.amdhsa_exception_fp_denorm_src 0
		.amdhsa_exception_fp_ieee_div_zero 0
		.amdhsa_exception_fp_ieee_overflow 0
		.amdhsa_exception_fp_ieee_underflow 0
		.amdhsa_exception_fp_ieee_inexact 0
		.amdhsa_exception_int_div_zero 0
	.end_amdhsa_kernel
	.section	.text._ZN7rocprim17ROCPRIM_400000_NS6detail17trampoline_kernelINS0_14default_configENS1_20scan_config_selectorIN3c108BFloat16EEEZZNS1_9scan_implILNS1_25lookback_scan_determinismE0ELb0ELb0ES3_PKS6_PS6_S6_ZZZN2at6native31launch_logcumsumexp_cuda_kernelERKNSD_10TensorBaseESH_lENKUlvE_clEvENKUlvE4_clEvEUlS6_S6_E_S6_EEDaPvRmT3_T4_T5_mT6_P12ihipStream_tbENKUlT_T0_E_clISt17integral_constantIbLb1EESX_IbLb0EEEEDaST_SU_EUlST_E0_NS1_11comp_targetILNS1_3genE2ELNS1_11target_archE906ELNS1_3gpuE6ELNS1_3repE0EEENS1_30default_config_static_selectorELNS0_4arch9wavefront6targetE0EEEvT1_,"axG",@progbits,_ZN7rocprim17ROCPRIM_400000_NS6detail17trampoline_kernelINS0_14default_configENS1_20scan_config_selectorIN3c108BFloat16EEEZZNS1_9scan_implILNS1_25lookback_scan_determinismE0ELb0ELb0ES3_PKS6_PS6_S6_ZZZN2at6native31launch_logcumsumexp_cuda_kernelERKNSD_10TensorBaseESH_lENKUlvE_clEvENKUlvE4_clEvEUlS6_S6_E_S6_EEDaPvRmT3_T4_T5_mT6_P12ihipStream_tbENKUlT_T0_E_clISt17integral_constantIbLb1EESX_IbLb0EEEEDaST_SU_EUlST_E0_NS1_11comp_targetILNS1_3genE2ELNS1_11target_archE906ELNS1_3gpuE6ELNS1_3repE0EEENS1_30default_config_static_selectorELNS0_4arch9wavefront6targetE0EEEvT1_,comdat
.Lfunc_end508:
	.size	_ZN7rocprim17ROCPRIM_400000_NS6detail17trampoline_kernelINS0_14default_configENS1_20scan_config_selectorIN3c108BFloat16EEEZZNS1_9scan_implILNS1_25lookback_scan_determinismE0ELb0ELb0ES3_PKS6_PS6_S6_ZZZN2at6native31launch_logcumsumexp_cuda_kernelERKNSD_10TensorBaseESH_lENKUlvE_clEvENKUlvE4_clEvEUlS6_S6_E_S6_EEDaPvRmT3_T4_T5_mT6_P12ihipStream_tbENKUlT_T0_E_clISt17integral_constantIbLb1EESX_IbLb0EEEEDaST_SU_EUlST_E0_NS1_11comp_targetILNS1_3genE2ELNS1_11target_archE906ELNS1_3gpuE6ELNS1_3repE0EEENS1_30default_config_static_selectorELNS0_4arch9wavefront6targetE0EEEvT1_, .Lfunc_end508-_ZN7rocprim17ROCPRIM_400000_NS6detail17trampoline_kernelINS0_14default_configENS1_20scan_config_selectorIN3c108BFloat16EEEZZNS1_9scan_implILNS1_25lookback_scan_determinismE0ELb0ELb0ES3_PKS6_PS6_S6_ZZZN2at6native31launch_logcumsumexp_cuda_kernelERKNSD_10TensorBaseESH_lENKUlvE_clEvENKUlvE4_clEvEUlS6_S6_E_S6_EEDaPvRmT3_T4_T5_mT6_P12ihipStream_tbENKUlT_T0_E_clISt17integral_constantIbLb1EESX_IbLb0EEEEDaST_SU_EUlST_E0_NS1_11comp_targetILNS1_3genE2ELNS1_11target_archE906ELNS1_3gpuE6ELNS1_3repE0EEENS1_30default_config_static_selectorELNS0_4arch9wavefront6targetE0EEEvT1_
                                        ; -- End function
	.section	.AMDGPU.csdata,"",@progbits
; Kernel info:
; codeLenInByte = 0
; NumSgprs: 0
; NumVgprs: 0
; ScratchSize: 0
; MemoryBound: 0
; FloatMode: 240
; IeeeMode: 1
; LDSByteSize: 0 bytes/workgroup (compile time only)
; SGPRBlocks: 0
; VGPRBlocks: 0
; NumSGPRsForWavesPerEU: 1
; NumVGPRsForWavesPerEU: 1
; Occupancy: 16
; WaveLimiterHint : 0
; COMPUTE_PGM_RSRC2:SCRATCH_EN: 0
; COMPUTE_PGM_RSRC2:USER_SGPR: 15
; COMPUTE_PGM_RSRC2:TRAP_HANDLER: 0
; COMPUTE_PGM_RSRC2:TGID_X_EN: 1
; COMPUTE_PGM_RSRC2:TGID_Y_EN: 0
; COMPUTE_PGM_RSRC2:TGID_Z_EN: 0
; COMPUTE_PGM_RSRC2:TIDIG_COMP_CNT: 0
	.section	.text._ZN7rocprim17ROCPRIM_400000_NS6detail17trampoline_kernelINS0_14default_configENS1_20scan_config_selectorIN3c108BFloat16EEEZZNS1_9scan_implILNS1_25lookback_scan_determinismE0ELb0ELb0ES3_PKS6_PS6_S6_ZZZN2at6native31launch_logcumsumexp_cuda_kernelERKNSD_10TensorBaseESH_lENKUlvE_clEvENKUlvE4_clEvEUlS6_S6_E_S6_EEDaPvRmT3_T4_T5_mT6_P12ihipStream_tbENKUlT_T0_E_clISt17integral_constantIbLb1EESX_IbLb0EEEEDaST_SU_EUlST_E0_NS1_11comp_targetILNS1_3genE10ELNS1_11target_archE1201ELNS1_3gpuE5ELNS1_3repE0EEENS1_30default_config_static_selectorELNS0_4arch9wavefront6targetE0EEEvT1_,"axG",@progbits,_ZN7rocprim17ROCPRIM_400000_NS6detail17trampoline_kernelINS0_14default_configENS1_20scan_config_selectorIN3c108BFloat16EEEZZNS1_9scan_implILNS1_25lookback_scan_determinismE0ELb0ELb0ES3_PKS6_PS6_S6_ZZZN2at6native31launch_logcumsumexp_cuda_kernelERKNSD_10TensorBaseESH_lENKUlvE_clEvENKUlvE4_clEvEUlS6_S6_E_S6_EEDaPvRmT3_T4_T5_mT6_P12ihipStream_tbENKUlT_T0_E_clISt17integral_constantIbLb1EESX_IbLb0EEEEDaST_SU_EUlST_E0_NS1_11comp_targetILNS1_3genE10ELNS1_11target_archE1201ELNS1_3gpuE5ELNS1_3repE0EEENS1_30default_config_static_selectorELNS0_4arch9wavefront6targetE0EEEvT1_,comdat
	.globl	_ZN7rocprim17ROCPRIM_400000_NS6detail17trampoline_kernelINS0_14default_configENS1_20scan_config_selectorIN3c108BFloat16EEEZZNS1_9scan_implILNS1_25lookback_scan_determinismE0ELb0ELb0ES3_PKS6_PS6_S6_ZZZN2at6native31launch_logcumsumexp_cuda_kernelERKNSD_10TensorBaseESH_lENKUlvE_clEvENKUlvE4_clEvEUlS6_S6_E_S6_EEDaPvRmT3_T4_T5_mT6_P12ihipStream_tbENKUlT_T0_E_clISt17integral_constantIbLb1EESX_IbLb0EEEEDaST_SU_EUlST_E0_NS1_11comp_targetILNS1_3genE10ELNS1_11target_archE1201ELNS1_3gpuE5ELNS1_3repE0EEENS1_30default_config_static_selectorELNS0_4arch9wavefront6targetE0EEEvT1_ ; -- Begin function _ZN7rocprim17ROCPRIM_400000_NS6detail17trampoline_kernelINS0_14default_configENS1_20scan_config_selectorIN3c108BFloat16EEEZZNS1_9scan_implILNS1_25lookback_scan_determinismE0ELb0ELb0ES3_PKS6_PS6_S6_ZZZN2at6native31launch_logcumsumexp_cuda_kernelERKNSD_10TensorBaseESH_lENKUlvE_clEvENKUlvE4_clEvEUlS6_S6_E_S6_EEDaPvRmT3_T4_T5_mT6_P12ihipStream_tbENKUlT_T0_E_clISt17integral_constantIbLb1EESX_IbLb0EEEEDaST_SU_EUlST_E0_NS1_11comp_targetILNS1_3genE10ELNS1_11target_archE1201ELNS1_3gpuE5ELNS1_3repE0EEENS1_30default_config_static_selectorELNS0_4arch9wavefront6targetE0EEEvT1_
	.p2align	8
	.type	_ZN7rocprim17ROCPRIM_400000_NS6detail17trampoline_kernelINS0_14default_configENS1_20scan_config_selectorIN3c108BFloat16EEEZZNS1_9scan_implILNS1_25lookback_scan_determinismE0ELb0ELb0ES3_PKS6_PS6_S6_ZZZN2at6native31launch_logcumsumexp_cuda_kernelERKNSD_10TensorBaseESH_lENKUlvE_clEvENKUlvE4_clEvEUlS6_S6_E_S6_EEDaPvRmT3_T4_T5_mT6_P12ihipStream_tbENKUlT_T0_E_clISt17integral_constantIbLb1EESX_IbLb0EEEEDaST_SU_EUlST_E0_NS1_11comp_targetILNS1_3genE10ELNS1_11target_archE1201ELNS1_3gpuE5ELNS1_3repE0EEENS1_30default_config_static_selectorELNS0_4arch9wavefront6targetE0EEEvT1_,@function
_ZN7rocprim17ROCPRIM_400000_NS6detail17trampoline_kernelINS0_14default_configENS1_20scan_config_selectorIN3c108BFloat16EEEZZNS1_9scan_implILNS1_25lookback_scan_determinismE0ELb0ELb0ES3_PKS6_PS6_S6_ZZZN2at6native31launch_logcumsumexp_cuda_kernelERKNSD_10TensorBaseESH_lENKUlvE_clEvENKUlvE4_clEvEUlS6_S6_E_S6_EEDaPvRmT3_T4_T5_mT6_P12ihipStream_tbENKUlT_T0_E_clISt17integral_constantIbLb1EESX_IbLb0EEEEDaST_SU_EUlST_E0_NS1_11comp_targetILNS1_3genE10ELNS1_11target_archE1201ELNS1_3gpuE5ELNS1_3repE0EEENS1_30default_config_static_selectorELNS0_4arch9wavefront6targetE0EEEvT1_: ; @_ZN7rocprim17ROCPRIM_400000_NS6detail17trampoline_kernelINS0_14default_configENS1_20scan_config_selectorIN3c108BFloat16EEEZZNS1_9scan_implILNS1_25lookback_scan_determinismE0ELb0ELb0ES3_PKS6_PS6_S6_ZZZN2at6native31launch_logcumsumexp_cuda_kernelERKNSD_10TensorBaseESH_lENKUlvE_clEvENKUlvE4_clEvEUlS6_S6_E_S6_EEDaPvRmT3_T4_T5_mT6_P12ihipStream_tbENKUlT_T0_E_clISt17integral_constantIbLb1EESX_IbLb0EEEEDaST_SU_EUlST_E0_NS1_11comp_targetILNS1_3genE10ELNS1_11target_archE1201ELNS1_3gpuE5ELNS1_3repE0EEENS1_30default_config_static_selectorELNS0_4arch9wavefront6targetE0EEEvT1_
; %bb.0:
	.section	.rodata,"a",@progbits
	.p2align	6, 0x0
	.amdhsa_kernel _ZN7rocprim17ROCPRIM_400000_NS6detail17trampoline_kernelINS0_14default_configENS1_20scan_config_selectorIN3c108BFloat16EEEZZNS1_9scan_implILNS1_25lookback_scan_determinismE0ELb0ELb0ES3_PKS6_PS6_S6_ZZZN2at6native31launch_logcumsumexp_cuda_kernelERKNSD_10TensorBaseESH_lENKUlvE_clEvENKUlvE4_clEvEUlS6_S6_E_S6_EEDaPvRmT3_T4_T5_mT6_P12ihipStream_tbENKUlT_T0_E_clISt17integral_constantIbLb1EESX_IbLb0EEEEDaST_SU_EUlST_E0_NS1_11comp_targetILNS1_3genE10ELNS1_11target_archE1201ELNS1_3gpuE5ELNS1_3repE0EEENS1_30default_config_static_selectorELNS0_4arch9wavefront6targetE0EEEvT1_
		.amdhsa_group_segment_fixed_size 0
		.amdhsa_private_segment_fixed_size 0
		.amdhsa_kernarg_size 32
		.amdhsa_user_sgpr_count 15
		.amdhsa_user_sgpr_dispatch_ptr 0
		.amdhsa_user_sgpr_queue_ptr 0
		.amdhsa_user_sgpr_kernarg_segment_ptr 1
		.amdhsa_user_sgpr_dispatch_id 0
		.amdhsa_user_sgpr_private_segment_size 0
		.amdhsa_wavefront_size32 1
		.amdhsa_uses_dynamic_stack 0
		.amdhsa_enable_private_segment 0
		.amdhsa_system_sgpr_workgroup_id_x 1
		.amdhsa_system_sgpr_workgroup_id_y 0
		.amdhsa_system_sgpr_workgroup_id_z 0
		.amdhsa_system_sgpr_workgroup_info 0
		.amdhsa_system_vgpr_workitem_id 0
		.amdhsa_next_free_vgpr 1
		.amdhsa_next_free_sgpr 1
		.amdhsa_reserve_vcc 0
		.amdhsa_float_round_mode_32 0
		.amdhsa_float_round_mode_16_64 0
		.amdhsa_float_denorm_mode_32 3
		.amdhsa_float_denorm_mode_16_64 3
		.amdhsa_dx10_clamp 1
		.amdhsa_ieee_mode 1
		.amdhsa_fp16_overflow 0
		.amdhsa_workgroup_processor_mode 1
		.amdhsa_memory_ordered 1
		.amdhsa_forward_progress 0
		.amdhsa_shared_vgpr_count 0
		.amdhsa_exception_fp_ieee_invalid_op 0
		.amdhsa_exception_fp_denorm_src 0
		.amdhsa_exception_fp_ieee_div_zero 0
		.amdhsa_exception_fp_ieee_overflow 0
		.amdhsa_exception_fp_ieee_underflow 0
		.amdhsa_exception_fp_ieee_inexact 0
		.amdhsa_exception_int_div_zero 0
	.end_amdhsa_kernel
	.section	.text._ZN7rocprim17ROCPRIM_400000_NS6detail17trampoline_kernelINS0_14default_configENS1_20scan_config_selectorIN3c108BFloat16EEEZZNS1_9scan_implILNS1_25lookback_scan_determinismE0ELb0ELb0ES3_PKS6_PS6_S6_ZZZN2at6native31launch_logcumsumexp_cuda_kernelERKNSD_10TensorBaseESH_lENKUlvE_clEvENKUlvE4_clEvEUlS6_S6_E_S6_EEDaPvRmT3_T4_T5_mT6_P12ihipStream_tbENKUlT_T0_E_clISt17integral_constantIbLb1EESX_IbLb0EEEEDaST_SU_EUlST_E0_NS1_11comp_targetILNS1_3genE10ELNS1_11target_archE1201ELNS1_3gpuE5ELNS1_3repE0EEENS1_30default_config_static_selectorELNS0_4arch9wavefront6targetE0EEEvT1_,"axG",@progbits,_ZN7rocprim17ROCPRIM_400000_NS6detail17trampoline_kernelINS0_14default_configENS1_20scan_config_selectorIN3c108BFloat16EEEZZNS1_9scan_implILNS1_25lookback_scan_determinismE0ELb0ELb0ES3_PKS6_PS6_S6_ZZZN2at6native31launch_logcumsumexp_cuda_kernelERKNSD_10TensorBaseESH_lENKUlvE_clEvENKUlvE4_clEvEUlS6_S6_E_S6_EEDaPvRmT3_T4_T5_mT6_P12ihipStream_tbENKUlT_T0_E_clISt17integral_constantIbLb1EESX_IbLb0EEEEDaST_SU_EUlST_E0_NS1_11comp_targetILNS1_3genE10ELNS1_11target_archE1201ELNS1_3gpuE5ELNS1_3repE0EEENS1_30default_config_static_selectorELNS0_4arch9wavefront6targetE0EEEvT1_,comdat
.Lfunc_end509:
	.size	_ZN7rocprim17ROCPRIM_400000_NS6detail17trampoline_kernelINS0_14default_configENS1_20scan_config_selectorIN3c108BFloat16EEEZZNS1_9scan_implILNS1_25lookback_scan_determinismE0ELb0ELb0ES3_PKS6_PS6_S6_ZZZN2at6native31launch_logcumsumexp_cuda_kernelERKNSD_10TensorBaseESH_lENKUlvE_clEvENKUlvE4_clEvEUlS6_S6_E_S6_EEDaPvRmT3_T4_T5_mT6_P12ihipStream_tbENKUlT_T0_E_clISt17integral_constantIbLb1EESX_IbLb0EEEEDaST_SU_EUlST_E0_NS1_11comp_targetILNS1_3genE10ELNS1_11target_archE1201ELNS1_3gpuE5ELNS1_3repE0EEENS1_30default_config_static_selectorELNS0_4arch9wavefront6targetE0EEEvT1_, .Lfunc_end509-_ZN7rocprim17ROCPRIM_400000_NS6detail17trampoline_kernelINS0_14default_configENS1_20scan_config_selectorIN3c108BFloat16EEEZZNS1_9scan_implILNS1_25lookback_scan_determinismE0ELb0ELb0ES3_PKS6_PS6_S6_ZZZN2at6native31launch_logcumsumexp_cuda_kernelERKNSD_10TensorBaseESH_lENKUlvE_clEvENKUlvE4_clEvEUlS6_S6_E_S6_EEDaPvRmT3_T4_T5_mT6_P12ihipStream_tbENKUlT_T0_E_clISt17integral_constantIbLb1EESX_IbLb0EEEEDaST_SU_EUlST_E0_NS1_11comp_targetILNS1_3genE10ELNS1_11target_archE1201ELNS1_3gpuE5ELNS1_3repE0EEENS1_30default_config_static_selectorELNS0_4arch9wavefront6targetE0EEEvT1_
                                        ; -- End function
	.section	.AMDGPU.csdata,"",@progbits
; Kernel info:
; codeLenInByte = 0
; NumSgprs: 0
; NumVgprs: 0
; ScratchSize: 0
; MemoryBound: 0
; FloatMode: 240
; IeeeMode: 1
; LDSByteSize: 0 bytes/workgroup (compile time only)
; SGPRBlocks: 0
; VGPRBlocks: 0
; NumSGPRsForWavesPerEU: 1
; NumVGPRsForWavesPerEU: 1
; Occupancy: 16
; WaveLimiterHint : 0
; COMPUTE_PGM_RSRC2:SCRATCH_EN: 0
; COMPUTE_PGM_RSRC2:USER_SGPR: 15
; COMPUTE_PGM_RSRC2:TRAP_HANDLER: 0
; COMPUTE_PGM_RSRC2:TGID_X_EN: 1
; COMPUTE_PGM_RSRC2:TGID_Y_EN: 0
; COMPUTE_PGM_RSRC2:TGID_Z_EN: 0
; COMPUTE_PGM_RSRC2:TIDIG_COMP_CNT: 0
	.section	.text._ZN7rocprim17ROCPRIM_400000_NS6detail17trampoline_kernelINS0_14default_configENS1_20scan_config_selectorIN3c108BFloat16EEEZZNS1_9scan_implILNS1_25lookback_scan_determinismE0ELb0ELb0ES3_PKS6_PS6_S6_ZZZN2at6native31launch_logcumsumexp_cuda_kernelERKNSD_10TensorBaseESH_lENKUlvE_clEvENKUlvE4_clEvEUlS6_S6_E_S6_EEDaPvRmT3_T4_T5_mT6_P12ihipStream_tbENKUlT_T0_E_clISt17integral_constantIbLb1EESX_IbLb0EEEEDaST_SU_EUlST_E0_NS1_11comp_targetILNS1_3genE10ELNS1_11target_archE1200ELNS1_3gpuE4ELNS1_3repE0EEENS1_30default_config_static_selectorELNS0_4arch9wavefront6targetE0EEEvT1_,"axG",@progbits,_ZN7rocprim17ROCPRIM_400000_NS6detail17trampoline_kernelINS0_14default_configENS1_20scan_config_selectorIN3c108BFloat16EEEZZNS1_9scan_implILNS1_25lookback_scan_determinismE0ELb0ELb0ES3_PKS6_PS6_S6_ZZZN2at6native31launch_logcumsumexp_cuda_kernelERKNSD_10TensorBaseESH_lENKUlvE_clEvENKUlvE4_clEvEUlS6_S6_E_S6_EEDaPvRmT3_T4_T5_mT6_P12ihipStream_tbENKUlT_T0_E_clISt17integral_constantIbLb1EESX_IbLb0EEEEDaST_SU_EUlST_E0_NS1_11comp_targetILNS1_3genE10ELNS1_11target_archE1200ELNS1_3gpuE4ELNS1_3repE0EEENS1_30default_config_static_selectorELNS0_4arch9wavefront6targetE0EEEvT1_,comdat
	.globl	_ZN7rocprim17ROCPRIM_400000_NS6detail17trampoline_kernelINS0_14default_configENS1_20scan_config_selectorIN3c108BFloat16EEEZZNS1_9scan_implILNS1_25lookback_scan_determinismE0ELb0ELb0ES3_PKS6_PS6_S6_ZZZN2at6native31launch_logcumsumexp_cuda_kernelERKNSD_10TensorBaseESH_lENKUlvE_clEvENKUlvE4_clEvEUlS6_S6_E_S6_EEDaPvRmT3_T4_T5_mT6_P12ihipStream_tbENKUlT_T0_E_clISt17integral_constantIbLb1EESX_IbLb0EEEEDaST_SU_EUlST_E0_NS1_11comp_targetILNS1_3genE10ELNS1_11target_archE1200ELNS1_3gpuE4ELNS1_3repE0EEENS1_30default_config_static_selectorELNS0_4arch9wavefront6targetE0EEEvT1_ ; -- Begin function _ZN7rocprim17ROCPRIM_400000_NS6detail17trampoline_kernelINS0_14default_configENS1_20scan_config_selectorIN3c108BFloat16EEEZZNS1_9scan_implILNS1_25lookback_scan_determinismE0ELb0ELb0ES3_PKS6_PS6_S6_ZZZN2at6native31launch_logcumsumexp_cuda_kernelERKNSD_10TensorBaseESH_lENKUlvE_clEvENKUlvE4_clEvEUlS6_S6_E_S6_EEDaPvRmT3_T4_T5_mT6_P12ihipStream_tbENKUlT_T0_E_clISt17integral_constantIbLb1EESX_IbLb0EEEEDaST_SU_EUlST_E0_NS1_11comp_targetILNS1_3genE10ELNS1_11target_archE1200ELNS1_3gpuE4ELNS1_3repE0EEENS1_30default_config_static_selectorELNS0_4arch9wavefront6targetE0EEEvT1_
	.p2align	8
	.type	_ZN7rocprim17ROCPRIM_400000_NS6detail17trampoline_kernelINS0_14default_configENS1_20scan_config_selectorIN3c108BFloat16EEEZZNS1_9scan_implILNS1_25lookback_scan_determinismE0ELb0ELb0ES3_PKS6_PS6_S6_ZZZN2at6native31launch_logcumsumexp_cuda_kernelERKNSD_10TensorBaseESH_lENKUlvE_clEvENKUlvE4_clEvEUlS6_S6_E_S6_EEDaPvRmT3_T4_T5_mT6_P12ihipStream_tbENKUlT_T0_E_clISt17integral_constantIbLb1EESX_IbLb0EEEEDaST_SU_EUlST_E0_NS1_11comp_targetILNS1_3genE10ELNS1_11target_archE1200ELNS1_3gpuE4ELNS1_3repE0EEENS1_30default_config_static_selectorELNS0_4arch9wavefront6targetE0EEEvT1_,@function
_ZN7rocprim17ROCPRIM_400000_NS6detail17trampoline_kernelINS0_14default_configENS1_20scan_config_selectorIN3c108BFloat16EEEZZNS1_9scan_implILNS1_25lookback_scan_determinismE0ELb0ELb0ES3_PKS6_PS6_S6_ZZZN2at6native31launch_logcumsumexp_cuda_kernelERKNSD_10TensorBaseESH_lENKUlvE_clEvENKUlvE4_clEvEUlS6_S6_E_S6_EEDaPvRmT3_T4_T5_mT6_P12ihipStream_tbENKUlT_T0_E_clISt17integral_constantIbLb1EESX_IbLb0EEEEDaST_SU_EUlST_E0_NS1_11comp_targetILNS1_3genE10ELNS1_11target_archE1200ELNS1_3gpuE4ELNS1_3repE0EEENS1_30default_config_static_selectorELNS0_4arch9wavefront6targetE0EEEvT1_: ; @_ZN7rocprim17ROCPRIM_400000_NS6detail17trampoline_kernelINS0_14default_configENS1_20scan_config_selectorIN3c108BFloat16EEEZZNS1_9scan_implILNS1_25lookback_scan_determinismE0ELb0ELb0ES3_PKS6_PS6_S6_ZZZN2at6native31launch_logcumsumexp_cuda_kernelERKNSD_10TensorBaseESH_lENKUlvE_clEvENKUlvE4_clEvEUlS6_S6_E_S6_EEDaPvRmT3_T4_T5_mT6_P12ihipStream_tbENKUlT_T0_E_clISt17integral_constantIbLb1EESX_IbLb0EEEEDaST_SU_EUlST_E0_NS1_11comp_targetILNS1_3genE10ELNS1_11target_archE1200ELNS1_3gpuE4ELNS1_3repE0EEENS1_30default_config_static_selectorELNS0_4arch9wavefront6targetE0EEEvT1_
; %bb.0:
	.section	.rodata,"a",@progbits
	.p2align	6, 0x0
	.amdhsa_kernel _ZN7rocprim17ROCPRIM_400000_NS6detail17trampoline_kernelINS0_14default_configENS1_20scan_config_selectorIN3c108BFloat16EEEZZNS1_9scan_implILNS1_25lookback_scan_determinismE0ELb0ELb0ES3_PKS6_PS6_S6_ZZZN2at6native31launch_logcumsumexp_cuda_kernelERKNSD_10TensorBaseESH_lENKUlvE_clEvENKUlvE4_clEvEUlS6_S6_E_S6_EEDaPvRmT3_T4_T5_mT6_P12ihipStream_tbENKUlT_T0_E_clISt17integral_constantIbLb1EESX_IbLb0EEEEDaST_SU_EUlST_E0_NS1_11comp_targetILNS1_3genE10ELNS1_11target_archE1200ELNS1_3gpuE4ELNS1_3repE0EEENS1_30default_config_static_selectorELNS0_4arch9wavefront6targetE0EEEvT1_
		.amdhsa_group_segment_fixed_size 0
		.amdhsa_private_segment_fixed_size 0
		.amdhsa_kernarg_size 32
		.amdhsa_user_sgpr_count 15
		.amdhsa_user_sgpr_dispatch_ptr 0
		.amdhsa_user_sgpr_queue_ptr 0
		.amdhsa_user_sgpr_kernarg_segment_ptr 1
		.amdhsa_user_sgpr_dispatch_id 0
		.amdhsa_user_sgpr_private_segment_size 0
		.amdhsa_wavefront_size32 1
		.amdhsa_uses_dynamic_stack 0
		.amdhsa_enable_private_segment 0
		.amdhsa_system_sgpr_workgroup_id_x 1
		.amdhsa_system_sgpr_workgroup_id_y 0
		.amdhsa_system_sgpr_workgroup_id_z 0
		.amdhsa_system_sgpr_workgroup_info 0
		.amdhsa_system_vgpr_workitem_id 0
		.amdhsa_next_free_vgpr 1
		.amdhsa_next_free_sgpr 1
		.amdhsa_reserve_vcc 0
		.amdhsa_float_round_mode_32 0
		.amdhsa_float_round_mode_16_64 0
		.amdhsa_float_denorm_mode_32 3
		.amdhsa_float_denorm_mode_16_64 3
		.amdhsa_dx10_clamp 1
		.amdhsa_ieee_mode 1
		.amdhsa_fp16_overflow 0
		.amdhsa_workgroup_processor_mode 1
		.amdhsa_memory_ordered 1
		.amdhsa_forward_progress 0
		.amdhsa_shared_vgpr_count 0
		.amdhsa_exception_fp_ieee_invalid_op 0
		.amdhsa_exception_fp_denorm_src 0
		.amdhsa_exception_fp_ieee_div_zero 0
		.amdhsa_exception_fp_ieee_overflow 0
		.amdhsa_exception_fp_ieee_underflow 0
		.amdhsa_exception_fp_ieee_inexact 0
		.amdhsa_exception_int_div_zero 0
	.end_amdhsa_kernel
	.section	.text._ZN7rocprim17ROCPRIM_400000_NS6detail17trampoline_kernelINS0_14default_configENS1_20scan_config_selectorIN3c108BFloat16EEEZZNS1_9scan_implILNS1_25lookback_scan_determinismE0ELb0ELb0ES3_PKS6_PS6_S6_ZZZN2at6native31launch_logcumsumexp_cuda_kernelERKNSD_10TensorBaseESH_lENKUlvE_clEvENKUlvE4_clEvEUlS6_S6_E_S6_EEDaPvRmT3_T4_T5_mT6_P12ihipStream_tbENKUlT_T0_E_clISt17integral_constantIbLb1EESX_IbLb0EEEEDaST_SU_EUlST_E0_NS1_11comp_targetILNS1_3genE10ELNS1_11target_archE1200ELNS1_3gpuE4ELNS1_3repE0EEENS1_30default_config_static_selectorELNS0_4arch9wavefront6targetE0EEEvT1_,"axG",@progbits,_ZN7rocprim17ROCPRIM_400000_NS6detail17trampoline_kernelINS0_14default_configENS1_20scan_config_selectorIN3c108BFloat16EEEZZNS1_9scan_implILNS1_25lookback_scan_determinismE0ELb0ELb0ES3_PKS6_PS6_S6_ZZZN2at6native31launch_logcumsumexp_cuda_kernelERKNSD_10TensorBaseESH_lENKUlvE_clEvENKUlvE4_clEvEUlS6_S6_E_S6_EEDaPvRmT3_T4_T5_mT6_P12ihipStream_tbENKUlT_T0_E_clISt17integral_constantIbLb1EESX_IbLb0EEEEDaST_SU_EUlST_E0_NS1_11comp_targetILNS1_3genE10ELNS1_11target_archE1200ELNS1_3gpuE4ELNS1_3repE0EEENS1_30default_config_static_selectorELNS0_4arch9wavefront6targetE0EEEvT1_,comdat
.Lfunc_end510:
	.size	_ZN7rocprim17ROCPRIM_400000_NS6detail17trampoline_kernelINS0_14default_configENS1_20scan_config_selectorIN3c108BFloat16EEEZZNS1_9scan_implILNS1_25lookback_scan_determinismE0ELb0ELb0ES3_PKS6_PS6_S6_ZZZN2at6native31launch_logcumsumexp_cuda_kernelERKNSD_10TensorBaseESH_lENKUlvE_clEvENKUlvE4_clEvEUlS6_S6_E_S6_EEDaPvRmT3_T4_T5_mT6_P12ihipStream_tbENKUlT_T0_E_clISt17integral_constantIbLb1EESX_IbLb0EEEEDaST_SU_EUlST_E0_NS1_11comp_targetILNS1_3genE10ELNS1_11target_archE1200ELNS1_3gpuE4ELNS1_3repE0EEENS1_30default_config_static_selectorELNS0_4arch9wavefront6targetE0EEEvT1_, .Lfunc_end510-_ZN7rocprim17ROCPRIM_400000_NS6detail17trampoline_kernelINS0_14default_configENS1_20scan_config_selectorIN3c108BFloat16EEEZZNS1_9scan_implILNS1_25lookback_scan_determinismE0ELb0ELb0ES3_PKS6_PS6_S6_ZZZN2at6native31launch_logcumsumexp_cuda_kernelERKNSD_10TensorBaseESH_lENKUlvE_clEvENKUlvE4_clEvEUlS6_S6_E_S6_EEDaPvRmT3_T4_T5_mT6_P12ihipStream_tbENKUlT_T0_E_clISt17integral_constantIbLb1EESX_IbLb0EEEEDaST_SU_EUlST_E0_NS1_11comp_targetILNS1_3genE10ELNS1_11target_archE1200ELNS1_3gpuE4ELNS1_3repE0EEENS1_30default_config_static_selectorELNS0_4arch9wavefront6targetE0EEEvT1_
                                        ; -- End function
	.section	.AMDGPU.csdata,"",@progbits
; Kernel info:
; codeLenInByte = 0
; NumSgprs: 0
; NumVgprs: 0
; ScratchSize: 0
; MemoryBound: 0
; FloatMode: 240
; IeeeMode: 1
; LDSByteSize: 0 bytes/workgroup (compile time only)
; SGPRBlocks: 0
; VGPRBlocks: 0
; NumSGPRsForWavesPerEU: 1
; NumVGPRsForWavesPerEU: 1
; Occupancy: 16
; WaveLimiterHint : 0
; COMPUTE_PGM_RSRC2:SCRATCH_EN: 0
; COMPUTE_PGM_RSRC2:USER_SGPR: 15
; COMPUTE_PGM_RSRC2:TRAP_HANDLER: 0
; COMPUTE_PGM_RSRC2:TGID_X_EN: 1
; COMPUTE_PGM_RSRC2:TGID_Y_EN: 0
; COMPUTE_PGM_RSRC2:TGID_Z_EN: 0
; COMPUTE_PGM_RSRC2:TIDIG_COMP_CNT: 0
	.section	.text._ZN7rocprim17ROCPRIM_400000_NS6detail17trampoline_kernelINS0_14default_configENS1_20scan_config_selectorIN3c108BFloat16EEEZZNS1_9scan_implILNS1_25lookback_scan_determinismE0ELb0ELb0ES3_PKS6_PS6_S6_ZZZN2at6native31launch_logcumsumexp_cuda_kernelERKNSD_10TensorBaseESH_lENKUlvE_clEvENKUlvE4_clEvEUlS6_S6_E_S6_EEDaPvRmT3_T4_T5_mT6_P12ihipStream_tbENKUlT_T0_E_clISt17integral_constantIbLb1EESX_IbLb0EEEEDaST_SU_EUlST_E0_NS1_11comp_targetILNS1_3genE9ELNS1_11target_archE1100ELNS1_3gpuE3ELNS1_3repE0EEENS1_30default_config_static_selectorELNS0_4arch9wavefront6targetE0EEEvT1_,"axG",@progbits,_ZN7rocprim17ROCPRIM_400000_NS6detail17trampoline_kernelINS0_14default_configENS1_20scan_config_selectorIN3c108BFloat16EEEZZNS1_9scan_implILNS1_25lookback_scan_determinismE0ELb0ELb0ES3_PKS6_PS6_S6_ZZZN2at6native31launch_logcumsumexp_cuda_kernelERKNSD_10TensorBaseESH_lENKUlvE_clEvENKUlvE4_clEvEUlS6_S6_E_S6_EEDaPvRmT3_T4_T5_mT6_P12ihipStream_tbENKUlT_T0_E_clISt17integral_constantIbLb1EESX_IbLb0EEEEDaST_SU_EUlST_E0_NS1_11comp_targetILNS1_3genE9ELNS1_11target_archE1100ELNS1_3gpuE3ELNS1_3repE0EEENS1_30default_config_static_selectorELNS0_4arch9wavefront6targetE0EEEvT1_,comdat
	.globl	_ZN7rocprim17ROCPRIM_400000_NS6detail17trampoline_kernelINS0_14default_configENS1_20scan_config_selectorIN3c108BFloat16EEEZZNS1_9scan_implILNS1_25lookback_scan_determinismE0ELb0ELb0ES3_PKS6_PS6_S6_ZZZN2at6native31launch_logcumsumexp_cuda_kernelERKNSD_10TensorBaseESH_lENKUlvE_clEvENKUlvE4_clEvEUlS6_S6_E_S6_EEDaPvRmT3_T4_T5_mT6_P12ihipStream_tbENKUlT_T0_E_clISt17integral_constantIbLb1EESX_IbLb0EEEEDaST_SU_EUlST_E0_NS1_11comp_targetILNS1_3genE9ELNS1_11target_archE1100ELNS1_3gpuE3ELNS1_3repE0EEENS1_30default_config_static_selectorELNS0_4arch9wavefront6targetE0EEEvT1_ ; -- Begin function _ZN7rocprim17ROCPRIM_400000_NS6detail17trampoline_kernelINS0_14default_configENS1_20scan_config_selectorIN3c108BFloat16EEEZZNS1_9scan_implILNS1_25lookback_scan_determinismE0ELb0ELb0ES3_PKS6_PS6_S6_ZZZN2at6native31launch_logcumsumexp_cuda_kernelERKNSD_10TensorBaseESH_lENKUlvE_clEvENKUlvE4_clEvEUlS6_S6_E_S6_EEDaPvRmT3_T4_T5_mT6_P12ihipStream_tbENKUlT_T0_E_clISt17integral_constantIbLb1EESX_IbLb0EEEEDaST_SU_EUlST_E0_NS1_11comp_targetILNS1_3genE9ELNS1_11target_archE1100ELNS1_3gpuE3ELNS1_3repE0EEENS1_30default_config_static_selectorELNS0_4arch9wavefront6targetE0EEEvT1_
	.p2align	8
	.type	_ZN7rocprim17ROCPRIM_400000_NS6detail17trampoline_kernelINS0_14default_configENS1_20scan_config_selectorIN3c108BFloat16EEEZZNS1_9scan_implILNS1_25lookback_scan_determinismE0ELb0ELb0ES3_PKS6_PS6_S6_ZZZN2at6native31launch_logcumsumexp_cuda_kernelERKNSD_10TensorBaseESH_lENKUlvE_clEvENKUlvE4_clEvEUlS6_S6_E_S6_EEDaPvRmT3_T4_T5_mT6_P12ihipStream_tbENKUlT_T0_E_clISt17integral_constantIbLb1EESX_IbLb0EEEEDaST_SU_EUlST_E0_NS1_11comp_targetILNS1_3genE9ELNS1_11target_archE1100ELNS1_3gpuE3ELNS1_3repE0EEENS1_30default_config_static_selectorELNS0_4arch9wavefront6targetE0EEEvT1_,@function
_ZN7rocprim17ROCPRIM_400000_NS6detail17trampoline_kernelINS0_14default_configENS1_20scan_config_selectorIN3c108BFloat16EEEZZNS1_9scan_implILNS1_25lookback_scan_determinismE0ELb0ELb0ES3_PKS6_PS6_S6_ZZZN2at6native31launch_logcumsumexp_cuda_kernelERKNSD_10TensorBaseESH_lENKUlvE_clEvENKUlvE4_clEvEUlS6_S6_E_S6_EEDaPvRmT3_T4_T5_mT6_P12ihipStream_tbENKUlT_T0_E_clISt17integral_constantIbLb1EESX_IbLb0EEEEDaST_SU_EUlST_E0_NS1_11comp_targetILNS1_3genE9ELNS1_11target_archE1100ELNS1_3gpuE3ELNS1_3repE0EEENS1_30default_config_static_selectorELNS0_4arch9wavefront6targetE0EEEvT1_: ; @_ZN7rocprim17ROCPRIM_400000_NS6detail17trampoline_kernelINS0_14default_configENS1_20scan_config_selectorIN3c108BFloat16EEEZZNS1_9scan_implILNS1_25lookback_scan_determinismE0ELb0ELb0ES3_PKS6_PS6_S6_ZZZN2at6native31launch_logcumsumexp_cuda_kernelERKNSD_10TensorBaseESH_lENKUlvE_clEvENKUlvE4_clEvEUlS6_S6_E_S6_EEDaPvRmT3_T4_T5_mT6_P12ihipStream_tbENKUlT_T0_E_clISt17integral_constantIbLb1EESX_IbLb0EEEEDaST_SU_EUlST_E0_NS1_11comp_targetILNS1_3genE9ELNS1_11target_archE1100ELNS1_3gpuE3ELNS1_3repE0EEENS1_30default_config_static_selectorELNS0_4arch9wavefront6targetE0EEEvT1_
; %bb.0:
	s_load_b128 s[24:27], s[0:1], 0x0
	v_dual_mov_b32 v1, 0 :: v_dual_lshlrev_b32 v12, 1, v0
	s_waitcnt lgkmcnt(0)
	global_load_u16 v2, v1, s[24:25]
	v_cmp_gt_u32_e32 vcc_lo, s26, v0
	s_waitcnt vmcnt(0)
	v_mov_b32_e32 v3, v2
	s_and_saveexec_b32 s2, vcc_lo
	s_cbranch_execz .LBB511_2
; %bb.1:
	global_load_u16 v3, v12, s[24:25]
.LBB511_2:
	s_or_b32 exec_lo, exec_lo, s2
	v_or_b32_e32 v1, 64, v0
	v_mov_b32_e32 v4, v2
	s_delay_alu instid0(VALU_DEP_2) | instskip(NEXT) | instid1(VALU_DEP_1)
	v_cmp_gt_u32_e64 s2, s26, v1
	s_and_saveexec_b32 s3, s2
	s_cbranch_execz .LBB511_4
; %bb.3:
	global_load_u16 v4, v12, s[24:25] offset:128
.LBB511_4:
	s_or_b32 exec_lo, exec_lo, s3
	v_or_b32_e32 v1, 0x80, v0
	v_mov_b32_e32 v5, v2
	s_delay_alu instid0(VALU_DEP_2) | instskip(NEXT) | instid1(VALU_DEP_1)
	v_cmp_gt_u32_e64 s3, s26, v1
	s_and_saveexec_b32 s4, s3
	s_cbranch_execz .LBB511_6
; %bb.5:
	global_load_u16 v5, v12, s[24:25] offset:256
.LBB511_6:
	s_or_b32 exec_lo, exec_lo, s4
	v_or_b32_e32 v1, 0xc0, v0
	v_mov_b32_e32 v6, v2
	s_delay_alu instid0(VALU_DEP_2) | instskip(NEXT) | instid1(VALU_DEP_1)
	v_cmp_gt_u32_e64 s4, s26, v1
	s_and_saveexec_b32 s5, s4
	s_cbranch_execz .LBB511_8
; %bb.7:
	global_load_u16 v6, v12, s[24:25] offset:384
.LBB511_8:
	s_or_b32 exec_lo, exec_lo, s5
	v_or_b32_e32 v1, 0x100, v0
	v_mov_b32_e32 v7, v2
	s_delay_alu instid0(VALU_DEP_2) | instskip(NEXT) | instid1(VALU_DEP_1)
	v_cmp_gt_u32_e64 s5, s26, v1
	s_and_saveexec_b32 s6, s5
	s_cbranch_execz .LBB511_10
; %bb.9:
	global_load_u16 v7, v12, s[24:25] offset:512
.LBB511_10:
	s_or_b32 exec_lo, exec_lo, s6
	v_or_b32_e32 v1, 0x140, v0
	v_mov_b32_e32 v8, v2
	s_delay_alu instid0(VALU_DEP_2) | instskip(NEXT) | instid1(VALU_DEP_1)
	v_cmp_gt_u32_e64 s6, s26, v1
	s_and_saveexec_b32 s7, s6
	s_cbranch_execz .LBB511_12
; %bb.11:
	global_load_u16 v8, v12, s[24:25] offset:640
.LBB511_12:
	s_or_b32 exec_lo, exec_lo, s7
	v_or_b32_e32 v1, 0x180, v0
	v_mov_b32_e32 v9, v2
	s_delay_alu instid0(VALU_DEP_2) | instskip(NEXT) | instid1(VALU_DEP_1)
	v_cmp_gt_u32_e64 s7, s26, v1
	s_and_saveexec_b32 s8, s7
	s_cbranch_execz .LBB511_14
; %bb.13:
	global_load_u16 v9, v12, s[24:25] offset:768
.LBB511_14:
	s_or_b32 exec_lo, exec_lo, s8
	v_or_b32_e32 v1, 0x1c0, v0
	v_mov_b32_e32 v10, v2
	s_delay_alu instid0(VALU_DEP_2) | instskip(NEXT) | instid1(VALU_DEP_1)
	v_cmp_gt_u32_e64 s8, s26, v1
	s_and_saveexec_b32 s9, s8
	s_cbranch_execz .LBB511_16
; %bb.15:
	global_load_u16 v10, v12, s[24:25] offset:896
.LBB511_16:
	s_or_b32 exec_lo, exec_lo, s9
	v_or_b32_e32 v1, 0x200, v0
	v_mov_b32_e32 v11, v2
	s_delay_alu instid0(VALU_DEP_2) | instskip(NEXT) | instid1(VALU_DEP_1)
	v_cmp_gt_u32_e64 s9, s26, v1
	s_and_saveexec_b32 s10, s9
	s_cbranch_execz .LBB511_18
; %bb.17:
	global_load_u16 v11, v12, s[24:25] offset:1024
.LBB511_18:
	s_or_b32 exec_lo, exec_lo, s10
	v_or_b32_e32 v1, 0x240, v0
	v_mov_b32_e32 v13, v2
	s_delay_alu instid0(VALU_DEP_2) | instskip(NEXT) | instid1(VALU_DEP_1)
	v_cmp_gt_u32_e64 s10, s26, v1
	s_and_saveexec_b32 s11, s10
	s_cbranch_execz .LBB511_20
; %bb.19:
	global_load_u16 v13, v12, s[24:25] offset:1152
.LBB511_20:
	s_or_b32 exec_lo, exec_lo, s11
	v_or_b32_e32 v1, 0x280, v0
	v_mov_b32_e32 v14, v2
	s_delay_alu instid0(VALU_DEP_2) | instskip(NEXT) | instid1(VALU_DEP_1)
	v_cmp_gt_u32_e64 s11, s26, v1
	s_and_saveexec_b32 s12, s11
	s_cbranch_execz .LBB511_22
; %bb.21:
	global_load_u16 v14, v12, s[24:25] offset:1280
.LBB511_22:
	s_or_b32 exec_lo, exec_lo, s12
	v_or_b32_e32 v1, 0x2c0, v0
	v_mov_b32_e32 v15, v2
	s_delay_alu instid0(VALU_DEP_2) | instskip(NEXT) | instid1(VALU_DEP_1)
	v_cmp_gt_u32_e64 s12, s26, v1
	s_and_saveexec_b32 s13, s12
	s_cbranch_execz .LBB511_24
; %bb.23:
	global_load_u16 v15, v12, s[24:25] offset:1408
.LBB511_24:
	s_or_b32 exec_lo, exec_lo, s13
	v_or_b32_e32 v1, 0x300, v0
	v_mov_b32_e32 v16, v2
	s_delay_alu instid0(VALU_DEP_2) | instskip(NEXT) | instid1(VALU_DEP_1)
	v_cmp_gt_u32_e64 s13, s26, v1
	s_and_saveexec_b32 s14, s13
	s_cbranch_execz .LBB511_26
; %bb.25:
	global_load_u16 v16, v12, s[24:25] offset:1536
.LBB511_26:
	s_or_b32 exec_lo, exec_lo, s14
	v_or_b32_e32 v1, 0x340, v0
	v_mov_b32_e32 v17, v2
	s_delay_alu instid0(VALU_DEP_2) | instskip(NEXT) | instid1(VALU_DEP_1)
	v_cmp_gt_u32_e64 s14, s26, v1
	s_and_saveexec_b32 s15, s14
	s_cbranch_execz .LBB511_28
; %bb.27:
	global_load_u16 v17, v12, s[24:25] offset:1664
.LBB511_28:
	s_or_b32 exec_lo, exec_lo, s15
	v_or_b32_e32 v1, 0x380, v0
	v_mov_b32_e32 v18, v2
	s_delay_alu instid0(VALU_DEP_2) | instskip(NEXT) | instid1(VALU_DEP_1)
	v_cmp_gt_u32_e64 s15, s26, v1
	s_and_saveexec_b32 s16, s15
	s_cbranch_execz .LBB511_30
; %bb.29:
	global_load_u16 v18, v12, s[24:25] offset:1792
.LBB511_30:
	s_or_b32 exec_lo, exec_lo, s16
	v_or_b32_e32 v1, 0x3c0, v0
	v_mov_b32_e32 v19, v2
	s_delay_alu instid0(VALU_DEP_2) | instskip(NEXT) | instid1(VALU_DEP_1)
	v_cmp_gt_u32_e64 s16, s26, v1
	s_and_saveexec_b32 s17, s16
	s_cbranch_execz .LBB511_32
; %bb.31:
	global_load_u16 v19, v12, s[24:25] offset:1920
.LBB511_32:
	s_or_b32 exec_lo, exec_lo, s17
	v_or_b32_e32 v1, 0x400, v0
	v_mov_b32_e32 v20, v2
	s_delay_alu instid0(VALU_DEP_2) | instskip(NEXT) | instid1(VALU_DEP_1)
	v_cmp_gt_u32_e64 s17, s26, v1
	s_and_saveexec_b32 s18, s17
	s_cbranch_execz .LBB511_34
; %bb.33:
	global_load_u16 v20, v12, s[24:25] offset:2048
.LBB511_34:
	s_or_b32 exec_lo, exec_lo, s18
	v_or_b32_e32 v1, 0x440, v0
	v_mov_b32_e32 v21, v2
	s_delay_alu instid0(VALU_DEP_2) | instskip(NEXT) | instid1(VALU_DEP_1)
	v_cmp_gt_u32_e64 s18, s26, v1
	s_and_saveexec_b32 s19, s18
	s_cbranch_execz .LBB511_36
; %bb.35:
	global_load_u16 v21, v12, s[24:25] offset:2176
.LBB511_36:
	s_or_b32 exec_lo, exec_lo, s19
	v_or_b32_e32 v1, 0x480, v0
	v_mov_b32_e32 v22, v2
	s_delay_alu instid0(VALU_DEP_2) | instskip(NEXT) | instid1(VALU_DEP_1)
	v_cmp_gt_u32_e64 s19, s26, v1
	s_and_saveexec_b32 s20, s19
	s_cbranch_execz .LBB511_38
; %bb.37:
	global_load_u16 v22, v12, s[24:25] offset:2304
.LBB511_38:
	s_or_b32 exec_lo, exec_lo, s20
	v_or_b32_e32 v1, 0x4c0, v0
	v_mov_b32_e32 v23, v2
	s_delay_alu instid0(VALU_DEP_2) | instskip(NEXT) | instid1(VALU_DEP_1)
	v_cmp_gt_u32_e64 s20, s26, v1
	s_and_saveexec_b32 s21, s20
	s_cbranch_execz .LBB511_40
; %bb.39:
	global_load_u16 v23, v12, s[24:25] offset:2432
.LBB511_40:
	s_or_b32 exec_lo, exec_lo, s21
	v_or_b32_e32 v1, 0x500, v0
	v_mov_b32_e32 v24, v2
	s_delay_alu instid0(VALU_DEP_2) | instskip(NEXT) | instid1(VALU_DEP_1)
	v_cmp_gt_u32_e64 s21, s26, v1
	s_and_saveexec_b32 s22, s21
	s_cbranch_execz .LBB511_42
; %bb.41:
	global_load_u16 v24, v12, s[24:25] offset:2560
.LBB511_42:
	s_or_b32 exec_lo, exec_lo, s22
	v_or_b32_e32 v1, 0x540, v0
	s_delay_alu instid0(VALU_DEP_1) | instskip(SKIP_1) | instid1(VALU_DEP_1)
	v_cmp_gt_u32_e64 s22, s26, v1
	v_cmp_le_u32_e64 s23, s26, v1
	s_and_saveexec_b32 s26, s23
	s_delay_alu instid0(SALU_CYCLE_1)
	s_xor_b32 s23, exec_lo, s26
; %bb.43:
	v_mov_b32_e32 v1, 0
; %bb.44:
	s_and_not1_saveexec_b32 s23, s23
	s_cbranch_execz .LBB511_46
; %bb.45:
	global_load_u16 v2, v12, s[24:25] offset:2688
	v_mov_b32_e32 v1, 0
.LBB511_46:
	s_or_b32 exec_lo, exec_lo, s23
	s_waitcnt vmcnt(0)
	ds_store_b16 v12, v3
	ds_store_b16 v12, v4 offset:128
	ds_store_b16 v12, v5 offset:256
	;; [unrolled: 1-line block ×15, first 2 shown]
	v_mad_u32_u24 v14, v0, 42, v12
	ds_store_b16 v12, v20 offset:2048
	ds_store_b16 v12, v21 offset:2176
	;; [unrolled: 1-line block ×6, first 2 shown]
	s_waitcnt lgkmcnt(0)
	s_barrier
	buffer_gl0_inv
	ds_load_2addr_b32 v[2:3], v14 offset1:1
	ds_load_2addr_b32 v[10:11], v14 offset0:2 offset1:3
	ds_load_2addr_b32 v[8:9], v14 offset0:4 offset1:5
	;; [unrolled: 1-line block ×4, first 2 shown]
	ds_load_b32 v42, v14 offset:40
	s_waitcnt lgkmcnt(0)
	s_barrier
	buffer_gl0_inv
	v_lshlrev_b32_e32 v46, 16, v2
	s_delay_alu instid0(VALU_DEP_1) | instskip(SKIP_1) | instid1(VALU_DEP_1)
	v_max_f32_e32 v49, v46, v46
	v_and_b32_e32 v13, 0xffff0000, v2
	v_max_f32_e32 v17, v13, v13
	v_cmp_u_f32_e64 s45, v46, v46
	s_delay_alu instid0(VALU_DEP_2) | instskip(SKIP_2) | instid1(VALU_DEP_3)
	v_max_f32_e32 v48, v49, v17
	v_min_f32_e32 v47, v49, v17
	v_cmp_u_f32_e64 s23, v13, v13
	v_cndmask_b32_e64 v15, v48, v46, s45
	s_delay_alu instid0(VALU_DEP_3) | instskip(NEXT) | instid1(VALU_DEP_1)
	v_cndmask_b32_e64 v14, v47, v46, s45
	v_cndmask_b32_e64 v16, v14, v13, s23
	s_delay_alu instid0(VALU_DEP_3) | instskip(SKIP_1) | instid1(VALU_DEP_3)
	v_cndmask_b32_e64 v14, v15, v13, s23
	v_mov_b32_e32 v15, v46
	v_cmp_class_f32_e64 s25, v16, 0x1f8
	s_delay_alu instid0(VALU_DEP_3) | instskip(NEXT) | instid1(VALU_DEP_1)
	v_cmp_neq_f32_e64 s24, v16, v14
	s_or_b32 s24, s24, s25
	s_delay_alu instid0(SALU_CYCLE_1)
	s_and_saveexec_b32 s25, s24
	s_cbranch_execz .LBB511_48
; %bb.47:
	v_sub_f32_e32 v15, v16, v14
	s_delay_alu instid0(VALU_DEP_1) | instskip(SKIP_1) | instid1(VALU_DEP_2)
	v_mul_f32_e32 v16, 0x3fb8aa3b, v15
	v_cmp_ngt_f32_e64 s24, 0xc2ce8ed0, v15
	v_fma_f32 v18, 0x3fb8aa3b, v15, -v16
	v_rndne_f32_e32 v19, v16
	s_delay_alu instid0(VALU_DEP_2) | instskip(NEXT) | instid1(VALU_DEP_2)
	v_fmamk_f32 v18, v15, 0x32a5705f, v18
	v_sub_f32_e32 v16, v16, v19
	s_delay_alu instid0(VALU_DEP_1) | instskip(SKIP_1) | instid1(VALU_DEP_2)
	v_add_f32_e32 v16, v16, v18
	v_cvt_i32_f32_e32 v18, v19
	v_exp_f32_e32 v16, v16
	s_waitcnt_depctr 0xfff
	v_ldexp_f32 v16, v16, v18
	s_delay_alu instid0(VALU_DEP_1) | instskip(SKIP_1) | instid1(VALU_DEP_1)
	v_cndmask_b32_e64 v16, 0, v16, s24
	v_cmp_nlt_f32_e64 s24, 0x42b17218, v15
	v_cndmask_b32_e64 v18, 0x7f800000, v16, s24
	s_delay_alu instid0(VALU_DEP_1) | instskip(SKIP_1) | instid1(VALU_DEP_2)
	v_add_f32_e32 v19, 1.0, v18
	v_cmp_gt_f32_e64 s26, 0x33800000, |v18|
	v_cvt_f64_f32_e32 v[15:16], v19
	s_delay_alu instid0(VALU_DEP_1) | instskip(SKIP_1) | instid1(VALU_DEP_1)
	v_frexp_exp_i32_f64_e32 v15, v[15:16]
	v_frexp_mant_f32_e32 v16, v19
	v_cmp_gt_f32_e64 s24, 0x3f2aaaab, v16
	v_add_f32_e32 v16, -1.0, v19
	s_delay_alu instid0(VALU_DEP_1) | instskip(NEXT) | instid1(VALU_DEP_1)
	v_sub_f32_e32 v21, v16, v19
	v_add_f32_e32 v21, 1.0, v21
	s_delay_alu instid0(VALU_DEP_4) | instskip(SKIP_1) | instid1(VALU_DEP_1)
	v_subrev_co_ci_u32_e64 v15, s24, 0, v15, s24
	s_mov_b32 s24, 0x3e9b6dac
	v_sub_nc_u32_e32 v20, 0, v15
	v_cvt_f32_i32_e32 v15, v15
	s_delay_alu instid0(VALU_DEP_2) | instskip(NEXT) | instid1(VALU_DEP_1)
	v_ldexp_f32 v19, v19, v20
	v_add_f32_e32 v22, 1.0, v19
	v_sub_f32_e32 v16, v18, v16
	s_delay_alu instid0(VALU_DEP_1) | instskip(NEXT) | instid1(VALU_DEP_1)
	v_add_f32_e32 v16, v16, v21
	v_ldexp_f32 v16, v16, v20
	v_add_f32_e32 v20, -1.0, v19
	s_delay_alu instid0(VALU_DEP_1) | instskip(SKIP_1) | instid1(VALU_DEP_1)
	v_add_f32_e32 v23, 1.0, v20
	v_add_f32_e32 v21, -1.0, v22
	v_sub_f32_e32 v21, v19, v21
	s_delay_alu instid0(VALU_DEP_3) | instskip(NEXT) | instid1(VALU_DEP_2)
	v_sub_f32_e32 v19, v19, v23
	v_add_f32_e32 v21, v16, v21
	s_delay_alu instid0(VALU_DEP_1) | instskip(NEXT) | instid1(VALU_DEP_1)
	v_dual_add_f32 v16, v16, v19 :: v_dual_add_f32 v23, v22, v21
	v_rcp_f32_e32 v19, v23
	v_sub_f32_e32 v22, v22, v23
	s_delay_alu instid0(VALU_DEP_1) | instskip(NEXT) | instid1(VALU_DEP_1)
	v_dual_add_f32 v24, v20, v16 :: v_dual_add_f32 v21, v21, v22
	v_sub_f32_e32 v20, v20, v24
	s_waitcnt_depctr 0xfff
	v_mul_f32_e32 v25, v24, v19
	v_add_f32_e32 v16, v16, v20
	s_delay_alu instid0(VALU_DEP_2) | instskip(NEXT) | instid1(VALU_DEP_1)
	v_mul_f32_e32 v26, v23, v25
	v_fma_f32 v22, v25, v23, -v26
	s_delay_alu instid0(VALU_DEP_1) | instskip(NEXT) | instid1(VALU_DEP_1)
	v_fmac_f32_e32 v22, v25, v21
	v_add_f32_e32 v27, v26, v22
	s_delay_alu instid0(VALU_DEP_1) | instskip(SKIP_1) | instid1(VALU_DEP_2)
	v_sub_f32_e32 v28, v24, v27
	v_sub_f32_e32 v20, v27, v26
	;; [unrolled: 1-line block ×3, first 2 shown]
	s_delay_alu instid0(VALU_DEP_2) | instskip(NEXT) | instid1(VALU_DEP_2)
	v_sub_f32_e32 v20, v20, v22
	v_sub_f32_e32 v24, v24, v27
	s_delay_alu instid0(VALU_DEP_1) | instskip(NEXT) | instid1(VALU_DEP_1)
	v_add_f32_e32 v16, v16, v24
	v_add_f32_e32 v16, v20, v16
	s_delay_alu instid0(VALU_DEP_1) | instskip(NEXT) | instid1(VALU_DEP_1)
	v_add_f32_e32 v20, v28, v16
	v_mul_f32_e32 v22, v19, v20
	s_delay_alu instid0(VALU_DEP_1) | instskip(NEXT) | instid1(VALU_DEP_1)
	v_mul_f32_e32 v24, v23, v22
	v_fma_f32 v23, v22, v23, -v24
	s_delay_alu instid0(VALU_DEP_1) | instskip(SKIP_1) | instid1(VALU_DEP_2)
	v_fmac_f32_e32 v23, v22, v21
	v_sub_f32_e32 v27, v28, v20
	v_add_f32_e32 v21, v24, v23
	s_delay_alu instid0(VALU_DEP_2) | instskip(NEXT) | instid1(VALU_DEP_2)
	v_add_f32_e32 v16, v16, v27
	v_sub_f32_e32 v26, v20, v21
	v_sub_f32_e32 v24, v21, v24
	s_delay_alu instid0(VALU_DEP_2) | instskip(NEXT) | instid1(VALU_DEP_1)
	v_sub_f32_e32 v20, v20, v26
	v_sub_f32_e32 v20, v20, v21
	s_delay_alu instid0(VALU_DEP_3) | instskip(NEXT) | instid1(VALU_DEP_2)
	v_sub_f32_e32 v21, v24, v23
	v_add_f32_e32 v16, v16, v20
	v_add_f32_e32 v20, v25, v22
	s_delay_alu instid0(VALU_DEP_1) | instskip(NEXT) | instid1(VALU_DEP_1)
	v_dual_add_f32 v16, v21, v16 :: v_dual_sub_f32 v21, v20, v25
	v_add_f32_e32 v16, v26, v16
	s_delay_alu instid0(VALU_DEP_1) | instskip(NEXT) | instid1(VALU_DEP_1)
	v_dual_sub_f32 v21, v22, v21 :: v_dual_mul_f32 v16, v19, v16
	v_add_f32_e32 v16, v21, v16
	s_delay_alu instid0(VALU_DEP_1) | instskip(NEXT) | instid1(VALU_DEP_1)
	v_add_f32_e32 v19, v20, v16
	v_mul_f32_e32 v21, v19, v19
	s_delay_alu instid0(VALU_DEP_1) | instskip(SKIP_2) | instid1(VALU_DEP_3)
	v_fmaak_f32 v22, s24, v21, 0x3ecc95a3
	v_mul_f32_e32 v23, v19, v21
	v_cmp_eq_f32_e64 s24, 0x7f800000, v18
	v_fmaak_f32 v21, v21, v22, 0x3f2aaada
	v_ldexp_f32 v22, v19, 1
	v_sub_f32_e32 v19, v19, v20
	s_delay_alu instid0(VALU_DEP_4) | instskip(NEXT) | instid1(VALU_DEP_3)
	s_or_b32 s24, s24, s26
	v_mul_f32_e32 v21, v23, v21
	v_mul_f32_e32 v23, 0x3f317218, v15
	s_delay_alu instid0(VALU_DEP_3) | instskip(NEXT) | instid1(VALU_DEP_3)
	v_sub_f32_e32 v16, v16, v19
	v_add_f32_e32 v20, v22, v21
	s_delay_alu instid0(VALU_DEP_2) | instskip(NEXT) | instid1(VALU_DEP_2)
	v_ldexp_f32 v16, v16, 1
	v_sub_f32_e32 v19, v20, v22
	v_fma_f32 v22, 0x3f317218, v15, -v23
	s_delay_alu instid0(VALU_DEP_2) | instskip(NEXT) | instid1(VALU_DEP_1)
	v_sub_f32_e32 v19, v21, v19
	v_dual_fmamk_f32 v15, v15, 0xb102e308, v22 :: v_dual_add_f32 v16, v16, v19
	s_delay_alu instid0(VALU_DEP_1) | instskip(NEXT) | instid1(VALU_DEP_2)
	v_add_f32_e32 v19, v23, v15
	v_add_f32_e32 v21, v20, v16
	s_delay_alu instid0(VALU_DEP_2) | instskip(NEXT) | instid1(VALU_DEP_2)
	v_sub_f32_e32 v23, v19, v23
	v_add_f32_e32 v22, v19, v21
	s_delay_alu instid0(VALU_DEP_2) | instskip(NEXT) | instid1(VALU_DEP_2)
	v_dual_sub_f32 v20, v21, v20 :: v_dual_sub_f32 v15, v15, v23
	v_sub_f32_e32 v24, v22, v19
	s_delay_alu instid0(VALU_DEP_2) | instskip(NEXT) | instid1(VALU_DEP_2)
	v_sub_f32_e32 v16, v16, v20
	v_sub_f32_e32 v25, v22, v24
	;; [unrolled: 1-line block ×3, first 2 shown]
	s_delay_alu instid0(VALU_DEP_3) | instskip(NEXT) | instid1(VALU_DEP_3)
	v_add_f32_e32 v21, v15, v16
	v_sub_f32_e32 v19, v19, v25
	s_delay_alu instid0(VALU_DEP_1) | instskip(NEXT) | instid1(VALU_DEP_3)
	v_add_f32_e32 v19, v20, v19
	v_sub_f32_e32 v20, v21, v15
	s_delay_alu instid0(VALU_DEP_2) | instskip(NEXT) | instid1(VALU_DEP_2)
	v_add_f32_e32 v19, v21, v19
	v_sub_f32_e32 v21, v21, v20
	s_delay_alu instid0(VALU_DEP_1) | instskip(NEXT) | instid1(VALU_DEP_1)
	v_dual_sub_f32 v16, v16, v20 :: v_dual_sub_f32 v15, v15, v21
	v_add_f32_e32 v15, v16, v15
	s_delay_alu instid0(VALU_DEP_4) | instskip(NEXT) | instid1(VALU_DEP_1)
	v_add_f32_e32 v23, v22, v19
	v_sub_f32_e32 v20, v23, v22
	s_delay_alu instid0(VALU_DEP_1) | instskip(NEXT) | instid1(VALU_DEP_1)
	v_sub_f32_e32 v16, v19, v20
	v_add_f32_e32 v15, v15, v16
	s_delay_alu instid0(VALU_DEP_1) | instskip(NEXT) | instid1(VALU_DEP_1)
	v_add_f32_e32 v15, v23, v15
	v_cndmask_b32_e64 v15, v15, v18, s24
	s_delay_alu instid0(VALU_DEP_1)
	v_add_f32_e32 v15, v14, v15
.LBB511_48:
	s_or_b32 exec_lo, exec_lo, s25
	s_delay_alu instid0(VALU_DEP_1) | instskip(SKIP_1) | instid1(VALU_DEP_2)
	v_bfe_u32 v14, v15, 16, 1
	v_cmp_o_f32_e64 s24, v15, v15
	v_add3_u32 v14, v15, v14, 0x7fff
	s_delay_alu instid0(VALU_DEP_1) | instskip(NEXT) | instid1(VALU_DEP_1)
	v_and_b32_e32 v16, 0xffff0000, v14
	v_cndmask_b32_e64 v18, 0x7fc00000, v16, s24
	s_delay_alu instid0(VALU_DEP_1) | instskip(NEXT) | instid1(VALU_DEP_1)
	v_dual_max_f32 v15, v18, v18 :: v_dual_lshlrev_b32 v14, 16, v3
	v_max_f32_e32 v16, v14, v14
	v_cmp_u_f32_e64 s24, v18, v18
	s_delay_alu instid0(VALU_DEP_2) | instskip(SKIP_1) | instid1(VALU_DEP_2)
	v_min_f32_e32 v19, v15, v16
	v_max_f32_e32 v15, v15, v16
	v_cndmask_b32_e64 v19, v19, v18, s24
	s_delay_alu instid0(VALU_DEP_2) | instskip(SKIP_1) | instid1(VALU_DEP_1)
	v_cndmask_b32_e64 v15, v15, v18, s24
	v_cmp_u_f32_e64 s24, v14, v14
	v_cndmask_b32_e64 v19, v19, v14, s24
	s_delay_alu instid0(VALU_DEP_3) | instskip(NEXT) | instid1(VALU_DEP_2)
	v_cndmask_b32_e64 v15, v15, v14, s24
	v_cmp_class_f32_e64 s26, v19, 0x1f8
	s_delay_alu instid0(VALU_DEP_2) | instskip(NEXT) | instid1(VALU_DEP_1)
	v_cmp_neq_f32_e64 s25, v19, v15
	s_or_b32 s25, s25, s26
	s_delay_alu instid0(SALU_CYCLE_1)
	s_and_saveexec_b32 s26, s25
	s_cbranch_execz .LBB511_50
; %bb.49:
	v_sub_f32_e32 v18, v19, v15
	s_delay_alu instid0(VALU_DEP_1) | instskip(SKIP_1) | instid1(VALU_DEP_2)
	v_mul_f32_e32 v19, 0x3fb8aa3b, v18
	v_cmp_ngt_f32_e64 s25, 0xc2ce8ed0, v18
	v_fma_f32 v20, 0x3fb8aa3b, v18, -v19
	v_rndne_f32_e32 v21, v19
	s_delay_alu instid0(VALU_DEP_1) | instskip(NEXT) | instid1(VALU_DEP_1)
	v_dual_fmamk_f32 v20, v18, 0x32a5705f, v20 :: v_dual_sub_f32 v19, v19, v21
	v_add_f32_e32 v19, v19, v20
	v_cvt_i32_f32_e32 v20, v21
	s_delay_alu instid0(VALU_DEP_2) | instskip(SKIP_2) | instid1(VALU_DEP_1)
	v_exp_f32_e32 v19, v19
	s_waitcnt_depctr 0xfff
	v_ldexp_f32 v19, v19, v20
	v_cndmask_b32_e64 v19, 0, v19, s25
	v_cmp_nlt_f32_e64 s25, 0x42b17218, v18
	s_delay_alu instid0(VALU_DEP_1) | instskip(NEXT) | instid1(VALU_DEP_1)
	v_cndmask_b32_e64 v20, 0x7f800000, v19, s25
	v_add_f32_e32 v21, 1.0, v20
	v_cmp_gt_f32_e64 s27, 0x33800000, |v20|
	s_delay_alu instid0(VALU_DEP_2) | instskip(NEXT) | instid1(VALU_DEP_1)
	v_cvt_f64_f32_e32 v[18:19], v21
	v_frexp_exp_i32_f64_e32 v18, v[18:19]
	v_frexp_mant_f32_e32 v19, v21
	s_delay_alu instid0(VALU_DEP_1) | instskip(SKIP_1) | instid1(VALU_DEP_1)
	v_cmp_gt_f32_e64 s25, 0x3f2aaaab, v19
	v_add_f32_e32 v19, -1.0, v21
	v_sub_f32_e32 v23, v19, v21
	v_sub_f32_e32 v19, v20, v19
	s_delay_alu instid0(VALU_DEP_4) | instskip(SKIP_1) | instid1(VALU_DEP_1)
	v_subrev_co_ci_u32_e64 v18, s25, 0, v18, s25
	s_mov_b32 s25, 0x3e9b6dac
	v_sub_nc_u32_e32 v22, 0, v18
	v_cvt_f32_i32_e32 v18, v18
	s_delay_alu instid0(VALU_DEP_2) | instskip(NEXT) | instid1(VALU_DEP_1)
	v_ldexp_f32 v21, v21, v22
	v_dual_add_f32 v24, 1.0, v21 :: v_dual_add_f32 v23, 1.0, v23
	s_delay_alu instid0(VALU_DEP_1) | instskip(NEXT) | instid1(VALU_DEP_2)
	v_add_f32_e32 v19, v19, v23
	v_add_f32_e32 v23, -1.0, v24
	s_delay_alu instid0(VALU_DEP_2) | instskip(NEXT) | instid1(VALU_DEP_2)
	v_ldexp_f32 v19, v19, v22
	v_dual_add_f32 v22, -1.0, v21 :: v_dual_sub_f32 v23, v21, v23
	s_delay_alu instid0(VALU_DEP_1) | instskip(NEXT) | instid1(VALU_DEP_2)
	v_add_f32_e32 v25, 1.0, v22
	v_add_f32_e32 v23, v19, v23
	s_delay_alu instid0(VALU_DEP_2) | instskip(NEXT) | instid1(VALU_DEP_2)
	v_sub_f32_e32 v21, v21, v25
	v_add_f32_e32 v25, v24, v23
	s_delay_alu instid0(VALU_DEP_2) | instskip(NEXT) | instid1(VALU_DEP_2)
	v_add_f32_e32 v19, v19, v21
	v_rcp_f32_e32 v21, v25
	v_sub_f32_e32 v24, v24, v25
	s_delay_alu instid0(VALU_DEP_1) | instskip(NEXT) | instid1(VALU_DEP_1)
	v_dual_add_f32 v26, v22, v19 :: v_dual_add_f32 v23, v23, v24
	v_sub_f32_e32 v22, v22, v26
	s_waitcnt_depctr 0xfff
	v_mul_f32_e32 v27, v26, v21
	s_delay_alu instid0(VALU_DEP_1) | instskip(NEXT) | instid1(VALU_DEP_1)
	v_dual_add_f32 v19, v19, v22 :: v_dual_mul_f32 v28, v25, v27
	v_fma_f32 v24, v27, v25, -v28
	s_delay_alu instid0(VALU_DEP_1) | instskip(NEXT) | instid1(VALU_DEP_1)
	v_fmac_f32_e32 v24, v27, v23
	v_add_f32_e32 v29, v28, v24
	s_delay_alu instid0(VALU_DEP_1) | instskip(SKIP_1) | instid1(VALU_DEP_2)
	v_sub_f32_e32 v30, v26, v29
	v_sub_f32_e32 v22, v29, v28
	v_sub_f32_e32 v26, v26, v30
	s_delay_alu instid0(VALU_DEP_2) | instskip(NEXT) | instid1(VALU_DEP_2)
	v_sub_f32_e32 v22, v22, v24
	v_sub_f32_e32 v26, v26, v29
	s_delay_alu instid0(VALU_DEP_1) | instskip(NEXT) | instid1(VALU_DEP_1)
	v_add_f32_e32 v19, v19, v26
	v_add_f32_e32 v19, v22, v19
	s_delay_alu instid0(VALU_DEP_1) | instskip(NEXT) | instid1(VALU_DEP_1)
	v_add_f32_e32 v22, v30, v19
	v_mul_f32_e32 v24, v21, v22
	s_delay_alu instid0(VALU_DEP_1) | instskip(NEXT) | instid1(VALU_DEP_1)
	v_dual_sub_f32 v29, v30, v22 :: v_dual_mul_f32 v26, v25, v24
	v_add_f32_e32 v19, v19, v29
	s_delay_alu instid0(VALU_DEP_2) | instskip(NEXT) | instid1(VALU_DEP_1)
	v_fma_f32 v25, v24, v25, -v26
	v_fmac_f32_e32 v25, v24, v23
	s_delay_alu instid0(VALU_DEP_1) | instskip(NEXT) | instid1(VALU_DEP_1)
	v_add_f32_e32 v23, v26, v25
	v_sub_f32_e32 v28, v22, v23
	v_sub_f32_e32 v26, v23, v26
	s_delay_alu instid0(VALU_DEP_2) | instskip(NEXT) | instid1(VALU_DEP_1)
	v_sub_f32_e32 v22, v22, v28
	v_sub_f32_e32 v22, v22, v23
	s_delay_alu instid0(VALU_DEP_3) | instskip(NEXT) | instid1(VALU_DEP_2)
	v_sub_f32_e32 v23, v26, v25
	v_add_f32_e32 v19, v19, v22
	v_add_f32_e32 v22, v27, v24
	s_delay_alu instid0(VALU_DEP_2) | instskip(NEXT) | instid1(VALU_DEP_2)
	v_add_f32_e32 v19, v23, v19
	v_sub_f32_e32 v23, v22, v27
	s_delay_alu instid0(VALU_DEP_2) | instskip(NEXT) | instid1(VALU_DEP_2)
	v_add_f32_e32 v19, v28, v19
	v_sub_f32_e32 v23, v24, v23
	s_delay_alu instid0(VALU_DEP_2) | instskip(NEXT) | instid1(VALU_DEP_1)
	v_mul_f32_e32 v19, v21, v19
	v_add_f32_e32 v19, v23, v19
	s_delay_alu instid0(VALU_DEP_1) | instskip(NEXT) | instid1(VALU_DEP_1)
	v_add_f32_e32 v21, v22, v19
	v_mul_f32_e32 v23, v21, v21
	s_delay_alu instid0(VALU_DEP_1) | instskip(SKIP_2) | instid1(VALU_DEP_3)
	v_fmaak_f32 v24, s25, v23, 0x3ecc95a3
	v_mul_f32_e32 v25, v21, v23
	v_cmp_eq_f32_e64 s25, 0x7f800000, v20
	v_fmaak_f32 v23, v23, v24, 0x3f2aaada
	v_ldexp_f32 v24, v21, 1
	v_sub_f32_e32 v21, v21, v22
	s_delay_alu instid0(VALU_DEP_4) | instskip(NEXT) | instid1(VALU_DEP_3)
	s_or_b32 s25, s25, s27
	v_mul_f32_e32 v23, v25, v23
	v_mul_f32_e32 v25, 0x3f317218, v18
	s_delay_alu instid0(VALU_DEP_2) | instskip(NEXT) | instid1(VALU_DEP_1)
	v_dual_sub_f32 v19, v19, v21 :: v_dual_add_f32 v22, v24, v23
	v_ldexp_f32 v19, v19, 1
	s_delay_alu instid0(VALU_DEP_2) | instskip(NEXT) | instid1(VALU_DEP_4)
	v_sub_f32_e32 v21, v22, v24
	v_fma_f32 v24, 0x3f317218, v18, -v25
	s_delay_alu instid0(VALU_DEP_1) | instskip(NEXT) | instid1(VALU_DEP_1)
	v_dual_sub_f32 v21, v23, v21 :: v_dual_fmamk_f32 v18, v18, 0xb102e308, v24
	v_add_f32_e32 v19, v19, v21
	s_delay_alu instid0(VALU_DEP_2) | instskip(NEXT) | instid1(VALU_DEP_2)
	v_add_f32_e32 v21, v25, v18
	v_add_f32_e32 v23, v22, v19
	s_delay_alu instid0(VALU_DEP_2) | instskip(NEXT) | instid1(VALU_DEP_2)
	v_sub_f32_e32 v25, v21, v25
	v_add_f32_e32 v24, v21, v23
	v_sub_f32_e32 v22, v23, v22
	s_delay_alu instid0(VALU_DEP_3) | instskip(NEXT) | instid1(VALU_DEP_2)
	v_sub_f32_e32 v18, v18, v25
	v_dual_sub_f32 v26, v24, v21 :: v_dual_sub_f32 v19, v19, v22
	s_delay_alu instid0(VALU_DEP_1) | instskip(NEXT) | instid1(VALU_DEP_2)
	v_sub_f32_e32 v27, v24, v26
	v_dual_sub_f32 v22, v23, v26 :: v_dual_add_f32 v23, v18, v19
	s_delay_alu instid0(VALU_DEP_2) | instskip(NEXT) | instid1(VALU_DEP_1)
	v_sub_f32_e32 v21, v21, v27
	v_dual_add_f32 v21, v22, v21 :: v_dual_sub_f32 v22, v23, v18
	s_delay_alu instid0(VALU_DEP_1) | instskip(NEXT) | instid1(VALU_DEP_2)
	v_add_f32_e32 v21, v23, v21
	v_sub_f32_e32 v23, v23, v22
	v_sub_f32_e32 v19, v19, v22
	s_delay_alu instid0(VALU_DEP_2) | instskip(NEXT) | instid1(VALU_DEP_1)
	v_dual_add_f32 v25, v24, v21 :: v_dual_sub_f32 v18, v18, v23
	v_sub_f32_e32 v22, v25, v24
	s_delay_alu instid0(VALU_DEP_2) | instskip(NEXT) | instid1(VALU_DEP_2)
	v_add_f32_e32 v18, v19, v18
	v_sub_f32_e32 v19, v21, v22
	s_delay_alu instid0(VALU_DEP_1) | instskip(NEXT) | instid1(VALU_DEP_1)
	v_add_f32_e32 v18, v18, v19
	v_add_f32_e32 v18, v25, v18
	s_delay_alu instid0(VALU_DEP_1) | instskip(NEXT) | instid1(VALU_DEP_1)
	v_cndmask_b32_e64 v18, v18, v20, s25
	v_add_f32_e32 v18, v15, v18
.LBB511_50:
	s_or_b32 exec_lo, exec_lo, s26
	s_delay_alu instid0(VALU_DEP_1) | instskip(SKIP_1) | instid1(VALU_DEP_2)
	v_bfe_u32 v15, v18, 16, 1
	v_cmp_o_f32_e64 s25, v18, v18
	v_add3_u32 v15, v18, v15, 0x7fff
	s_delay_alu instid0(VALU_DEP_1) | instskip(NEXT) | instid1(VALU_DEP_1)
	v_and_b32_e32 v15, 0xffff0000, v15
	v_cndmask_b32_e64 v19, 0x7fc00000, v15, s25
	s_delay_alu instid0(VALU_DEP_1) | instskip(SKIP_2) | instid1(VALU_DEP_2)
	v_max_f32_e32 v15, v19, v19
	v_and_b32_e32 v3, 0xffff0000, v3
	v_cmp_u_f32_e64 s25, v19, v19
	v_max_f32_e32 v18, v3, v3
	s_delay_alu instid0(VALU_DEP_1) | instskip(SKIP_1) | instid1(VALU_DEP_2)
	v_min_f32_e32 v20, v15, v18
	v_max_f32_e32 v15, v15, v18
	v_cndmask_b32_e64 v20, v20, v19, s25
	s_delay_alu instid0(VALU_DEP_2) | instskip(SKIP_1) | instid1(VALU_DEP_1)
	v_cndmask_b32_e64 v15, v15, v19, s25
	v_cmp_u_f32_e64 s25, v3, v3
	v_cndmask_b32_e64 v20, v20, v3, s25
	s_delay_alu instid0(VALU_DEP_3) | instskip(NEXT) | instid1(VALU_DEP_2)
	v_cndmask_b32_e64 v15, v15, v3, s25
	v_cmp_class_f32_e64 s27, v20, 0x1f8
	s_delay_alu instid0(VALU_DEP_2) | instskip(NEXT) | instid1(VALU_DEP_1)
	v_cmp_neq_f32_e64 s26, v20, v15
	s_or_b32 s26, s26, s27
	s_delay_alu instid0(SALU_CYCLE_1)
	s_and_saveexec_b32 s27, s26
	s_cbranch_execz .LBB511_52
; %bb.51:
	v_sub_f32_e32 v19, v20, v15
	s_delay_alu instid0(VALU_DEP_1) | instskip(SKIP_1) | instid1(VALU_DEP_2)
	v_mul_f32_e32 v20, 0x3fb8aa3b, v19
	v_cmp_ngt_f32_e64 s26, 0xc2ce8ed0, v19
	v_fma_f32 v21, 0x3fb8aa3b, v19, -v20
	v_rndne_f32_e32 v22, v20
	s_delay_alu instid0(VALU_DEP_1) | instskip(NEXT) | instid1(VALU_DEP_1)
	v_dual_fmamk_f32 v21, v19, 0x32a5705f, v21 :: v_dual_sub_f32 v20, v20, v22
	v_add_f32_e32 v20, v20, v21
	v_cvt_i32_f32_e32 v21, v22
	s_delay_alu instid0(VALU_DEP_2) | instskip(SKIP_2) | instid1(VALU_DEP_1)
	v_exp_f32_e32 v20, v20
	s_waitcnt_depctr 0xfff
	v_ldexp_f32 v20, v20, v21
	v_cndmask_b32_e64 v20, 0, v20, s26
	v_cmp_nlt_f32_e64 s26, 0x42b17218, v19
	s_delay_alu instid0(VALU_DEP_1) | instskip(NEXT) | instid1(VALU_DEP_1)
	v_cndmask_b32_e64 v21, 0x7f800000, v20, s26
	v_add_f32_e32 v22, 1.0, v21
	v_cmp_gt_f32_e64 s28, 0x33800000, |v21|
	s_delay_alu instid0(VALU_DEP_2) | instskip(NEXT) | instid1(VALU_DEP_1)
	v_cvt_f64_f32_e32 v[19:20], v22
	v_frexp_exp_i32_f64_e32 v19, v[19:20]
	v_frexp_mant_f32_e32 v20, v22
	s_delay_alu instid0(VALU_DEP_1) | instskip(SKIP_1) | instid1(VALU_DEP_1)
	v_cmp_gt_f32_e64 s26, 0x3f2aaaab, v20
	v_add_f32_e32 v20, -1.0, v22
	v_sub_f32_e32 v24, v20, v22
	v_sub_f32_e32 v20, v21, v20
	s_delay_alu instid0(VALU_DEP_4) | instskip(SKIP_1) | instid1(VALU_DEP_1)
	v_subrev_co_ci_u32_e64 v19, s26, 0, v19, s26
	s_mov_b32 s26, 0x3e9b6dac
	v_sub_nc_u32_e32 v23, 0, v19
	v_cvt_f32_i32_e32 v19, v19
	s_delay_alu instid0(VALU_DEP_2) | instskip(NEXT) | instid1(VALU_DEP_1)
	v_ldexp_f32 v22, v22, v23
	v_dual_add_f32 v25, 1.0, v22 :: v_dual_add_f32 v24, 1.0, v24
	s_delay_alu instid0(VALU_DEP_1) | instskip(NEXT) | instid1(VALU_DEP_2)
	v_add_f32_e32 v20, v20, v24
	v_add_f32_e32 v24, -1.0, v25
	s_delay_alu instid0(VALU_DEP_2) | instskip(NEXT) | instid1(VALU_DEP_2)
	v_ldexp_f32 v20, v20, v23
	v_dual_add_f32 v23, -1.0, v22 :: v_dual_sub_f32 v24, v22, v24
	s_delay_alu instid0(VALU_DEP_1) | instskip(NEXT) | instid1(VALU_DEP_2)
	v_add_f32_e32 v26, 1.0, v23
	v_add_f32_e32 v24, v20, v24
	s_delay_alu instid0(VALU_DEP_2) | instskip(NEXT) | instid1(VALU_DEP_2)
	v_sub_f32_e32 v22, v22, v26
	v_add_f32_e32 v26, v25, v24
	s_delay_alu instid0(VALU_DEP_2) | instskip(NEXT) | instid1(VALU_DEP_2)
	v_add_f32_e32 v20, v20, v22
	v_rcp_f32_e32 v22, v26
	v_sub_f32_e32 v25, v25, v26
	s_delay_alu instid0(VALU_DEP_1) | instskip(NEXT) | instid1(VALU_DEP_1)
	v_dual_add_f32 v27, v23, v20 :: v_dual_add_f32 v24, v24, v25
	v_sub_f32_e32 v23, v23, v27
	s_waitcnt_depctr 0xfff
	v_mul_f32_e32 v28, v27, v22
	s_delay_alu instid0(VALU_DEP_1) | instskip(NEXT) | instid1(VALU_DEP_1)
	v_dual_add_f32 v20, v20, v23 :: v_dual_mul_f32 v29, v26, v28
	v_fma_f32 v25, v28, v26, -v29
	s_delay_alu instid0(VALU_DEP_1) | instskip(NEXT) | instid1(VALU_DEP_1)
	v_fmac_f32_e32 v25, v28, v24
	v_add_f32_e32 v30, v29, v25
	s_delay_alu instid0(VALU_DEP_1) | instskip(SKIP_1) | instid1(VALU_DEP_2)
	v_sub_f32_e32 v31, v27, v30
	v_sub_f32_e32 v23, v30, v29
	;; [unrolled: 1-line block ×3, first 2 shown]
	s_delay_alu instid0(VALU_DEP_2) | instskip(NEXT) | instid1(VALU_DEP_2)
	v_sub_f32_e32 v23, v23, v25
	v_sub_f32_e32 v27, v27, v30
	s_delay_alu instid0(VALU_DEP_1) | instskip(NEXT) | instid1(VALU_DEP_1)
	v_add_f32_e32 v20, v20, v27
	v_add_f32_e32 v20, v23, v20
	s_delay_alu instid0(VALU_DEP_1) | instskip(NEXT) | instid1(VALU_DEP_1)
	v_add_f32_e32 v23, v31, v20
	v_mul_f32_e32 v25, v22, v23
	s_delay_alu instid0(VALU_DEP_1) | instskip(NEXT) | instid1(VALU_DEP_1)
	v_dual_sub_f32 v30, v31, v23 :: v_dual_mul_f32 v27, v26, v25
	v_add_f32_e32 v20, v20, v30
	s_delay_alu instid0(VALU_DEP_2) | instskip(NEXT) | instid1(VALU_DEP_1)
	v_fma_f32 v26, v25, v26, -v27
	v_fmac_f32_e32 v26, v25, v24
	s_delay_alu instid0(VALU_DEP_1) | instskip(NEXT) | instid1(VALU_DEP_1)
	v_add_f32_e32 v24, v27, v26
	v_sub_f32_e32 v29, v23, v24
	v_sub_f32_e32 v27, v24, v27
	s_delay_alu instid0(VALU_DEP_2) | instskip(NEXT) | instid1(VALU_DEP_1)
	v_sub_f32_e32 v23, v23, v29
	v_sub_f32_e32 v23, v23, v24
	s_delay_alu instid0(VALU_DEP_3) | instskip(NEXT) | instid1(VALU_DEP_2)
	v_sub_f32_e32 v24, v27, v26
	v_add_f32_e32 v20, v20, v23
	v_add_f32_e32 v23, v28, v25
	s_delay_alu instid0(VALU_DEP_2) | instskip(NEXT) | instid1(VALU_DEP_2)
	v_add_f32_e32 v20, v24, v20
	v_sub_f32_e32 v24, v23, v28
	s_delay_alu instid0(VALU_DEP_2) | instskip(NEXT) | instid1(VALU_DEP_2)
	v_add_f32_e32 v20, v29, v20
	v_sub_f32_e32 v24, v25, v24
	s_delay_alu instid0(VALU_DEP_2) | instskip(NEXT) | instid1(VALU_DEP_1)
	v_mul_f32_e32 v20, v22, v20
	v_add_f32_e32 v20, v24, v20
	s_delay_alu instid0(VALU_DEP_1) | instskip(NEXT) | instid1(VALU_DEP_1)
	v_add_f32_e32 v22, v23, v20
	v_mul_f32_e32 v24, v22, v22
	s_delay_alu instid0(VALU_DEP_1) | instskip(SKIP_2) | instid1(VALU_DEP_3)
	v_fmaak_f32 v25, s26, v24, 0x3ecc95a3
	v_mul_f32_e32 v26, v22, v24
	v_cmp_eq_f32_e64 s26, 0x7f800000, v21
	v_fmaak_f32 v24, v24, v25, 0x3f2aaada
	v_ldexp_f32 v25, v22, 1
	v_sub_f32_e32 v22, v22, v23
	s_delay_alu instid0(VALU_DEP_4) | instskip(NEXT) | instid1(VALU_DEP_3)
	s_or_b32 s26, s26, s28
	v_mul_f32_e32 v24, v26, v24
	v_mul_f32_e32 v26, 0x3f317218, v19
	s_delay_alu instid0(VALU_DEP_2) | instskip(NEXT) | instid1(VALU_DEP_1)
	v_dual_sub_f32 v20, v20, v22 :: v_dual_add_f32 v23, v25, v24
	v_ldexp_f32 v20, v20, 1
	s_delay_alu instid0(VALU_DEP_2) | instskip(NEXT) | instid1(VALU_DEP_4)
	v_sub_f32_e32 v22, v23, v25
	v_fma_f32 v25, 0x3f317218, v19, -v26
	s_delay_alu instid0(VALU_DEP_1) | instskip(NEXT) | instid1(VALU_DEP_1)
	v_dual_sub_f32 v22, v24, v22 :: v_dual_fmamk_f32 v19, v19, 0xb102e308, v25
	v_add_f32_e32 v20, v20, v22
	s_delay_alu instid0(VALU_DEP_2) | instskip(NEXT) | instid1(VALU_DEP_2)
	v_add_f32_e32 v22, v26, v19
	v_add_f32_e32 v24, v23, v20
	s_delay_alu instid0(VALU_DEP_2) | instskip(NEXT) | instid1(VALU_DEP_2)
	v_sub_f32_e32 v26, v22, v26
	v_add_f32_e32 v25, v22, v24
	v_sub_f32_e32 v23, v24, v23
	s_delay_alu instid0(VALU_DEP_3) | instskip(NEXT) | instid1(VALU_DEP_2)
	v_sub_f32_e32 v19, v19, v26
	v_dual_sub_f32 v27, v25, v22 :: v_dual_sub_f32 v20, v20, v23
	s_delay_alu instid0(VALU_DEP_1) | instskip(NEXT) | instid1(VALU_DEP_2)
	v_sub_f32_e32 v28, v25, v27
	v_dual_sub_f32 v23, v24, v27 :: v_dual_add_f32 v24, v19, v20
	s_delay_alu instid0(VALU_DEP_2) | instskip(NEXT) | instid1(VALU_DEP_1)
	v_sub_f32_e32 v22, v22, v28
	v_dual_add_f32 v22, v23, v22 :: v_dual_sub_f32 v23, v24, v19
	s_delay_alu instid0(VALU_DEP_1) | instskip(NEXT) | instid1(VALU_DEP_2)
	v_add_f32_e32 v22, v24, v22
	v_sub_f32_e32 v24, v24, v23
	v_sub_f32_e32 v20, v20, v23
	s_delay_alu instid0(VALU_DEP_2) | instskip(NEXT) | instid1(VALU_DEP_1)
	v_dual_add_f32 v26, v25, v22 :: v_dual_sub_f32 v19, v19, v24
	v_sub_f32_e32 v23, v26, v25
	s_delay_alu instid0(VALU_DEP_2) | instskip(NEXT) | instid1(VALU_DEP_2)
	v_add_f32_e32 v19, v20, v19
	v_sub_f32_e32 v20, v22, v23
	s_delay_alu instid0(VALU_DEP_1) | instskip(NEXT) | instid1(VALU_DEP_1)
	v_add_f32_e32 v19, v19, v20
	v_add_f32_e32 v19, v26, v19
	s_delay_alu instid0(VALU_DEP_1) | instskip(NEXT) | instid1(VALU_DEP_1)
	v_cndmask_b32_e64 v19, v19, v21, s26
	v_add_f32_e32 v19, v15, v19
.LBB511_52:
	s_or_b32 exec_lo, exec_lo, s27
	s_delay_alu instid0(VALU_DEP_1) | instskip(SKIP_1) | instid1(VALU_DEP_2)
	v_bfe_u32 v15, v19, 16, 1
	v_cmp_o_f32_e64 s26, v19, v19
	v_add3_u32 v15, v19, v15, 0x7fff
	s_delay_alu instid0(VALU_DEP_1) | instskip(NEXT) | instid1(VALU_DEP_1)
	v_and_b32_e32 v20, 0xffff0000, v15
	v_cndmask_b32_e64 v21, 0x7fc00000, v20, s26
	s_delay_alu instid0(VALU_DEP_1) | instskip(SKIP_2) | instid1(VALU_DEP_2)
	v_max_f32_e32 v19, v21, v21
	v_lshlrev_b32_e32 v15, 16, v10
	v_cmp_u_f32_e64 s26, v21, v21
	v_max_f32_e32 v20, v15, v15
	s_delay_alu instid0(VALU_DEP_1) | instskip(SKIP_1) | instid1(VALU_DEP_2)
	v_min_f32_e32 v22, v19, v20
	v_max_f32_e32 v19, v19, v20
	v_cndmask_b32_e64 v22, v22, v21, s26
	s_delay_alu instid0(VALU_DEP_2) | instskip(SKIP_1) | instid1(VALU_DEP_1)
	v_cndmask_b32_e64 v19, v19, v21, s26
	v_cmp_u_f32_e64 s26, v15, v15
	v_cndmask_b32_e64 v22, v22, v15, s26
	s_delay_alu instid0(VALU_DEP_3) | instskip(NEXT) | instid1(VALU_DEP_2)
	v_cndmask_b32_e64 v19, v19, v15, s26
	v_cmp_class_f32_e64 s28, v22, 0x1f8
	s_delay_alu instid0(VALU_DEP_2) | instskip(NEXT) | instid1(VALU_DEP_1)
	v_cmp_neq_f32_e64 s27, v22, v19
	s_or_b32 s27, s27, s28
	s_delay_alu instid0(SALU_CYCLE_1)
	s_and_saveexec_b32 s28, s27
	s_cbranch_execz .LBB511_54
; %bb.53:
	v_sub_f32_e32 v21, v22, v19
	s_delay_alu instid0(VALU_DEP_1) | instskip(SKIP_1) | instid1(VALU_DEP_2)
	v_mul_f32_e32 v22, 0x3fb8aa3b, v21
	v_cmp_ngt_f32_e64 s27, 0xc2ce8ed0, v21
	v_fma_f32 v23, 0x3fb8aa3b, v21, -v22
	v_rndne_f32_e32 v24, v22
	s_delay_alu instid0(VALU_DEP_1) | instskip(NEXT) | instid1(VALU_DEP_1)
	v_dual_fmamk_f32 v23, v21, 0x32a5705f, v23 :: v_dual_sub_f32 v22, v22, v24
	v_add_f32_e32 v22, v22, v23
	v_cvt_i32_f32_e32 v23, v24
	s_delay_alu instid0(VALU_DEP_2) | instskip(SKIP_2) | instid1(VALU_DEP_1)
	v_exp_f32_e32 v22, v22
	s_waitcnt_depctr 0xfff
	v_ldexp_f32 v22, v22, v23
	v_cndmask_b32_e64 v22, 0, v22, s27
	v_cmp_nlt_f32_e64 s27, 0x42b17218, v21
	s_delay_alu instid0(VALU_DEP_1) | instskip(NEXT) | instid1(VALU_DEP_1)
	v_cndmask_b32_e64 v23, 0x7f800000, v22, s27
	v_add_f32_e32 v24, 1.0, v23
	v_cmp_gt_f32_e64 s29, 0x33800000, |v23|
	s_delay_alu instid0(VALU_DEP_2) | instskip(NEXT) | instid1(VALU_DEP_1)
	v_cvt_f64_f32_e32 v[21:22], v24
	v_frexp_exp_i32_f64_e32 v21, v[21:22]
	v_frexp_mant_f32_e32 v22, v24
	s_delay_alu instid0(VALU_DEP_1) | instskip(SKIP_1) | instid1(VALU_DEP_1)
	v_cmp_gt_f32_e64 s27, 0x3f2aaaab, v22
	v_add_f32_e32 v22, -1.0, v24
	v_sub_f32_e32 v26, v22, v24
	v_sub_f32_e32 v22, v23, v22
	s_delay_alu instid0(VALU_DEP_4) | instskip(SKIP_1) | instid1(VALU_DEP_1)
	v_subrev_co_ci_u32_e64 v21, s27, 0, v21, s27
	s_mov_b32 s27, 0x3e9b6dac
	v_sub_nc_u32_e32 v25, 0, v21
	v_cvt_f32_i32_e32 v21, v21
	s_delay_alu instid0(VALU_DEP_2) | instskip(NEXT) | instid1(VALU_DEP_1)
	v_ldexp_f32 v24, v24, v25
	v_dual_add_f32 v27, 1.0, v24 :: v_dual_add_f32 v26, 1.0, v26
	s_delay_alu instid0(VALU_DEP_1) | instskip(NEXT) | instid1(VALU_DEP_2)
	v_add_f32_e32 v22, v22, v26
	v_add_f32_e32 v26, -1.0, v27
	s_delay_alu instid0(VALU_DEP_2) | instskip(NEXT) | instid1(VALU_DEP_2)
	v_ldexp_f32 v22, v22, v25
	v_dual_add_f32 v25, -1.0, v24 :: v_dual_sub_f32 v26, v24, v26
	s_delay_alu instid0(VALU_DEP_1) | instskip(NEXT) | instid1(VALU_DEP_2)
	v_add_f32_e32 v28, 1.0, v25
	v_add_f32_e32 v26, v22, v26
	s_delay_alu instid0(VALU_DEP_2) | instskip(NEXT) | instid1(VALU_DEP_2)
	v_sub_f32_e32 v24, v24, v28
	v_add_f32_e32 v28, v27, v26
	s_delay_alu instid0(VALU_DEP_2) | instskip(NEXT) | instid1(VALU_DEP_2)
	v_add_f32_e32 v22, v22, v24
	v_rcp_f32_e32 v24, v28
	v_sub_f32_e32 v27, v27, v28
	s_delay_alu instid0(VALU_DEP_1) | instskip(NEXT) | instid1(VALU_DEP_1)
	v_dual_add_f32 v29, v25, v22 :: v_dual_add_f32 v26, v26, v27
	v_sub_f32_e32 v25, v25, v29
	s_waitcnt_depctr 0xfff
	v_mul_f32_e32 v30, v29, v24
	s_delay_alu instid0(VALU_DEP_1) | instskip(NEXT) | instid1(VALU_DEP_1)
	v_dual_add_f32 v22, v22, v25 :: v_dual_mul_f32 v31, v28, v30
	v_fma_f32 v27, v30, v28, -v31
	s_delay_alu instid0(VALU_DEP_1) | instskip(NEXT) | instid1(VALU_DEP_1)
	v_fmac_f32_e32 v27, v30, v26
	v_add_f32_e32 v32, v31, v27
	s_delay_alu instid0(VALU_DEP_1) | instskip(SKIP_1) | instid1(VALU_DEP_2)
	v_sub_f32_e32 v33, v29, v32
	v_sub_f32_e32 v25, v32, v31
	;; [unrolled: 1-line block ×3, first 2 shown]
	s_delay_alu instid0(VALU_DEP_2) | instskip(NEXT) | instid1(VALU_DEP_2)
	v_sub_f32_e32 v25, v25, v27
	v_sub_f32_e32 v29, v29, v32
	s_delay_alu instid0(VALU_DEP_1) | instskip(NEXT) | instid1(VALU_DEP_1)
	v_add_f32_e32 v22, v22, v29
	v_add_f32_e32 v22, v25, v22
	s_delay_alu instid0(VALU_DEP_1) | instskip(NEXT) | instid1(VALU_DEP_1)
	v_add_f32_e32 v25, v33, v22
	v_mul_f32_e32 v27, v24, v25
	s_delay_alu instid0(VALU_DEP_1) | instskip(NEXT) | instid1(VALU_DEP_1)
	v_dual_sub_f32 v32, v33, v25 :: v_dual_mul_f32 v29, v28, v27
	v_add_f32_e32 v22, v22, v32
	s_delay_alu instid0(VALU_DEP_2) | instskip(NEXT) | instid1(VALU_DEP_1)
	v_fma_f32 v28, v27, v28, -v29
	v_fmac_f32_e32 v28, v27, v26
	s_delay_alu instid0(VALU_DEP_1) | instskip(NEXT) | instid1(VALU_DEP_1)
	v_add_f32_e32 v26, v29, v28
	v_sub_f32_e32 v31, v25, v26
	v_sub_f32_e32 v29, v26, v29
	s_delay_alu instid0(VALU_DEP_2) | instskip(NEXT) | instid1(VALU_DEP_1)
	v_sub_f32_e32 v25, v25, v31
	v_sub_f32_e32 v25, v25, v26
	s_delay_alu instid0(VALU_DEP_3) | instskip(NEXT) | instid1(VALU_DEP_2)
	v_sub_f32_e32 v26, v29, v28
	v_add_f32_e32 v22, v22, v25
	v_add_f32_e32 v25, v30, v27
	s_delay_alu instid0(VALU_DEP_2) | instskip(NEXT) | instid1(VALU_DEP_2)
	v_add_f32_e32 v22, v26, v22
	v_sub_f32_e32 v26, v25, v30
	s_delay_alu instid0(VALU_DEP_2) | instskip(NEXT) | instid1(VALU_DEP_2)
	v_add_f32_e32 v22, v31, v22
	v_sub_f32_e32 v26, v27, v26
	s_delay_alu instid0(VALU_DEP_2) | instskip(NEXT) | instid1(VALU_DEP_1)
	v_mul_f32_e32 v22, v24, v22
	v_add_f32_e32 v22, v26, v22
	s_delay_alu instid0(VALU_DEP_1) | instskip(NEXT) | instid1(VALU_DEP_1)
	v_add_f32_e32 v24, v25, v22
	v_mul_f32_e32 v26, v24, v24
	s_delay_alu instid0(VALU_DEP_1) | instskip(SKIP_2) | instid1(VALU_DEP_3)
	v_fmaak_f32 v27, s27, v26, 0x3ecc95a3
	v_mul_f32_e32 v28, v24, v26
	v_cmp_eq_f32_e64 s27, 0x7f800000, v23
	v_fmaak_f32 v26, v26, v27, 0x3f2aaada
	v_ldexp_f32 v27, v24, 1
	v_sub_f32_e32 v24, v24, v25
	s_delay_alu instid0(VALU_DEP_4) | instskip(NEXT) | instid1(VALU_DEP_3)
	s_or_b32 s27, s27, s29
	v_mul_f32_e32 v26, v28, v26
	v_mul_f32_e32 v28, 0x3f317218, v21
	s_delay_alu instid0(VALU_DEP_2) | instskip(NEXT) | instid1(VALU_DEP_1)
	v_dual_sub_f32 v22, v22, v24 :: v_dual_add_f32 v25, v27, v26
	v_ldexp_f32 v22, v22, 1
	s_delay_alu instid0(VALU_DEP_2) | instskip(NEXT) | instid1(VALU_DEP_4)
	v_sub_f32_e32 v24, v25, v27
	v_fma_f32 v27, 0x3f317218, v21, -v28
	s_delay_alu instid0(VALU_DEP_1) | instskip(NEXT) | instid1(VALU_DEP_1)
	v_dual_sub_f32 v24, v26, v24 :: v_dual_fmamk_f32 v21, v21, 0xb102e308, v27
	v_add_f32_e32 v22, v22, v24
	s_delay_alu instid0(VALU_DEP_2) | instskip(NEXT) | instid1(VALU_DEP_2)
	v_add_f32_e32 v24, v28, v21
	v_add_f32_e32 v26, v25, v22
	s_delay_alu instid0(VALU_DEP_2) | instskip(NEXT) | instid1(VALU_DEP_2)
	v_sub_f32_e32 v28, v24, v28
	v_add_f32_e32 v27, v24, v26
	v_sub_f32_e32 v25, v26, v25
	s_delay_alu instid0(VALU_DEP_3) | instskip(NEXT) | instid1(VALU_DEP_2)
	v_sub_f32_e32 v21, v21, v28
	v_dual_sub_f32 v29, v27, v24 :: v_dual_sub_f32 v22, v22, v25
	s_delay_alu instid0(VALU_DEP_1) | instskip(NEXT) | instid1(VALU_DEP_2)
	v_sub_f32_e32 v30, v27, v29
	v_dual_sub_f32 v25, v26, v29 :: v_dual_add_f32 v26, v21, v22
	s_delay_alu instid0(VALU_DEP_2) | instskip(NEXT) | instid1(VALU_DEP_1)
	v_sub_f32_e32 v24, v24, v30
	v_dual_add_f32 v24, v25, v24 :: v_dual_sub_f32 v25, v26, v21
	s_delay_alu instid0(VALU_DEP_1) | instskip(NEXT) | instid1(VALU_DEP_2)
	v_add_f32_e32 v24, v26, v24
	v_sub_f32_e32 v26, v26, v25
	v_sub_f32_e32 v22, v22, v25
	s_delay_alu instid0(VALU_DEP_2) | instskip(NEXT) | instid1(VALU_DEP_1)
	v_dual_add_f32 v28, v27, v24 :: v_dual_sub_f32 v21, v21, v26
	v_sub_f32_e32 v25, v28, v27
	s_delay_alu instid0(VALU_DEP_2) | instskip(NEXT) | instid1(VALU_DEP_2)
	v_add_f32_e32 v21, v22, v21
	v_sub_f32_e32 v22, v24, v25
	s_delay_alu instid0(VALU_DEP_1) | instskip(NEXT) | instid1(VALU_DEP_1)
	v_add_f32_e32 v21, v21, v22
	v_add_f32_e32 v21, v28, v21
	s_delay_alu instid0(VALU_DEP_1) | instskip(NEXT) | instid1(VALU_DEP_1)
	v_cndmask_b32_e64 v21, v21, v23, s27
	v_add_f32_e32 v21, v19, v21
.LBB511_54:
	s_or_b32 exec_lo, exec_lo, s28
	s_delay_alu instid0(VALU_DEP_1) | instskip(SKIP_1) | instid1(VALU_DEP_2)
	v_bfe_u32 v19, v21, 16, 1
	v_cmp_o_f32_e64 s27, v21, v21
	v_add3_u32 v19, v21, v19, 0x7fff
	s_delay_alu instid0(VALU_DEP_1) | instskip(NEXT) | instid1(VALU_DEP_1)
	v_and_b32_e32 v19, 0xffff0000, v19
	v_cndmask_b32_e64 v22, 0x7fc00000, v19, s27
	s_delay_alu instid0(VALU_DEP_1) | instskip(SKIP_2) | instid1(VALU_DEP_2)
	v_max_f32_e32 v19, v22, v22
	v_and_b32_e32 v10, 0xffff0000, v10
	v_cmp_u_f32_e64 s27, v22, v22
	v_max_f32_e32 v21, v10, v10
	s_delay_alu instid0(VALU_DEP_1) | instskip(SKIP_1) | instid1(VALU_DEP_2)
	v_min_f32_e32 v23, v19, v21
	v_max_f32_e32 v19, v19, v21
	v_cndmask_b32_e64 v23, v23, v22, s27
	s_delay_alu instid0(VALU_DEP_2) | instskip(SKIP_1) | instid1(VALU_DEP_1)
	v_cndmask_b32_e64 v19, v19, v22, s27
	v_cmp_u_f32_e64 s27, v10, v10
	v_cndmask_b32_e64 v23, v23, v10, s27
	s_delay_alu instid0(VALU_DEP_3) | instskip(NEXT) | instid1(VALU_DEP_2)
	v_cndmask_b32_e64 v19, v19, v10, s27
	v_cmp_class_f32_e64 s29, v23, 0x1f8
	s_delay_alu instid0(VALU_DEP_2) | instskip(NEXT) | instid1(VALU_DEP_1)
	v_cmp_neq_f32_e64 s28, v23, v19
	s_or_b32 s28, s28, s29
	s_delay_alu instid0(SALU_CYCLE_1)
	s_and_saveexec_b32 s29, s28
	s_cbranch_execz .LBB511_56
; %bb.55:
	v_sub_f32_e32 v22, v23, v19
	s_delay_alu instid0(VALU_DEP_1) | instskip(SKIP_1) | instid1(VALU_DEP_2)
	v_mul_f32_e32 v23, 0x3fb8aa3b, v22
	v_cmp_ngt_f32_e64 s28, 0xc2ce8ed0, v22
	v_fma_f32 v24, 0x3fb8aa3b, v22, -v23
	v_rndne_f32_e32 v25, v23
	s_delay_alu instid0(VALU_DEP_1) | instskip(NEXT) | instid1(VALU_DEP_1)
	v_dual_fmamk_f32 v24, v22, 0x32a5705f, v24 :: v_dual_sub_f32 v23, v23, v25
	v_add_f32_e32 v23, v23, v24
	v_cvt_i32_f32_e32 v24, v25
	s_delay_alu instid0(VALU_DEP_2) | instskip(SKIP_2) | instid1(VALU_DEP_1)
	v_exp_f32_e32 v23, v23
	s_waitcnt_depctr 0xfff
	v_ldexp_f32 v23, v23, v24
	v_cndmask_b32_e64 v23, 0, v23, s28
	v_cmp_nlt_f32_e64 s28, 0x42b17218, v22
	s_delay_alu instid0(VALU_DEP_1) | instskip(NEXT) | instid1(VALU_DEP_1)
	v_cndmask_b32_e64 v24, 0x7f800000, v23, s28
	v_add_f32_e32 v25, 1.0, v24
	v_cmp_gt_f32_e64 s30, 0x33800000, |v24|
	s_delay_alu instid0(VALU_DEP_2) | instskip(NEXT) | instid1(VALU_DEP_1)
	v_cvt_f64_f32_e32 v[22:23], v25
	v_frexp_exp_i32_f64_e32 v22, v[22:23]
	v_frexp_mant_f32_e32 v23, v25
	s_delay_alu instid0(VALU_DEP_1) | instskip(SKIP_1) | instid1(VALU_DEP_1)
	v_cmp_gt_f32_e64 s28, 0x3f2aaaab, v23
	v_add_f32_e32 v23, -1.0, v25
	v_sub_f32_e32 v27, v23, v25
	v_sub_f32_e32 v23, v24, v23
	s_delay_alu instid0(VALU_DEP_4) | instskip(SKIP_1) | instid1(VALU_DEP_1)
	v_subrev_co_ci_u32_e64 v22, s28, 0, v22, s28
	s_mov_b32 s28, 0x3e9b6dac
	v_sub_nc_u32_e32 v26, 0, v22
	v_cvt_f32_i32_e32 v22, v22
	s_delay_alu instid0(VALU_DEP_2) | instskip(NEXT) | instid1(VALU_DEP_1)
	v_ldexp_f32 v25, v25, v26
	v_dual_add_f32 v28, 1.0, v25 :: v_dual_add_f32 v27, 1.0, v27
	s_delay_alu instid0(VALU_DEP_1) | instskip(NEXT) | instid1(VALU_DEP_2)
	v_add_f32_e32 v23, v23, v27
	v_add_f32_e32 v27, -1.0, v28
	s_delay_alu instid0(VALU_DEP_2) | instskip(NEXT) | instid1(VALU_DEP_2)
	v_ldexp_f32 v23, v23, v26
	v_dual_add_f32 v26, -1.0, v25 :: v_dual_sub_f32 v27, v25, v27
	s_delay_alu instid0(VALU_DEP_1) | instskip(NEXT) | instid1(VALU_DEP_2)
	v_add_f32_e32 v29, 1.0, v26
	v_add_f32_e32 v27, v23, v27
	s_delay_alu instid0(VALU_DEP_2) | instskip(NEXT) | instid1(VALU_DEP_2)
	v_sub_f32_e32 v25, v25, v29
	v_add_f32_e32 v29, v28, v27
	s_delay_alu instid0(VALU_DEP_2) | instskip(NEXT) | instid1(VALU_DEP_2)
	v_add_f32_e32 v23, v23, v25
	v_rcp_f32_e32 v25, v29
	v_sub_f32_e32 v28, v28, v29
	s_delay_alu instid0(VALU_DEP_1) | instskip(NEXT) | instid1(VALU_DEP_1)
	v_dual_add_f32 v30, v26, v23 :: v_dual_add_f32 v27, v27, v28
	v_sub_f32_e32 v26, v26, v30
	s_waitcnt_depctr 0xfff
	v_mul_f32_e32 v31, v30, v25
	s_delay_alu instid0(VALU_DEP_1) | instskip(NEXT) | instid1(VALU_DEP_1)
	v_dual_add_f32 v23, v23, v26 :: v_dual_mul_f32 v32, v29, v31
	v_fma_f32 v28, v31, v29, -v32
	s_delay_alu instid0(VALU_DEP_1) | instskip(NEXT) | instid1(VALU_DEP_1)
	v_fmac_f32_e32 v28, v31, v27
	v_add_f32_e32 v33, v32, v28
	s_delay_alu instid0(VALU_DEP_1) | instskip(SKIP_1) | instid1(VALU_DEP_2)
	v_sub_f32_e32 v34, v30, v33
	v_sub_f32_e32 v26, v33, v32
	;; [unrolled: 1-line block ×3, first 2 shown]
	s_delay_alu instid0(VALU_DEP_2) | instskip(NEXT) | instid1(VALU_DEP_2)
	v_sub_f32_e32 v26, v26, v28
	v_sub_f32_e32 v30, v30, v33
	s_delay_alu instid0(VALU_DEP_1) | instskip(NEXT) | instid1(VALU_DEP_1)
	v_add_f32_e32 v23, v23, v30
	v_add_f32_e32 v23, v26, v23
	s_delay_alu instid0(VALU_DEP_1) | instskip(NEXT) | instid1(VALU_DEP_1)
	v_add_f32_e32 v26, v34, v23
	v_mul_f32_e32 v28, v25, v26
	s_delay_alu instid0(VALU_DEP_1) | instskip(NEXT) | instid1(VALU_DEP_1)
	v_dual_sub_f32 v33, v34, v26 :: v_dual_mul_f32 v30, v29, v28
	v_add_f32_e32 v23, v23, v33
	s_delay_alu instid0(VALU_DEP_2) | instskip(NEXT) | instid1(VALU_DEP_1)
	v_fma_f32 v29, v28, v29, -v30
	v_fmac_f32_e32 v29, v28, v27
	s_delay_alu instid0(VALU_DEP_1) | instskip(NEXT) | instid1(VALU_DEP_1)
	v_add_f32_e32 v27, v30, v29
	v_sub_f32_e32 v32, v26, v27
	v_sub_f32_e32 v30, v27, v30
	s_delay_alu instid0(VALU_DEP_2) | instskip(NEXT) | instid1(VALU_DEP_1)
	v_sub_f32_e32 v26, v26, v32
	v_sub_f32_e32 v26, v26, v27
	s_delay_alu instid0(VALU_DEP_3) | instskip(NEXT) | instid1(VALU_DEP_2)
	v_sub_f32_e32 v27, v30, v29
	v_add_f32_e32 v23, v23, v26
	v_add_f32_e32 v26, v31, v28
	s_delay_alu instid0(VALU_DEP_2) | instskip(NEXT) | instid1(VALU_DEP_2)
	v_add_f32_e32 v23, v27, v23
	v_sub_f32_e32 v27, v26, v31
	s_delay_alu instid0(VALU_DEP_2) | instskip(NEXT) | instid1(VALU_DEP_2)
	v_add_f32_e32 v23, v32, v23
	v_sub_f32_e32 v27, v28, v27
	s_delay_alu instid0(VALU_DEP_2) | instskip(NEXT) | instid1(VALU_DEP_1)
	v_mul_f32_e32 v23, v25, v23
	v_add_f32_e32 v23, v27, v23
	s_delay_alu instid0(VALU_DEP_1) | instskip(NEXT) | instid1(VALU_DEP_1)
	v_add_f32_e32 v25, v26, v23
	v_mul_f32_e32 v27, v25, v25
	s_delay_alu instid0(VALU_DEP_1) | instskip(SKIP_2) | instid1(VALU_DEP_3)
	v_fmaak_f32 v28, s28, v27, 0x3ecc95a3
	v_mul_f32_e32 v29, v25, v27
	v_cmp_eq_f32_e64 s28, 0x7f800000, v24
	v_fmaak_f32 v27, v27, v28, 0x3f2aaada
	v_ldexp_f32 v28, v25, 1
	v_sub_f32_e32 v25, v25, v26
	s_delay_alu instid0(VALU_DEP_4) | instskip(NEXT) | instid1(VALU_DEP_3)
	s_or_b32 s28, s28, s30
	v_mul_f32_e32 v27, v29, v27
	v_mul_f32_e32 v29, 0x3f317218, v22
	s_delay_alu instid0(VALU_DEP_2) | instskip(NEXT) | instid1(VALU_DEP_1)
	v_dual_sub_f32 v23, v23, v25 :: v_dual_add_f32 v26, v28, v27
	v_ldexp_f32 v23, v23, 1
	s_delay_alu instid0(VALU_DEP_2) | instskip(NEXT) | instid1(VALU_DEP_4)
	v_sub_f32_e32 v25, v26, v28
	v_fma_f32 v28, 0x3f317218, v22, -v29
	s_delay_alu instid0(VALU_DEP_1) | instskip(NEXT) | instid1(VALU_DEP_1)
	v_dual_sub_f32 v25, v27, v25 :: v_dual_fmamk_f32 v22, v22, 0xb102e308, v28
	v_add_f32_e32 v23, v23, v25
	s_delay_alu instid0(VALU_DEP_2) | instskip(NEXT) | instid1(VALU_DEP_2)
	v_add_f32_e32 v25, v29, v22
	v_add_f32_e32 v27, v26, v23
	s_delay_alu instid0(VALU_DEP_2) | instskip(NEXT) | instid1(VALU_DEP_2)
	v_sub_f32_e32 v29, v25, v29
	v_add_f32_e32 v28, v25, v27
	v_sub_f32_e32 v26, v27, v26
	s_delay_alu instid0(VALU_DEP_3) | instskip(NEXT) | instid1(VALU_DEP_2)
	v_sub_f32_e32 v22, v22, v29
	v_dual_sub_f32 v30, v28, v25 :: v_dual_sub_f32 v23, v23, v26
	s_delay_alu instid0(VALU_DEP_1) | instskip(NEXT) | instid1(VALU_DEP_2)
	v_sub_f32_e32 v31, v28, v30
	v_dual_sub_f32 v26, v27, v30 :: v_dual_add_f32 v27, v22, v23
	s_delay_alu instid0(VALU_DEP_2) | instskip(NEXT) | instid1(VALU_DEP_1)
	v_sub_f32_e32 v25, v25, v31
	v_dual_add_f32 v25, v26, v25 :: v_dual_sub_f32 v26, v27, v22
	s_delay_alu instid0(VALU_DEP_1) | instskip(NEXT) | instid1(VALU_DEP_2)
	v_add_f32_e32 v25, v27, v25
	v_sub_f32_e32 v27, v27, v26
	v_sub_f32_e32 v23, v23, v26
	s_delay_alu instid0(VALU_DEP_2) | instskip(NEXT) | instid1(VALU_DEP_1)
	v_dual_add_f32 v29, v28, v25 :: v_dual_sub_f32 v22, v22, v27
	v_sub_f32_e32 v26, v29, v28
	s_delay_alu instid0(VALU_DEP_2) | instskip(NEXT) | instid1(VALU_DEP_2)
	v_add_f32_e32 v22, v23, v22
	v_sub_f32_e32 v23, v25, v26
	s_delay_alu instid0(VALU_DEP_1) | instskip(NEXT) | instid1(VALU_DEP_1)
	v_add_f32_e32 v22, v22, v23
	v_add_f32_e32 v22, v29, v22
	s_delay_alu instid0(VALU_DEP_1) | instskip(NEXT) | instid1(VALU_DEP_1)
	v_cndmask_b32_e64 v22, v22, v24, s28
	v_add_f32_e32 v22, v19, v22
.LBB511_56:
	s_or_b32 exec_lo, exec_lo, s29
	s_delay_alu instid0(VALU_DEP_1) | instskip(SKIP_1) | instid1(VALU_DEP_2)
	v_bfe_u32 v19, v22, 16, 1
	v_cmp_o_f32_e64 s28, v22, v22
	v_add3_u32 v19, v22, v19, 0x7fff
	s_delay_alu instid0(VALU_DEP_1) | instskip(SKIP_1) | instid1(VALU_DEP_2)
	v_and_b32_e32 v23, 0xffff0000, v19
	v_lshlrev_b32_e32 v19, 16, v11
	v_cndmask_b32_e64 v24, 0x7fc00000, v23, s28
	s_delay_alu instid0(VALU_DEP_1) | instskip(SKIP_1) | instid1(VALU_DEP_2)
	v_dual_max_f32 v23, v19, v19 :: v_dual_max_f32 v22, v24, v24
	v_cmp_u_f32_e64 s28, v24, v24
	v_min_f32_e32 v25, v22, v23
	v_max_f32_e32 v22, v22, v23
	s_delay_alu instid0(VALU_DEP_2) | instskip(NEXT) | instid1(VALU_DEP_2)
	v_cndmask_b32_e64 v25, v25, v24, s28
	v_cndmask_b32_e64 v22, v22, v24, s28
	v_cmp_u_f32_e64 s28, v19, v19
	s_delay_alu instid0(VALU_DEP_1) | instskip(NEXT) | instid1(VALU_DEP_3)
	v_cndmask_b32_e64 v25, v25, v19, s28
	v_cndmask_b32_e64 v22, v22, v19, s28
	s_delay_alu instid0(VALU_DEP_2) | instskip(NEXT) | instid1(VALU_DEP_2)
	v_cmp_class_f32_e64 s30, v25, 0x1f8
	v_cmp_neq_f32_e64 s29, v25, v22
	s_delay_alu instid0(VALU_DEP_1) | instskip(NEXT) | instid1(SALU_CYCLE_1)
	s_or_b32 s29, s29, s30
	s_and_saveexec_b32 s30, s29
	s_cbranch_execz .LBB511_58
; %bb.57:
	v_sub_f32_e32 v24, v25, v22
	s_delay_alu instid0(VALU_DEP_1) | instskip(SKIP_1) | instid1(VALU_DEP_2)
	v_mul_f32_e32 v25, 0x3fb8aa3b, v24
	v_cmp_ngt_f32_e64 s29, 0xc2ce8ed0, v24
	v_fma_f32 v26, 0x3fb8aa3b, v24, -v25
	v_rndne_f32_e32 v27, v25
	s_delay_alu instid0(VALU_DEP_1) | instskip(NEXT) | instid1(VALU_DEP_1)
	v_dual_fmamk_f32 v26, v24, 0x32a5705f, v26 :: v_dual_sub_f32 v25, v25, v27
	v_add_f32_e32 v25, v25, v26
	v_cvt_i32_f32_e32 v26, v27
	s_delay_alu instid0(VALU_DEP_2) | instskip(SKIP_2) | instid1(VALU_DEP_1)
	v_exp_f32_e32 v25, v25
	s_waitcnt_depctr 0xfff
	v_ldexp_f32 v25, v25, v26
	v_cndmask_b32_e64 v25, 0, v25, s29
	v_cmp_nlt_f32_e64 s29, 0x42b17218, v24
	s_delay_alu instid0(VALU_DEP_1) | instskip(NEXT) | instid1(VALU_DEP_1)
	v_cndmask_b32_e64 v26, 0x7f800000, v25, s29
	v_add_f32_e32 v27, 1.0, v26
	v_cmp_gt_f32_e64 s31, 0x33800000, |v26|
	s_delay_alu instid0(VALU_DEP_2) | instskip(NEXT) | instid1(VALU_DEP_1)
	v_cvt_f64_f32_e32 v[24:25], v27
	v_frexp_exp_i32_f64_e32 v24, v[24:25]
	v_frexp_mant_f32_e32 v25, v27
	s_delay_alu instid0(VALU_DEP_1) | instskip(SKIP_1) | instid1(VALU_DEP_1)
	v_cmp_gt_f32_e64 s29, 0x3f2aaaab, v25
	v_add_f32_e32 v25, -1.0, v27
	v_sub_f32_e32 v29, v25, v27
	v_sub_f32_e32 v25, v26, v25
	s_delay_alu instid0(VALU_DEP_4) | instskip(SKIP_1) | instid1(VALU_DEP_1)
	v_subrev_co_ci_u32_e64 v24, s29, 0, v24, s29
	s_mov_b32 s29, 0x3e9b6dac
	v_sub_nc_u32_e32 v28, 0, v24
	v_cvt_f32_i32_e32 v24, v24
	s_delay_alu instid0(VALU_DEP_2) | instskip(NEXT) | instid1(VALU_DEP_1)
	v_ldexp_f32 v27, v27, v28
	v_dual_add_f32 v30, 1.0, v27 :: v_dual_add_f32 v29, 1.0, v29
	s_delay_alu instid0(VALU_DEP_1) | instskip(NEXT) | instid1(VALU_DEP_2)
	v_add_f32_e32 v25, v25, v29
	v_add_f32_e32 v29, -1.0, v30
	s_delay_alu instid0(VALU_DEP_2) | instskip(NEXT) | instid1(VALU_DEP_2)
	v_ldexp_f32 v25, v25, v28
	v_dual_add_f32 v28, -1.0, v27 :: v_dual_sub_f32 v29, v27, v29
	s_delay_alu instid0(VALU_DEP_1) | instskip(NEXT) | instid1(VALU_DEP_2)
	v_add_f32_e32 v31, 1.0, v28
	v_add_f32_e32 v29, v25, v29
	s_delay_alu instid0(VALU_DEP_2) | instskip(NEXT) | instid1(VALU_DEP_2)
	v_sub_f32_e32 v27, v27, v31
	v_add_f32_e32 v31, v30, v29
	s_delay_alu instid0(VALU_DEP_2) | instskip(NEXT) | instid1(VALU_DEP_2)
	v_add_f32_e32 v25, v25, v27
	v_rcp_f32_e32 v27, v31
	v_sub_f32_e32 v30, v30, v31
	s_delay_alu instid0(VALU_DEP_1) | instskip(NEXT) | instid1(VALU_DEP_1)
	v_dual_add_f32 v32, v28, v25 :: v_dual_add_f32 v29, v29, v30
	v_sub_f32_e32 v28, v28, v32
	s_waitcnt_depctr 0xfff
	v_mul_f32_e32 v33, v32, v27
	s_delay_alu instid0(VALU_DEP_1) | instskip(NEXT) | instid1(VALU_DEP_1)
	v_dual_add_f32 v25, v25, v28 :: v_dual_mul_f32 v34, v31, v33
	v_fma_f32 v30, v33, v31, -v34
	s_delay_alu instid0(VALU_DEP_1) | instskip(NEXT) | instid1(VALU_DEP_1)
	v_fmac_f32_e32 v30, v33, v29
	v_add_f32_e32 v35, v34, v30
	s_delay_alu instid0(VALU_DEP_1) | instskip(SKIP_1) | instid1(VALU_DEP_2)
	v_sub_f32_e32 v36, v32, v35
	v_sub_f32_e32 v28, v35, v34
	;; [unrolled: 1-line block ×3, first 2 shown]
	s_delay_alu instid0(VALU_DEP_2) | instskip(NEXT) | instid1(VALU_DEP_2)
	v_sub_f32_e32 v28, v28, v30
	v_sub_f32_e32 v32, v32, v35
	s_delay_alu instid0(VALU_DEP_1) | instskip(NEXT) | instid1(VALU_DEP_1)
	v_add_f32_e32 v25, v25, v32
	v_add_f32_e32 v25, v28, v25
	s_delay_alu instid0(VALU_DEP_1) | instskip(NEXT) | instid1(VALU_DEP_1)
	v_add_f32_e32 v28, v36, v25
	v_mul_f32_e32 v30, v27, v28
	s_delay_alu instid0(VALU_DEP_1) | instskip(NEXT) | instid1(VALU_DEP_1)
	v_dual_sub_f32 v35, v36, v28 :: v_dual_mul_f32 v32, v31, v30
	v_add_f32_e32 v25, v25, v35
	s_delay_alu instid0(VALU_DEP_2) | instskip(NEXT) | instid1(VALU_DEP_1)
	v_fma_f32 v31, v30, v31, -v32
	v_fmac_f32_e32 v31, v30, v29
	s_delay_alu instid0(VALU_DEP_1) | instskip(NEXT) | instid1(VALU_DEP_1)
	v_add_f32_e32 v29, v32, v31
	v_sub_f32_e32 v34, v28, v29
	v_sub_f32_e32 v32, v29, v32
	s_delay_alu instid0(VALU_DEP_2) | instskip(NEXT) | instid1(VALU_DEP_1)
	v_sub_f32_e32 v28, v28, v34
	v_sub_f32_e32 v28, v28, v29
	s_delay_alu instid0(VALU_DEP_3) | instskip(NEXT) | instid1(VALU_DEP_2)
	v_sub_f32_e32 v29, v32, v31
	v_add_f32_e32 v25, v25, v28
	v_add_f32_e32 v28, v33, v30
	s_delay_alu instid0(VALU_DEP_2) | instskip(NEXT) | instid1(VALU_DEP_2)
	v_add_f32_e32 v25, v29, v25
	v_sub_f32_e32 v29, v28, v33
	s_delay_alu instid0(VALU_DEP_2) | instskip(NEXT) | instid1(VALU_DEP_2)
	v_add_f32_e32 v25, v34, v25
	v_sub_f32_e32 v29, v30, v29
	s_delay_alu instid0(VALU_DEP_2) | instskip(NEXT) | instid1(VALU_DEP_1)
	v_mul_f32_e32 v25, v27, v25
	v_add_f32_e32 v25, v29, v25
	s_delay_alu instid0(VALU_DEP_1) | instskip(NEXT) | instid1(VALU_DEP_1)
	v_add_f32_e32 v27, v28, v25
	v_mul_f32_e32 v29, v27, v27
	s_delay_alu instid0(VALU_DEP_1) | instskip(SKIP_2) | instid1(VALU_DEP_3)
	v_fmaak_f32 v30, s29, v29, 0x3ecc95a3
	v_mul_f32_e32 v31, v27, v29
	v_cmp_eq_f32_e64 s29, 0x7f800000, v26
	v_fmaak_f32 v29, v29, v30, 0x3f2aaada
	v_ldexp_f32 v30, v27, 1
	v_sub_f32_e32 v27, v27, v28
	s_delay_alu instid0(VALU_DEP_4) | instskip(NEXT) | instid1(VALU_DEP_3)
	s_or_b32 s29, s29, s31
	v_mul_f32_e32 v29, v31, v29
	v_mul_f32_e32 v31, 0x3f317218, v24
	s_delay_alu instid0(VALU_DEP_2) | instskip(NEXT) | instid1(VALU_DEP_1)
	v_dual_sub_f32 v25, v25, v27 :: v_dual_add_f32 v28, v30, v29
	v_ldexp_f32 v25, v25, 1
	s_delay_alu instid0(VALU_DEP_2) | instskip(NEXT) | instid1(VALU_DEP_4)
	v_sub_f32_e32 v27, v28, v30
	v_fma_f32 v30, 0x3f317218, v24, -v31
	s_delay_alu instid0(VALU_DEP_1) | instskip(NEXT) | instid1(VALU_DEP_1)
	v_dual_sub_f32 v27, v29, v27 :: v_dual_fmamk_f32 v24, v24, 0xb102e308, v30
	v_add_f32_e32 v25, v25, v27
	s_delay_alu instid0(VALU_DEP_2) | instskip(NEXT) | instid1(VALU_DEP_2)
	v_add_f32_e32 v27, v31, v24
	v_add_f32_e32 v29, v28, v25
	s_delay_alu instid0(VALU_DEP_2) | instskip(NEXT) | instid1(VALU_DEP_2)
	v_sub_f32_e32 v31, v27, v31
	v_add_f32_e32 v30, v27, v29
	v_sub_f32_e32 v28, v29, v28
	s_delay_alu instid0(VALU_DEP_3) | instskip(NEXT) | instid1(VALU_DEP_2)
	v_sub_f32_e32 v24, v24, v31
	v_dual_sub_f32 v32, v30, v27 :: v_dual_sub_f32 v25, v25, v28
	s_delay_alu instid0(VALU_DEP_1) | instskip(NEXT) | instid1(VALU_DEP_2)
	v_sub_f32_e32 v33, v30, v32
	v_dual_sub_f32 v28, v29, v32 :: v_dual_add_f32 v29, v24, v25
	s_delay_alu instid0(VALU_DEP_2) | instskip(NEXT) | instid1(VALU_DEP_1)
	v_sub_f32_e32 v27, v27, v33
	v_dual_add_f32 v27, v28, v27 :: v_dual_sub_f32 v28, v29, v24
	s_delay_alu instid0(VALU_DEP_1) | instskip(NEXT) | instid1(VALU_DEP_2)
	v_add_f32_e32 v27, v29, v27
	v_sub_f32_e32 v29, v29, v28
	v_sub_f32_e32 v25, v25, v28
	s_delay_alu instid0(VALU_DEP_2) | instskip(NEXT) | instid1(VALU_DEP_1)
	v_dual_add_f32 v31, v30, v27 :: v_dual_sub_f32 v24, v24, v29
	v_sub_f32_e32 v28, v31, v30
	s_delay_alu instid0(VALU_DEP_2) | instskip(NEXT) | instid1(VALU_DEP_2)
	v_add_f32_e32 v24, v25, v24
	v_sub_f32_e32 v25, v27, v28
	s_delay_alu instid0(VALU_DEP_1) | instskip(NEXT) | instid1(VALU_DEP_1)
	v_add_f32_e32 v24, v24, v25
	v_add_f32_e32 v24, v31, v24
	s_delay_alu instid0(VALU_DEP_1) | instskip(NEXT) | instid1(VALU_DEP_1)
	v_cndmask_b32_e64 v24, v24, v26, s29
	v_add_f32_e32 v24, v22, v24
.LBB511_58:
	s_or_b32 exec_lo, exec_lo, s30
	s_delay_alu instid0(VALU_DEP_1) | instskip(SKIP_1) | instid1(VALU_DEP_2)
	v_bfe_u32 v22, v24, 16, 1
	v_cmp_o_f32_e64 s29, v24, v24
	v_add3_u32 v22, v24, v22, 0x7fff
	s_delay_alu instid0(VALU_DEP_1) | instskip(NEXT) | instid1(VALU_DEP_1)
	v_and_b32_e32 v22, 0xffff0000, v22
	v_cndmask_b32_e64 v25, 0x7fc00000, v22, s29
	s_delay_alu instid0(VALU_DEP_1) | instskip(NEXT) | instid1(VALU_DEP_1)
	v_dual_max_f32 v22, v25, v25 :: v_dual_and_b32 v11, 0xffff0000, v11
	v_max_f32_e32 v24, v11, v11
	v_cmp_u_f32_e64 s29, v25, v25
	s_delay_alu instid0(VALU_DEP_2) | instskip(SKIP_1) | instid1(VALU_DEP_2)
	v_min_f32_e32 v26, v22, v24
	v_max_f32_e32 v22, v22, v24
	v_cndmask_b32_e64 v26, v26, v25, s29
	s_delay_alu instid0(VALU_DEP_2) | instskip(SKIP_1) | instid1(VALU_DEP_1)
	v_cndmask_b32_e64 v22, v22, v25, s29
	v_cmp_u_f32_e64 s29, v11, v11
	v_cndmask_b32_e64 v26, v26, v11, s29
	s_delay_alu instid0(VALU_DEP_3) | instskip(NEXT) | instid1(VALU_DEP_2)
	v_cndmask_b32_e64 v22, v22, v11, s29
	v_cmp_class_f32_e64 s31, v26, 0x1f8
	s_delay_alu instid0(VALU_DEP_2) | instskip(NEXT) | instid1(VALU_DEP_1)
	v_cmp_neq_f32_e64 s30, v26, v22
	s_or_b32 s30, s30, s31
	s_delay_alu instid0(SALU_CYCLE_1)
	s_and_saveexec_b32 s31, s30
	s_cbranch_execz .LBB511_60
; %bb.59:
	v_sub_f32_e32 v25, v26, v22
	s_delay_alu instid0(VALU_DEP_1) | instskip(SKIP_1) | instid1(VALU_DEP_2)
	v_mul_f32_e32 v26, 0x3fb8aa3b, v25
	v_cmp_ngt_f32_e64 s30, 0xc2ce8ed0, v25
	v_fma_f32 v27, 0x3fb8aa3b, v25, -v26
	v_rndne_f32_e32 v28, v26
	s_delay_alu instid0(VALU_DEP_1) | instskip(NEXT) | instid1(VALU_DEP_1)
	v_dual_fmamk_f32 v27, v25, 0x32a5705f, v27 :: v_dual_sub_f32 v26, v26, v28
	v_add_f32_e32 v26, v26, v27
	v_cvt_i32_f32_e32 v27, v28
	s_delay_alu instid0(VALU_DEP_2) | instskip(SKIP_2) | instid1(VALU_DEP_1)
	v_exp_f32_e32 v26, v26
	s_waitcnt_depctr 0xfff
	v_ldexp_f32 v26, v26, v27
	v_cndmask_b32_e64 v26, 0, v26, s30
	v_cmp_nlt_f32_e64 s30, 0x42b17218, v25
	s_delay_alu instid0(VALU_DEP_1) | instskip(NEXT) | instid1(VALU_DEP_1)
	v_cndmask_b32_e64 v27, 0x7f800000, v26, s30
	v_add_f32_e32 v28, 1.0, v27
	v_cmp_gt_f32_e64 s33, 0x33800000, |v27|
	s_delay_alu instid0(VALU_DEP_2) | instskip(NEXT) | instid1(VALU_DEP_1)
	v_cvt_f64_f32_e32 v[25:26], v28
	v_frexp_exp_i32_f64_e32 v25, v[25:26]
	v_frexp_mant_f32_e32 v26, v28
	s_delay_alu instid0(VALU_DEP_1) | instskip(SKIP_1) | instid1(VALU_DEP_1)
	v_cmp_gt_f32_e64 s30, 0x3f2aaaab, v26
	v_add_f32_e32 v26, -1.0, v28
	v_sub_f32_e32 v30, v26, v28
	v_sub_f32_e32 v26, v27, v26
	s_delay_alu instid0(VALU_DEP_4) | instskip(SKIP_1) | instid1(VALU_DEP_1)
	v_subrev_co_ci_u32_e64 v25, s30, 0, v25, s30
	s_mov_b32 s30, 0x3e9b6dac
	v_sub_nc_u32_e32 v29, 0, v25
	v_cvt_f32_i32_e32 v25, v25
	s_delay_alu instid0(VALU_DEP_2) | instskip(NEXT) | instid1(VALU_DEP_1)
	v_ldexp_f32 v28, v28, v29
	v_dual_add_f32 v31, 1.0, v28 :: v_dual_add_f32 v30, 1.0, v30
	s_delay_alu instid0(VALU_DEP_1) | instskip(NEXT) | instid1(VALU_DEP_2)
	v_add_f32_e32 v26, v26, v30
	v_add_f32_e32 v30, -1.0, v31
	s_delay_alu instid0(VALU_DEP_2) | instskip(NEXT) | instid1(VALU_DEP_2)
	v_ldexp_f32 v26, v26, v29
	v_dual_add_f32 v29, -1.0, v28 :: v_dual_sub_f32 v30, v28, v30
	s_delay_alu instid0(VALU_DEP_1) | instskip(NEXT) | instid1(VALU_DEP_2)
	v_add_f32_e32 v32, 1.0, v29
	v_add_f32_e32 v30, v26, v30
	s_delay_alu instid0(VALU_DEP_2) | instskip(NEXT) | instid1(VALU_DEP_2)
	v_sub_f32_e32 v28, v28, v32
	v_add_f32_e32 v32, v31, v30
	s_delay_alu instid0(VALU_DEP_2) | instskip(NEXT) | instid1(VALU_DEP_2)
	v_add_f32_e32 v26, v26, v28
	v_rcp_f32_e32 v28, v32
	v_sub_f32_e32 v31, v31, v32
	s_delay_alu instid0(VALU_DEP_1) | instskip(NEXT) | instid1(VALU_DEP_1)
	v_dual_add_f32 v33, v29, v26 :: v_dual_add_f32 v30, v30, v31
	v_sub_f32_e32 v29, v29, v33
	s_waitcnt_depctr 0xfff
	v_mul_f32_e32 v34, v33, v28
	s_delay_alu instid0(VALU_DEP_1) | instskip(NEXT) | instid1(VALU_DEP_1)
	v_dual_add_f32 v26, v26, v29 :: v_dual_mul_f32 v35, v32, v34
	v_fma_f32 v31, v34, v32, -v35
	s_delay_alu instid0(VALU_DEP_1) | instskip(NEXT) | instid1(VALU_DEP_1)
	v_fmac_f32_e32 v31, v34, v30
	v_add_f32_e32 v36, v35, v31
	s_delay_alu instid0(VALU_DEP_1) | instskip(SKIP_1) | instid1(VALU_DEP_2)
	v_sub_f32_e32 v37, v33, v36
	v_sub_f32_e32 v29, v36, v35
	v_sub_f32_e32 v33, v33, v37
	s_delay_alu instid0(VALU_DEP_2) | instskip(NEXT) | instid1(VALU_DEP_2)
	v_sub_f32_e32 v29, v29, v31
	v_sub_f32_e32 v33, v33, v36
	s_delay_alu instid0(VALU_DEP_1) | instskip(NEXT) | instid1(VALU_DEP_1)
	v_add_f32_e32 v26, v26, v33
	v_add_f32_e32 v26, v29, v26
	s_delay_alu instid0(VALU_DEP_1) | instskip(NEXT) | instid1(VALU_DEP_1)
	v_add_f32_e32 v29, v37, v26
	v_mul_f32_e32 v31, v28, v29
	s_delay_alu instid0(VALU_DEP_1) | instskip(NEXT) | instid1(VALU_DEP_1)
	v_dual_sub_f32 v36, v37, v29 :: v_dual_mul_f32 v33, v32, v31
	v_add_f32_e32 v26, v26, v36
	s_delay_alu instid0(VALU_DEP_2) | instskip(NEXT) | instid1(VALU_DEP_1)
	v_fma_f32 v32, v31, v32, -v33
	v_fmac_f32_e32 v32, v31, v30
	s_delay_alu instid0(VALU_DEP_1) | instskip(NEXT) | instid1(VALU_DEP_1)
	v_add_f32_e32 v30, v33, v32
	v_sub_f32_e32 v35, v29, v30
	v_sub_f32_e32 v33, v30, v33
	s_delay_alu instid0(VALU_DEP_2) | instskip(NEXT) | instid1(VALU_DEP_1)
	v_sub_f32_e32 v29, v29, v35
	v_sub_f32_e32 v29, v29, v30
	s_delay_alu instid0(VALU_DEP_3) | instskip(NEXT) | instid1(VALU_DEP_2)
	v_sub_f32_e32 v30, v33, v32
	v_add_f32_e32 v26, v26, v29
	v_add_f32_e32 v29, v34, v31
	s_delay_alu instid0(VALU_DEP_2) | instskip(NEXT) | instid1(VALU_DEP_2)
	v_add_f32_e32 v26, v30, v26
	v_sub_f32_e32 v30, v29, v34
	s_delay_alu instid0(VALU_DEP_2) | instskip(NEXT) | instid1(VALU_DEP_2)
	v_add_f32_e32 v26, v35, v26
	v_sub_f32_e32 v30, v31, v30
	s_delay_alu instid0(VALU_DEP_2) | instskip(NEXT) | instid1(VALU_DEP_1)
	v_mul_f32_e32 v26, v28, v26
	v_add_f32_e32 v26, v30, v26
	s_delay_alu instid0(VALU_DEP_1) | instskip(NEXT) | instid1(VALU_DEP_1)
	v_add_f32_e32 v28, v29, v26
	v_mul_f32_e32 v30, v28, v28
	s_delay_alu instid0(VALU_DEP_1) | instskip(SKIP_2) | instid1(VALU_DEP_3)
	v_fmaak_f32 v31, s30, v30, 0x3ecc95a3
	v_mul_f32_e32 v32, v28, v30
	v_cmp_eq_f32_e64 s30, 0x7f800000, v27
	v_fmaak_f32 v30, v30, v31, 0x3f2aaada
	v_ldexp_f32 v31, v28, 1
	v_sub_f32_e32 v28, v28, v29
	s_delay_alu instid0(VALU_DEP_4) | instskip(NEXT) | instid1(VALU_DEP_3)
	s_or_b32 s30, s30, s33
	v_mul_f32_e32 v30, v32, v30
	v_mul_f32_e32 v32, 0x3f317218, v25
	s_delay_alu instid0(VALU_DEP_2) | instskip(NEXT) | instid1(VALU_DEP_1)
	v_dual_sub_f32 v26, v26, v28 :: v_dual_add_f32 v29, v31, v30
	v_ldexp_f32 v26, v26, 1
	s_delay_alu instid0(VALU_DEP_2) | instskip(NEXT) | instid1(VALU_DEP_4)
	v_sub_f32_e32 v28, v29, v31
	v_fma_f32 v31, 0x3f317218, v25, -v32
	s_delay_alu instid0(VALU_DEP_1) | instskip(NEXT) | instid1(VALU_DEP_1)
	v_dual_sub_f32 v28, v30, v28 :: v_dual_fmamk_f32 v25, v25, 0xb102e308, v31
	v_add_f32_e32 v26, v26, v28
	s_delay_alu instid0(VALU_DEP_2) | instskip(NEXT) | instid1(VALU_DEP_2)
	v_add_f32_e32 v28, v32, v25
	v_add_f32_e32 v30, v29, v26
	s_delay_alu instid0(VALU_DEP_2) | instskip(NEXT) | instid1(VALU_DEP_2)
	v_sub_f32_e32 v32, v28, v32
	v_add_f32_e32 v31, v28, v30
	v_sub_f32_e32 v29, v30, v29
	s_delay_alu instid0(VALU_DEP_3) | instskip(NEXT) | instid1(VALU_DEP_2)
	v_sub_f32_e32 v25, v25, v32
	v_dual_sub_f32 v33, v31, v28 :: v_dual_sub_f32 v26, v26, v29
	s_delay_alu instid0(VALU_DEP_1) | instskip(NEXT) | instid1(VALU_DEP_2)
	v_sub_f32_e32 v34, v31, v33
	v_dual_sub_f32 v29, v30, v33 :: v_dual_add_f32 v30, v25, v26
	s_delay_alu instid0(VALU_DEP_2) | instskip(NEXT) | instid1(VALU_DEP_1)
	v_sub_f32_e32 v28, v28, v34
	v_dual_add_f32 v28, v29, v28 :: v_dual_sub_f32 v29, v30, v25
	s_delay_alu instid0(VALU_DEP_1) | instskip(NEXT) | instid1(VALU_DEP_2)
	v_add_f32_e32 v28, v30, v28
	v_sub_f32_e32 v30, v30, v29
	v_sub_f32_e32 v26, v26, v29
	s_delay_alu instid0(VALU_DEP_2) | instskip(NEXT) | instid1(VALU_DEP_1)
	v_dual_add_f32 v32, v31, v28 :: v_dual_sub_f32 v25, v25, v30
	v_sub_f32_e32 v29, v32, v31
	s_delay_alu instid0(VALU_DEP_2) | instskip(NEXT) | instid1(VALU_DEP_2)
	v_add_f32_e32 v25, v26, v25
	v_sub_f32_e32 v26, v28, v29
	s_delay_alu instid0(VALU_DEP_1) | instskip(NEXT) | instid1(VALU_DEP_1)
	v_add_f32_e32 v25, v25, v26
	v_add_f32_e32 v25, v32, v25
	s_delay_alu instid0(VALU_DEP_1) | instskip(NEXT) | instid1(VALU_DEP_1)
	v_cndmask_b32_e64 v25, v25, v27, s30
	v_add_f32_e32 v25, v22, v25
.LBB511_60:
	s_or_b32 exec_lo, exec_lo, s31
	s_delay_alu instid0(VALU_DEP_1) | instskip(SKIP_1) | instid1(VALU_DEP_2)
	v_bfe_u32 v22, v25, 16, 1
	v_cmp_o_f32_e64 s30, v25, v25
	v_add3_u32 v22, v25, v22, 0x7fff
	s_delay_alu instid0(VALU_DEP_1) | instskip(NEXT) | instid1(VALU_DEP_1)
	v_and_b32_e32 v26, 0xffff0000, v22
	v_cndmask_b32_e64 v27, 0x7fc00000, v26, s30
	s_delay_alu instid0(VALU_DEP_1) | instskip(SKIP_1) | instid1(VALU_DEP_2)
	v_dual_max_f32 v25, v27, v27 :: v_dual_lshlrev_b32 v22, 16, v8
	v_cmp_u_f32_e64 s30, v27, v27
	v_max_f32_e32 v26, v22, v22
	s_delay_alu instid0(VALU_DEP_1) | instskip(SKIP_1) | instid1(VALU_DEP_2)
	v_min_f32_e32 v28, v25, v26
	v_max_f32_e32 v25, v25, v26
	v_cndmask_b32_e64 v28, v28, v27, s30
	s_delay_alu instid0(VALU_DEP_2) | instskip(SKIP_1) | instid1(VALU_DEP_1)
	v_cndmask_b32_e64 v25, v25, v27, s30
	v_cmp_u_f32_e64 s30, v22, v22
	v_cndmask_b32_e64 v28, v28, v22, s30
	s_delay_alu instid0(VALU_DEP_3) | instskip(NEXT) | instid1(VALU_DEP_2)
	v_cndmask_b32_e64 v25, v25, v22, s30
	v_cmp_class_f32_e64 s33, v28, 0x1f8
	s_delay_alu instid0(VALU_DEP_2) | instskip(NEXT) | instid1(VALU_DEP_1)
	v_cmp_neq_f32_e64 s31, v28, v25
	s_or_b32 s31, s31, s33
	s_delay_alu instid0(SALU_CYCLE_1)
	s_and_saveexec_b32 s33, s31
	s_cbranch_execz .LBB511_62
; %bb.61:
	v_sub_f32_e32 v27, v28, v25
	s_delay_alu instid0(VALU_DEP_1) | instskip(SKIP_1) | instid1(VALU_DEP_2)
	v_mul_f32_e32 v28, 0x3fb8aa3b, v27
	v_cmp_ngt_f32_e64 s31, 0xc2ce8ed0, v27
	v_fma_f32 v29, 0x3fb8aa3b, v27, -v28
	v_rndne_f32_e32 v30, v28
	s_delay_alu instid0(VALU_DEP_1) | instskip(NEXT) | instid1(VALU_DEP_1)
	v_dual_fmamk_f32 v29, v27, 0x32a5705f, v29 :: v_dual_sub_f32 v28, v28, v30
	v_add_f32_e32 v28, v28, v29
	v_cvt_i32_f32_e32 v29, v30
	s_delay_alu instid0(VALU_DEP_2) | instskip(SKIP_2) | instid1(VALU_DEP_1)
	v_exp_f32_e32 v28, v28
	s_waitcnt_depctr 0xfff
	v_ldexp_f32 v28, v28, v29
	v_cndmask_b32_e64 v28, 0, v28, s31
	v_cmp_nlt_f32_e64 s31, 0x42b17218, v27
	s_delay_alu instid0(VALU_DEP_1) | instskip(NEXT) | instid1(VALU_DEP_1)
	v_cndmask_b32_e64 v29, 0x7f800000, v28, s31
	v_add_f32_e32 v30, 1.0, v29
	v_cmp_gt_f32_e64 s34, 0x33800000, |v29|
	s_delay_alu instid0(VALU_DEP_2) | instskip(NEXT) | instid1(VALU_DEP_1)
	v_cvt_f64_f32_e32 v[27:28], v30
	v_frexp_exp_i32_f64_e32 v27, v[27:28]
	v_frexp_mant_f32_e32 v28, v30
	s_delay_alu instid0(VALU_DEP_1) | instskip(SKIP_1) | instid1(VALU_DEP_1)
	v_cmp_gt_f32_e64 s31, 0x3f2aaaab, v28
	v_add_f32_e32 v28, -1.0, v30
	v_sub_f32_e32 v32, v28, v30
	v_sub_f32_e32 v28, v29, v28
	s_delay_alu instid0(VALU_DEP_4) | instskip(SKIP_1) | instid1(VALU_DEP_1)
	v_subrev_co_ci_u32_e64 v27, s31, 0, v27, s31
	s_mov_b32 s31, 0x3e9b6dac
	v_sub_nc_u32_e32 v31, 0, v27
	v_cvt_f32_i32_e32 v27, v27
	s_delay_alu instid0(VALU_DEP_2) | instskip(NEXT) | instid1(VALU_DEP_1)
	v_ldexp_f32 v30, v30, v31
	v_dual_add_f32 v33, 1.0, v30 :: v_dual_add_f32 v32, 1.0, v32
	s_delay_alu instid0(VALU_DEP_1) | instskip(NEXT) | instid1(VALU_DEP_2)
	v_add_f32_e32 v28, v28, v32
	v_add_f32_e32 v32, -1.0, v33
	s_delay_alu instid0(VALU_DEP_2) | instskip(NEXT) | instid1(VALU_DEP_2)
	v_ldexp_f32 v28, v28, v31
	v_dual_add_f32 v31, -1.0, v30 :: v_dual_sub_f32 v32, v30, v32
	s_delay_alu instid0(VALU_DEP_1) | instskip(NEXT) | instid1(VALU_DEP_2)
	v_add_f32_e32 v34, 1.0, v31
	v_add_f32_e32 v32, v28, v32
	s_delay_alu instid0(VALU_DEP_2) | instskip(NEXT) | instid1(VALU_DEP_2)
	v_sub_f32_e32 v30, v30, v34
	v_add_f32_e32 v34, v33, v32
	s_delay_alu instid0(VALU_DEP_2) | instskip(NEXT) | instid1(VALU_DEP_2)
	v_add_f32_e32 v28, v28, v30
	v_rcp_f32_e32 v30, v34
	v_sub_f32_e32 v33, v33, v34
	s_delay_alu instid0(VALU_DEP_1) | instskip(NEXT) | instid1(VALU_DEP_1)
	v_dual_add_f32 v35, v31, v28 :: v_dual_add_f32 v32, v32, v33
	v_sub_f32_e32 v31, v31, v35
	s_waitcnt_depctr 0xfff
	v_mul_f32_e32 v36, v35, v30
	s_delay_alu instid0(VALU_DEP_1) | instskip(NEXT) | instid1(VALU_DEP_1)
	v_dual_add_f32 v28, v28, v31 :: v_dual_mul_f32 v37, v34, v36
	v_fma_f32 v33, v36, v34, -v37
	s_delay_alu instid0(VALU_DEP_1) | instskip(NEXT) | instid1(VALU_DEP_1)
	v_fmac_f32_e32 v33, v36, v32
	v_add_f32_e32 v38, v37, v33
	s_delay_alu instid0(VALU_DEP_1) | instskip(SKIP_1) | instid1(VALU_DEP_2)
	v_sub_f32_e32 v39, v35, v38
	v_sub_f32_e32 v31, v38, v37
	;; [unrolled: 1-line block ×3, first 2 shown]
	s_delay_alu instid0(VALU_DEP_2) | instskip(NEXT) | instid1(VALU_DEP_2)
	v_sub_f32_e32 v31, v31, v33
	v_sub_f32_e32 v35, v35, v38
	s_delay_alu instid0(VALU_DEP_1) | instskip(NEXT) | instid1(VALU_DEP_1)
	v_add_f32_e32 v28, v28, v35
	v_add_f32_e32 v28, v31, v28
	s_delay_alu instid0(VALU_DEP_1) | instskip(NEXT) | instid1(VALU_DEP_1)
	v_add_f32_e32 v31, v39, v28
	v_mul_f32_e32 v33, v30, v31
	s_delay_alu instid0(VALU_DEP_1) | instskip(NEXT) | instid1(VALU_DEP_1)
	v_dual_sub_f32 v38, v39, v31 :: v_dual_mul_f32 v35, v34, v33
	v_add_f32_e32 v28, v28, v38
	s_delay_alu instid0(VALU_DEP_2) | instskip(NEXT) | instid1(VALU_DEP_1)
	v_fma_f32 v34, v33, v34, -v35
	v_fmac_f32_e32 v34, v33, v32
	s_delay_alu instid0(VALU_DEP_1) | instskip(NEXT) | instid1(VALU_DEP_1)
	v_add_f32_e32 v32, v35, v34
	v_sub_f32_e32 v37, v31, v32
	v_sub_f32_e32 v35, v32, v35
	s_delay_alu instid0(VALU_DEP_2) | instskip(NEXT) | instid1(VALU_DEP_1)
	v_sub_f32_e32 v31, v31, v37
	v_sub_f32_e32 v31, v31, v32
	s_delay_alu instid0(VALU_DEP_3) | instskip(NEXT) | instid1(VALU_DEP_2)
	v_sub_f32_e32 v32, v35, v34
	v_add_f32_e32 v28, v28, v31
	v_add_f32_e32 v31, v36, v33
	s_delay_alu instid0(VALU_DEP_2) | instskip(NEXT) | instid1(VALU_DEP_2)
	v_add_f32_e32 v28, v32, v28
	v_sub_f32_e32 v32, v31, v36
	s_delay_alu instid0(VALU_DEP_2) | instskip(NEXT) | instid1(VALU_DEP_2)
	v_add_f32_e32 v28, v37, v28
	v_sub_f32_e32 v32, v33, v32
	s_delay_alu instid0(VALU_DEP_2) | instskip(NEXT) | instid1(VALU_DEP_1)
	v_mul_f32_e32 v28, v30, v28
	v_add_f32_e32 v28, v32, v28
	s_delay_alu instid0(VALU_DEP_1) | instskip(NEXT) | instid1(VALU_DEP_1)
	v_add_f32_e32 v30, v31, v28
	v_mul_f32_e32 v32, v30, v30
	s_delay_alu instid0(VALU_DEP_1) | instskip(SKIP_2) | instid1(VALU_DEP_3)
	v_fmaak_f32 v33, s31, v32, 0x3ecc95a3
	v_mul_f32_e32 v34, v30, v32
	v_cmp_eq_f32_e64 s31, 0x7f800000, v29
	v_fmaak_f32 v32, v32, v33, 0x3f2aaada
	v_ldexp_f32 v33, v30, 1
	v_sub_f32_e32 v30, v30, v31
	s_delay_alu instid0(VALU_DEP_4) | instskip(NEXT) | instid1(VALU_DEP_3)
	s_or_b32 s31, s31, s34
	v_mul_f32_e32 v32, v34, v32
	v_mul_f32_e32 v34, 0x3f317218, v27
	s_delay_alu instid0(VALU_DEP_2) | instskip(NEXT) | instid1(VALU_DEP_1)
	v_dual_sub_f32 v28, v28, v30 :: v_dual_add_f32 v31, v33, v32
	v_ldexp_f32 v28, v28, 1
	s_delay_alu instid0(VALU_DEP_2) | instskip(NEXT) | instid1(VALU_DEP_4)
	v_sub_f32_e32 v30, v31, v33
	v_fma_f32 v33, 0x3f317218, v27, -v34
	s_delay_alu instid0(VALU_DEP_1) | instskip(NEXT) | instid1(VALU_DEP_1)
	v_dual_sub_f32 v30, v32, v30 :: v_dual_fmamk_f32 v27, v27, 0xb102e308, v33
	v_add_f32_e32 v28, v28, v30
	s_delay_alu instid0(VALU_DEP_2) | instskip(NEXT) | instid1(VALU_DEP_2)
	v_add_f32_e32 v30, v34, v27
	v_add_f32_e32 v32, v31, v28
	s_delay_alu instid0(VALU_DEP_2) | instskip(NEXT) | instid1(VALU_DEP_2)
	v_sub_f32_e32 v34, v30, v34
	v_add_f32_e32 v33, v30, v32
	v_sub_f32_e32 v31, v32, v31
	s_delay_alu instid0(VALU_DEP_3) | instskip(NEXT) | instid1(VALU_DEP_2)
	v_sub_f32_e32 v27, v27, v34
	v_dual_sub_f32 v35, v33, v30 :: v_dual_sub_f32 v28, v28, v31
	s_delay_alu instid0(VALU_DEP_1) | instskip(NEXT) | instid1(VALU_DEP_2)
	v_sub_f32_e32 v36, v33, v35
	v_dual_sub_f32 v31, v32, v35 :: v_dual_add_f32 v32, v27, v28
	s_delay_alu instid0(VALU_DEP_2) | instskip(NEXT) | instid1(VALU_DEP_1)
	v_sub_f32_e32 v30, v30, v36
	v_dual_add_f32 v30, v31, v30 :: v_dual_sub_f32 v31, v32, v27
	s_delay_alu instid0(VALU_DEP_1) | instskip(NEXT) | instid1(VALU_DEP_2)
	v_add_f32_e32 v30, v32, v30
	v_sub_f32_e32 v32, v32, v31
	v_sub_f32_e32 v28, v28, v31
	s_delay_alu instid0(VALU_DEP_2) | instskip(NEXT) | instid1(VALU_DEP_1)
	v_dual_add_f32 v34, v33, v30 :: v_dual_sub_f32 v27, v27, v32
	v_sub_f32_e32 v31, v34, v33
	s_delay_alu instid0(VALU_DEP_2) | instskip(NEXT) | instid1(VALU_DEP_2)
	v_add_f32_e32 v27, v28, v27
	v_sub_f32_e32 v28, v30, v31
	s_delay_alu instid0(VALU_DEP_1) | instskip(NEXT) | instid1(VALU_DEP_1)
	v_add_f32_e32 v27, v27, v28
	v_add_f32_e32 v27, v34, v27
	s_delay_alu instid0(VALU_DEP_1) | instskip(NEXT) | instid1(VALU_DEP_1)
	v_cndmask_b32_e64 v27, v27, v29, s31
	v_add_f32_e32 v27, v25, v27
.LBB511_62:
	s_or_b32 exec_lo, exec_lo, s33
	s_delay_alu instid0(VALU_DEP_1) | instskip(SKIP_1) | instid1(VALU_DEP_2)
	v_bfe_u32 v25, v27, 16, 1
	v_cmp_o_f32_e64 s31, v27, v27
	v_add3_u32 v25, v27, v25, 0x7fff
	s_delay_alu instid0(VALU_DEP_1) | instskip(NEXT) | instid1(VALU_DEP_1)
	v_and_b32_e32 v25, 0xffff0000, v25
	v_cndmask_b32_e64 v28, 0x7fc00000, v25, s31
	s_delay_alu instid0(VALU_DEP_1) | instskip(SKIP_2) | instid1(VALU_DEP_2)
	v_max_f32_e32 v25, v28, v28
	v_and_b32_e32 v8, 0xffff0000, v8
	v_cmp_u_f32_e64 s31, v28, v28
	v_max_f32_e32 v27, v8, v8
	s_delay_alu instid0(VALU_DEP_1) | instskip(SKIP_1) | instid1(VALU_DEP_2)
	v_min_f32_e32 v29, v25, v27
	v_max_f32_e32 v25, v25, v27
	v_cndmask_b32_e64 v29, v29, v28, s31
	s_delay_alu instid0(VALU_DEP_2) | instskip(SKIP_1) | instid1(VALU_DEP_1)
	v_cndmask_b32_e64 v25, v25, v28, s31
	v_cmp_u_f32_e64 s31, v8, v8
	v_cndmask_b32_e64 v29, v29, v8, s31
	s_delay_alu instid0(VALU_DEP_3) | instskip(NEXT) | instid1(VALU_DEP_2)
	v_cndmask_b32_e64 v25, v25, v8, s31
	v_cmp_class_f32_e64 s34, v29, 0x1f8
	s_delay_alu instid0(VALU_DEP_2) | instskip(NEXT) | instid1(VALU_DEP_1)
	v_cmp_neq_f32_e64 s33, v29, v25
	s_or_b32 s33, s33, s34
	s_delay_alu instid0(SALU_CYCLE_1)
	s_and_saveexec_b32 s34, s33
	s_cbranch_execz .LBB511_64
; %bb.63:
	v_sub_f32_e32 v28, v29, v25
	s_delay_alu instid0(VALU_DEP_1) | instskip(SKIP_1) | instid1(VALU_DEP_2)
	v_mul_f32_e32 v29, 0x3fb8aa3b, v28
	v_cmp_ngt_f32_e64 s33, 0xc2ce8ed0, v28
	v_fma_f32 v30, 0x3fb8aa3b, v28, -v29
	v_rndne_f32_e32 v31, v29
	s_delay_alu instid0(VALU_DEP_1) | instskip(NEXT) | instid1(VALU_DEP_1)
	v_dual_fmamk_f32 v30, v28, 0x32a5705f, v30 :: v_dual_sub_f32 v29, v29, v31
	v_add_f32_e32 v29, v29, v30
	v_cvt_i32_f32_e32 v30, v31
	s_delay_alu instid0(VALU_DEP_2) | instskip(SKIP_2) | instid1(VALU_DEP_1)
	v_exp_f32_e32 v29, v29
	s_waitcnt_depctr 0xfff
	v_ldexp_f32 v29, v29, v30
	v_cndmask_b32_e64 v29, 0, v29, s33
	v_cmp_nlt_f32_e64 s33, 0x42b17218, v28
	s_delay_alu instid0(VALU_DEP_1) | instskip(NEXT) | instid1(VALU_DEP_1)
	v_cndmask_b32_e64 v30, 0x7f800000, v29, s33
	v_add_f32_e32 v31, 1.0, v30
	v_cmp_gt_f32_e64 s35, 0x33800000, |v30|
	s_delay_alu instid0(VALU_DEP_2) | instskip(NEXT) | instid1(VALU_DEP_1)
	v_cvt_f64_f32_e32 v[28:29], v31
	v_frexp_exp_i32_f64_e32 v28, v[28:29]
	v_frexp_mant_f32_e32 v29, v31
	s_delay_alu instid0(VALU_DEP_1) | instskip(SKIP_1) | instid1(VALU_DEP_1)
	v_cmp_gt_f32_e64 s33, 0x3f2aaaab, v29
	v_add_f32_e32 v29, -1.0, v31
	v_sub_f32_e32 v33, v29, v31
	v_sub_f32_e32 v29, v30, v29
	s_delay_alu instid0(VALU_DEP_4) | instskip(SKIP_1) | instid1(VALU_DEP_1)
	v_subrev_co_ci_u32_e64 v28, s33, 0, v28, s33
	s_mov_b32 s33, 0x3e9b6dac
	v_sub_nc_u32_e32 v32, 0, v28
	v_cvt_f32_i32_e32 v28, v28
	s_delay_alu instid0(VALU_DEP_2) | instskip(NEXT) | instid1(VALU_DEP_1)
	v_ldexp_f32 v31, v31, v32
	v_dual_add_f32 v34, 1.0, v31 :: v_dual_add_f32 v33, 1.0, v33
	s_delay_alu instid0(VALU_DEP_1) | instskip(NEXT) | instid1(VALU_DEP_2)
	v_add_f32_e32 v29, v29, v33
	v_add_f32_e32 v33, -1.0, v34
	s_delay_alu instid0(VALU_DEP_2) | instskip(NEXT) | instid1(VALU_DEP_2)
	v_ldexp_f32 v29, v29, v32
	v_dual_add_f32 v32, -1.0, v31 :: v_dual_sub_f32 v33, v31, v33
	s_delay_alu instid0(VALU_DEP_1) | instskip(NEXT) | instid1(VALU_DEP_2)
	v_add_f32_e32 v35, 1.0, v32
	v_add_f32_e32 v33, v29, v33
	s_delay_alu instid0(VALU_DEP_2) | instskip(NEXT) | instid1(VALU_DEP_2)
	v_sub_f32_e32 v31, v31, v35
	v_add_f32_e32 v35, v34, v33
	s_delay_alu instid0(VALU_DEP_2) | instskip(NEXT) | instid1(VALU_DEP_2)
	v_add_f32_e32 v29, v29, v31
	v_rcp_f32_e32 v31, v35
	v_sub_f32_e32 v34, v34, v35
	s_delay_alu instid0(VALU_DEP_1) | instskip(NEXT) | instid1(VALU_DEP_1)
	v_dual_add_f32 v36, v32, v29 :: v_dual_add_f32 v33, v33, v34
	v_sub_f32_e32 v32, v32, v36
	s_waitcnt_depctr 0xfff
	v_mul_f32_e32 v37, v36, v31
	s_delay_alu instid0(VALU_DEP_1) | instskip(NEXT) | instid1(VALU_DEP_1)
	v_dual_add_f32 v29, v29, v32 :: v_dual_mul_f32 v38, v35, v37
	v_fma_f32 v34, v37, v35, -v38
	s_delay_alu instid0(VALU_DEP_1) | instskip(NEXT) | instid1(VALU_DEP_1)
	v_fmac_f32_e32 v34, v37, v33
	v_add_f32_e32 v39, v38, v34
	s_delay_alu instid0(VALU_DEP_1) | instskip(SKIP_1) | instid1(VALU_DEP_2)
	v_sub_f32_e32 v40, v36, v39
	v_sub_f32_e32 v32, v39, v38
	;; [unrolled: 1-line block ×3, first 2 shown]
	s_delay_alu instid0(VALU_DEP_2) | instskip(NEXT) | instid1(VALU_DEP_2)
	v_sub_f32_e32 v32, v32, v34
	v_sub_f32_e32 v36, v36, v39
	s_delay_alu instid0(VALU_DEP_1) | instskip(NEXT) | instid1(VALU_DEP_1)
	v_add_f32_e32 v29, v29, v36
	v_add_f32_e32 v29, v32, v29
	s_delay_alu instid0(VALU_DEP_1) | instskip(NEXT) | instid1(VALU_DEP_1)
	v_add_f32_e32 v32, v40, v29
	v_mul_f32_e32 v34, v31, v32
	s_delay_alu instid0(VALU_DEP_1) | instskip(NEXT) | instid1(VALU_DEP_1)
	v_dual_sub_f32 v39, v40, v32 :: v_dual_mul_f32 v36, v35, v34
	v_add_f32_e32 v29, v29, v39
	s_delay_alu instid0(VALU_DEP_2) | instskip(NEXT) | instid1(VALU_DEP_1)
	v_fma_f32 v35, v34, v35, -v36
	v_fmac_f32_e32 v35, v34, v33
	s_delay_alu instid0(VALU_DEP_1) | instskip(NEXT) | instid1(VALU_DEP_1)
	v_add_f32_e32 v33, v36, v35
	v_sub_f32_e32 v38, v32, v33
	v_sub_f32_e32 v36, v33, v36
	s_delay_alu instid0(VALU_DEP_2) | instskip(NEXT) | instid1(VALU_DEP_1)
	v_sub_f32_e32 v32, v32, v38
	v_sub_f32_e32 v32, v32, v33
	s_delay_alu instid0(VALU_DEP_3) | instskip(NEXT) | instid1(VALU_DEP_2)
	v_sub_f32_e32 v33, v36, v35
	v_add_f32_e32 v29, v29, v32
	v_add_f32_e32 v32, v37, v34
	s_delay_alu instid0(VALU_DEP_2) | instskip(NEXT) | instid1(VALU_DEP_2)
	v_add_f32_e32 v29, v33, v29
	v_sub_f32_e32 v33, v32, v37
	s_delay_alu instid0(VALU_DEP_2) | instskip(NEXT) | instid1(VALU_DEP_2)
	v_add_f32_e32 v29, v38, v29
	v_sub_f32_e32 v33, v34, v33
	s_delay_alu instid0(VALU_DEP_2) | instskip(NEXT) | instid1(VALU_DEP_1)
	v_mul_f32_e32 v29, v31, v29
	v_add_f32_e32 v29, v33, v29
	s_delay_alu instid0(VALU_DEP_1) | instskip(NEXT) | instid1(VALU_DEP_1)
	v_add_f32_e32 v31, v32, v29
	v_mul_f32_e32 v33, v31, v31
	s_delay_alu instid0(VALU_DEP_1) | instskip(SKIP_2) | instid1(VALU_DEP_3)
	v_fmaak_f32 v34, s33, v33, 0x3ecc95a3
	v_mul_f32_e32 v35, v31, v33
	v_cmp_eq_f32_e64 s33, 0x7f800000, v30
	v_fmaak_f32 v33, v33, v34, 0x3f2aaada
	v_ldexp_f32 v34, v31, 1
	v_sub_f32_e32 v31, v31, v32
	s_delay_alu instid0(VALU_DEP_4) | instskip(NEXT) | instid1(VALU_DEP_3)
	s_or_b32 s33, s33, s35
	v_mul_f32_e32 v33, v35, v33
	v_mul_f32_e32 v35, 0x3f317218, v28
	s_delay_alu instid0(VALU_DEP_2) | instskip(NEXT) | instid1(VALU_DEP_1)
	v_dual_sub_f32 v29, v29, v31 :: v_dual_add_f32 v32, v34, v33
	v_ldexp_f32 v29, v29, 1
	s_delay_alu instid0(VALU_DEP_2) | instskip(NEXT) | instid1(VALU_DEP_4)
	v_sub_f32_e32 v31, v32, v34
	v_fma_f32 v34, 0x3f317218, v28, -v35
	s_delay_alu instid0(VALU_DEP_1) | instskip(NEXT) | instid1(VALU_DEP_1)
	v_dual_sub_f32 v31, v33, v31 :: v_dual_fmamk_f32 v28, v28, 0xb102e308, v34
	v_add_f32_e32 v29, v29, v31
	s_delay_alu instid0(VALU_DEP_2) | instskip(NEXT) | instid1(VALU_DEP_2)
	v_add_f32_e32 v31, v35, v28
	v_add_f32_e32 v33, v32, v29
	s_delay_alu instid0(VALU_DEP_2) | instskip(NEXT) | instid1(VALU_DEP_2)
	v_sub_f32_e32 v35, v31, v35
	v_add_f32_e32 v34, v31, v33
	v_sub_f32_e32 v32, v33, v32
	s_delay_alu instid0(VALU_DEP_3) | instskip(NEXT) | instid1(VALU_DEP_2)
	v_sub_f32_e32 v28, v28, v35
	v_dual_sub_f32 v36, v34, v31 :: v_dual_sub_f32 v29, v29, v32
	s_delay_alu instid0(VALU_DEP_1) | instskip(NEXT) | instid1(VALU_DEP_2)
	v_sub_f32_e32 v37, v34, v36
	v_dual_sub_f32 v32, v33, v36 :: v_dual_add_f32 v33, v28, v29
	s_delay_alu instid0(VALU_DEP_2) | instskip(NEXT) | instid1(VALU_DEP_1)
	v_sub_f32_e32 v31, v31, v37
	v_dual_add_f32 v31, v32, v31 :: v_dual_sub_f32 v32, v33, v28
	s_delay_alu instid0(VALU_DEP_1) | instskip(NEXT) | instid1(VALU_DEP_2)
	v_add_f32_e32 v31, v33, v31
	v_sub_f32_e32 v33, v33, v32
	v_sub_f32_e32 v29, v29, v32
	s_delay_alu instid0(VALU_DEP_2) | instskip(NEXT) | instid1(VALU_DEP_1)
	v_dual_add_f32 v35, v34, v31 :: v_dual_sub_f32 v28, v28, v33
	v_sub_f32_e32 v32, v35, v34
	s_delay_alu instid0(VALU_DEP_2) | instskip(NEXT) | instid1(VALU_DEP_2)
	v_add_f32_e32 v28, v29, v28
	v_sub_f32_e32 v29, v31, v32
	s_delay_alu instid0(VALU_DEP_1) | instskip(NEXT) | instid1(VALU_DEP_1)
	v_add_f32_e32 v28, v28, v29
	v_add_f32_e32 v28, v35, v28
	s_delay_alu instid0(VALU_DEP_1) | instskip(NEXT) | instid1(VALU_DEP_1)
	v_cndmask_b32_e64 v28, v28, v30, s33
	v_add_f32_e32 v28, v25, v28
.LBB511_64:
	s_or_b32 exec_lo, exec_lo, s34
	s_delay_alu instid0(VALU_DEP_1) | instskip(SKIP_1) | instid1(VALU_DEP_2)
	v_bfe_u32 v25, v28, 16, 1
	v_cmp_o_f32_e64 s33, v28, v28
	v_add3_u32 v25, v28, v25, 0x7fff
	s_delay_alu instid0(VALU_DEP_1) | instskip(SKIP_1) | instid1(VALU_DEP_2)
	v_and_b32_e32 v29, 0xffff0000, v25
	v_lshlrev_b32_e32 v25, 16, v9
	v_cndmask_b32_e64 v30, 0x7fc00000, v29, s33
	s_delay_alu instid0(VALU_DEP_1) | instskip(SKIP_1) | instid1(VALU_DEP_2)
	v_dual_max_f32 v29, v25, v25 :: v_dual_max_f32 v28, v30, v30
	v_cmp_u_f32_e64 s33, v30, v30
	v_min_f32_e32 v31, v28, v29
	v_max_f32_e32 v28, v28, v29
	s_delay_alu instid0(VALU_DEP_2) | instskip(NEXT) | instid1(VALU_DEP_2)
	v_cndmask_b32_e64 v31, v31, v30, s33
	v_cndmask_b32_e64 v28, v28, v30, s33
	v_cmp_u_f32_e64 s33, v25, v25
	s_delay_alu instid0(VALU_DEP_1) | instskip(NEXT) | instid1(VALU_DEP_3)
	v_cndmask_b32_e64 v31, v31, v25, s33
	v_cndmask_b32_e64 v28, v28, v25, s33
	s_delay_alu instid0(VALU_DEP_2) | instskip(NEXT) | instid1(VALU_DEP_2)
	v_cmp_class_f32_e64 s35, v31, 0x1f8
	v_cmp_neq_f32_e64 s34, v31, v28
	s_delay_alu instid0(VALU_DEP_1) | instskip(NEXT) | instid1(SALU_CYCLE_1)
	s_or_b32 s34, s34, s35
	s_and_saveexec_b32 s35, s34
	s_cbranch_execz .LBB511_66
; %bb.65:
	v_sub_f32_e32 v30, v31, v28
	s_delay_alu instid0(VALU_DEP_1) | instskip(SKIP_1) | instid1(VALU_DEP_2)
	v_mul_f32_e32 v31, 0x3fb8aa3b, v30
	v_cmp_ngt_f32_e64 s34, 0xc2ce8ed0, v30
	v_fma_f32 v32, 0x3fb8aa3b, v30, -v31
	v_rndne_f32_e32 v33, v31
	s_delay_alu instid0(VALU_DEP_1) | instskip(NEXT) | instid1(VALU_DEP_1)
	v_dual_fmamk_f32 v32, v30, 0x32a5705f, v32 :: v_dual_sub_f32 v31, v31, v33
	v_add_f32_e32 v31, v31, v32
	v_cvt_i32_f32_e32 v32, v33
	s_delay_alu instid0(VALU_DEP_2) | instskip(SKIP_2) | instid1(VALU_DEP_1)
	v_exp_f32_e32 v31, v31
	s_waitcnt_depctr 0xfff
	v_ldexp_f32 v31, v31, v32
	v_cndmask_b32_e64 v31, 0, v31, s34
	v_cmp_nlt_f32_e64 s34, 0x42b17218, v30
	s_delay_alu instid0(VALU_DEP_1) | instskip(NEXT) | instid1(VALU_DEP_1)
	v_cndmask_b32_e64 v32, 0x7f800000, v31, s34
	v_add_f32_e32 v33, 1.0, v32
	v_cmp_gt_f32_e64 s36, 0x33800000, |v32|
	s_delay_alu instid0(VALU_DEP_2) | instskip(NEXT) | instid1(VALU_DEP_1)
	v_cvt_f64_f32_e32 v[30:31], v33
	v_frexp_exp_i32_f64_e32 v30, v[30:31]
	v_frexp_mant_f32_e32 v31, v33
	s_delay_alu instid0(VALU_DEP_1) | instskip(SKIP_1) | instid1(VALU_DEP_1)
	v_cmp_gt_f32_e64 s34, 0x3f2aaaab, v31
	v_add_f32_e32 v31, -1.0, v33
	v_sub_f32_e32 v35, v31, v33
	v_sub_f32_e32 v31, v32, v31
	s_delay_alu instid0(VALU_DEP_4) | instskip(SKIP_1) | instid1(VALU_DEP_1)
	v_subrev_co_ci_u32_e64 v30, s34, 0, v30, s34
	s_mov_b32 s34, 0x3e9b6dac
	v_sub_nc_u32_e32 v34, 0, v30
	v_cvt_f32_i32_e32 v30, v30
	s_delay_alu instid0(VALU_DEP_2) | instskip(NEXT) | instid1(VALU_DEP_1)
	v_ldexp_f32 v33, v33, v34
	v_dual_add_f32 v36, 1.0, v33 :: v_dual_add_f32 v35, 1.0, v35
	s_delay_alu instid0(VALU_DEP_1) | instskip(NEXT) | instid1(VALU_DEP_2)
	v_add_f32_e32 v31, v31, v35
	v_add_f32_e32 v35, -1.0, v36
	s_delay_alu instid0(VALU_DEP_2) | instskip(NEXT) | instid1(VALU_DEP_2)
	v_ldexp_f32 v31, v31, v34
	v_dual_add_f32 v34, -1.0, v33 :: v_dual_sub_f32 v35, v33, v35
	s_delay_alu instid0(VALU_DEP_1) | instskip(NEXT) | instid1(VALU_DEP_2)
	v_add_f32_e32 v37, 1.0, v34
	v_add_f32_e32 v35, v31, v35
	s_delay_alu instid0(VALU_DEP_2) | instskip(NEXT) | instid1(VALU_DEP_2)
	v_sub_f32_e32 v33, v33, v37
	v_add_f32_e32 v37, v36, v35
	s_delay_alu instid0(VALU_DEP_2) | instskip(NEXT) | instid1(VALU_DEP_2)
	v_add_f32_e32 v31, v31, v33
	v_rcp_f32_e32 v33, v37
	v_sub_f32_e32 v36, v36, v37
	s_delay_alu instid0(VALU_DEP_1) | instskip(NEXT) | instid1(VALU_DEP_1)
	v_dual_add_f32 v38, v34, v31 :: v_dual_add_f32 v35, v35, v36
	v_sub_f32_e32 v34, v34, v38
	s_waitcnt_depctr 0xfff
	v_mul_f32_e32 v39, v38, v33
	s_delay_alu instid0(VALU_DEP_1) | instskip(NEXT) | instid1(VALU_DEP_1)
	v_dual_add_f32 v31, v31, v34 :: v_dual_mul_f32 v40, v37, v39
	v_fma_f32 v36, v39, v37, -v40
	s_delay_alu instid0(VALU_DEP_1) | instskip(NEXT) | instid1(VALU_DEP_1)
	v_fmac_f32_e32 v36, v39, v35
	v_add_f32_e32 v41, v40, v36
	s_delay_alu instid0(VALU_DEP_1) | instskip(NEXT) | instid1(VALU_DEP_1)
	v_dual_sub_f32 v43, v38, v41 :: v_dual_sub_f32 v34, v41, v40
	v_sub_f32_e32 v38, v38, v43
	s_delay_alu instid0(VALU_DEP_2) | instskip(NEXT) | instid1(VALU_DEP_2)
	v_sub_f32_e32 v34, v34, v36
	v_sub_f32_e32 v38, v38, v41
	s_delay_alu instid0(VALU_DEP_1) | instskip(NEXT) | instid1(VALU_DEP_1)
	v_add_f32_e32 v31, v31, v38
	v_add_f32_e32 v31, v34, v31
	s_delay_alu instid0(VALU_DEP_1) | instskip(NEXT) | instid1(VALU_DEP_1)
	v_add_f32_e32 v34, v43, v31
	v_mul_f32_e32 v36, v33, v34
	s_delay_alu instid0(VALU_DEP_1) | instskip(NEXT) | instid1(VALU_DEP_1)
	v_dual_sub_f32 v41, v43, v34 :: v_dual_mul_f32 v38, v37, v36
	v_add_f32_e32 v31, v31, v41
	s_delay_alu instid0(VALU_DEP_2) | instskip(NEXT) | instid1(VALU_DEP_1)
	v_fma_f32 v37, v36, v37, -v38
	v_fmac_f32_e32 v37, v36, v35
	s_delay_alu instid0(VALU_DEP_1) | instskip(NEXT) | instid1(VALU_DEP_1)
	v_add_f32_e32 v35, v38, v37
	v_sub_f32_e32 v40, v34, v35
	v_sub_f32_e32 v38, v35, v38
	s_delay_alu instid0(VALU_DEP_2) | instskip(NEXT) | instid1(VALU_DEP_1)
	v_sub_f32_e32 v34, v34, v40
	v_sub_f32_e32 v34, v34, v35
	s_delay_alu instid0(VALU_DEP_3) | instskip(NEXT) | instid1(VALU_DEP_2)
	v_sub_f32_e32 v35, v38, v37
	v_add_f32_e32 v31, v31, v34
	v_add_f32_e32 v34, v39, v36
	s_delay_alu instid0(VALU_DEP_2) | instskip(NEXT) | instid1(VALU_DEP_2)
	v_add_f32_e32 v31, v35, v31
	v_sub_f32_e32 v35, v34, v39
	s_delay_alu instid0(VALU_DEP_2) | instskip(NEXT) | instid1(VALU_DEP_2)
	v_add_f32_e32 v31, v40, v31
	v_sub_f32_e32 v35, v36, v35
	s_delay_alu instid0(VALU_DEP_2) | instskip(NEXT) | instid1(VALU_DEP_1)
	v_mul_f32_e32 v31, v33, v31
	v_add_f32_e32 v31, v35, v31
	s_delay_alu instid0(VALU_DEP_1) | instskip(NEXT) | instid1(VALU_DEP_1)
	v_add_f32_e32 v33, v34, v31
	v_mul_f32_e32 v35, v33, v33
	s_delay_alu instid0(VALU_DEP_1) | instskip(SKIP_2) | instid1(VALU_DEP_3)
	v_fmaak_f32 v36, s34, v35, 0x3ecc95a3
	v_mul_f32_e32 v37, v33, v35
	v_cmp_eq_f32_e64 s34, 0x7f800000, v32
	v_fmaak_f32 v35, v35, v36, 0x3f2aaada
	v_ldexp_f32 v36, v33, 1
	v_sub_f32_e32 v33, v33, v34
	s_delay_alu instid0(VALU_DEP_4) | instskip(NEXT) | instid1(VALU_DEP_3)
	s_or_b32 s34, s34, s36
	v_mul_f32_e32 v35, v37, v35
	v_mul_f32_e32 v37, 0x3f317218, v30
	s_delay_alu instid0(VALU_DEP_2) | instskip(NEXT) | instid1(VALU_DEP_1)
	v_dual_sub_f32 v31, v31, v33 :: v_dual_add_f32 v34, v36, v35
	v_ldexp_f32 v31, v31, 1
	s_delay_alu instid0(VALU_DEP_2) | instskip(NEXT) | instid1(VALU_DEP_4)
	v_sub_f32_e32 v33, v34, v36
	v_fma_f32 v36, 0x3f317218, v30, -v37
	s_delay_alu instid0(VALU_DEP_1) | instskip(NEXT) | instid1(VALU_DEP_1)
	v_dual_sub_f32 v33, v35, v33 :: v_dual_fmamk_f32 v30, v30, 0xb102e308, v36
	v_add_f32_e32 v31, v31, v33
	s_delay_alu instid0(VALU_DEP_2) | instskip(NEXT) | instid1(VALU_DEP_2)
	v_add_f32_e32 v33, v37, v30
	v_add_f32_e32 v35, v34, v31
	s_delay_alu instid0(VALU_DEP_2) | instskip(NEXT) | instid1(VALU_DEP_2)
	v_sub_f32_e32 v37, v33, v37
	v_add_f32_e32 v36, v33, v35
	v_sub_f32_e32 v34, v35, v34
	s_delay_alu instid0(VALU_DEP_3) | instskip(NEXT) | instid1(VALU_DEP_2)
	v_sub_f32_e32 v30, v30, v37
	v_dual_sub_f32 v38, v36, v33 :: v_dual_sub_f32 v31, v31, v34
	s_delay_alu instid0(VALU_DEP_1) | instskip(NEXT) | instid1(VALU_DEP_2)
	v_sub_f32_e32 v39, v36, v38
	v_dual_sub_f32 v34, v35, v38 :: v_dual_add_f32 v35, v30, v31
	s_delay_alu instid0(VALU_DEP_2) | instskip(NEXT) | instid1(VALU_DEP_1)
	v_sub_f32_e32 v33, v33, v39
	v_dual_add_f32 v33, v34, v33 :: v_dual_sub_f32 v34, v35, v30
	s_delay_alu instid0(VALU_DEP_1) | instskip(NEXT) | instid1(VALU_DEP_2)
	v_add_f32_e32 v33, v35, v33
	v_sub_f32_e32 v35, v35, v34
	v_sub_f32_e32 v31, v31, v34
	s_delay_alu instid0(VALU_DEP_2) | instskip(NEXT) | instid1(VALU_DEP_1)
	v_dual_add_f32 v37, v36, v33 :: v_dual_sub_f32 v30, v30, v35
	v_sub_f32_e32 v34, v37, v36
	s_delay_alu instid0(VALU_DEP_2) | instskip(NEXT) | instid1(VALU_DEP_2)
	v_add_f32_e32 v30, v31, v30
	v_sub_f32_e32 v31, v33, v34
	s_delay_alu instid0(VALU_DEP_1) | instskip(NEXT) | instid1(VALU_DEP_1)
	v_add_f32_e32 v30, v30, v31
	v_add_f32_e32 v30, v37, v30
	s_delay_alu instid0(VALU_DEP_1) | instskip(NEXT) | instid1(VALU_DEP_1)
	v_cndmask_b32_e64 v30, v30, v32, s34
	v_add_f32_e32 v30, v28, v30
.LBB511_66:
	s_or_b32 exec_lo, exec_lo, s35
	s_delay_alu instid0(VALU_DEP_1) | instskip(SKIP_1) | instid1(VALU_DEP_2)
	v_bfe_u32 v28, v30, 16, 1
	v_cmp_o_f32_e64 s34, v30, v30
	v_add3_u32 v28, v30, v28, 0x7fff
	s_delay_alu instid0(VALU_DEP_1) | instskip(NEXT) | instid1(VALU_DEP_1)
	v_and_b32_e32 v28, 0xffff0000, v28
	v_cndmask_b32_e64 v31, 0x7fc00000, v28, s34
	s_delay_alu instid0(VALU_DEP_1) | instskip(NEXT) | instid1(VALU_DEP_1)
	v_dual_max_f32 v28, v31, v31 :: v_dual_and_b32 v9, 0xffff0000, v9
	v_max_f32_e32 v30, v9, v9
	v_cmp_u_f32_e64 s34, v31, v31
	s_delay_alu instid0(VALU_DEP_2) | instskip(SKIP_1) | instid1(VALU_DEP_2)
	v_min_f32_e32 v32, v28, v30
	v_max_f32_e32 v28, v28, v30
	v_cndmask_b32_e64 v32, v32, v31, s34
	s_delay_alu instid0(VALU_DEP_2) | instskip(SKIP_1) | instid1(VALU_DEP_1)
	v_cndmask_b32_e64 v28, v28, v31, s34
	v_cmp_u_f32_e64 s34, v9, v9
	v_cndmask_b32_e64 v32, v32, v9, s34
	s_delay_alu instid0(VALU_DEP_3) | instskip(NEXT) | instid1(VALU_DEP_2)
	v_cndmask_b32_e64 v28, v28, v9, s34
	v_cmp_class_f32_e64 s36, v32, 0x1f8
	s_delay_alu instid0(VALU_DEP_2) | instskip(NEXT) | instid1(VALU_DEP_1)
	v_cmp_neq_f32_e64 s35, v32, v28
	s_or_b32 s35, s35, s36
	s_delay_alu instid0(SALU_CYCLE_1)
	s_and_saveexec_b32 s36, s35
	s_cbranch_execz .LBB511_68
; %bb.67:
	v_sub_f32_e32 v31, v32, v28
	s_delay_alu instid0(VALU_DEP_1) | instskip(SKIP_1) | instid1(VALU_DEP_2)
	v_mul_f32_e32 v32, 0x3fb8aa3b, v31
	v_cmp_ngt_f32_e64 s35, 0xc2ce8ed0, v31
	v_fma_f32 v33, 0x3fb8aa3b, v31, -v32
	v_rndne_f32_e32 v34, v32
	s_delay_alu instid0(VALU_DEP_1) | instskip(NEXT) | instid1(VALU_DEP_1)
	v_dual_fmamk_f32 v33, v31, 0x32a5705f, v33 :: v_dual_sub_f32 v32, v32, v34
	v_add_f32_e32 v32, v32, v33
	v_cvt_i32_f32_e32 v33, v34
	s_delay_alu instid0(VALU_DEP_2) | instskip(SKIP_2) | instid1(VALU_DEP_1)
	v_exp_f32_e32 v32, v32
	s_waitcnt_depctr 0xfff
	v_ldexp_f32 v32, v32, v33
	v_cndmask_b32_e64 v32, 0, v32, s35
	v_cmp_nlt_f32_e64 s35, 0x42b17218, v31
	s_delay_alu instid0(VALU_DEP_1) | instskip(NEXT) | instid1(VALU_DEP_1)
	v_cndmask_b32_e64 v33, 0x7f800000, v32, s35
	v_add_f32_e32 v34, 1.0, v33
	v_cmp_gt_f32_e64 s37, 0x33800000, |v33|
	s_delay_alu instid0(VALU_DEP_2) | instskip(NEXT) | instid1(VALU_DEP_1)
	v_cvt_f64_f32_e32 v[31:32], v34
	v_frexp_exp_i32_f64_e32 v31, v[31:32]
	v_frexp_mant_f32_e32 v32, v34
	s_delay_alu instid0(VALU_DEP_1) | instskip(SKIP_1) | instid1(VALU_DEP_1)
	v_cmp_gt_f32_e64 s35, 0x3f2aaaab, v32
	v_add_f32_e32 v32, -1.0, v34
	v_sub_f32_e32 v36, v32, v34
	v_sub_f32_e32 v32, v33, v32
	s_delay_alu instid0(VALU_DEP_4) | instskip(SKIP_1) | instid1(VALU_DEP_1)
	v_subrev_co_ci_u32_e64 v31, s35, 0, v31, s35
	s_mov_b32 s35, 0x3e9b6dac
	v_sub_nc_u32_e32 v35, 0, v31
	v_cvt_f32_i32_e32 v31, v31
	s_delay_alu instid0(VALU_DEP_2) | instskip(NEXT) | instid1(VALU_DEP_1)
	v_ldexp_f32 v34, v34, v35
	v_dual_add_f32 v37, 1.0, v34 :: v_dual_add_f32 v36, 1.0, v36
	s_delay_alu instid0(VALU_DEP_1) | instskip(NEXT) | instid1(VALU_DEP_2)
	v_add_f32_e32 v32, v32, v36
	v_add_f32_e32 v36, -1.0, v37
	s_delay_alu instid0(VALU_DEP_2) | instskip(NEXT) | instid1(VALU_DEP_2)
	v_ldexp_f32 v32, v32, v35
	v_dual_add_f32 v35, -1.0, v34 :: v_dual_sub_f32 v36, v34, v36
	s_delay_alu instid0(VALU_DEP_1) | instskip(NEXT) | instid1(VALU_DEP_2)
	v_add_f32_e32 v38, 1.0, v35
	v_add_f32_e32 v36, v32, v36
	s_delay_alu instid0(VALU_DEP_2) | instskip(NEXT) | instid1(VALU_DEP_2)
	v_sub_f32_e32 v34, v34, v38
	v_add_f32_e32 v38, v37, v36
	s_delay_alu instid0(VALU_DEP_2) | instskip(NEXT) | instid1(VALU_DEP_2)
	v_add_f32_e32 v32, v32, v34
	v_rcp_f32_e32 v34, v38
	v_sub_f32_e32 v37, v37, v38
	s_delay_alu instid0(VALU_DEP_1) | instskip(NEXT) | instid1(VALU_DEP_1)
	v_dual_add_f32 v39, v35, v32 :: v_dual_add_f32 v36, v36, v37
	v_sub_f32_e32 v35, v35, v39
	s_waitcnt_depctr 0xfff
	v_mul_f32_e32 v40, v39, v34
	s_delay_alu instid0(VALU_DEP_1) | instskip(NEXT) | instid1(VALU_DEP_1)
	v_dual_add_f32 v32, v32, v35 :: v_dual_mul_f32 v41, v38, v40
	v_fma_f32 v37, v40, v38, -v41
	s_delay_alu instid0(VALU_DEP_1) | instskip(NEXT) | instid1(VALU_DEP_1)
	v_fmac_f32_e32 v37, v40, v36
	v_add_f32_e32 v43, v41, v37
	s_delay_alu instid0(VALU_DEP_1) | instskip(SKIP_1) | instid1(VALU_DEP_2)
	v_sub_f32_e32 v44, v39, v43
	v_sub_f32_e32 v35, v43, v41
	;; [unrolled: 1-line block ×3, first 2 shown]
	s_delay_alu instid0(VALU_DEP_2) | instskip(NEXT) | instid1(VALU_DEP_2)
	v_sub_f32_e32 v35, v35, v37
	v_sub_f32_e32 v39, v39, v43
	s_delay_alu instid0(VALU_DEP_1) | instskip(NEXT) | instid1(VALU_DEP_1)
	v_add_f32_e32 v32, v32, v39
	v_add_f32_e32 v32, v35, v32
	s_delay_alu instid0(VALU_DEP_1) | instskip(NEXT) | instid1(VALU_DEP_1)
	v_add_f32_e32 v35, v44, v32
	v_sub_f32_e32 v43, v44, v35
	v_mul_f32_e32 v37, v34, v35
	s_delay_alu instid0(VALU_DEP_1) | instskip(NEXT) | instid1(VALU_DEP_1)
	v_mul_f32_e32 v39, v38, v37
	v_fma_f32 v38, v37, v38, -v39
	s_delay_alu instid0(VALU_DEP_1) | instskip(NEXT) | instid1(VALU_DEP_1)
	v_fmac_f32_e32 v38, v37, v36
	v_add_f32_e32 v36, v39, v38
	s_delay_alu instid0(VALU_DEP_1) | instskip(SKIP_1) | instid1(VALU_DEP_2)
	v_sub_f32_e32 v41, v35, v36
	v_sub_f32_e32 v39, v36, v39
	v_dual_sub_f32 v35, v35, v41 :: v_dual_add_f32 v32, v32, v43
	s_delay_alu instid0(VALU_DEP_1) | instskip(NEXT) | instid1(VALU_DEP_3)
	v_sub_f32_e32 v35, v35, v36
	v_sub_f32_e32 v36, v39, v38
	s_delay_alu instid0(VALU_DEP_2) | instskip(SKIP_1) | instid1(VALU_DEP_2)
	v_add_f32_e32 v32, v32, v35
	v_add_f32_e32 v35, v40, v37
	;; [unrolled: 1-line block ×3, first 2 shown]
	s_delay_alu instid0(VALU_DEP_2) | instskip(NEXT) | instid1(VALU_DEP_2)
	v_sub_f32_e32 v36, v35, v40
	v_add_f32_e32 v32, v41, v32
	s_delay_alu instid0(VALU_DEP_2) | instskip(NEXT) | instid1(VALU_DEP_2)
	v_sub_f32_e32 v36, v37, v36
	v_mul_f32_e32 v32, v34, v32
	s_delay_alu instid0(VALU_DEP_1) | instskip(NEXT) | instid1(VALU_DEP_1)
	v_add_f32_e32 v32, v36, v32
	v_add_f32_e32 v34, v35, v32
	s_delay_alu instid0(VALU_DEP_1) | instskip(NEXT) | instid1(VALU_DEP_1)
	v_mul_f32_e32 v36, v34, v34
	v_fmaak_f32 v37, s35, v36, 0x3ecc95a3
	v_mul_f32_e32 v38, v34, v36
	v_cmp_eq_f32_e64 s35, 0x7f800000, v33
	s_delay_alu instid0(VALU_DEP_3) | instskip(SKIP_1) | instid1(VALU_DEP_3)
	v_fmaak_f32 v36, v36, v37, 0x3f2aaada
	v_ldexp_f32 v37, v34, 1
	s_or_b32 s35, s35, s37
	s_delay_alu instid0(VALU_DEP_2) | instskip(NEXT) | instid1(VALU_DEP_1)
	v_mul_f32_e32 v36, v38, v36
	v_dual_sub_f32 v34, v34, v35 :: v_dual_add_f32 v35, v37, v36
	s_delay_alu instid0(VALU_DEP_1) | instskip(NEXT) | instid1(VALU_DEP_2)
	v_sub_f32_e32 v32, v32, v34
	v_sub_f32_e32 v34, v35, v37
	s_delay_alu instid0(VALU_DEP_2) | instskip(NEXT) | instid1(VALU_DEP_2)
	v_ldexp_f32 v32, v32, 1
	v_sub_f32_e32 v34, v36, v34
	s_delay_alu instid0(VALU_DEP_1) | instskip(NEXT) | instid1(VALU_DEP_1)
	v_add_f32_e32 v32, v32, v34
	v_add_f32_e32 v36, v35, v32
	v_mul_f32_e32 v38, 0x3f317218, v31
	s_delay_alu instid0(VALU_DEP_2) | instskip(NEXT) | instid1(VALU_DEP_2)
	v_sub_f32_e32 v35, v36, v35
	v_fma_f32 v37, 0x3f317218, v31, -v38
	s_delay_alu instid0(VALU_DEP_1) | instskip(NEXT) | instid1(VALU_DEP_1)
	v_dual_sub_f32 v32, v32, v35 :: v_dual_fmamk_f32 v31, v31, 0xb102e308, v37
	v_add_f32_e32 v34, v38, v31
	s_delay_alu instid0(VALU_DEP_1) | instskip(SKIP_1) | instid1(VALU_DEP_2)
	v_add_f32_e32 v37, v34, v36
	v_sub_f32_e32 v38, v34, v38
	v_sub_f32_e32 v39, v37, v34
	s_delay_alu instid0(VALU_DEP_1) | instskip(NEXT) | instid1(VALU_DEP_1)
	v_dual_sub_f32 v31, v31, v38 :: v_dual_sub_f32 v40, v37, v39
	v_dual_sub_f32 v35, v36, v39 :: v_dual_add_f32 v36, v31, v32
	s_delay_alu instid0(VALU_DEP_2) | instskip(NEXT) | instid1(VALU_DEP_1)
	v_sub_f32_e32 v34, v34, v40
	v_dual_add_f32 v34, v35, v34 :: v_dual_sub_f32 v35, v36, v31
	s_delay_alu instid0(VALU_DEP_1) | instskip(NEXT) | instid1(VALU_DEP_2)
	v_add_f32_e32 v34, v36, v34
	v_sub_f32_e32 v36, v36, v35
	v_sub_f32_e32 v32, v32, v35
	s_delay_alu instid0(VALU_DEP_2) | instskip(NEXT) | instid1(VALU_DEP_1)
	v_dual_add_f32 v38, v37, v34 :: v_dual_sub_f32 v31, v31, v36
	v_sub_f32_e32 v35, v38, v37
	s_delay_alu instid0(VALU_DEP_2) | instskip(NEXT) | instid1(VALU_DEP_2)
	v_add_f32_e32 v31, v32, v31
	v_sub_f32_e32 v32, v34, v35
	s_delay_alu instid0(VALU_DEP_1) | instskip(NEXT) | instid1(VALU_DEP_1)
	v_add_f32_e32 v31, v31, v32
	v_add_f32_e32 v31, v38, v31
	s_delay_alu instid0(VALU_DEP_1) | instskip(NEXT) | instid1(VALU_DEP_1)
	v_cndmask_b32_e64 v31, v31, v33, s35
	v_add_f32_e32 v31, v28, v31
.LBB511_68:
	s_or_b32 exec_lo, exec_lo, s36
	s_delay_alu instid0(VALU_DEP_1) | instskip(SKIP_1) | instid1(VALU_DEP_2)
	v_bfe_u32 v28, v31, 16, 1
	v_cmp_o_f32_e64 s35, v31, v31
	v_add3_u32 v28, v31, v28, 0x7fff
	s_delay_alu instid0(VALU_DEP_1) | instskip(NEXT) | instid1(VALU_DEP_1)
	v_and_b32_e32 v32, 0xffff0000, v28
	v_cndmask_b32_e64 v33, 0x7fc00000, v32, s35
	s_delay_alu instid0(VALU_DEP_1) | instskip(SKIP_1) | instid1(VALU_DEP_2)
	v_dual_max_f32 v31, v33, v33 :: v_dual_lshlrev_b32 v28, 16, v6
	v_cmp_u_f32_e64 s35, v33, v33
	v_max_f32_e32 v32, v28, v28
	s_delay_alu instid0(VALU_DEP_1) | instskip(SKIP_1) | instid1(VALU_DEP_2)
	v_min_f32_e32 v34, v31, v32
	v_max_f32_e32 v31, v31, v32
	v_cndmask_b32_e64 v34, v34, v33, s35
	s_delay_alu instid0(VALU_DEP_2) | instskip(SKIP_1) | instid1(VALU_DEP_1)
	v_cndmask_b32_e64 v31, v31, v33, s35
	v_cmp_u_f32_e64 s35, v28, v28
	v_cndmask_b32_e64 v34, v34, v28, s35
	s_delay_alu instid0(VALU_DEP_3) | instskip(NEXT) | instid1(VALU_DEP_2)
	v_cndmask_b32_e64 v31, v31, v28, s35
	v_cmp_class_f32_e64 s37, v34, 0x1f8
	s_delay_alu instid0(VALU_DEP_2) | instskip(NEXT) | instid1(VALU_DEP_1)
	v_cmp_neq_f32_e64 s36, v34, v31
	s_or_b32 s36, s36, s37
	s_delay_alu instid0(SALU_CYCLE_1)
	s_and_saveexec_b32 s37, s36
	s_cbranch_execz .LBB511_70
; %bb.69:
	v_sub_f32_e32 v33, v34, v31
	s_delay_alu instid0(VALU_DEP_1) | instskip(SKIP_1) | instid1(VALU_DEP_2)
	v_mul_f32_e32 v34, 0x3fb8aa3b, v33
	v_cmp_ngt_f32_e64 s36, 0xc2ce8ed0, v33
	v_fma_f32 v35, 0x3fb8aa3b, v33, -v34
	v_rndne_f32_e32 v36, v34
	s_delay_alu instid0(VALU_DEP_1) | instskip(NEXT) | instid1(VALU_DEP_1)
	v_dual_fmamk_f32 v35, v33, 0x32a5705f, v35 :: v_dual_sub_f32 v34, v34, v36
	v_add_f32_e32 v34, v34, v35
	v_cvt_i32_f32_e32 v35, v36
	s_delay_alu instid0(VALU_DEP_2) | instskip(SKIP_2) | instid1(VALU_DEP_1)
	v_exp_f32_e32 v34, v34
	s_waitcnt_depctr 0xfff
	v_ldexp_f32 v34, v34, v35
	v_cndmask_b32_e64 v34, 0, v34, s36
	v_cmp_nlt_f32_e64 s36, 0x42b17218, v33
	s_delay_alu instid0(VALU_DEP_1) | instskip(NEXT) | instid1(VALU_DEP_1)
	v_cndmask_b32_e64 v35, 0x7f800000, v34, s36
	v_add_f32_e32 v36, 1.0, v35
	v_cmp_gt_f32_e64 s38, 0x33800000, |v35|
	s_delay_alu instid0(VALU_DEP_2) | instskip(NEXT) | instid1(VALU_DEP_1)
	v_cvt_f64_f32_e32 v[33:34], v36
	v_frexp_exp_i32_f64_e32 v33, v[33:34]
	v_frexp_mant_f32_e32 v34, v36
	s_delay_alu instid0(VALU_DEP_1) | instskip(SKIP_1) | instid1(VALU_DEP_1)
	v_cmp_gt_f32_e64 s36, 0x3f2aaaab, v34
	v_add_f32_e32 v34, -1.0, v36
	v_sub_f32_e32 v38, v34, v36
	v_sub_f32_e32 v34, v35, v34
	s_delay_alu instid0(VALU_DEP_4) | instskip(SKIP_1) | instid1(VALU_DEP_1)
	v_subrev_co_ci_u32_e64 v33, s36, 0, v33, s36
	s_mov_b32 s36, 0x3e9b6dac
	v_sub_nc_u32_e32 v37, 0, v33
	v_cvt_f32_i32_e32 v33, v33
	s_delay_alu instid0(VALU_DEP_2) | instskip(NEXT) | instid1(VALU_DEP_1)
	v_ldexp_f32 v36, v36, v37
	v_dual_add_f32 v39, 1.0, v36 :: v_dual_add_f32 v38, 1.0, v38
	s_delay_alu instid0(VALU_DEP_1) | instskip(NEXT) | instid1(VALU_DEP_2)
	v_add_f32_e32 v34, v34, v38
	v_add_f32_e32 v38, -1.0, v39
	s_delay_alu instid0(VALU_DEP_2) | instskip(NEXT) | instid1(VALU_DEP_2)
	v_ldexp_f32 v34, v34, v37
	v_dual_add_f32 v37, -1.0, v36 :: v_dual_sub_f32 v38, v36, v38
	s_delay_alu instid0(VALU_DEP_1) | instskip(NEXT) | instid1(VALU_DEP_2)
	v_add_f32_e32 v40, 1.0, v37
	v_add_f32_e32 v38, v34, v38
	s_delay_alu instid0(VALU_DEP_2) | instskip(NEXT) | instid1(VALU_DEP_2)
	v_sub_f32_e32 v36, v36, v40
	v_add_f32_e32 v40, v39, v38
	s_delay_alu instid0(VALU_DEP_2) | instskip(NEXT) | instid1(VALU_DEP_2)
	v_add_f32_e32 v34, v34, v36
	v_rcp_f32_e32 v36, v40
	v_sub_f32_e32 v39, v39, v40
	s_delay_alu instid0(VALU_DEP_1) | instskip(NEXT) | instid1(VALU_DEP_1)
	v_dual_add_f32 v41, v37, v34 :: v_dual_add_f32 v38, v38, v39
	v_sub_f32_e32 v37, v37, v41
	s_waitcnt_depctr 0xfff
	v_dual_mul_f32 v43, v41, v36 :: v_dual_add_f32 v34, v34, v37
	s_delay_alu instid0(VALU_DEP_1) | instskip(NEXT) | instid1(VALU_DEP_1)
	v_mul_f32_e32 v44, v40, v43
	v_fma_f32 v39, v43, v40, -v44
	s_delay_alu instid0(VALU_DEP_1) | instskip(NEXT) | instid1(VALU_DEP_1)
	v_fmac_f32_e32 v39, v43, v38
	v_add_f32_e32 v45, v44, v39
	s_delay_alu instid0(VALU_DEP_1) | instskip(SKIP_1) | instid1(VALU_DEP_2)
	v_sub_f32_e32 v50, v41, v45
	v_sub_f32_e32 v37, v45, v44
	v_sub_f32_e32 v41, v41, v50
	s_delay_alu instid0(VALU_DEP_2) | instskip(NEXT) | instid1(VALU_DEP_2)
	v_sub_f32_e32 v37, v37, v39
	v_sub_f32_e32 v41, v41, v45
	s_delay_alu instid0(VALU_DEP_1) | instskip(NEXT) | instid1(VALU_DEP_1)
	v_add_f32_e32 v34, v34, v41
	v_add_f32_e32 v34, v37, v34
	s_delay_alu instid0(VALU_DEP_1) | instskip(NEXT) | instid1(VALU_DEP_1)
	v_add_f32_e32 v37, v50, v34
	v_sub_f32_e32 v45, v50, v37
	v_mul_f32_e32 v39, v36, v37
	s_delay_alu instid0(VALU_DEP_1) | instskip(NEXT) | instid1(VALU_DEP_1)
	v_dual_add_f32 v34, v34, v45 :: v_dual_mul_f32 v41, v40, v39
	v_fma_f32 v40, v39, v40, -v41
	s_delay_alu instid0(VALU_DEP_1) | instskip(NEXT) | instid1(VALU_DEP_1)
	v_fmac_f32_e32 v40, v39, v38
	v_add_f32_e32 v38, v41, v40
	s_delay_alu instid0(VALU_DEP_1) | instskip(NEXT) | instid1(VALU_DEP_1)
	v_dual_sub_f32 v44, v37, v38 :: v_dual_sub_f32 v41, v38, v41
	v_sub_f32_e32 v37, v37, v44
	s_delay_alu instid0(VALU_DEP_1) | instskip(NEXT) | instid1(VALU_DEP_3)
	v_sub_f32_e32 v37, v37, v38
	v_sub_f32_e32 v38, v41, v40
	s_delay_alu instid0(VALU_DEP_2) | instskip(NEXT) | instid1(VALU_DEP_1)
	v_dual_add_f32 v34, v34, v37 :: v_dual_add_f32 v37, v43, v39
	v_add_f32_e32 v34, v38, v34
	s_delay_alu instid0(VALU_DEP_2) | instskip(NEXT) | instid1(VALU_DEP_2)
	v_sub_f32_e32 v38, v37, v43
	v_add_f32_e32 v34, v44, v34
	s_delay_alu instid0(VALU_DEP_2) | instskip(NEXT) | instid1(VALU_DEP_2)
	v_sub_f32_e32 v38, v39, v38
	v_mul_f32_e32 v34, v36, v34
	s_delay_alu instid0(VALU_DEP_1) | instskip(NEXT) | instid1(VALU_DEP_1)
	v_add_f32_e32 v34, v38, v34
	v_add_f32_e32 v36, v37, v34
	s_delay_alu instid0(VALU_DEP_1) | instskip(NEXT) | instid1(VALU_DEP_1)
	v_mul_f32_e32 v38, v36, v36
	v_fmaak_f32 v39, s36, v38, 0x3ecc95a3
	v_mul_f32_e32 v40, v36, v38
	v_cmp_eq_f32_e64 s36, 0x7f800000, v35
	s_delay_alu instid0(VALU_DEP_3) | instskip(SKIP_2) | instid1(VALU_DEP_4)
	v_fmaak_f32 v38, v38, v39, 0x3f2aaada
	v_ldexp_f32 v39, v36, 1
	v_sub_f32_e32 v36, v36, v37
	s_or_b32 s36, s36, s38
	s_delay_alu instid0(VALU_DEP_3) | instskip(NEXT) | instid1(VALU_DEP_1)
	v_mul_f32_e32 v38, v40, v38
	v_dual_sub_f32 v34, v34, v36 :: v_dual_add_f32 v37, v39, v38
	s_delay_alu instid0(VALU_DEP_1) | instskip(NEXT) | instid1(VALU_DEP_2)
	v_ldexp_f32 v34, v34, 1
	v_sub_f32_e32 v36, v37, v39
	s_delay_alu instid0(VALU_DEP_1) | instskip(NEXT) | instid1(VALU_DEP_1)
	v_sub_f32_e32 v36, v38, v36
	v_add_f32_e32 v34, v34, v36
	s_delay_alu instid0(VALU_DEP_1) | instskip(SKIP_1) | instid1(VALU_DEP_2)
	v_add_f32_e32 v38, v37, v34
	v_mul_f32_e32 v40, 0x3f317218, v33
	v_sub_f32_e32 v37, v38, v37
	s_delay_alu instid0(VALU_DEP_2) | instskip(NEXT) | instid1(VALU_DEP_1)
	v_fma_f32 v39, 0x3f317218, v33, -v40
	v_dual_sub_f32 v34, v34, v37 :: v_dual_fmamk_f32 v33, v33, 0xb102e308, v39
	s_delay_alu instid0(VALU_DEP_1) | instskip(NEXT) | instid1(VALU_DEP_1)
	v_add_f32_e32 v36, v40, v33
	v_add_f32_e32 v39, v36, v38
	v_sub_f32_e32 v40, v36, v40
	s_delay_alu instid0(VALU_DEP_2) | instskip(NEXT) | instid1(VALU_DEP_2)
	v_sub_f32_e32 v41, v39, v36
	v_sub_f32_e32 v33, v33, v40
	s_delay_alu instid0(VALU_DEP_2) | instskip(NEXT) | instid1(VALU_DEP_2)
	v_sub_f32_e32 v43, v39, v41
	v_dual_sub_f32 v37, v38, v41 :: v_dual_add_f32 v38, v33, v34
	s_delay_alu instid0(VALU_DEP_2) | instskip(NEXT) | instid1(VALU_DEP_1)
	v_sub_f32_e32 v36, v36, v43
	v_dual_add_f32 v36, v37, v36 :: v_dual_sub_f32 v37, v38, v33
	s_delay_alu instid0(VALU_DEP_1) | instskip(NEXT) | instid1(VALU_DEP_2)
	v_add_f32_e32 v36, v38, v36
	v_sub_f32_e32 v38, v38, v37
	v_sub_f32_e32 v34, v34, v37
	s_delay_alu instid0(VALU_DEP_2) | instskip(NEXT) | instid1(VALU_DEP_1)
	v_dual_add_f32 v40, v39, v36 :: v_dual_sub_f32 v33, v33, v38
	v_sub_f32_e32 v37, v40, v39
	s_delay_alu instid0(VALU_DEP_2) | instskip(NEXT) | instid1(VALU_DEP_2)
	v_add_f32_e32 v33, v34, v33
	v_sub_f32_e32 v34, v36, v37
	s_delay_alu instid0(VALU_DEP_1) | instskip(NEXT) | instid1(VALU_DEP_1)
	v_add_f32_e32 v33, v33, v34
	v_add_f32_e32 v33, v40, v33
	s_delay_alu instid0(VALU_DEP_1) | instskip(NEXT) | instid1(VALU_DEP_1)
	v_cndmask_b32_e64 v33, v33, v35, s36
	v_add_f32_e32 v33, v31, v33
.LBB511_70:
	s_or_b32 exec_lo, exec_lo, s37
	s_delay_alu instid0(VALU_DEP_1) | instskip(SKIP_1) | instid1(VALU_DEP_2)
	v_bfe_u32 v31, v33, 16, 1
	v_cmp_o_f32_e64 s36, v33, v33
	v_add3_u32 v31, v33, v31, 0x7fff
	s_delay_alu instid0(VALU_DEP_1) | instskip(NEXT) | instid1(VALU_DEP_1)
	v_and_b32_e32 v31, 0xffff0000, v31
	v_cndmask_b32_e64 v34, 0x7fc00000, v31, s36
	s_delay_alu instid0(VALU_DEP_1) | instskip(SKIP_2) | instid1(VALU_DEP_2)
	v_max_f32_e32 v31, v34, v34
	v_and_b32_e32 v6, 0xffff0000, v6
	v_cmp_u_f32_e64 s36, v34, v34
	v_max_f32_e32 v33, v6, v6
	s_delay_alu instid0(VALU_DEP_1) | instskip(SKIP_1) | instid1(VALU_DEP_2)
	v_min_f32_e32 v35, v31, v33
	v_max_f32_e32 v31, v31, v33
	v_cndmask_b32_e64 v35, v35, v34, s36
	s_delay_alu instid0(VALU_DEP_2) | instskip(SKIP_1) | instid1(VALU_DEP_1)
	v_cndmask_b32_e64 v31, v31, v34, s36
	v_cmp_u_f32_e64 s36, v6, v6
	v_cndmask_b32_e64 v35, v35, v6, s36
	s_delay_alu instid0(VALU_DEP_3) | instskip(NEXT) | instid1(VALU_DEP_2)
	v_cndmask_b32_e64 v31, v31, v6, s36
	v_cmp_class_f32_e64 s38, v35, 0x1f8
	s_delay_alu instid0(VALU_DEP_2) | instskip(NEXT) | instid1(VALU_DEP_1)
	v_cmp_neq_f32_e64 s37, v35, v31
	s_or_b32 s37, s37, s38
	s_delay_alu instid0(SALU_CYCLE_1)
	s_and_saveexec_b32 s38, s37
	s_cbranch_execz .LBB511_72
; %bb.71:
	v_sub_f32_e32 v34, v35, v31
	s_delay_alu instid0(VALU_DEP_1) | instskip(SKIP_1) | instid1(VALU_DEP_2)
	v_mul_f32_e32 v35, 0x3fb8aa3b, v34
	v_cmp_ngt_f32_e64 s37, 0xc2ce8ed0, v34
	v_fma_f32 v36, 0x3fb8aa3b, v34, -v35
	v_rndne_f32_e32 v37, v35
	s_delay_alu instid0(VALU_DEP_1) | instskip(NEXT) | instid1(VALU_DEP_1)
	v_dual_fmamk_f32 v36, v34, 0x32a5705f, v36 :: v_dual_sub_f32 v35, v35, v37
	v_add_f32_e32 v35, v35, v36
	v_cvt_i32_f32_e32 v36, v37
	s_delay_alu instid0(VALU_DEP_2) | instskip(SKIP_2) | instid1(VALU_DEP_1)
	v_exp_f32_e32 v35, v35
	s_waitcnt_depctr 0xfff
	v_ldexp_f32 v35, v35, v36
	v_cndmask_b32_e64 v35, 0, v35, s37
	v_cmp_nlt_f32_e64 s37, 0x42b17218, v34
	s_delay_alu instid0(VALU_DEP_1) | instskip(NEXT) | instid1(VALU_DEP_1)
	v_cndmask_b32_e64 v36, 0x7f800000, v35, s37
	v_add_f32_e32 v37, 1.0, v36
	v_cmp_gt_f32_e64 s39, 0x33800000, |v36|
	s_delay_alu instid0(VALU_DEP_2) | instskip(NEXT) | instid1(VALU_DEP_1)
	v_cvt_f64_f32_e32 v[34:35], v37
	v_frexp_exp_i32_f64_e32 v34, v[34:35]
	v_frexp_mant_f32_e32 v35, v37
	s_delay_alu instid0(VALU_DEP_1) | instskip(SKIP_1) | instid1(VALU_DEP_1)
	v_cmp_gt_f32_e64 s37, 0x3f2aaaab, v35
	v_add_f32_e32 v35, -1.0, v37
	v_sub_f32_e32 v39, v35, v37
	v_sub_f32_e32 v35, v36, v35
	s_delay_alu instid0(VALU_DEP_4) | instskip(SKIP_1) | instid1(VALU_DEP_1)
	v_subrev_co_ci_u32_e64 v34, s37, 0, v34, s37
	s_mov_b32 s37, 0x3e9b6dac
	v_sub_nc_u32_e32 v38, 0, v34
	v_cvt_f32_i32_e32 v34, v34
	s_delay_alu instid0(VALU_DEP_2) | instskip(NEXT) | instid1(VALU_DEP_1)
	v_ldexp_f32 v37, v37, v38
	v_dual_add_f32 v40, 1.0, v37 :: v_dual_add_f32 v39, 1.0, v39
	s_delay_alu instid0(VALU_DEP_1) | instskip(NEXT) | instid1(VALU_DEP_1)
	v_add_f32_e32 v35, v35, v39
	v_ldexp_f32 v35, v35, v38
	s_delay_alu instid0(VALU_DEP_3) | instskip(NEXT) | instid1(VALU_DEP_1)
	v_dual_add_f32 v38, -1.0, v37 :: v_dual_add_f32 v39, -1.0, v40
	v_add_f32_e32 v41, 1.0, v38
	s_delay_alu instid0(VALU_DEP_2) | instskip(NEXT) | instid1(VALU_DEP_2)
	v_sub_f32_e32 v39, v37, v39
	v_sub_f32_e32 v37, v37, v41
	s_delay_alu instid0(VALU_DEP_2) | instskip(NEXT) | instid1(VALU_DEP_2)
	v_add_f32_e32 v39, v35, v39
	v_add_f32_e32 v35, v35, v37
	s_delay_alu instid0(VALU_DEP_2) | instskip(NEXT) | instid1(VALU_DEP_2)
	v_add_f32_e32 v41, v40, v39
	v_add_f32_e32 v43, v38, v35
	s_delay_alu instid0(VALU_DEP_2) | instskip(SKIP_1) | instid1(VALU_DEP_1)
	v_rcp_f32_e32 v37, v41
	v_sub_f32_e32 v40, v40, v41
	v_dual_sub_f32 v38, v38, v43 :: v_dual_add_f32 v39, v39, v40
	s_delay_alu instid0(VALU_DEP_1) | instskip(SKIP_2) | instid1(VALU_DEP_1)
	v_add_f32_e32 v35, v35, v38
	s_waitcnt_depctr 0xfff
	v_mul_f32_e32 v44, v43, v37
	v_mul_f32_e32 v45, v41, v44
	s_delay_alu instid0(VALU_DEP_1) | instskip(NEXT) | instid1(VALU_DEP_1)
	v_fma_f32 v40, v44, v41, -v45
	v_fmac_f32_e32 v40, v44, v39
	s_delay_alu instid0(VALU_DEP_1) | instskip(NEXT) | instid1(VALU_DEP_1)
	v_add_f32_e32 v50, v45, v40
	v_dual_sub_f32 v51, v43, v50 :: v_dual_sub_f32 v38, v50, v45
	s_delay_alu instid0(VALU_DEP_1) | instskip(NEXT) | instid1(VALU_DEP_1)
	v_dual_sub_f32 v43, v43, v51 :: v_dual_sub_f32 v38, v38, v40
	v_sub_f32_e32 v43, v43, v50
	s_delay_alu instid0(VALU_DEP_1) | instskip(NEXT) | instid1(VALU_DEP_1)
	v_add_f32_e32 v35, v35, v43
	v_add_f32_e32 v35, v38, v35
	s_delay_alu instid0(VALU_DEP_1) | instskip(NEXT) | instid1(VALU_DEP_1)
	v_add_f32_e32 v38, v51, v35
	v_mul_f32_e32 v40, v37, v38
	s_delay_alu instid0(VALU_DEP_1) | instskip(NEXT) | instid1(VALU_DEP_1)
	v_dual_sub_f32 v50, v51, v38 :: v_dual_mul_f32 v43, v41, v40
	v_add_f32_e32 v35, v35, v50
	s_delay_alu instid0(VALU_DEP_2) | instskip(NEXT) | instid1(VALU_DEP_1)
	v_fma_f32 v41, v40, v41, -v43
	v_fmac_f32_e32 v41, v40, v39
	s_delay_alu instid0(VALU_DEP_1) | instskip(NEXT) | instid1(VALU_DEP_1)
	v_add_f32_e32 v39, v43, v41
	v_sub_f32_e32 v45, v38, v39
	s_delay_alu instid0(VALU_DEP_1) | instskip(NEXT) | instid1(VALU_DEP_1)
	v_dual_sub_f32 v43, v39, v43 :: v_dual_sub_f32 v38, v38, v45
	v_dual_sub_f32 v38, v38, v39 :: v_dual_sub_f32 v39, v43, v41
	s_delay_alu instid0(VALU_DEP_1) | instskip(NEXT) | instid1(VALU_DEP_1)
	v_dual_add_f32 v35, v35, v38 :: v_dual_add_f32 v38, v44, v40
	v_add_f32_e32 v35, v39, v35
	s_delay_alu instid0(VALU_DEP_2) | instskip(NEXT) | instid1(VALU_DEP_2)
	v_sub_f32_e32 v39, v38, v44
	v_add_f32_e32 v35, v45, v35
	s_delay_alu instid0(VALU_DEP_2) | instskip(NEXT) | instid1(VALU_DEP_2)
	v_sub_f32_e32 v39, v40, v39
	v_mul_f32_e32 v35, v37, v35
	s_delay_alu instid0(VALU_DEP_1) | instskip(NEXT) | instid1(VALU_DEP_1)
	v_add_f32_e32 v35, v39, v35
	v_add_f32_e32 v37, v38, v35
	s_delay_alu instid0(VALU_DEP_1) | instskip(NEXT) | instid1(VALU_DEP_1)
	v_mul_f32_e32 v39, v37, v37
	v_fmaak_f32 v40, s37, v39, 0x3ecc95a3
	v_mul_f32_e32 v41, v37, v39
	v_cmp_eq_f32_e64 s37, 0x7f800000, v36
	s_delay_alu instid0(VALU_DEP_3) | instskip(SKIP_2) | instid1(VALU_DEP_4)
	v_fmaak_f32 v39, v39, v40, 0x3f2aaada
	v_ldexp_f32 v40, v37, 1
	v_sub_f32_e32 v37, v37, v38
	s_or_b32 s37, s37, s39
	s_delay_alu instid0(VALU_DEP_3) | instskip(SKIP_1) | instid1(VALU_DEP_2)
	v_mul_f32_e32 v39, v41, v39
	v_mul_f32_e32 v41, 0x3f317218, v34
	v_dual_sub_f32 v35, v35, v37 :: v_dual_add_f32 v38, v40, v39
	s_delay_alu instid0(VALU_DEP_1) | instskip(NEXT) | instid1(VALU_DEP_2)
	v_ldexp_f32 v35, v35, 1
	v_sub_f32_e32 v37, v38, v40
	s_delay_alu instid0(VALU_DEP_4) | instskip(NEXT) | instid1(VALU_DEP_1)
	v_fma_f32 v40, 0x3f317218, v34, -v41
	v_dual_sub_f32 v37, v39, v37 :: v_dual_fmamk_f32 v34, v34, 0xb102e308, v40
	s_delay_alu instid0(VALU_DEP_1) | instskip(NEXT) | instid1(VALU_DEP_2)
	v_add_f32_e32 v35, v35, v37
	v_add_f32_e32 v37, v41, v34
	s_delay_alu instid0(VALU_DEP_2) | instskip(NEXT) | instid1(VALU_DEP_2)
	v_add_f32_e32 v39, v38, v35
	v_sub_f32_e32 v41, v37, v41
	s_delay_alu instid0(VALU_DEP_2) | instskip(SKIP_1) | instid1(VALU_DEP_3)
	v_add_f32_e32 v40, v37, v39
	v_sub_f32_e32 v38, v39, v38
	v_sub_f32_e32 v34, v34, v41
	s_delay_alu instid0(VALU_DEP_3) | instskip(NEXT) | instid1(VALU_DEP_3)
	v_sub_f32_e32 v43, v40, v37
	v_sub_f32_e32 v35, v35, v38
	s_delay_alu instid0(VALU_DEP_2) | instskip(SKIP_1) | instid1(VALU_DEP_3)
	v_sub_f32_e32 v38, v39, v43
	v_sub_f32_e32 v44, v40, v43
	v_add_f32_e32 v39, v34, v35
	s_delay_alu instid0(VALU_DEP_2) | instskip(NEXT) | instid1(VALU_DEP_1)
	v_sub_f32_e32 v37, v37, v44
	v_dual_add_f32 v37, v38, v37 :: v_dual_sub_f32 v38, v39, v34
	s_delay_alu instid0(VALU_DEP_1) | instskip(NEXT) | instid1(VALU_DEP_2)
	v_add_f32_e32 v37, v39, v37
	v_sub_f32_e32 v39, v39, v38
	v_sub_f32_e32 v35, v35, v38
	s_delay_alu instid0(VALU_DEP_2) | instskip(NEXT) | instid1(VALU_DEP_1)
	v_dual_add_f32 v41, v40, v37 :: v_dual_sub_f32 v34, v34, v39
	v_sub_f32_e32 v38, v41, v40
	s_delay_alu instid0(VALU_DEP_2) | instskip(NEXT) | instid1(VALU_DEP_2)
	v_add_f32_e32 v34, v35, v34
	v_sub_f32_e32 v35, v37, v38
	s_delay_alu instid0(VALU_DEP_1) | instskip(NEXT) | instid1(VALU_DEP_1)
	v_add_f32_e32 v34, v34, v35
	v_add_f32_e32 v34, v41, v34
	s_delay_alu instid0(VALU_DEP_1) | instskip(NEXT) | instid1(VALU_DEP_1)
	v_cndmask_b32_e64 v34, v34, v36, s37
	v_add_f32_e32 v34, v31, v34
.LBB511_72:
	s_or_b32 exec_lo, exec_lo, s38
	s_delay_alu instid0(VALU_DEP_1) | instskip(SKIP_1) | instid1(VALU_DEP_2)
	v_bfe_u32 v31, v34, 16, 1
	v_cmp_o_f32_e64 s37, v34, v34
	v_add3_u32 v31, v34, v31, 0x7fff
	s_delay_alu instid0(VALU_DEP_1) | instskip(SKIP_1) | instid1(VALU_DEP_2)
	v_and_b32_e32 v35, 0xffff0000, v31
	v_lshlrev_b32_e32 v31, 16, v7
	v_cndmask_b32_e64 v36, 0x7fc00000, v35, s37
	s_delay_alu instid0(VALU_DEP_1) | instskip(SKIP_1) | instid1(VALU_DEP_2)
	v_dual_max_f32 v35, v31, v31 :: v_dual_max_f32 v34, v36, v36
	v_cmp_u_f32_e64 s37, v36, v36
	v_min_f32_e32 v37, v34, v35
	v_max_f32_e32 v34, v34, v35
	s_delay_alu instid0(VALU_DEP_2) | instskip(NEXT) | instid1(VALU_DEP_2)
	v_cndmask_b32_e64 v37, v37, v36, s37
	v_cndmask_b32_e64 v34, v34, v36, s37
	v_cmp_u_f32_e64 s37, v31, v31
	s_delay_alu instid0(VALU_DEP_1) | instskip(NEXT) | instid1(VALU_DEP_3)
	v_cndmask_b32_e64 v37, v37, v31, s37
	v_cndmask_b32_e64 v34, v34, v31, s37
	s_delay_alu instid0(VALU_DEP_2) | instskip(NEXT) | instid1(VALU_DEP_2)
	v_cmp_class_f32_e64 s39, v37, 0x1f8
	v_cmp_neq_f32_e64 s38, v37, v34
	s_delay_alu instid0(VALU_DEP_1) | instskip(NEXT) | instid1(SALU_CYCLE_1)
	s_or_b32 s38, s38, s39
	s_and_saveexec_b32 s39, s38
	s_cbranch_execz .LBB511_74
; %bb.73:
	v_sub_f32_e32 v36, v37, v34
	s_delay_alu instid0(VALU_DEP_1) | instskip(SKIP_1) | instid1(VALU_DEP_2)
	v_mul_f32_e32 v37, 0x3fb8aa3b, v36
	v_cmp_ngt_f32_e64 s38, 0xc2ce8ed0, v36
	v_fma_f32 v38, 0x3fb8aa3b, v36, -v37
	v_rndne_f32_e32 v39, v37
	s_delay_alu instid0(VALU_DEP_1) | instskip(NEXT) | instid1(VALU_DEP_1)
	v_dual_fmamk_f32 v38, v36, 0x32a5705f, v38 :: v_dual_sub_f32 v37, v37, v39
	v_add_f32_e32 v37, v37, v38
	v_cvt_i32_f32_e32 v38, v39
	s_delay_alu instid0(VALU_DEP_2) | instskip(SKIP_2) | instid1(VALU_DEP_1)
	v_exp_f32_e32 v37, v37
	s_waitcnt_depctr 0xfff
	v_ldexp_f32 v37, v37, v38
	v_cndmask_b32_e64 v37, 0, v37, s38
	v_cmp_nlt_f32_e64 s38, 0x42b17218, v36
	s_delay_alu instid0(VALU_DEP_1) | instskip(NEXT) | instid1(VALU_DEP_1)
	v_cndmask_b32_e64 v38, 0x7f800000, v37, s38
	v_add_f32_e32 v39, 1.0, v38
	v_cmp_gt_f32_e64 s40, 0x33800000, |v38|
	s_delay_alu instid0(VALU_DEP_2) | instskip(NEXT) | instid1(VALU_DEP_1)
	v_cvt_f64_f32_e32 v[36:37], v39
	v_frexp_exp_i32_f64_e32 v36, v[36:37]
	v_frexp_mant_f32_e32 v37, v39
	s_delay_alu instid0(VALU_DEP_1) | instskip(SKIP_1) | instid1(VALU_DEP_1)
	v_cmp_gt_f32_e64 s38, 0x3f2aaaab, v37
	v_add_f32_e32 v37, -1.0, v39
	v_sub_f32_e32 v41, v37, v39
	v_sub_f32_e32 v37, v38, v37
	s_delay_alu instid0(VALU_DEP_2) | instskip(NEXT) | instid1(VALU_DEP_1)
	v_add_f32_e32 v41, 1.0, v41
	v_add_f32_e32 v37, v37, v41
	v_subrev_co_ci_u32_e64 v36, s38, 0, v36, s38
	s_mov_b32 s38, 0x3e9b6dac
	s_delay_alu instid0(VALU_DEP_1) | instskip(SKIP_1) | instid1(VALU_DEP_2)
	v_sub_nc_u32_e32 v40, 0, v36
	v_cvt_f32_i32_e32 v36, v36
	v_ldexp_f32 v39, v39, v40
	v_ldexp_f32 v37, v37, v40
	s_delay_alu instid0(VALU_DEP_2) | instskip(SKIP_1) | instid1(VALU_DEP_1)
	v_add_f32_e32 v43, 1.0, v39
	v_add_f32_e32 v40, -1.0, v39
	v_dual_add_f32 v41, -1.0, v43 :: v_dual_add_f32 v44, 1.0, v40
	s_delay_alu instid0(VALU_DEP_1) | instskip(NEXT) | instid1(VALU_DEP_2)
	v_sub_f32_e32 v41, v39, v41
	v_sub_f32_e32 v39, v39, v44
	s_delay_alu instid0(VALU_DEP_2) | instskip(NEXT) | instid1(VALU_DEP_1)
	v_add_f32_e32 v41, v37, v41
	v_add_f32_e32 v44, v43, v41
	s_delay_alu instid0(VALU_DEP_1) | instskip(NEXT) | instid1(VALU_DEP_1)
	v_sub_f32_e32 v43, v43, v44
	v_add_f32_e32 v41, v41, v43
	v_add_f32_e32 v37, v37, v39
	v_rcp_f32_e32 v39, v44
	s_delay_alu instid0(VALU_DEP_1) | instskip(NEXT) | instid1(VALU_DEP_1)
	v_add_f32_e32 v45, v40, v37
	v_sub_f32_e32 v40, v40, v45
	s_waitcnt_depctr 0xfff
	v_mul_f32_e32 v50, v45, v39
	v_add_f32_e32 v37, v37, v40
	s_delay_alu instid0(VALU_DEP_2) | instskip(NEXT) | instid1(VALU_DEP_1)
	v_mul_f32_e32 v51, v44, v50
	v_fma_f32 v43, v50, v44, -v51
	s_delay_alu instid0(VALU_DEP_1) | instskip(NEXT) | instid1(VALU_DEP_1)
	v_fmac_f32_e32 v43, v50, v41
	v_add_f32_e32 v52, v51, v43
	s_delay_alu instid0(VALU_DEP_1) | instskip(NEXT) | instid1(VALU_DEP_1)
	v_dual_sub_f32 v53, v45, v52 :: v_dual_sub_f32 v40, v52, v51
	v_dual_sub_f32 v45, v45, v53 :: v_dual_sub_f32 v40, v40, v43
	s_delay_alu instid0(VALU_DEP_1) | instskip(NEXT) | instid1(VALU_DEP_1)
	v_sub_f32_e32 v45, v45, v52
	v_add_f32_e32 v37, v37, v45
	s_delay_alu instid0(VALU_DEP_1) | instskip(NEXT) | instid1(VALU_DEP_1)
	v_add_f32_e32 v37, v40, v37
	v_add_f32_e32 v40, v53, v37
	s_delay_alu instid0(VALU_DEP_1) | instskip(NEXT) | instid1(VALU_DEP_1)
	v_mul_f32_e32 v43, v39, v40
	v_dual_sub_f32 v52, v53, v40 :: v_dual_mul_f32 v45, v44, v43
	s_delay_alu instid0(VALU_DEP_1) | instskip(NEXT) | instid1(VALU_DEP_2)
	v_add_f32_e32 v37, v37, v52
	v_fma_f32 v44, v43, v44, -v45
	s_delay_alu instid0(VALU_DEP_1) | instskip(NEXT) | instid1(VALU_DEP_1)
	v_fmac_f32_e32 v44, v43, v41
	v_add_f32_e32 v41, v45, v44
	s_delay_alu instid0(VALU_DEP_1) | instskip(NEXT) | instid1(VALU_DEP_1)
	v_sub_f32_e32 v51, v40, v41
	v_dual_sub_f32 v45, v41, v45 :: v_dual_sub_f32 v40, v40, v51
	s_delay_alu instid0(VALU_DEP_1) | instskip(NEXT) | instid1(VALU_DEP_1)
	v_dual_sub_f32 v40, v40, v41 :: v_dual_sub_f32 v41, v45, v44
	v_dual_add_f32 v37, v37, v40 :: v_dual_add_f32 v40, v50, v43
	s_delay_alu instid0(VALU_DEP_1) | instskip(NEXT) | instid1(VALU_DEP_2)
	v_add_f32_e32 v37, v41, v37
	v_sub_f32_e32 v41, v40, v50
	s_delay_alu instid0(VALU_DEP_2) | instskip(NEXT) | instid1(VALU_DEP_2)
	v_add_f32_e32 v37, v51, v37
	v_sub_f32_e32 v41, v43, v41
	s_delay_alu instid0(VALU_DEP_2) | instskip(NEXT) | instid1(VALU_DEP_1)
	v_mul_f32_e32 v37, v39, v37
	v_add_f32_e32 v37, v41, v37
	s_delay_alu instid0(VALU_DEP_1) | instskip(NEXT) | instid1(VALU_DEP_1)
	v_add_f32_e32 v39, v40, v37
	v_mul_f32_e32 v41, v39, v39
	s_delay_alu instid0(VALU_DEP_1) | instskip(SKIP_2) | instid1(VALU_DEP_3)
	v_fmaak_f32 v43, s38, v41, 0x3ecc95a3
	v_mul_f32_e32 v44, v39, v41
	v_cmp_eq_f32_e64 s38, 0x7f800000, v38
	v_fmaak_f32 v41, v41, v43, 0x3f2aaada
	v_ldexp_f32 v43, v39, 1
	v_sub_f32_e32 v39, v39, v40
	s_delay_alu instid0(VALU_DEP_4) | instskip(NEXT) | instid1(VALU_DEP_3)
	s_or_b32 s38, s38, s40
	v_dual_mul_f32 v41, v44, v41 :: v_dual_mul_f32 v44, 0x3f317218, v36
	s_delay_alu instid0(VALU_DEP_1) | instskip(NEXT) | instid1(VALU_DEP_1)
	v_dual_sub_f32 v37, v37, v39 :: v_dual_add_f32 v40, v43, v41
	v_ldexp_f32 v37, v37, 1
	s_delay_alu instid0(VALU_DEP_2) | instskip(NEXT) | instid1(VALU_DEP_4)
	v_sub_f32_e32 v39, v40, v43
	v_fma_f32 v43, 0x3f317218, v36, -v44
	s_delay_alu instid0(VALU_DEP_1) | instskip(NEXT) | instid1(VALU_DEP_1)
	v_dual_sub_f32 v39, v41, v39 :: v_dual_fmamk_f32 v36, v36, 0xb102e308, v43
	v_add_f32_e32 v37, v37, v39
	s_delay_alu instid0(VALU_DEP_2) | instskip(NEXT) | instid1(VALU_DEP_1)
	v_add_f32_e32 v39, v44, v36
	v_dual_add_f32 v41, v40, v37 :: v_dual_sub_f32 v44, v39, v44
	s_delay_alu instid0(VALU_DEP_1) | instskip(NEXT) | instid1(VALU_DEP_1)
	v_dual_add_f32 v43, v39, v41 :: v_dual_sub_f32 v40, v41, v40
	v_dual_sub_f32 v36, v36, v44 :: v_dual_sub_f32 v45, v43, v39
	s_delay_alu instid0(VALU_DEP_1) | instskip(SKIP_1) | instid1(VALU_DEP_2)
	v_dual_sub_f32 v37, v37, v40 :: v_dual_sub_f32 v50, v43, v45
	v_sub_f32_e32 v40, v41, v45
	v_add_f32_e32 v41, v36, v37
	s_delay_alu instid0(VALU_DEP_3) | instskip(NEXT) | instid1(VALU_DEP_1)
	v_sub_f32_e32 v39, v39, v50
	v_dual_add_f32 v39, v40, v39 :: v_dual_sub_f32 v40, v41, v36
	s_delay_alu instid0(VALU_DEP_1) | instskip(NEXT) | instid1(VALU_DEP_2)
	v_add_f32_e32 v39, v41, v39
	v_sub_f32_e32 v41, v41, v40
	s_delay_alu instid0(VALU_DEP_2) | instskip(NEXT) | instid1(VALU_DEP_2)
	v_dual_sub_f32 v37, v37, v40 :: v_dual_add_f32 v44, v43, v39
	v_sub_f32_e32 v36, v36, v41
	s_delay_alu instid0(VALU_DEP_2) | instskip(NEXT) | instid1(VALU_DEP_2)
	v_sub_f32_e32 v40, v44, v43
	v_add_f32_e32 v36, v37, v36
	s_delay_alu instid0(VALU_DEP_2) | instskip(NEXT) | instid1(VALU_DEP_1)
	v_sub_f32_e32 v37, v39, v40
	v_add_f32_e32 v36, v36, v37
	s_delay_alu instid0(VALU_DEP_1) | instskip(NEXT) | instid1(VALU_DEP_1)
	v_add_f32_e32 v36, v44, v36
	v_cndmask_b32_e64 v36, v36, v38, s38
	s_delay_alu instid0(VALU_DEP_1)
	v_add_f32_e32 v36, v34, v36
.LBB511_74:
	s_or_b32 exec_lo, exec_lo, s39
	s_delay_alu instid0(VALU_DEP_1) | instskip(SKIP_1) | instid1(VALU_DEP_2)
	v_bfe_u32 v34, v36, 16, 1
	v_cmp_o_f32_e64 s38, v36, v36
	v_add3_u32 v34, v36, v34, 0x7fff
	s_delay_alu instid0(VALU_DEP_1) | instskip(NEXT) | instid1(VALU_DEP_1)
	v_and_b32_e32 v34, 0xffff0000, v34
	v_cndmask_b32_e64 v37, 0x7fc00000, v34, s38
	s_delay_alu instid0(VALU_DEP_1) | instskip(NEXT) | instid1(VALU_DEP_1)
	v_dual_max_f32 v34, v37, v37 :: v_dual_and_b32 v7, 0xffff0000, v7
	v_max_f32_e32 v36, v7, v7
	v_cmp_u_f32_e64 s38, v37, v37
	s_delay_alu instid0(VALU_DEP_2) | instskip(SKIP_1) | instid1(VALU_DEP_2)
	v_min_f32_e32 v38, v34, v36
	v_max_f32_e32 v34, v34, v36
	v_cndmask_b32_e64 v38, v38, v37, s38
	s_delay_alu instid0(VALU_DEP_2) | instskip(SKIP_1) | instid1(VALU_DEP_1)
	v_cndmask_b32_e64 v34, v34, v37, s38
	v_cmp_u_f32_e64 s38, v7, v7
	v_cndmask_b32_e64 v38, v38, v7, s38
	s_delay_alu instid0(VALU_DEP_3) | instskip(NEXT) | instid1(VALU_DEP_2)
	v_cndmask_b32_e64 v34, v34, v7, s38
	v_cmp_class_f32_e64 s40, v38, 0x1f8
	s_delay_alu instid0(VALU_DEP_2) | instskip(NEXT) | instid1(VALU_DEP_1)
	v_cmp_neq_f32_e64 s39, v38, v34
	s_or_b32 s39, s39, s40
	s_delay_alu instid0(SALU_CYCLE_1)
	s_and_saveexec_b32 s40, s39
	s_cbranch_execz .LBB511_76
; %bb.75:
	v_sub_f32_e32 v37, v38, v34
	s_delay_alu instid0(VALU_DEP_1) | instskip(SKIP_1) | instid1(VALU_DEP_2)
	v_mul_f32_e32 v38, 0x3fb8aa3b, v37
	v_cmp_ngt_f32_e64 s39, 0xc2ce8ed0, v37
	v_fma_f32 v39, 0x3fb8aa3b, v37, -v38
	v_rndne_f32_e32 v40, v38
	s_delay_alu instid0(VALU_DEP_1) | instskip(NEXT) | instid1(VALU_DEP_1)
	v_dual_fmamk_f32 v39, v37, 0x32a5705f, v39 :: v_dual_sub_f32 v38, v38, v40
	v_add_f32_e32 v38, v38, v39
	v_cvt_i32_f32_e32 v39, v40
	s_delay_alu instid0(VALU_DEP_2) | instskip(SKIP_2) | instid1(VALU_DEP_1)
	v_exp_f32_e32 v38, v38
	s_waitcnt_depctr 0xfff
	v_ldexp_f32 v38, v38, v39
	v_cndmask_b32_e64 v38, 0, v38, s39
	v_cmp_nlt_f32_e64 s39, 0x42b17218, v37
	s_delay_alu instid0(VALU_DEP_1) | instskip(NEXT) | instid1(VALU_DEP_1)
	v_cndmask_b32_e64 v39, 0x7f800000, v38, s39
	v_add_f32_e32 v40, 1.0, v39
	v_cmp_gt_f32_e64 s41, 0x33800000, |v39|
	s_delay_alu instid0(VALU_DEP_2) | instskip(NEXT) | instid1(VALU_DEP_1)
	v_cvt_f64_f32_e32 v[37:38], v40
	v_frexp_exp_i32_f64_e32 v37, v[37:38]
	v_frexp_mant_f32_e32 v38, v40
	s_delay_alu instid0(VALU_DEP_1) | instskip(SKIP_1) | instid1(VALU_DEP_1)
	v_cmp_gt_f32_e64 s39, 0x3f2aaaab, v38
	v_add_f32_e32 v38, -1.0, v40
	v_dual_sub_f32 v43, v38, v40 :: v_dual_sub_f32 v38, v39, v38
	s_delay_alu instid0(VALU_DEP_1) | instskip(NEXT) | instid1(VALU_DEP_4)
	v_add_f32_e32 v43, 1.0, v43
	v_subrev_co_ci_u32_e64 v37, s39, 0, v37, s39
	s_mov_b32 s39, 0x3e9b6dac
	s_delay_alu instid0(VALU_DEP_1) | instskip(SKIP_1) | instid1(VALU_DEP_2)
	v_sub_nc_u32_e32 v41, 0, v37
	v_cvt_f32_i32_e32 v37, v37
	v_ldexp_f32 v40, v40, v41
	v_add_f32_e32 v38, v38, v43
	s_delay_alu instid0(VALU_DEP_1) | instskip(NEXT) | instid1(VALU_DEP_3)
	v_ldexp_f32 v38, v38, v41
	v_add_f32_e32 v41, -1.0, v40
	s_delay_alu instid0(VALU_DEP_1) | instskip(NEXT) | instid1(VALU_DEP_1)
	v_dual_add_f32 v44, 1.0, v40 :: v_dual_add_f32 v45, 1.0, v41
	v_add_f32_e32 v43, -1.0, v44
	s_delay_alu instid0(VALU_DEP_1) | instskip(NEXT) | instid1(VALU_DEP_1)
	v_sub_f32_e32 v43, v40, v43
	v_dual_sub_f32 v40, v40, v45 :: v_dual_add_f32 v43, v38, v43
	s_delay_alu instid0(VALU_DEP_1) | instskip(NEXT) | instid1(VALU_DEP_1)
	v_dual_add_f32 v38, v38, v40 :: v_dual_add_f32 v45, v44, v43
	v_rcp_f32_e32 v40, v45
	v_sub_f32_e32 v44, v44, v45
	s_delay_alu instid0(VALU_DEP_1) | instskip(NEXT) | instid1(VALU_DEP_1)
	v_dual_add_f32 v50, v41, v38 :: v_dual_add_f32 v43, v43, v44
	v_sub_f32_e32 v41, v41, v50
	s_waitcnt_depctr 0xfff
	v_mul_f32_e32 v51, v50, v40
	v_add_f32_e32 v38, v38, v41
	s_delay_alu instid0(VALU_DEP_2) | instskip(NEXT) | instid1(VALU_DEP_1)
	v_mul_f32_e32 v52, v45, v51
	v_fma_f32 v44, v51, v45, -v52
	s_delay_alu instid0(VALU_DEP_1) | instskip(NEXT) | instid1(VALU_DEP_1)
	v_fmac_f32_e32 v44, v51, v43
	v_add_f32_e32 v53, v52, v44
	s_delay_alu instid0(VALU_DEP_1) | instskip(NEXT) | instid1(VALU_DEP_1)
	v_sub_f32_e32 v54, v50, v53
	v_dual_sub_f32 v50, v50, v54 :: v_dual_sub_f32 v41, v53, v52
	s_delay_alu instid0(VALU_DEP_1) | instskip(NEXT) | instid1(VALU_DEP_1)
	v_dual_sub_f32 v50, v50, v53 :: v_dual_sub_f32 v41, v41, v44
	v_add_f32_e32 v38, v38, v50
	s_delay_alu instid0(VALU_DEP_1) | instskip(NEXT) | instid1(VALU_DEP_1)
	v_add_f32_e32 v38, v41, v38
	v_add_f32_e32 v41, v54, v38
	s_delay_alu instid0(VALU_DEP_1) | instskip(NEXT) | instid1(VALU_DEP_1)
	v_mul_f32_e32 v44, v40, v41
	v_dual_sub_f32 v53, v54, v41 :: v_dual_mul_f32 v50, v45, v44
	s_delay_alu instid0(VALU_DEP_1) | instskip(NEXT) | instid1(VALU_DEP_2)
	v_add_f32_e32 v38, v38, v53
	v_fma_f32 v45, v44, v45, -v50
	s_delay_alu instid0(VALU_DEP_1) | instskip(NEXT) | instid1(VALU_DEP_1)
	v_fmac_f32_e32 v45, v44, v43
	v_add_f32_e32 v43, v50, v45
	s_delay_alu instid0(VALU_DEP_1) | instskip(SKIP_1) | instid1(VALU_DEP_1)
	v_sub_f32_e32 v50, v43, v50
	v_sub_f32_e32 v52, v41, v43
	;; [unrolled: 1-line block ×3, first 2 shown]
	s_delay_alu instid0(VALU_DEP_1) | instskip(NEXT) | instid1(VALU_DEP_4)
	v_sub_f32_e32 v41, v41, v43
	v_sub_f32_e32 v43, v50, v45
	s_delay_alu instid0(VALU_DEP_2) | instskip(NEXT) | instid1(VALU_DEP_1)
	v_dual_add_f32 v38, v38, v41 :: v_dual_add_f32 v41, v51, v44
	v_dual_add_f32 v38, v43, v38 :: v_dual_sub_f32 v43, v41, v51
	s_delay_alu instid0(VALU_DEP_1) | instskip(NEXT) | instid1(VALU_DEP_2)
	v_add_f32_e32 v38, v52, v38
	v_sub_f32_e32 v43, v44, v43
	s_delay_alu instid0(VALU_DEP_2) | instskip(NEXT) | instid1(VALU_DEP_1)
	v_mul_f32_e32 v38, v40, v38
	v_add_f32_e32 v38, v43, v38
	s_delay_alu instid0(VALU_DEP_1) | instskip(NEXT) | instid1(VALU_DEP_1)
	v_add_f32_e32 v40, v41, v38
	v_mul_f32_e32 v43, v40, v40
	s_delay_alu instid0(VALU_DEP_1) | instskip(SKIP_2) | instid1(VALU_DEP_3)
	v_fmaak_f32 v44, s39, v43, 0x3ecc95a3
	v_mul_f32_e32 v45, v40, v43
	v_cmp_eq_f32_e64 s39, 0x7f800000, v39
	v_fmaak_f32 v43, v43, v44, 0x3f2aaada
	v_ldexp_f32 v44, v40, 1
	v_sub_f32_e32 v40, v40, v41
	s_delay_alu instid0(VALU_DEP_4) | instskip(NEXT) | instid1(VALU_DEP_3)
	s_or_b32 s39, s39, s41
	v_mul_f32_e32 v43, v45, v43
	s_delay_alu instid0(VALU_DEP_2) | instskip(NEXT) | instid1(VALU_DEP_2)
	v_dual_mul_f32 v45, 0x3f317218, v37 :: v_dual_sub_f32 v38, v38, v40
	v_add_f32_e32 v41, v44, v43
	s_delay_alu instid0(VALU_DEP_2) | instskip(NEXT) | instid1(VALU_DEP_2)
	v_ldexp_f32 v38, v38, 1
	v_sub_f32_e32 v40, v41, v44
	s_delay_alu instid0(VALU_DEP_4) | instskip(NEXT) | instid1(VALU_DEP_1)
	v_fma_f32 v44, 0x3f317218, v37, -v45
	v_dual_sub_f32 v40, v43, v40 :: v_dual_fmamk_f32 v37, v37, 0xb102e308, v44
	s_delay_alu instid0(VALU_DEP_1) | instskip(NEXT) | instid1(VALU_DEP_2)
	v_add_f32_e32 v38, v38, v40
	v_add_f32_e32 v40, v45, v37
	s_delay_alu instid0(VALU_DEP_1) | instskip(NEXT) | instid1(VALU_DEP_3)
	v_sub_f32_e32 v45, v40, v45
	v_add_f32_e32 v43, v41, v38
	s_delay_alu instid0(VALU_DEP_1) | instskip(SKIP_1) | instid1(VALU_DEP_1)
	v_dual_sub_f32 v37, v37, v45 :: v_dual_add_f32 v44, v40, v43
	v_sub_f32_e32 v41, v43, v41
	v_sub_f32_e32 v38, v38, v41
	s_delay_alu instid0(VALU_DEP_3) | instskip(NEXT) | instid1(VALU_DEP_1)
	v_sub_f32_e32 v50, v44, v40
	v_sub_f32_e32 v41, v43, v50
	s_delay_alu instid0(VALU_DEP_3) | instskip(SKIP_1) | instid1(VALU_DEP_1)
	v_add_f32_e32 v43, v37, v38
	v_sub_f32_e32 v51, v44, v50
	v_sub_f32_e32 v40, v40, v51
	s_delay_alu instid0(VALU_DEP_1) | instskip(NEXT) | instid1(VALU_DEP_1)
	v_dual_add_f32 v40, v41, v40 :: v_dual_sub_f32 v41, v43, v37
	v_add_f32_e32 v40, v43, v40
	s_delay_alu instid0(VALU_DEP_2) | instskip(NEXT) | instid1(VALU_DEP_1)
	v_sub_f32_e32 v43, v43, v41
	v_sub_f32_e32 v37, v37, v43
	s_delay_alu instid0(VALU_DEP_3) | instskip(NEXT) | instid1(VALU_DEP_1)
	v_dual_add_f32 v45, v44, v40 :: v_dual_sub_f32 v38, v38, v41
	v_sub_f32_e32 v41, v45, v44
	s_delay_alu instid0(VALU_DEP_2) | instskip(NEXT) | instid1(VALU_DEP_2)
	v_add_f32_e32 v37, v38, v37
	v_sub_f32_e32 v38, v40, v41
	s_delay_alu instid0(VALU_DEP_1) | instskip(NEXT) | instid1(VALU_DEP_1)
	v_add_f32_e32 v37, v37, v38
	v_add_f32_e32 v37, v45, v37
	s_delay_alu instid0(VALU_DEP_1) | instskip(NEXT) | instid1(VALU_DEP_1)
	v_cndmask_b32_e64 v37, v37, v39, s39
	v_add_f32_e32 v37, v34, v37
.LBB511_76:
	s_or_b32 exec_lo, exec_lo, s40
	s_delay_alu instid0(VALU_DEP_1) | instskip(SKIP_1) | instid1(VALU_DEP_2)
	v_bfe_u32 v34, v37, 16, 1
	v_cmp_o_f32_e64 s39, v37, v37
	v_add3_u32 v34, v37, v34, 0x7fff
	s_delay_alu instid0(VALU_DEP_1) | instskip(NEXT) | instid1(VALU_DEP_1)
	v_and_b32_e32 v38, 0xffff0000, v34
	v_cndmask_b32_e64 v39, 0x7fc00000, v38, s39
	s_delay_alu instid0(VALU_DEP_1) | instskip(SKIP_1) | instid1(VALU_DEP_2)
	v_dual_max_f32 v37, v39, v39 :: v_dual_lshlrev_b32 v34, 16, v4
	v_cmp_u_f32_e64 s39, v39, v39
	v_max_f32_e32 v38, v34, v34
	s_delay_alu instid0(VALU_DEP_1) | instskip(SKIP_1) | instid1(VALU_DEP_2)
	v_min_f32_e32 v40, v37, v38
	v_max_f32_e32 v37, v37, v38
	v_cndmask_b32_e64 v40, v40, v39, s39
	s_delay_alu instid0(VALU_DEP_2) | instskip(SKIP_1) | instid1(VALU_DEP_1)
	v_cndmask_b32_e64 v37, v37, v39, s39
	v_cmp_u_f32_e64 s39, v34, v34
	v_cndmask_b32_e64 v40, v40, v34, s39
	s_delay_alu instid0(VALU_DEP_3) | instskip(NEXT) | instid1(VALU_DEP_2)
	v_cndmask_b32_e64 v37, v37, v34, s39
	v_cmp_class_f32_e64 s41, v40, 0x1f8
	s_delay_alu instid0(VALU_DEP_2) | instskip(NEXT) | instid1(VALU_DEP_1)
	v_cmp_neq_f32_e64 s40, v40, v37
	s_or_b32 s40, s40, s41
	s_delay_alu instid0(SALU_CYCLE_1)
	s_and_saveexec_b32 s41, s40
	s_cbranch_execz .LBB511_78
; %bb.77:
	v_sub_f32_e32 v39, v40, v37
	s_delay_alu instid0(VALU_DEP_1) | instskip(SKIP_1) | instid1(VALU_DEP_2)
	v_mul_f32_e32 v40, 0x3fb8aa3b, v39
	v_cmp_ngt_f32_e64 s40, 0xc2ce8ed0, v39
	v_fma_f32 v41, 0x3fb8aa3b, v39, -v40
	v_rndne_f32_e32 v43, v40
	s_delay_alu instid0(VALU_DEP_1) | instskip(NEXT) | instid1(VALU_DEP_1)
	v_dual_fmamk_f32 v41, v39, 0x32a5705f, v41 :: v_dual_sub_f32 v40, v40, v43
	v_add_f32_e32 v40, v40, v41
	v_cvt_i32_f32_e32 v41, v43
	s_delay_alu instid0(VALU_DEP_2) | instskip(SKIP_2) | instid1(VALU_DEP_1)
	v_exp_f32_e32 v40, v40
	s_waitcnt_depctr 0xfff
	v_ldexp_f32 v40, v40, v41
	v_cndmask_b32_e64 v40, 0, v40, s40
	v_cmp_nlt_f32_e64 s40, 0x42b17218, v39
	s_delay_alu instid0(VALU_DEP_1) | instskip(NEXT) | instid1(VALU_DEP_1)
	v_cndmask_b32_e64 v41, 0x7f800000, v40, s40
	v_add_f32_e32 v43, 1.0, v41
	v_cmp_gt_f32_e64 s42, 0x33800000, |v41|
	s_delay_alu instid0(VALU_DEP_2) | instskip(NEXT) | instid1(VALU_DEP_1)
	v_cvt_f64_f32_e32 v[39:40], v43
	v_frexp_exp_i32_f64_e32 v39, v[39:40]
	v_frexp_mant_f32_e32 v40, v43
	s_delay_alu instid0(VALU_DEP_1) | instskip(SKIP_1) | instid1(VALU_DEP_1)
	v_cmp_gt_f32_e64 s40, 0x3f2aaaab, v40
	v_add_f32_e32 v40, -1.0, v43
	v_dual_sub_f32 v45, v40, v43 :: v_dual_sub_f32 v40, v41, v40
	s_delay_alu instid0(VALU_DEP_3) | instskip(SKIP_1) | instid1(VALU_DEP_1)
	v_subrev_co_ci_u32_e64 v39, s40, 0, v39, s40
	s_mov_b32 s40, 0x3e9b6dac
	v_sub_nc_u32_e32 v44, 0, v39
	v_cvt_f32_i32_e32 v39, v39
	s_delay_alu instid0(VALU_DEP_2) | instskip(NEXT) | instid1(VALU_DEP_1)
	v_ldexp_f32 v43, v43, v44
	v_dual_add_f32 v45, 1.0, v45 :: v_dual_add_f32 v50, 1.0, v43
	s_delay_alu instid0(VALU_DEP_1) | instskip(NEXT) | instid1(VALU_DEP_1)
	v_dual_add_f32 v40, v40, v45 :: v_dual_add_f32 v45, -1.0, v50
	v_ldexp_f32 v40, v40, v44
	s_delay_alu instid0(VALU_DEP_2) | instskip(NEXT) | instid1(VALU_DEP_1)
	v_dual_add_f32 v44, -1.0, v43 :: v_dual_sub_f32 v45, v43, v45
	v_add_f32_e32 v51, 1.0, v44
	s_delay_alu instid0(VALU_DEP_2) | instskip(NEXT) | instid1(VALU_DEP_2)
	v_add_f32_e32 v45, v40, v45
	v_sub_f32_e32 v43, v43, v51
	s_delay_alu instid0(VALU_DEP_1) | instskip(NEXT) | instid1(VALU_DEP_1)
	v_dual_add_f32 v51, v50, v45 :: v_dual_add_f32 v40, v40, v43
	v_rcp_f32_e32 v43, v51
	v_sub_f32_e32 v50, v50, v51
	s_delay_alu instid0(VALU_DEP_1) | instskip(NEXT) | instid1(VALU_DEP_1)
	v_dual_add_f32 v52, v44, v40 :: v_dual_add_f32 v45, v45, v50
	v_sub_f32_e32 v44, v44, v52
	s_waitcnt_depctr 0xfff
	v_mul_f32_e32 v53, v52, v43
	v_add_f32_e32 v40, v40, v44
	s_delay_alu instid0(VALU_DEP_2) | instskip(NEXT) | instid1(VALU_DEP_1)
	v_mul_f32_e32 v54, v51, v53
	v_fma_f32 v50, v53, v51, -v54
	s_delay_alu instid0(VALU_DEP_1) | instskip(NEXT) | instid1(VALU_DEP_1)
	v_fmac_f32_e32 v50, v53, v45
	v_add_f32_e32 v55, v54, v50
	s_delay_alu instid0(VALU_DEP_1) | instskip(SKIP_1) | instid1(VALU_DEP_2)
	v_sub_f32_e32 v56, v52, v55
	v_sub_f32_e32 v44, v55, v54
	;; [unrolled: 1-line block ×3, first 2 shown]
	s_delay_alu instid0(VALU_DEP_2) | instskip(NEXT) | instid1(VALU_DEP_2)
	v_sub_f32_e32 v44, v44, v50
	v_sub_f32_e32 v52, v52, v55
	s_delay_alu instid0(VALU_DEP_1) | instskip(NEXT) | instid1(VALU_DEP_1)
	v_add_f32_e32 v40, v40, v52
	v_add_f32_e32 v40, v44, v40
	s_delay_alu instid0(VALU_DEP_1) | instskip(NEXT) | instid1(VALU_DEP_1)
	v_add_f32_e32 v44, v56, v40
	v_mul_f32_e32 v50, v43, v44
	s_delay_alu instid0(VALU_DEP_1) | instskip(NEXT) | instid1(VALU_DEP_1)
	v_mul_f32_e32 v52, v51, v50
	v_fma_f32 v51, v50, v51, -v52
	s_delay_alu instid0(VALU_DEP_1) | instskip(SKIP_1) | instid1(VALU_DEP_2)
	v_fmac_f32_e32 v51, v50, v45
	v_sub_f32_e32 v55, v56, v44
	v_add_f32_e32 v45, v52, v51
	s_delay_alu instid0(VALU_DEP_2) | instskip(NEXT) | instid1(VALU_DEP_2)
	v_add_f32_e32 v40, v40, v55
	v_sub_f32_e32 v54, v44, v45
	v_sub_f32_e32 v52, v45, v52
	s_delay_alu instid0(VALU_DEP_2) | instskip(NEXT) | instid1(VALU_DEP_1)
	v_sub_f32_e32 v44, v44, v54
	v_sub_f32_e32 v44, v44, v45
	s_delay_alu instid0(VALU_DEP_3) | instskip(NEXT) | instid1(VALU_DEP_2)
	v_sub_f32_e32 v45, v52, v51
	v_add_f32_e32 v40, v40, v44
	v_add_f32_e32 v44, v53, v50
	s_delay_alu instid0(VALU_DEP_1) | instskip(NEXT) | instid1(VALU_DEP_1)
	v_dual_add_f32 v40, v45, v40 :: v_dual_sub_f32 v45, v44, v53
	v_add_f32_e32 v40, v54, v40
	s_delay_alu instid0(VALU_DEP_1) | instskip(NEXT) | instid1(VALU_DEP_1)
	v_dual_sub_f32 v45, v50, v45 :: v_dual_mul_f32 v40, v43, v40
	v_add_f32_e32 v40, v45, v40
	s_delay_alu instid0(VALU_DEP_1) | instskip(NEXT) | instid1(VALU_DEP_1)
	v_add_f32_e32 v43, v44, v40
	v_mul_f32_e32 v45, v43, v43
	s_delay_alu instid0(VALU_DEP_1) | instskip(SKIP_2) | instid1(VALU_DEP_3)
	v_fmaak_f32 v50, s40, v45, 0x3ecc95a3
	v_mul_f32_e32 v51, v43, v45
	v_cmp_eq_f32_e64 s40, 0x7f800000, v41
	v_fmaak_f32 v45, v45, v50, 0x3f2aaada
	v_ldexp_f32 v50, v43, 1
	v_sub_f32_e32 v43, v43, v44
	s_delay_alu instid0(VALU_DEP_4) | instskip(NEXT) | instid1(VALU_DEP_3)
	s_or_b32 s40, s40, s42
	v_mul_f32_e32 v45, v51, v45
	v_mul_f32_e32 v51, 0x3f317218, v39
	s_delay_alu instid0(VALU_DEP_3) | instskip(NEXT) | instid1(VALU_DEP_3)
	v_sub_f32_e32 v40, v40, v43
	v_add_f32_e32 v44, v50, v45
	s_delay_alu instid0(VALU_DEP_2) | instskip(NEXT) | instid1(VALU_DEP_2)
	v_ldexp_f32 v40, v40, 1
	v_sub_f32_e32 v43, v44, v50
	v_fma_f32 v50, 0x3f317218, v39, -v51
	s_delay_alu instid0(VALU_DEP_2) | instskip(NEXT) | instid1(VALU_DEP_1)
	v_sub_f32_e32 v43, v45, v43
	v_dual_fmamk_f32 v39, v39, 0xb102e308, v50 :: v_dual_add_f32 v40, v40, v43
	s_delay_alu instid0(VALU_DEP_1) | instskip(NEXT) | instid1(VALU_DEP_2)
	v_add_f32_e32 v43, v51, v39
	v_add_f32_e32 v45, v44, v40
	s_delay_alu instid0(VALU_DEP_2) | instskip(NEXT) | instid1(VALU_DEP_2)
	v_sub_f32_e32 v51, v43, v51
	v_add_f32_e32 v50, v43, v45
	s_delay_alu instid0(VALU_DEP_2) | instskip(NEXT) | instid1(VALU_DEP_2)
	v_sub_f32_e32 v39, v39, v51
	v_sub_f32_e32 v52, v50, v43
	v_sub_f32_e32 v44, v45, v44
	s_delay_alu instid0(VALU_DEP_2) | instskip(NEXT) | instid1(VALU_DEP_2)
	v_sub_f32_e32 v53, v50, v52
	v_sub_f32_e32 v40, v40, v44
	s_delay_alu instid0(VALU_DEP_2) | instskip(NEXT) | instid1(VALU_DEP_2)
	v_dual_sub_f32 v44, v45, v52 :: v_dual_sub_f32 v43, v43, v53
	v_add_f32_e32 v45, v39, v40
	s_delay_alu instid0(VALU_DEP_2) | instskip(NEXT) | instid1(VALU_DEP_2)
	v_add_f32_e32 v43, v44, v43
	v_sub_f32_e32 v44, v45, v39
	s_delay_alu instid0(VALU_DEP_2) | instskip(NEXT) | instid1(VALU_DEP_2)
	v_add_f32_e32 v43, v45, v43
	v_sub_f32_e32 v45, v45, v44
	s_delay_alu instid0(VALU_DEP_2) | instskip(NEXT) | instid1(VALU_DEP_2)
	v_dual_sub_f32 v40, v40, v44 :: v_dual_add_f32 v51, v50, v43
	v_sub_f32_e32 v39, v39, v45
	s_delay_alu instid0(VALU_DEP_1) | instskip(NEXT) | instid1(VALU_DEP_1)
	v_dual_sub_f32 v44, v51, v50 :: v_dual_add_f32 v39, v40, v39
	v_sub_f32_e32 v40, v43, v44
	s_delay_alu instid0(VALU_DEP_1) | instskip(NEXT) | instid1(VALU_DEP_1)
	v_add_f32_e32 v39, v39, v40
	v_add_f32_e32 v39, v51, v39
	s_delay_alu instid0(VALU_DEP_1) | instskip(NEXT) | instid1(VALU_DEP_1)
	v_cndmask_b32_e64 v39, v39, v41, s40
	v_add_f32_e32 v39, v37, v39
.LBB511_78:
	s_or_b32 exec_lo, exec_lo, s41
	s_delay_alu instid0(VALU_DEP_1) | instskip(SKIP_1) | instid1(VALU_DEP_2)
	v_bfe_u32 v37, v39, 16, 1
	v_cmp_o_f32_e64 s40, v39, v39
	v_add3_u32 v37, v39, v37, 0x7fff
	s_delay_alu instid0(VALU_DEP_1) | instskip(NEXT) | instid1(VALU_DEP_1)
	v_and_b32_e32 v37, 0xffff0000, v37
	v_cndmask_b32_e64 v40, 0x7fc00000, v37, s40
	s_delay_alu instid0(VALU_DEP_1) | instskip(SKIP_2) | instid1(VALU_DEP_2)
	v_max_f32_e32 v37, v40, v40
	v_and_b32_e32 v4, 0xffff0000, v4
	v_cmp_u_f32_e64 s40, v40, v40
	v_max_f32_e32 v39, v4, v4
	s_delay_alu instid0(VALU_DEP_1) | instskip(SKIP_1) | instid1(VALU_DEP_2)
	v_min_f32_e32 v41, v37, v39
	v_max_f32_e32 v37, v37, v39
	v_cndmask_b32_e64 v41, v41, v40, s40
	s_delay_alu instid0(VALU_DEP_2) | instskip(SKIP_1) | instid1(VALU_DEP_1)
	v_cndmask_b32_e64 v37, v37, v40, s40
	v_cmp_u_f32_e64 s40, v4, v4
	v_cndmask_b32_e64 v41, v41, v4, s40
	s_delay_alu instid0(VALU_DEP_3) | instskip(NEXT) | instid1(VALU_DEP_2)
	v_cndmask_b32_e64 v37, v37, v4, s40
	v_cmp_class_f32_e64 s42, v41, 0x1f8
	s_delay_alu instid0(VALU_DEP_2) | instskip(NEXT) | instid1(VALU_DEP_1)
	v_cmp_neq_f32_e64 s41, v41, v37
	s_or_b32 s41, s41, s42
	s_delay_alu instid0(SALU_CYCLE_1)
	s_and_saveexec_b32 s42, s41
	s_cbranch_execz .LBB511_80
; %bb.79:
	v_sub_f32_e32 v40, v41, v37
	s_delay_alu instid0(VALU_DEP_1) | instskip(SKIP_1) | instid1(VALU_DEP_2)
	v_mul_f32_e32 v41, 0x3fb8aa3b, v40
	v_cmp_ngt_f32_e64 s41, 0xc2ce8ed0, v40
	v_fma_f32 v43, 0x3fb8aa3b, v40, -v41
	v_rndne_f32_e32 v44, v41
	s_delay_alu instid0(VALU_DEP_2) | instskip(NEXT) | instid1(VALU_DEP_2)
	v_fmamk_f32 v43, v40, 0x32a5705f, v43
	v_sub_f32_e32 v41, v41, v44
	s_delay_alu instid0(VALU_DEP_1) | instskip(SKIP_1) | instid1(VALU_DEP_2)
	v_add_f32_e32 v41, v41, v43
	v_cvt_i32_f32_e32 v43, v44
	v_exp_f32_e32 v41, v41
	s_waitcnt_depctr 0xfff
	v_ldexp_f32 v41, v41, v43
	s_delay_alu instid0(VALU_DEP_1) | instskip(SKIP_1) | instid1(VALU_DEP_1)
	v_cndmask_b32_e64 v41, 0, v41, s41
	v_cmp_nlt_f32_e64 s41, 0x42b17218, v40
	v_cndmask_b32_e64 v43, 0x7f800000, v41, s41
	s_delay_alu instid0(VALU_DEP_1) | instskip(SKIP_1) | instid1(VALU_DEP_2)
	v_add_f32_e32 v44, 1.0, v43
	v_cmp_gt_f32_e64 s43, 0x33800000, |v43|
	v_cvt_f64_f32_e32 v[40:41], v44
	s_delay_alu instid0(VALU_DEP_1) | instskip(SKIP_1) | instid1(VALU_DEP_1)
	v_frexp_exp_i32_f64_e32 v40, v[40:41]
	v_frexp_mant_f32_e32 v41, v44
	v_cmp_gt_f32_e64 s41, 0x3f2aaaab, v41
	v_add_f32_e32 v41, -1.0, v44
	s_delay_alu instid0(VALU_DEP_1) | instskip(NEXT) | instid1(VALU_DEP_1)
	v_sub_f32_e32 v50, v41, v44
	v_add_f32_e32 v50, 1.0, v50
	s_delay_alu instid0(VALU_DEP_4) | instskip(SKIP_1) | instid1(VALU_DEP_1)
	v_subrev_co_ci_u32_e64 v40, s41, 0, v40, s41
	s_mov_b32 s41, 0x3e9b6dac
	v_sub_nc_u32_e32 v45, 0, v40
	v_cvt_f32_i32_e32 v40, v40
	s_delay_alu instid0(VALU_DEP_2) | instskip(NEXT) | instid1(VALU_DEP_1)
	v_ldexp_f32 v44, v44, v45
	v_add_f32_e32 v51, 1.0, v44
	v_sub_f32_e32 v41, v43, v41
	s_delay_alu instid0(VALU_DEP_1) | instskip(NEXT) | instid1(VALU_DEP_1)
	v_add_f32_e32 v41, v41, v50
	v_ldexp_f32 v41, v41, v45
	v_add_f32_e32 v45, -1.0, v44
	s_delay_alu instid0(VALU_DEP_1) | instskip(SKIP_1) | instid1(VALU_DEP_1)
	v_add_f32_e32 v52, 1.0, v45
	v_add_f32_e32 v50, -1.0, v51
	v_sub_f32_e32 v50, v44, v50
	s_delay_alu instid0(VALU_DEP_3) | instskip(NEXT) | instid1(VALU_DEP_2)
	v_sub_f32_e32 v44, v44, v52
	v_add_f32_e32 v50, v41, v50
	s_delay_alu instid0(VALU_DEP_1) | instskip(NEXT) | instid1(VALU_DEP_1)
	v_dual_add_f32 v41, v41, v44 :: v_dual_add_f32 v52, v51, v50
	v_rcp_f32_e32 v44, v52
	v_sub_f32_e32 v51, v51, v52
	s_delay_alu instid0(VALU_DEP_1) | instskip(NEXT) | instid1(VALU_DEP_1)
	v_dual_add_f32 v53, v45, v41 :: v_dual_add_f32 v50, v50, v51
	v_sub_f32_e32 v45, v45, v53
	s_waitcnt_depctr 0xfff
	v_mul_f32_e32 v54, v53, v44
	v_add_f32_e32 v41, v41, v45
	s_delay_alu instid0(VALU_DEP_2) | instskip(NEXT) | instid1(VALU_DEP_1)
	v_mul_f32_e32 v55, v52, v54
	v_fma_f32 v51, v54, v52, -v55
	s_delay_alu instid0(VALU_DEP_1) | instskip(NEXT) | instid1(VALU_DEP_1)
	v_fmac_f32_e32 v51, v54, v50
	v_add_f32_e32 v56, v55, v51
	s_delay_alu instid0(VALU_DEP_1) | instskip(SKIP_1) | instid1(VALU_DEP_2)
	v_sub_f32_e32 v57, v53, v56
	v_sub_f32_e32 v45, v56, v55
	;; [unrolled: 1-line block ×3, first 2 shown]
	s_delay_alu instid0(VALU_DEP_2) | instskip(NEXT) | instid1(VALU_DEP_2)
	v_sub_f32_e32 v45, v45, v51
	v_sub_f32_e32 v53, v53, v56
	s_delay_alu instid0(VALU_DEP_1) | instskip(NEXT) | instid1(VALU_DEP_1)
	v_add_f32_e32 v41, v41, v53
	v_add_f32_e32 v41, v45, v41
	s_delay_alu instid0(VALU_DEP_1) | instskip(NEXT) | instid1(VALU_DEP_1)
	v_add_f32_e32 v45, v57, v41
	v_mul_f32_e32 v51, v44, v45
	s_delay_alu instid0(VALU_DEP_1) | instskip(NEXT) | instid1(VALU_DEP_1)
	v_mul_f32_e32 v53, v52, v51
	v_fma_f32 v52, v51, v52, -v53
	s_delay_alu instid0(VALU_DEP_1) | instskip(SKIP_1) | instid1(VALU_DEP_2)
	v_fmac_f32_e32 v52, v51, v50
	v_sub_f32_e32 v56, v57, v45
	v_add_f32_e32 v50, v53, v52
	s_delay_alu instid0(VALU_DEP_2) | instskip(NEXT) | instid1(VALU_DEP_2)
	v_add_f32_e32 v41, v41, v56
	v_sub_f32_e32 v55, v45, v50
	v_sub_f32_e32 v53, v50, v53
	s_delay_alu instid0(VALU_DEP_2) | instskip(NEXT) | instid1(VALU_DEP_1)
	v_sub_f32_e32 v45, v45, v55
	v_sub_f32_e32 v45, v45, v50
	s_delay_alu instid0(VALU_DEP_3) | instskip(NEXT) | instid1(VALU_DEP_2)
	v_sub_f32_e32 v50, v53, v52
	v_add_f32_e32 v41, v41, v45
	v_add_f32_e32 v45, v54, v51
	s_delay_alu instid0(VALU_DEP_1) | instskip(NEXT) | instid1(VALU_DEP_1)
	v_dual_add_f32 v41, v50, v41 :: v_dual_sub_f32 v50, v45, v54
	v_add_f32_e32 v41, v55, v41
	s_delay_alu instid0(VALU_DEP_1) | instskip(NEXT) | instid1(VALU_DEP_1)
	v_dual_sub_f32 v50, v51, v50 :: v_dual_mul_f32 v41, v44, v41
	v_add_f32_e32 v41, v50, v41
	s_delay_alu instid0(VALU_DEP_1) | instskip(NEXT) | instid1(VALU_DEP_1)
	v_add_f32_e32 v44, v45, v41
	v_mul_f32_e32 v50, v44, v44
	s_delay_alu instid0(VALU_DEP_1) | instskip(SKIP_2) | instid1(VALU_DEP_3)
	v_fmaak_f32 v51, s41, v50, 0x3ecc95a3
	v_mul_f32_e32 v52, v44, v50
	v_cmp_eq_f32_e64 s41, 0x7f800000, v43
	v_fmaak_f32 v50, v50, v51, 0x3f2aaada
	v_ldexp_f32 v51, v44, 1
	v_sub_f32_e32 v44, v44, v45
	s_delay_alu instid0(VALU_DEP_4) | instskip(NEXT) | instid1(VALU_DEP_3)
	s_or_b32 s41, s41, s43
	v_mul_f32_e32 v50, v52, v50
	v_mul_f32_e32 v52, 0x3f317218, v40
	s_delay_alu instid0(VALU_DEP_3) | instskip(NEXT) | instid1(VALU_DEP_3)
	v_sub_f32_e32 v41, v41, v44
	v_add_f32_e32 v45, v51, v50
	s_delay_alu instid0(VALU_DEP_2) | instskip(NEXT) | instid1(VALU_DEP_2)
	v_ldexp_f32 v41, v41, 1
	v_sub_f32_e32 v44, v45, v51
	v_fma_f32 v51, 0x3f317218, v40, -v52
	s_delay_alu instid0(VALU_DEP_2) | instskip(NEXT) | instid1(VALU_DEP_1)
	v_sub_f32_e32 v44, v50, v44
	v_dual_fmamk_f32 v40, v40, 0xb102e308, v51 :: v_dual_add_f32 v41, v41, v44
	s_delay_alu instid0(VALU_DEP_1) | instskip(NEXT) | instid1(VALU_DEP_2)
	v_add_f32_e32 v44, v52, v40
	v_add_f32_e32 v50, v45, v41
	s_delay_alu instid0(VALU_DEP_2) | instskip(NEXT) | instid1(VALU_DEP_2)
	v_sub_f32_e32 v52, v44, v52
	v_add_f32_e32 v51, v44, v50
	s_delay_alu instid0(VALU_DEP_2) | instskip(NEXT) | instid1(VALU_DEP_2)
	v_dual_sub_f32 v45, v50, v45 :: v_dual_sub_f32 v40, v40, v52
	v_sub_f32_e32 v53, v51, v44
	s_delay_alu instid0(VALU_DEP_2) | instskip(NEXT) | instid1(VALU_DEP_2)
	v_sub_f32_e32 v41, v41, v45
	v_sub_f32_e32 v54, v51, v53
	;; [unrolled: 1-line block ×3, first 2 shown]
	s_delay_alu instid0(VALU_DEP_3) | instskip(NEXT) | instid1(VALU_DEP_3)
	v_add_f32_e32 v50, v40, v41
	v_sub_f32_e32 v44, v44, v54
	s_delay_alu instid0(VALU_DEP_1) | instskip(NEXT) | instid1(VALU_DEP_3)
	v_add_f32_e32 v44, v45, v44
	v_sub_f32_e32 v45, v50, v40
	s_delay_alu instid0(VALU_DEP_2) | instskip(NEXT) | instid1(VALU_DEP_2)
	v_add_f32_e32 v44, v50, v44
	v_sub_f32_e32 v50, v50, v45
	s_delay_alu instid0(VALU_DEP_1) | instskip(NEXT) | instid1(VALU_DEP_1)
	v_dual_sub_f32 v41, v41, v45 :: v_dual_sub_f32 v40, v40, v50
	v_add_f32_e32 v40, v41, v40
	s_delay_alu instid0(VALU_DEP_4) | instskip(NEXT) | instid1(VALU_DEP_1)
	v_add_f32_e32 v52, v51, v44
	v_sub_f32_e32 v45, v52, v51
	s_delay_alu instid0(VALU_DEP_1) | instskip(NEXT) | instid1(VALU_DEP_1)
	v_sub_f32_e32 v41, v44, v45
	v_add_f32_e32 v40, v40, v41
	s_delay_alu instid0(VALU_DEP_1) | instskip(NEXT) | instid1(VALU_DEP_1)
	v_add_f32_e32 v40, v52, v40
	v_cndmask_b32_e64 v40, v40, v43, s41
	s_delay_alu instid0(VALU_DEP_1)
	v_add_f32_e32 v40, v37, v40
.LBB511_80:
	s_or_b32 exec_lo, exec_lo, s42
	s_delay_alu instid0(VALU_DEP_1) | instskip(SKIP_1) | instid1(VALU_DEP_2)
	v_bfe_u32 v37, v40, 16, 1
	v_cmp_o_f32_e64 s41, v40, v40
	v_add3_u32 v37, v40, v37, 0x7fff
	s_delay_alu instid0(VALU_DEP_1) | instskip(SKIP_1) | instid1(VALU_DEP_2)
	v_and_b32_e32 v41, 0xffff0000, v37
	v_lshlrev_b32_e32 v37, 16, v5
	v_cndmask_b32_e64 v43, 0x7fc00000, v41, s41
	s_delay_alu instid0(VALU_DEP_1) | instskip(SKIP_1) | instid1(VALU_DEP_2)
	v_dual_max_f32 v41, v37, v37 :: v_dual_max_f32 v40, v43, v43
	v_cmp_u_f32_e64 s41, v43, v43
	v_min_f32_e32 v44, v40, v41
	v_max_f32_e32 v40, v40, v41
	s_delay_alu instid0(VALU_DEP_2) | instskip(NEXT) | instid1(VALU_DEP_2)
	v_cndmask_b32_e64 v44, v44, v43, s41
	v_cndmask_b32_e64 v40, v40, v43, s41
	v_cmp_u_f32_e64 s41, v37, v37
	s_delay_alu instid0(VALU_DEP_1) | instskip(NEXT) | instid1(VALU_DEP_3)
	v_cndmask_b32_e64 v44, v44, v37, s41
	v_cndmask_b32_e64 v40, v40, v37, s41
	s_delay_alu instid0(VALU_DEP_2) | instskip(NEXT) | instid1(VALU_DEP_2)
	v_cmp_class_f32_e64 s43, v44, 0x1f8
	v_cmp_neq_f32_e64 s42, v44, v40
	s_delay_alu instid0(VALU_DEP_1) | instskip(NEXT) | instid1(SALU_CYCLE_1)
	s_or_b32 s42, s42, s43
	s_and_saveexec_b32 s43, s42
	s_cbranch_execz .LBB511_82
; %bb.81:
	v_sub_f32_e32 v43, v44, v40
	s_delay_alu instid0(VALU_DEP_1) | instskip(SKIP_1) | instid1(VALU_DEP_2)
	v_mul_f32_e32 v44, 0x3fb8aa3b, v43
	v_cmp_ngt_f32_e64 s42, 0xc2ce8ed0, v43
	v_fma_f32 v45, 0x3fb8aa3b, v43, -v44
	v_rndne_f32_e32 v50, v44
	s_delay_alu instid0(VALU_DEP_1) | instskip(NEXT) | instid1(VALU_DEP_1)
	v_dual_fmamk_f32 v45, v43, 0x32a5705f, v45 :: v_dual_sub_f32 v44, v44, v50
	v_add_f32_e32 v44, v44, v45
	v_cvt_i32_f32_e32 v45, v50
	s_delay_alu instid0(VALU_DEP_2) | instskip(SKIP_2) | instid1(VALU_DEP_1)
	v_exp_f32_e32 v44, v44
	s_waitcnt_depctr 0xfff
	v_ldexp_f32 v44, v44, v45
	v_cndmask_b32_e64 v44, 0, v44, s42
	v_cmp_nlt_f32_e64 s42, 0x42b17218, v43
	s_delay_alu instid0(VALU_DEP_1) | instskip(NEXT) | instid1(VALU_DEP_1)
	v_cndmask_b32_e64 v45, 0x7f800000, v44, s42
	v_add_f32_e32 v50, 1.0, v45
	v_cmp_gt_f32_e64 s44, 0x33800000, |v45|
	s_delay_alu instid0(VALU_DEP_2) | instskip(NEXT) | instid1(VALU_DEP_1)
	v_cvt_f64_f32_e32 v[43:44], v50
	v_frexp_exp_i32_f64_e32 v43, v[43:44]
	v_frexp_mant_f32_e32 v44, v50
	s_delay_alu instid0(VALU_DEP_1) | instskip(SKIP_1) | instid1(VALU_DEP_1)
	v_cmp_gt_f32_e64 s42, 0x3f2aaaab, v44
	v_add_f32_e32 v44, -1.0, v50
	v_sub_f32_e32 v52, v44, v50
	v_sub_f32_e32 v44, v45, v44
	s_delay_alu instid0(VALU_DEP_4) | instskip(SKIP_1) | instid1(VALU_DEP_1)
	v_subrev_co_ci_u32_e64 v43, s42, 0, v43, s42
	s_mov_b32 s42, 0x3e9b6dac
	v_sub_nc_u32_e32 v51, 0, v43
	v_cvt_f32_i32_e32 v43, v43
	s_delay_alu instid0(VALU_DEP_2) | instskip(NEXT) | instid1(VALU_DEP_1)
	v_ldexp_f32 v50, v50, v51
	v_dual_add_f32 v53, 1.0, v50 :: v_dual_add_f32 v52, 1.0, v52
	s_delay_alu instid0(VALU_DEP_1) | instskip(NEXT) | instid1(VALU_DEP_2)
	v_add_f32_e32 v44, v44, v52
	v_add_f32_e32 v52, -1.0, v53
	s_delay_alu instid0(VALU_DEP_2) | instskip(NEXT) | instid1(VALU_DEP_2)
	v_ldexp_f32 v44, v44, v51
	v_dual_add_f32 v51, -1.0, v50 :: v_dual_sub_f32 v52, v50, v52
	s_delay_alu instid0(VALU_DEP_1) | instskip(NEXT) | instid1(VALU_DEP_2)
	v_add_f32_e32 v54, 1.0, v51
	v_add_f32_e32 v52, v44, v52
	s_delay_alu instid0(VALU_DEP_2) | instskip(NEXT) | instid1(VALU_DEP_2)
	v_sub_f32_e32 v50, v50, v54
	v_add_f32_e32 v54, v53, v52
	s_delay_alu instid0(VALU_DEP_2) | instskip(NEXT) | instid1(VALU_DEP_2)
	v_add_f32_e32 v44, v44, v50
	v_rcp_f32_e32 v50, v54
	v_sub_f32_e32 v53, v53, v54
	s_delay_alu instid0(VALU_DEP_1) | instskip(NEXT) | instid1(VALU_DEP_1)
	v_dual_add_f32 v55, v51, v44 :: v_dual_add_f32 v52, v52, v53
	v_sub_f32_e32 v51, v51, v55
	s_waitcnt_depctr 0xfff
	v_mul_f32_e32 v56, v55, v50
	s_delay_alu instid0(VALU_DEP_1) | instskip(NEXT) | instid1(VALU_DEP_1)
	v_dual_add_f32 v44, v44, v51 :: v_dual_mul_f32 v57, v54, v56
	v_fma_f32 v53, v56, v54, -v57
	s_delay_alu instid0(VALU_DEP_1) | instskip(NEXT) | instid1(VALU_DEP_1)
	v_fmac_f32_e32 v53, v56, v52
	v_add_f32_e32 v58, v57, v53
	s_delay_alu instid0(VALU_DEP_1) | instskip(SKIP_1) | instid1(VALU_DEP_2)
	v_sub_f32_e32 v59, v55, v58
	v_sub_f32_e32 v51, v58, v57
	;; [unrolled: 1-line block ×3, first 2 shown]
	s_delay_alu instid0(VALU_DEP_2) | instskip(NEXT) | instid1(VALU_DEP_2)
	v_sub_f32_e32 v51, v51, v53
	v_sub_f32_e32 v55, v55, v58
	s_delay_alu instid0(VALU_DEP_1) | instskip(NEXT) | instid1(VALU_DEP_1)
	v_add_f32_e32 v44, v44, v55
	v_add_f32_e32 v44, v51, v44
	s_delay_alu instid0(VALU_DEP_1) | instskip(NEXT) | instid1(VALU_DEP_1)
	v_add_f32_e32 v51, v59, v44
	v_mul_f32_e32 v53, v50, v51
	s_delay_alu instid0(VALU_DEP_1) | instskip(NEXT) | instid1(VALU_DEP_1)
	v_dual_sub_f32 v58, v59, v51 :: v_dual_mul_f32 v55, v54, v53
	v_add_f32_e32 v44, v44, v58
	s_delay_alu instid0(VALU_DEP_2) | instskip(NEXT) | instid1(VALU_DEP_1)
	v_fma_f32 v54, v53, v54, -v55
	v_fmac_f32_e32 v54, v53, v52
	s_delay_alu instid0(VALU_DEP_1) | instskip(NEXT) | instid1(VALU_DEP_1)
	v_add_f32_e32 v52, v55, v54
	v_sub_f32_e32 v57, v51, v52
	v_sub_f32_e32 v55, v52, v55
	s_delay_alu instid0(VALU_DEP_2) | instskip(NEXT) | instid1(VALU_DEP_1)
	v_sub_f32_e32 v51, v51, v57
	v_sub_f32_e32 v51, v51, v52
	s_delay_alu instid0(VALU_DEP_3) | instskip(NEXT) | instid1(VALU_DEP_2)
	v_sub_f32_e32 v52, v55, v54
	v_add_f32_e32 v44, v44, v51
	v_add_f32_e32 v51, v56, v53
	s_delay_alu instid0(VALU_DEP_2) | instskip(NEXT) | instid1(VALU_DEP_2)
	v_add_f32_e32 v44, v52, v44
	v_sub_f32_e32 v52, v51, v56
	s_delay_alu instid0(VALU_DEP_2) | instskip(NEXT) | instid1(VALU_DEP_2)
	v_add_f32_e32 v44, v57, v44
	v_sub_f32_e32 v52, v53, v52
	s_delay_alu instid0(VALU_DEP_2) | instskip(NEXT) | instid1(VALU_DEP_1)
	v_mul_f32_e32 v44, v50, v44
	v_add_f32_e32 v44, v52, v44
	s_delay_alu instid0(VALU_DEP_1) | instskip(NEXT) | instid1(VALU_DEP_1)
	v_add_f32_e32 v50, v51, v44
	v_mul_f32_e32 v52, v50, v50
	s_delay_alu instid0(VALU_DEP_1) | instskip(SKIP_2) | instid1(VALU_DEP_3)
	v_fmaak_f32 v53, s42, v52, 0x3ecc95a3
	v_mul_f32_e32 v54, v50, v52
	v_cmp_eq_f32_e64 s42, 0x7f800000, v45
	v_fmaak_f32 v52, v52, v53, 0x3f2aaada
	v_ldexp_f32 v53, v50, 1
	v_sub_f32_e32 v50, v50, v51
	s_delay_alu instid0(VALU_DEP_4) | instskip(NEXT) | instid1(VALU_DEP_3)
	s_or_b32 s42, s42, s44
	v_mul_f32_e32 v52, v54, v52
	v_mul_f32_e32 v54, 0x3f317218, v43
	s_delay_alu instid0(VALU_DEP_2) | instskip(NEXT) | instid1(VALU_DEP_1)
	v_dual_sub_f32 v44, v44, v50 :: v_dual_add_f32 v51, v53, v52
	v_ldexp_f32 v44, v44, 1
	s_delay_alu instid0(VALU_DEP_2) | instskip(NEXT) | instid1(VALU_DEP_4)
	v_sub_f32_e32 v50, v51, v53
	v_fma_f32 v53, 0x3f317218, v43, -v54
	s_delay_alu instid0(VALU_DEP_1) | instskip(NEXT) | instid1(VALU_DEP_1)
	v_dual_sub_f32 v50, v52, v50 :: v_dual_fmamk_f32 v43, v43, 0xb102e308, v53
	v_add_f32_e32 v44, v44, v50
	s_delay_alu instid0(VALU_DEP_2) | instskip(NEXT) | instid1(VALU_DEP_2)
	v_add_f32_e32 v50, v54, v43
	v_add_f32_e32 v52, v51, v44
	s_delay_alu instid0(VALU_DEP_2) | instskip(NEXT) | instid1(VALU_DEP_2)
	v_sub_f32_e32 v54, v50, v54
	v_add_f32_e32 v53, v50, v52
	v_sub_f32_e32 v51, v52, v51
	s_delay_alu instid0(VALU_DEP_3) | instskip(NEXT) | instid1(VALU_DEP_2)
	v_sub_f32_e32 v43, v43, v54
	v_dual_sub_f32 v55, v53, v50 :: v_dual_sub_f32 v44, v44, v51
	s_delay_alu instid0(VALU_DEP_1) | instskip(NEXT) | instid1(VALU_DEP_2)
	v_sub_f32_e32 v56, v53, v55
	v_dual_sub_f32 v51, v52, v55 :: v_dual_add_f32 v52, v43, v44
	s_delay_alu instid0(VALU_DEP_2) | instskip(NEXT) | instid1(VALU_DEP_1)
	v_sub_f32_e32 v50, v50, v56
	v_dual_add_f32 v50, v51, v50 :: v_dual_sub_f32 v51, v52, v43
	s_delay_alu instid0(VALU_DEP_1) | instskip(NEXT) | instid1(VALU_DEP_2)
	v_add_f32_e32 v50, v52, v50
	v_sub_f32_e32 v52, v52, v51
	v_sub_f32_e32 v44, v44, v51
	s_delay_alu instid0(VALU_DEP_2) | instskip(NEXT) | instid1(VALU_DEP_1)
	v_dual_add_f32 v54, v53, v50 :: v_dual_sub_f32 v43, v43, v52
	v_sub_f32_e32 v51, v54, v53
	s_delay_alu instid0(VALU_DEP_2) | instskip(NEXT) | instid1(VALU_DEP_2)
	v_add_f32_e32 v43, v44, v43
	v_sub_f32_e32 v44, v50, v51
	s_delay_alu instid0(VALU_DEP_1) | instskip(NEXT) | instid1(VALU_DEP_1)
	v_add_f32_e32 v43, v43, v44
	v_add_f32_e32 v43, v54, v43
	s_delay_alu instid0(VALU_DEP_1) | instskip(NEXT) | instid1(VALU_DEP_1)
	v_cndmask_b32_e64 v43, v43, v45, s42
	v_add_f32_e32 v43, v40, v43
.LBB511_82:
	s_or_b32 exec_lo, exec_lo, s43
	s_delay_alu instid0(VALU_DEP_1) | instskip(SKIP_2) | instid1(VALU_DEP_3)
	v_bfe_u32 v40, v43, 16, 1
	v_and_b32_e32 v5, 0xffff0000, v5
	v_cmp_o_f32_e64 s42, v43, v43
	v_add3_u32 v40, v43, v40, 0x7fff
	s_delay_alu instid0(VALU_DEP_1) | instskip(NEXT) | instid1(VALU_DEP_1)
	v_dual_max_f32 v43, v5, v5 :: v_dual_and_b32 v40, 0xffff0000, v40
	v_cndmask_b32_e64 v44, 0x7fc00000, v40, s42
	s_delay_alu instid0(VALU_DEP_1) | instskip(SKIP_1) | instid1(VALU_DEP_2)
	v_max_f32_e32 v40, v44, v44
	v_cmp_u_f32_e64 s42, v44, v44
	v_min_f32_e32 v45, v40, v43
	v_max_f32_e32 v40, v40, v43
	s_delay_alu instid0(VALU_DEP_2) | instskip(NEXT) | instid1(VALU_DEP_2)
	v_cndmask_b32_e64 v45, v45, v44, s42
	v_cndmask_b32_e64 v40, v40, v44, s42
	v_cmp_u_f32_e64 s42, v5, v5
	s_delay_alu instid0(VALU_DEP_1) | instskip(NEXT) | instid1(VALU_DEP_3)
	v_cndmask_b32_e64 v45, v45, v5, s42
	v_cndmask_b32_e64 v40, v40, v5, s42
	s_delay_alu instid0(VALU_DEP_2) | instskip(NEXT) | instid1(VALU_DEP_2)
	v_cmp_class_f32_e64 s44, v45, 0x1f8
	v_cmp_neq_f32_e64 s43, v45, v40
	s_delay_alu instid0(VALU_DEP_1) | instskip(NEXT) | instid1(SALU_CYCLE_1)
	s_or_b32 s43, s43, s44
	s_and_saveexec_b32 s44, s43
	s_cbranch_execz .LBB511_84
; %bb.83:
	v_sub_f32_e32 v44, v45, v40
	s_delay_alu instid0(VALU_DEP_1) | instskip(SKIP_1) | instid1(VALU_DEP_2)
	v_mul_f32_e32 v45, 0x3fb8aa3b, v44
	v_cmp_ngt_f32_e64 s43, 0xc2ce8ed0, v44
	v_fma_f32 v50, 0x3fb8aa3b, v44, -v45
	v_rndne_f32_e32 v51, v45
	s_delay_alu instid0(VALU_DEP_1) | instskip(NEXT) | instid1(VALU_DEP_1)
	v_dual_fmamk_f32 v50, v44, 0x32a5705f, v50 :: v_dual_sub_f32 v45, v45, v51
	v_add_f32_e32 v45, v45, v50
	v_cvt_i32_f32_e32 v50, v51
	s_delay_alu instid0(VALU_DEP_2) | instskip(SKIP_2) | instid1(VALU_DEP_1)
	v_exp_f32_e32 v45, v45
	s_waitcnt_depctr 0xfff
	v_ldexp_f32 v45, v45, v50
	v_cndmask_b32_e64 v45, 0, v45, s43
	v_cmp_nlt_f32_e64 s43, 0x42b17218, v44
	s_delay_alu instid0(VALU_DEP_1) | instskip(NEXT) | instid1(VALU_DEP_1)
	v_cndmask_b32_e64 v50, 0x7f800000, v45, s43
	v_add_f32_e32 v51, 1.0, v50
	v_cmp_gt_f32_e64 s46, 0x33800000, |v50|
	s_delay_alu instid0(VALU_DEP_2) | instskip(NEXT) | instid1(VALU_DEP_1)
	v_cvt_f64_f32_e32 v[44:45], v51
	v_frexp_exp_i32_f64_e32 v44, v[44:45]
	v_frexp_mant_f32_e32 v45, v51
	s_delay_alu instid0(VALU_DEP_1) | instskip(SKIP_1) | instid1(VALU_DEP_1)
	v_cmp_gt_f32_e64 s43, 0x3f2aaaab, v45
	v_add_f32_e32 v45, -1.0, v51
	v_sub_f32_e32 v53, v45, v51
	v_sub_f32_e32 v45, v50, v45
	s_delay_alu instid0(VALU_DEP_4) | instskip(SKIP_1) | instid1(VALU_DEP_1)
	v_subrev_co_ci_u32_e64 v44, s43, 0, v44, s43
	s_mov_b32 s43, 0x3e9b6dac
	v_sub_nc_u32_e32 v52, 0, v44
	v_cvt_f32_i32_e32 v44, v44
	s_delay_alu instid0(VALU_DEP_2) | instskip(NEXT) | instid1(VALU_DEP_1)
	v_ldexp_f32 v51, v51, v52
	v_dual_add_f32 v54, 1.0, v51 :: v_dual_add_f32 v53, 1.0, v53
	s_delay_alu instid0(VALU_DEP_1) | instskip(NEXT) | instid1(VALU_DEP_2)
	v_add_f32_e32 v45, v45, v53
	v_add_f32_e32 v53, -1.0, v54
	s_delay_alu instid0(VALU_DEP_2) | instskip(NEXT) | instid1(VALU_DEP_2)
	v_ldexp_f32 v45, v45, v52
	v_dual_add_f32 v52, -1.0, v51 :: v_dual_sub_f32 v53, v51, v53
	s_delay_alu instid0(VALU_DEP_1) | instskip(NEXT) | instid1(VALU_DEP_2)
	v_add_f32_e32 v55, 1.0, v52
	v_add_f32_e32 v53, v45, v53
	s_delay_alu instid0(VALU_DEP_2) | instskip(NEXT) | instid1(VALU_DEP_2)
	v_sub_f32_e32 v51, v51, v55
	v_add_f32_e32 v55, v54, v53
	s_delay_alu instid0(VALU_DEP_2) | instskip(NEXT) | instid1(VALU_DEP_2)
	v_add_f32_e32 v45, v45, v51
	v_rcp_f32_e32 v51, v55
	v_sub_f32_e32 v54, v54, v55
	s_delay_alu instid0(VALU_DEP_1) | instskip(NEXT) | instid1(VALU_DEP_1)
	v_dual_add_f32 v56, v52, v45 :: v_dual_add_f32 v53, v53, v54
	v_sub_f32_e32 v52, v52, v56
	s_waitcnt_depctr 0xfff
	v_mul_f32_e32 v57, v56, v51
	s_delay_alu instid0(VALU_DEP_1) | instskip(NEXT) | instid1(VALU_DEP_1)
	v_dual_add_f32 v45, v45, v52 :: v_dual_mul_f32 v58, v55, v57
	v_fma_f32 v54, v57, v55, -v58
	s_delay_alu instid0(VALU_DEP_1) | instskip(NEXT) | instid1(VALU_DEP_1)
	v_fmac_f32_e32 v54, v57, v53
	v_add_f32_e32 v59, v58, v54
	s_delay_alu instid0(VALU_DEP_1) | instskip(SKIP_1) | instid1(VALU_DEP_2)
	v_sub_f32_e32 v60, v56, v59
	v_sub_f32_e32 v52, v59, v58
	;; [unrolled: 1-line block ×3, first 2 shown]
	s_delay_alu instid0(VALU_DEP_2) | instskip(NEXT) | instid1(VALU_DEP_2)
	v_sub_f32_e32 v52, v52, v54
	v_sub_f32_e32 v56, v56, v59
	s_delay_alu instid0(VALU_DEP_1) | instskip(NEXT) | instid1(VALU_DEP_1)
	v_add_f32_e32 v45, v45, v56
	v_add_f32_e32 v45, v52, v45
	s_delay_alu instid0(VALU_DEP_1) | instskip(NEXT) | instid1(VALU_DEP_1)
	v_add_f32_e32 v52, v60, v45
	v_mul_f32_e32 v54, v51, v52
	s_delay_alu instid0(VALU_DEP_1) | instskip(NEXT) | instid1(VALU_DEP_1)
	v_dual_sub_f32 v59, v60, v52 :: v_dual_mul_f32 v56, v55, v54
	v_add_f32_e32 v45, v45, v59
	s_delay_alu instid0(VALU_DEP_2) | instskip(NEXT) | instid1(VALU_DEP_1)
	v_fma_f32 v55, v54, v55, -v56
	v_fmac_f32_e32 v55, v54, v53
	s_delay_alu instid0(VALU_DEP_1) | instskip(NEXT) | instid1(VALU_DEP_1)
	v_add_f32_e32 v53, v56, v55
	v_sub_f32_e32 v58, v52, v53
	v_sub_f32_e32 v56, v53, v56
	s_delay_alu instid0(VALU_DEP_2) | instskip(NEXT) | instid1(VALU_DEP_1)
	v_sub_f32_e32 v52, v52, v58
	v_sub_f32_e32 v52, v52, v53
	s_delay_alu instid0(VALU_DEP_3) | instskip(NEXT) | instid1(VALU_DEP_2)
	v_sub_f32_e32 v53, v56, v55
	v_add_f32_e32 v45, v45, v52
	v_add_f32_e32 v52, v57, v54
	s_delay_alu instid0(VALU_DEP_2) | instskip(NEXT) | instid1(VALU_DEP_2)
	v_add_f32_e32 v45, v53, v45
	v_sub_f32_e32 v53, v52, v57
	s_delay_alu instid0(VALU_DEP_2) | instskip(NEXT) | instid1(VALU_DEP_2)
	v_add_f32_e32 v45, v58, v45
	v_sub_f32_e32 v53, v54, v53
	s_delay_alu instid0(VALU_DEP_2) | instskip(NEXT) | instid1(VALU_DEP_1)
	v_mul_f32_e32 v45, v51, v45
	v_add_f32_e32 v45, v53, v45
	s_delay_alu instid0(VALU_DEP_1) | instskip(NEXT) | instid1(VALU_DEP_1)
	v_add_f32_e32 v51, v52, v45
	v_mul_f32_e32 v53, v51, v51
	s_delay_alu instid0(VALU_DEP_1) | instskip(SKIP_2) | instid1(VALU_DEP_3)
	v_fmaak_f32 v54, s43, v53, 0x3ecc95a3
	v_mul_f32_e32 v55, v51, v53
	v_cmp_eq_f32_e64 s43, 0x7f800000, v50
	v_fmaak_f32 v53, v53, v54, 0x3f2aaada
	v_ldexp_f32 v54, v51, 1
	v_sub_f32_e32 v51, v51, v52
	s_delay_alu instid0(VALU_DEP_4) | instskip(NEXT) | instid1(VALU_DEP_3)
	s_or_b32 s43, s43, s46
	v_mul_f32_e32 v53, v55, v53
	v_mul_f32_e32 v55, 0x3f317218, v44
	s_delay_alu instid0(VALU_DEP_2) | instskip(NEXT) | instid1(VALU_DEP_1)
	v_dual_sub_f32 v45, v45, v51 :: v_dual_add_f32 v52, v54, v53
	v_ldexp_f32 v45, v45, 1
	s_delay_alu instid0(VALU_DEP_2) | instskip(NEXT) | instid1(VALU_DEP_4)
	v_sub_f32_e32 v51, v52, v54
	v_fma_f32 v54, 0x3f317218, v44, -v55
	s_delay_alu instid0(VALU_DEP_1) | instskip(NEXT) | instid1(VALU_DEP_1)
	v_dual_sub_f32 v51, v53, v51 :: v_dual_fmamk_f32 v44, v44, 0xb102e308, v54
	v_add_f32_e32 v45, v45, v51
	s_delay_alu instid0(VALU_DEP_2) | instskip(NEXT) | instid1(VALU_DEP_2)
	v_add_f32_e32 v51, v55, v44
	v_add_f32_e32 v53, v52, v45
	s_delay_alu instid0(VALU_DEP_2) | instskip(NEXT) | instid1(VALU_DEP_2)
	v_sub_f32_e32 v55, v51, v55
	v_add_f32_e32 v54, v51, v53
	v_sub_f32_e32 v52, v53, v52
	s_delay_alu instid0(VALU_DEP_3) | instskip(NEXT) | instid1(VALU_DEP_2)
	v_sub_f32_e32 v44, v44, v55
	v_dual_sub_f32 v56, v54, v51 :: v_dual_sub_f32 v45, v45, v52
	s_delay_alu instid0(VALU_DEP_1) | instskip(NEXT) | instid1(VALU_DEP_2)
	v_sub_f32_e32 v57, v54, v56
	v_dual_sub_f32 v52, v53, v56 :: v_dual_add_f32 v53, v44, v45
	s_delay_alu instid0(VALU_DEP_2) | instskip(NEXT) | instid1(VALU_DEP_1)
	v_sub_f32_e32 v51, v51, v57
	v_dual_add_f32 v51, v52, v51 :: v_dual_sub_f32 v52, v53, v44
	s_delay_alu instid0(VALU_DEP_1) | instskip(NEXT) | instid1(VALU_DEP_2)
	v_add_f32_e32 v51, v53, v51
	v_sub_f32_e32 v53, v53, v52
	v_sub_f32_e32 v45, v45, v52
	s_delay_alu instid0(VALU_DEP_2) | instskip(NEXT) | instid1(VALU_DEP_1)
	v_dual_add_f32 v55, v54, v51 :: v_dual_sub_f32 v44, v44, v53
	v_sub_f32_e32 v52, v55, v54
	s_delay_alu instid0(VALU_DEP_2) | instskip(NEXT) | instid1(VALU_DEP_2)
	v_add_f32_e32 v44, v45, v44
	v_sub_f32_e32 v45, v51, v52
	s_delay_alu instid0(VALU_DEP_1) | instskip(NEXT) | instid1(VALU_DEP_1)
	v_add_f32_e32 v44, v44, v45
	v_add_f32_e32 v44, v55, v44
	s_delay_alu instid0(VALU_DEP_1) | instskip(NEXT) | instid1(VALU_DEP_1)
	v_cndmask_b32_e64 v44, v44, v50, s43
	v_add_f32_e32 v44, v40, v44
.LBB511_84:
	s_or_b32 exec_lo, exec_lo, s44
	s_delay_alu instid0(VALU_DEP_1) | instskip(SKIP_1) | instid1(VALU_DEP_2)
	v_bfe_u32 v40, v44, 16, 1
	v_cmp_o_f32_e64 s43, v44, v44
	v_add3_u32 v40, v44, v40, 0x7fff
	s_delay_alu instid0(VALU_DEP_1) | instskip(NEXT) | instid1(VALU_DEP_1)
	v_and_b32_e32 v45, 0xffff0000, v40
	v_cndmask_b32_e64 v50, 0x7fc00000, v45, s43
	s_delay_alu instid0(VALU_DEP_1) | instskip(SKIP_2) | instid1(VALU_DEP_2)
	v_max_f32_e32 v45, v50, v50
	v_lshlrev_b32_e32 v40, 16, v42
	v_cmp_u_f32_e64 s43, v50, v50
	v_max_f32_e32 v44, v40, v40
	s_delay_alu instid0(VALU_DEP_1) | instskip(SKIP_1) | instid1(VALU_DEP_2)
	v_min_f32_e32 v51, v45, v44
	v_max_f32_e32 v45, v45, v44
	v_cndmask_b32_e64 v51, v51, v50, s43
	s_delay_alu instid0(VALU_DEP_2) | instskip(SKIP_1) | instid1(VALU_DEP_1)
	v_cndmask_b32_e64 v45, v45, v50, s43
	v_cmp_u_f32_e64 s43, v40, v40
	v_cndmask_b32_e64 v51, v51, v40, s43
	s_delay_alu instid0(VALU_DEP_3) | instskip(NEXT) | instid1(VALU_DEP_2)
	v_cndmask_b32_e64 v45, v45, v40, s43
	v_cmp_class_f32_e64 s46, v51, 0x1f8
	s_delay_alu instid0(VALU_DEP_2) | instskip(NEXT) | instid1(VALU_DEP_1)
	v_cmp_neq_f32_e64 s44, v51, v45
	s_or_b32 s44, s44, s46
	s_delay_alu instid0(SALU_CYCLE_1)
	s_and_saveexec_b32 s46, s44
	s_cbranch_execz .LBB511_86
; %bb.85:
	v_sub_f32_e32 v50, v51, v45
	s_delay_alu instid0(VALU_DEP_1) | instskip(SKIP_1) | instid1(VALU_DEP_2)
	v_mul_f32_e32 v51, 0x3fb8aa3b, v50
	v_cmp_ngt_f32_e64 s44, 0xc2ce8ed0, v50
	v_fma_f32 v52, 0x3fb8aa3b, v50, -v51
	v_rndne_f32_e32 v53, v51
	s_delay_alu instid0(VALU_DEP_1) | instskip(NEXT) | instid1(VALU_DEP_1)
	v_dual_fmamk_f32 v52, v50, 0x32a5705f, v52 :: v_dual_sub_f32 v51, v51, v53
	v_add_f32_e32 v51, v51, v52
	v_cvt_i32_f32_e32 v52, v53
	s_delay_alu instid0(VALU_DEP_2) | instskip(SKIP_2) | instid1(VALU_DEP_1)
	v_exp_f32_e32 v51, v51
	s_waitcnt_depctr 0xfff
	v_ldexp_f32 v51, v51, v52
	v_cndmask_b32_e64 v51, 0, v51, s44
	v_cmp_nlt_f32_e64 s44, 0x42b17218, v50
	s_delay_alu instid0(VALU_DEP_1) | instskip(NEXT) | instid1(VALU_DEP_1)
	v_cndmask_b32_e64 v52, 0x7f800000, v51, s44
	v_add_f32_e32 v53, 1.0, v52
	v_cmp_gt_f32_e64 s47, 0x33800000, |v52|
	s_delay_alu instid0(VALU_DEP_2) | instskip(NEXT) | instid1(VALU_DEP_1)
	v_cvt_f64_f32_e32 v[50:51], v53
	v_frexp_exp_i32_f64_e32 v50, v[50:51]
	v_frexp_mant_f32_e32 v51, v53
	s_delay_alu instid0(VALU_DEP_1) | instskip(SKIP_1) | instid1(VALU_DEP_1)
	v_cmp_gt_f32_e64 s44, 0x3f2aaaab, v51
	v_add_f32_e32 v51, -1.0, v53
	v_sub_f32_e32 v55, v51, v53
	v_sub_f32_e32 v51, v52, v51
	s_delay_alu instid0(VALU_DEP_4) | instskip(SKIP_1) | instid1(VALU_DEP_1)
	v_subrev_co_ci_u32_e64 v50, s44, 0, v50, s44
	s_mov_b32 s44, 0x3e9b6dac
	v_sub_nc_u32_e32 v54, 0, v50
	v_cvt_f32_i32_e32 v50, v50
	s_delay_alu instid0(VALU_DEP_2) | instskip(NEXT) | instid1(VALU_DEP_1)
	v_ldexp_f32 v53, v53, v54
	v_dual_add_f32 v56, 1.0, v53 :: v_dual_add_f32 v55, 1.0, v55
	s_delay_alu instid0(VALU_DEP_1) | instskip(NEXT) | instid1(VALU_DEP_2)
	v_add_f32_e32 v51, v51, v55
	v_add_f32_e32 v55, -1.0, v56
	s_delay_alu instid0(VALU_DEP_2) | instskip(NEXT) | instid1(VALU_DEP_2)
	v_ldexp_f32 v51, v51, v54
	v_dual_add_f32 v54, -1.0, v53 :: v_dual_sub_f32 v55, v53, v55
	s_delay_alu instid0(VALU_DEP_1) | instskip(NEXT) | instid1(VALU_DEP_2)
	v_add_f32_e32 v57, 1.0, v54
	v_add_f32_e32 v55, v51, v55
	s_delay_alu instid0(VALU_DEP_2) | instskip(NEXT) | instid1(VALU_DEP_2)
	v_sub_f32_e32 v53, v53, v57
	v_add_f32_e32 v57, v56, v55
	s_delay_alu instid0(VALU_DEP_2) | instskip(NEXT) | instid1(VALU_DEP_2)
	v_add_f32_e32 v51, v51, v53
	v_rcp_f32_e32 v53, v57
	v_sub_f32_e32 v56, v56, v57
	s_delay_alu instid0(VALU_DEP_1) | instskip(NEXT) | instid1(VALU_DEP_1)
	v_dual_add_f32 v58, v54, v51 :: v_dual_add_f32 v55, v55, v56
	v_sub_f32_e32 v54, v54, v58
	s_waitcnt_depctr 0xfff
	v_mul_f32_e32 v59, v58, v53
	s_delay_alu instid0(VALU_DEP_1) | instskip(NEXT) | instid1(VALU_DEP_1)
	v_dual_add_f32 v51, v51, v54 :: v_dual_mul_f32 v60, v57, v59
	v_fma_f32 v56, v59, v57, -v60
	s_delay_alu instid0(VALU_DEP_1) | instskip(NEXT) | instid1(VALU_DEP_1)
	v_fmac_f32_e32 v56, v59, v55
	v_add_f32_e32 v61, v60, v56
	s_delay_alu instid0(VALU_DEP_1) | instskip(SKIP_1) | instid1(VALU_DEP_2)
	v_sub_f32_e32 v62, v58, v61
	v_sub_f32_e32 v54, v61, v60
	v_sub_f32_e32 v58, v58, v62
	s_delay_alu instid0(VALU_DEP_2) | instskip(NEXT) | instid1(VALU_DEP_2)
	v_sub_f32_e32 v54, v54, v56
	v_sub_f32_e32 v58, v58, v61
	s_delay_alu instid0(VALU_DEP_1) | instskip(NEXT) | instid1(VALU_DEP_1)
	v_add_f32_e32 v51, v51, v58
	v_add_f32_e32 v51, v54, v51
	s_delay_alu instid0(VALU_DEP_1) | instskip(NEXT) | instid1(VALU_DEP_1)
	v_add_f32_e32 v54, v62, v51
	v_mul_f32_e32 v56, v53, v54
	s_delay_alu instid0(VALU_DEP_1) | instskip(NEXT) | instid1(VALU_DEP_1)
	v_dual_sub_f32 v61, v62, v54 :: v_dual_mul_f32 v58, v57, v56
	v_add_f32_e32 v51, v51, v61
	s_delay_alu instid0(VALU_DEP_2) | instskip(NEXT) | instid1(VALU_DEP_1)
	v_fma_f32 v57, v56, v57, -v58
	v_fmac_f32_e32 v57, v56, v55
	s_delay_alu instid0(VALU_DEP_1) | instskip(NEXT) | instid1(VALU_DEP_1)
	v_add_f32_e32 v55, v58, v57
	v_sub_f32_e32 v60, v54, v55
	v_sub_f32_e32 v58, v55, v58
	s_delay_alu instid0(VALU_DEP_2) | instskip(NEXT) | instid1(VALU_DEP_1)
	v_sub_f32_e32 v54, v54, v60
	v_sub_f32_e32 v54, v54, v55
	s_delay_alu instid0(VALU_DEP_3) | instskip(NEXT) | instid1(VALU_DEP_2)
	v_sub_f32_e32 v55, v58, v57
	v_add_f32_e32 v51, v51, v54
	v_add_f32_e32 v54, v59, v56
	s_delay_alu instid0(VALU_DEP_2) | instskip(NEXT) | instid1(VALU_DEP_2)
	v_add_f32_e32 v51, v55, v51
	v_sub_f32_e32 v55, v54, v59
	s_delay_alu instid0(VALU_DEP_2) | instskip(NEXT) | instid1(VALU_DEP_2)
	v_add_f32_e32 v51, v60, v51
	v_sub_f32_e32 v55, v56, v55
	s_delay_alu instid0(VALU_DEP_2) | instskip(NEXT) | instid1(VALU_DEP_1)
	v_mul_f32_e32 v51, v53, v51
	v_add_f32_e32 v51, v55, v51
	s_delay_alu instid0(VALU_DEP_1) | instskip(NEXT) | instid1(VALU_DEP_1)
	v_add_f32_e32 v53, v54, v51
	v_mul_f32_e32 v55, v53, v53
	s_delay_alu instid0(VALU_DEP_1) | instskip(SKIP_2) | instid1(VALU_DEP_3)
	v_fmaak_f32 v56, s44, v55, 0x3ecc95a3
	v_mul_f32_e32 v57, v53, v55
	v_cmp_eq_f32_e64 s44, 0x7f800000, v52
	v_fmaak_f32 v55, v55, v56, 0x3f2aaada
	v_ldexp_f32 v56, v53, 1
	v_sub_f32_e32 v53, v53, v54
	s_delay_alu instid0(VALU_DEP_4) | instskip(NEXT) | instid1(VALU_DEP_3)
	s_or_b32 s44, s44, s47
	v_mul_f32_e32 v55, v57, v55
	v_mul_f32_e32 v57, 0x3f317218, v50
	s_delay_alu instid0(VALU_DEP_2) | instskip(NEXT) | instid1(VALU_DEP_1)
	v_dual_sub_f32 v51, v51, v53 :: v_dual_add_f32 v54, v56, v55
	v_ldexp_f32 v51, v51, 1
	s_delay_alu instid0(VALU_DEP_2) | instskip(NEXT) | instid1(VALU_DEP_4)
	v_sub_f32_e32 v53, v54, v56
	v_fma_f32 v56, 0x3f317218, v50, -v57
	s_delay_alu instid0(VALU_DEP_1) | instskip(NEXT) | instid1(VALU_DEP_1)
	v_dual_sub_f32 v53, v55, v53 :: v_dual_fmamk_f32 v50, v50, 0xb102e308, v56
	v_add_f32_e32 v51, v51, v53
	s_delay_alu instid0(VALU_DEP_2) | instskip(NEXT) | instid1(VALU_DEP_2)
	v_add_f32_e32 v53, v57, v50
	v_add_f32_e32 v55, v54, v51
	s_delay_alu instid0(VALU_DEP_2) | instskip(NEXT) | instid1(VALU_DEP_2)
	v_sub_f32_e32 v57, v53, v57
	v_add_f32_e32 v56, v53, v55
	v_sub_f32_e32 v54, v55, v54
	s_delay_alu instid0(VALU_DEP_3) | instskip(NEXT) | instid1(VALU_DEP_2)
	v_sub_f32_e32 v50, v50, v57
	v_dual_sub_f32 v58, v56, v53 :: v_dual_sub_f32 v51, v51, v54
	s_delay_alu instid0(VALU_DEP_1) | instskip(NEXT) | instid1(VALU_DEP_2)
	v_sub_f32_e32 v59, v56, v58
	v_dual_sub_f32 v54, v55, v58 :: v_dual_add_f32 v55, v50, v51
	s_delay_alu instid0(VALU_DEP_2) | instskip(NEXT) | instid1(VALU_DEP_1)
	v_sub_f32_e32 v53, v53, v59
	v_dual_add_f32 v53, v54, v53 :: v_dual_sub_f32 v54, v55, v50
	s_delay_alu instid0(VALU_DEP_1) | instskip(NEXT) | instid1(VALU_DEP_2)
	v_add_f32_e32 v53, v55, v53
	v_sub_f32_e32 v55, v55, v54
	v_sub_f32_e32 v51, v51, v54
	s_delay_alu instid0(VALU_DEP_2) | instskip(NEXT) | instid1(VALU_DEP_1)
	v_dual_add_f32 v57, v56, v53 :: v_dual_sub_f32 v50, v50, v55
	v_sub_f32_e32 v54, v57, v56
	s_delay_alu instid0(VALU_DEP_2) | instskip(NEXT) | instid1(VALU_DEP_2)
	v_add_f32_e32 v50, v51, v50
	v_sub_f32_e32 v51, v53, v54
	s_delay_alu instid0(VALU_DEP_1) | instskip(NEXT) | instid1(VALU_DEP_1)
	v_add_f32_e32 v50, v50, v51
	v_add_f32_e32 v50, v57, v50
	s_delay_alu instid0(VALU_DEP_1) | instskip(NEXT) | instid1(VALU_DEP_1)
	v_cndmask_b32_e64 v50, v50, v52, s44
	v_add_f32_e32 v50, v45, v50
.LBB511_86:
	s_or_b32 exec_lo, exec_lo, s46
	s_delay_alu instid0(VALU_DEP_1) | instskip(SKIP_2) | instid1(VALU_DEP_3)
	v_bfe_u32 v45, v50, 16, 1
	v_cmp_o_f32_e64 s44, v50, v50
	v_and_b32_e32 v42, 0xffff0000, v42
	v_add3_u32 v45, v50, v45, 0x7fff
	s_delay_alu instid0(VALU_DEP_1) | instskip(NEXT) | instid1(VALU_DEP_1)
	v_and_b32_e32 v45, 0xffff0000, v45
	v_cndmask_b32_e64 v51, 0x7fc00000, v45, s44
	s_delay_alu instid0(VALU_DEP_1) | instskip(SKIP_1) | instid1(VALU_DEP_2)
	v_dual_max_f32 v45, v42, v42 :: v_dual_max_f32 v50, v51, v51
	v_cmp_u_f32_e64 s44, v51, v51
	v_min_f32_e32 v52, v50, v45
	v_max_f32_e32 v50, v50, v45
	s_delay_alu instid0(VALU_DEP_2) | instskip(NEXT) | instid1(VALU_DEP_2)
	v_cndmask_b32_e64 v52, v52, v51, s44
	v_cndmask_b32_e64 v50, v50, v51, s44
	v_cmp_u_f32_e64 s44, v42, v42
	s_delay_alu instid0(VALU_DEP_1) | instskip(NEXT) | instid1(VALU_DEP_3)
	v_cndmask_b32_e64 v52, v52, v42, s44
	v_cndmask_b32_e64 v50, v50, v42, s44
	s_delay_alu instid0(VALU_DEP_2) | instskip(NEXT) | instid1(VALU_DEP_2)
	v_cmp_class_f32_e64 s47, v52, 0x1f8
	v_cmp_neq_f32_e64 s46, v52, v50
	s_delay_alu instid0(VALU_DEP_1) | instskip(NEXT) | instid1(SALU_CYCLE_1)
	s_or_b32 s46, s46, s47
	s_and_saveexec_b32 s47, s46
	s_cbranch_execz .LBB511_88
; %bb.87:
	v_sub_f32_e32 v51, v52, v50
	s_delay_alu instid0(VALU_DEP_1) | instskip(SKIP_1) | instid1(VALU_DEP_2)
	v_mul_f32_e32 v52, 0x3fb8aa3b, v51
	v_cmp_ngt_f32_e64 s46, 0xc2ce8ed0, v51
	v_fma_f32 v53, 0x3fb8aa3b, v51, -v52
	v_rndne_f32_e32 v54, v52
	s_delay_alu instid0(VALU_DEP_1) | instskip(NEXT) | instid1(VALU_DEP_1)
	v_dual_fmamk_f32 v53, v51, 0x32a5705f, v53 :: v_dual_sub_f32 v52, v52, v54
	v_add_f32_e32 v52, v52, v53
	v_cvt_i32_f32_e32 v53, v54
	s_delay_alu instid0(VALU_DEP_2) | instskip(SKIP_2) | instid1(VALU_DEP_1)
	v_exp_f32_e32 v52, v52
	s_waitcnt_depctr 0xfff
	v_ldexp_f32 v52, v52, v53
	v_cndmask_b32_e64 v52, 0, v52, s46
	v_cmp_nlt_f32_e64 s46, 0x42b17218, v51
	s_delay_alu instid0(VALU_DEP_1) | instskip(NEXT) | instid1(VALU_DEP_1)
	v_cndmask_b32_e64 v53, 0x7f800000, v52, s46
	v_add_f32_e32 v54, 1.0, v53
	v_cmp_gt_f32_e64 s48, 0x33800000, |v53|
	s_delay_alu instid0(VALU_DEP_2) | instskip(NEXT) | instid1(VALU_DEP_1)
	v_cvt_f64_f32_e32 v[51:52], v54
	v_frexp_exp_i32_f64_e32 v51, v[51:52]
	v_frexp_mant_f32_e32 v52, v54
	s_delay_alu instid0(VALU_DEP_1) | instskip(SKIP_1) | instid1(VALU_DEP_1)
	v_cmp_gt_f32_e64 s46, 0x3f2aaaab, v52
	v_add_f32_e32 v52, -1.0, v54
	v_sub_f32_e32 v56, v52, v54
	v_sub_f32_e32 v52, v53, v52
	s_delay_alu instid0(VALU_DEP_4) | instskip(SKIP_1) | instid1(VALU_DEP_1)
	v_subrev_co_ci_u32_e64 v51, s46, 0, v51, s46
	s_mov_b32 s46, 0x3e9b6dac
	v_sub_nc_u32_e32 v55, 0, v51
	v_cvt_f32_i32_e32 v51, v51
	s_delay_alu instid0(VALU_DEP_2) | instskip(NEXT) | instid1(VALU_DEP_1)
	v_ldexp_f32 v54, v54, v55
	v_dual_add_f32 v57, 1.0, v54 :: v_dual_add_f32 v56, 1.0, v56
	s_delay_alu instid0(VALU_DEP_1) | instskip(NEXT) | instid1(VALU_DEP_2)
	v_add_f32_e32 v52, v52, v56
	v_add_f32_e32 v56, -1.0, v57
	s_delay_alu instid0(VALU_DEP_2) | instskip(NEXT) | instid1(VALU_DEP_2)
	v_ldexp_f32 v52, v52, v55
	v_dual_add_f32 v55, -1.0, v54 :: v_dual_sub_f32 v56, v54, v56
	s_delay_alu instid0(VALU_DEP_1) | instskip(NEXT) | instid1(VALU_DEP_2)
	v_add_f32_e32 v58, 1.0, v55
	v_add_f32_e32 v56, v52, v56
	s_delay_alu instid0(VALU_DEP_2) | instskip(NEXT) | instid1(VALU_DEP_2)
	v_sub_f32_e32 v54, v54, v58
	v_add_f32_e32 v58, v57, v56
	s_delay_alu instid0(VALU_DEP_2) | instskip(NEXT) | instid1(VALU_DEP_2)
	v_add_f32_e32 v52, v52, v54
	v_rcp_f32_e32 v54, v58
	v_sub_f32_e32 v57, v57, v58
	s_delay_alu instid0(VALU_DEP_1) | instskip(NEXT) | instid1(VALU_DEP_1)
	v_dual_add_f32 v59, v55, v52 :: v_dual_add_f32 v56, v56, v57
	v_sub_f32_e32 v55, v55, v59
	s_waitcnt_depctr 0xfff
	v_mul_f32_e32 v60, v59, v54
	s_delay_alu instid0(VALU_DEP_1) | instskip(NEXT) | instid1(VALU_DEP_1)
	v_dual_add_f32 v52, v52, v55 :: v_dual_mul_f32 v61, v58, v60
	v_fma_f32 v57, v60, v58, -v61
	s_delay_alu instid0(VALU_DEP_1) | instskip(NEXT) | instid1(VALU_DEP_1)
	v_fmac_f32_e32 v57, v60, v56
	v_add_f32_e32 v62, v61, v57
	s_delay_alu instid0(VALU_DEP_1) | instskip(SKIP_1) | instid1(VALU_DEP_2)
	v_sub_f32_e32 v63, v59, v62
	v_sub_f32_e32 v55, v62, v61
	;; [unrolled: 1-line block ×3, first 2 shown]
	s_delay_alu instid0(VALU_DEP_2) | instskip(NEXT) | instid1(VALU_DEP_2)
	v_sub_f32_e32 v55, v55, v57
	v_sub_f32_e32 v59, v59, v62
	s_delay_alu instid0(VALU_DEP_1) | instskip(NEXT) | instid1(VALU_DEP_1)
	v_add_f32_e32 v52, v52, v59
	v_add_f32_e32 v52, v55, v52
	s_delay_alu instid0(VALU_DEP_1) | instskip(NEXT) | instid1(VALU_DEP_1)
	v_add_f32_e32 v55, v63, v52
	v_mul_f32_e32 v57, v54, v55
	s_delay_alu instid0(VALU_DEP_1) | instskip(NEXT) | instid1(VALU_DEP_1)
	v_dual_sub_f32 v62, v63, v55 :: v_dual_mul_f32 v59, v58, v57
	v_add_f32_e32 v52, v52, v62
	s_delay_alu instid0(VALU_DEP_2) | instskip(NEXT) | instid1(VALU_DEP_1)
	v_fma_f32 v58, v57, v58, -v59
	v_fmac_f32_e32 v58, v57, v56
	s_delay_alu instid0(VALU_DEP_1) | instskip(NEXT) | instid1(VALU_DEP_1)
	v_add_f32_e32 v56, v59, v58
	v_sub_f32_e32 v61, v55, v56
	v_sub_f32_e32 v59, v56, v59
	s_delay_alu instid0(VALU_DEP_2) | instskip(NEXT) | instid1(VALU_DEP_1)
	v_sub_f32_e32 v55, v55, v61
	v_sub_f32_e32 v55, v55, v56
	s_delay_alu instid0(VALU_DEP_3) | instskip(NEXT) | instid1(VALU_DEP_2)
	v_sub_f32_e32 v56, v59, v58
	v_add_f32_e32 v52, v52, v55
	v_add_f32_e32 v55, v60, v57
	s_delay_alu instid0(VALU_DEP_2) | instskip(NEXT) | instid1(VALU_DEP_2)
	v_add_f32_e32 v52, v56, v52
	v_sub_f32_e32 v56, v55, v60
	s_delay_alu instid0(VALU_DEP_2) | instskip(NEXT) | instid1(VALU_DEP_2)
	v_add_f32_e32 v52, v61, v52
	v_sub_f32_e32 v56, v57, v56
	s_delay_alu instid0(VALU_DEP_2) | instskip(NEXT) | instid1(VALU_DEP_1)
	v_mul_f32_e32 v52, v54, v52
	v_add_f32_e32 v52, v56, v52
	s_delay_alu instid0(VALU_DEP_1) | instskip(NEXT) | instid1(VALU_DEP_1)
	v_add_f32_e32 v54, v55, v52
	v_mul_f32_e32 v56, v54, v54
	s_delay_alu instid0(VALU_DEP_1) | instskip(SKIP_2) | instid1(VALU_DEP_3)
	v_fmaak_f32 v57, s46, v56, 0x3ecc95a3
	v_mul_f32_e32 v58, v54, v56
	v_cmp_eq_f32_e64 s46, 0x7f800000, v53
	v_fmaak_f32 v56, v56, v57, 0x3f2aaada
	v_ldexp_f32 v57, v54, 1
	v_sub_f32_e32 v54, v54, v55
	s_delay_alu instid0(VALU_DEP_4) | instskip(NEXT) | instid1(VALU_DEP_3)
	s_or_b32 s46, s46, s48
	v_mul_f32_e32 v56, v58, v56
	v_mul_f32_e32 v58, 0x3f317218, v51
	s_delay_alu instid0(VALU_DEP_2) | instskip(NEXT) | instid1(VALU_DEP_1)
	v_dual_sub_f32 v52, v52, v54 :: v_dual_add_f32 v55, v57, v56
	v_ldexp_f32 v52, v52, 1
	s_delay_alu instid0(VALU_DEP_2) | instskip(NEXT) | instid1(VALU_DEP_4)
	v_sub_f32_e32 v54, v55, v57
	v_fma_f32 v57, 0x3f317218, v51, -v58
	s_delay_alu instid0(VALU_DEP_1) | instskip(NEXT) | instid1(VALU_DEP_1)
	v_dual_sub_f32 v54, v56, v54 :: v_dual_fmamk_f32 v51, v51, 0xb102e308, v57
	v_add_f32_e32 v52, v52, v54
	s_delay_alu instid0(VALU_DEP_2) | instskip(NEXT) | instid1(VALU_DEP_2)
	v_add_f32_e32 v54, v58, v51
	v_add_f32_e32 v56, v55, v52
	s_delay_alu instid0(VALU_DEP_2) | instskip(NEXT) | instid1(VALU_DEP_2)
	v_sub_f32_e32 v58, v54, v58
	v_add_f32_e32 v57, v54, v56
	v_sub_f32_e32 v55, v56, v55
	s_delay_alu instid0(VALU_DEP_3) | instskip(NEXT) | instid1(VALU_DEP_2)
	v_sub_f32_e32 v51, v51, v58
	v_dual_sub_f32 v59, v57, v54 :: v_dual_sub_f32 v52, v52, v55
	s_delay_alu instid0(VALU_DEP_1) | instskip(NEXT) | instid1(VALU_DEP_2)
	v_sub_f32_e32 v60, v57, v59
	v_dual_sub_f32 v55, v56, v59 :: v_dual_add_f32 v56, v51, v52
	s_delay_alu instid0(VALU_DEP_2) | instskip(NEXT) | instid1(VALU_DEP_1)
	v_sub_f32_e32 v54, v54, v60
	v_dual_add_f32 v54, v55, v54 :: v_dual_sub_f32 v55, v56, v51
	s_delay_alu instid0(VALU_DEP_1) | instskip(NEXT) | instid1(VALU_DEP_2)
	v_add_f32_e32 v54, v56, v54
	v_sub_f32_e32 v56, v56, v55
	v_sub_f32_e32 v52, v52, v55
	s_delay_alu instid0(VALU_DEP_2) | instskip(NEXT) | instid1(VALU_DEP_1)
	v_dual_add_f32 v58, v57, v54 :: v_dual_sub_f32 v51, v51, v56
	v_sub_f32_e32 v55, v58, v57
	s_delay_alu instid0(VALU_DEP_2) | instskip(NEXT) | instid1(VALU_DEP_2)
	v_add_f32_e32 v51, v52, v51
	v_sub_f32_e32 v52, v54, v55
	s_delay_alu instid0(VALU_DEP_1) | instskip(NEXT) | instid1(VALU_DEP_1)
	v_add_f32_e32 v51, v51, v52
	v_add_f32_e32 v51, v58, v51
	s_delay_alu instid0(VALU_DEP_1) | instskip(NEXT) | instid1(VALU_DEP_1)
	v_cndmask_b32_e64 v51, v51, v53, s46
	v_add_f32_e32 v51, v50, v51
.LBB511_88:
	s_or_b32 exec_lo, exec_lo, s47
	s_delay_alu instid0(VALU_DEP_1)
	v_bfe_u32 v50, v51, 16, 1
	s_load_b64 s[46:47], s[0:1], 0x18
	v_lshrrev_b32_e32 v52, 4, v0
	v_cmp_o_f32_e64 s0, v51, v51
	s_mov_b32 s48, exec_lo
	v_add3_u32 v50, v51, v50, 0x7fff
	s_delay_alu instid0(VALU_DEP_3) | instskip(NEXT) | instid1(VALU_DEP_2)
	v_and_b32_e32 v52, 2, v52
	v_lshrrev_b32_e32 v50, 16, v50
	s_delay_alu instid0(VALU_DEP_2) | instskip(NEXT) | instid1(VALU_DEP_2)
	v_add_nc_u32_e32 v52, v12, v52
	v_cndmask_b32_e64 v51, 0x7fc0, v50, s0
	ds_store_b16 v52, v51
	s_waitcnt lgkmcnt(0)
	s_barrier
	buffer_gl0_inv
	v_cmpx_gt_u32_e32 32, v0
	s_cbranch_execz .LBB511_116
; %bb.89:
	v_lshrrev_b32_e32 v50, 3, v0
	s_delay_alu instid0(VALU_DEP_1) | instskip(NEXT) | instid1(VALU_DEP_1)
	v_and_b32_e32 v50, 6, v50
	v_lshl_or_b32 v50, v0, 2, v50
	ds_load_u16 v52, v50 offset:2
	ds_load_u16 v53, v50
	s_waitcnt lgkmcnt(1)
	v_lshlrev_b32_e32 v54, 16, v52
	s_waitcnt lgkmcnt(0)
	s_delay_alu instid0(VALU_DEP_1) | instskip(NEXT) | instid1(VALU_DEP_1)
	v_dual_max_f32 v55, v54, v54 :: v_dual_lshlrev_b32 v52, 16, v53
	v_max_f32_e32 v53, v52, v52
	v_cmp_u_f32_e64 s0, v52, v52
	s_delay_alu instid0(VALU_DEP_2) | instskip(SKIP_2) | instid1(VALU_DEP_3)
	v_min_f32_e32 v56, v53, v55
	v_max_f32_e32 v55, v53, v55
	v_cmp_u_f32_e64 s1, v54, v54
	v_cndmask_b32_e64 v56, v56, v52, s0
	s_delay_alu instid0(VALU_DEP_3) | instskip(NEXT) | instid1(VALU_DEP_2)
	v_cndmask_b32_e64 v55, v55, v52, s0
	v_cndmask_b32_e64 v56, v56, v54, s1
	s_delay_alu instid0(VALU_DEP_2) | instskip(SKIP_1) | instid1(VALU_DEP_3)
	v_cndmask_b32_e64 v54, v55, v54, s1
	v_mov_b32_e32 v55, v52
	v_cmp_class_f32_e64 s49, v56, 0x1f8
	s_delay_alu instid0(VALU_DEP_3) | instskip(NEXT) | instid1(VALU_DEP_1)
	v_cmp_neq_f32_e64 s1, v56, v54
	s_or_b32 s1, s1, s49
	s_delay_alu instid0(SALU_CYCLE_1)
	s_and_saveexec_b32 s49, s1
	s_cbranch_execz .LBB511_91
; %bb.90:
	v_sub_f32_e32 v55, v56, v54
	s_delay_alu instid0(VALU_DEP_1) | instskip(SKIP_1) | instid1(VALU_DEP_2)
	v_mul_f32_e32 v56, 0x3fb8aa3b, v55
	v_cmp_ngt_f32_e64 s1, 0xc2ce8ed0, v55
	v_fma_f32 v57, 0x3fb8aa3b, v55, -v56
	v_rndne_f32_e32 v58, v56
	s_delay_alu instid0(VALU_DEP_1) | instskip(NEXT) | instid1(VALU_DEP_1)
	v_dual_fmamk_f32 v57, v55, 0x32a5705f, v57 :: v_dual_sub_f32 v56, v56, v58
	v_add_f32_e32 v56, v56, v57
	v_cvt_i32_f32_e32 v57, v58
	s_delay_alu instid0(VALU_DEP_2) | instskip(SKIP_2) | instid1(VALU_DEP_1)
	v_exp_f32_e32 v56, v56
	s_waitcnt_depctr 0xfff
	v_ldexp_f32 v56, v56, v57
	v_cndmask_b32_e64 v56, 0, v56, s1
	v_cmp_nlt_f32_e64 s1, 0x42b17218, v55
	s_delay_alu instid0(VALU_DEP_1) | instskip(NEXT) | instid1(VALU_DEP_1)
	v_cndmask_b32_e64 v57, 0x7f800000, v56, s1
	v_add_f32_e32 v58, 1.0, v57
	v_cmp_gt_f32_e64 s50, 0x33800000, |v57|
	s_delay_alu instid0(VALU_DEP_2) | instskip(NEXT) | instid1(VALU_DEP_1)
	v_cvt_f64_f32_e32 v[55:56], v58
	v_frexp_exp_i32_f64_e32 v55, v[55:56]
	v_frexp_mant_f32_e32 v56, v58
	s_delay_alu instid0(VALU_DEP_1) | instskip(SKIP_1) | instid1(VALU_DEP_1)
	v_cmp_gt_f32_e64 s1, 0x3f2aaaab, v56
	v_add_f32_e32 v56, -1.0, v58
	v_sub_f32_e32 v60, v56, v58
	v_sub_f32_e32 v56, v57, v56
	s_delay_alu instid0(VALU_DEP_4) | instskip(SKIP_1) | instid1(VALU_DEP_1)
	v_subrev_co_ci_u32_e64 v55, s1, 0, v55, s1
	s_mov_b32 s1, 0x3e9b6dac
	v_sub_nc_u32_e32 v59, 0, v55
	v_cvt_f32_i32_e32 v55, v55
	s_delay_alu instid0(VALU_DEP_2) | instskip(NEXT) | instid1(VALU_DEP_1)
	v_ldexp_f32 v58, v58, v59
	v_dual_add_f32 v61, 1.0, v58 :: v_dual_add_f32 v60, 1.0, v60
	s_delay_alu instid0(VALU_DEP_1) | instskip(NEXT) | instid1(VALU_DEP_2)
	v_add_f32_e32 v56, v56, v60
	v_add_f32_e32 v60, -1.0, v61
	s_delay_alu instid0(VALU_DEP_2) | instskip(NEXT) | instid1(VALU_DEP_2)
	v_ldexp_f32 v56, v56, v59
	v_dual_add_f32 v59, -1.0, v58 :: v_dual_sub_f32 v60, v58, v60
	s_delay_alu instid0(VALU_DEP_1) | instskip(NEXT) | instid1(VALU_DEP_2)
	v_add_f32_e32 v62, 1.0, v59
	v_add_f32_e32 v60, v56, v60
	s_delay_alu instid0(VALU_DEP_2) | instskip(NEXT) | instid1(VALU_DEP_2)
	v_sub_f32_e32 v58, v58, v62
	v_add_f32_e32 v62, v61, v60
	s_delay_alu instid0(VALU_DEP_2) | instskip(NEXT) | instid1(VALU_DEP_2)
	v_add_f32_e32 v56, v56, v58
	v_rcp_f32_e32 v58, v62
	v_sub_f32_e32 v61, v61, v62
	s_delay_alu instid0(VALU_DEP_1) | instskip(NEXT) | instid1(VALU_DEP_1)
	v_dual_add_f32 v63, v59, v56 :: v_dual_add_f32 v60, v60, v61
	v_sub_f32_e32 v59, v59, v63
	s_waitcnt_depctr 0xfff
	v_mul_f32_e32 v64, v63, v58
	s_delay_alu instid0(VALU_DEP_1) | instskip(NEXT) | instid1(VALU_DEP_1)
	v_dual_add_f32 v56, v56, v59 :: v_dual_mul_f32 v65, v62, v64
	v_fma_f32 v61, v64, v62, -v65
	s_delay_alu instid0(VALU_DEP_1) | instskip(NEXT) | instid1(VALU_DEP_1)
	v_fmac_f32_e32 v61, v64, v60
	v_add_f32_e32 v66, v65, v61
	s_delay_alu instid0(VALU_DEP_1) | instskip(SKIP_1) | instid1(VALU_DEP_2)
	v_sub_f32_e32 v67, v63, v66
	v_sub_f32_e32 v59, v66, v65
	v_sub_f32_e32 v63, v63, v67
	s_delay_alu instid0(VALU_DEP_2) | instskip(NEXT) | instid1(VALU_DEP_2)
	v_sub_f32_e32 v59, v59, v61
	v_sub_f32_e32 v63, v63, v66
	s_delay_alu instid0(VALU_DEP_1) | instskip(NEXT) | instid1(VALU_DEP_1)
	v_add_f32_e32 v56, v56, v63
	v_add_f32_e32 v56, v59, v56
	s_delay_alu instid0(VALU_DEP_1) | instskip(NEXT) | instid1(VALU_DEP_1)
	v_add_f32_e32 v59, v67, v56
	v_mul_f32_e32 v61, v58, v59
	s_delay_alu instid0(VALU_DEP_1) | instskip(NEXT) | instid1(VALU_DEP_1)
	v_dual_sub_f32 v66, v67, v59 :: v_dual_mul_f32 v63, v62, v61
	v_add_f32_e32 v56, v56, v66
	s_delay_alu instid0(VALU_DEP_2) | instskip(NEXT) | instid1(VALU_DEP_1)
	v_fma_f32 v62, v61, v62, -v63
	v_fmac_f32_e32 v62, v61, v60
	s_delay_alu instid0(VALU_DEP_1) | instskip(NEXT) | instid1(VALU_DEP_1)
	v_add_f32_e32 v60, v63, v62
	v_sub_f32_e32 v65, v59, v60
	v_sub_f32_e32 v63, v60, v63
	s_delay_alu instid0(VALU_DEP_2) | instskip(NEXT) | instid1(VALU_DEP_1)
	v_sub_f32_e32 v59, v59, v65
	v_sub_f32_e32 v59, v59, v60
	s_delay_alu instid0(VALU_DEP_3) | instskip(NEXT) | instid1(VALU_DEP_2)
	v_sub_f32_e32 v60, v63, v62
	v_add_f32_e32 v56, v56, v59
	v_add_f32_e32 v59, v64, v61
	s_delay_alu instid0(VALU_DEP_2) | instskip(NEXT) | instid1(VALU_DEP_2)
	v_add_f32_e32 v56, v60, v56
	v_sub_f32_e32 v60, v59, v64
	s_delay_alu instid0(VALU_DEP_2) | instskip(NEXT) | instid1(VALU_DEP_2)
	v_add_f32_e32 v56, v65, v56
	v_sub_f32_e32 v60, v61, v60
	s_delay_alu instid0(VALU_DEP_2) | instskip(NEXT) | instid1(VALU_DEP_1)
	v_mul_f32_e32 v56, v58, v56
	v_add_f32_e32 v56, v60, v56
	s_delay_alu instid0(VALU_DEP_1) | instskip(NEXT) | instid1(VALU_DEP_1)
	v_add_f32_e32 v58, v59, v56
	v_mul_f32_e32 v60, v58, v58
	s_delay_alu instid0(VALU_DEP_1) | instskip(SKIP_2) | instid1(VALU_DEP_3)
	v_fmaak_f32 v61, s1, v60, 0x3ecc95a3
	v_mul_f32_e32 v62, v58, v60
	v_cmp_eq_f32_e64 s1, 0x7f800000, v57
	v_fmaak_f32 v60, v60, v61, 0x3f2aaada
	v_ldexp_f32 v61, v58, 1
	v_sub_f32_e32 v58, v58, v59
	s_delay_alu instid0(VALU_DEP_4) | instskip(NEXT) | instid1(VALU_DEP_3)
	s_or_b32 s1, s1, s50
	v_mul_f32_e32 v60, v62, v60
	v_mul_f32_e32 v62, 0x3f317218, v55
	s_delay_alu instid0(VALU_DEP_2) | instskip(NEXT) | instid1(VALU_DEP_1)
	v_dual_sub_f32 v56, v56, v58 :: v_dual_add_f32 v59, v61, v60
	v_ldexp_f32 v56, v56, 1
	s_delay_alu instid0(VALU_DEP_2) | instskip(NEXT) | instid1(VALU_DEP_4)
	v_sub_f32_e32 v58, v59, v61
	v_fma_f32 v61, 0x3f317218, v55, -v62
	s_delay_alu instid0(VALU_DEP_1) | instskip(NEXT) | instid1(VALU_DEP_1)
	v_dual_sub_f32 v58, v60, v58 :: v_dual_fmamk_f32 v55, v55, 0xb102e308, v61
	v_add_f32_e32 v56, v56, v58
	s_delay_alu instid0(VALU_DEP_2) | instskip(NEXT) | instid1(VALU_DEP_2)
	v_add_f32_e32 v58, v62, v55
	v_add_f32_e32 v60, v59, v56
	s_delay_alu instid0(VALU_DEP_2) | instskip(NEXT) | instid1(VALU_DEP_2)
	v_sub_f32_e32 v62, v58, v62
	v_add_f32_e32 v61, v58, v60
	v_sub_f32_e32 v59, v60, v59
	s_delay_alu instid0(VALU_DEP_3) | instskip(NEXT) | instid1(VALU_DEP_2)
	v_sub_f32_e32 v55, v55, v62
	v_dual_sub_f32 v63, v61, v58 :: v_dual_sub_f32 v56, v56, v59
	s_delay_alu instid0(VALU_DEP_1) | instskip(NEXT) | instid1(VALU_DEP_2)
	v_sub_f32_e32 v64, v61, v63
	v_dual_sub_f32 v59, v60, v63 :: v_dual_add_f32 v60, v55, v56
	s_delay_alu instid0(VALU_DEP_2) | instskip(NEXT) | instid1(VALU_DEP_1)
	v_sub_f32_e32 v58, v58, v64
	v_dual_add_f32 v58, v59, v58 :: v_dual_sub_f32 v59, v60, v55
	s_delay_alu instid0(VALU_DEP_1) | instskip(NEXT) | instid1(VALU_DEP_2)
	v_add_f32_e32 v58, v60, v58
	v_sub_f32_e32 v60, v60, v59
	v_sub_f32_e32 v56, v56, v59
	s_delay_alu instid0(VALU_DEP_2) | instskip(NEXT) | instid1(VALU_DEP_1)
	v_dual_add_f32 v62, v61, v58 :: v_dual_sub_f32 v55, v55, v60
	v_sub_f32_e32 v59, v62, v61
	s_delay_alu instid0(VALU_DEP_2) | instskip(NEXT) | instid1(VALU_DEP_2)
	v_add_f32_e32 v55, v56, v55
	v_sub_f32_e32 v56, v58, v59
	s_delay_alu instid0(VALU_DEP_1) | instskip(NEXT) | instid1(VALU_DEP_1)
	v_add_f32_e32 v55, v55, v56
	v_add_f32_e32 v55, v62, v55
	s_delay_alu instid0(VALU_DEP_1) | instskip(NEXT) | instid1(VALU_DEP_1)
	v_cndmask_b32_e64 v55, v55, v57, s1
	v_add_f32_e32 v55, v54, v55
.LBB511_91:
	s_or_b32 exec_lo, exec_lo, s49
	s_delay_alu instid0(VALU_DEP_1) | instskip(SKIP_2) | instid1(VALU_DEP_2)
	v_bfe_u32 v54, v55, 16, 1
	v_cmp_o_f32_e64 s1, v55, v55
	s_mov_b32 s49, exec_lo
	v_add3_u32 v54, v55, v54, 0x7fff
	s_delay_alu instid0(VALU_DEP_1) | instskip(NEXT) | instid1(VALU_DEP_1)
	v_lshrrev_b32_e32 v54, 16, v54
	v_cndmask_b32_e64 v56, 0x7fc0, v54, s1
	v_mbcnt_lo_u32_b32 v54, -1, 0
	s_delay_alu instid0(VALU_DEP_2) | instskip(NEXT) | instid1(VALU_DEP_2)
	v_and_b32_e32 v57, 0xffff, v56
	v_and_b32_e32 v55, 15, v54
	s_delay_alu instid0(VALU_DEP_2) | instskip(NEXT) | instid1(VALU_DEP_2)
	v_mov_b32_dpp v58, v57 row_shr:1 row_mask:0xf bank_mask:0xf
	v_cmpx_ne_u32_e32 0, v55
	s_cbranch_execz .LBB511_95
; %bb.92:
	v_lshlrev_b32_e32 v56, 16, v57
	s_delay_alu instid0(VALU_DEP_1) | instskip(NEXT) | instid1(VALU_DEP_1)
	v_dual_max_f32 v58, v56, v56 :: v_dual_lshlrev_b32 v57, 16, v58
	v_max_f32_e32 v59, v57, v57
	v_cmp_u_f32_e64 s1, v57, v57
	s_delay_alu instid0(VALU_DEP_2) | instskip(SKIP_1) | instid1(VALU_DEP_2)
	v_min_f32_e32 v60, v59, v58
	v_max_f32_e32 v58, v59, v58
	v_cndmask_b32_e64 v59, v60, v57, s1
	s_delay_alu instid0(VALU_DEP_2) | instskip(SKIP_1) | instid1(VALU_DEP_1)
	v_cndmask_b32_e64 v60, v58, v57, s1
	v_cmp_u_f32_e64 s1, v56, v56
	v_cndmask_b32_e64 v58, v59, v56, s1
	s_delay_alu instid0(VALU_DEP_3) | instskip(NEXT) | instid1(VALU_DEP_2)
	v_cndmask_b32_e64 v56, v60, v56, s1
	v_cmp_class_f32_e64 s50, v58, 0x1f8
	s_delay_alu instid0(VALU_DEP_2) | instskip(NEXT) | instid1(VALU_DEP_1)
	v_cmp_neq_f32_e64 s1, v58, v56
	s_or_b32 s1, s1, s50
	s_delay_alu instid0(SALU_CYCLE_1)
	s_and_saveexec_b32 s50, s1
	s_cbranch_execz .LBB511_94
; %bb.93:
	v_sub_f32_e32 v57, v58, v56
	s_delay_alu instid0(VALU_DEP_1) | instskip(SKIP_1) | instid1(VALU_DEP_2)
	v_mul_f32_e32 v58, 0x3fb8aa3b, v57
	v_cmp_ngt_f32_e64 s1, 0xc2ce8ed0, v57
	v_fma_f32 v59, 0x3fb8aa3b, v57, -v58
	v_rndne_f32_e32 v60, v58
	s_delay_alu instid0(VALU_DEP_1) | instskip(NEXT) | instid1(VALU_DEP_1)
	v_dual_fmamk_f32 v59, v57, 0x32a5705f, v59 :: v_dual_sub_f32 v58, v58, v60
	v_add_f32_e32 v58, v58, v59
	v_cvt_i32_f32_e32 v59, v60
	s_delay_alu instid0(VALU_DEP_2) | instskip(SKIP_2) | instid1(VALU_DEP_1)
	v_exp_f32_e32 v58, v58
	s_waitcnt_depctr 0xfff
	v_ldexp_f32 v58, v58, v59
	v_cndmask_b32_e64 v58, 0, v58, s1
	v_cmp_nlt_f32_e64 s1, 0x42b17218, v57
	s_delay_alu instid0(VALU_DEP_1) | instskip(NEXT) | instid1(VALU_DEP_1)
	v_cndmask_b32_e64 v59, 0x7f800000, v58, s1
	v_add_f32_e32 v60, 1.0, v59
	v_cmp_gt_f32_e64 s51, 0x33800000, |v59|
	s_delay_alu instid0(VALU_DEP_2) | instskip(NEXT) | instid1(VALU_DEP_1)
	v_cvt_f64_f32_e32 v[57:58], v60
	v_frexp_exp_i32_f64_e32 v57, v[57:58]
	v_frexp_mant_f32_e32 v58, v60
	s_delay_alu instid0(VALU_DEP_1) | instskip(SKIP_1) | instid1(VALU_DEP_1)
	v_cmp_gt_f32_e64 s1, 0x3f2aaaab, v58
	v_add_f32_e32 v58, -1.0, v60
	v_sub_f32_e32 v62, v58, v60
	v_sub_f32_e32 v58, v59, v58
	s_delay_alu instid0(VALU_DEP_4) | instskip(SKIP_1) | instid1(VALU_DEP_1)
	v_subrev_co_ci_u32_e64 v57, s1, 0, v57, s1
	s_mov_b32 s1, 0x3e9b6dac
	v_sub_nc_u32_e32 v61, 0, v57
	v_cvt_f32_i32_e32 v57, v57
	s_delay_alu instid0(VALU_DEP_2) | instskip(NEXT) | instid1(VALU_DEP_1)
	v_ldexp_f32 v60, v60, v61
	v_dual_add_f32 v63, 1.0, v60 :: v_dual_add_f32 v62, 1.0, v62
	s_delay_alu instid0(VALU_DEP_1) | instskip(NEXT) | instid1(VALU_DEP_2)
	v_add_f32_e32 v58, v58, v62
	v_add_f32_e32 v62, -1.0, v63
	s_delay_alu instid0(VALU_DEP_2) | instskip(NEXT) | instid1(VALU_DEP_2)
	v_ldexp_f32 v58, v58, v61
	v_dual_add_f32 v61, -1.0, v60 :: v_dual_sub_f32 v62, v60, v62
	s_delay_alu instid0(VALU_DEP_1) | instskip(NEXT) | instid1(VALU_DEP_2)
	v_add_f32_e32 v64, 1.0, v61
	v_add_f32_e32 v62, v58, v62
	s_delay_alu instid0(VALU_DEP_2) | instskip(NEXT) | instid1(VALU_DEP_2)
	v_sub_f32_e32 v60, v60, v64
	v_add_f32_e32 v64, v63, v62
	s_delay_alu instid0(VALU_DEP_2) | instskip(NEXT) | instid1(VALU_DEP_2)
	v_add_f32_e32 v58, v58, v60
	v_rcp_f32_e32 v60, v64
	v_sub_f32_e32 v63, v63, v64
	s_delay_alu instid0(VALU_DEP_1) | instskip(NEXT) | instid1(VALU_DEP_1)
	v_dual_add_f32 v65, v61, v58 :: v_dual_add_f32 v62, v62, v63
	v_sub_f32_e32 v61, v61, v65
	s_waitcnt_depctr 0xfff
	v_mul_f32_e32 v66, v65, v60
	s_delay_alu instid0(VALU_DEP_1) | instskip(NEXT) | instid1(VALU_DEP_1)
	v_dual_add_f32 v58, v58, v61 :: v_dual_mul_f32 v67, v64, v66
	v_fma_f32 v63, v66, v64, -v67
	s_delay_alu instid0(VALU_DEP_1) | instskip(NEXT) | instid1(VALU_DEP_1)
	v_fmac_f32_e32 v63, v66, v62
	v_add_f32_e32 v68, v67, v63
	s_delay_alu instid0(VALU_DEP_1) | instskip(SKIP_1) | instid1(VALU_DEP_2)
	v_sub_f32_e32 v69, v65, v68
	v_sub_f32_e32 v61, v68, v67
	;; [unrolled: 1-line block ×3, first 2 shown]
	s_delay_alu instid0(VALU_DEP_2) | instskip(NEXT) | instid1(VALU_DEP_2)
	v_sub_f32_e32 v61, v61, v63
	v_sub_f32_e32 v65, v65, v68
	s_delay_alu instid0(VALU_DEP_1) | instskip(NEXT) | instid1(VALU_DEP_1)
	v_add_f32_e32 v58, v58, v65
	v_add_f32_e32 v58, v61, v58
	s_delay_alu instid0(VALU_DEP_1) | instskip(NEXT) | instid1(VALU_DEP_1)
	v_add_f32_e32 v61, v69, v58
	v_mul_f32_e32 v63, v60, v61
	s_delay_alu instid0(VALU_DEP_1) | instskip(NEXT) | instid1(VALU_DEP_1)
	v_dual_sub_f32 v68, v69, v61 :: v_dual_mul_f32 v65, v64, v63
	v_add_f32_e32 v58, v58, v68
	s_delay_alu instid0(VALU_DEP_2) | instskip(NEXT) | instid1(VALU_DEP_1)
	v_fma_f32 v64, v63, v64, -v65
	v_fmac_f32_e32 v64, v63, v62
	s_delay_alu instid0(VALU_DEP_1) | instskip(NEXT) | instid1(VALU_DEP_1)
	v_add_f32_e32 v62, v65, v64
	v_sub_f32_e32 v67, v61, v62
	v_sub_f32_e32 v65, v62, v65
	s_delay_alu instid0(VALU_DEP_2) | instskip(NEXT) | instid1(VALU_DEP_1)
	v_sub_f32_e32 v61, v61, v67
	v_sub_f32_e32 v61, v61, v62
	s_delay_alu instid0(VALU_DEP_3) | instskip(NEXT) | instid1(VALU_DEP_2)
	v_sub_f32_e32 v62, v65, v64
	v_add_f32_e32 v58, v58, v61
	v_add_f32_e32 v61, v66, v63
	s_delay_alu instid0(VALU_DEP_2) | instskip(NEXT) | instid1(VALU_DEP_2)
	v_add_f32_e32 v58, v62, v58
	v_sub_f32_e32 v62, v61, v66
	s_delay_alu instid0(VALU_DEP_2) | instskip(NEXT) | instid1(VALU_DEP_2)
	v_add_f32_e32 v58, v67, v58
	v_sub_f32_e32 v62, v63, v62
	s_delay_alu instid0(VALU_DEP_2) | instskip(NEXT) | instid1(VALU_DEP_1)
	v_mul_f32_e32 v58, v60, v58
	v_add_f32_e32 v58, v62, v58
	s_delay_alu instid0(VALU_DEP_1) | instskip(NEXT) | instid1(VALU_DEP_1)
	v_add_f32_e32 v60, v61, v58
	v_mul_f32_e32 v62, v60, v60
	s_delay_alu instid0(VALU_DEP_1) | instskip(SKIP_2) | instid1(VALU_DEP_3)
	v_fmaak_f32 v63, s1, v62, 0x3ecc95a3
	v_mul_f32_e32 v64, v60, v62
	v_cmp_eq_f32_e64 s1, 0x7f800000, v59
	v_fmaak_f32 v62, v62, v63, 0x3f2aaada
	v_ldexp_f32 v63, v60, 1
	v_sub_f32_e32 v60, v60, v61
	s_delay_alu instid0(VALU_DEP_4) | instskip(NEXT) | instid1(VALU_DEP_3)
	s_or_b32 s1, s1, s51
	v_mul_f32_e32 v62, v64, v62
	v_mul_f32_e32 v64, 0x3f317218, v57
	s_delay_alu instid0(VALU_DEP_2) | instskip(NEXT) | instid1(VALU_DEP_1)
	v_dual_sub_f32 v58, v58, v60 :: v_dual_add_f32 v61, v63, v62
	v_ldexp_f32 v58, v58, 1
	s_delay_alu instid0(VALU_DEP_2) | instskip(NEXT) | instid1(VALU_DEP_4)
	v_sub_f32_e32 v60, v61, v63
	v_fma_f32 v63, 0x3f317218, v57, -v64
	s_delay_alu instid0(VALU_DEP_1) | instskip(NEXT) | instid1(VALU_DEP_1)
	v_dual_sub_f32 v60, v62, v60 :: v_dual_fmamk_f32 v57, v57, 0xb102e308, v63
	v_add_f32_e32 v58, v58, v60
	s_delay_alu instid0(VALU_DEP_2) | instskip(NEXT) | instid1(VALU_DEP_2)
	v_add_f32_e32 v60, v64, v57
	v_add_f32_e32 v62, v61, v58
	s_delay_alu instid0(VALU_DEP_2) | instskip(NEXT) | instid1(VALU_DEP_2)
	v_sub_f32_e32 v64, v60, v64
	v_add_f32_e32 v63, v60, v62
	v_sub_f32_e32 v61, v62, v61
	s_delay_alu instid0(VALU_DEP_3) | instskip(NEXT) | instid1(VALU_DEP_2)
	v_sub_f32_e32 v57, v57, v64
	v_dual_sub_f32 v65, v63, v60 :: v_dual_sub_f32 v58, v58, v61
	s_delay_alu instid0(VALU_DEP_1) | instskip(NEXT) | instid1(VALU_DEP_2)
	v_sub_f32_e32 v66, v63, v65
	v_dual_sub_f32 v61, v62, v65 :: v_dual_add_f32 v62, v57, v58
	s_delay_alu instid0(VALU_DEP_2) | instskip(NEXT) | instid1(VALU_DEP_1)
	v_sub_f32_e32 v60, v60, v66
	v_dual_add_f32 v60, v61, v60 :: v_dual_sub_f32 v61, v62, v57
	s_delay_alu instid0(VALU_DEP_1) | instskip(NEXT) | instid1(VALU_DEP_2)
	v_add_f32_e32 v60, v62, v60
	v_sub_f32_e32 v62, v62, v61
	v_sub_f32_e32 v58, v58, v61
	s_delay_alu instid0(VALU_DEP_2) | instskip(NEXT) | instid1(VALU_DEP_1)
	v_dual_add_f32 v64, v63, v60 :: v_dual_sub_f32 v57, v57, v62
	v_sub_f32_e32 v61, v64, v63
	s_delay_alu instid0(VALU_DEP_2) | instskip(NEXT) | instid1(VALU_DEP_2)
	v_add_f32_e32 v57, v58, v57
	v_sub_f32_e32 v58, v60, v61
	s_delay_alu instid0(VALU_DEP_1) | instskip(NEXT) | instid1(VALU_DEP_1)
	v_add_f32_e32 v57, v57, v58
	v_add_f32_e32 v57, v64, v57
	s_delay_alu instid0(VALU_DEP_1) | instskip(NEXT) | instid1(VALU_DEP_1)
	v_cndmask_b32_e64 v57, v57, v59, s1
	v_add_f32_e32 v57, v56, v57
.LBB511_94:
	s_or_b32 exec_lo, exec_lo, s50
	s_delay_alu instid0(VALU_DEP_1) | instskip(SKIP_1) | instid1(VALU_DEP_2)
	v_bfe_u32 v56, v57, 16, 1
	v_cmp_o_f32_e64 s1, v57, v57
	v_add3_u32 v56, v57, v56, 0x7fff
	s_delay_alu instid0(VALU_DEP_1) | instskip(NEXT) | instid1(VALU_DEP_1)
	v_lshrrev_b32_e32 v56, 16, v56
	v_cndmask_b32_e64 v56, 0x7fc0, v56, s1
	s_delay_alu instid0(VALU_DEP_1)
	v_and_b32_e32 v57, 0xffff, v56
.LBB511_95:
	s_or_b32 exec_lo, exec_lo, s49
	s_delay_alu instid0(VALU_DEP_1)
	v_mov_b32_dpp v58, v57 row_shr:2 row_mask:0xf bank_mask:0xf
	s_mov_b32 s49, exec_lo
	v_cmpx_lt_u32_e32 1, v55
	s_cbranch_execz .LBB511_99
; %bb.96:
	v_lshlrev_b32_e32 v56, 16, v57
	s_delay_alu instid0(VALU_DEP_1) | instskip(NEXT) | instid1(VALU_DEP_1)
	v_dual_max_f32 v58, v56, v56 :: v_dual_lshlrev_b32 v57, 16, v58
	v_max_f32_e32 v59, v57, v57
	v_cmp_u_f32_e64 s1, v57, v57
	s_delay_alu instid0(VALU_DEP_2) | instskip(SKIP_1) | instid1(VALU_DEP_2)
	v_min_f32_e32 v60, v59, v58
	v_max_f32_e32 v58, v59, v58
	v_cndmask_b32_e64 v59, v60, v57, s1
	s_delay_alu instid0(VALU_DEP_2) | instskip(SKIP_1) | instid1(VALU_DEP_1)
	v_cndmask_b32_e64 v60, v58, v57, s1
	v_cmp_u_f32_e64 s1, v56, v56
	v_cndmask_b32_e64 v58, v59, v56, s1
	s_delay_alu instid0(VALU_DEP_3) | instskip(NEXT) | instid1(VALU_DEP_2)
	v_cndmask_b32_e64 v56, v60, v56, s1
	v_cmp_class_f32_e64 s50, v58, 0x1f8
	s_delay_alu instid0(VALU_DEP_2) | instskip(NEXT) | instid1(VALU_DEP_1)
	v_cmp_neq_f32_e64 s1, v58, v56
	s_or_b32 s1, s1, s50
	s_delay_alu instid0(SALU_CYCLE_1)
	s_and_saveexec_b32 s50, s1
	s_cbranch_execz .LBB511_98
; %bb.97:
	v_sub_f32_e32 v57, v58, v56
	s_delay_alu instid0(VALU_DEP_1) | instskip(SKIP_1) | instid1(VALU_DEP_2)
	v_mul_f32_e32 v58, 0x3fb8aa3b, v57
	v_cmp_ngt_f32_e64 s1, 0xc2ce8ed0, v57
	v_fma_f32 v59, 0x3fb8aa3b, v57, -v58
	v_rndne_f32_e32 v60, v58
	s_delay_alu instid0(VALU_DEP_1) | instskip(NEXT) | instid1(VALU_DEP_1)
	v_dual_fmamk_f32 v59, v57, 0x32a5705f, v59 :: v_dual_sub_f32 v58, v58, v60
	v_add_f32_e32 v58, v58, v59
	v_cvt_i32_f32_e32 v59, v60
	s_delay_alu instid0(VALU_DEP_2) | instskip(SKIP_2) | instid1(VALU_DEP_1)
	v_exp_f32_e32 v58, v58
	s_waitcnt_depctr 0xfff
	v_ldexp_f32 v58, v58, v59
	v_cndmask_b32_e64 v58, 0, v58, s1
	v_cmp_nlt_f32_e64 s1, 0x42b17218, v57
	s_delay_alu instid0(VALU_DEP_1) | instskip(NEXT) | instid1(VALU_DEP_1)
	v_cndmask_b32_e64 v59, 0x7f800000, v58, s1
	v_add_f32_e32 v60, 1.0, v59
	v_cmp_gt_f32_e64 s51, 0x33800000, |v59|
	s_delay_alu instid0(VALU_DEP_2) | instskip(NEXT) | instid1(VALU_DEP_1)
	v_cvt_f64_f32_e32 v[57:58], v60
	v_frexp_exp_i32_f64_e32 v57, v[57:58]
	v_frexp_mant_f32_e32 v58, v60
	s_delay_alu instid0(VALU_DEP_1) | instskip(SKIP_1) | instid1(VALU_DEP_1)
	v_cmp_gt_f32_e64 s1, 0x3f2aaaab, v58
	v_add_f32_e32 v58, -1.0, v60
	v_sub_f32_e32 v62, v58, v60
	v_sub_f32_e32 v58, v59, v58
	s_delay_alu instid0(VALU_DEP_4) | instskip(SKIP_1) | instid1(VALU_DEP_1)
	v_subrev_co_ci_u32_e64 v57, s1, 0, v57, s1
	s_mov_b32 s1, 0x3e9b6dac
	v_sub_nc_u32_e32 v61, 0, v57
	v_cvt_f32_i32_e32 v57, v57
	s_delay_alu instid0(VALU_DEP_2) | instskip(NEXT) | instid1(VALU_DEP_1)
	v_ldexp_f32 v60, v60, v61
	v_dual_add_f32 v63, 1.0, v60 :: v_dual_add_f32 v62, 1.0, v62
	s_delay_alu instid0(VALU_DEP_1) | instskip(NEXT) | instid1(VALU_DEP_2)
	v_add_f32_e32 v58, v58, v62
	v_add_f32_e32 v62, -1.0, v63
	s_delay_alu instid0(VALU_DEP_2) | instskip(NEXT) | instid1(VALU_DEP_2)
	v_ldexp_f32 v58, v58, v61
	v_dual_add_f32 v61, -1.0, v60 :: v_dual_sub_f32 v62, v60, v62
	s_delay_alu instid0(VALU_DEP_1) | instskip(NEXT) | instid1(VALU_DEP_2)
	v_add_f32_e32 v64, 1.0, v61
	v_add_f32_e32 v62, v58, v62
	s_delay_alu instid0(VALU_DEP_2) | instskip(NEXT) | instid1(VALU_DEP_2)
	v_sub_f32_e32 v60, v60, v64
	v_add_f32_e32 v64, v63, v62
	s_delay_alu instid0(VALU_DEP_2) | instskip(NEXT) | instid1(VALU_DEP_2)
	v_add_f32_e32 v58, v58, v60
	v_rcp_f32_e32 v60, v64
	v_sub_f32_e32 v63, v63, v64
	s_delay_alu instid0(VALU_DEP_1) | instskip(NEXT) | instid1(VALU_DEP_1)
	v_dual_add_f32 v65, v61, v58 :: v_dual_add_f32 v62, v62, v63
	v_sub_f32_e32 v61, v61, v65
	s_waitcnt_depctr 0xfff
	v_mul_f32_e32 v66, v65, v60
	s_delay_alu instid0(VALU_DEP_1) | instskip(NEXT) | instid1(VALU_DEP_1)
	v_dual_add_f32 v58, v58, v61 :: v_dual_mul_f32 v67, v64, v66
	v_fma_f32 v63, v66, v64, -v67
	s_delay_alu instid0(VALU_DEP_1) | instskip(NEXT) | instid1(VALU_DEP_1)
	v_fmac_f32_e32 v63, v66, v62
	v_add_f32_e32 v68, v67, v63
	s_delay_alu instid0(VALU_DEP_1) | instskip(SKIP_1) | instid1(VALU_DEP_2)
	v_sub_f32_e32 v69, v65, v68
	v_sub_f32_e32 v61, v68, v67
	;; [unrolled: 1-line block ×3, first 2 shown]
	s_delay_alu instid0(VALU_DEP_2) | instskip(NEXT) | instid1(VALU_DEP_2)
	v_sub_f32_e32 v61, v61, v63
	v_sub_f32_e32 v65, v65, v68
	s_delay_alu instid0(VALU_DEP_1) | instskip(NEXT) | instid1(VALU_DEP_1)
	v_add_f32_e32 v58, v58, v65
	v_add_f32_e32 v58, v61, v58
	s_delay_alu instid0(VALU_DEP_1) | instskip(NEXT) | instid1(VALU_DEP_1)
	v_add_f32_e32 v61, v69, v58
	v_mul_f32_e32 v63, v60, v61
	s_delay_alu instid0(VALU_DEP_1) | instskip(NEXT) | instid1(VALU_DEP_1)
	v_dual_sub_f32 v68, v69, v61 :: v_dual_mul_f32 v65, v64, v63
	v_add_f32_e32 v58, v58, v68
	s_delay_alu instid0(VALU_DEP_2) | instskip(NEXT) | instid1(VALU_DEP_1)
	v_fma_f32 v64, v63, v64, -v65
	v_fmac_f32_e32 v64, v63, v62
	s_delay_alu instid0(VALU_DEP_1) | instskip(NEXT) | instid1(VALU_DEP_1)
	v_add_f32_e32 v62, v65, v64
	v_sub_f32_e32 v67, v61, v62
	v_sub_f32_e32 v65, v62, v65
	s_delay_alu instid0(VALU_DEP_2) | instskip(NEXT) | instid1(VALU_DEP_1)
	v_sub_f32_e32 v61, v61, v67
	v_sub_f32_e32 v61, v61, v62
	s_delay_alu instid0(VALU_DEP_3) | instskip(NEXT) | instid1(VALU_DEP_2)
	v_sub_f32_e32 v62, v65, v64
	v_add_f32_e32 v58, v58, v61
	v_add_f32_e32 v61, v66, v63
	s_delay_alu instid0(VALU_DEP_2) | instskip(NEXT) | instid1(VALU_DEP_2)
	v_add_f32_e32 v58, v62, v58
	v_sub_f32_e32 v62, v61, v66
	s_delay_alu instid0(VALU_DEP_2) | instskip(NEXT) | instid1(VALU_DEP_2)
	v_add_f32_e32 v58, v67, v58
	v_sub_f32_e32 v62, v63, v62
	s_delay_alu instid0(VALU_DEP_2) | instskip(NEXT) | instid1(VALU_DEP_1)
	v_mul_f32_e32 v58, v60, v58
	v_add_f32_e32 v58, v62, v58
	s_delay_alu instid0(VALU_DEP_1) | instskip(NEXT) | instid1(VALU_DEP_1)
	v_add_f32_e32 v60, v61, v58
	v_mul_f32_e32 v62, v60, v60
	s_delay_alu instid0(VALU_DEP_1) | instskip(SKIP_2) | instid1(VALU_DEP_3)
	v_fmaak_f32 v63, s1, v62, 0x3ecc95a3
	v_mul_f32_e32 v64, v60, v62
	v_cmp_eq_f32_e64 s1, 0x7f800000, v59
	v_fmaak_f32 v62, v62, v63, 0x3f2aaada
	v_ldexp_f32 v63, v60, 1
	v_sub_f32_e32 v60, v60, v61
	s_delay_alu instid0(VALU_DEP_4) | instskip(NEXT) | instid1(VALU_DEP_3)
	s_or_b32 s1, s1, s51
	v_mul_f32_e32 v62, v64, v62
	v_mul_f32_e32 v64, 0x3f317218, v57
	s_delay_alu instid0(VALU_DEP_2) | instskip(NEXT) | instid1(VALU_DEP_1)
	v_dual_sub_f32 v58, v58, v60 :: v_dual_add_f32 v61, v63, v62
	v_ldexp_f32 v58, v58, 1
	s_delay_alu instid0(VALU_DEP_2) | instskip(NEXT) | instid1(VALU_DEP_4)
	v_sub_f32_e32 v60, v61, v63
	v_fma_f32 v63, 0x3f317218, v57, -v64
	s_delay_alu instid0(VALU_DEP_1) | instskip(NEXT) | instid1(VALU_DEP_1)
	v_dual_sub_f32 v60, v62, v60 :: v_dual_fmamk_f32 v57, v57, 0xb102e308, v63
	v_add_f32_e32 v58, v58, v60
	s_delay_alu instid0(VALU_DEP_2) | instskip(NEXT) | instid1(VALU_DEP_2)
	v_add_f32_e32 v60, v64, v57
	v_add_f32_e32 v62, v61, v58
	s_delay_alu instid0(VALU_DEP_2) | instskip(NEXT) | instid1(VALU_DEP_2)
	v_sub_f32_e32 v64, v60, v64
	v_add_f32_e32 v63, v60, v62
	v_sub_f32_e32 v61, v62, v61
	s_delay_alu instid0(VALU_DEP_3) | instskip(NEXT) | instid1(VALU_DEP_2)
	v_sub_f32_e32 v57, v57, v64
	v_dual_sub_f32 v65, v63, v60 :: v_dual_sub_f32 v58, v58, v61
	s_delay_alu instid0(VALU_DEP_1) | instskip(NEXT) | instid1(VALU_DEP_2)
	v_sub_f32_e32 v66, v63, v65
	v_dual_sub_f32 v61, v62, v65 :: v_dual_add_f32 v62, v57, v58
	s_delay_alu instid0(VALU_DEP_2) | instskip(NEXT) | instid1(VALU_DEP_1)
	v_sub_f32_e32 v60, v60, v66
	v_dual_add_f32 v60, v61, v60 :: v_dual_sub_f32 v61, v62, v57
	s_delay_alu instid0(VALU_DEP_1) | instskip(NEXT) | instid1(VALU_DEP_2)
	v_add_f32_e32 v60, v62, v60
	v_sub_f32_e32 v62, v62, v61
	v_sub_f32_e32 v58, v58, v61
	s_delay_alu instid0(VALU_DEP_2) | instskip(NEXT) | instid1(VALU_DEP_1)
	v_dual_add_f32 v64, v63, v60 :: v_dual_sub_f32 v57, v57, v62
	v_sub_f32_e32 v61, v64, v63
	s_delay_alu instid0(VALU_DEP_2) | instskip(NEXT) | instid1(VALU_DEP_2)
	v_add_f32_e32 v57, v58, v57
	v_sub_f32_e32 v58, v60, v61
	s_delay_alu instid0(VALU_DEP_1) | instskip(NEXT) | instid1(VALU_DEP_1)
	v_add_f32_e32 v57, v57, v58
	v_add_f32_e32 v57, v64, v57
	s_delay_alu instid0(VALU_DEP_1) | instskip(NEXT) | instid1(VALU_DEP_1)
	v_cndmask_b32_e64 v57, v57, v59, s1
	v_add_f32_e32 v57, v56, v57
.LBB511_98:
	s_or_b32 exec_lo, exec_lo, s50
	s_delay_alu instid0(VALU_DEP_1) | instskip(SKIP_1) | instid1(VALU_DEP_2)
	v_bfe_u32 v56, v57, 16, 1
	v_cmp_o_f32_e64 s1, v57, v57
	v_add3_u32 v56, v57, v56, 0x7fff
	s_delay_alu instid0(VALU_DEP_1) | instskip(NEXT) | instid1(VALU_DEP_1)
	v_lshrrev_b32_e32 v56, 16, v56
	v_cndmask_b32_e64 v56, 0x7fc0, v56, s1
	s_delay_alu instid0(VALU_DEP_1)
	v_and_b32_e32 v57, 0xffff, v56
.LBB511_99:
	s_or_b32 exec_lo, exec_lo, s49
	s_delay_alu instid0(VALU_DEP_1)
	v_mov_b32_dpp v58, v57 row_shr:4 row_mask:0xf bank_mask:0xf
	s_mov_b32 s49, exec_lo
	v_cmpx_lt_u32_e32 3, v55
	s_cbranch_execz .LBB511_103
; %bb.100:
	v_lshlrev_b32_e32 v56, 16, v57
	s_delay_alu instid0(VALU_DEP_1) | instskip(NEXT) | instid1(VALU_DEP_1)
	v_dual_max_f32 v58, v56, v56 :: v_dual_lshlrev_b32 v57, 16, v58
	v_max_f32_e32 v59, v57, v57
	v_cmp_u_f32_e64 s1, v57, v57
	s_delay_alu instid0(VALU_DEP_2) | instskip(SKIP_1) | instid1(VALU_DEP_2)
	v_min_f32_e32 v60, v59, v58
	v_max_f32_e32 v58, v59, v58
	v_cndmask_b32_e64 v59, v60, v57, s1
	s_delay_alu instid0(VALU_DEP_2) | instskip(SKIP_1) | instid1(VALU_DEP_1)
	v_cndmask_b32_e64 v60, v58, v57, s1
	v_cmp_u_f32_e64 s1, v56, v56
	v_cndmask_b32_e64 v58, v59, v56, s1
	s_delay_alu instid0(VALU_DEP_3) | instskip(NEXT) | instid1(VALU_DEP_2)
	v_cndmask_b32_e64 v56, v60, v56, s1
	v_cmp_class_f32_e64 s50, v58, 0x1f8
	s_delay_alu instid0(VALU_DEP_2) | instskip(NEXT) | instid1(VALU_DEP_1)
	v_cmp_neq_f32_e64 s1, v58, v56
	s_or_b32 s1, s1, s50
	s_delay_alu instid0(SALU_CYCLE_1)
	s_and_saveexec_b32 s50, s1
	s_cbranch_execz .LBB511_102
; %bb.101:
	v_sub_f32_e32 v57, v58, v56
	s_delay_alu instid0(VALU_DEP_1) | instskip(SKIP_1) | instid1(VALU_DEP_2)
	v_mul_f32_e32 v58, 0x3fb8aa3b, v57
	v_cmp_ngt_f32_e64 s1, 0xc2ce8ed0, v57
	v_fma_f32 v59, 0x3fb8aa3b, v57, -v58
	v_rndne_f32_e32 v60, v58
	s_delay_alu instid0(VALU_DEP_1) | instskip(NEXT) | instid1(VALU_DEP_1)
	v_dual_fmamk_f32 v59, v57, 0x32a5705f, v59 :: v_dual_sub_f32 v58, v58, v60
	v_add_f32_e32 v58, v58, v59
	v_cvt_i32_f32_e32 v59, v60
	s_delay_alu instid0(VALU_DEP_2) | instskip(SKIP_2) | instid1(VALU_DEP_1)
	v_exp_f32_e32 v58, v58
	s_waitcnt_depctr 0xfff
	v_ldexp_f32 v58, v58, v59
	v_cndmask_b32_e64 v58, 0, v58, s1
	v_cmp_nlt_f32_e64 s1, 0x42b17218, v57
	s_delay_alu instid0(VALU_DEP_1) | instskip(NEXT) | instid1(VALU_DEP_1)
	v_cndmask_b32_e64 v59, 0x7f800000, v58, s1
	v_add_f32_e32 v60, 1.0, v59
	v_cmp_gt_f32_e64 s51, 0x33800000, |v59|
	s_delay_alu instid0(VALU_DEP_2) | instskip(NEXT) | instid1(VALU_DEP_1)
	v_cvt_f64_f32_e32 v[57:58], v60
	v_frexp_exp_i32_f64_e32 v57, v[57:58]
	v_frexp_mant_f32_e32 v58, v60
	s_delay_alu instid0(VALU_DEP_1) | instskip(SKIP_1) | instid1(VALU_DEP_1)
	v_cmp_gt_f32_e64 s1, 0x3f2aaaab, v58
	v_add_f32_e32 v58, -1.0, v60
	v_sub_f32_e32 v62, v58, v60
	v_sub_f32_e32 v58, v59, v58
	s_delay_alu instid0(VALU_DEP_4) | instskip(SKIP_1) | instid1(VALU_DEP_1)
	v_subrev_co_ci_u32_e64 v57, s1, 0, v57, s1
	s_mov_b32 s1, 0x3e9b6dac
	v_sub_nc_u32_e32 v61, 0, v57
	v_cvt_f32_i32_e32 v57, v57
	s_delay_alu instid0(VALU_DEP_2) | instskip(NEXT) | instid1(VALU_DEP_1)
	v_ldexp_f32 v60, v60, v61
	v_dual_add_f32 v63, 1.0, v60 :: v_dual_add_f32 v62, 1.0, v62
	s_delay_alu instid0(VALU_DEP_1) | instskip(NEXT) | instid1(VALU_DEP_2)
	v_add_f32_e32 v58, v58, v62
	v_add_f32_e32 v62, -1.0, v63
	s_delay_alu instid0(VALU_DEP_2) | instskip(NEXT) | instid1(VALU_DEP_2)
	v_ldexp_f32 v58, v58, v61
	v_dual_add_f32 v61, -1.0, v60 :: v_dual_sub_f32 v62, v60, v62
	s_delay_alu instid0(VALU_DEP_1) | instskip(NEXT) | instid1(VALU_DEP_2)
	v_add_f32_e32 v64, 1.0, v61
	v_add_f32_e32 v62, v58, v62
	s_delay_alu instid0(VALU_DEP_2) | instskip(NEXT) | instid1(VALU_DEP_2)
	v_sub_f32_e32 v60, v60, v64
	v_add_f32_e32 v64, v63, v62
	s_delay_alu instid0(VALU_DEP_2) | instskip(NEXT) | instid1(VALU_DEP_2)
	v_add_f32_e32 v58, v58, v60
	v_rcp_f32_e32 v60, v64
	v_sub_f32_e32 v63, v63, v64
	s_delay_alu instid0(VALU_DEP_1) | instskip(NEXT) | instid1(VALU_DEP_1)
	v_dual_add_f32 v65, v61, v58 :: v_dual_add_f32 v62, v62, v63
	v_sub_f32_e32 v61, v61, v65
	s_waitcnt_depctr 0xfff
	v_mul_f32_e32 v66, v65, v60
	s_delay_alu instid0(VALU_DEP_1) | instskip(NEXT) | instid1(VALU_DEP_1)
	v_dual_add_f32 v58, v58, v61 :: v_dual_mul_f32 v67, v64, v66
	v_fma_f32 v63, v66, v64, -v67
	s_delay_alu instid0(VALU_DEP_1) | instskip(NEXT) | instid1(VALU_DEP_1)
	v_fmac_f32_e32 v63, v66, v62
	v_add_f32_e32 v68, v67, v63
	s_delay_alu instid0(VALU_DEP_1) | instskip(SKIP_1) | instid1(VALU_DEP_2)
	v_sub_f32_e32 v69, v65, v68
	v_sub_f32_e32 v61, v68, v67
	;; [unrolled: 1-line block ×3, first 2 shown]
	s_delay_alu instid0(VALU_DEP_2) | instskip(NEXT) | instid1(VALU_DEP_2)
	v_sub_f32_e32 v61, v61, v63
	v_sub_f32_e32 v65, v65, v68
	s_delay_alu instid0(VALU_DEP_1) | instskip(NEXT) | instid1(VALU_DEP_1)
	v_add_f32_e32 v58, v58, v65
	v_add_f32_e32 v58, v61, v58
	s_delay_alu instid0(VALU_DEP_1) | instskip(NEXT) | instid1(VALU_DEP_1)
	v_add_f32_e32 v61, v69, v58
	v_mul_f32_e32 v63, v60, v61
	s_delay_alu instid0(VALU_DEP_1) | instskip(NEXT) | instid1(VALU_DEP_1)
	v_dual_sub_f32 v68, v69, v61 :: v_dual_mul_f32 v65, v64, v63
	v_add_f32_e32 v58, v58, v68
	s_delay_alu instid0(VALU_DEP_2) | instskip(NEXT) | instid1(VALU_DEP_1)
	v_fma_f32 v64, v63, v64, -v65
	v_fmac_f32_e32 v64, v63, v62
	s_delay_alu instid0(VALU_DEP_1) | instskip(NEXT) | instid1(VALU_DEP_1)
	v_add_f32_e32 v62, v65, v64
	v_sub_f32_e32 v67, v61, v62
	v_sub_f32_e32 v65, v62, v65
	s_delay_alu instid0(VALU_DEP_2) | instskip(NEXT) | instid1(VALU_DEP_1)
	v_sub_f32_e32 v61, v61, v67
	v_sub_f32_e32 v61, v61, v62
	s_delay_alu instid0(VALU_DEP_3) | instskip(NEXT) | instid1(VALU_DEP_2)
	v_sub_f32_e32 v62, v65, v64
	v_add_f32_e32 v58, v58, v61
	v_add_f32_e32 v61, v66, v63
	s_delay_alu instid0(VALU_DEP_2) | instskip(NEXT) | instid1(VALU_DEP_2)
	v_add_f32_e32 v58, v62, v58
	v_sub_f32_e32 v62, v61, v66
	s_delay_alu instid0(VALU_DEP_2) | instskip(NEXT) | instid1(VALU_DEP_2)
	v_add_f32_e32 v58, v67, v58
	v_sub_f32_e32 v62, v63, v62
	s_delay_alu instid0(VALU_DEP_2) | instskip(NEXT) | instid1(VALU_DEP_1)
	v_mul_f32_e32 v58, v60, v58
	v_add_f32_e32 v58, v62, v58
	s_delay_alu instid0(VALU_DEP_1) | instskip(NEXT) | instid1(VALU_DEP_1)
	v_add_f32_e32 v60, v61, v58
	v_mul_f32_e32 v62, v60, v60
	s_delay_alu instid0(VALU_DEP_1) | instskip(SKIP_2) | instid1(VALU_DEP_3)
	v_fmaak_f32 v63, s1, v62, 0x3ecc95a3
	v_mul_f32_e32 v64, v60, v62
	v_cmp_eq_f32_e64 s1, 0x7f800000, v59
	v_fmaak_f32 v62, v62, v63, 0x3f2aaada
	v_ldexp_f32 v63, v60, 1
	v_sub_f32_e32 v60, v60, v61
	s_delay_alu instid0(VALU_DEP_4) | instskip(NEXT) | instid1(VALU_DEP_3)
	s_or_b32 s1, s1, s51
	v_mul_f32_e32 v62, v64, v62
	v_mul_f32_e32 v64, 0x3f317218, v57
	s_delay_alu instid0(VALU_DEP_2) | instskip(NEXT) | instid1(VALU_DEP_1)
	v_dual_sub_f32 v58, v58, v60 :: v_dual_add_f32 v61, v63, v62
	v_ldexp_f32 v58, v58, 1
	s_delay_alu instid0(VALU_DEP_2) | instskip(NEXT) | instid1(VALU_DEP_4)
	v_sub_f32_e32 v60, v61, v63
	v_fma_f32 v63, 0x3f317218, v57, -v64
	s_delay_alu instid0(VALU_DEP_1) | instskip(NEXT) | instid1(VALU_DEP_1)
	v_dual_sub_f32 v60, v62, v60 :: v_dual_fmamk_f32 v57, v57, 0xb102e308, v63
	v_add_f32_e32 v58, v58, v60
	s_delay_alu instid0(VALU_DEP_2) | instskip(NEXT) | instid1(VALU_DEP_2)
	v_add_f32_e32 v60, v64, v57
	v_add_f32_e32 v62, v61, v58
	s_delay_alu instid0(VALU_DEP_2) | instskip(NEXT) | instid1(VALU_DEP_2)
	v_sub_f32_e32 v64, v60, v64
	v_add_f32_e32 v63, v60, v62
	v_sub_f32_e32 v61, v62, v61
	s_delay_alu instid0(VALU_DEP_3) | instskip(NEXT) | instid1(VALU_DEP_2)
	v_sub_f32_e32 v57, v57, v64
	v_dual_sub_f32 v65, v63, v60 :: v_dual_sub_f32 v58, v58, v61
	s_delay_alu instid0(VALU_DEP_1) | instskip(NEXT) | instid1(VALU_DEP_2)
	v_sub_f32_e32 v66, v63, v65
	v_dual_sub_f32 v61, v62, v65 :: v_dual_add_f32 v62, v57, v58
	s_delay_alu instid0(VALU_DEP_2) | instskip(NEXT) | instid1(VALU_DEP_1)
	v_sub_f32_e32 v60, v60, v66
	v_dual_add_f32 v60, v61, v60 :: v_dual_sub_f32 v61, v62, v57
	s_delay_alu instid0(VALU_DEP_1) | instskip(NEXT) | instid1(VALU_DEP_2)
	v_add_f32_e32 v60, v62, v60
	v_sub_f32_e32 v62, v62, v61
	v_sub_f32_e32 v58, v58, v61
	s_delay_alu instid0(VALU_DEP_2) | instskip(NEXT) | instid1(VALU_DEP_1)
	v_dual_add_f32 v64, v63, v60 :: v_dual_sub_f32 v57, v57, v62
	v_sub_f32_e32 v61, v64, v63
	s_delay_alu instid0(VALU_DEP_2) | instskip(NEXT) | instid1(VALU_DEP_2)
	v_add_f32_e32 v57, v58, v57
	v_sub_f32_e32 v58, v60, v61
	s_delay_alu instid0(VALU_DEP_1) | instskip(NEXT) | instid1(VALU_DEP_1)
	v_add_f32_e32 v57, v57, v58
	v_add_f32_e32 v57, v64, v57
	s_delay_alu instid0(VALU_DEP_1) | instskip(NEXT) | instid1(VALU_DEP_1)
	v_cndmask_b32_e64 v57, v57, v59, s1
	v_add_f32_e32 v57, v56, v57
.LBB511_102:
	s_or_b32 exec_lo, exec_lo, s50
	s_delay_alu instid0(VALU_DEP_1) | instskip(SKIP_1) | instid1(VALU_DEP_2)
	v_bfe_u32 v56, v57, 16, 1
	v_cmp_o_f32_e64 s1, v57, v57
	v_add3_u32 v56, v57, v56, 0x7fff
	s_delay_alu instid0(VALU_DEP_1) | instskip(NEXT) | instid1(VALU_DEP_1)
	v_lshrrev_b32_e32 v56, 16, v56
	v_cndmask_b32_e64 v56, 0x7fc0, v56, s1
	s_delay_alu instid0(VALU_DEP_1)
	v_and_b32_e32 v57, 0xffff, v56
.LBB511_103:
	s_or_b32 exec_lo, exec_lo, s49
	s_delay_alu instid0(VALU_DEP_1)
	v_mov_b32_dpp v58, v57 row_shr:8 row_mask:0xf bank_mask:0xf
	s_mov_b32 s49, exec_lo
	v_cmpx_lt_u32_e32 7, v55
	s_cbranch_execz .LBB511_107
; %bb.104:
	s_delay_alu instid0(VALU_DEP_2) | instskip(NEXT) | instid1(VALU_DEP_1)
	v_lshlrev_b32_e32 v56, 16, v58
	v_dual_max_f32 v58, v56, v56 :: v_dual_lshlrev_b32 v55, 16, v57
	s_delay_alu instid0(VALU_DEP_1) | instskip(SKIP_1) | instid1(VALU_DEP_2)
	v_max_f32_e32 v57, v55, v55
	v_cmp_u_f32_e64 s1, v56, v56
	v_min_f32_e32 v59, v58, v57
	v_max_f32_e32 v57, v58, v57
	s_delay_alu instid0(VALU_DEP_2) | instskip(NEXT) | instid1(VALU_DEP_2)
	v_cndmask_b32_e64 v58, v59, v56, s1
	v_cndmask_b32_e64 v59, v57, v56, s1
	v_cmp_u_f32_e64 s1, v55, v55
	s_delay_alu instid0(VALU_DEP_1) | instskip(NEXT) | instid1(VALU_DEP_3)
	v_cndmask_b32_e64 v57, v58, v55, s1
	v_cndmask_b32_e64 v55, v59, v55, s1
	s_delay_alu instid0(VALU_DEP_2) | instskip(NEXT) | instid1(VALU_DEP_2)
	v_cmp_class_f32_e64 s50, v57, 0x1f8
	v_cmp_neq_f32_e64 s1, v57, v55
	s_delay_alu instid0(VALU_DEP_1) | instskip(NEXT) | instid1(SALU_CYCLE_1)
	s_or_b32 s1, s1, s50
	s_and_saveexec_b32 s50, s1
	s_cbranch_execz .LBB511_106
; %bb.105:
	v_sub_f32_e32 v56, v57, v55
	s_delay_alu instid0(VALU_DEP_1) | instskip(SKIP_1) | instid1(VALU_DEP_2)
	v_mul_f32_e32 v57, 0x3fb8aa3b, v56
	v_cmp_ngt_f32_e64 s1, 0xc2ce8ed0, v56
	v_fma_f32 v58, 0x3fb8aa3b, v56, -v57
	v_rndne_f32_e32 v59, v57
	s_delay_alu instid0(VALU_DEP_1) | instskip(NEXT) | instid1(VALU_DEP_1)
	v_dual_fmamk_f32 v58, v56, 0x32a5705f, v58 :: v_dual_sub_f32 v57, v57, v59
	v_add_f32_e32 v57, v57, v58
	v_cvt_i32_f32_e32 v58, v59
	s_delay_alu instid0(VALU_DEP_2) | instskip(SKIP_2) | instid1(VALU_DEP_1)
	v_exp_f32_e32 v57, v57
	s_waitcnt_depctr 0xfff
	v_ldexp_f32 v57, v57, v58
	v_cndmask_b32_e64 v57, 0, v57, s1
	v_cmp_nlt_f32_e64 s1, 0x42b17218, v56
	s_delay_alu instid0(VALU_DEP_1) | instskip(NEXT) | instid1(VALU_DEP_1)
	v_cndmask_b32_e64 v58, 0x7f800000, v57, s1
	v_add_f32_e32 v59, 1.0, v58
	v_cmp_gt_f32_e64 s51, 0x33800000, |v58|
	s_delay_alu instid0(VALU_DEP_2) | instskip(NEXT) | instid1(VALU_DEP_1)
	v_cvt_f64_f32_e32 v[56:57], v59
	v_frexp_exp_i32_f64_e32 v56, v[56:57]
	v_frexp_mant_f32_e32 v57, v59
	s_delay_alu instid0(VALU_DEP_1) | instskip(SKIP_1) | instid1(VALU_DEP_1)
	v_cmp_gt_f32_e64 s1, 0x3f2aaaab, v57
	v_add_f32_e32 v57, -1.0, v59
	v_sub_f32_e32 v61, v57, v59
	v_sub_f32_e32 v57, v58, v57
	s_delay_alu instid0(VALU_DEP_4) | instskip(SKIP_1) | instid1(VALU_DEP_1)
	v_subrev_co_ci_u32_e64 v56, s1, 0, v56, s1
	s_mov_b32 s1, 0x3e9b6dac
	v_sub_nc_u32_e32 v60, 0, v56
	v_cvt_f32_i32_e32 v56, v56
	s_delay_alu instid0(VALU_DEP_2) | instskip(NEXT) | instid1(VALU_DEP_1)
	v_ldexp_f32 v59, v59, v60
	v_dual_add_f32 v62, 1.0, v59 :: v_dual_add_f32 v61, 1.0, v61
	s_delay_alu instid0(VALU_DEP_1) | instskip(NEXT) | instid1(VALU_DEP_2)
	v_add_f32_e32 v57, v57, v61
	v_add_f32_e32 v61, -1.0, v62
	s_delay_alu instid0(VALU_DEP_2) | instskip(NEXT) | instid1(VALU_DEP_2)
	v_ldexp_f32 v57, v57, v60
	v_dual_add_f32 v60, -1.0, v59 :: v_dual_sub_f32 v61, v59, v61
	s_delay_alu instid0(VALU_DEP_1) | instskip(NEXT) | instid1(VALU_DEP_2)
	v_add_f32_e32 v63, 1.0, v60
	v_add_f32_e32 v61, v57, v61
	s_delay_alu instid0(VALU_DEP_2) | instskip(NEXT) | instid1(VALU_DEP_2)
	v_sub_f32_e32 v59, v59, v63
	v_add_f32_e32 v63, v62, v61
	s_delay_alu instid0(VALU_DEP_2) | instskip(NEXT) | instid1(VALU_DEP_2)
	v_add_f32_e32 v57, v57, v59
	v_rcp_f32_e32 v59, v63
	v_sub_f32_e32 v62, v62, v63
	s_delay_alu instid0(VALU_DEP_1) | instskip(NEXT) | instid1(VALU_DEP_1)
	v_dual_add_f32 v64, v60, v57 :: v_dual_add_f32 v61, v61, v62
	v_sub_f32_e32 v60, v60, v64
	s_waitcnt_depctr 0xfff
	v_mul_f32_e32 v65, v64, v59
	s_delay_alu instid0(VALU_DEP_1) | instskip(NEXT) | instid1(VALU_DEP_1)
	v_dual_add_f32 v57, v57, v60 :: v_dual_mul_f32 v66, v63, v65
	v_fma_f32 v62, v65, v63, -v66
	s_delay_alu instid0(VALU_DEP_1) | instskip(NEXT) | instid1(VALU_DEP_1)
	v_fmac_f32_e32 v62, v65, v61
	v_add_f32_e32 v67, v66, v62
	s_delay_alu instid0(VALU_DEP_1) | instskip(SKIP_1) | instid1(VALU_DEP_2)
	v_sub_f32_e32 v68, v64, v67
	v_sub_f32_e32 v60, v67, v66
	;; [unrolled: 1-line block ×3, first 2 shown]
	s_delay_alu instid0(VALU_DEP_2) | instskip(NEXT) | instid1(VALU_DEP_2)
	v_sub_f32_e32 v60, v60, v62
	v_sub_f32_e32 v64, v64, v67
	s_delay_alu instid0(VALU_DEP_1) | instskip(NEXT) | instid1(VALU_DEP_1)
	v_add_f32_e32 v57, v57, v64
	v_add_f32_e32 v57, v60, v57
	s_delay_alu instid0(VALU_DEP_1) | instskip(NEXT) | instid1(VALU_DEP_1)
	v_add_f32_e32 v60, v68, v57
	v_mul_f32_e32 v62, v59, v60
	s_delay_alu instid0(VALU_DEP_1) | instskip(NEXT) | instid1(VALU_DEP_1)
	v_dual_sub_f32 v67, v68, v60 :: v_dual_mul_f32 v64, v63, v62
	v_add_f32_e32 v57, v57, v67
	s_delay_alu instid0(VALU_DEP_2) | instskip(NEXT) | instid1(VALU_DEP_1)
	v_fma_f32 v63, v62, v63, -v64
	v_fmac_f32_e32 v63, v62, v61
	s_delay_alu instid0(VALU_DEP_1) | instskip(NEXT) | instid1(VALU_DEP_1)
	v_add_f32_e32 v61, v64, v63
	v_sub_f32_e32 v66, v60, v61
	v_sub_f32_e32 v64, v61, v64
	s_delay_alu instid0(VALU_DEP_2) | instskip(NEXT) | instid1(VALU_DEP_1)
	v_sub_f32_e32 v60, v60, v66
	v_sub_f32_e32 v60, v60, v61
	s_delay_alu instid0(VALU_DEP_3) | instskip(NEXT) | instid1(VALU_DEP_2)
	v_sub_f32_e32 v61, v64, v63
	v_add_f32_e32 v57, v57, v60
	v_add_f32_e32 v60, v65, v62
	s_delay_alu instid0(VALU_DEP_2) | instskip(NEXT) | instid1(VALU_DEP_2)
	v_add_f32_e32 v57, v61, v57
	v_sub_f32_e32 v61, v60, v65
	s_delay_alu instid0(VALU_DEP_2) | instskip(NEXT) | instid1(VALU_DEP_2)
	v_add_f32_e32 v57, v66, v57
	v_sub_f32_e32 v61, v62, v61
	s_delay_alu instid0(VALU_DEP_2) | instskip(NEXT) | instid1(VALU_DEP_1)
	v_mul_f32_e32 v57, v59, v57
	v_add_f32_e32 v57, v61, v57
	s_delay_alu instid0(VALU_DEP_1) | instskip(NEXT) | instid1(VALU_DEP_1)
	v_add_f32_e32 v59, v60, v57
	v_mul_f32_e32 v61, v59, v59
	s_delay_alu instid0(VALU_DEP_1) | instskip(SKIP_2) | instid1(VALU_DEP_3)
	v_fmaak_f32 v62, s1, v61, 0x3ecc95a3
	v_mul_f32_e32 v63, v59, v61
	v_cmp_eq_f32_e64 s1, 0x7f800000, v58
	v_fmaak_f32 v61, v61, v62, 0x3f2aaada
	v_ldexp_f32 v62, v59, 1
	v_sub_f32_e32 v59, v59, v60
	s_delay_alu instid0(VALU_DEP_4) | instskip(NEXT) | instid1(VALU_DEP_3)
	s_or_b32 s1, s1, s51
	v_mul_f32_e32 v61, v63, v61
	v_mul_f32_e32 v63, 0x3f317218, v56
	s_delay_alu instid0(VALU_DEP_2) | instskip(NEXT) | instid1(VALU_DEP_1)
	v_dual_sub_f32 v57, v57, v59 :: v_dual_add_f32 v60, v62, v61
	v_ldexp_f32 v57, v57, 1
	s_delay_alu instid0(VALU_DEP_2) | instskip(NEXT) | instid1(VALU_DEP_4)
	v_sub_f32_e32 v59, v60, v62
	v_fma_f32 v62, 0x3f317218, v56, -v63
	s_delay_alu instid0(VALU_DEP_1) | instskip(NEXT) | instid1(VALU_DEP_1)
	v_dual_sub_f32 v59, v61, v59 :: v_dual_fmamk_f32 v56, v56, 0xb102e308, v62
	v_add_f32_e32 v57, v57, v59
	s_delay_alu instid0(VALU_DEP_2) | instskip(NEXT) | instid1(VALU_DEP_2)
	v_add_f32_e32 v59, v63, v56
	v_add_f32_e32 v61, v60, v57
	s_delay_alu instid0(VALU_DEP_2) | instskip(NEXT) | instid1(VALU_DEP_2)
	v_sub_f32_e32 v63, v59, v63
	v_add_f32_e32 v62, v59, v61
	v_sub_f32_e32 v60, v61, v60
	s_delay_alu instid0(VALU_DEP_3) | instskip(NEXT) | instid1(VALU_DEP_2)
	v_sub_f32_e32 v56, v56, v63
	v_dual_sub_f32 v64, v62, v59 :: v_dual_sub_f32 v57, v57, v60
	s_delay_alu instid0(VALU_DEP_1) | instskip(NEXT) | instid1(VALU_DEP_2)
	v_sub_f32_e32 v65, v62, v64
	v_dual_sub_f32 v60, v61, v64 :: v_dual_add_f32 v61, v56, v57
	s_delay_alu instid0(VALU_DEP_2) | instskip(NEXT) | instid1(VALU_DEP_1)
	v_sub_f32_e32 v59, v59, v65
	v_dual_add_f32 v59, v60, v59 :: v_dual_sub_f32 v60, v61, v56
	s_delay_alu instid0(VALU_DEP_1) | instskip(NEXT) | instid1(VALU_DEP_2)
	v_add_f32_e32 v59, v61, v59
	v_sub_f32_e32 v61, v61, v60
	v_sub_f32_e32 v57, v57, v60
	s_delay_alu instid0(VALU_DEP_2) | instskip(NEXT) | instid1(VALU_DEP_1)
	v_dual_add_f32 v63, v62, v59 :: v_dual_sub_f32 v56, v56, v61
	v_sub_f32_e32 v60, v63, v62
	s_delay_alu instid0(VALU_DEP_2) | instskip(NEXT) | instid1(VALU_DEP_2)
	v_add_f32_e32 v56, v57, v56
	v_sub_f32_e32 v57, v59, v60
	s_delay_alu instid0(VALU_DEP_1) | instskip(NEXT) | instid1(VALU_DEP_1)
	v_add_f32_e32 v56, v56, v57
	v_add_f32_e32 v56, v63, v56
	s_delay_alu instid0(VALU_DEP_1) | instskip(NEXT) | instid1(VALU_DEP_1)
	v_cndmask_b32_e64 v56, v56, v58, s1
	v_add_f32_e32 v56, v55, v56
.LBB511_106:
	s_or_b32 exec_lo, exec_lo, s50
	s_delay_alu instid0(VALU_DEP_1) | instskip(SKIP_1) | instid1(VALU_DEP_2)
	v_bfe_u32 v55, v56, 16, 1
	v_cmp_o_f32_e64 s1, v56, v56
	v_add3_u32 v55, v56, v55, 0x7fff
	s_delay_alu instid0(VALU_DEP_1) | instskip(NEXT) | instid1(VALU_DEP_1)
	v_lshrrev_b32_e32 v55, 16, v55
	v_cndmask_b32_e64 v56, 0x7fc0, v55, s1
	s_delay_alu instid0(VALU_DEP_1)
	v_and_b32_e32 v57, 0xffff, v56
.LBB511_107:
	s_or_b32 exec_lo, exec_lo, s49
	ds_swizzle_b32 v55, v57 offset:swizzle(BROADCAST,32,15)
	v_and_b32_e32 v58, 16, v54
	s_mov_b32 s49, exec_lo
	s_delay_alu instid0(VALU_DEP_1)
	v_cmpx_ne_u32_e32 0, v58
	s_cbranch_execz .LBB511_111
; %bb.108:
	s_waitcnt lgkmcnt(0)
	v_lshlrev_b32_e32 v56, 16, v55
	s_delay_alu instid0(VALU_DEP_1) | instskip(NEXT) | instid1(VALU_DEP_1)
	v_dual_max_f32 v57, v56, v56 :: v_dual_lshlrev_b32 v58, 16, v57
	v_max_f32_e32 v55, v58, v58
	v_cmp_u_f32_e64 s1, v56, v56
	s_delay_alu instid0(VALU_DEP_2) | instskip(SKIP_1) | instid1(VALU_DEP_2)
	v_min_f32_e32 v59, v57, v55
	v_max_f32_e32 v55, v57, v55
	v_cndmask_b32_e64 v57, v59, v56, s1
	s_delay_alu instid0(VALU_DEP_2) | instskip(SKIP_1) | instid1(VALU_DEP_1)
	v_cndmask_b32_e64 v55, v55, v56, s1
	v_cmp_u_f32_e64 s1, v58, v58
	v_cndmask_b32_e64 v57, v57, v58, s1
	s_delay_alu instid0(VALU_DEP_3) | instskip(NEXT) | instid1(VALU_DEP_2)
	v_cndmask_b32_e64 v55, v55, v58, s1
	v_cmp_class_f32_e64 s50, v57, 0x1f8
	s_delay_alu instid0(VALU_DEP_2) | instskip(NEXT) | instid1(VALU_DEP_1)
	v_cmp_neq_f32_e64 s1, v57, v55
	s_or_b32 s1, s1, s50
	s_delay_alu instid0(SALU_CYCLE_1)
	s_and_saveexec_b32 s50, s1
	s_cbranch_execz .LBB511_110
; %bb.109:
	v_sub_f32_e32 v56, v57, v55
	s_delay_alu instid0(VALU_DEP_1) | instskip(SKIP_1) | instid1(VALU_DEP_2)
	v_mul_f32_e32 v57, 0x3fb8aa3b, v56
	v_cmp_ngt_f32_e64 s1, 0xc2ce8ed0, v56
	v_fma_f32 v58, 0x3fb8aa3b, v56, -v57
	v_rndne_f32_e32 v59, v57
	s_delay_alu instid0(VALU_DEP_1) | instskip(NEXT) | instid1(VALU_DEP_1)
	v_dual_fmamk_f32 v58, v56, 0x32a5705f, v58 :: v_dual_sub_f32 v57, v57, v59
	v_add_f32_e32 v57, v57, v58
	v_cvt_i32_f32_e32 v58, v59
	s_delay_alu instid0(VALU_DEP_2) | instskip(SKIP_2) | instid1(VALU_DEP_1)
	v_exp_f32_e32 v57, v57
	s_waitcnt_depctr 0xfff
	v_ldexp_f32 v57, v57, v58
	v_cndmask_b32_e64 v57, 0, v57, s1
	v_cmp_nlt_f32_e64 s1, 0x42b17218, v56
	s_delay_alu instid0(VALU_DEP_1) | instskip(NEXT) | instid1(VALU_DEP_1)
	v_cndmask_b32_e64 v58, 0x7f800000, v57, s1
	v_add_f32_e32 v59, 1.0, v58
	v_cmp_gt_f32_e64 s51, 0x33800000, |v58|
	s_delay_alu instid0(VALU_DEP_2) | instskip(NEXT) | instid1(VALU_DEP_1)
	v_cvt_f64_f32_e32 v[56:57], v59
	v_frexp_exp_i32_f64_e32 v56, v[56:57]
	v_frexp_mant_f32_e32 v57, v59
	s_delay_alu instid0(VALU_DEP_1) | instskip(SKIP_1) | instid1(VALU_DEP_1)
	v_cmp_gt_f32_e64 s1, 0x3f2aaaab, v57
	v_add_f32_e32 v57, -1.0, v59
	v_sub_f32_e32 v61, v57, v59
	v_sub_f32_e32 v57, v58, v57
	s_delay_alu instid0(VALU_DEP_4) | instskip(SKIP_1) | instid1(VALU_DEP_1)
	v_subrev_co_ci_u32_e64 v56, s1, 0, v56, s1
	s_mov_b32 s1, 0x3e9b6dac
	v_sub_nc_u32_e32 v60, 0, v56
	v_cvt_f32_i32_e32 v56, v56
	s_delay_alu instid0(VALU_DEP_2) | instskip(NEXT) | instid1(VALU_DEP_1)
	v_ldexp_f32 v59, v59, v60
	v_dual_add_f32 v62, 1.0, v59 :: v_dual_add_f32 v61, 1.0, v61
	s_delay_alu instid0(VALU_DEP_1) | instskip(NEXT) | instid1(VALU_DEP_2)
	v_add_f32_e32 v57, v57, v61
	v_add_f32_e32 v61, -1.0, v62
	s_delay_alu instid0(VALU_DEP_2) | instskip(NEXT) | instid1(VALU_DEP_2)
	v_ldexp_f32 v57, v57, v60
	v_dual_add_f32 v60, -1.0, v59 :: v_dual_sub_f32 v61, v59, v61
	s_delay_alu instid0(VALU_DEP_1) | instskip(NEXT) | instid1(VALU_DEP_2)
	v_add_f32_e32 v63, 1.0, v60
	v_add_f32_e32 v61, v57, v61
	s_delay_alu instid0(VALU_DEP_2) | instskip(NEXT) | instid1(VALU_DEP_2)
	v_sub_f32_e32 v59, v59, v63
	v_add_f32_e32 v63, v62, v61
	s_delay_alu instid0(VALU_DEP_2) | instskip(NEXT) | instid1(VALU_DEP_2)
	v_add_f32_e32 v57, v57, v59
	v_rcp_f32_e32 v59, v63
	v_sub_f32_e32 v62, v62, v63
	s_delay_alu instid0(VALU_DEP_1) | instskip(NEXT) | instid1(VALU_DEP_1)
	v_dual_add_f32 v64, v60, v57 :: v_dual_add_f32 v61, v61, v62
	v_sub_f32_e32 v60, v60, v64
	s_waitcnt_depctr 0xfff
	v_mul_f32_e32 v65, v64, v59
	s_delay_alu instid0(VALU_DEP_1) | instskip(NEXT) | instid1(VALU_DEP_1)
	v_dual_add_f32 v57, v57, v60 :: v_dual_mul_f32 v66, v63, v65
	v_fma_f32 v62, v65, v63, -v66
	s_delay_alu instid0(VALU_DEP_1) | instskip(NEXT) | instid1(VALU_DEP_1)
	v_fmac_f32_e32 v62, v65, v61
	v_add_f32_e32 v67, v66, v62
	s_delay_alu instid0(VALU_DEP_1) | instskip(SKIP_1) | instid1(VALU_DEP_2)
	v_sub_f32_e32 v68, v64, v67
	v_sub_f32_e32 v60, v67, v66
	;; [unrolled: 1-line block ×3, first 2 shown]
	s_delay_alu instid0(VALU_DEP_2) | instskip(NEXT) | instid1(VALU_DEP_2)
	v_sub_f32_e32 v60, v60, v62
	v_sub_f32_e32 v64, v64, v67
	s_delay_alu instid0(VALU_DEP_1) | instskip(NEXT) | instid1(VALU_DEP_1)
	v_add_f32_e32 v57, v57, v64
	v_add_f32_e32 v57, v60, v57
	s_delay_alu instid0(VALU_DEP_1) | instskip(NEXT) | instid1(VALU_DEP_1)
	v_add_f32_e32 v60, v68, v57
	v_mul_f32_e32 v62, v59, v60
	s_delay_alu instid0(VALU_DEP_1) | instskip(NEXT) | instid1(VALU_DEP_1)
	v_dual_sub_f32 v67, v68, v60 :: v_dual_mul_f32 v64, v63, v62
	v_add_f32_e32 v57, v57, v67
	s_delay_alu instid0(VALU_DEP_2) | instskip(NEXT) | instid1(VALU_DEP_1)
	v_fma_f32 v63, v62, v63, -v64
	v_fmac_f32_e32 v63, v62, v61
	s_delay_alu instid0(VALU_DEP_1) | instskip(NEXT) | instid1(VALU_DEP_1)
	v_add_f32_e32 v61, v64, v63
	v_sub_f32_e32 v66, v60, v61
	v_sub_f32_e32 v64, v61, v64
	s_delay_alu instid0(VALU_DEP_2) | instskip(NEXT) | instid1(VALU_DEP_1)
	v_sub_f32_e32 v60, v60, v66
	v_sub_f32_e32 v60, v60, v61
	s_delay_alu instid0(VALU_DEP_3) | instskip(NEXT) | instid1(VALU_DEP_2)
	v_sub_f32_e32 v61, v64, v63
	v_add_f32_e32 v57, v57, v60
	v_add_f32_e32 v60, v65, v62
	s_delay_alu instid0(VALU_DEP_2) | instskip(NEXT) | instid1(VALU_DEP_2)
	v_add_f32_e32 v57, v61, v57
	v_sub_f32_e32 v61, v60, v65
	s_delay_alu instid0(VALU_DEP_2) | instskip(NEXT) | instid1(VALU_DEP_2)
	v_add_f32_e32 v57, v66, v57
	v_sub_f32_e32 v61, v62, v61
	s_delay_alu instid0(VALU_DEP_2) | instskip(NEXT) | instid1(VALU_DEP_1)
	v_mul_f32_e32 v57, v59, v57
	v_add_f32_e32 v57, v61, v57
	s_delay_alu instid0(VALU_DEP_1) | instskip(NEXT) | instid1(VALU_DEP_1)
	v_add_f32_e32 v59, v60, v57
	v_mul_f32_e32 v61, v59, v59
	s_delay_alu instid0(VALU_DEP_1) | instskip(SKIP_2) | instid1(VALU_DEP_3)
	v_fmaak_f32 v62, s1, v61, 0x3ecc95a3
	v_mul_f32_e32 v63, v59, v61
	v_cmp_eq_f32_e64 s1, 0x7f800000, v58
	v_fmaak_f32 v61, v61, v62, 0x3f2aaada
	v_ldexp_f32 v62, v59, 1
	v_sub_f32_e32 v59, v59, v60
	s_delay_alu instid0(VALU_DEP_4) | instskip(NEXT) | instid1(VALU_DEP_3)
	s_or_b32 s1, s1, s51
	v_mul_f32_e32 v61, v63, v61
	v_mul_f32_e32 v63, 0x3f317218, v56
	s_delay_alu instid0(VALU_DEP_2) | instskip(NEXT) | instid1(VALU_DEP_1)
	v_dual_sub_f32 v57, v57, v59 :: v_dual_add_f32 v60, v62, v61
	v_ldexp_f32 v57, v57, 1
	s_delay_alu instid0(VALU_DEP_2) | instskip(NEXT) | instid1(VALU_DEP_4)
	v_sub_f32_e32 v59, v60, v62
	v_fma_f32 v62, 0x3f317218, v56, -v63
	s_delay_alu instid0(VALU_DEP_1) | instskip(NEXT) | instid1(VALU_DEP_1)
	v_dual_sub_f32 v59, v61, v59 :: v_dual_fmamk_f32 v56, v56, 0xb102e308, v62
	v_add_f32_e32 v57, v57, v59
	s_delay_alu instid0(VALU_DEP_2) | instskip(NEXT) | instid1(VALU_DEP_2)
	v_add_f32_e32 v59, v63, v56
	v_add_f32_e32 v61, v60, v57
	s_delay_alu instid0(VALU_DEP_2) | instskip(NEXT) | instid1(VALU_DEP_2)
	v_sub_f32_e32 v63, v59, v63
	v_add_f32_e32 v62, v59, v61
	v_sub_f32_e32 v60, v61, v60
	s_delay_alu instid0(VALU_DEP_3) | instskip(NEXT) | instid1(VALU_DEP_2)
	v_sub_f32_e32 v56, v56, v63
	v_dual_sub_f32 v64, v62, v59 :: v_dual_sub_f32 v57, v57, v60
	s_delay_alu instid0(VALU_DEP_1) | instskip(NEXT) | instid1(VALU_DEP_2)
	v_sub_f32_e32 v65, v62, v64
	v_dual_sub_f32 v60, v61, v64 :: v_dual_add_f32 v61, v56, v57
	s_delay_alu instid0(VALU_DEP_2) | instskip(NEXT) | instid1(VALU_DEP_1)
	v_sub_f32_e32 v59, v59, v65
	v_dual_add_f32 v59, v60, v59 :: v_dual_sub_f32 v60, v61, v56
	s_delay_alu instid0(VALU_DEP_1) | instskip(NEXT) | instid1(VALU_DEP_2)
	v_add_f32_e32 v59, v61, v59
	v_sub_f32_e32 v61, v61, v60
	v_sub_f32_e32 v57, v57, v60
	s_delay_alu instid0(VALU_DEP_2) | instskip(NEXT) | instid1(VALU_DEP_1)
	v_dual_add_f32 v63, v62, v59 :: v_dual_sub_f32 v56, v56, v61
	v_sub_f32_e32 v60, v63, v62
	s_delay_alu instid0(VALU_DEP_2) | instskip(NEXT) | instid1(VALU_DEP_2)
	v_add_f32_e32 v56, v57, v56
	v_sub_f32_e32 v57, v59, v60
	s_delay_alu instid0(VALU_DEP_1) | instskip(NEXT) | instid1(VALU_DEP_1)
	v_add_f32_e32 v56, v56, v57
	v_add_f32_e32 v56, v63, v56
	s_delay_alu instid0(VALU_DEP_1) | instskip(NEXT) | instid1(VALU_DEP_1)
	v_cndmask_b32_e64 v56, v56, v58, s1
	v_add_f32_e32 v56, v55, v56
.LBB511_110:
	s_or_b32 exec_lo, exec_lo, s50
	s_delay_alu instid0(VALU_DEP_1) | instskip(SKIP_1) | instid1(VALU_DEP_2)
	v_bfe_u32 v55, v56, 16, 1
	v_cmp_o_f32_e64 s1, v56, v56
	v_add3_u32 v55, v56, v55, 0x7fff
	s_delay_alu instid0(VALU_DEP_1) | instskip(NEXT) | instid1(VALU_DEP_1)
	v_lshrrev_b32_e32 v55, 16, v55
	v_cndmask_b32_e64 v56, 0x7fc0, v55, s1
.LBB511_111:
	s_or_b32 exec_lo, exec_lo, s49
	s_waitcnt lgkmcnt(0)
	v_add_nc_u32_e32 v55, -1, v54
	s_delay_alu instid0(VALU_DEP_1) | instskip(NEXT) | instid1(VALU_DEP_1)
	v_cmp_gt_i32_e64 s1, 0, v55
	v_cndmask_b32_e64 v54, v55, v54, s1
	v_and_b32_e32 v55, 0xffff, v56
	s_delay_alu instid0(VALU_DEP_2) | instskip(SKIP_3) | instid1(VALU_DEP_1)
	v_lshlrev_b32_e32 v54, 2, v54
	ds_bpermute_b32 v54, v54, v55
	s_waitcnt lgkmcnt(0)
	v_lshlrev_b32_e32 v54, 16, v54
	v_max_f32_e32 v55, v54, v54
	v_cmp_u_f32_e64 s1, v54, v54
	s_delay_alu instid0(VALU_DEP_2) | instskip(SKIP_1) | instid1(VALU_DEP_2)
	v_min_f32_e32 v56, v55, v53
	v_max_f32_e32 v53, v55, v53
	v_cndmask_b32_e64 v55, v56, v54, s1
	s_delay_alu instid0(VALU_DEP_2) | instskip(NEXT) | instid1(VALU_DEP_2)
	v_cndmask_b32_e64 v56, v53, v54, s1
	v_cndmask_b32_e64 v53, v55, v52, s0
	s_delay_alu instid0(VALU_DEP_2) | instskip(NEXT) | instid1(VALU_DEP_2)
	v_cndmask_b32_e64 v52, v56, v52, s0
	v_cmp_class_f32_e64 s1, v53, 0x1f8
	s_delay_alu instid0(VALU_DEP_2) | instskip(NEXT) | instid1(VALU_DEP_1)
	v_cmp_neq_f32_e64 s0, v53, v52
	s_or_b32 s0, s0, s1
	s_delay_alu instid0(SALU_CYCLE_1)
	s_and_saveexec_b32 s1, s0
	s_cbranch_execz .LBB511_113
; %bb.112:
	v_sub_f32_e32 v53, v53, v52
	s_delay_alu instid0(VALU_DEP_1) | instskip(NEXT) | instid1(VALU_DEP_1)
	v_mul_f32_e32 v54, 0x3fb8aa3b, v53
	v_fma_f32 v55, 0x3fb8aa3b, v53, -v54
	v_rndne_f32_e32 v56, v54
	s_delay_alu instid0(VALU_DEP_1) | instskip(NEXT) | instid1(VALU_DEP_1)
	v_dual_fmamk_f32 v55, v53, 0x32a5705f, v55 :: v_dual_sub_f32 v54, v54, v56
	v_add_f32_e32 v54, v54, v55
	v_cvt_i32_f32_e32 v55, v56
	v_cmp_ngt_f32_e64 s0, 0xc2ce8ed0, v53
	s_delay_alu instid0(VALU_DEP_3) | instskip(SKIP_2) | instid1(VALU_DEP_1)
	v_exp_f32_e32 v54, v54
	s_waitcnt_depctr 0xfff
	v_ldexp_f32 v54, v54, v55
	v_cndmask_b32_e64 v54, 0, v54, s0
	v_cmp_nlt_f32_e64 s0, 0x42b17218, v53
	s_delay_alu instid0(VALU_DEP_1) | instskip(NEXT) | instid1(VALU_DEP_1)
	v_cndmask_b32_e64 v55, 0x7f800000, v54, s0
	v_add_f32_e32 v56, 1.0, v55
	v_cmp_gt_f32_e64 s49, 0x33800000, |v55|
	s_delay_alu instid0(VALU_DEP_2) | instskip(NEXT) | instid1(VALU_DEP_1)
	v_cvt_f64_f32_e32 v[53:54], v56
	v_frexp_exp_i32_f64_e32 v53, v[53:54]
	v_frexp_mant_f32_e32 v54, v56
	s_delay_alu instid0(VALU_DEP_1) | instskip(SKIP_1) | instid1(VALU_DEP_1)
	v_cmp_gt_f32_e64 s0, 0x3f2aaaab, v54
	v_add_f32_e32 v54, -1.0, v56
	v_sub_f32_e32 v58, v54, v56
	s_delay_alu instid0(VALU_DEP_3) | instskip(SKIP_1) | instid1(VALU_DEP_1)
	v_subrev_co_ci_u32_e64 v53, s0, 0, v53, s0
	s_mov_b32 s0, 0x3e9b6dac
	v_sub_nc_u32_e32 v57, 0, v53
	v_cvt_f32_i32_e32 v53, v53
	s_delay_alu instid0(VALU_DEP_2) | instskip(NEXT) | instid1(VALU_DEP_1)
	v_ldexp_f32 v56, v56, v57
	v_dual_sub_f32 v54, v55, v54 :: v_dual_add_f32 v59, 1.0, v56
	v_add_f32_e32 v58, 1.0, v58
	s_delay_alu instid0(VALU_DEP_1) | instskip(NEXT) | instid1(VALU_DEP_3)
	v_add_f32_e32 v54, v54, v58
	v_add_f32_e32 v58, -1.0, v59
	s_delay_alu instid0(VALU_DEP_2) | instskip(NEXT) | instid1(VALU_DEP_2)
	v_ldexp_f32 v54, v54, v57
	v_dual_add_f32 v57, -1.0, v56 :: v_dual_sub_f32 v58, v56, v58
	s_delay_alu instid0(VALU_DEP_1) | instskip(NEXT) | instid1(VALU_DEP_2)
	v_add_f32_e32 v60, 1.0, v57
	v_add_f32_e32 v58, v54, v58
	s_delay_alu instid0(VALU_DEP_2) | instskip(NEXT) | instid1(VALU_DEP_2)
	v_sub_f32_e32 v56, v56, v60
	v_add_f32_e32 v60, v59, v58
	s_delay_alu instid0(VALU_DEP_2) | instskip(NEXT) | instid1(VALU_DEP_2)
	v_add_f32_e32 v54, v54, v56
	v_rcp_f32_e32 v56, v60
	v_sub_f32_e32 v59, v59, v60
	s_delay_alu instid0(VALU_DEP_1) | instskip(NEXT) | instid1(VALU_DEP_1)
	v_dual_add_f32 v61, v57, v54 :: v_dual_add_f32 v58, v58, v59
	v_sub_f32_e32 v57, v57, v61
	s_waitcnt_depctr 0xfff
	v_mul_f32_e32 v62, v61, v56
	s_delay_alu instid0(VALU_DEP_1) | instskip(NEXT) | instid1(VALU_DEP_1)
	v_dual_add_f32 v54, v54, v57 :: v_dual_mul_f32 v63, v60, v62
	v_fma_f32 v59, v62, v60, -v63
	s_delay_alu instid0(VALU_DEP_1) | instskip(NEXT) | instid1(VALU_DEP_1)
	v_fmac_f32_e32 v59, v62, v58
	v_add_f32_e32 v64, v63, v59
	s_delay_alu instid0(VALU_DEP_1) | instskip(SKIP_1) | instid1(VALU_DEP_2)
	v_sub_f32_e32 v65, v61, v64
	v_sub_f32_e32 v57, v64, v63
	v_sub_f32_e32 v61, v61, v65
	s_delay_alu instid0(VALU_DEP_2) | instskip(NEXT) | instid1(VALU_DEP_2)
	v_sub_f32_e32 v57, v57, v59
	v_sub_f32_e32 v61, v61, v64
	s_delay_alu instid0(VALU_DEP_1) | instskip(NEXT) | instid1(VALU_DEP_1)
	v_add_f32_e32 v54, v54, v61
	v_add_f32_e32 v54, v57, v54
	s_delay_alu instid0(VALU_DEP_1) | instskip(NEXT) | instid1(VALU_DEP_1)
	v_add_f32_e32 v57, v65, v54
	v_mul_f32_e32 v59, v56, v57
	s_delay_alu instid0(VALU_DEP_1) | instskip(NEXT) | instid1(VALU_DEP_1)
	v_dual_sub_f32 v64, v65, v57 :: v_dual_mul_f32 v61, v60, v59
	v_add_f32_e32 v54, v54, v64
	s_delay_alu instid0(VALU_DEP_2) | instskip(NEXT) | instid1(VALU_DEP_1)
	v_fma_f32 v60, v59, v60, -v61
	v_fmac_f32_e32 v60, v59, v58
	s_delay_alu instid0(VALU_DEP_1) | instskip(NEXT) | instid1(VALU_DEP_1)
	v_add_f32_e32 v58, v61, v60
	v_sub_f32_e32 v63, v57, v58
	v_sub_f32_e32 v61, v58, v61
	s_delay_alu instid0(VALU_DEP_2) | instskip(NEXT) | instid1(VALU_DEP_1)
	v_sub_f32_e32 v57, v57, v63
	v_sub_f32_e32 v57, v57, v58
	s_delay_alu instid0(VALU_DEP_3) | instskip(NEXT) | instid1(VALU_DEP_2)
	v_sub_f32_e32 v58, v61, v60
	v_add_f32_e32 v54, v54, v57
	v_add_f32_e32 v57, v62, v59
	s_delay_alu instid0(VALU_DEP_2) | instskip(NEXT) | instid1(VALU_DEP_2)
	v_add_f32_e32 v54, v58, v54
	v_sub_f32_e32 v58, v57, v62
	s_delay_alu instid0(VALU_DEP_2) | instskip(NEXT) | instid1(VALU_DEP_2)
	v_add_f32_e32 v54, v63, v54
	v_sub_f32_e32 v58, v59, v58
	s_delay_alu instid0(VALU_DEP_2) | instskip(NEXT) | instid1(VALU_DEP_1)
	v_mul_f32_e32 v54, v56, v54
	v_add_f32_e32 v54, v58, v54
	s_delay_alu instid0(VALU_DEP_1) | instskip(NEXT) | instid1(VALU_DEP_1)
	v_add_f32_e32 v56, v57, v54
	v_mul_f32_e32 v58, v56, v56
	s_delay_alu instid0(VALU_DEP_1) | instskip(SKIP_2) | instid1(VALU_DEP_3)
	v_fmaak_f32 v59, s0, v58, 0x3ecc95a3
	v_mul_f32_e32 v60, v56, v58
	v_cmp_eq_f32_e64 s0, 0x7f800000, v55
	v_fmaak_f32 v58, v58, v59, 0x3f2aaada
	v_ldexp_f32 v59, v56, 1
	v_sub_f32_e32 v56, v56, v57
	s_delay_alu instid0(VALU_DEP_4) | instskip(NEXT) | instid1(VALU_DEP_3)
	s_or_b32 s0, s0, s49
	v_mul_f32_e32 v58, v60, v58
	v_mul_f32_e32 v60, 0x3f317218, v53
	s_delay_alu instid0(VALU_DEP_2) | instskip(NEXT) | instid1(VALU_DEP_1)
	v_dual_sub_f32 v54, v54, v56 :: v_dual_add_f32 v57, v59, v58
	v_ldexp_f32 v54, v54, 1
	s_delay_alu instid0(VALU_DEP_2) | instskip(NEXT) | instid1(VALU_DEP_4)
	v_sub_f32_e32 v56, v57, v59
	v_fma_f32 v59, 0x3f317218, v53, -v60
	s_delay_alu instid0(VALU_DEP_1) | instskip(NEXT) | instid1(VALU_DEP_1)
	v_dual_sub_f32 v56, v58, v56 :: v_dual_fmamk_f32 v53, v53, 0xb102e308, v59
	v_add_f32_e32 v54, v54, v56
	s_delay_alu instid0(VALU_DEP_2) | instskip(NEXT) | instid1(VALU_DEP_2)
	v_add_f32_e32 v56, v60, v53
	v_add_f32_e32 v58, v57, v54
	s_delay_alu instid0(VALU_DEP_2) | instskip(NEXT) | instid1(VALU_DEP_2)
	v_sub_f32_e32 v60, v56, v60
	v_add_f32_e32 v59, v56, v58
	v_sub_f32_e32 v57, v58, v57
	s_delay_alu instid0(VALU_DEP_3) | instskip(NEXT) | instid1(VALU_DEP_2)
	v_sub_f32_e32 v53, v53, v60
	v_dual_sub_f32 v61, v59, v56 :: v_dual_sub_f32 v54, v54, v57
	s_delay_alu instid0(VALU_DEP_1) | instskip(NEXT) | instid1(VALU_DEP_2)
	v_sub_f32_e32 v62, v59, v61
	v_dual_sub_f32 v57, v58, v61 :: v_dual_add_f32 v58, v53, v54
	s_delay_alu instid0(VALU_DEP_2) | instskip(NEXT) | instid1(VALU_DEP_1)
	v_sub_f32_e32 v56, v56, v62
	v_dual_add_f32 v56, v57, v56 :: v_dual_sub_f32 v57, v58, v53
	s_delay_alu instid0(VALU_DEP_1) | instskip(NEXT) | instid1(VALU_DEP_2)
	v_add_f32_e32 v56, v58, v56
	v_sub_f32_e32 v58, v58, v57
	v_sub_f32_e32 v54, v54, v57
	s_delay_alu instid0(VALU_DEP_2) | instskip(NEXT) | instid1(VALU_DEP_1)
	v_dual_add_f32 v60, v59, v56 :: v_dual_sub_f32 v53, v53, v58
	v_sub_f32_e32 v57, v60, v59
	s_delay_alu instid0(VALU_DEP_2) | instskip(NEXT) | instid1(VALU_DEP_2)
	v_add_f32_e32 v53, v54, v53
	v_sub_f32_e32 v54, v56, v57
	s_delay_alu instid0(VALU_DEP_1) | instskip(NEXT) | instid1(VALU_DEP_1)
	v_add_f32_e32 v53, v53, v54
	v_add_f32_e32 v53, v60, v53
	s_delay_alu instid0(VALU_DEP_1) | instskip(NEXT) | instid1(VALU_DEP_1)
	v_cndmask_b32_e64 v53, v53, v55, s0
	v_add_f32_e32 v54, v52, v53
.LBB511_113:
	s_or_b32 exec_lo, exec_lo, s1
	s_delay_alu instid0(VALU_DEP_1) | instskip(SKIP_1) | instid1(VALU_DEP_2)
	v_bfe_u32 v52, v54, 16, 1
	v_cmp_o_f32_e64 s0, v54, v54
	; wave barrier
	v_add3_u32 v52, v54, v52, 0x7fff
	s_delay_alu instid0(VALU_DEP_1) | instskip(NEXT) | instid1(VALU_DEP_1)
	v_lshrrev_b32_e32 v52, 16, v52
	v_cndmask_b32_e64 v52, 0x7fc0, v52, s0
	v_cmp_eq_u32_e64 s0, 0, v0
	s_delay_alu instid0(VALU_DEP_1)
	v_cndmask_b32_e64 v52, v52, v51, s0
	ds_store_b16 v50, v52
	; wave barrier
	ds_load_u16 v54, v50 offset:2
	v_lshlrev_b32_e32 v53, 16, v52
	s_waitcnt lgkmcnt(0)
	v_lshlrev_b32_e32 v52, 16, v54
	s_delay_alu instid0(VALU_DEP_1) | instskip(NEXT) | instid1(VALU_DEP_1)
	v_dual_max_f32 v54, v53, v53 :: v_dual_max_f32 v55, v52, v52
	v_min_f32_e32 v56, v54, v55
	v_max_f32_e32 v54, v54, v55
	v_cmp_u_f32_e64 s0, v53, v53
	s_delay_alu instid0(VALU_DEP_1) | instskip(NEXT) | instid1(VALU_DEP_3)
	v_cndmask_b32_e64 v55, v56, v53, s0
	v_cndmask_b32_e64 v56, v54, v53, s0
	v_cmp_u_f32_e64 s0, v52, v52
	s_delay_alu instid0(VALU_DEP_1) | instskip(NEXT) | instid1(VALU_DEP_3)
	v_cndmask_b32_e64 v54, v55, v52, s0
	v_cndmask_b32_e64 v52, v56, v52, s0
	s_delay_alu instid0(VALU_DEP_2) | instskip(NEXT) | instid1(VALU_DEP_2)
	v_cmp_class_f32_e64 s1, v54, 0x1f8
	v_cmp_neq_f32_e64 s0, v54, v52
	s_delay_alu instid0(VALU_DEP_1) | instskip(NEXT) | instid1(SALU_CYCLE_1)
	s_or_b32 s0, s0, s1
	s_and_saveexec_b32 s1, s0
	s_cbranch_execz .LBB511_115
; %bb.114:
	v_sub_f32_e32 v53, v54, v52
	s_delay_alu instid0(VALU_DEP_1) | instskip(SKIP_1) | instid1(VALU_DEP_2)
	v_mul_f32_e32 v54, 0x3fb8aa3b, v53
	v_cmp_ngt_f32_e64 s0, 0xc2ce8ed0, v53
	v_fma_f32 v55, 0x3fb8aa3b, v53, -v54
	v_rndne_f32_e32 v56, v54
	s_delay_alu instid0(VALU_DEP_1) | instskip(NEXT) | instid1(VALU_DEP_1)
	v_dual_fmamk_f32 v55, v53, 0x32a5705f, v55 :: v_dual_sub_f32 v54, v54, v56
	v_add_f32_e32 v54, v54, v55
	v_cvt_i32_f32_e32 v55, v56
	s_delay_alu instid0(VALU_DEP_2) | instskip(SKIP_2) | instid1(VALU_DEP_1)
	v_exp_f32_e32 v54, v54
	s_waitcnt_depctr 0xfff
	v_ldexp_f32 v54, v54, v55
	v_cndmask_b32_e64 v54, 0, v54, s0
	v_cmp_nlt_f32_e64 s0, 0x42b17218, v53
	s_delay_alu instid0(VALU_DEP_1) | instskip(NEXT) | instid1(VALU_DEP_1)
	v_cndmask_b32_e64 v55, 0x7f800000, v54, s0
	v_add_f32_e32 v56, 1.0, v55
	v_cmp_gt_f32_e64 s49, 0x33800000, |v55|
	s_delay_alu instid0(VALU_DEP_2) | instskip(NEXT) | instid1(VALU_DEP_1)
	v_cvt_f64_f32_e32 v[53:54], v56
	v_frexp_exp_i32_f64_e32 v53, v[53:54]
	v_frexp_mant_f32_e32 v54, v56
	s_delay_alu instid0(VALU_DEP_1) | instskip(SKIP_1) | instid1(VALU_DEP_1)
	v_cmp_gt_f32_e64 s0, 0x3f2aaaab, v54
	v_add_f32_e32 v54, -1.0, v56
	v_sub_f32_e32 v58, v54, v56
	v_sub_f32_e32 v54, v55, v54
	s_delay_alu instid0(VALU_DEP_4) | instskip(SKIP_1) | instid1(VALU_DEP_1)
	v_subrev_co_ci_u32_e64 v53, s0, 0, v53, s0
	s_mov_b32 s0, 0x3e9b6dac
	v_sub_nc_u32_e32 v57, 0, v53
	v_cvt_f32_i32_e32 v53, v53
	s_delay_alu instid0(VALU_DEP_2) | instskip(NEXT) | instid1(VALU_DEP_1)
	v_ldexp_f32 v56, v56, v57
	v_dual_add_f32 v59, 1.0, v56 :: v_dual_add_f32 v58, 1.0, v58
	s_delay_alu instid0(VALU_DEP_1) | instskip(NEXT) | instid1(VALU_DEP_2)
	v_add_f32_e32 v54, v54, v58
	v_add_f32_e32 v58, -1.0, v59
	s_delay_alu instid0(VALU_DEP_2) | instskip(NEXT) | instid1(VALU_DEP_2)
	v_ldexp_f32 v54, v54, v57
	v_dual_add_f32 v57, -1.0, v56 :: v_dual_sub_f32 v58, v56, v58
	s_delay_alu instid0(VALU_DEP_1) | instskip(NEXT) | instid1(VALU_DEP_2)
	v_add_f32_e32 v60, 1.0, v57
	v_add_f32_e32 v58, v54, v58
	s_delay_alu instid0(VALU_DEP_2) | instskip(NEXT) | instid1(VALU_DEP_2)
	v_sub_f32_e32 v56, v56, v60
	v_add_f32_e32 v60, v59, v58
	s_delay_alu instid0(VALU_DEP_2) | instskip(NEXT) | instid1(VALU_DEP_2)
	v_add_f32_e32 v54, v54, v56
	v_rcp_f32_e32 v56, v60
	v_sub_f32_e32 v59, v59, v60
	s_delay_alu instid0(VALU_DEP_1) | instskip(NEXT) | instid1(VALU_DEP_1)
	v_dual_add_f32 v61, v57, v54 :: v_dual_add_f32 v58, v58, v59
	v_sub_f32_e32 v57, v57, v61
	s_waitcnt_depctr 0xfff
	v_mul_f32_e32 v62, v61, v56
	s_delay_alu instid0(VALU_DEP_1) | instskip(NEXT) | instid1(VALU_DEP_1)
	v_dual_add_f32 v54, v54, v57 :: v_dual_mul_f32 v63, v60, v62
	v_fma_f32 v59, v62, v60, -v63
	s_delay_alu instid0(VALU_DEP_1) | instskip(NEXT) | instid1(VALU_DEP_1)
	v_fmac_f32_e32 v59, v62, v58
	v_add_f32_e32 v64, v63, v59
	s_delay_alu instid0(VALU_DEP_1) | instskip(SKIP_1) | instid1(VALU_DEP_2)
	v_sub_f32_e32 v65, v61, v64
	v_sub_f32_e32 v57, v64, v63
	;; [unrolled: 1-line block ×3, first 2 shown]
	s_delay_alu instid0(VALU_DEP_2) | instskip(NEXT) | instid1(VALU_DEP_2)
	v_sub_f32_e32 v57, v57, v59
	v_sub_f32_e32 v61, v61, v64
	s_delay_alu instid0(VALU_DEP_1) | instskip(NEXT) | instid1(VALU_DEP_1)
	v_add_f32_e32 v54, v54, v61
	v_add_f32_e32 v54, v57, v54
	s_delay_alu instid0(VALU_DEP_1) | instskip(NEXT) | instid1(VALU_DEP_1)
	v_add_f32_e32 v57, v65, v54
	v_mul_f32_e32 v59, v56, v57
	s_delay_alu instid0(VALU_DEP_1) | instskip(NEXT) | instid1(VALU_DEP_1)
	v_dual_sub_f32 v64, v65, v57 :: v_dual_mul_f32 v61, v60, v59
	v_add_f32_e32 v54, v54, v64
	s_delay_alu instid0(VALU_DEP_2) | instskip(NEXT) | instid1(VALU_DEP_1)
	v_fma_f32 v60, v59, v60, -v61
	v_fmac_f32_e32 v60, v59, v58
	s_delay_alu instid0(VALU_DEP_1) | instskip(NEXT) | instid1(VALU_DEP_1)
	v_add_f32_e32 v58, v61, v60
	v_sub_f32_e32 v63, v57, v58
	v_sub_f32_e32 v61, v58, v61
	s_delay_alu instid0(VALU_DEP_2) | instskip(NEXT) | instid1(VALU_DEP_1)
	v_sub_f32_e32 v57, v57, v63
	v_sub_f32_e32 v57, v57, v58
	s_delay_alu instid0(VALU_DEP_3) | instskip(NEXT) | instid1(VALU_DEP_2)
	v_sub_f32_e32 v58, v61, v60
	v_add_f32_e32 v54, v54, v57
	v_add_f32_e32 v57, v62, v59
	s_delay_alu instid0(VALU_DEP_2) | instskip(NEXT) | instid1(VALU_DEP_2)
	v_add_f32_e32 v54, v58, v54
	v_sub_f32_e32 v58, v57, v62
	s_delay_alu instid0(VALU_DEP_2) | instskip(NEXT) | instid1(VALU_DEP_2)
	v_add_f32_e32 v54, v63, v54
	v_sub_f32_e32 v58, v59, v58
	s_delay_alu instid0(VALU_DEP_2) | instskip(NEXT) | instid1(VALU_DEP_1)
	v_mul_f32_e32 v54, v56, v54
	v_add_f32_e32 v54, v58, v54
	s_delay_alu instid0(VALU_DEP_1) | instskip(NEXT) | instid1(VALU_DEP_1)
	v_add_f32_e32 v56, v57, v54
	v_mul_f32_e32 v58, v56, v56
	s_delay_alu instid0(VALU_DEP_1) | instskip(SKIP_2) | instid1(VALU_DEP_3)
	v_fmaak_f32 v59, s0, v58, 0x3ecc95a3
	v_mul_f32_e32 v60, v56, v58
	v_cmp_eq_f32_e64 s0, 0x7f800000, v55
	v_fmaak_f32 v58, v58, v59, 0x3f2aaada
	v_ldexp_f32 v59, v56, 1
	v_sub_f32_e32 v56, v56, v57
	s_delay_alu instid0(VALU_DEP_4) | instskip(NEXT) | instid1(VALU_DEP_3)
	s_or_b32 s0, s0, s49
	v_mul_f32_e32 v58, v60, v58
	v_mul_f32_e32 v60, 0x3f317218, v53
	s_delay_alu instid0(VALU_DEP_2) | instskip(NEXT) | instid1(VALU_DEP_1)
	v_dual_sub_f32 v54, v54, v56 :: v_dual_add_f32 v57, v59, v58
	v_ldexp_f32 v54, v54, 1
	s_delay_alu instid0(VALU_DEP_2) | instskip(NEXT) | instid1(VALU_DEP_4)
	v_sub_f32_e32 v56, v57, v59
	v_fma_f32 v59, 0x3f317218, v53, -v60
	s_delay_alu instid0(VALU_DEP_1) | instskip(NEXT) | instid1(VALU_DEP_1)
	v_dual_sub_f32 v56, v58, v56 :: v_dual_fmamk_f32 v53, v53, 0xb102e308, v59
	v_add_f32_e32 v54, v54, v56
	s_delay_alu instid0(VALU_DEP_2) | instskip(NEXT) | instid1(VALU_DEP_2)
	v_add_f32_e32 v56, v60, v53
	v_add_f32_e32 v58, v57, v54
	s_delay_alu instid0(VALU_DEP_2) | instskip(NEXT) | instid1(VALU_DEP_2)
	v_sub_f32_e32 v60, v56, v60
	v_add_f32_e32 v59, v56, v58
	v_sub_f32_e32 v57, v58, v57
	s_delay_alu instid0(VALU_DEP_3) | instskip(NEXT) | instid1(VALU_DEP_2)
	v_sub_f32_e32 v53, v53, v60
	v_dual_sub_f32 v61, v59, v56 :: v_dual_sub_f32 v54, v54, v57
	s_delay_alu instid0(VALU_DEP_1) | instskip(NEXT) | instid1(VALU_DEP_2)
	v_sub_f32_e32 v62, v59, v61
	v_dual_sub_f32 v57, v58, v61 :: v_dual_add_f32 v58, v53, v54
	s_delay_alu instid0(VALU_DEP_2) | instskip(NEXT) | instid1(VALU_DEP_1)
	v_sub_f32_e32 v56, v56, v62
	v_dual_add_f32 v56, v57, v56 :: v_dual_sub_f32 v57, v58, v53
	s_delay_alu instid0(VALU_DEP_1) | instskip(NEXT) | instid1(VALU_DEP_2)
	v_add_f32_e32 v56, v58, v56
	v_sub_f32_e32 v58, v58, v57
	v_sub_f32_e32 v54, v54, v57
	s_delay_alu instid0(VALU_DEP_2) | instskip(NEXT) | instid1(VALU_DEP_1)
	v_dual_add_f32 v60, v59, v56 :: v_dual_sub_f32 v53, v53, v58
	v_sub_f32_e32 v57, v60, v59
	s_delay_alu instid0(VALU_DEP_2) | instskip(NEXT) | instid1(VALU_DEP_2)
	v_add_f32_e32 v53, v54, v53
	v_sub_f32_e32 v54, v56, v57
	s_delay_alu instid0(VALU_DEP_1) | instskip(NEXT) | instid1(VALU_DEP_1)
	v_add_f32_e32 v53, v53, v54
	v_add_f32_e32 v53, v60, v53
	s_delay_alu instid0(VALU_DEP_1) | instskip(NEXT) | instid1(VALU_DEP_1)
	v_cndmask_b32_e64 v53, v53, v55, s0
	v_add_f32_e32 v53, v52, v53
.LBB511_115:
	s_or_b32 exec_lo, exec_lo, s1
	s_delay_alu instid0(VALU_DEP_1) | instskip(SKIP_1) | instid1(VALU_DEP_2)
	v_bfe_u32 v52, v53, 16, 1
	v_cmp_o_f32_e64 s0, v53, v53
	v_add3_u32 v52, v53, v52, 0x7fff
	s_delay_alu instid0(VALU_DEP_1) | instskip(NEXT) | instid1(VALU_DEP_1)
	v_lshrrev_b32_e32 v52, 16, v52
	v_cndmask_b32_e64 v52, 0x7fc0, v52, s0
	ds_store_b16 v50, v52 offset:2
.LBB511_116:
	s_or_b32 exec_lo, exec_lo, s48
	v_mul_u32_u24_e32 v50, 42, v0
	v_cmp_ne_u32_e64 s0, 0, v0
	s_waitcnt lgkmcnt(0)
	s_barrier
	buffer_gl0_inv
	s_and_saveexec_b32 s1, s0
	s_cbranch_execz .LBB511_118
; %bb.117:
	v_add_nc_u32_e32 v51, -1, v0
	s_delay_alu instid0(VALU_DEP_1) | instskip(NEXT) | instid1(VALU_DEP_1)
	v_lshrrev_b32_e32 v52, 5, v51
	v_add_lshl_u32 v51, v52, v51, 1
	ds_load_u16 v51, v51
.LBB511_118:
	s_or_b32 exec_lo, exec_lo, s1
	s_and_saveexec_b32 s1, s0
	s_cbranch_execz .LBB511_122
; %bb.119:
	s_waitcnt lgkmcnt(0)
	v_lshlrev_b32_e32 v47, 16, v51
	s_delay_alu instid0(VALU_DEP_1) | instskip(NEXT) | instid1(VALU_DEP_1)
	v_max_f32_e32 v2, v47, v47
	v_min_f32_e32 v48, v2, v49
	v_max_f32_e32 v2, v2, v49
	v_cmp_u_f32_e64 s0, v47, v47
	s_delay_alu instid0(VALU_DEP_1) | instskip(NEXT) | instid1(VALU_DEP_3)
	v_cndmask_b32_e64 v48, v48, v47, s0
	v_cndmask_b32_e64 v2, v2, v47, s0
	s_delay_alu instid0(VALU_DEP_2) | instskip(NEXT) | instid1(VALU_DEP_2)
	v_cndmask_b32_e64 v48, v48, v46, s45
	v_cndmask_b32_e64 v2, v2, v46, s45
	s_delay_alu instid0(VALU_DEP_2) | instskip(NEXT) | instid1(VALU_DEP_2)
	v_cmp_class_f32_e64 s45, v48, 0x1f8
	v_cmp_neq_f32_e64 s0, v48, v2
	s_delay_alu instid0(VALU_DEP_1) | instskip(NEXT) | instid1(SALU_CYCLE_1)
	s_or_b32 s0, s0, s45
	s_and_saveexec_b32 s45, s0
	s_cbranch_execz .LBB511_121
; %bb.120:
	v_sub_f32_e32 v46, v48, v2
	s_delay_alu instid0(VALU_DEP_1) | instskip(NEXT) | instid1(VALU_DEP_1)
	v_mul_f32_e32 v47, 0x3fb8aa3b, v46
	v_fma_f32 v48, 0x3fb8aa3b, v46, -v47
	v_rndne_f32_e32 v49, v47
	s_delay_alu instid0(VALU_DEP_1) | instskip(SKIP_1) | instid1(VALU_DEP_2)
	v_dual_sub_f32 v47, v47, v49 :: v_dual_fmamk_f32 v48, v46, 0x32a5705f, v48
	v_cmp_ngt_f32_e64 s0, 0xc2ce8ed0, v46
	v_add_f32_e32 v47, v47, v48
	v_cvt_i32_f32_e32 v48, v49
	s_delay_alu instid0(VALU_DEP_2) | instskip(SKIP_2) | instid1(VALU_DEP_1)
	v_exp_f32_e32 v47, v47
	s_waitcnt_depctr 0xfff
	v_ldexp_f32 v47, v47, v48
	v_cndmask_b32_e64 v47, 0, v47, s0
	v_cmp_nlt_f32_e64 s0, 0x42b17218, v46
	s_delay_alu instid0(VALU_DEP_1) | instskip(NEXT) | instid1(VALU_DEP_1)
	v_cndmask_b32_e64 v48, 0x7f800000, v47, s0
	v_add_f32_e32 v49, 1.0, v48
	v_cmp_gt_f32_e64 s48, 0x33800000, |v48|
	s_delay_alu instid0(VALU_DEP_2) | instskip(NEXT) | instid1(VALU_DEP_1)
	v_cvt_f64_f32_e32 v[46:47], v49
	v_frexp_exp_i32_f64_e32 v46, v[46:47]
	v_frexp_mant_f32_e32 v47, v49
	s_delay_alu instid0(VALU_DEP_1) | instskip(SKIP_1) | instid1(VALU_DEP_1)
	v_cmp_gt_f32_e64 s0, 0x3f2aaaab, v47
	v_add_f32_e32 v47, -1.0, v49
	v_dual_sub_f32 v52, v47, v49 :: v_dual_sub_f32 v47, v48, v47
	s_delay_alu instid0(VALU_DEP_1) | instskip(NEXT) | instid1(VALU_DEP_1)
	v_add_f32_e32 v52, 1.0, v52
	v_add_f32_e32 v47, v47, v52
	v_subrev_co_ci_u32_e64 v46, s0, 0, v46, s0
	s_mov_b32 s0, 0x3e9b6dac
	s_delay_alu instid0(VALU_DEP_1) | instskip(SKIP_1) | instid1(VALU_DEP_2)
	v_sub_nc_u32_e32 v51, 0, v46
	v_cvt_f32_i32_e32 v46, v46
	v_ldexp_f32 v49, v49, v51
	v_ldexp_f32 v47, v47, v51
	s_delay_alu instid0(VALU_DEP_2) | instskip(NEXT) | instid1(VALU_DEP_1)
	v_add_f32_e32 v53, 1.0, v49
	v_add_f32_e32 v52, -1.0, v53
	s_delay_alu instid0(VALU_DEP_1) | instskip(NEXT) | instid1(VALU_DEP_1)
	v_dual_sub_f32 v52, v49, v52 :: v_dual_add_f32 v51, -1.0, v49
	v_add_f32_e32 v52, v47, v52
	s_delay_alu instid0(VALU_DEP_2) | instskip(NEXT) | instid1(VALU_DEP_1)
	v_add_f32_e32 v54, 1.0, v51
	v_sub_f32_e32 v49, v49, v54
	s_delay_alu instid0(VALU_DEP_1) | instskip(NEXT) | instid1(VALU_DEP_1)
	v_dual_add_f32 v54, v53, v52 :: v_dual_add_f32 v47, v47, v49
	v_rcp_f32_e32 v49, v54
	v_sub_f32_e32 v53, v53, v54
	s_delay_alu instid0(VALU_DEP_1) | instskip(SKIP_2) | instid1(VALU_DEP_1)
	v_dual_add_f32 v55, v51, v47 :: v_dual_add_f32 v52, v52, v53
	s_waitcnt_depctr 0xfff
	v_mul_f32_e32 v56, v55, v49
	v_mul_f32_e32 v57, v54, v56
	s_delay_alu instid0(VALU_DEP_1) | instskip(NEXT) | instid1(VALU_DEP_1)
	v_fma_f32 v53, v56, v54, -v57
	v_fmac_f32_e32 v53, v56, v52
	s_delay_alu instid0(VALU_DEP_1) | instskip(NEXT) | instid1(VALU_DEP_1)
	v_dual_add_f32 v58, v57, v53 :: v_dual_sub_f32 v51, v51, v55
	v_sub_f32_e32 v59, v55, v58
	s_delay_alu instid0(VALU_DEP_2) | instskip(SKIP_1) | instid1(VALU_DEP_3)
	v_add_f32_e32 v47, v47, v51
	v_sub_f32_e32 v51, v58, v57
	v_sub_f32_e32 v55, v55, v59
	s_delay_alu instid0(VALU_DEP_2) | instskip(NEXT) | instid1(VALU_DEP_2)
	v_sub_f32_e32 v51, v51, v53
	v_sub_f32_e32 v55, v55, v58
	s_delay_alu instid0(VALU_DEP_1) | instskip(NEXT) | instid1(VALU_DEP_1)
	v_add_f32_e32 v47, v47, v55
	v_add_f32_e32 v47, v51, v47
	s_delay_alu instid0(VALU_DEP_1) | instskip(NEXT) | instid1(VALU_DEP_1)
	v_add_f32_e32 v51, v59, v47
	v_mul_f32_e32 v53, v49, v51
	s_delay_alu instid0(VALU_DEP_1) | instskip(NEXT) | instid1(VALU_DEP_1)
	v_mul_f32_e32 v55, v54, v53
	v_fma_f32 v54, v53, v54, -v55
	s_delay_alu instid0(VALU_DEP_1) | instskip(SKIP_1) | instid1(VALU_DEP_2)
	v_fmac_f32_e32 v54, v53, v52
	v_sub_f32_e32 v58, v59, v51
	v_add_f32_e32 v52, v55, v54
	s_delay_alu instid0(VALU_DEP_2) | instskip(NEXT) | instid1(VALU_DEP_2)
	v_add_f32_e32 v47, v47, v58
	v_sub_f32_e32 v57, v51, v52
	v_sub_f32_e32 v55, v52, v55
	s_delay_alu instid0(VALU_DEP_2) | instskip(NEXT) | instid1(VALU_DEP_1)
	v_sub_f32_e32 v51, v51, v57
	v_sub_f32_e32 v51, v51, v52
	s_delay_alu instid0(VALU_DEP_3) | instskip(NEXT) | instid1(VALU_DEP_2)
	v_sub_f32_e32 v52, v55, v54
	v_add_f32_e32 v47, v47, v51
	v_add_f32_e32 v51, v56, v53
	s_delay_alu instid0(VALU_DEP_1) | instskip(NEXT) | instid1(VALU_DEP_1)
	v_dual_add_f32 v47, v52, v47 :: v_dual_sub_f32 v52, v51, v56
	v_add_f32_e32 v47, v57, v47
	s_delay_alu instid0(VALU_DEP_2) | instskip(NEXT) | instid1(VALU_DEP_2)
	v_sub_f32_e32 v52, v53, v52
	v_mul_f32_e32 v47, v49, v47
	s_delay_alu instid0(VALU_DEP_1) | instskip(NEXT) | instid1(VALU_DEP_1)
	v_add_f32_e32 v47, v52, v47
	v_add_f32_e32 v49, v51, v47
	s_delay_alu instid0(VALU_DEP_1) | instskip(NEXT) | instid1(VALU_DEP_1)
	v_mul_f32_e32 v52, v49, v49
	v_fmaak_f32 v53, s0, v52, 0x3ecc95a3
	v_mul_f32_e32 v54, v49, v52
	v_cmp_eq_f32_e64 s0, 0x7f800000, v48
	s_delay_alu instid0(VALU_DEP_3) | instskip(SKIP_2) | instid1(VALU_DEP_4)
	v_fmaak_f32 v52, v52, v53, 0x3f2aaada
	v_ldexp_f32 v53, v49, 1
	v_sub_f32_e32 v49, v49, v51
	s_or_b32 s0, s0, s48
	s_delay_alu instid0(VALU_DEP_3) | instskip(NEXT) | instid1(VALU_DEP_2)
	v_mul_f32_e32 v52, v54, v52
	v_dual_mul_f32 v54, 0x3f317218, v46 :: v_dual_sub_f32 v47, v47, v49
	s_delay_alu instid0(VALU_DEP_2) | instskip(NEXT) | instid1(VALU_DEP_2)
	v_add_f32_e32 v51, v53, v52
	v_ldexp_f32 v47, v47, 1
	s_delay_alu instid0(VALU_DEP_2) | instskip(NEXT) | instid1(VALU_DEP_4)
	v_sub_f32_e32 v49, v51, v53
	v_fma_f32 v53, 0x3f317218, v46, -v54
	s_delay_alu instid0(VALU_DEP_1) | instskip(NEXT) | instid1(VALU_DEP_1)
	v_dual_sub_f32 v49, v52, v49 :: v_dual_fmamk_f32 v46, v46, 0xb102e308, v53
	v_add_f32_e32 v47, v47, v49
	s_delay_alu instid0(VALU_DEP_1) | instskip(NEXT) | instid1(VALU_DEP_1)
	v_dual_add_f32 v49, v54, v46 :: v_dual_add_f32 v52, v51, v47
	v_sub_f32_e32 v54, v49, v54
	s_delay_alu instid0(VALU_DEP_2) | instskip(NEXT) | instid1(VALU_DEP_2)
	v_add_f32_e32 v53, v49, v52
	v_dual_sub_f32 v51, v52, v51 :: v_dual_sub_f32 v46, v46, v54
	s_delay_alu instid0(VALU_DEP_2) | instskip(NEXT) | instid1(VALU_DEP_2)
	v_sub_f32_e32 v55, v53, v49
	v_sub_f32_e32 v47, v47, v51
	s_delay_alu instid0(VALU_DEP_2) | instskip(SKIP_1) | instid1(VALU_DEP_2)
	v_sub_f32_e32 v56, v53, v55
	v_sub_f32_e32 v51, v52, v55
	v_dual_add_f32 v52, v46, v47 :: v_dual_sub_f32 v49, v49, v56
	s_delay_alu instid0(VALU_DEP_1) | instskip(NEXT) | instid1(VALU_DEP_2)
	v_add_f32_e32 v49, v51, v49
	v_sub_f32_e32 v51, v52, v46
	s_delay_alu instid0(VALU_DEP_2) | instskip(NEXT) | instid1(VALU_DEP_2)
	v_add_f32_e32 v49, v52, v49
	v_sub_f32_e32 v52, v52, v51
	s_delay_alu instid0(VALU_DEP_2) | instskip(NEXT) | instid1(VALU_DEP_2)
	v_dual_sub_f32 v47, v47, v51 :: v_dual_add_f32 v54, v53, v49
	v_sub_f32_e32 v46, v46, v52
	s_delay_alu instid0(VALU_DEP_1) | instskip(NEXT) | instid1(VALU_DEP_1)
	v_dual_sub_f32 v51, v54, v53 :: v_dual_add_f32 v46, v47, v46
	v_sub_f32_e32 v47, v49, v51
	s_delay_alu instid0(VALU_DEP_1) | instskip(NEXT) | instid1(VALU_DEP_1)
	v_add_f32_e32 v46, v46, v47
	v_add_f32_e32 v46, v54, v46
	s_delay_alu instid0(VALU_DEP_1) | instskip(NEXT) | instid1(VALU_DEP_1)
	v_cndmask_b32_e64 v46, v46, v48, s0
	v_add_f32_e32 v47, v2, v46
.LBB511_121:
	s_or_b32 exec_lo, exec_lo, s45
	s_delay_alu instid0(VALU_DEP_1) | instskip(SKIP_2) | instid1(VALU_DEP_2)
	v_bfe_u32 v2, v47, 16, 1
	v_cmp_o_f32_e64 s0, v47, v47
	;;#ASMSTART
	;;#ASMEND
	v_add3_u32 v2, v47, v2, 0x7fff
	s_delay_alu instid0(VALU_DEP_1) | instskip(NEXT) | instid1(VALU_DEP_1)
	v_lshrrev_b32_e32 v2, 16, v2
	v_cndmask_b32_e64 v2, 0x7fc0, v2, s0
	s_delay_alu instid0(VALU_DEP_1) | instskip(NEXT) | instid1(VALU_DEP_1)
	v_lshlrev_b32_e32 v46, 16, v2
	v_max_f32_e32 v48, v46, v46
	s_delay_alu instid0(VALU_DEP_1)
	v_min_f32_e32 v47, v48, v17
	v_max_f32_e32 v48, v48, v17
.LBB511_122:
	s_or_b32 exec_lo, exec_lo, s1
	v_cmp_u_f32_e64 s0, v46, v46
	s_delay_alu instid0(VALU_DEP_1) | instskip(NEXT) | instid1(VALU_DEP_3)
	v_cndmask_b32_e64 v17, v47, v46, s0
	v_cndmask_b32_e64 v47, v48, v46, s0
	s_delay_alu instid0(VALU_DEP_2) | instskip(NEXT) | instid1(VALU_DEP_2)
	v_cndmask_b32_e64 v17, v17, v13, s23
	v_cndmask_b32_e64 v13, v47, v13, s23
	s_delay_alu instid0(VALU_DEP_2) | instskip(NEXT) | instid1(VALU_DEP_2)
	v_cmp_class_f32_e64 s1, v17, 0x1f8
	v_cmp_neq_f32_e64 s0, v17, v13
	s_delay_alu instid0(VALU_DEP_1) | instskip(NEXT) | instid1(SALU_CYCLE_1)
	s_or_b32 s0, s0, s1
	s_and_saveexec_b32 s1, s0
	s_cbranch_execz .LBB511_124
; %bb.123:
	v_sub_f32_e32 v17, v17, v13
	s_delay_alu instid0(VALU_DEP_1) | instskip(NEXT) | instid1(VALU_DEP_1)
	v_mul_f32_e32 v46, 0x3fb8aa3b, v17
	v_fma_f32 v47, 0x3fb8aa3b, v17, -v46
	v_rndne_f32_e32 v48, v46
	s_delay_alu instid0(VALU_DEP_1) | instskip(SKIP_1) | instid1(VALU_DEP_2)
	v_dual_sub_f32 v46, v46, v48 :: v_dual_fmamk_f32 v47, v17, 0x32a5705f, v47
	v_cmp_ngt_f32_e64 s0, 0xc2ce8ed0, v17
	v_add_f32_e32 v46, v46, v47
	v_cvt_i32_f32_e32 v47, v48
	s_delay_alu instid0(VALU_DEP_2) | instskip(SKIP_2) | instid1(VALU_DEP_1)
	v_exp_f32_e32 v46, v46
	s_waitcnt_depctr 0xfff
	v_ldexp_f32 v46, v46, v47
	v_cndmask_b32_e64 v46, 0, v46, s0
	v_cmp_nlt_f32_e64 s0, 0x42b17218, v17
	s_delay_alu instid0(VALU_DEP_1) | instskip(NEXT) | instid1(VALU_DEP_1)
	v_cndmask_b32_e64 v17, 0x7f800000, v46, s0
	v_add_f32_e32 v48, 1.0, v17
	v_cmp_gt_f32_e64 s23, 0x33800000, |v17|
	s_delay_alu instid0(VALU_DEP_2) | instskip(NEXT) | instid1(VALU_DEP_1)
	v_cvt_f64_f32_e32 v[46:47], v48
	v_frexp_exp_i32_f64_e32 v46, v[46:47]
	v_frexp_mant_f32_e32 v47, v48
	s_delay_alu instid0(VALU_DEP_1) | instskip(SKIP_2) | instid1(VALU_DEP_1)
	v_cmp_gt_f32_e64 s0, 0x3f2aaaab, v47
	v_add_f32_e32 v47, -1.0, v48
	s_waitcnt lgkmcnt(0)
	v_sub_f32_e32 v51, v47, v48
	s_delay_alu instid0(VALU_DEP_3) | instskip(SKIP_1) | instid1(VALU_DEP_1)
	v_subrev_co_ci_u32_e64 v46, s0, 0, v46, s0
	s_mov_b32 s0, 0x3e9b6dac
	v_sub_nc_u32_e32 v49, 0, v46
	v_cvt_f32_i32_e32 v46, v46
	s_delay_alu instid0(VALU_DEP_2) | instskip(SKIP_1) | instid1(VALU_DEP_2)
	v_ldexp_f32 v48, v48, v49
	v_sub_f32_e32 v47, v17, v47
	v_dual_add_f32 v51, 1.0, v51 :: v_dual_add_f32 v52, 1.0, v48
	s_delay_alu instid0(VALU_DEP_1) | instskip(NEXT) | instid1(VALU_DEP_1)
	v_add_f32_e32 v47, v47, v51
	v_ldexp_f32 v47, v47, v49
	v_add_f32_e32 v49, -1.0, v48
	s_delay_alu instid0(VALU_DEP_4) | instskip(NEXT) | instid1(VALU_DEP_2)
	v_add_f32_e32 v51, -1.0, v52
	v_add_f32_e32 v53, 1.0, v49
	s_delay_alu instid0(VALU_DEP_2) | instskip(NEXT) | instid1(VALU_DEP_1)
	v_sub_f32_e32 v51, v48, v51
	v_dual_sub_f32 v48, v48, v53 :: v_dual_add_f32 v51, v47, v51
	s_delay_alu instid0(VALU_DEP_1) | instskip(NEXT) | instid1(VALU_DEP_2)
	v_add_f32_e32 v47, v47, v48
	v_add_f32_e32 v53, v52, v51
	s_delay_alu instid0(VALU_DEP_2) | instskip(NEXT) | instid1(VALU_DEP_2)
	v_add_f32_e32 v54, v49, v47
	v_rcp_f32_e32 v48, v53
	v_sub_f32_e32 v52, v52, v53
	s_delay_alu instid0(VALU_DEP_1) | instskip(SKIP_2) | instid1(VALU_DEP_1)
	v_add_f32_e32 v51, v51, v52
	s_waitcnt_depctr 0xfff
	v_mul_f32_e32 v55, v54, v48
	v_mul_f32_e32 v56, v53, v55
	v_sub_f32_e32 v49, v49, v54
	s_delay_alu instid0(VALU_DEP_2) | instskip(NEXT) | instid1(VALU_DEP_2)
	v_fma_f32 v52, v55, v53, -v56
	v_add_f32_e32 v47, v47, v49
	s_delay_alu instid0(VALU_DEP_2) | instskip(NEXT) | instid1(VALU_DEP_1)
	v_fmac_f32_e32 v52, v55, v51
	v_add_f32_e32 v57, v56, v52
	s_delay_alu instid0(VALU_DEP_1) | instskip(NEXT) | instid1(VALU_DEP_1)
	v_dual_sub_f32 v58, v54, v57 :: v_dual_sub_f32 v49, v57, v56
	v_dual_sub_f32 v54, v54, v58 :: v_dual_sub_f32 v49, v49, v52
	s_delay_alu instid0(VALU_DEP_1) | instskip(NEXT) | instid1(VALU_DEP_1)
	v_sub_f32_e32 v54, v54, v57
	v_add_f32_e32 v47, v47, v54
	s_delay_alu instid0(VALU_DEP_1) | instskip(NEXT) | instid1(VALU_DEP_1)
	v_add_f32_e32 v47, v49, v47
	v_add_f32_e32 v49, v58, v47
	s_delay_alu instid0(VALU_DEP_1) | instskip(NEXT) | instid1(VALU_DEP_1)
	v_mul_f32_e32 v52, v48, v49
	v_dual_sub_f32 v57, v58, v49 :: v_dual_mul_f32 v54, v53, v52
	s_delay_alu instid0(VALU_DEP_1) | instskip(NEXT) | instid1(VALU_DEP_2)
	v_add_f32_e32 v47, v47, v57
	v_fma_f32 v53, v52, v53, -v54
	s_delay_alu instid0(VALU_DEP_1) | instskip(NEXT) | instid1(VALU_DEP_1)
	v_fmac_f32_e32 v53, v52, v51
	v_add_f32_e32 v51, v54, v53
	s_delay_alu instid0(VALU_DEP_1) | instskip(NEXT) | instid1(VALU_DEP_1)
	v_sub_f32_e32 v56, v49, v51
	v_dual_sub_f32 v54, v51, v54 :: v_dual_sub_f32 v49, v49, v56
	s_delay_alu instid0(VALU_DEP_1) | instskip(NEXT) | instid1(VALU_DEP_2)
	v_sub_f32_e32 v49, v49, v51
	v_sub_f32_e32 v51, v54, v53
	s_delay_alu instid0(VALU_DEP_2) | instskip(SKIP_1) | instid1(VALU_DEP_2)
	v_add_f32_e32 v47, v47, v49
	v_add_f32_e32 v49, v55, v52
	;; [unrolled: 1-line block ×3, first 2 shown]
	s_delay_alu instid0(VALU_DEP_2) | instskip(NEXT) | instid1(VALU_DEP_2)
	v_sub_f32_e32 v51, v49, v55
	v_add_f32_e32 v47, v56, v47
	s_delay_alu instid0(VALU_DEP_2) | instskip(NEXT) | instid1(VALU_DEP_2)
	v_sub_f32_e32 v51, v52, v51
	v_mul_f32_e32 v47, v48, v47
	s_delay_alu instid0(VALU_DEP_1) | instskip(NEXT) | instid1(VALU_DEP_1)
	v_add_f32_e32 v47, v51, v47
	v_add_f32_e32 v48, v49, v47
	s_delay_alu instid0(VALU_DEP_1) | instskip(NEXT) | instid1(VALU_DEP_1)
	v_mul_f32_e32 v51, v48, v48
	v_fmaak_f32 v52, s0, v51, 0x3ecc95a3
	v_mul_f32_e32 v53, v48, v51
	v_cmp_eq_f32_e64 s0, 0x7f800000, v17
	s_delay_alu instid0(VALU_DEP_3) | instskip(SKIP_2) | instid1(VALU_DEP_4)
	v_fmaak_f32 v51, v51, v52, 0x3f2aaada
	v_ldexp_f32 v52, v48, 1
	v_sub_f32_e32 v48, v48, v49
	s_or_b32 s0, s0, s23
	s_delay_alu instid0(VALU_DEP_3) | instskip(SKIP_1) | instid1(VALU_DEP_3)
	v_mul_f32_e32 v51, v53, v51
	v_mul_f32_e32 v53, 0x3f317218, v46
	v_sub_f32_e32 v47, v47, v48
	s_delay_alu instid0(VALU_DEP_3) | instskip(NEXT) | instid1(VALU_DEP_2)
	v_add_f32_e32 v49, v52, v51
	v_ldexp_f32 v47, v47, 1
	s_delay_alu instid0(VALU_DEP_2) | instskip(SKIP_1) | instid1(VALU_DEP_2)
	v_sub_f32_e32 v48, v49, v52
	v_fma_f32 v52, 0x3f317218, v46, -v53
	v_sub_f32_e32 v48, v51, v48
	s_delay_alu instid0(VALU_DEP_1) | instskip(NEXT) | instid1(VALU_DEP_1)
	v_dual_fmamk_f32 v46, v46, 0xb102e308, v52 :: v_dual_add_f32 v47, v47, v48
	v_add_f32_e32 v48, v53, v46
	s_delay_alu instid0(VALU_DEP_2) | instskip(NEXT) | instid1(VALU_DEP_2)
	v_add_f32_e32 v51, v49, v47
	v_sub_f32_e32 v53, v48, v53
	s_delay_alu instid0(VALU_DEP_2) | instskip(NEXT) | instid1(VALU_DEP_2)
	v_dual_add_f32 v52, v48, v51 :: v_dual_sub_f32 v49, v51, v49
	v_sub_f32_e32 v46, v46, v53
	s_delay_alu instid0(VALU_DEP_2) | instskip(NEXT) | instid1(VALU_DEP_1)
	v_dual_sub_f32 v54, v52, v48 :: v_dual_sub_f32 v47, v47, v49
	v_sub_f32_e32 v55, v52, v54
	v_sub_f32_e32 v49, v51, v54
	s_delay_alu instid0(VALU_DEP_3) | instskip(NEXT) | instid1(VALU_DEP_3)
	v_add_f32_e32 v51, v46, v47
	v_sub_f32_e32 v48, v48, v55
	s_delay_alu instid0(VALU_DEP_1) | instskip(NEXT) | instid1(VALU_DEP_1)
	v_dual_add_f32 v48, v49, v48 :: v_dual_sub_f32 v49, v51, v46
	v_add_f32_e32 v48, v51, v48
	s_delay_alu instid0(VALU_DEP_2) | instskip(SKIP_1) | instid1(VALU_DEP_2)
	v_sub_f32_e32 v51, v51, v49
	v_sub_f32_e32 v47, v47, v49
	v_dual_add_f32 v53, v52, v48 :: v_dual_sub_f32 v46, v46, v51
	s_delay_alu instid0(VALU_DEP_1) | instskip(NEXT) | instid1(VALU_DEP_1)
	v_dual_sub_f32 v49, v53, v52 :: v_dual_add_f32 v46, v47, v46
	v_sub_f32_e32 v47, v48, v49
	s_delay_alu instid0(VALU_DEP_1) | instskip(NEXT) | instid1(VALU_DEP_1)
	v_add_f32_e32 v46, v46, v47
	v_add_f32_e32 v46, v53, v46
	s_delay_alu instid0(VALU_DEP_1) | instskip(NEXT) | instid1(VALU_DEP_1)
	v_cndmask_b32_e64 v17, v46, v17, s0
	v_add_f32_e32 v46, v13, v17
.LBB511_124:
	s_or_b32 exec_lo, exec_lo, s1
	s_delay_alu instid0(VALU_DEP_1) | instskip(SKIP_1) | instid1(VALU_DEP_2)
	v_bfe_u32 v13, v46, 16, 1
	v_cmp_o_f32_e64 s0, v46, v46
	v_add3_u32 v13, v46, v13, 0x7fff
	s_delay_alu instid0(VALU_DEP_1) | instskip(NEXT) | instid1(VALU_DEP_1)
	v_lshrrev_b32_e32 v13, 16, v13
	v_cndmask_b32_e64 v13, 0x7fc0, v13, s0
	s_delay_alu instid0(VALU_DEP_1) | instskip(NEXT) | instid1(VALU_DEP_1)
	v_lshlrev_b32_e32 v17, 16, v13
	v_max_f32_e32 v46, v17, v17
	s_delay_alu instid0(VALU_DEP_1) | instskip(SKIP_2) | instid1(VALU_DEP_1)
	v_min_f32_e32 v47, v46, v16
	v_max_f32_e32 v16, v46, v16
	v_cmp_u_f32_e64 s0, v17, v17
	v_cndmask_b32_e64 v46, v47, v17, s0
	s_delay_alu instid0(VALU_DEP_3) | instskip(NEXT) | instid1(VALU_DEP_2)
	v_cndmask_b32_e64 v47, v16, v17, s0
	v_cndmask_b32_e64 v16, v46, v14, s24
	s_delay_alu instid0(VALU_DEP_2) | instskip(NEXT) | instid1(VALU_DEP_2)
	v_cndmask_b32_e64 v14, v47, v14, s24
	v_cmp_class_f32_e64 s1, v16, 0x1f8
	s_delay_alu instid0(VALU_DEP_2) | instskip(NEXT) | instid1(VALU_DEP_1)
	v_cmp_neq_f32_e64 s0, v16, v14
	s_or_b32 s0, s0, s1
	s_delay_alu instid0(SALU_CYCLE_1)
	s_and_saveexec_b32 s1, s0
	s_cbranch_execz .LBB511_126
; %bb.125:
	v_sub_f32_e32 v16, v16, v14
	s_delay_alu instid0(VALU_DEP_1) | instskip(NEXT) | instid1(VALU_DEP_1)
	v_mul_f32_e32 v17, 0x3fb8aa3b, v16
	v_fma_f32 v46, 0x3fb8aa3b, v16, -v17
	v_rndne_f32_e32 v47, v17
	s_delay_alu instid0(VALU_DEP_1) | instskip(SKIP_1) | instid1(VALU_DEP_2)
	v_dual_sub_f32 v17, v17, v47 :: v_dual_fmamk_f32 v46, v16, 0x32a5705f, v46
	v_cmp_ngt_f32_e64 s0, 0xc2ce8ed0, v16
	v_add_f32_e32 v17, v17, v46
	v_cvt_i32_f32_e32 v46, v47
	s_delay_alu instid0(VALU_DEP_2) | instskip(SKIP_2) | instid1(VALU_DEP_1)
	v_exp_f32_e32 v17, v17
	s_waitcnt_depctr 0xfff
	v_ldexp_f32 v17, v17, v46
	v_cndmask_b32_e64 v17, 0, v17, s0
	v_cmp_nlt_f32_e64 s0, 0x42b17218, v16
	s_delay_alu instid0(VALU_DEP_1) | instskip(NEXT) | instid1(VALU_DEP_1)
	v_cndmask_b32_e64 v46, 0x7f800000, v17, s0
	v_add_f32_e32 v47, 1.0, v46
	v_cmp_gt_f32_e64 s23, 0x33800000, |v46|
	s_delay_alu instid0(VALU_DEP_2) | instskip(NEXT) | instid1(VALU_DEP_1)
	v_cvt_f64_f32_e32 v[16:17], v47
	v_frexp_exp_i32_f64_e32 v16, v[16:17]
	v_frexp_mant_f32_e32 v17, v47
	s_delay_alu instid0(VALU_DEP_1) | instskip(SKIP_1) | instid1(VALU_DEP_1)
	v_cmp_gt_f32_e64 s0, 0x3f2aaaab, v17
	v_add_f32_e32 v17, -1.0, v47
	v_sub_f32_e32 v49, v17, v47
	v_sub_f32_e32 v17, v46, v17
	s_delay_alu instid0(VALU_DEP_2) | instskip(NEXT) | instid1(VALU_DEP_1)
	v_add_f32_e32 v49, 1.0, v49
	v_add_f32_e32 v17, v17, v49
	v_subrev_co_ci_u32_e64 v16, s0, 0, v16, s0
	s_mov_b32 s0, 0x3e9b6dac
	s_delay_alu instid0(VALU_DEP_1) | instskip(SKIP_1) | instid1(VALU_DEP_2)
	v_sub_nc_u32_e32 v48, 0, v16
	v_cvt_f32_i32_e32 v16, v16
	v_ldexp_f32 v47, v47, v48
	v_ldexp_f32 v17, v17, v48
	s_waitcnt lgkmcnt(0)
	s_delay_alu instid0(VALU_DEP_2) | instskip(SKIP_1) | instid1(VALU_DEP_1)
	v_add_f32_e32 v51, 1.0, v47
	v_add_f32_e32 v48, -1.0, v47
	v_dual_add_f32 v49, -1.0, v51 :: v_dual_add_f32 v52, 1.0, v48
	s_delay_alu instid0(VALU_DEP_1) | instskip(NEXT) | instid1(VALU_DEP_2)
	v_sub_f32_e32 v49, v47, v49
	v_sub_f32_e32 v47, v47, v52
	s_delay_alu instid0(VALU_DEP_2) | instskip(NEXT) | instid1(VALU_DEP_1)
	v_add_f32_e32 v49, v17, v49
	v_add_f32_e32 v52, v51, v49
	s_delay_alu instid0(VALU_DEP_1) | instskip(NEXT) | instid1(VALU_DEP_1)
	v_sub_f32_e32 v51, v51, v52
	v_add_f32_e32 v49, v49, v51
	v_add_f32_e32 v17, v17, v47
	v_rcp_f32_e32 v47, v52
	s_delay_alu instid0(VALU_DEP_1) | instskip(NEXT) | instid1(VALU_DEP_1)
	v_add_f32_e32 v53, v48, v17
	v_sub_f32_e32 v48, v48, v53
	s_waitcnt_depctr 0xfff
	v_mul_f32_e32 v54, v53, v47
	v_add_f32_e32 v17, v17, v48
	s_delay_alu instid0(VALU_DEP_2) | instskip(NEXT) | instid1(VALU_DEP_1)
	v_mul_f32_e32 v55, v52, v54
	v_fma_f32 v51, v54, v52, -v55
	s_delay_alu instid0(VALU_DEP_1) | instskip(NEXT) | instid1(VALU_DEP_1)
	v_fmac_f32_e32 v51, v54, v49
	v_add_f32_e32 v56, v55, v51
	s_delay_alu instid0(VALU_DEP_1) | instskip(NEXT) | instid1(VALU_DEP_1)
	v_dual_sub_f32 v57, v53, v56 :: v_dual_sub_f32 v48, v56, v55
	v_dual_sub_f32 v53, v53, v57 :: v_dual_sub_f32 v48, v48, v51
	s_delay_alu instid0(VALU_DEP_1) | instskip(NEXT) | instid1(VALU_DEP_1)
	v_sub_f32_e32 v53, v53, v56
	v_add_f32_e32 v17, v17, v53
	s_delay_alu instid0(VALU_DEP_1) | instskip(NEXT) | instid1(VALU_DEP_1)
	v_add_f32_e32 v17, v48, v17
	v_add_f32_e32 v48, v57, v17
	s_delay_alu instid0(VALU_DEP_1) | instskip(NEXT) | instid1(VALU_DEP_1)
	v_mul_f32_e32 v51, v47, v48
	v_dual_sub_f32 v56, v57, v48 :: v_dual_mul_f32 v53, v52, v51
	s_delay_alu instid0(VALU_DEP_1) | instskip(NEXT) | instid1(VALU_DEP_2)
	v_add_f32_e32 v17, v17, v56
	v_fma_f32 v52, v51, v52, -v53
	s_delay_alu instid0(VALU_DEP_1) | instskip(NEXT) | instid1(VALU_DEP_1)
	v_fmac_f32_e32 v52, v51, v49
	v_add_f32_e32 v49, v53, v52
	s_delay_alu instid0(VALU_DEP_1) | instskip(NEXT) | instid1(VALU_DEP_1)
	v_sub_f32_e32 v55, v48, v49
	v_dual_sub_f32 v53, v49, v53 :: v_dual_sub_f32 v48, v48, v55
	s_delay_alu instid0(VALU_DEP_1) | instskip(NEXT) | instid1(VALU_DEP_1)
	v_dual_sub_f32 v48, v48, v49 :: v_dual_sub_f32 v49, v53, v52
	v_dual_add_f32 v17, v17, v48 :: v_dual_add_f32 v48, v54, v51
	s_delay_alu instid0(VALU_DEP_1) | instskip(NEXT) | instid1(VALU_DEP_2)
	v_add_f32_e32 v17, v49, v17
	v_sub_f32_e32 v49, v48, v54
	s_delay_alu instid0(VALU_DEP_2) | instskip(NEXT) | instid1(VALU_DEP_2)
	v_add_f32_e32 v17, v55, v17
	v_sub_f32_e32 v49, v51, v49
	s_delay_alu instid0(VALU_DEP_2) | instskip(NEXT) | instid1(VALU_DEP_1)
	v_mul_f32_e32 v17, v47, v17
	v_add_f32_e32 v17, v49, v17
	s_delay_alu instid0(VALU_DEP_1) | instskip(NEXT) | instid1(VALU_DEP_1)
	v_add_f32_e32 v47, v48, v17
	v_mul_f32_e32 v49, v47, v47
	s_delay_alu instid0(VALU_DEP_1) | instskip(SKIP_2) | instid1(VALU_DEP_3)
	v_fmaak_f32 v51, s0, v49, 0x3ecc95a3
	v_mul_f32_e32 v52, v47, v49
	v_cmp_eq_f32_e64 s0, 0x7f800000, v46
	v_fmaak_f32 v49, v49, v51, 0x3f2aaada
	v_ldexp_f32 v51, v47, 1
	v_sub_f32_e32 v47, v47, v48
	s_delay_alu instid0(VALU_DEP_4) | instskip(NEXT) | instid1(VALU_DEP_3)
	s_or_b32 s0, s0, s23
	v_dual_mul_f32 v49, v52, v49 :: v_dual_mul_f32 v52, 0x3f317218, v16
	s_delay_alu instid0(VALU_DEP_1) | instskip(NEXT) | instid1(VALU_DEP_1)
	v_dual_sub_f32 v17, v17, v47 :: v_dual_add_f32 v48, v51, v49
	v_ldexp_f32 v17, v17, 1
	s_delay_alu instid0(VALU_DEP_2) | instskip(NEXT) | instid1(VALU_DEP_4)
	v_sub_f32_e32 v47, v48, v51
	v_fma_f32 v51, 0x3f317218, v16, -v52
	s_delay_alu instid0(VALU_DEP_1) | instskip(NEXT) | instid1(VALU_DEP_1)
	v_dual_sub_f32 v47, v49, v47 :: v_dual_fmamk_f32 v16, v16, 0xb102e308, v51
	v_add_f32_e32 v17, v17, v47
	s_delay_alu instid0(VALU_DEP_2) | instskip(NEXT) | instid1(VALU_DEP_1)
	v_add_f32_e32 v47, v52, v16
	v_dual_add_f32 v49, v48, v17 :: v_dual_sub_f32 v52, v47, v52
	s_delay_alu instid0(VALU_DEP_1) | instskip(NEXT) | instid1(VALU_DEP_1)
	v_dual_add_f32 v51, v47, v49 :: v_dual_sub_f32 v48, v49, v48
	v_dual_sub_f32 v16, v16, v52 :: v_dual_sub_f32 v53, v51, v47
	s_delay_alu instid0(VALU_DEP_1) | instskip(SKIP_1) | instid1(VALU_DEP_2)
	v_dual_sub_f32 v17, v17, v48 :: v_dual_sub_f32 v54, v51, v53
	v_sub_f32_e32 v48, v49, v53
	v_add_f32_e32 v49, v16, v17
	s_delay_alu instid0(VALU_DEP_3) | instskip(NEXT) | instid1(VALU_DEP_1)
	v_sub_f32_e32 v47, v47, v54
	v_dual_add_f32 v47, v48, v47 :: v_dual_sub_f32 v48, v49, v16
	s_delay_alu instid0(VALU_DEP_1) | instskip(NEXT) | instid1(VALU_DEP_2)
	v_add_f32_e32 v47, v49, v47
	v_sub_f32_e32 v49, v49, v48
	s_delay_alu instid0(VALU_DEP_2) | instskip(NEXT) | instid1(VALU_DEP_2)
	v_dual_sub_f32 v17, v17, v48 :: v_dual_add_f32 v52, v51, v47
	v_sub_f32_e32 v16, v16, v49
	s_delay_alu instid0(VALU_DEP_2) | instskip(NEXT) | instid1(VALU_DEP_2)
	v_sub_f32_e32 v48, v52, v51
	v_add_f32_e32 v16, v17, v16
	s_delay_alu instid0(VALU_DEP_2) | instskip(NEXT) | instid1(VALU_DEP_1)
	v_sub_f32_e32 v17, v47, v48
	v_add_f32_e32 v16, v16, v17
	s_delay_alu instid0(VALU_DEP_1) | instskip(NEXT) | instid1(VALU_DEP_1)
	v_add_f32_e32 v16, v52, v16
	v_cndmask_b32_e64 v16, v16, v46, s0
	s_delay_alu instid0(VALU_DEP_1)
	v_add_f32_e32 v17, v14, v16
.LBB511_126:
	s_or_b32 exec_lo, exec_lo, s1
	s_delay_alu instid0(VALU_DEP_1) | instskip(SKIP_1) | instid1(VALU_DEP_2)
	v_bfe_u32 v14, v17, 16, 1
	v_cmp_o_f32_e64 s0, v17, v17
	v_add3_u32 v14, v17, v14, 0x7fff
	s_delay_alu instid0(VALU_DEP_1) | instskip(NEXT) | instid1(VALU_DEP_1)
	v_lshrrev_b32_e32 v14, 16, v14
	v_cndmask_b32_e64 v14, 0x7fc0, v14, s0
	s_delay_alu instid0(VALU_DEP_1) | instskip(NEXT) | instid1(VALU_DEP_1)
	v_lshlrev_b32_e32 v16, 16, v14
	v_max_f32_e32 v17, v16, v16
	v_cmp_u_f32_e64 s0, v16, v16
	s_delay_alu instid0(VALU_DEP_2) | instskip(SKIP_1) | instid1(VALU_DEP_2)
	v_min_f32_e32 v46, v17, v18
	v_max_f32_e32 v17, v17, v18
	v_cndmask_b32_e64 v18, v46, v16, s0
	s_delay_alu instid0(VALU_DEP_2) | instskip(NEXT) | instid1(VALU_DEP_2)
	v_cndmask_b32_e64 v46, v17, v16, s0
	v_cndmask_b32_e64 v17, v18, v3, s25
	s_delay_alu instid0(VALU_DEP_2) | instskip(NEXT) | instid1(VALU_DEP_2)
	v_cndmask_b32_e64 v3, v46, v3, s25
	v_cmp_class_f32_e64 s1, v17, 0x1f8
	s_delay_alu instid0(VALU_DEP_2) | instskip(NEXT) | instid1(VALU_DEP_1)
	v_cmp_neq_f32_e64 s0, v17, v3
	s_or_b32 s0, s0, s1
	s_delay_alu instid0(SALU_CYCLE_1)
	s_and_saveexec_b32 s1, s0
	s_cbranch_execz .LBB511_128
; %bb.127:
	v_sub_f32_e32 v16, v17, v3
	s_delay_alu instid0(VALU_DEP_1) | instskip(SKIP_1) | instid1(VALU_DEP_2)
	v_mul_f32_e32 v17, 0x3fb8aa3b, v16
	v_cmp_ngt_f32_e64 s0, 0xc2ce8ed0, v16
	v_fma_f32 v18, 0x3fb8aa3b, v16, -v17
	v_rndne_f32_e32 v46, v17
	s_delay_alu instid0(VALU_DEP_1) | instskip(NEXT) | instid1(VALU_DEP_1)
	v_dual_fmamk_f32 v18, v16, 0x32a5705f, v18 :: v_dual_sub_f32 v17, v17, v46
	v_add_f32_e32 v17, v17, v18
	v_cvt_i32_f32_e32 v18, v46
	s_delay_alu instid0(VALU_DEP_2) | instskip(SKIP_2) | instid1(VALU_DEP_1)
	v_exp_f32_e32 v17, v17
	s_waitcnt_depctr 0xfff
	v_ldexp_f32 v17, v17, v18
	v_cndmask_b32_e64 v17, 0, v17, s0
	v_cmp_nlt_f32_e64 s0, 0x42b17218, v16
	s_delay_alu instid0(VALU_DEP_1) | instskip(NEXT) | instid1(VALU_DEP_1)
	v_cndmask_b32_e64 v18, 0x7f800000, v17, s0
	v_add_f32_e32 v46, 1.0, v18
	v_cmp_gt_f32_e64 s23, 0x33800000, |v18|
	s_delay_alu instid0(VALU_DEP_2) | instskip(NEXT) | instid1(VALU_DEP_1)
	v_cvt_f64_f32_e32 v[16:17], v46
	v_frexp_exp_i32_f64_e32 v16, v[16:17]
	v_frexp_mant_f32_e32 v17, v46
	s_delay_alu instid0(VALU_DEP_1) | instskip(SKIP_1) | instid1(VALU_DEP_1)
	v_cmp_gt_f32_e64 s0, 0x3f2aaaab, v17
	v_add_f32_e32 v17, -1.0, v46
	v_dual_sub_f32 v48, v17, v46 :: v_dual_sub_f32 v17, v18, v17
	s_delay_alu instid0(VALU_DEP_1) | instskip(NEXT) | instid1(VALU_DEP_4)
	v_add_f32_e32 v48, 1.0, v48
	v_subrev_co_ci_u32_e64 v16, s0, 0, v16, s0
	s_mov_b32 s0, 0x3e9b6dac
	s_delay_alu instid0(VALU_DEP_1) | instskip(SKIP_1) | instid1(VALU_DEP_2)
	v_sub_nc_u32_e32 v47, 0, v16
	v_cvt_f32_i32_e32 v16, v16
	v_ldexp_f32 v46, v46, v47
	s_delay_alu instid0(VALU_DEP_1) | instskip(NEXT) | instid1(VALU_DEP_1)
	v_add_f32_e32 v49, 1.0, v46
	v_dual_add_f32 v17, v17, v48 :: v_dual_add_f32 v48, -1.0, v49
	s_delay_alu instid0(VALU_DEP_1) | instskip(NEXT) | instid1(VALU_DEP_2)
	v_ldexp_f32 v17, v17, v47
	v_dual_sub_f32 v48, v46, v48 :: v_dual_add_f32 v47, -1.0, v46
	s_waitcnt lgkmcnt(0)
	s_delay_alu instid0(VALU_DEP_1) | instskip(NEXT) | instid1(VALU_DEP_1)
	v_dual_add_f32 v48, v17, v48 :: v_dual_add_f32 v51, 1.0, v47
	v_dual_sub_f32 v46, v46, v51 :: v_dual_add_f32 v51, v49, v48
	s_delay_alu instid0(VALU_DEP_1) | instskip(NEXT) | instid1(VALU_DEP_2)
	v_add_f32_e32 v17, v17, v46
	v_rcp_f32_e32 v46, v51
	s_delay_alu instid0(VALU_DEP_1) | instskip(NEXT) | instid1(VALU_DEP_1)
	v_dual_add_f32 v52, v47, v17 :: v_dual_sub_f32 v49, v49, v51
	v_sub_f32_e32 v47, v47, v52
	s_waitcnt_depctr 0xfff
	v_mul_f32_e32 v53, v52, v46
	v_add_f32_e32 v48, v48, v49
	s_delay_alu instid0(VALU_DEP_2) | instskip(NEXT) | instid1(VALU_DEP_1)
	v_dual_mul_f32 v54, v51, v53 :: v_dual_add_f32 v17, v17, v47
	v_fma_f32 v49, v53, v51, -v54
	s_delay_alu instid0(VALU_DEP_1) | instskip(NEXT) | instid1(VALU_DEP_1)
	v_fmac_f32_e32 v49, v53, v48
	v_add_f32_e32 v55, v54, v49
	s_delay_alu instid0(VALU_DEP_1) | instskip(NEXT) | instid1(VALU_DEP_1)
	v_sub_f32_e32 v56, v52, v55
	v_dual_sub_f32 v52, v52, v56 :: v_dual_sub_f32 v47, v55, v54
	s_delay_alu instid0(VALU_DEP_1) | instskip(NEXT) | instid1(VALU_DEP_1)
	v_dual_sub_f32 v52, v52, v55 :: v_dual_sub_f32 v47, v47, v49
	v_add_f32_e32 v17, v17, v52
	s_delay_alu instid0(VALU_DEP_1) | instskip(NEXT) | instid1(VALU_DEP_1)
	v_add_f32_e32 v17, v47, v17
	v_add_f32_e32 v47, v56, v17
	s_delay_alu instid0(VALU_DEP_1) | instskip(NEXT) | instid1(VALU_DEP_1)
	v_mul_f32_e32 v49, v46, v47
	v_dual_sub_f32 v55, v56, v47 :: v_dual_mul_f32 v52, v51, v49
	s_delay_alu instid0(VALU_DEP_1) | instskip(NEXT) | instid1(VALU_DEP_2)
	v_add_f32_e32 v17, v17, v55
	v_fma_f32 v51, v49, v51, -v52
	s_delay_alu instid0(VALU_DEP_1) | instskip(NEXT) | instid1(VALU_DEP_1)
	v_fmac_f32_e32 v51, v49, v48
	v_add_f32_e32 v48, v52, v51
	s_delay_alu instid0(VALU_DEP_1) | instskip(NEXT) | instid1(VALU_DEP_1)
	v_sub_f32_e32 v54, v47, v48
	v_dual_sub_f32 v52, v48, v52 :: v_dual_sub_f32 v47, v47, v54
	s_delay_alu instid0(VALU_DEP_1) | instskip(NEXT) | instid1(VALU_DEP_1)
	v_dual_sub_f32 v47, v47, v48 :: v_dual_sub_f32 v48, v52, v51
	v_add_f32_e32 v17, v17, v47
	v_add_f32_e32 v47, v53, v49
	s_delay_alu instid0(VALU_DEP_2) | instskip(NEXT) | instid1(VALU_DEP_2)
	v_add_f32_e32 v17, v48, v17
	v_sub_f32_e32 v48, v47, v53
	s_delay_alu instid0(VALU_DEP_1) | instskip(NEXT) | instid1(VALU_DEP_1)
	v_dual_add_f32 v17, v54, v17 :: v_dual_sub_f32 v48, v49, v48
	v_mul_f32_e32 v17, v46, v17
	s_delay_alu instid0(VALU_DEP_1) | instskip(NEXT) | instid1(VALU_DEP_1)
	v_add_f32_e32 v17, v48, v17
	v_add_f32_e32 v46, v47, v17
	s_delay_alu instid0(VALU_DEP_1) | instskip(NEXT) | instid1(VALU_DEP_1)
	v_mul_f32_e32 v48, v46, v46
	v_fmaak_f32 v49, s0, v48, 0x3ecc95a3
	v_mul_f32_e32 v51, v46, v48
	v_cmp_eq_f32_e64 s0, 0x7f800000, v18
	s_delay_alu instid0(VALU_DEP_3) | instskip(SKIP_2) | instid1(VALU_DEP_4)
	v_fmaak_f32 v48, v48, v49, 0x3f2aaada
	v_ldexp_f32 v49, v46, 1
	v_sub_f32_e32 v46, v46, v47
	s_or_b32 s0, s0, s23
	s_delay_alu instid0(VALU_DEP_3) | instskip(SKIP_1) | instid1(VALU_DEP_3)
	v_mul_f32_e32 v48, v51, v48
	v_mul_f32_e32 v51, 0x3f317218, v16
	v_sub_f32_e32 v17, v17, v46
	s_delay_alu instid0(VALU_DEP_3) | instskip(NEXT) | instid1(VALU_DEP_2)
	v_add_f32_e32 v47, v49, v48
	v_ldexp_f32 v17, v17, 1
	s_delay_alu instid0(VALU_DEP_2) | instskip(SKIP_1) | instid1(VALU_DEP_2)
	v_sub_f32_e32 v46, v47, v49
	v_fma_f32 v49, 0x3f317218, v16, -v51
	v_sub_f32_e32 v46, v48, v46
	s_delay_alu instid0(VALU_DEP_1) | instskip(NEXT) | instid1(VALU_DEP_1)
	v_dual_fmamk_f32 v16, v16, 0xb102e308, v49 :: v_dual_add_f32 v17, v17, v46
	v_add_f32_e32 v46, v51, v16
	s_delay_alu instid0(VALU_DEP_1) | instskip(NEXT) | instid1(VALU_DEP_1)
	v_dual_add_f32 v48, v47, v17 :: v_dual_sub_f32 v51, v46, v51
	v_dual_add_f32 v49, v46, v48 :: v_dual_sub_f32 v16, v16, v51
	s_delay_alu instid0(VALU_DEP_1) | instskip(NEXT) | instid1(VALU_DEP_1)
	v_sub_f32_e32 v52, v49, v46
	v_sub_f32_e32 v53, v49, v52
	s_delay_alu instid0(VALU_DEP_1) | instskip(NEXT) | instid1(VALU_DEP_1)
	v_dual_sub_f32 v46, v46, v53 :: v_dual_sub_f32 v47, v48, v47
	v_sub_f32_e32 v17, v17, v47
	v_sub_f32_e32 v47, v48, v52
	s_delay_alu instid0(VALU_DEP_2) | instskip(NEXT) | instid1(VALU_DEP_1)
	v_add_f32_e32 v48, v16, v17
	v_dual_add_f32 v46, v47, v46 :: v_dual_sub_f32 v47, v48, v16
	s_delay_alu instid0(VALU_DEP_1) | instskip(NEXT) | instid1(VALU_DEP_1)
	v_add_f32_e32 v46, v48, v46
	v_dual_sub_f32 v48, v48, v47 :: v_dual_add_f32 v51, v49, v46
	s_delay_alu instid0(VALU_DEP_1) | instskip(NEXT) | instid1(VALU_DEP_1)
	v_dual_sub_f32 v17, v17, v47 :: v_dual_sub_f32 v16, v16, v48
	v_dual_sub_f32 v47, v51, v49 :: v_dual_add_f32 v16, v17, v16
	s_delay_alu instid0(VALU_DEP_1) | instskip(NEXT) | instid1(VALU_DEP_1)
	v_sub_f32_e32 v17, v46, v47
	v_add_f32_e32 v16, v16, v17
	s_delay_alu instid0(VALU_DEP_1) | instskip(NEXT) | instid1(VALU_DEP_1)
	v_add_f32_e32 v16, v51, v16
	v_cndmask_b32_e64 v16, v16, v18, s0
	s_delay_alu instid0(VALU_DEP_1)
	v_add_f32_e32 v16, v3, v16
.LBB511_128:
	s_or_b32 exec_lo, exec_lo, s1
	s_delay_alu instid0(VALU_DEP_1) | instskip(SKIP_1) | instid1(VALU_DEP_2)
	v_bfe_u32 v3, v16, 16, 1
	v_cmp_o_f32_e64 s0, v16, v16
	v_add3_u32 v3, v16, v3, 0x7fff
	s_delay_alu instid0(VALU_DEP_1) | instskip(NEXT) | instid1(VALU_DEP_1)
	v_lshrrev_b32_e32 v3, 16, v3
	v_cndmask_b32_e64 v3, 0x7fc0, v3, s0
	s_delay_alu instid0(VALU_DEP_1) | instskip(NEXT) | instid1(VALU_DEP_1)
	v_lshlrev_b32_e32 v16, 16, v3
	v_max_f32_e32 v17, v16, v16
	s_delay_alu instid0(VALU_DEP_1) | instskip(SKIP_2) | instid1(VALU_DEP_1)
	v_min_f32_e32 v18, v17, v20
	v_max_f32_e32 v17, v17, v20
	v_cmp_u_f32_e64 s0, v16, v16
	v_cndmask_b32_e64 v18, v18, v16, s0
	s_delay_alu instid0(VALU_DEP_3) | instskip(NEXT) | instid1(VALU_DEP_2)
	v_cndmask_b32_e64 v20, v17, v16, s0
	v_cndmask_b32_e64 v17, v18, v15, s26
	s_delay_alu instid0(VALU_DEP_2) | instskip(NEXT) | instid1(VALU_DEP_2)
	v_cndmask_b32_e64 v15, v20, v15, s26
	v_cmp_class_f32_e64 s1, v17, 0x1f8
	s_delay_alu instid0(VALU_DEP_2) | instskip(NEXT) | instid1(VALU_DEP_1)
	v_cmp_neq_f32_e64 s0, v17, v15
	s_or_b32 s0, s0, s1
	s_delay_alu instid0(SALU_CYCLE_1)
	s_and_saveexec_b32 s1, s0
	s_cbranch_execz .LBB511_130
; %bb.129:
	v_sub_f32_e32 v16, v17, v15
	s_delay_alu instid0(VALU_DEP_1) | instskip(SKIP_1) | instid1(VALU_DEP_2)
	v_mul_f32_e32 v17, 0x3fb8aa3b, v16
	v_cmp_ngt_f32_e64 s0, 0xc2ce8ed0, v16
	v_fma_f32 v18, 0x3fb8aa3b, v16, -v17
	v_rndne_f32_e32 v20, v17
	s_delay_alu instid0(VALU_DEP_1) | instskip(NEXT) | instid1(VALU_DEP_1)
	v_dual_fmamk_f32 v18, v16, 0x32a5705f, v18 :: v_dual_sub_f32 v17, v17, v20
	v_add_f32_e32 v17, v17, v18
	v_cvt_i32_f32_e32 v18, v20
	s_delay_alu instid0(VALU_DEP_2) | instskip(SKIP_2) | instid1(VALU_DEP_1)
	v_exp_f32_e32 v17, v17
	s_waitcnt_depctr 0xfff
	v_ldexp_f32 v17, v17, v18
	v_cndmask_b32_e64 v17, 0, v17, s0
	v_cmp_nlt_f32_e64 s0, 0x42b17218, v16
	s_delay_alu instid0(VALU_DEP_1) | instskip(NEXT) | instid1(VALU_DEP_1)
	v_cndmask_b32_e64 v18, 0x7f800000, v17, s0
	v_add_f32_e32 v20, 1.0, v18
	v_cmp_gt_f32_e64 s23, 0x33800000, |v18|
	s_delay_alu instid0(VALU_DEP_2) | instskip(NEXT) | instid1(VALU_DEP_1)
	v_cvt_f64_f32_e32 v[16:17], v20
	v_frexp_exp_i32_f64_e32 v16, v[16:17]
	v_frexp_mant_f32_e32 v17, v20
	s_delay_alu instid0(VALU_DEP_1) | instskip(SKIP_1) | instid1(VALU_DEP_1)
	v_cmp_gt_f32_e64 s0, 0x3f2aaaab, v17
	v_add_f32_e32 v17, -1.0, v20
	v_sub_f32_e32 v47, v17, v20
	s_delay_alu instid0(VALU_DEP_1) | instskip(NEXT) | instid1(VALU_DEP_4)
	v_add_f32_e32 v47, 1.0, v47
	v_subrev_co_ci_u32_e64 v16, s0, 0, v16, s0
	s_mov_b32 s0, 0x3e9b6dac
	s_delay_alu instid0(VALU_DEP_1) | instskip(SKIP_1) | instid1(VALU_DEP_2)
	v_sub_nc_u32_e32 v46, 0, v16
	v_cvt_f32_i32_e32 v16, v16
	v_ldexp_f32 v20, v20, v46
	s_delay_alu instid0(VALU_DEP_1) | instskip(NEXT) | instid1(VALU_DEP_1)
	v_dual_sub_f32 v17, v18, v17 :: v_dual_add_f32 v48, 1.0, v20
	v_add_f32_e32 v17, v17, v47
	s_delay_alu instid0(VALU_DEP_1) | instskip(SKIP_1) | instid1(VALU_DEP_4)
	v_ldexp_f32 v17, v17, v46
	v_add_f32_e32 v46, -1.0, v20
	v_add_f32_e32 v47, -1.0, v48
	s_delay_alu instid0(VALU_DEP_2) | instskip(NEXT) | instid1(VALU_DEP_2)
	v_add_f32_e32 v49, 1.0, v46
	v_sub_f32_e32 v47, v20, v47
	s_delay_alu instid0(VALU_DEP_1) | instskip(NEXT) | instid1(VALU_DEP_1)
	v_dual_sub_f32 v20, v20, v49 :: v_dual_add_f32 v47, v17, v47
	v_add_f32_e32 v17, v17, v20
	s_delay_alu instid0(VALU_DEP_2) | instskip(SKIP_1) | instid1(VALU_DEP_2)
	v_add_f32_e32 v49, v48, v47
	s_waitcnt lgkmcnt(0)
	v_add_f32_e32 v51, v46, v17
	s_delay_alu instid0(VALU_DEP_2) | instskip(SKIP_1) | instid1(VALU_DEP_1)
	v_rcp_f32_e32 v20, v49
	v_sub_f32_e32 v48, v48, v49
	v_dual_sub_f32 v46, v46, v51 :: v_dual_add_f32 v47, v47, v48
	s_waitcnt_depctr 0xfff
	v_dual_add_f32 v17, v17, v46 :: v_dual_mul_f32 v52, v51, v20
	s_delay_alu instid0(VALU_DEP_1) | instskip(NEXT) | instid1(VALU_DEP_1)
	v_mul_f32_e32 v53, v49, v52
	v_fma_f32 v48, v52, v49, -v53
	s_delay_alu instid0(VALU_DEP_1) | instskip(NEXT) | instid1(VALU_DEP_1)
	v_fmac_f32_e32 v48, v52, v47
	v_add_f32_e32 v54, v53, v48
	s_delay_alu instid0(VALU_DEP_1) | instskip(NEXT) | instid1(VALU_DEP_1)
	v_dual_sub_f32 v55, v51, v54 :: v_dual_sub_f32 v46, v54, v53
	v_dual_sub_f32 v51, v51, v55 :: v_dual_sub_f32 v46, v46, v48
	s_delay_alu instid0(VALU_DEP_1) | instskip(NEXT) | instid1(VALU_DEP_1)
	v_sub_f32_e32 v51, v51, v54
	v_add_f32_e32 v17, v17, v51
	s_delay_alu instid0(VALU_DEP_1) | instskip(NEXT) | instid1(VALU_DEP_1)
	v_add_f32_e32 v17, v46, v17
	v_add_f32_e32 v46, v55, v17
	s_delay_alu instid0(VALU_DEP_1) | instskip(NEXT) | instid1(VALU_DEP_1)
	v_mul_f32_e32 v48, v20, v46
	v_dual_sub_f32 v54, v55, v46 :: v_dual_mul_f32 v51, v49, v48
	s_delay_alu instid0(VALU_DEP_1) | instskip(NEXT) | instid1(VALU_DEP_2)
	v_add_f32_e32 v17, v17, v54
	v_fma_f32 v49, v48, v49, -v51
	s_delay_alu instid0(VALU_DEP_1) | instskip(NEXT) | instid1(VALU_DEP_1)
	v_fmac_f32_e32 v49, v48, v47
	v_add_f32_e32 v47, v51, v49
	s_delay_alu instid0(VALU_DEP_1) | instskip(NEXT) | instid1(VALU_DEP_1)
	v_sub_f32_e32 v53, v46, v47
	v_dual_sub_f32 v51, v47, v51 :: v_dual_sub_f32 v46, v46, v53
	s_delay_alu instid0(VALU_DEP_1) | instskip(NEXT) | instid1(VALU_DEP_1)
	v_dual_sub_f32 v46, v46, v47 :: v_dual_sub_f32 v47, v51, v49
	v_dual_add_f32 v17, v17, v46 :: v_dual_add_f32 v46, v52, v48
	s_delay_alu instid0(VALU_DEP_1) | instskip(NEXT) | instid1(VALU_DEP_2)
	v_add_f32_e32 v17, v47, v17
	v_sub_f32_e32 v47, v46, v52
	s_delay_alu instid0(VALU_DEP_2) | instskip(NEXT) | instid1(VALU_DEP_2)
	v_add_f32_e32 v17, v53, v17
	v_sub_f32_e32 v47, v48, v47
	s_delay_alu instid0(VALU_DEP_2) | instskip(NEXT) | instid1(VALU_DEP_1)
	v_mul_f32_e32 v17, v20, v17
	v_add_f32_e32 v17, v47, v17
	s_delay_alu instid0(VALU_DEP_1) | instskip(NEXT) | instid1(VALU_DEP_1)
	v_add_f32_e32 v20, v46, v17
	v_mul_f32_e32 v47, v20, v20
	s_delay_alu instid0(VALU_DEP_1) | instskip(SKIP_2) | instid1(VALU_DEP_3)
	v_fmaak_f32 v48, s0, v47, 0x3ecc95a3
	v_mul_f32_e32 v49, v20, v47
	v_cmp_eq_f32_e64 s0, 0x7f800000, v18
	v_fmaak_f32 v47, v47, v48, 0x3f2aaada
	v_ldexp_f32 v48, v20, 1
	v_sub_f32_e32 v20, v20, v46
	s_delay_alu instid0(VALU_DEP_4) | instskip(NEXT) | instid1(VALU_DEP_3)
	s_or_b32 s0, s0, s23
	v_mul_f32_e32 v47, v49, v47
	v_mul_f32_e32 v49, 0x3f317218, v16
	s_delay_alu instid0(VALU_DEP_2) | instskip(NEXT) | instid1(VALU_DEP_1)
	v_dual_sub_f32 v17, v17, v20 :: v_dual_add_f32 v46, v48, v47
	v_ldexp_f32 v17, v17, 1
	s_delay_alu instid0(VALU_DEP_2) | instskip(NEXT) | instid1(VALU_DEP_4)
	v_sub_f32_e32 v20, v46, v48
	v_fma_f32 v48, 0x3f317218, v16, -v49
	s_delay_alu instid0(VALU_DEP_2) | instskip(NEXT) | instid1(VALU_DEP_1)
	v_sub_f32_e32 v20, v47, v20
	v_dual_fmamk_f32 v16, v16, 0xb102e308, v48 :: v_dual_add_f32 v17, v17, v20
	s_delay_alu instid0(VALU_DEP_1) | instskip(NEXT) | instid1(VALU_DEP_1)
	v_dual_add_f32 v20, v49, v16 :: v_dual_add_f32 v47, v46, v17
	v_sub_f32_e32 v49, v20, v49
	s_delay_alu instid0(VALU_DEP_2) | instskip(SKIP_1) | instid1(VALU_DEP_3)
	v_add_f32_e32 v48, v20, v47
	v_sub_f32_e32 v46, v47, v46
	v_sub_f32_e32 v16, v16, v49
	s_delay_alu instid0(VALU_DEP_3) | instskip(NEXT) | instid1(VALU_DEP_1)
	v_sub_f32_e32 v51, v48, v20
	v_dual_sub_f32 v17, v17, v46 :: v_dual_sub_f32 v52, v48, v51
	s_delay_alu instid0(VALU_DEP_1) | instskip(NEXT) | instid1(VALU_DEP_2)
	v_dual_sub_f32 v46, v47, v51 :: v_dual_add_f32 v47, v16, v17
	v_sub_f32_e32 v20, v20, v52
	s_delay_alu instid0(VALU_DEP_1) | instskip(NEXT) | instid1(VALU_DEP_3)
	v_add_f32_e32 v20, v46, v20
	v_sub_f32_e32 v46, v47, v16
	s_delay_alu instid0(VALU_DEP_2) | instskip(NEXT) | instid1(VALU_DEP_2)
	v_add_f32_e32 v20, v47, v20
	v_sub_f32_e32 v47, v47, v46
	v_sub_f32_e32 v17, v17, v46
	s_delay_alu instid0(VALU_DEP_3) | instskip(NEXT) | instid1(VALU_DEP_3)
	v_add_f32_e32 v49, v48, v20
	v_sub_f32_e32 v16, v16, v47
	s_delay_alu instid0(VALU_DEP_2) | instskip(NEXT) | instid1(VALU_DEP_1)
	v_sub_f32_e32 v46, v49, v48
	v_dual_add_f32 v16, v17, v16 :: v_dual_sub_f32 v17, v20, v46
	s_delay_alu instid0(VALU_DEP_1) | instskip(NEXT) | instid1(VALU_DEP_1)
	v_add_f32_e32 v16, v16, v17
	v_add_f32_e32 v16, v49, v16
	s_delay_alu instid0(VALU_DEP_1) | instskip(NEXT) | instid1(VALU_DEP_1)
	v_cndmask_b32_e64 v16, v16, v18, s0
	v_add_f32_e32 v16, v15, v16
.LBB511_130:
	s_or_b32 exec_lo, exec_lo, s1
	s_delay_alu instid0(VALU_DEP_1) | instskip(SKIP_1) | instid1(VALU_DEP_2)
	v_bfe_u32 v15, v16, 16, 1
	v_cmp_o_f32_e64 s0, v16, v16
	v_add3_u32 v15, v16, v15, 0x7fff
	s_delay_alu instid0(VALU_DEP_1) | instskip(NEXT) | instid1(VALU_DEP_1)
	v_lshrrev_b32_e32 v15, 16, v15
	v_cndmask_b32_e64 v15, 0x7fc0, v15, s0
	s_delay_alu instid0(VALU_DEP_1) | instskip(NEXT) | instid1(VALU_DEP_1)
	v_lshlrev_b32_e32 v16, 16, v15
	v_max_f32_e32 v17, v16, v16
	s_delay_alu instid0(VALU_DEP_1) | instskip(SKIP_2) | instid1(VALU_DEP_1)
	v_min_f32_e32 v18, v17, v21
	v_max_f32_e32 v17, v17, v21
	v_cmp_u_f32_e64 s0, v16, v16
	v_cndmask_b32_e64 v18, v18, v16, s0
	s_delay_alu instid0(VALU_DEP_3) | instskip(NEXT) | instid1(VALU_DEP_2)
	v_cndmask_b32_e64 v20, v17, v16, s0
	v_cndmask_b32_e64 v17, v18, v10, s27
	s_delay_alu instid0(VALU_DEP_2) | instskip(NEXT) | instid1(VALU_DEP_2)
	v_cndmask_b32_e64 v10, v20, v10, s27
	v_cmp_class_f32_e64 s1, v17, 0x1f8
	s_delay_alu instid0(VALU_DEP_2) | instskip(NEXT) | instid1(VALU_DEP_1)
	v_cmp_neq_f32_e64 s0, v17, v10
	s_or_b32 s0, s0, s1
	s_delay_alu instid0(SALU_CYCLE_1)
	s_and_saveexec_b32 s1, s0
	s_cbranch_execz .LBB511_132
; %bb.131:
	v_sub_f32_e32 v16, v17, v10
	s_delay_alu instid0(VALU_DEP_1) | instskip(SKIP_1) | instid1(VALU_DEP_2)
	v_mul_f32_e32 v17, 0x3fb8aa3b, v16
	v_cmp_ngt_f32_e64 s0, 0xc2ce8ed0, v16
	v_fma_f32 v18, 0x3fb8aa3b, v16, -v17
	v_rndne_f32_e32 v20, v17
	s_delay_alu instid0(VALU_DEP_1) | instskip(NEXT) | instid1(VALU_DEP_1)
	v_dual_fmamk_f32 v18, v16, 0x32a5705f, v18 :: v_dual_sub_f32 v17, v17, v20
	v_add_f32_e32 v17, v17, v18
	v_cvt_i32_f32_e32 v18, v20
	s_delay_alu instid0(VALU_DEP_2) | instskip(SKIP_2) | instid1(VALU_DEP_1)
	v_exp_f32_e32 v17, v17
	s_waitcnt_depctr 0xfff
	v_ldexp_f32 v17, v17, v18
	v_cndmask_b32_e64 v17, 0, v17, s0
	v_cmp_nlt_f32_e64 s0, 0x42b17218, v16
	s_delay_alu instid0(VALU_DEP_1) | instskip(NEXT) | instid1(VALU_DEP_1)
	v_cndmask_b32_e64 v18, 0x7f800000, v17, s0
	v_add_f32_e32 v20, 1.0, v18
	v_cmp_gt_f32_e64 s23, 0x33800000, |v18|
	s_delay_alu instid0(VALU_DEP_2) | instskip(NEXT) | instid1(VALU_DEP_1)
	v_cvt_f64_f32_e32 v[16:17], v20
	v_frexp_exp_i32_f64_e32 v16, v[16:17]
	v_frexp_mant_f32_e32 v17, v20
	s_delay_alu instid0(VALU_DEP_1) | instskip(SKIP_1) | instid1(VALU_DEP_1)
	v_cmp_gt_f32_e64 s0, 0x3f2aaaab, v17
	v_add_f32_e32 v17, -1.0, v20
	v_dual_sub_f32 v46, v17, v20 :: v_dual_sub_f32 v17, v18, v17
	s_delay_alu instid0(VALU_DEP_3) | instskip(SKIP_1) | instid1(VALU_DEP_1)
	v_subrev_co_ci_u32_e64 v16, s0, 0, v16, s0
	s_mov_b32 s0, 0x3e9b6dac
	v_sub_nc_u32_e32 v21, 0, v16
	v_cvt_f32_i32_e32 v16, v16
	s_delay_alu instid0(VALU_DEP_2) | instskip(NEXT) | instid1(VALU_DEP_1)
	v_ldexp_f32 v20, v20, v21
	v_dual_add_f32 v46, 1.0, v46 :: v_dual_add_f32 v47, 1.0, v20
	s_delay_alu instid0(VALU_DEP_1) | instskip(NEXT) | instid1(VALU_DEP_1)
	v_dual_add_f32 v17, v17, v46 :: v_dual_add_f32 v46, -1.0, v47
	v_ldexp_f32 v17, v17, v21
	s_delay_alu instid0(VALU_DEP_2) | instskip(NEXT) | instid1(VALU_DEP_1)
	v_dual_add_f32 v21, -1.0, v20 :: v_dual_sub_f32 v46, v20, v46
	v_add_f32_e32 v48, 1.0, v21
	s_delay_alu instid0(VALU_DEP_2) | instskip(NEXT) | instid1(VALU_DEP_2)
	v_add_f32_e32 v46, v17, v46
	v_sub_f32_e32 v20, v20, v48
	s_delay_alu instid0(VALU_DEP_1) | instskip(NEXT) | instid1(VALU_DEP_1)
	v_dual_add_f32 v48, v47, v46 :: v_dual_add_f32 v17, v17, v20
	v_rcp_f32_e32 v20, v48
	v_sub_f32_e32 v47, v47, v48
	s_delay_alu instid0(VALU_DEP_1) | instskip(NEXT) | instid1(VALU_DEP_1)
	v_dual_add_f32 v49, v21, v17 :: v_dual_add_f32 v46, v46, v47
	v_sub_f32_e32 v21, v21, v49
	s_waitcnt lgkmcnt(0)
	s_waitcnt_depctr 0xfff
	v_mul_f32_e32 v51, v49, v20
	s_delay_alu instid0(VALU_DEP_1) | instskip(NEXT) | instid1(VALU_DEP_1)
	v_dual_add_f32 v17, v17, v21 :: v_dual_mul_f32 v52, v48, v51
	v_fma_f32 v47, v51, v48, -v52
	s_delay_alu instid0(VALU_DEP_1) | instskip(NEXT) | instid1(VALU_DEP_1)
	v_fmac_f32_e32 v47, v51, v46
	v_add_f32_e32 v53, v52, v47
	s_delay_alu instid0(VALU_DEP_1) | instskip(SKIP_1) | instid1(VALU_DEP_2)
	v_sub_f32_e32 v54, v49, v53
	v_sub_f32_e32 v21, v53, v52
	;; [unrolled: 1-line block ×3, first 2 shown]
	s_delay_alu instid0(VALU_DEP_2) | instskip(NEXT) | instid1(VALU_DEP_2)
	v_sub_f32_e32 v21, v21, v47
	v_sub_f32_e32 v49, v49, v53
	s_delay_alu instid0(VALU_DEP_1) | instskip(NEXT) | instid1(VALU_DEP_1)
	v_add_f32_e32 v17, v17, v49
	v_add_f32_e32 v17, v21, v17
	s_delay_alu instid0(VALU_DEP_1) | instskip(NEXT) | instid1(VALU_DEP_1)
	v_add_f32_e32 v21, v54, v17
	v_mul_f32_e32 v47, v20, v21
	s_delay_alu instid0(VALU_DEP_1) | instskip(NEXT) | instid1(VALU_DEP_1)
	v_mul_f32_e32 v49, v48, v47
	v_fma_f32 v48, v47, v48, -v49
	s_delay_alu instid0(VALU_DEP_1) | instskip(NEXT) | instid1(VALU_DEP_1)
	v_fmac_f32_e32 v48, v47, v46
	v_add_f32_e32 v46, v49, v48
	s_delay_alu instid0(VALU_DEP_1) | instskip(SKIP_1) | instid1(VALU_DEP_2)
	v_dual_sub_f32 v52, v21, v46 :: v_dual_sub_f32 v49, v46, v49
	v_sub_f32_e32 v53, v54, v21
	v_sub_f32_e32 v21, v21, v52
	s_delay_alu instid0(VALU_DEP_1) | instskip(NEXT) | instid1(VALU_DEP_4)
	v_sub_f32_e32 v21, v21, v46
	v_sub_f32_e32 v46, v49, v48
	s_delay_alu instid0(VALU_DEP_4) | instskip(NEXT) | instid1(VALU_DEP_1)
	v_add_f32_e32 v17, v17, v53
	v_add_f32_e32 v17, v17, v21
	;; [unrolled: 1-line block ×3, first 2 shown]
	s_delay_alu instid0(VALU_DEP_1) | instskip(NEXT) | instid1(VALU_DEP_1)
	v_dual_add_f32 v17, v46, v17 :: v_dual_sub_f32 v46, v21, v51
	v_dual_add_f32 v17, v52, v17 :: v_dual_sub_f32 v46, v47, v46
	s_delay_alu instid0(VALU_DEP_1) | instskip(NEXT) | instid1(VALU_DEP_1)
	v_mul_f32_e32 v17, v20, v17
	v_add_f32_e32 v17, v46, v17
	s_delay_alu instid0(VALU_DEP_1) | instskip(NEXT) | instid1(VALU_DEP_1)
	v_add_f32_e32 v20, v21, v17
	v_mul_f32_e32 v46, v20, v20
	s_delay_alu instid0(VALU_DEP_1) | instskip(SKIP_2) | instid1(VALU_DEP_3)
	v_fmaak_f32 v47, s0, v46, 0x3ecc95a3
	v_mul_f32_e32 v48, v20, v46
	v_cmp_eq_f32_e64 s0, 0x7f800000, v18
	v_fmaak_f32 v46, v46, v47, 0x3f2aaada
	v_ldexp_f32 v47, v20, 1
	s_delay_alu instid0(VALU_DEP_3) | instskip(NEXT) | instid1(VALU_DEP_2)
	s_or_b32 s0, s0, s23
	v_mul_f32_e32 v46, v48, v46
	v_sub_f32_e32 v20, v20, v21
	s_delay_alu instid0(VALU_DEP_2) | instskip(NEXT) | instid1(VALU_DEP_2)
	v_dual_mul_f32 v48, 0x3f317218, v16 :: v_dual_add_f32 v21, v47, v46
	v_sub_f32_e32 v17, v17, v20
	s_delay_alu instid0(VALU_DEP_2) | instskip(NEXT) | instid1(VALU_DEP_3)
	v_sub_f32_e32 v20, v21, v47
	v_fma_f32 v47, 0x3f317218, v16, -v48
	s_delay_alu instid0(VALU_DEP_3) | instskip(NEXT) | instid1(VALU_DEP_3)
	v_ldexp_f32 v17, v17, 1
	v_sub_f32_e32 v20, v46, v20
	s_delay_alu instid0(VALU_DEP_1) | instskip(NEXT) | instid1(VALU_DEP_1)
	v_dual_fmamk_f32 v16, v16, 0xb102e308, v47 :: v_dual_add_f32 v17, v17, v20
	v_add_f32_e32 v20, v48, v16
	s_delay_alu instid0(VALU_DEP_2) | instskip(NEXT) | instid1(VALU_DEP_2)
	v_add_f32_e32 v46, v21, v17
	v_sub_f32_e32 v48, v20, v48
	s_delay_alu instid0(VALU_DEP_2) | instskip(NEXT) | instid1(VALU_DEP_2)
	v_add_f32_e32 v47, v20, v46
	v_sub_f32_e32 v16, v16, v48
	s_delay_alu instid0(VALU_DEP_2) | instskip(SKIP_1) | instid1(VALU_DEP_2)
	v_sub_f32_e32 v49, v47, v20
	v_sub_f32_e32 v21, v46, v21
	;; [unrolled: 1-line block ×3, first 2 shown]
	s_delay_alu instid0(VALU_DEP_2) | instskip(NEXT) | instid1(VALU_DEP_2)
	v_sub_f32_e32 v17, v17, v21
	v_dual_sub_f32 v21, v46, v49 :: v_dual_sub_f32 v20, v20, v51
	s_delay_alu instid0(VALU_DEP_2) | instskip(NEXT) | instid1(VALU_DEP_2)
	v_add_f32_e32 v46, v16, v17
	v_add_f32_e32 v20, v21, v20
	s_delay_alu instid0(VALU_DEP_2) | instskip(NEXT) | instid1(VALU_DEP_2)
	v_sub_f32_e32 v21, v46, v16
	v_add_f32_e32 v20, v46, v20
	s_delay_alu instid0(VALU_DEP_2) | instskip(NEXT) | instid1(VALU_DEP_1)
	v_sub_f32_e32 v46, v46, v21
	v_dual_sub_f32 v17, v17, v21 :: v_dual_sub_f32 v16, v16, v46
	s_delay_alu instid0(VALU_DEP_1) | instskip(NEXT) | instid1(VALU_DEP_4)
	v_add_f32_e32 v16, v17, v16
	v_add_f32_e32 v48, v47, v20
	s_delay_alu instid0(VALU_DEP_1) | instskip(NEXT) | instid1(VALU_DEP_1)
	v_sub_f32_e32 v21, v48, v47
	v_sub_f32_e32 v17, v20, v21
	s_delay_alu instid0(VALU_DEP_1) | instskip(NEXT) | instid1(VALU_DEP_1)
	v_add_f32_e32 v16, v16, v17
	v_add_f32_e32 v16, v48, v16
	s_delay_alu instid0(VALU_DEP_1) | instskip(NEXT) | instid1(VALU_DEP_1)
	v_cndmask_b32_e64 v16, v16, v18, s0
	v_add_f32_e32 v16, v10, v16
.LBB511_132:
	s_or_b32 exec_lo, exec_lo, s1
	s_delay_alu instid0(VALU_DEP_1) | instskip(SKIP_1) | instid1(VALU_DEP_2)
	v_bfe_u32 v10, v16, 16, 1
	v_cmp_o_f32_e64 s0, v16, v16
	v_add3_u32 v10, v16, v10, 0x7fff
	s_delay_alu instid0(VALU_DEP_1) | instskip(NEXT) | instid1(VALU_DEP_1)
	v_lshrrev_b32_e32 v10, 16, v10
	v_cndmask_b32_e64 v10, 0x7fc0, v10, s0
	s_delay_alu instid0(VALU_DEP_1) | instskip(NEXT) | instid1(VALU_DEP_1)
	v_lshlrev_b32_e32 v17, 16, v10
	v_max_f32_e32 v16, v17, v17
	s_delay_alu instid0(VALU_DEP_1) | instskip(SKIP_2) | instid1(VALU_DEP_1)
	v_min_f32_e32 v18, v16, v23
	v_max_f32_e32 v16, v16, v23
	v_cmp_u_f32_e64 s0, v17, v17
	v_cndmask_b32_e64 v18, v18, v17, s0
	s_delay_alu instid0(VALU_DEP_3) | instskip(NEXT) | instid1(VALU_DEP_2)
	v_cndmask_b32_e64 v16, v16, v17, s0
	v_cndmask_b32_e64 v18, v18, v19, s28
	s_delay_alu instid0(VALU_DEP_2) | instskip(NEXT) | instid1(VALU_DEP_2)
	v_cndmask_b32_e64 v16, v16, v19, s28
	v_cmp_class_f32_e64 s1, v18, 0x1f8
	s_delay_alu instid0(VALU_DEP_2) | instskip(NEXT) | instid1(VALU_DEP_1)
	v_cmp_neq_f32_e64 s0, v18, v16
	s_or_b32 s0, s0, s1
	s_delay_alu instid0(SALU_CYCLE_1)
	s_and_saveexec_b32 s1, s0
	s_cbranch_execz .LBB511_134
; %bb.133:
	v_sub_f32_e32 v17, v18, v16
	s_delay_alu instid0(VALU_DEP_1) | instskip(SKIP_1) | instid1(VALU_DEP_2)
	v_mul_f32_e32 v18, 0x3fb8aa3b, v17
	v_cmp_ngt_f32_e64 s0, 0xc2ce8ed0, v17
	v_fma_f32 v19, 0x3fb8aa3b, v17, -v18
	v_rndne_f32_e32 v20, v18
	s_delay_alu instid0(VALU_DEP_1) | instskip(NEXT) | instid1(VALU_DEP_1)
	v_dual_fmamk_f32 v19, v17, 0x32a5705f, v19 :: v_dual_sub_f32 v18, v18, v20
	v_add_f32_e32 v18, v18, v19
	v_cvt_i32_f32_e32 v19, v20
	s_delay_alu instid0(VALU_DEP_2) | instskip(SKIP_2) | instid1(VALU_DEP_1)
	v_exp_f32_e32 v18, v18
	s_waitcnt_depctr 0xfff
	v_ldexp_f32 v18, v18, v19
	v_cndmask_b32_e64 v18, 0, v18, s0
	v_cmp_nlt_f32_e64 s0, 0x42b17218, v17
	s_delay_alu instid0(VALU_DEP_1) | instskip(NEXT) | instid1(VALU_DEP_1)
	v_cndmask_b32_e64 v19, 0x7f800000, v18, s0
	v_add_f32_e32 v20, 1.0, v19
	v_cmp_gt_f32_e64 s23, 0x33800000, |v19|
	s_delay_alu instid0(VALU_DEP_2) | instskip(NEXT) | instid1(VALU_DEP_1)
	v_cvt_f64_f32_e32 v[17:18], v20
	v_frexp_exp_i32_f64_e32 v17, v[17:18]
	v_frexp_mant_f32_e32 v18, v20
	s_delay_alu instid0(VALU_DEP_1) | instskip(SKIP_1) | instid1(VALU_DEP_1)
	v_cmp_gt_f32_e64 s0, 0x3f2aaaab, v18
	v_add_f32_e32 v18, -1.0, v20
	v_dual_sub_f32 v23, v18, v20 :: v_dual_sub_f32 v18, v19, v18
	s_delay_alu instid0(VALU_DEP_1) | instskip(NEXT) | instid1(VALU_DEP_4)
	v_add_f32_e32 v23, 1.0, v23
	v_subrev_co_ci_u32_e64 v17, s0, 0, v17, s0
	s_mov_b32 s0, 0x3e9b6dac
	s_delay_alu instid0(VALU_DEP_1) | instskip(SKIP_1) | instid1(VALU_DEP_2)
	v_sub_nc_u32_e32 v21, 0, v17
	v_cvt_f32_i32_e32 v17, v17
	v_ldexp_f32 v20, v20, v21
	v_add_f32_e32 v18, v18, v23
	s_delay_alu instid0(VALU_DEP_1) | instskip(NEXT) | instid1(VALU_DEP_3)
	v_ldexp_f32 v18, v18, v21
	v_add_f32_e32 v21, -1.0, v20
	s_delay_alu instid0(VALU_DEP_1) | instskip(NEXT) | instid1(VALU_DEP_1)
	v_dual_add_f32 v46, 1.0, v20 :: v_dual_add_f32 v47, 1.0, v21
	v_add_f32_e32 v23, -1.0, v46
	s_delay_alu instid0(VALU_DEP_1) | instskip(NEXT) | instid1(VALU_DEP_3)
	v_sub_f32_e32 v23, v20, v23
	v_sub_f32_e32 v20, v20, v47
	s_delay_alu instid0(VALU_DEP_2) | instskip(NEXT) | instid1(VALU_DEP_2)
	v_add_f32_e32 v23, v18, v23
	v_add_f32_e32 v18, v18, v20
	s_delay_alu instid0(VALU_DEP_1) | instskip(NEXT) | instid1(VALU_DEP_1)
	v_dual_add_f32 v48, v21, v18 :: v_dual_add_f32 v47, v46, v23
	v_rcp_f32_e32 v20, v47
	v_sub_f32_e32 v46, v46, v47
	s_delay_alu instid0(VALU_DEP_1) | instskip(SKIP_3) | instid1(VALU_DEP_1)
	v_add_f32_e32 v23, v23, v46
	s_waitcnt_depctr 0xfff
	v_mul_f32_e32 v49, v48, v20
	s_waitcnt lgkmcnt(0)
	v_mul_f32_e32 v51, v47, v49
	s_delay_alu instid0(VALU_DEP_1) | instskip(NEXT) | instid1(VALU_DEP_1)
	v_fma_f32 v46, v49, v47, -v51
	v_fmac_f32_e32 v46, v49, v23
	s_delay_alu instid0(VALU_DEP_1) | instskip(NEXT) | instid1(VALU_DEP_1)
	v_add_f32_e32 v52, v51, v46
	v_sub_f32_e32 v53, v48, v52
	s_delay_alu instid0(VALU_DEP_1) | instskip(NEXT) | instid1(VALU_DEP_1)
	v_dual_sub_f32 v21, v21, v48 :: v_dual_sub_f32 v48, v48, v53
	v_dual_add_f32 v18, v18, v21 :: v_dual_sub_f32 v21, v52, v51
	s_delay_alu instid0(VALU_DEP_1) | instskip(NEXT) | instid1(VALU_DEP_1)
	v_dual_sub_f32 v48, v48, v52 :: v_dual_sub_f32 v21, v21, v46
	v_add_f32_e32 v18, v18, v48
	s_delay_alu instid0(VALU_DEP_1) | instskip(NEXT) | instid1(VALU_DEP_1)
	v_add_f32_e32 v18, v21, v18
	v_add_f32_e32 v21, v53, v18
	s_delay_alu instid0(VALU_DEP_1) | instskip(NEXT) | instid1(VALU_DEP_1)
	v_mul_f32_e32 v46, v20, v21
	v_mul_f32_e32 v48, v47, v46
	s_delay_alu instid0(VALU_DEP_1) | instskip(NEXT) | instid1(VALU_DEP_1)
	v_fma_f32 v47, v46, v47, -v48
	v_dual_fmac_f32 v47, v46, v23 :: v_dual_sub_f32 v52, v53, v21
	s_delay_alu instid0(VALU_DEP_1) | instskip(NEXT) | instid1(VALU_DEP_1)
	v_dual_add_f32 v23, v48, v47 :: v_dual_add_f32 v18, v18, v52
	v_sub_f32_e32 v51, v21, v23
	s_delay_alu instid0(VALU_DEP_1) | instskip(NEXT) | instid1(VALU_DEP_1)
	v_dual_sub_f32 v21, v21, v51 :: v_dual_sub_f32 v48, v23, v48
	v_sub_f32_e32 v21, v21, v23
	s_delay_alu instid0(VALU_DEP_1) | instskip(SKIP_1) | instid1(VALU_DEP_1)
	v_dual_sub_f32 v23, v48, v47 :: v_dual_add_f32 v18, v18, v21
	v_add_f32_e32 v21, v49, v46
	v_dual_add_f32 v18, v23, v18 :: v_dual_sub_f32 v23, v21, v49
	s_delay_alu instid0(VALU_DEP_1) | instskip(NEXT) | instid1(VALU_DEP_1)
	v_dual_add_f32 v18, v51, v18 :: v_dual_sub_f32 v23, v46, v23
	v_mul_f32_e32 v18, v20, v18
	s_delay_alu instid0(VALU_DEP_1) | instskip(NEXT) | instid1(VALU_DEP_1)
	v_add_f32_e32 v18, v23, v18
	v_add_f32_e32 v20, v21, v18
	s_delay_alu instid0(VALU_DEP_1) | instskip(NEXT) | instid1(VALU_DEP_1)
	v_mul_f32_e32 v23, v20, v20
	v_fmaak_f32 v46, s0, v23, 0x3ecc95a3
	v_mul_f32_e32 v47, v20, v23
	v_cmp_eq_f32_e64 s0, 0x7f800000, v19
	s_delay_alu instid0(VALU_DEP_3) | instskip(SKIP_2) | instid1(VALU_DEP_4)
	v_fmaak_f32 v23, v23, v46, 0x3f2aaada
	v_ldexp_f32 v46, v20, 1
	v_sub_f32_e32 v20, v20, v21
	s_or_b32 s0, s0, s23
	s_delay_alu instid0(VALU_DEP_1) | instskip(NEXT) | instid1(VALU_DEP_1)
	v_dual_sub_f32 v18, v18, v20 :: v_dual_mul_f32 v23, v47, v23
	v_ldexp_f32 v18, v18, 1
	s_delay_alu instid0(VALU_DEP_2) | instskip(NEXT) | instid1(VALU_DEP_1)
	v_add_f32_e32 v21, v46, v23
	v_dual_mul_f32 v47, 0x3f317218, v17 :: v_dual_sub_f32 v20, v21, v46
	s_delay_alu instid0(VALU_DEP_1) | instskip(NEXT) | instid1(VALU_DEP_1)
	v_fma_f32 v46, 0x3f317218, v17, -v47
	v_dual_sub_f32 v20, v23, v20 :: v_dual_fmamk_f32 v17, v17, 0xb102e308, v46
	s_delay_alu instid0(VALU_DEP_1) | instskip(NEXT) | instid1(VALU_DEP_2)
	v_add_f32_e32 v18, v18, v20
	v_add_f32_e32 v20, v47, v17
	s_delay_alu instid0(VALU_DEP_1) | instskip(NEXT) | instid1(VALU_DEP_3)
	v_sub_f32_e32 v47, v20, v47
	v_add_f32_e32 v23, v21, v18
	s_delay_alu instid0(VALU_DEP_2) | instskip(NEXT) | instid1(VALU_DEP_2)
	v_sub_f32_e32 v17, v17, v47
	v_dual_add_f32 v46, v20, v23 :: v_dual_sub_f32 v21, v23, v21
	s_delay_alu instid0(VALU_DEP_1) | instskip(NEXT) | instid1(VALU_DEP_1)
	v_sub_f32_e32 v48, v46, v20
	v_dual_sub_f32 v18, v18, v21 :: v_dual_sub_f32 v21, v23, v48
	v_sub_f32_e32 v49, v46, v48
	s_delay_alu instid0(VALU_DEP_1) | instskip(NEXT) | instid1(VALU_DEP_1)
	v_dual_add_f32 v23, v17, v18 :: v_dual_sub_f32 v20, v20, v49
	v_dual_add_f32 v20, v21, v20 :: v_dual_sub_f32 v21, v23, v17
	s_delay_alu instid0(VALU_DEP_1) | instskip(NEXT) | instid1(VALU_DEP_2)
	v_add_f32_e32 v20, v23, v20
	v_sub_f32_e32 v23, v23, v21
	s_delay_alu instid0(VALU_DEP_1) | instskip(NEXT) | instid1(VALU_DEP_3)
	v_sub_f32_e32 v17, v17, v23
	v_add_f32_e32 v47, v46, v20
	s_delay_alu instid0(VALU_DEP_1) | instskip(NEXT) | instid1(VALU_DEP_1)
	v_dual_sub_f32 v18, v18, v21 :: v_dual_sub_f32 v21, v47, v46
	v_add_f32_e32 v17, v18, v17
	s_delay_alu instid0(VALU_DEP_2) | instskip(NEXT) | instid1(VALU_DEP_1)
	v_sub_f32_e32 v18, v20, v21
	v_add_f32_e32 v17, v17, v18
	s_delay_alu instid0(VALU_DEP_1) | instskip(NEXT) | instid1(VALU_DEP_1)
	v_add_f32_e32 v17, v47, v17
	v_cndmask_b32_e64 v17, v17, v19, s0
	s_delay_alu instid0(VALU_DEP_1)
	v_add_f32_e32 v17, v16, v17
.LBB511_134:
	s_or_b32 exec_lo, exec_lo, s1
	s_delay_alu instid0(VALU_DEP_1) | instskip(SKIP_1) | instid1(VALU_DEP_2)
	v_bfe_u32 v16, v17, 16, 1
	v_cmp_o_f32_e64 s0, v17, v17
	v_add3_u32 v16, v17, v16, 0x7fff
	s_delay_alu instid0(VALU_DEP_1) | instskip(NEXT) | instid1(VALU_DEP_1)
	v_lshrrev_b32_e32 v16, 16, v16
	v_cndmask_b32_e64 v16, 0x7fc0, v16, s0
	s_delay_alu instid0(VALU_DEP_1) | instskip(NEXT) | instid1(VALU_DEP_1)
	v_lshlrev_b32_e32 v17, 16, v16
	v_max_f32_e32 v18, v17, v17
	v_cmp_u_f32_e64 s0, v17, v17
	s_delay_alu instid0(VALU_DEP_2) | instskip(SKIP_1) | instid1(VALU_DEP_2)
	v_min_f32_e32 v19, v18, v24
	v_max_f32_e32 v18, v18, v24
	v_cndmask_b32_e64 v19, v19, v17, s0
	s_delay_alu instid0(VALU_DEP_2) | instskip(NEXT) | instid1(VALU_DEP_2)
	v_cndmask_b32_e64 v20, v18, v17, s0
	v_cndmask_b32_e64 v18, v19, v11, s29
	s_delay_alu instid0(VALU_DEP_2) | instskip(NEXT) | instid1(VALU_DEP_2)
	v_cndmask_b32_e64 v11, v20, v11, s29
	v_cmp_class_f32_e64 s1, v18, 0x1f8
	s_delay_alu instid0(VALU_DEP_2) | instskip(NEXT) | instid1(VALU_DEP_1)
	v_cmp_neq_f32_e64 s0, v18, v11
	s_or_b32 s0, s0, s1
	s_delay_alu instid0(SALU_CYCLE_1)
	s_and_saveexec_b32 s1, s0
	s_cbranch_execz .LBB511_136
; %bb.135:
	v_sub_f32_e32 v17, v18, v11
	s_delay_alu instid0(VALU_DEP_1) | instskip(SKIP_1) | instid1(VALU_DEP_2)
	v_mul_f32_e32 v18, 0x3fb8aa3b, v17
	v_cmp_ngt_f32_e64 s0, 0xc2ce8ed0, v17
	v_fma_f32 v19, 0x3fb8aa3b, v17, -v18
	v_rndne_f32_e32 v20, v18
	s_delay_alu instid0(VALU_DEP_1) | instskip(NEXT) | instid1(VALU_DEP_1)
	v_dual_fmamk_f32 v19, v17, 0x32a5705f, v19 :: v_dual_sub_f32 v18, v18, v20
	v_add_f32_e32 v18, v18, v19
	v_cvt_i32_f32_e32 v19, v20
	s_delay_alu instid0(VALU_DEP_2) | instskip(SKIP_2) | instid1(VALU_DEP_1)
	v_exp_f32_e32 v18, v18
	s_waitcnt_depctr 0xfff
	v_ldexp_f32 v18, v18, v19
	v_cndmask_b32_e64 v18, 0, v18, s0
	v_cmp_nlt_f32_e64 s0, 0x42b17218, v17
	s_delay_alu instid0(VALU_DEP_1) | instskip(NEXT) | instid1(VALU_DEP_1)
	v_cndmask_b32_e64 v19, 0x7f800000, v18, s0
	v_add_f32_e32 v20, 1.0, v19
	v_cmp_gt_f32_e64 s23, 0x33800000, |v19|
	s_delay_alu instid0(VALU_DEP_2) | instskip(NEXT) | instid1(VALU_DEP_1)
	v_cvt_f64_f32_e32 v[17:18], v20
	v_frexp_exp_i32_f64_e32 v17, v[17:18]
	v_frexp_mant_f32_e32 v18, v20
	s_delay_alu instid0(VALU_DEP_1) | instskip(SKIP_1) | instid1(VALU_DEP_1)
	v_cmp_gt_f32_e64 s0, 0x3f2aaaab, v18
	v_add_f32_e32 v18, -1.0, v20
	v_dual_sub_f32 v23, v18, v20 :: v_dual_sub_f32 v18, v19, v18
	s_delay_alu instid0(VALU_DEP_1) | instskip(NEXT) | instid1(VALU_DEP_4)
	v_add_f32_e32 v23, 1.0, v23
	v_subrev_co_ci_u32_e64 v17, s0, 0, v17, s0
	s_mov_b32 s0, 0x3e9b6dac
	s_delay_alu instid0(VALU_DEP_1) | instskip(SKIP_1) | instid1(VALU_DEP_2)
	v_sub_nc_u32_e32 v21, 0, v17
	v_cvt_f32_i32_e32 v17, v17
	v_ldexp_f32 v20, v20, v21
	v_add_f32_e32 v18, v18, v23
	s_delay_alu instid0(VALU_DEP_2) | instskip(NEXT) | instid1(VALU_DEP_2)
	v_add_f32_e32 v24, 1.0, v20
	v_ldexp_f32 v18, v18, v21
	v_add_f32_e32 v21, -1.0, v20
	s_delay_alu instid0(VALU_DEP_3) | instskip(NEXT) | instid1(VALU_DEP_1)
	v_add_f32_e32 v23, -1.0, v24
	v_dual_sub_f32 v23, v20, v23 :: v_dual_add_f32 v46, 1.0, v21
	s_delay_alu instid0(VALU_DEP_1) | instskip(NEXT) | instid1(VALU_DEP_1)
	v_dual_add_f32 v23, v18, v23 :: v_dual_sub_f32 v20, v20, v46
	v_add_f32_e32 v46, v24, v23
	s_delay_alu instid0(VALU_DEP_2) | instskip(NEXT) | instid1(VALU_DEP_1)
	v_add_f32_e32 v18, v18, v20
	v_add_f32_e32 v47, v21, v18
	s_delay_alu instid0(VALU_DEP_1) | instskip(NEXT) | instid1(VALU_DEP_1)
	v_dual_sub_f32 v24, v24, v46 :: v_dual_sub_f32 v21, v21, v47
	v_add_f32_e32 v23, v23, v24
	v_rcp_f32_e32 v20, v46
	s_delay_alu instid0(VALU_DEP_2) | instskip(SKIP_2) | instid1(VALU_DEP_1)
	v_add_f32_e32 v18, v18, v21
	s_waitcnt_depctr 0xfff
	v_mul_f32_e32 v48, v47, v20
	v_mul_f32_e32 v49, v46, v48
	s_delay_alu instid0(VALU_DEP_1) | instskip(NEXT) | instid1(VALU_DEP_1)
	v_fma_f32 v24, v48, v46, -v49
	v_fmac_f32_e32 v24, v48, v23
	s_waitcnt lgkmcnt(0)
	s_delay_alu instid0(VALU_DEP_1) | instskip(NEXT) | instid1(VALU_DEP_1)
	v_add_f32_e32 v51, v49, v24
	v_sub_f32_e32 v21, v51, v49
	s_delay_alu instid0(VALU_DEP_1) | instskip(NEXT) | instid1(VALU_DEP_1)
	v_dual_sub_f32 v52, v47, v51 :: v_dual_sub_f32 v21, v21, v24
	v_sub_f32_e32 v47, v47, v52
	s_delay_alu instid0(VALU_DEP_1) | instskip(NEXT) | instid1(VALU_DEP_1)
	v_sub_f32_e32 v47, v47, v51
	v_add_f32_e32 v18, v18, v47
	s_delay_alu instid0(VALU_DEP_1) | instskip(NEXT) | instid1(VALU_DEP_1)
	v_add_f32_e32 v18, v21, v18
	v_add_f32_e32 v21, v52, v18
	s_delay_alu instid0(VALU_DEP_1) | instskip(SKIP_1) | instid1(VALU_DEP_2)
	v_mul_f32_e32 v24, v20, v21
	v_sub_f32_e32 v51, v52, v21
	v_mul_f32_e32 v47, v46, v24
	s_delay_alu instid0(VALU_DEP_2) | instskip(NEXT) | instid1(VALU_DEP_2)
	v_add_f32_e32 v18, v18, v51
	v_fma_f32 v46, v24, v46, -v47
	s_delay_alu instid0(VALU_DEP_1) | instskip(NEXT) | instid1(VALU_DEP_1)
	v_fmac_f32_e32 v46, v24, v23
	v_add_f32_e32 v23, v47, v46
	s_delay_alu instid0(VALU_DEP_1) | instskip(NEXT) | instid1(VALU_DEP_1)
	v_sub_f32_e32 v49, v21, v23
	v_sub_f32_e32 v21, v21, v49
	s_delay_alu instid0(VALU_DEP_1) | instskip(NEXT) | instid1(VALU_DEP_1)
	v_sub_f32_e32 v21, v21, v23
	v_dual_sub_f32 v47, v23, v47 :: v_dual_add_f32 v18, v18, v21
	v_add_f32_e32 v21, v48, v24
	s_delay_alu instid0(VALU_DEP_2) | instskip(NEXT) | instid1(VALU_DEP_1)
	v_sub_f32_e32 v23, v47, v46
	v_add_f32_e32 v18, v23, v18
	s_delay_alu instid0(VALU_DEP_1) | instskip(NEXT) | instid1(VALU_DEP_1)
	v_add_f32_e32 v18, v49, v18
	v_dual_sub_f32 v23, v21, v48 :: v_dual_mul_f32 v18, v20, v18
	s_delay_alu instid0(VALU_DEP_1) | instskip(NEXT) | instid1(VALU_DEP_1)
	v_sub_f32_e32 v23, v24, v23
	v_add_f32_e32 v18, v23, v18
	s_delay_alu instid0(VALU_DEP_1) | instskip(NEXT) | instid1(VALU_DEP_1)
	v_add_f32_e32 v20, v21, v18
	v_mul_f32_e32 v23, v20, v20
	s_delay_alu instid0(VALU_DEP_1) | instskip(SKIP_2) | instid1(VALU_DEP_3)
	v_fmaak_f32 v24, s0, v23, 0x3ecc95a3
	v_mul_f32_e32 v46, v20, v23
	v_cmp_eq_f32_e64 s0, 0x7f800000, v19
	v_fmaak_f32 v23, v23, v24, 0x3f2aaada
	v_ldexp_f32 v24, v20, 1
	v_sub_f32_e32 v20, v20, v21
	s_delay_alu instid0(VALU_DEP_4) | instskip(NEXT) | instid1(VALU_DEP_3)
	s_or_b32 s0, s0, s23
	v_dual_mul_f32 v23, v46, v23 :: v_dual_mul_f32 v46, 0x3f317218, v17
	s_delay_alu instid0(VALU_DEP_1) | instskip(NEXT) | instid1(VALU_DEP_1)
	v_dual_sub_f32 v18, v18, v20 :: v_dual_add_f32 v21, v24, v23
	v_ldexp_f32 v18, v18, 1
	s_delay_alu instid0(VALU_DEP_2) | instskip(NEXT) | instid1(VALU_DEP_4)
	v_sub_f32_e32 v20, v21, v24
	v_fma_f32 v24, 0x3f317218, v17, -v46
	s_delay_alu instid0(VALU_DEP_1) | instskip(NEXT) | instid1(VALU_DEP_1)
	v_dual_sub_f32 v20, v23, v20 :: v_dual_fmamk_f32 v17, v17, 0xb102e308, v24
	v_add_f32_e32 v18, v18, v20
	s_delay_alu instid0(VALU_DEP_1) | instskip(NEXT) | instid1(VALU_DEP_1)
	v_dual_add_f32 v20, v46, v17 :: v_dual_add_f32 v23, v21, v18
	v_dual_sub_f32 v46, v20, v46 :: v_dual_sub_f32 v21, v23, v21
	s_delay_alu instid0(VALU_DEP_1) | instskip(SKIP_1) | instid1(VALU_DEP_1)
	v_dual_sub_f32 v17, v17, v46 :: v_dual_sub_f32 v18, v18, v21
	v_add_f32_e32 v24, v20, v23
	v_sub_f32_e32 v47, v24, v20
	s_delay_alu instid0(VALU_DEP_1) | instskip(NEXT) | instid1(VALU_DEP_4)
	v_sub_f32_e32 v21, v23, v47
	v_dual_add_f32 v23, v17, v18 :: v_dual_sub_f32 v48, v24, v47
	s_delay_alu instid0(VALU_DEP_1) | instskip(NEXT) | instid1(VALU_DEP_1)
	v_sub_f32_e32 v20, v20, v48
	v_dual_add_f32 v20, v21, v20 :: v_dual_sub_f32 v21, v23, v17
	s_delay_alu instid0(VALU_DEP_1) | instskip(NEXT) | instid1(VALU_DEP_1)
	v_add_f32_e32 v20, v23, v20
	v_dual_sub_f32 v23, v23, v21 :: v_dual_add_f32 v46, v24, v20
	s_delay_alu instid0(VALU_DEP_1) | instskip(NEXT) | instid1(VALU_DEP_2)
	v_dual_sub_f32 v17, v17, v23 :: v_dual_sub_f32 v18, v18, v21
	v_sub_f32_e32 v21, v46, v24
	s_delay_alu instid0(VALU_DEP_2) | instskip(NEXT) | instid1(VALU_DEP_2)
	v_add_f32_e32 v17, v18, v17
	v_sub_f32_e32 v18, v20, v21
	s_delay_alu instid0(VALU_DEP_1) | instskip(NEXT) | instid1(VALU_DEP_1)
	v_add_f32_e32 v17, v17, v18
	v_add_f32_e32 v17, v46, v17
	s_delay_alu instid0(VALU_DEP_1) | instskip(NEXT) | instid1(VALU_DEP_1)
	v_cndmask_b32_e64 v17, v17, v19, s0
	v_add_f32_e32 v17, v11, v17
.LBB511_136:
	s_or_b32 exec_lo, exec_lo, s1
	s_delay_alu instid0(VALU_DEP_1) | instskip(SKIP_1) | instid1(VALU_DEP_2)
	v_bfe_u32 v11, v17, 16, 1
	v_cmp_o_f32_e64 s0, v17, v17
	v_add3_u32 v11, v17, v11, 0x7fff
	s_delay_alu instid0(VALU_DEP_1) | instskip(NEXT) | instid1(VALU_DEP_1)
	v_lshrrev_b32_e32 v11, 16, v11
	v_cndmask_b32_e64 v11, 0x7fc0, v11, s0
	s_delay_alu instid0(VALU_DEP_1) | instskip(NEXT) | instid1(VALU_DEP_1)
	v_lshlrev_b32_e32 v18, 16, v11
	v_max_f32_e32 v17, v18, v18
	s_delay_alu instid0(VALU_DEP_1) | instskip(SKIP_2) | instid1(VALU_DEP_1)
	v_min_f32_e32 v19, v17, v26
	v_max_f32_e32 v17, v17, v26
	v_cmp_u_f32_e64 s0, v18, v18
	v_cndmask_b32_e64 v19, v19, v18, s0
	s_delay_alu instid0(VALU_DEP_3) | instskip(NEXT) | instid1(VALU_DEP_2)
	v_cndmask_b32_e64 v17, v17, v18, s0
	v_cndmask_b32_e64 v19, v19, v22, s30
	s_delay_alu instid0(VALU_DEP_2) | instskip(NEXT) | instid1(VALU_DEP_2)
	v_cndmask_b32_e64 v17, v17, v22, s30
	v_cmp_class_f32_e64 s1, v19, 0x1f8
	s_delay_alu instid0(VALU_DEP_2) | instskip(NEXT) | instid1(VALU_DEP_1)
	v_cmp_neq_f32_e64 s0, v19, v17
	s_or_b32 s0, s0, s1
	s_delay_alu instid0(SALU_CYCLE_1)
	s_and_saveexec_b32 s1, s0
	s_cbranch_execz .LBB511_138
; %bb.137:
	v_sub_f32_e32 v18, v19, v17
	s_delay_alu instid0(VALU_DEP_1) | instskip(SKIP_1) | instid1(VALU_DEP_2)
	v_mul_f32_e32 v19, 0x3fb8aa3b, v18
	v_cmp_ngt_f32_e64 s0, 0xc2ce8ed0, v18
	v_fma_f32 v20, 0x3fb8aa3b, v18, -v19
	v_rndne_f32_e32 v21, v19
	s_delay_alu instid0(VALU_DEP_1) | instskip(NEXT) | instid1(VALU_DEP_1)
	v_dual_fmamk_f32 v20, v18, 0x32a5705f, v20 :: v_dual_sub_f32 v19, v19, v21
	v_add_f32_e32 v19, v19, v20
	v_cvt_i32_f32_e32 v20, v21
	s_delay_alu instid0(VALU_DEP_2) | instskip(SKIP_2) | instid1(VALU_DEP_1)
	v_exp_f32_e32 v19, v19
	s_waitcnt_depctr 0xfff
	v_ldexp_f32 v19, v19, v20
	v_cndmask_b32_e64 v19, 0, v19, s0
	v_cmp_nlt_f32_e64 s0, 0x42b17218, v18
	s_delay_alu instid0(VALU_DEP_1) | instskip(NEXT) | instid1(VALU_DEP_1)
	v_cndmask_b32_e64 v20, 0x7f800000, v19, s0
	v_add_f32_e32 v21, 1.0, v20
	v_cmp_gt_f32_e64 s23, 0x33800000, |v20|
	s_delay_alu instid0(VALU_DEP_2) | instskip(NEXT) | instid1(VALU_DEP_1)
	v_cvt_f64_f32_e32 v[18:19], v21
	v_frexp_exp_i32_f64_e32 v18, v[18:19]
	v_frexp_mant_f32_e32 v19, v21
	s_delay_alu instid0(VALU_DEP_1) | instskip(SKIP_1) | instid1(VALU_DEP_1)
	v_cmp_gt_f32_e64 s0, 0x3f2aaaab, v19
	v_add_f32_e32 v19, -1.0, v21
	v_sub_f32_e32 v23, v19, v21
	v_sub_f32_e32 v19, v20, v19
	s_delay_alu instid0(VALU_DEP_4) | instskip(SKIP_1) | instid1(VALU_DEP_1)
	v_subrev_co_ci_u32_e64 v18, s0, 0, v18, s0
	s_mov_b32 s0, 0x3e9b6dac
	v_sub_nc_u32_e32 v22, 0, v18
	v_cvt_f32_i32_e32 v18, v18
	s_delay_alu instid0(VALU_DEP_2) | instskip(NEXT) | instid1(VALU_DEP_1)
	v_ldexp_f32 v21, v21, v22
	v_dual_add_f32 v24, 1.0, v21 :: v_dual_add_f32 v23, 1.0, v23
	s_delay_alu instid0(VALU_DEP_1) | instskip(NEXT) | instid1(VALU_DEP_2)
	v_add_f32_e32 v19, v19, v23
	v_add_f32_e32 v23, -1.0, v24
	s_delay_alu instid0(VALU_DEP_2) | instskip(NEXT) | instid1(VALU_DEP_2)
	v_ldexp_f32 v19, v19, v22
	v_dual_add_f32 v22, -1.0, v21 :: v_dual_sub_f32 v23, v21, v23
	s_delay_alu instid0(VALU_DEP_1) | instskip(NEXT) | instid1(VALU_DEP_1)
	v_dual_add_f32 v26, 1.0, v22 :: v_dual_add_f32 v23, v19, v23
	v_dual_sub_f32 v21, v21, v26 :: v_dual_add_f32 v26, v24, v23
	s_delay_alu instid0(VALU_DEP_1) | instskip(NEXT) | instid1(VALU_DEP_2)
	v_add_f32_e32 v19, v19, v21
	v_rcp_f32_e32 v21, v26
	v_sub_f32_e32 v24, v24, v26
	s_delay_alu instid0(VALU_DEP_1) | instskip(NEXT) | instid1(VALU_DEP_1)
	v_dual_add_f32 v46, v22, v19 :: v_dual_add_f32 v23, v23, v24
	v_sub_f32_e32 v22, v22, v46
	s_waitcnt_depctr 0xfff
	v_mul_f32_e32 v47, v46, v21
	s_delay_alu instid0(VALU_DEP_1) | instskip(NEXT) | instid1(VALU_DEP_1)
	v_mul_f32_e32 v48, v26, v47
	v_fma_f32 v24, v47, v26, -v48
	s_delay_alu instid0(VALU_DEP_1) | instskip(NEXT) | instid1(VALU_DEP_1)
	v_fmac_f32_e32 v24, v47, v23
	v_add_f32_e32 v49, v48, v24
	s_waitcnt lgkmcnt(0)
	s_delay_alu instid0(VALU_DEP_1) | instskip(NEXT) | instid1(VALU_DEP_1)
	v_sub_f32_e32 v51, v46, v49
	v_dual_sub_f32 v46, v46, v51 :: v_dual_add_f32 v19, v19, v22
	v_sub_f32_e32 v22, v49, v48
	s_delay_alu instid0(VALU_DEP_2) | instskip(NEXT) | instid1(VALU_DEP_1)
	v_sub_f32_e32 v46, v46, v49
	v_dual_sub_f32 v22, v22, v24 :: v_dual_add_f32 v19, v19, v46
	s_delay_alu instid0(VALU_DEP_1) | instskip(NEXT) | instid1(VALU_DEP_1)
	v_add_f32_e32 v19, v22, v19
	v_add_f32_e32 v22, v51, v19
	s_delay_alu instid0(VALU_DEP_1) | instskip(NEXT) | instid1(VALU_DEP_1)
	v_mul_f32_e32 v24, v21, v22
	v_mul_f32_e32 v46, v26, v24
	s_delay_alu instid0(VALU_DEP_1) | instskip(NEXT) | instid1(VALU_DEP_1)
	v_fma_f32 v26, v24, v26, -v46
	v_fmac_f32_e32 v26, v24, v23
	s_delay_alu instid0(VALU_DEP_1) | instskip(NEXT) | instid1(VALU_DEP_1)
	v_add_f32_e32 v23, v46, v26
	v_dual_sub_f32 v48, v22, v23 :: v_dual_sub_f32 v49, v51, v22
	v_sub_f32_e32 v46, v23, v46
	s_delay_alu instid0(VALU_DEP_2) | instskip(NEXT) | instid1(VALU_DEP_1)
	v_dual_sub_f32 v22, v22, v48 :: v_dual_add_f32 v19, v19, v49
	v_sub_f32_e32 v22, v22, v23
	s_delay_alu instid0(VALU_DEP_3) | instskip(NEXT) | instid1(VALU_DEP_2)
	v_sub_f32_e32 v23, v46, v26
	v_add_f32_e32 v19, v19, v22
	v_add_f32_e32 v22, v47, v24
	s_delay_alu instid0(VALU_DEP_2) | instskip(NEXT) | instid1(VALU_DEP_2)
	v_add_f32_e32 v19, v23, v19
	v_sub_f32_e32 v23, v22, v47
	s_delay_alu instid0(VALU_DEP_2) | instskip(NEXT) | instid1(VALU_DEP_2)
	v_add_f32_e32 v19, v48, v19
	v_sub_f32_e32 v23, v24, v23
	s_delay_alu instid0(VALU_DEP_2) | instskip(NEXT) | instid1(VALU_DEP_1)
	v_mul_f32_e32 v19, v21, v19
	v_add_f32_e32 v19, v23, v19
	s_delay_alu instid0(VALU_DEP_1) | instskip(NEXT) | instid1(VALU_DEP_1)
	v_add_f32_e32 v21, v22, v19
	v_mul_f32_e32 v23, v21, v21
	s_delay_alu instid0(VALU_DEP_1) | instskip(SKIP_2) | instid1(VALU_DEP_3)
	v_fmaak_f32 v24, s0, v23, 0x3ecc95a3
	v_mul_f32_e32 v26, v21, v23
	v_cmp_eq_f32_e64 s0, 0x7f800000, v20
	v_fmaak_f32 v23, v23, v24, 0x3f2aaada
	v_ldexp_f32 v24, v21, 1
	s_delay_alu instid0(VALU_DEP_3) | instskip(NEXT) | instid1(VALU_DEP_2)
	s_or_b32 s0, s0, s23
	v_mul_f32_e32 v23, v26, v23
	v_sub_f32_e32 v21, v21, v22
	v_mul_f32_e32 v26, 0x3f317218, v18
	s_delay_alu instid0(VALU_DEP_2) | instskip(NEXT) | instid1(VALU_DEP_1)
	v_dual_add_f32 v22, v24, v23 :: v_dual_sub_f32 v19, v19, v21
	v_sub_f32_e32 v21, v22, v24
	s_delay_alu instid0(VALU_DEP_3) | instskip(NEXT) | instid1(VALU_DEP_3)
	v_fma_f32 v24, 0x3f317218, v18, -v26
	v_ldexp_f32 v19, v19, 1
	s_delay_alu instid0(VALU_DEP_2) | instskip(NEXT) | instid1(VALU_DEP_1)
	v_dual_sub_f32 v21, v23, v21 :: v_dual_fmamk_f32 v18, v18, 0xb102e308, v24
	v_add_f32_e32 v19, v19, v21
	s_delay_alu instid0(VALU_DEP_2) | instskip(NEXT) | instid1(VALU_DEP_1)
	v_add_f32_e32 v21, v26, v18
	v_dual_add_f32 v23, v22, v19 :: v_dual_sub_f32 v26, v21, v26
	s_delay_alu instid0(VALU_DEP_1) | instskip(SKIP_1) | instid1(VALU_DEP_3)
	v_add_f32_e32 v24, v21, v23
	v_sub_f32_e32 v22, v23, v22
	v_sub_f32_e32 v18, v18, v26
	s_delay_alu instid0(VALU_DEP_2) | instskip(NEXT) | instid1(VALU_DEP_1)
	v_dual_sub_f32 v46, v24, v21 :: v_dual_sub_f32 v19, v19, v22
	v_sub_f32_e32 v47, v24, v46
	s_delay_alu instid0(VALU_DEP_2) | instskip(NEXT) | instid1(VALU_DEP_2)
	v_dual_sub_f32 v22, v23, v46 :: v_dual_add_f32 v23, v18, v19
	v_sub_f32_e32 v21, v21, v47
	s_delay_alu instid0(VALU_DEP_1) | instskip(NEXT) | instid1(VALU_DEP_1)
	v_dual_add_f32 v21, v22, v21 :: v_dual_sub_f32 v22, v23, v18
	v_add_f32_e32 v21, v23, v21
	s_delay_alu instid0(VALU_DEP_2) | instskip(NEXT) | instid1(VALU_DEP_2)
	v_sub_f32_e32 v23, v23, v22
	v_dual_sub_f32 v19, v19, v22 :: v_dual_add_f32 v26, v24, v21
	s_delay_alu instid0(VALU_DEP_2) | instskip(NEXT) | instid1(VALU_DEP_2)
	v_sub_f32_e32 v18, v18, v23
	v_sub_f32_e32 v22, v26, v24
	s_delay_alu instid0(VALU_DEP_2) | instskip(NEXT) | instid1(VALU_DEP_2)
	v_add_f32_e32 v18, v19, v18
	v_sub_f32_e32 v19, v21, v22
	s_delay_alu instid0(VALU_DEP_1) | instskip(NEXT) | instid1(VALU_DEP_1)
	v_add_f32_e32 v18, v18, v19
	v_add_f32_e32 v18, v26, v18
	s_delay_alu instid0(VALU_DEP_1) | instskip(NEXT) | instid1(VALU_DEP_1)
	v_cndmask_b32_e64 v18, v18, v20, s0
	v_add_f32_e32 v18, v17, v18
.LBB511_138:
	s_or_b32 exec_lo, exec_lo, s1
	s_delay_alu instid0(VALU_DEP_1) | instskip(SKIP_1) | instid1(VALU_DEP_2)
	v_bfe_u32 v17, v18, 16, 1
	v_cmp_o_f32_e64 s0, v18, v18
	v_add3_u32 v17, v18, v17, 0x7fff
	s_delay_alu instid0(VALU_DEP_1) | instskip(NEXT) | instid1(VALU_DEP_1)
	v_lshrrev_b32_e32 v17, 16, v17
	v_cndmask_b32_e64 v17, 0x7fc0, v17, s0
	s_delay_alu instid0(VALU_DEP_1) | instskip(NEXT) | instid1(VALU_DEP_1)
	v_lshlrev_b32_e32 v18, 16, v17
	v_max_f32_e32 v19, v18, v18
	s_delay_alu instid0(VALU_DEP_1) | instskip(SKIP_2) | instid1(VALU_DEP_1)
	v_min_f32_e32 v20, v19, v27
	v_max_f32_e32 v19, v19, v27
	v_cmp_u_f32_e64 s0, v18, v18
	v_cndmask_b32_e64 v20, v20, v18, s0
	s_delay_alu instid0(VALU_DEP_3) | instskip(NEXT) | instid1(VALU_DEP_2)
	v_cndmask_b32_e64 v21, v19, v18, s0
	v_cndmask_b32_e64 v19, v20, v8, s31
	s_delay_alu instid0(VALU_DEP_2) | instskip(NEXT) | instid1(VALU_DEP_2)
	v_cndmask_b32_e64 v8, v21, v8, s31
	v_cmp_class_f32_e64 s1, v19, 0x1f8
	s_delay_alu instid0(VALU_DEP_2) | instskip(NEXT) | instid1(VALU_DEP_1)
	v_cmp_neq_f32_e64 s0, v19, v8
	s_or_b32 s0, s0, s1
	s_delay_alu instid0(SALU_CYCLE_1)
	s_and_saveexec_b32 s1, s0
	s_cbranch_execz .LBB511_140
; %bb.139:
	v_sub_f32_e32 v18, v19, v8
	s_delay_alu instid0(VALU_DEP_1) | instskip(SKIP_1) | instid1(VALU_DEP_2)
	v_mul_f32_e32 v19, 0x3fb8aa3b, v18
	v_cmp_ngt_f32_e64 s0, 0xc2ce8ed0, v18
	v_fma_f32 v20, 0x3fb8aa3b, v18, -v19
	v_rndne_f32_e32 v21, v19
	s_delay_alu instid0(VALU_DEP_1) | instskip(NEXT) | instid1(VALU_DEP_1)
	v_dual_fmamk_f32 v20, v18, 0x32a5705f, v20 :: v_dual_sub_f32 v19, v19, v21
	v_add_f32_e32 v19, v19, v20
	v_cvt_i32_f32_e32 v20, v21
	s_delay_alu instid0(VALU_DEP_2) | instskip(SKIP_2) | instid1(VALU_DEP_1)
	v_exp_f32_e32 v19, v19
	s_waitcnt_depctr 0xfff
	v_ldexp_f32 v19, v19, v20
	v_cndmask_b32_e64 v19, 0, v19, s0
	v_cmp_nlt_f32_e64 s0, 0x42b17218, v18
	s_delay_alu instid0(VALU_DEP_1) | instskip(NEXT) | instid1(VALU_DEP_1)
	v_cndmask_b32_e64 v20, 0x7f800000, v19, s0
	v_add_f32_e32 v21, 1.0, v20
	v_cmp_gt_f32_e64 s23, 0x33800000, |v20|
	s_delay_alu instid0(VALU_DEP_2) | instskip(NEXT) | instid1(VALU_DEP_1)
	v_cvt_f64_f32_e32 v[18:19], v21
	v_frexp_exp_i32_f64_e32 v18, v[18:19]
	v_frexp_mant_f32_e32 v19, v21
	s_delay_alu instid0(VALU_DEP_1) | instskip(SKIP_1) | instid1(VALU_DEP_1)
	v_cmp_gt_f32_e64 s0, 0x3f2aaaab, v19
	v_add_f32_e32 v19, -1.0, v21
	v_sub_f32_e32 v23, v19, v21
	v_sub_f32_e32 v19, v20, v19
	s_delay_alu instid0(VALU_DEP_2) | instskip(NEXT) | instid1(VALU_DEP_1)
	v_add_f32_e32 v23, 1.0, v23
	v_add_f32_e32 v19, v19, v23
	v_subrev_co_ci_u32_e64 v18, s0, 0, v18, s0
	s_mov_b32 s0, 0x3e9b6dac
	s_delay_alu instid0(VALU_DEP_1) | instskip(SKIP_1) | instid1(VALU_DEP_2)
	v_sub_nc_u32_e32 v22, 0, v18
	v_cvt_f32_i32_e32 v18, v18
	v_ldexp_f32 v21, v21, v22
	v_ldexp_f32 v19, v19, v22
	s_delay_alu instid0(VALU_DEP_2) | instskip(NEXT) | instid1(VALU_DEP_1)
	v_add_f32_e32 v24, 1.0, v21
	v_dual_add_f32 v22, -1.0, v21 :: v_dual_add_f32 v23, -1.0, v24
	s_delay_alu instid0(VALU_DEP_1) | instskip(NEXT) | instid1(VALU_DEP_1)
	v_dual_add_f32 v26, 1.0, v22 :: v_dual_sub_f32 v23, v21, v23
	v_add_f32_e32 v23, v19, v23
	s_delay_alu instid0(VALU_DEP_1) | instskip(NEXT) | instid1(VALU_DEP_1)
	v_dual_sub_f32 v21, v21, v26 :: v_dual_add_f32 v26, v24, v23
	v_sub_f32_e32 v24, v24, v26
	s_delay_alu instid0(VALU_DEP_1) | instskip(NEXT) | instid1(VALU_DEP_3)
	v_add_f32_e32 v23, v23, v24
	v_add_f32_e32 v19, v19, v21
	v_rcp_f32_e32 v21, v26
	s_delay_alu instid0(VALU_DEP_1) | instskip(NEXT) | instid1(VALU_DEP_1)
	v_add_f32_e32 v27, v22, v19
	v_sub_f32_e32 v22, v22, v27
	s_waitcnt_depctr 0xfff
	v_mul_f32_e32 v46, v27, v21
	s_delay_alu instid0(VALU_DEP_1) | instskip(NEXT) | instid1(VALU_DEP_1)
	v_mul_f32_e32 v47, v26, v46
	v_fma_f32 v24, v46, v26, -v47
	s_delay_alu instid0(VALU_DEP_1) | instskip(NEXT) | instid1(VALU_DEP_1)
	v_dual_fmac_f32 v24, v46, v23 :: v_dual_add_f32 v19, v19, v22
	v_add_f32_e32 v48, v47, v24
	s_delay_alu instid0(VALU_DEP_1) | instskip(NEXT) | instid1(VALU_DEP_1)
	v_dual_sub_f32 v22, v48, v47 :: v_dual_sub_f32 v49, v27, v48
	v_dual_sub_f32 v22, v22, v24 :: v_dual_sub_f32 v27, v27, v49
	s_delay_alu instid0(VALU_DEP_1) | instskip(NEXT) | instid1(VALU_DEP_1)
	v_sub_f32_e32 v27, v27, v48
	v_add_f32_e32 v19, v19, v27
	s_delay_alu instid0(VALU_DEP_1) | instskip(NEXT) | instid1(VALU_DEP_1)
	v_add_f32_e32 v19, v22, v19
	v_add_f32_e32 v22, v49, v19
	s_delay_alu instid0(VALU_DEP_1) | instskip(NEXT) | instid1(VALU_DEP_1)
	v_mul_f32_e32 v24, v21, v22
	v_mul_f32_e32 v27, v26, v24
	s_delay_alu instid0(VALU_DEP_1) | instskip(NEXT) | instid1(VALU_DEP_1)
	v_fma_f32 v26, v24, v26, -v27
	v_fmac_f32_e32 v26, v24, v23
	v_sub_f32_e32 v48, v49, v22
	s_delay_alu instid0(VALU_DEP_2) | instskip(NEXT) | instid1(VALU_DEP_2)
	v_add_f32_e32 v23, v27, v26
	v_add_f32_e32 v19, v19, v48
	s_delay_alu instid0(VALU_DEP_2) | instskip(SKIP_1) | instid1(VALU_DEP_2)
	v_sub_f32_e32 v47, v22, v23
	v_sub_f32_e32 v27, v23, v27
	;; [unrolled: 1-line block ×3, first 2 shown]
	s_delay_alu instid0(VALU_DEP_1) | instskip(NEXT) | instid1(VALU_DEP_1)
	v_dual_sub_f32 v22, v22, v23 :: v_dual_sub_f32 v23, v27, v26
	v_dual_add_f32 v19, v19, v22 :: v_dual_add_f32 v22, v46, v24
	s_delay_alu instid0(VALU_DEP_1) | instskip(NEXT) | instid1(VALU_DEP_2)
	v_add_f32_e32 v19, v23, v19
	v_sub_f32_e32 v23, v22, v46
	s_delay_alu instid0(VALU_DEP_2) | instskip(NEXT) | instid1(VALU_DEP_2)
	v_add_f32_e32 v19, v47, v19
	v_sub_f32_e32 v23, v24, v23
	s_delay_alu instid0(VALU_DEP_2) | instskip(NEXT) | instid1(VALU_DEP_1)
	v_mul_f32_e32 v19, v21, v19
	v_add_f32_e32 v19, v23, v19
	s_delay_alu instid0(VALU_DEP_1) | instskip(NEXT) | instid1(VALU_DEP_1)
	v_add_f32_e32 v21, v22, v19
	v_mul_f32_e32 v23, v21, v21
	s_delay_alu instid0(VALU_DEP_1) | instskip(SKIP_2) | instid1(VALU_DEP_3)
	v_fmaak_f32 v24, s0, v23, 0x3ecc95a3
	v_mul_f32_e32 v26, v21, v23
	v_cmp_eq_f32_e64 s0, 0x7f800000, v20
	v_fmaak_f32 v23, v23, v24, 0x3f2aaada
	v_ldexp_f32 v24, v21, 1
	v_sub_f32_e32 v21, v21, v22
	s_delay_alu instid0(VALU_DEP_4) | instskip(NEXT) | instid1(VALU_DEP_3)
	s_or_b32 s0, s0, s23
	v_dual_mul_f32 v23, v26, v23 :: v_dual_mul_f32 v26, 0x3f317218, v18
	s_delay_alu instid0(VALU_DEP_1) | instskip(NEXT) | instid1(VALU_DEP_1)
	v_dual_sub_f32 v19, v19, v21 :: v_dual_add_f32 v22, v24, v23
	v_ldexp_f32 v19, v19, 1
	s_delay_alu instid0(VALU_DEP_2) | instskip(NEXT) | instid1(VALU_DEP_4)
	v_sub_f32_e32 v21, v22, v24
	v_fma_f32 v24, 0x3f317218, v18, -v26
	s_delay_alu instid0(VALU_DEP_1) | instskip(NEXT) | instid1(VALU_DEP_1)
	v_dual_sub_f32 v21, v23, v21 :: v_dual_fmamk_f32 v18, v18, 0xb102e308, v24
	v_add_f32_e32 v19, v19, v21
	s_delay_alu instid0(VALU_DEP_2) | instskip(NEXT) | instid1(VALU_DEP_1)
	v_add_f32_e32 v21, v26, v18
	v_dual_add_f32 v23, v22, v19 :: v_dual_sub_f32 v26, v21, v26
	s_delay_alu instid0(VALU_DEP_1) | instskip(SKIP_1) | instid1(VALU_DEP_2)
	v_add_f32_e32 v24, v21, v23
	v_sub_f32_e32 v22, v23, v22
	v_dual_sub_f32 v18, v18, v26 :: v_dual_sub_f32 v27, v24, v21
	s_delay_alu instid0(VALU_DEP_1) | instskip(SKIP_1) | instid1(VALU_DEP_2)
	v_dual_sub_f32 v19, v19, v22 :: v_dual_sub_f32 v46, v24, v27
	v_sub_f32_e32 v22, v23, v27
	v_add_f32_e32 v23, v18, v19
	s_delay_alu instid0(VALU_DEP_3) | instskip(NEXT) | instid1(VALU_DEP_1)
	v_sub_f32_e32 v21, v21, v46
	v_dual_add_f32 v21, v22, v21 :: v_dual_sub_f32 v22, v23, v18
	s_delay_alu instid0(VALU_DEP_1) | instskip(NEXT) | instid1(VALU_DEP_2)
	v_add_f32_e32 v21, v23, v21
	v_sub_f32_e32 v23, v23, v22
	s_delay_alu instid0(VALU_DEP_2) | instskip(NEXT) | instid1(VALU_DEP_2)
	v_dual_sub_f32 v19, v19, v22 :: v_dual_add_f32 v26, v24, v21
	v_sub_f32_e32 v18, v18, v23
	s_delay_alu instid0(VALU_DEP_2) | instskip(NEXT) | instid1(VALU_DEP_2)
	v_sub_f32_e32 v22, v26, v24
	v_add_f32_e32 v18, v19, v18
	s_delay_alu instid0(VALU_DEP_2) | instskip(NEXT) | instid1(VALU_DEP_1)
	v_sub_f32_e32 v19, v21, v22
	v_add_f32_e32 v18, v18, v19
	s_delay_alu instid0(VALU_DEP_1) | instskip(NEXT) | instid1(VALU_DEP_1)
	v_add_f32_e32 v18, v26, v18
	v_cndmask_b32_e64 v18, v18, v20, s0
	s_delay_alu instid0(VALU_DEP_1)
	v_add_f32_e32 v18, v8, v18
.LBB511_140:
	s_or_b32 exec_lo, exec_lo, s1
	s_delay_alu instid0(VALU_DEP_1) | instskip(SKIP_1) | instid1(VALU_DEP_2)
	v_bfe_u32 v8, v18, 16, 1
	v_cmp_o_f32_e64 s0, v18, v18
	v_add3_u32 v8, v18, v8, 0x7fff
	s_delay_alu instid0(VALU_DEP_1) | instskip(NEXT) | instid1(VALU_DEP_1)
	v_lshrrev_b32_e32 v8, 16, v8
	v_cndmask_b32_e64 v8, 0x7fc0, v8, s0
	s_delay_alu instid0(VALU_DEP_1) | instskip(NEXT) | instid1(VALU_DEP_1)
	v_lshlrev_b32_e32 v19, 16, v8
	v_max_f32_e32 v18, v19, v19
	s_delay_alu instid0(VALU_DEP_1) | instskip(SKIP_2) | instid1(VALU_DEP_1)
	v_min_f32_e32 v20, v18, v29
	v_max_f32_e32 v18, v18, v29
	v_cmp_u_f32_e64 s0, v19, v19
	v_cndmask_b32_e64 v20, v20, v19, s0
	s_delay_alu instid0(VALU_DEP_3) | instskip(NEXT) | instid1(VALU_DEP_2)
	v_cndmask_b32_e64 v18, v18, v19, s0
	v_cndmask_b32_e64 v20, v20, v25, s33
	s_delay_alu instid0(VALU_DEP_2) | instskip(NEXT) | instid1(VALU_DEP_2)
	v_cndmask_b32_e64 v18, v18, v25, s33
	v_cmp_class_f32_e64 s1, v20, 0x1f8
	s_delay_alu instid0(VALU_DEP_2) | instskip(NEXT) | instid1(VALU_DEP_1)
	v_cmp_neq_f32_e64 s0, v20, v18
	s_or_b32 s0, s0, s1
	s_delay_alu instid0(SALU_CYCLE_1)
	s_and_saveexec_b32 s1, s0
	s_cbranch_execz .LBB511_142
; %bb.141:
	v_sub_f32_e32 v19, v20, v18
	s_delay_alu instid0(VALU_DEP_1) | instskip(SKIP_1) | instid1(VALU_DEP_2)
	v_mul_f32_e32 v20, 0x3fb8aa3b, v19
	v_cmp_ngt_f32_e64 s0, 0xc2ce8ed0, v19
	v_fma_f32 v21, 0x3fb8aa3b, v19, -v20
	v_rndne_f32_e32 v22, v20
	s_delay_alu instid0(VALU_DEP_1) | instskip(NEXT) | instid1(VALU_DEP_1)
	v_dual_fmamk_f32 v21, v19, 0x32a5705f, v21 :: v_dual_sub_f32 v20, v20, v22
	v_add_f32_e32 v20, v20, v21
	v_cvt_i32_f32_e32 v21, v22
	s_delay_alu instid0(VALU_DEP_2) | instskip(SKIP_2) | instid1(VALU_DEP_1)
	v_exp_f32_e32 v20, v20
	s_waitcnt_depctr 0xfff
	v_ldexp_f32 v20, v20, v21
	v_cndmask_b32_e64 v20, 0, v20, s0
	v_cmp_nlt_f32_e64 s0, 0x42b17218, v19
	s_delay_alu instid0(VALU_DEP_1) | instskip(NEXT) | instid1(VALU_DEP_1)
	v_cndmask_b32_e64 v21, 0x7f800000, v20, s0
	v_add_f32_e32 v22, 1.0, v21
	v_cmp_gt_f32_e64 s23, 0x33800000, |v21|
	s_delay_alu instid0(VALU_DEP_2) | instskip(NEXT) | instid1(VALU_DEP_1)
	v_cvt_f64_f32_e32 v[19:20], v22
	v_frexp_exp_i32_f64_e32 v19, v[19:20]
	v_frexp_mant_f32_e32 v20, v22
	s_delay_alu instid0(VALU_DEP_1) | instskip(SKIP_1) | instid1(VALU_DEP_1)
	v_cmp_gt_f32_e64 s0, 0x3f2aaaab, v20
	v_add_f32_e32 v20, -1.0, v22
	v_sub_f32_e32 v24, v20, v22
	v_sub_f32_e32 v20, v21, v20
	s_delay_alu instid0(VALU_DEP_4) | instskip(SKIP_1) | instid1(VALU_DEP_1)
	v_subrev_co_ci_u32_e64 v19, s0, 0, v19, s0
	s_mov_b32 s0, 0x3e9b6dac
	v_sub_nc_u32_e32 v23, 0, v19
	v_cvt_f32_i32_e32 v19, v19
	s_delay_alu instid0(VALU_DEP_2) | instskip(NEXT) | instid1(VALU_DEP_1)
	v_ldexp_f32 v22, v22, v23
	v_dual_add_f32 v25, 1.0, v22 :: v_dual_add_f32 v24, 1.0, v24
	s_delay_alu instid0(VALU_DEP_1) | instskip(NEXT) | instid1(VALU_DEP_1)
	v_add_f32_e32 v20, v20, v24
	v_ldexp_f32 v20, v20, v23
	s_delay_alu instid0(VALU_DEP_3) | instskip(NEXT) | instid1(VALU_DEP_1)
	v_dual_add_f32 v23, -1.0, v22 :: v_dual_add_f32 v24, -1.0, v25
	v_add_f32_e32 v26, 1.0, v23
	s_delay_alu instid0(VALU_DEP_2) | instskip(NEXT) | instid1(VALU_DEP_2)
	v_sub_f32_e32 v24, v22, v24
	v_sub_f32_e32 v22, v22, v26
	s_delay_alu instid0(VALU_DEP_2) | instskip(NEXT) | instid1(VALU_DEP_1)
	v_add_f32_e32 v24, v20, v24
	v_add_f32_e32 v26, v25, v24
	s_delay_alu instid0(VALU_DEP_3) | instskip(NEXT) | instid1(VALU_DEP_2)
	v_add_f32_e32 v20, v20, v22
	v_rcp_f32_e32 v22, v26
	s_delay_alu instid0(VALU_DEP_1) | instskip(SKIP_1) | instid1(VALU_DEP_1)
	v_add_f32_e32 v27, v23, v20
	v_sub_f32_e32 v25, v25, v26
	v_dual_sub_f32 v23, v23, v27 :: v_dual_add_f32 v24, v24, v25
	s_waitcnt_depctr 0xfff
	v_dual_mul_f32 v29, v27, v22 :: v_dual_add_f32 v20, v20, v23
	s_delay_alu instid0(VALU_DEP_1) | instskip(NEXT) | instid1(VALU_DEP_1)
	v_mul_f32_e32 v46, v26, v29
	v_fma_f32 v25, v29, v26, -v46
	s_delay_alu instid0(VALU_DEP_1) | instskip(NEXT) | instid1(VALU_DEP_1)
	v_fmac_f32_e32 v25, v29, v24
	v_add_f32_e32 v47, v46, v25
	s_delay_alu instid0(VALU_DEP_1) | instskip(SKIP_1) | instid1(VALU_DEP_2)
	v_sub_f32_e32 v48, v27, v47
	v_sub_f32_e32 v23, v47, v46
	;; [unrolled: 1-line block ×3, first 2 shown]
	s_delay_alu instid0(VALU_DEP_2) | instskip(NEXT) | instid1(VALU_DEP_2)
	v_sub_f32_e32 v23, v23, v25
	v_sub_f32_e32 v27, v27, v47
	s_delay_alu instid0(VALU_DEP_1) | instskip(NEXT) | instid1(VALU_DEP_1)
	v_add_f32_e32 v20, v20, v27
	v_add_f32_e32 v20, v23, v20
	s_delay_alu instid0(VALU_DEP_1) | instskip(NEXT) | instid1(VALU_DEP_1)
	v_add_f32_e32 v23, v48, v20
	v_sub_f32_e32 v47, v48, v23
	v_mul_f32_e32 v25, v22, v23
	s_delay_alu instid0(VALU_DEP_1) | instskip(NEXT) | instid1(VALU_DEP_1)
	v_dual_add_f32 v20, v20, v47 :: v_dual_mul_f32 v27, v26, v25
	v_fma_f32 v26, v25, v26, -v27
	s_delay_alu instid0(VALU_DEP_1) | instskip(NEXT) | instid1(VALU_DEP_1)
	v_fmac_f32_e32 v26, v25, v24
	v_add_f32_e32 v24, v27, v26
	s_delay_alu instid0(VALU_DEP_1) | instskip(NEXT) | instid1(VALU_DEP_1)
	v_dual_sub_f32 v46, v23, v24 :: v_dual_sub_f32 v27, v24, v27
	v_sub_f32_e32 v23, v23, v46
	s_delay_alu instid0(VALU_DEP_1) | instskip(NEXT) | instid1(VALU_DEP_3)
	v_sub_f32_e32 v23, v23, v24
	v_sub_f32_e32 v24, v27, v26
	s_delay_alu instid0(VALU_DEP_2) | instskip(NEXT) | instid1(VALU_DEP_1)
	v_dual_add_f32 v20, v20, v23 :: v_dual_add_f32 v23, v29, v25
	v_add_f32_e32 v20, v24, v20
	s_delay_alu instid0(VALU_DEP_2) | instskip(NEXT) | instid1(VALU_DEP_2)
	v_sub_f32_e32 v24, v23, v29
	v_add_f32_e32 v20, v46, v20
	s_delay_alu instid0(VALU_DEP_2) | instskip(NEXT) | instid1(VALU_DEP_2)
	v_sub_f32_e32 v24, v25, v24
	v_mul_f32_e32 v20, v22, v20
	s_delay_alu instid0(VALU_DEP_1) | instskip(NEXT) | instid1(VALU_DEP_1)
	v_add_f32_e32 v20, v24, v20
	v_add_f32_e32 v22, v23, v20
	s_delay_alu instid0(VALU_DEP_1) | instskip(NEXT) | instid1(VALU_DEP_1)
	v_mul_f32_e32 v24, v22, v22
	v_fmaak_f32 v25, s0, v24, 0x3ecc95a3
	v_mul_f32_e32 v26, v22, v24
	v_cmp_eq_f32_e64 s0, 0x7f800000, v21
	s_delay_alu instid0(VALU_DEP_3) | instskip(SKIP_2) | instid1(VALU_DEP_4)
	v_fmaak_f32 v24, v24, v25, 0x3f2aaada
	v_ldexp_f32 v25, v22, 1
	v_sub_f32_e32 v22, v22, v23
	s_or_b32 s0, s0, s23
	s_delay_alu instid0(VALU_DEP_3) | instskip(NEXT) | instid1(VALU_DEP_1)
	v_mul_f32_e32 v24, v26, v24
	v_dual_sub_f32 v20, v20, v22 :: v_dual_add_f32 v23, v25, v24
	s_delay_alu instid0(VALU_DEP_1) | instskip(NEXT) | instid1(VALU_DEP_2)
	v_ldexp_f32 v20, v20, 1
	v_sub_f32_e32 v22, v23, v25
	s_delay_alu instid0(VALU_DEP_1) | instskip(NEXT) | instid1(VALU_DEP_1)
	v_sub_f32_e32 v22, v24, v22
	v_add_f32_e32 v20, v20, v22
	s_delay_alu instid0(VALU_DEP_1) | instskip(SKIP_1) | instid1(VALU_DEP_2)
	v_add_f32_e32 v24, v23, v20
	v_mul_f32_e32 v26, 0x3f317218, v19
	v_sub_f32_e32 v23, v24, v23
	s_delay_alu instid0(VALU_DEP_2) | instskip(NEXT) | instid1(VALU_DEP_1)
	v_fma_f32 v25, 0x3f317218, v19, -v26
	v_dual_sub_f32 v20, v20, v23 :: v_dual_fmamk_f32 v19, v19, 0xb102e308, v25
	s_delay_alu instid0(VALU_DEP_1) | instskip(NEXT) | instid1(VALU_DEP_1)
	v_add_f32_e32 v22, v26, v19
	v_add_f32_e32 v25, v22, v24
	v_sub_f32_e32 v26, v22, v26
	s_delay_alu instid0(VALU_DEP_2) | instskip(NEXT) | instid1(VALU_DEP_2)
	v_sub_f32_e32 v27, v25, v22
	v_sub_f32_e32 v19, v19, v26
	s_delay_alu instid0(VALU_DEP_2) | instskip(NEXT) | instid1(VALU_DEP_2)
	v_sub_f32_e32 v29, v25, v27
	v_dual_sub_f32 v23, v24, v27 :: v_dual_add_f32 v24, v19, v20
	s_delay_alu instid0(VALU_DEP_2) | instskip(NEXT) | instid1(VALU_DEP_1)
	v_sub_f32_e32 v22, v22, v29
	v_dual_add_f32 v22, v23, v22 :: v_dual_sub_f32 v23, v24, v19
	s_delay_alu instid0(VALU_DEP_1) | instskip(NEXT) | instid1(VALU_DEP_2)
	v_add_f32_e32 v22, v24, v22
	v_sub_f32_e32 v24, v24, v23
	v_sub_f32_e32 v20, v20, v23
	s_delay_alu instid0(VALU_DEP_2) | instskip(NEXT) | instid1(VALU_DEP_1)
	v_dual_add_f32 v26, v25, v22 :: v_dual_sub_f32 v19, v19, v24
	v_sub_f32_e32 v23, v26, v25
	s_delay_alu instid0(VALU_DEP_2) | instskip(NEXT) | instid1(VALU_DEP_2)
	v_add_f32_e32 v19, v20, v19
	v_sub_f32_e32 v20, v22, v23
	s_delay_alu instid0(VALU_DEP_1) | instskip(NEXT) | instid1(VALU_DEP_1)
	v_add_f32_e32 v19, v19, v20
	v_add_f32_e32 v19, v26, v19
	s_delay_alu instid0(VALU_DEP_1) | instskip(NEXT) | instid1(VALU_DEP_1)
	v_cndmask_b32_e64 v19, v19, v21, s0
	v_add_f32_e32 v19, v18, v19
.LBB511_142:
	s_or_b32 exec_lo, exec_lo, s1
	s_delay_alu instid0(VALU_DEP_1) | instskip(SKIP_1) | instid1(VALU_DEP_2)
	v_bfe_u32 v18, v19, 16, 1
	v_cmp_o_f32_e64 s0, v19, v19
	v_add3_u32 v18, v19, v18, 0x7fff
	s_delay_alu instid0(VALU_DEP_1) | instskip(NEXT) | instid1(VALU_DEP_1)
	v_lshrrev_b32_e32 v18, 16, v18
	v_cndmask_b32_e64 v18, 0x7fc0, v18, s0
	s_delay_alu instid0(VALU_DEP_1) | instskip(NEXT) | instid1(VALU_DEP_1)
	v_lshlrev_b32_e32 v19, 16, v18
	v_max_f32_e32 v20, v19, v19
	v_cmp_u_f32_e64 s0, v19, v19
	s_delay_alu instid0(VALU_DEP_2) | instskip(SKIP_1) | instid1(VALU_DEP_2)
	v_min_f32_e32 v21, v20, v30
	v_max_f32_e32 v20, v20, v30
	v_cndmask_b32_e64 v21, v21, v19, s0
	s_delay_alu instid0(VALU_DEP_2) | instskip(NEXT) | instid1(VALU_DEP_2)
	v_cndmask_b32_e64 v22, v20, v19, s0
	v_cndmask_b32_e64 v20, v21, v9, s34
	s_delay_alu instid0(VALU_DEP_2) | instskip(NEXT) | instid1(VALU_DEP_2)
	v_cndmask_b32_e64 v9, v22, v9, s34
	v_cmp_class_f32_e64 s1, v20, 0x1f8
	s_delay_alu instid0(VALU_DEP_2) | instskip(NEXT) | instid1(VALU_DEP_1)
	v_cmp_neq_f32_e64 s0, v20, v9
	s_or_b32 s0, s0, s1
	s_delay_alu instid0(SALU_CYCLE_1)
	s_and_saveexec_b32 s1, s0
	s_cbranch_execz .LBB511_144
; %bb.143:
	v_sub_f32_e32 v19, v20, v9
	s_delay_alu instid0(VALU_DEP_1) | instskip(SKIP_1) | instid1(VALU_DEP_2)
	v_mul_f32_e32 v20, 0x3fb8aa3b, v19
	v_cmp_ngt_f32_e64 s0, 0xc2ce8ed0, v19
	v_fma_f32 v21, 0x3fb8aa3b, v19, -v20
	v_rndne_f32_e32 v22, v20
	s_delay_alu instid0(VALU_DEP_1) | instskip(NEXT) | instid1(VALU_DEP_1)
	v_dual_fmamk_f32 v21, v19, 0x32a5705f, v21 :: v_dual_sub_f32 v20, v20, v22
	v_add_f32_e32 v20, v20, v21
	v_cvt_i32_f32_e32 v21, v22
	s_delay_alu instid0(VALU_DEP_2) | instskip(SKIP_2) | instid1(VALU_DEP_1)
	v_exp_f32_e32 v20, v20
	s_waitcnt_depctr 0xfff
	v_ldexp_f32 v20, v20, v21
	v_cndmask_b32_e64 v20, 0, v20, s0
	v_cmp_nlt_f32_e64 s0, 0x42b17218, v19
	s_delay_alu instid0(VALU_DEP_1) | instskip(NEXT) | instid1(VALU_DEP_1)
	v_cndmask_b32_e64 v21, 0x7f800000, v20, s0
	v_add_f32_e32 v22, 1.0, v21
	v_cmp_gt_f32_e64 s23, 0x33800000, |v21|
	s_delay_alu instid0(VALU_DEP_2) | instskip(NEXT) | instid1(VALU_DEP_1)
	v_cvt_f64_f32_e32 v[19:20], v22
	v_frexp_exp_i32_f64_e32 v19, v[19:20]
	v_frexp_mant_f32_e32 v20, v22
	s_delay_alu instid0(VALU_DEP_1) | instskip(SKIP_1) | instid1(VALU_DEP_1)
	v_cmp_gt_f32_e64 s0, 0x3f2aaaab, v20
	v_add_f32_e32 v20, -1.0, v22
	v_sub_f32_e32 v24, v20, v22
	v_sub_f32_e32 v20, v21, v20
	s_delay_alu instid0(VALU_DEP_4) | instskip(SKIP_1) | instid1(VALU_DEP_1)
	v_subrev_co_ci_u32_e64 v19, s0, 0, v19, s0
	s_mov_b32 s0, 0x3e9b6dac
	v_sub_nc_u32_e32 v23, 0, v19
	v_cvt_f32_i32_e32 v19, v19
	s_delay_alu instid0(VALU_DEP_2) | instskip(NEXT) | instid1(VALU_DEP_1)
	v_ldexp_f32 v22, v22, v23
	v_dual_add_f32 v25, 1.0, v22 :: v_dual_add_f32 v24, 1.0, v24
	s_delay_alu instid0(VALU_DEP_1) | instskip(NEXT) | instid1(VALU_DEP_2)
	v_add_f32_e32 v20, v20, v24
	v_add_f32_e32 v24, -1.0, v25
	s_delay_alu instid0(VALU_DEP_2) | instskip(NEXT) | instid1(VALU_DEP_2)
	v_ldexp_f32 v20, v20, v23
	v_dual_add_f32 v23, -1.0, v22 :: v_dual_sub_f32 v24, v22, v24
	s_delay_alu instid0(VALU_DEP_1) | instskip(NEXT) | instid1(VALU_DEP_2)
	v_add_f32_e32 v26, 1.0, v23
	v_add_f32_e32 v24, v20, v24
	s_delay_alu instid0(VALU_DEP_2) | instskip(NEXT) | instid1(VALU_DEP_2)
	v_sub_f32_e32 v22, v22, v26
	v_add_f32_e32 v26, v25, v24
	s_delay_alu instid0(VALU_DEP_2) | instskip(NEXT) | instid1(VALU_DEP_2)
	v_add_f32_e32 v20, v20, v22
	v_rcp_f32_e32 v22, v26
	v_sub_f32_e32 v25, v25, v26
	s_delay_alu instid0(VALU_DEP_1) | instskip(NEXT) | instid1(VALU_DEP_1)
	v_dual_add_f32 v27, v23, v20 :: v_dual_add_f32 v24, v24, v25
	v_sub_f32_e32 v23, v23, v27
	s_waitcnt_depctr 0xfff
	v_dual_mul_f32 v29, v27, v22 :: v_dual_add_f32 v20, v20, v23
	s_delay_alu instid0(VALU_DEP_1) | instskip(NEXT) | instid1(VALU_DEP_1)
	v_mul_f32_e32 v30, v26, v29
	v_fma_f32 v25, v29, v26, -v30
	s_delay_alu instid0(VALU_DEP_1) | instskip(NEXT) | instid1(VALU_DEP_1)
	v_fmac_f32_e32 v25, v29, v24
	v_add_f32_e32 v46, v30, v25
	s_delay_alu instid0(VALU_DEP_1) | instskip(SKIP_1) | instid1(VALU_DEP_2)
	v_sub_f32_e32 v47, v27, v46
	v_sub_f32_e32 v23, v46, v30
	;; [unrolled: 1-line block ×3, first 2 shown]
	s_delay_alu instid0(VALU_DEP_2) | instskip(NEXT) | instid1(VALU_DEP_2)
	v_sub_f32_e32 v23, v23, v25
	v_sub_f32_e32 v27, v27, v46
	s_delay_alu instid0(VALU_DEP_1) | instskip(NEXT) | instid1(VALU_DEP_1)
	v_add_f32_e32 v20, v20, v27
	v_add_f32_e32 v20, v23, v20
	s_delay_alu instid0(VALU_DEP_1) | instskip(NEXT) | instid1(VALU_DEP_1)
	v_add_f32_e32 v23, v47, v20
	v_mul_f32_e32 v25, v22, v23
	s_delay_alu instid0(VALU_DEP_1) | instskip(NEXT) | instid1(VALU_DEP_1)
	v_dual_sub_f32 v46, v47, v23 :: v_dual_mul_f32 v27, v26, v25
	v_add_f32_e32 v20, v20, v46
	s_delay_alu instid0(VALU_DEP_2) | instskip(NEXT) | instid1(VALU_DEP_1)
	v_fma_f32 v26, v25, v26, -v27
	v_fmac_f32_e32 v26, v25, v24
	s_delay_alu instid0(VALU_DEP_1) | instskip(NEXT) | instid1(VALU_DEP_1)
	v_add_f32_e32 v24, v27, v26
	v_dual_sub_f32 v30, v23, v24 :: v_dual_sub_f32 v27, v24, v27
	s_delay_alu instid0(VALU_DEP_1) | instskip(NEXT) | instid1(VALU_DEP_1)
	v_sub_f32_e32 v23, v23, v30
	v_sub_f32_e32 v23, v23, v24
	s_delay_alu instid0(VALU_DEP_3) | instskip(NEXT) | instid1(VALU_DEP_2)
	v_sub_f32_e32 v24, v27, v26
	v_dual_add_f32 v20, v20, v23 :: v_dual_add_f32 v23, v29, v25
	s_delay_alu instid0(VALU_DEP_1) | instskip(NEXT) | instid1(VALU_DEP_2)
	v_add_f32_e32 v20, v24, v20
	v_sub_f32_e32 v24, v23, v29
	s_delay_alu instid0(VALU_DEP_2) | instskip(NEXT) | instid1(VALU_DEP_2)
	v_add_f32_e32 v20, v30, v20
	v_sub_f32_e32 v24, v25, v24
	s_delay_alu instid0(VALU_DEP_2) | instskip(NEXT) | instid1(VALU_DEP_1)
	v_mul_f32_e32 v20, v22, v20
	v_add_f32_e32 v20, v24, v20
	s_delay_alu instid0(VALU_DEP_1) | instskip(NEXT) | instid1(VALU_DEP_1)
	v_add_f32_e32 v22, v23, v20
	v_mul_f32_e32 v24, v22, v22
	s_delay_alu instid0(VALU_DEP_1) | instskip(SKIP_2) | instid1(VALU_DEP_3)
	v_fmaak_f32 v25, s0, v24, 0x3ecc95a3
	v_mul_f32_e32 v26, v22, v24
	v_cmp_eq_f32_e64 s0, 0x7f800000, v21
	v_fmaak_f32 v24, v24, v25, 0x3f2aaada
	v_ldexp_f32 v25, v22, 1
	v_sub_f32_e32 v22, v22, v23
	s_delay_alu instid0(VALU_DEP_4) | instskip(NEXT) | instid1(VALU_DEP_3)
	s_or_b32 s0, s0, s23
	v_mul_f32_e32 v24, v26, v24
	v_mul_f32_e32 v26, 0x3f317218, v19
	s_delay_alu instid0(VALU_DEP_2) | instskip(NEXT) | instid1(VALU_DEP_1)
	v_dual_sub_f32 v20, v20, v22 :: v_dual_add_f32 v23, v25, v24
	v_ldexp_f32 v20, v20, 1
	s_delay_alu instid0(VALU_DEP_2) | instskip(NEXT) | instid1(VALU_DEP_4)
	v_sub_f32_e32 v22, v23, v25
	v_fma_f32 v25, 0x3f317218, v19, -v26
	s_delay_alu instid0(VALU_DEP_1) | instskip(NEXT) | instid1(VALU_DEP_1)
	v_dual_sub_f32 v22, v24, v22 :: v_dual_fmamk_f32 v19, v19, 0xb102e308, v25
	v_add_f32_e32 v20, v20, v22
	s_delay_alu instid0(VALU_DEP_2) | instskip(NEXT) | instid1(VALU_DEP_2)
	v_add_f32_e32 v22, v26, v19
	v_add_f32_e32 v24, v23, v20
	s_delay_alu instid0(VALU_DEP_2) | instskip(NEXT) | instid1(VALU_DEP_2)
	v_sub_f32_e32 v26, v22, v26
	v_add_f32_e32 v25, v22, v24
	v_sub_f32_e32 v23, v24, v23
	s_delay_alu instid0(VALU_DEP_3) | instskip(NEXT) | instid1(VALU_DEP_2)
	v_sub_f32_e32 v19, v19, v26
	v_dual_sub_f32 v27, v25, v22 :: v_dual_sub_f32 v20, v20, v23
	s_delay_alu instid0(VALU_DEP_1) | instskip(NEXT) | instid1(VALU_DEP_2)
	v_sub_f32_e32 v29, v25, v27
	v_dual_sub_f32 v23, v24, v27 :: v_dual_add_f32 v24, v19, v20
	s_delay_alu instid0(VALU_DEP_2) | instskip(NEXT) | instid1(VALU_DEP_1)
	v_sub_f32_e32 v22, v22, v29
	v_dual_add_f32 v22, v23, v22 :: v_dual_sub_f32 v23, v24, v19
	s_delay_alu instid0(VALU_DEP_1) | instskip(NEXT) | instid1(VALU_DEP_2)
	v_add_f32_e32 v22, v24, v22
	v_sub_f32_e32 v24, v24, v23
	v_sub_f32_e32 v20, v20, v23
	s_delay_alu instid0(VALU_DEP_2) | instskip(NEXT) | instid1(VALU_DEP_1)
	v_dual_add_f32 v26, v25, v22 :: v_dual_sub_f32 v19, v19, v24
	v_sub_f32_e32 v23, v26, v25
	s_delay_alu instid0(VALU_DEP_2) | instskip(NEXT) | instid1(VALU_DEP_2)
	v_add_f32_e32 v19, v20, v19
	v_sub_f32_e32 v20, v22, v23
	s_delay_alu instid0(VALU_DEP_1) | instskip(NEXT) | instid1(VALU_DEP_1)
	v_add_f32_e32 v19, v19, v20
	v_add_f32_e32 v19, v26, v19
	s_delay_alu instid0(VALU_DEP_1) | instskip(NEXT) | instid1(VALU_DEP_1)
	v_cndmask_b32_e64 v19, v19, v21, s0
	v_add_f32_e32 v19, v9, v19
.LBB511_144:
	s_or_b32 exec_lo, exec_lo, s1
	s_delay_alu instid0(VALU_DEP_1) | instskip(SKIP_1) | instid1(VALU_DEP_2)
	v_bfe_u32 v9, v19, 16, 1
	v_cmp_o_f32_e64 s0, v19, v19
	v_add3_u32 v9, v19, v9, 0x7fff
	s_delay_alu instid0(VALU_DEP_1) | instskip(NEXT) | instid1(VALU_DEP_1)
	v_lshrrev_b32_e32 v9, 16, v9
	v_cndmask_b32_e64 v9, 0x7fc0, v9, s0
	s_delay_alu instid0(VALU_DEP_1) | instskip(NEXT) | instid1(VALU_DEP_1)
	v_lshlrev_b32_e32 v20, 16, v9
	v_max_f32_e32 v19, v20, v20
	s_delay_alu instid0(VALU_DEP_1) | instskip(SKIP_2) | instid1(VALU_DEP_1)
	v_min_f32_e32 v21, v19, v32
	v_max_f32_e32 v19, v19, v32
	v_cmp_u_f32_e64 s0, v20, v20
	v_cndmask_b32_e64 v21, v21, v20, s0
	s_delay_alu instid0(VALU_DEP_3) | instskip(NEXT) | instid1(VALU_DEP_2)
	v_cndmask_b32_e64 v19, v19, v20, s0
	v_cndmask_b32_e64 v21, v21, v28, s35
	s_delay_alu instid0(VALU_DEP_2) | instskip(NEXT) | instid1(VALU_DEP_2)
	v_cndmask_b32_e64 v19, v19, v28, s35
	v_cmp_class_f32_e64 s1, v21, 0x1f8
	s_delay_alu instid0(VALU_DEP_2) | instskip(NEXT) | instid1(VALU_DEP_1)
	v_cmp_neq_f32_e64 s0, v21, v19
	s_or_b32 s0, s0, s1
	s_delay_alu instid0(SALU_CYCLE_1)
	s_and_saveexec_b32 s1, s0
	s_cbranch_execz .LBB511_146
; %bb.145:
	v_sub_f32_e32 v20, v21, v19
	s_delay_alu instid0(VALU_DEP_1) | instskip(SKIP_1) | instid1(VALU_DEP_2)
	v_mul_f32_e32 v21, 0x3fb8aa3b, v20
	v_cmp_ngt_f32_e64 s0, 0xc2ce8ed0, v20
	v_fma_f32 v22, 0x3fb8aa3b, v20, -v21
	v_rndne_f32_e32 v23, v21
	s_delay_alu instid0(VALU_DEP_1) | instskip(NEXT) | instid1(VALU_DEP_1)
	v_dual_fmamk_f32 v22, v20, 0x32a5705f, v22 :: v_dual_sub_f32 v21, v21, v23
	v_add_f32_e32 v21, v21, v22
	v_cvt_i32_f32_e32 v22, v23
	s_delay_alu instid0(VALU_DEP_2) | instskip(SKIP_2) | instid1(VALU_DEP_1)
	v_exp_f32_e32 v21, v21
	s_waitcnt_depctr 0xfff
	v_ldexp_f32 v21, v21, v22
	v_cndmask_b32_e64 v21, 0, v21, s0
	v_cmp_nlt_f32_e64 s0, 0x42b17218, v20
	s_delay_alu instid0(VALU_DEP_1) | instskip(NEXT) | instid1(VALU_DEP_1)
	v_cndmask_b32_e64 v22, 0x7f800000, v21, s0
	v_add_f32_e32 v23, 1.0, v22
	v_cmp_gt_f32_e64 s23, 0x33800000, |v22|
	s_delay_alu instid0(VALU_DEP_2) | instskip(NEXT) | instid1(VALU_DEP_1)
	v_cvt_f64_f32_e32 v[20:21], v23
	v_frexp_exp_i32_f64_e32 v20, v[20:21]
	v_frexp_mant_f32_e32 v21, v23
	s_delay_alu instid0(VALU_DEP_1) | instskip(SKIP_1) | instid1(VALU_DEP_1)
	v_cmp_gt_f32_e64 s0, 0x3f2aaaab, v21
	v_add_f32_e32 v21, -1.0, v23
	v_sub_f32_e32 v25, v21, v23
	v_sub_f32_e32 v21, v22, v21
	s_delay_alu instid0(VALU_DEP_4) | instskip(SKIP_1) | instid1(VALU_DEP_1)
	v_subrev_co_ci_u32_e64 v20, s0, 0, v20, s0
	s_mov_b32 s0, 0x3e9b6dac
	v_sub_nc_u32_e32 v24, 0, v20
	v_cvt_f32_i32_e32 v20, v20
	s_delay_alu instid0(VALU_DEP_2) | instskip(NEXT) | instid1(VALU_DEP_1)
	v_ldexp_f32 v23, v23, v24
	v_dual_add_f32 v26, 1.0, v23 :: v_dual_add_f32 v25, 1.0, v25
	s_delay_alu instid0(VALU_DEP_1) | instskip(NEXT) | instid1(VALU_DEP_1)
	v_add_f32_e32 v21, v21, v25
	v_ldexp_f32 v21, v21, v24
	s_delay_alu instid0(VALU_DEP_3) | instskip(NEXT) | instid1(VALU_DEP_1)
	v_dual_add_f32 v24, -1.0, v23 :: v_dual_add_f32 v25, -1.0, v26
	v_add_f32_e32 v27, 1.0, v24
	s_delay_alu instid0(VALU_DEP_2) | instskip(NEXT) | instid1(VALU_DEP_2)
	v_sub_f32_e32 v25, v23, v25
	v_sub_f32_e32 v23, v23, v27
	s_delay_alu instid0(VALU_DEP_2) | instskip(NEXT) | instid1(VALU_DEP_2)
	v_add_f32_e32 v25, v21, v25
	v_add_f32_e32 v21, v21, v23
	s_delay_alu instid0(VALU_DEP_2) | instskip(NEXT) | instid1(VALU_DEP_2)
	v_add_f32_e32 v27, v26, v25
	v_add_f32_e32 v28, v24, v21
	s_delay_alu instid0(VALU_DEP_2) | instskip(SKIP_1) | instid1(VALU_DEP_1)
	v_rcp_f32_e32 v23, v27
	v_sub_f32_e32 v26, v26, v27
	v_dual_sub_f32 v24, v24, v28 :: v_dual_add_f32 v25, v25, v26
	s_delay_alu instid0(VALU_DEP_1) | instskip(SKIP_2) | instid1(VALU_DEP_1)
	v_add_f32_e32 v21, v21, v24
	s_waitcnt_depctr 0xfff
	v_mul_f32_e32 v29, v28, v23
	v_mul_f32_e32 v30, v27, v29
	s_delay_alu instid0(VALU_DEP_1) | instskip(NEXT) | instid1(VALU_DEP_1)
	v_fma_f32 v26, v29, v27, -v30
	v_fmac_f32_e32 v26, v29, v25
	s_delay_alu instid0(VALU_DEP_1) | instskip(NEXT) | instid1(VALU_DEP_1)
	v_add_f32_e32 v32, v30, v26
	v_sub_f32_e32 v46, v28, v32
	v_sub_f32_e32 v24, v32, v30
	s_delay_alu instid0(VALU_DEP_2) | instskip(NEXT) | instid1(VALU_DEP_2)
	v_sub_f32_e32 v28, v28, v46
	v_sub_f32_e32 v24, v24, v26
	s_delay_alu instid0(VALU_DEP_2) | instskip(NEXT) | instid1(VALU_DEP_1)
	v_sub_f32_e32 v28, v28, v32
	v_add_f32_e32 v21, v21, v28
	s_delay_alu instid0(VALU_DEP_1) | instskip(NEXT) | instid1(VALU_DEP_1)
	v_add_f32_e32 v21, v24, v21
	v_add_f32_e32 v24, v46, v21
	s_delay_alu instid0(VALU_DEP_1) | instskip(SKIP_1) | instid1(VALU_DEP_2)
	v_mul_f32_e32 v26, v23, v24
	v_sub_f32_e32 v32, v46, v24
	v_mul_f32_e32 v28, v27, v26
	s_delay_alu instid0(VALU_DEP_1) | instskip(NEXT) | instid1(VALU_DEP_1)
	v_fma_f32 v27, v26, v27, -v28
	v_fmac_f32_e32 v27, v26, v25
	s_delay_alu instid0(VALU_DEP_1) | instskip(NEXT) | instid1(VALU_DEP_1)
	v_add_f32_e32 v25, v28, v27
	v_sub_f32_e32 v30, v24, v25
	v_sub_f32_e32 v28, v25, v28
	s_delay_alu instid0(VALU_DEP_2) | instskip(NEXT) | instid1(VALU_DEP_1)
	v_dual_sub_f32 v24, v24, v30 :: v_dual_add_f32 v21, v21, v32
	v_sub_f32_e32 v24, v24, v25
	s_delay_alu instid0(VALU_DEP_3) | instskip(NEXT) | instid1(VALU_DEP_2)
	v_sub_f32_e32 v25, v28, v27
	v_add_f32_e32 v21, v21, v24
	v_add_f32_e32 v24, v29, v26
	s_delay_alu instid0(VALU_DEP_2) | instskip(NEXT) | instid1(VALU_DEP_2)
	v_add_f32_e32 v21, v25, v21
	v_sub_f32_e32 v25, v24, v29
	s_delay_alu instid0(VALU_DEP_2) | instskip(NEXT) | instid1(VALU_DEP_2)
	v_add_f32_e32 v21, v30, v21
	v_sub_f32_e32 v25, v26, v25
	s_delay_alu instid0(VALU_DEP_2) | instskip(NEXT) | instid1(VALU_DEP_1)
	v_mul_f32_e32 v21, v23, v21
	v_add_f32_e32 v21, v25, v21
	s_delay_alu instid0(VALU_DEP_1) | instskip(NEXT) | instid1(VALU_DEP_1)
	v_add_f32_e32 v23, v24, v21
	v_mul_f32_e32 v25, v23, v23
	s_delay_alu instid0(VALU_DEP_1) | instskip(SKIP_2) | instid1(VALU_DEP_3)
	v_fmaak_f32 v26, s0, v25, 0x3ecc95a3
	v_mul_f32_e32 v27, v23, v25
	v_cmp_eq_f32_e64 s0, 0x7f800000, v22
	v_fmaak_f32 v25, v25, v26, 0x3f2aaada
	v_ldexp_f32 v26, v23, 1
	s_delay_alu instid0(VALU_DEP_3) | instskip(NEXT) | instid1(VALU_DEP_2)
	s_or_b32 s0, s0, s23
	v_mul_f32_e32 v25, v27, v25
	s_delay_alu instid0(VALU_DEP_1) | instskip(NEXT) | instid1(VALU_DEP_1)
	v_dual_sub_f32 v23, v23, v24 :: v_dual_add_f32 v24, v26, v25
	v_sub_f32_e32 v21, v21, v23
	s_delay_alu instid0(VALU_DEP_2) | instskip(NEXT) | instid1(VALU_DEP_2)
	v_sub_f32_e32 v23, v24, v26
	v_ldexp_f32 v21, v21, 1
	s_delay_alu instid0(VALU_DEP_2) | instskip(NEXT) | instid1(VALU_DEP_1)
	v_sub_f32_e32 v23, v25, v23
	v_add_f32_e32 v21, v21, v23
	s_delay_alu instid0(VALU_DEP_1) | instskip(SKIP_1) | instid1(VALU_DEP_2)
	v_add_f32_e32 v25, v24, v21
	v_mul_f32_e32 v27, 0x3f317218, v20
	v_sub_f32_e32 v24, v25, v24
	s_delay_alu instid0(VALU_DEP_2) | instskip(NEXT) | instid1(VALU_DEP_1)
	v_fma_f32 v26, 0x3f317218, v20, -v27
	v_dual_sub_f32 v21, v21, v24 :: v_dual_fmamk_f32 v20, v20, 0xb102e308, v26
	s_delay_alu instid0(VALU_DEP_1) | instskip(NEXT) | instid1(VALU_DEP_1)
	v_add_f32_e32 v23, v27, v20
	v_add_f32_e32 v26, v23, v25
	v_sub_f32_e32 v27, v23, v27
	s_delay_alu instid0(VALU_DEP_2) | instskip(NEXT) | instid1(VALU_DEP_1)
	v_sub_f32_e32 v28, v26, v23
	v_dual_sub_f32 v20, v20, v27 :: v_dual_sub_f32 v29, v26, v28
	s_delay_alu instid0(VALU_DEP_1) | instskip(NEXT) | instid1(VALU_DEP_2)
	v_dual_sub_f32 v24, v25, v28 :: v_dual_add_f32 v25, v20, v21
	v_sub_f32_e32 v23, v23, v29
	s_delay_alu instid0(VALU_DEP_1) | instskip(NEXT) | instid1(VALU_DEP_1)
	v_dual_add_f32 v23, v24, v23 :: v_dual_sub_f32 v24, v25, v20
	v_add_f32_e32 v23, v25, v23
	s_delay_alu instid0(VALU_DEP_2) | instskip(SKIP_1) | instid1(VALU_DEP_2)
	v_sub_f32_e32 v25, v25, v24
	v_sub_f32_e32 v21, v21, v24
	v_dual_add_f32 v27, v26, v23 :: v_dual_sub_f32 v20, v20, v25
	s_delay_alu instid0(VALU_DEP_1) | instskip(NEXT) | instid1(VALU_DEP_2)
	v_sub_f32_e32 v24, v27, v26
	v_add_f32_e32 v20, v21, v20
	s_delay_alu instid0(VALU_DEP_2) | instskip(NEXT) | instid1(VALU_DEP_1)
	v_sub_f32_e32 v21, v23, v24
	v_add_f32_e32 v20, v20, v21
	s_delay_alu instid0(VALU_DEP_1) | instskip(NEXT) | instid1(VALU_DEP_1)
	v_add_f32_e32 v20, v27, v20
	v_cndmask_b32_e64 v20, v20, v22, s0
	s_delay_alu instid0(VALU_DEP_1)
	v_add_f32_e32 v20, v19, v20
.LBB511_146:
	s_or_b32 exec_lo, exec_lo, s1
	s_delay_alu instid0(VALU_DEP_1) | instskip(SKIP_1) | instid1(VALU_DEP_2)
	v_bfe_u32 v19, v20, 16, 1
	v_cmp_o_f32_e64 s0, v20, v20
	v_add3_u32 v19, v20, v19, 0x7fff
	s_delay_alu instid0(VALU_DEP_1) | instskip(NEXT) | instid1(VALU_DEP_1)
	v_lshrrev_b32_e32 v19, 16, v19
	v_cndmask_b32_e64 v19, 0x7fc0, v19, s0
	s_delay_alu instid0(VALU_DEP_1) | instskip(NEXT) | instid1(VALU_DEP_1)
	v_lshlrev_b32_e32 v20, 16, v19
	v_max_f32_e32 v21, v20, v20
	s_delay_alu instid0(VALU_DEP_1) | instskip(SKIP_2) | instid1(VALU_DEP_1)
	v_min_f32_e32 v22, v21, v33
	v_max_f32_e32 v21, v21, v33
	v_cmp_u_f32_e64 s0, v20, v20
	v_cndmask_b32_e64 v22, v22, v20, s0
	s_delay_alu instid0(VALU_DEP_3) | instskip(NEXT) | instid1(VALU_DEP_2)
	v_cndmask_b32_e64 v23, v21, v20, s0
	v_cndmask_b32_e64 v21, v22, v6, s36
	s_delay_alu instid0(VALU_DEP_2) | instskip(NEXT) | instid1(VALU_DEP_2)
	v_cndmask_b32_e64 v6, v23, v6, s36
	v_cmp_class_f32_e64 s1, v21, 0x1f8
	s_delay_alu instid0(VALU_DEP_2) | instskip(NEXT) | instid1(VALU_DEP_1)
	v_cmp_neq_f32_e64 s0, v21, v6
	s_or_b32 s0, s0, s1
	s_delay_alu instid0(SALU_CYCLE_1)
	s_and_saveexec_b32 s1, s0
	s_cbranch_execz .LBB511_148
; %bb.147:
	v_sub_f32_e32 v20, v21, v6
	s_delay_alu instid0(VALU_DEP_1) | instskip(SKIP_1) | instid1(VALU_DEP_2)
	v_mul_f32_e32 v21, 0x3fb8aa3b, v20
	v_cmp_ngt_f32_e64 s0, 0xc2ce8ed0, v20
	v_fma_f32 v22, 0x3fb8aa3b, v20, -v21
	v_rndne_f32_e32 v23, v21
	s_delay_alu instid0(VALU_DEP_1) | instskip(NEXT) | instid1(VALU_DEP_1)
	v_dual_fmamk_f32 v22, v20, 0x32a5705f, v22 :: v_dual_sub_f32 v21, v21, v23
	v_add_f32_e32 v21, v21, v22
	v_cvt_i32_f32_e32 v22, v23
	s_delay_alu instid0(VALU_DEP_2) | instskip(SKIP_2) | instid1(VALU_DEP_1)
	v_exp_f32_e32 v21, v21
	s_waitcnt_depctr 0xfff
	v_ldexp_f32 v21, v21, v22
	v_cndmask_b32_e64 v21, 0, v21, s0
	v_cmp_nlt_f32_e64 s0, 0x42b17218, v20
	s_delay_alu instid0(VALU_DEP_1) | instskip(NEXT) | instid1(VALU_DEP_1)
	v_cndmask_b32_e64 v22, 0x7f800000, v21, s0
	v_add_f32_e32 v23, 1.0, v22
	v_cmp_gt_f32_e64 s23, 0x33800000, |v22|
	s_delay_alu instid0(VALU_DEP_2) | instskip(NEXT) | instid1(VALU_DEP_1)
	v_cvt_f64_f32_e32 v[20:21], v23
	v_frexp_exp_i32_f64_e32 v20, v[20:21]
	v_frexp_mant_f32_e32 v21, v23
	s_delay_alu instid0(VALU_DEP_1) | instskip(SKIP_1) | instid1(VALU_DEP_1)
	v_cmp_gt_f32_e64 s0, 0x3f2aaaab, v21
	v_add_f32_e32 v21, -1.0, v23
	v_sub_f32_e32 v25, v21, v23
	v_sub_f32_e32 v21, v22, v21
	s_delay_alu instid0(VALU_DEP_4) | instskip(SKIP_1) | instid1(VALU_DEP_1)
	v_subrev_co_ci_u32_e64 v20, s0, 0, v20, s0
	s_mov_b32 s0, 0x3e9b6dac
	v_sub_nc_u32_e32 v24, 0, v20
	v_cvt_f32_i32_e32 v20, v20
	s_delay_alu instid0(VALU_DEP_2) | instskip(NEXT) | instid1(VALU_DEP_1)
	v_ldexp_f32 v23, v23, v24
	v_dual_add_f32 v26, 1.0, v23 :: v_dual_add_f32 v25, 1.0, v25
	s_delay_alu instid0(VALU_DEP_1) | instskip(NEXT) | instid1(VALU_DEP_2)
	v_add_f32_e32 v21, v21, v25
	v_add_f32_e32 v25, -1.0, v26
	s_delay_alu instid0(VALU_DEP_2) | instskip(NEXT) | instid1(VALU_DEP_2)
	v_ldexp_f32 v21, v21, v24
	v_dual_add_f32 v24, -1.0, v23 :: v_dual_sub_f32 v25, v23, v25
	s_delay_alu instid0(VALU_DEP_1) | instskip(NEXT) | instid1(VALU_DEP_2)
	v_add_f32_e32 v27, 1.0, v24
	v_add_f32_e32 v25, v21, v25
	s_delay_alu instid0(VALU_DEP_2) | instskip(NEXT) | instid1(VALU_DEP_2)
	v_sub_f32_e32 v23, v23, v27
	v_add_f32_e32 v27, v26, v25
	s_delay_alu instid0(VALU_DEP_2) | instskip(NEXT) | instid1(VALU_DEP_2)
	v_add_f32_e32 v21, v21, v23
	v_rcp_f32_e32 v23, v27
	v_sub_f32_e32 v26, v26, v27
	s_delay_alu instid0(VALU_DEP_1) | instskip(NEXT) | instid1(VALU_DEP_1)
	v_dual_add_f32 v28, v24, v21 :: v_dual_add_f32 v25, v25, v26
	v_sub_f32_e32 v24, v24, v28
	s_waitcnt_depctr 0xfff
	v_mul_f32_e32 v29, v28, v23
	s_delay_alu instid0(VALU_DEP_1) | instskip(NEXT) | instid1(VALU_DEP_1)
	v_dual_add_f32 v21, v21, v24 :: v_dual_mul_f32 v30, v27, v29
	v_fma_f32 v26, v29, v27, -v30
	s_delay_alu instid0(VALU_DEP_1) | instskip(NEXT) | instid1(VALU_DEP_1)
	v_fmac_f32_e32 v26, v29, v25
	v_add_f32_e32 v32, v30, v26
	s_delay_alu instid0(VALU_DEP_1) | instskip(SKIP_1) | instid1(VALU_DEP_2)
	v_sub_f32_e32 v33, v28, v32
	v_sub_f32_e32 v24, v32, v30
	;; [unrolled: 1-line block ×3, first 2 shown]
	s_delay_alu instid0(VALU_DEP_2) | instskip(NEXT) | instid1(VALU_DEP_2)
	v_sub_f32_e32 v24, v24, v26
	v_sub_f32_e32 v28, v28, v32
	s_delay_alu instid0(VALU_DEP_1) | instskip(NEXT) | instid1(VALU_DEP_1)
	v_add_f32_e32 v21, v21, v28
	v_add_f32_e32 v21, v24, v21
	s_delay_alu instid0(VALU_DEP_1) | instskip(NEXT) | instid1(VALU_DEP_1)
	v_add_f32_e32 v24, v33, v21
	v_sub_f32_e32 v32, v33, v24
	v_mul_f32_e32 v26, v23, v24
	s_delay_alu instid0(VALU_DEP_1) | instskip(NEXT) | instid1(VALU_DEP_1)
	v_mul_f32_e32 v28, v27, v26
	v_fma_f32 v27, v26, v27, -v28
	s_delay_alu instid0(VALU_DEP_1) | instskip(NEXT) | instid1(VALU_DEP_1)
	v_fmac_f32_e32 v27, v26, v25
	v_add_f32_e32 v25, v28, v27
	s_delay_alu instid0(VALU_DEP_1) | instskip(SKIP_1) | instid1(VALU_DEP_2)
	v_sub_f32_e32 v30, v24, v25
	v_sub_f32_e32 v28, v25, v28
	v_dual_sub_f32 v24, v24, v30 :: v_dual_add_f32 v21, v21, v32
	s_delay_alu instid0(VALU_DEP_1) | instskip(NEXT) | instid1(VALU_DEP_3)
	v_sub_f32_e32 v24, v24, v25
	v_sub_f32_e32 v25, v28, v27
	s_delay_alu instid0(VALU_DEP_2) | instskip(SKIP_1) | instid1(VALU_DEP_2)
	v_add_f32_e32 v21, v21, v24
	v_add_f32_e32 v24, v29, v26
	;; [unrolled: 1-line block ×3, first 2 shown]
	s_delay_alu instid0(VALU_DEP_2) | instskip(NEXT) | instid1(VALU_DEP_2)
	v_sub_f32_e32 v25, v24, v29
	v_add_f32_e32 v21, v30, v21
	s_delay_alu instid0(VALU_DEP_2) | instskip(NEXT) | instid1(VALU_DEP_2)
	v_sub_f32_e32 v25, v26, v25
	v_mul_f32_e32 v21, v23, v21
	s_delay_alu instid0(VALU_DEP_1) | instskip(NEXT) | instid1(VALU_DEP_1)
	v_add_f32_e32 v21, v25, v21
	v_add_f32_e32 v23, v24, v21
	s_delay_alu instid0(VALU_DEP_1) | instskip(NEXT) | instid1(VALU_DEP_1)
	v_mul_f32_e32 v25, v23, v23
	v_fmaak_f32 v26, s0, v25, 0x3ecc95a3
	v_mul_f32_e32 v27, v23, v25
	v_cmp_eq_f32_e64 s0, 0x7f800000, v22
	s_delay_alu instid0(VALU_DEP_3) | instskip(SKIP_1) | instid1(VALU_DEP_3)
	v_fmaak_f32 v25, v25, v26, 0x3f2aaada
	v_ldexp_f32 v26, v23, 1
	s_or_b32 s0, s0, s23
	s_delay_alu instid0(VALU_DEP_2) | instskip(NEXT) | instid1(VALU_DEP_1)
	v_mul_f32_e32 v25, v27, v25
	v_dual_sub_f32 v23, v23, v24 :: v_dual_add_f32 v24, v26, v25
	s_delay_alu instid0(VALU_DEP_1) | instskip(NEXT) | instid1(VALU_DEP_2)
	v_sub_f32_e32 v21, v21, v23
	v_sub_f32_e32 v23, v24, v26
	s_delay_alu instid0(VALU_DEP_2) | instskip(NEXT) | instid1(VALU_DEP_2)
	v_ldexp_f32 v21, v21, 1
	v_sub_f32_e32 v23, v25, v23
	s_delay_alu instid0(VALU_DEP_1) | instskip(NEXT) | instid1(VALU_DEP_1)
	v_add_f32_e32 v21, v21, v23
	v_add_f32_e32 v25, v24, v21
	v_mul_f32_e32 v27, 0x3f317218, v20
	s_delay_alu instid0(VALU_DEP_2) | instskip(NEXT) | instid1(VALU_DEP_2)
	v_sub_f32_e32 v24, v25, v24
	v_fma_f32 v26, 0x3f317218, v20, -v27
	s_delay_alu instid0(VALU_DEP_1) | instskip(NEXT) | instid1(VALU_DEP_1)
	v_dual_sub_f32 v21, v21, v24 :: v_dual_fmamk_f32 v20, v20, 0xb102e308, v26
	v_add_f32_e32 v23, v27, v20
	s_delay_alu instid0(VALU_DEP_1) | instskip(SKIP_1) | instid1(VALU_DEP_2)
	v_add_f32_e32 v26, v23, v25
	v_sub_f32_e32 v27, v23, v27
	v_sub_f32_e32 v28, v26, v23
	s_delay_alu instid0(VALU_DEP_1) | instskip(NEXT) | instid1(VALU_DEP_1)
	v_dual_sub_f32 v20, v20, v27 :: v_dual_sub_f32 v29, v26, v28
	v_dual_sub_f32 v24, v25, v28 :: v_dual_add_f32 v25, v20, v21
	s_delay_alu instid0(VALU_DEP_2) | instskip(NEXT) | instid1(VALU_DEP_1)
	v_sub_f32_e32 v23, v23, v29
	v_dual_add_f32 v23, v24, v23 :: v_dual_sub_f32 v24, v25, v20
	s_delay_alu instid0(VALU_DEP_1) | instskip(NEXT) | instid1(VALU_DEP_2)
	v_add_f32_e32 v23, v25, v23
	v_sub_f32_e32 v25, v25, v24
	v_sub_f32_e32 v21, v21, v24
	s_delay_alu instid0(VALU_DEP_2) | instskip(NEXT) | instid1(VALU_DEP_1)
	v_dual_add_f32 v27, v26, v23 :: v_dual_sub_f32 v20, v20, v25
	v_sub_f32_e32 v24, v27, v26
	s_delay_alu instid0(VALU_DEP_2) | instskip(NEXT) | instid1(VALU_DEP_2)
	v_add_f32_e32 v20, v21, v20
	v_sub_f32_e32 v21, v23, v24
	s_delay_alu instid0(VALU_DEP_1) | instskip(NEXT) | instid1(VALU_DEP_1)
	v_add_f32_e32 v20, v20, v21
	v_add_f32_e32 v20, v27, v20
	s_delay_alu instid0(VALU_DEP_1) | instskip(NEXT) | instid1(VALU_DEP_1)
	v_cndmask_b32_e64 v20, v20, v22, s0
	v_add_f32_e32 v20, v6, v20
.LBB511_148:
	s_or_b32 exec_lo, exec_lo, s1
	s_delay_alu instid0(VALU_DEP_1) | instskip(SKIP_1) | instid1(VALU_DEP_2)
	v_bfe_u32 v6, v20, 16, 1
	v_cmp_o_f32_e64 s0, v20, v20
	v_add3_u32 v6, v20, v6, 0x7fff
	s_delay_alu instid0(VALU_DEP_1) | instskip(NEXT) | instid1(VALU_DEP_1)
	v_lshrrev_b32_e32 v6, 16, v6
	v_cndmask_b32_e64 v6, 0x7fc0, v6, s0
	s_delay_alu instid0(VALU_DEP_1) | instskip(NEXT) | instid1(VALU_DEP_1)
	v_lshlrev_b32_e32 v21, 16, v6
	v_max_f32_e32 v20, v21, v21
	s_delay_alu instid0(VALU_DEP_1) | instskip(SKIP_2) | instid1(VALU_DEP_1)
	v_min_f32_e32 v22, v20, v35
	v_max_f32_e32 v20, v20, v35
	v_cmp_u_f32_e64 s0, v21, v21
	v_cndmask_b32_e64 v22, v22, v21, s0
	s_delay_alu instid0(VALU_DEP_3) | instskip(NEXT) | instid1(VALU_DEP_2)
	v_cndmask_b32_e64 v20, v20, v21, s0
	v_cndmask_b32_e64 v22, v22, v31, s37
	s_delay_alu instid0(VALU_DEP_2) | instskip(NEXT) | instid1(VALU_DEP_2)
	v_cndmask_b32_e64 v20, v20, v31, s37
	v_cmp_class_f32_e64 s1, v22, 0x1f8
	s_delay_alu instid0(VALU_DEP_2) | instskip(NEXT) | instid1(VALU_DEP_1)
	v_cmp_neq_f32_e64 s0, v22, v20
	s_or_b32 s0, s0, s1
	s_delay_alu instid0(SALU_CYCLE_1)
	s_and_saveexec_b32 s1, s0
	s_cbranch_execz .LBB511_150
; %bb.149:
	v_sub_f32_e32 v21, v22, v20
	s_delay_alu instid0(VALU_DEP_1) | instskip(SKIP_1) | instid1(VALU_DEP_2)
	v_mul_f32_e32 v22, 0x3fb8aa3b, v21
	v_cmp_ngt_f32_e64 s0, 0xc2ce8ed0, v21
	v_fma_f32 v23, 0x3fb8aa3b, v21, -v22
	v_rndne_f32_e32 v24, v22
	s_delay_alu instid0(VALU_DEP_1) | instskip(NEXT) | instid1(VALU_DEP_1)
	v_dual_fmamk_f32 v23, v21, 0x32a5705f, v23 :: v_dual_sub_f32 v22, v22, v24
	v_add_f32_e32 v22, v22, v23
	v_cvt_i32_f32_e32 v23, v24
	s_delay_alu instid0(VALU_DEP_2) | instskip(SKIP_2) | instid1(VALU_DEP_1)
	v_exp_f32_e32 v22, v22
	s_waitcnt_depctr 0xfff
	v_ldexp_f32 v22, v22, v23
	v_cndmask_b32_e64 v22, 0, v22, s0
	v_cmp_nlt_f32_e64 s0, 0x42b17218, v21
	s_delay_alu instid0(VALU_DEP_1) | instskip(NEXT) | instid1(VALU_DEP_1)
	v_cndmask_b32_e64 v23, 0x7f800000, v22, s0
	v_add_f32_e32 v24, 1.0, v23
	v_cmp_gt_f32_e64 s23, 0x33800000, |v23|
	s_delay_alu instid0(VALU_DEP_2) | instskip(NEXT) | instid1(VALU_DEP_1)
	v_cvt_f64_f32_e32 v[21:22], v24
	v_frexp_exp_i32_f64_e32 v21, v[21:22]
	v_frexp_mant_f32_e32 v22, v24
	s_delay_alu instid0(VALU_DEP_1) | instskip(SKIP_1) | instid1(VALU_DEP_1)
	v_cmp_gt_f32_e64 s0, 0x3f2aaaab, v22
	v_add_f32_e32 v22, -1.0, v24
	v_sub_f32_e32 v26, v22, v24
	v_sub_f32_e32 v22, v23, v22
	s_delay_alu instid0(VALU_DEP_4) | instskip(SKIP_1) | instid1(VALU_DEP_1)
	v_subrev_co_ci_u32_e64 v21, s0, 0, v21, s0
	s_mov_b32 s0, 0x3e9b6dac
	v_sub_nc_u32_e32 v25, 0, v21
	v_cvt_f32_i32_e32 v21, v21
	s_delay_alu instid0(VALU_DEP_2) | instskip(NEXT) | instid1(VALU_DEP_1)
	v_ldexp_f32 v24, v24, v25
	v_dual_add_f32 v27, 1.0, v24 :: v_dual_add_f32 v26, 1.0, v26
	s_delay_alu instid0(VALU_DEP_1) | instskip(NEXT) | instid1(VALU_DEP_2)
	v_add_f32_e32 v22, v22, v26
	v_add_f32_e32 v26, -1.0, v27
	s_delay_alu instid0(VALU_DEP_2) | instskip(NEXT) | instid1(VALU_DEP_2)
	v_ldexp_f32 v22, v22, v25
	v_dual_add_f32 v25, -1.0, v24 :: v_dual_sub_f32 v26, v24, v26
	s_delay_alu instid0(VALU_DEP_1) | instskip(NEXT) | instid1(VALU_DEP_2)
	v_add_f32_e32 v28, 1.0, v25
	v_add_f32_e32 v26, v22, v26
	s_delay_alu instid0(VALU_DEP_2) | instskip(NEXT) | instid1(VALU_DEP_2)
	v_sub_f32_e32 v24, v24, v28
	v_add_f32_e32 v28, v27, v26
	s_delay_alu instid0(VALU_DEP_2) | instskip(NEXT) | instid1(VALU_DEP_2)
	v_add_f32_e32 v22, v22, v24
	v_rcp_f32_e32 v24, v28
	v_sub_f32_e32 v27, v27, v28
	s_delay_alu instid0(VALU_DEP_1) | instskip(NEXT) | instid1(VALU_DEP_1)
	v_dual_add_f32 v29, v25, v22 :: v_dual_add_f32 v26, v26, v27
	v_sub_f32_e32 v25, v25, v29
	s_waitcnt_depctr 0xfff
	v_mul_f32_e32 v30, v29, v24
	s_delay_alu instid0(VALU_DEP_1) | instskip(NEXT) | instid1(VALU_DEP_1)
	v_dual_add_f32 v22, v22, v25 :: v_dual_mul_f32 v31, v28, v30
	v_fma_f32 v27, v30, v28, -v31
	s_delay_alu instid0(VALU_DEP_1) | instskip(NEXT) | instid1(VALU_DEP_1)
	v_fmac_f32_e32 v27, v30, v26
	v_add_f32_e32 v32, v31, v27
	s_delay_alu instid0(VALU_DEP_1) | instskip(SKIP_1) | instid1(VALU_DEP_2)
	v_sub_f32_e32 v33, v29, v32
	v_sub_f32_e32 v25, v32, v31
	;; [unrolled: 1-line block ×3, first 2 shown]
	s_delay_alu instid0(VALU_DEP_2) | instskip(NEXT) | instid1(VALU_DEP_2)
	v_sub_f32_e32 v25, v25, v27
	v_sub_f32_e32 v29, v29, v32
	s_delay_alu instid0(VALU_DEP_1) | instskip(NEXT) | instid1(VALU_DEP_1)
	v_add_f32_e32 v22, v22, v29
	v_add_f32_e32 v22, v25, v22
	s_delay_alu instid0(VALU_DEP_1) | instskip(NEXT) | instid1(VALU_DEP_1)
	v_add_f32_e32 v25, v33, v22
	v_mul_f32_e32 v27, v24, v25
	s_delay_alu instid0(VALU_DEP_1) | instskip(NEXT) | instid1(VALU_DEP_1)
	v_dual_sub_f32 v32, v33, v25 :: v_dual_mul_f32 v29, v28, v27
	v_add_f32_e32 v22, v22, v32
	s_delay_alu instid0(VALU_DEP_2) | instskip(NEXT) | instid1(VALU_DEP_1)
	v_fma_f32 v28, v27, v28, -v29
	v_fmac_f32_e32 v28, v27, v26
	s_delay_alu instid0(VALU_DEP_1) | instskip(NEXT) | instid1(VALU_DEP_1)
	v_add_f32_e32 v26, v29, v28
	v_sub_f32_e32 v31, v25, v26
	v_sub_f32_e32 v29, v26, v29
	s_delay_alu instid0(VALU_DEP_2) | instskip(NEXT) | instid1(VALU_DEP_1)
	v_sub_f32_e32 v25, v25, v31
	v_sub_f32_e32 v25, v25, v26
	s_delay_alu instid0(VALU_DEP_3) | instskip(NEXT) | instid1(VALU_DEP_2)
	v_sub_f32_e32 v26, v29, v28
	v_add_f32_e32 v22, v22, v25
	v_add_f32_e32 v25, v30, v27
	s_delay_alu instid0(VALU_DEP_2) | instskip(NEXT) | instid1(VALU_DEP_2)
	v_add_f32_e32 v22, v26, v22
	v_sub_f32_e32 v26, v25, v30
	s_delay_alu instid0(VALU_DEP_2) | instskip(NEXT) | instid1(VALU_DEP_2)
	v_add_f32_e32 v22, v31, v22
	v_sub_f32_e32 v26, v27, v26
	s_delay_alu instid0(VALU_DEP_2) | instskip(NEXT) | instid1(VALU_DEP_1)
	v_mul_f32_e32 v22, v24, v22
	v_add_f32_e32 v22, v26, v22
	s_delay_alu instid0(VALU_DEP_1) | instskip(NEXT) | instid1(VALU_DEP_1)
	v_add_f32_e32 v24, v25, v22
	v_mul_f32_e32 v26, v24, v24
	s_delay_alu instid0(VALU_DEP_1) | instskip(SKIP_2) | instid1(VALU_DEP_3)
	v_fmaak_f32 v27, s0, v26, 0x3ecc95a3
	v_mul_f32_e32 v28, v24, v26
	v_cmp_eq_f32_e64 s0, 0x7f800000, v23
	v_fmaak_f32 v26, v26, v27, 0x3f2aaada
	v_ldexp_f32 v27, v24, 1
	v_sub_f32_e32 v24, v24, v25
	s_delay_alu instid0(VALU_DEP_4) | instskip(NEXT) | instid1(VALU_DEP_3)
	s_or_b32 s0, s0, s23
	v_mul_f32_e32 v26, v28, v26
	v_mul_f32_e32 v28, 0x3f317218, v21
	s_delay_alu instid0(VALU_DEP_2) | instskip(NEXT) | instid1(VALU_DEP_1)
	v_dual_sub_f32 v22, v22, v24 :: v_dual_add_f32 v25, v27, v26
	v_ldexp_f32 v22, v22, 1
	s_delay_alu instid0(VALU_DEP_2) | instskip(NEXT) | instid1(VALU_DEP_4)
	v_sub_f32_e32 v24, v25, v27
	v_fma_f32 v27, 0x3f317218, v21, -v28
	s_delay_alu instid0(VALU_DEP_1) | instskip(NEXT) | instid1(VALU_DEP_1)
	v_dual_sub_f32 v24, v26, v24 :: v_dual_fmamk_f32 v21, v21, 0xb102e308, v27
	v_add_f32_e32 v22, v22, v24
	s_delay_alu instid0(VALU_DEP_2) | instskip(NEXT) | instid1(VALU_DEP_2)
	v_add_f32_e32 v24, v28, v21
	v_add_f32_e32 v26, v25, v22
	s_delay_alu instid0(VALU_DEP_2) | instskip(NEXT) | instid1(VALU_DEP_2)
	v_sub_f32_e32 v28, v24, v28
	v_add_f32_e32 v27, v24, v26
	v_sub_f32_e32 v25, v26, v25
	s_delay_alu instid0(VALU_DEP_3) | instskip(NEXT) | instid1(VALU_DEP_2)
	v_sub_f32_e32 v21, v21, v28
	v_dual_sub_f32 v29, v27, v24 :: v_dual_sub_f32 v22, v22, v25
	s_delay_alu instid0(VALU_DEP_1) | instskip(NEXT) | instid1(VALU_DEP_2)
	v_sub_f32_e32 v30, v27, v29
	v_dual_sub_f32 v25, v26, v29 :: v_dual_add_f32 v26, v21, v22
	s_delay_alu instid0(VALU_DEP_2) | instskip(NEXT) | instid1(VALU_DEP_1)
	v_sub_f32_e32 v24, v24, v30
	v_dual_add_f32 v24, v25, v24 :: v_dual_sub_f32 v25, v26, v21
	s_delay_alu instid0(VALU_DEP_1) | instskip(NEXT) | instid1(VALU_DEP_2)
	v_add_f32_e32 v24, v26, v24
	v_sub_f32_e32 v26, v26, v25
	v_sub_f32_e32 v22, v22, v25
	s_delay_alu instid0(VALU_DEP_2) | instskip(NEXT) | instid1(VALU_DEP_1)
	v_dual_add_f32 v28, v27, v24 :: v_dual_sub_f32 v21, v21, v26
	v_sub_f32_e32 v25, v28, v27
	s_delay_alu instid0(VALU_DEP_2) | instskip(NEXT) | instid1(VALU_DEP_2)
	v_add_f32_e32 v21, v22, v21
	v_sub_f32_e32 v22, v24, v25
	s_delay_alu instid0(VALU_DEP_1) | instskip(NEXT) | instid1(VALU_DEP_1)
	v_add_f32_e32 v21, v21, v22
	v_add_f32_e32 v21, v28, v21
	s_delay_alu instid0(VALU_DEP_1) | instskip(NEXT) | instid1(VALU_DEP_1)
	v_cndmask_b32_e64 v21, v21, v23, s0
	v_add_f32_e32 v21, v20, v21
.LBB511_150:
	s_or_b32 exec_lo, exec_lo, s1
	s_delay_alu instid0(VALU_DEP_1) | instskip(SKIP_1) | instid1(VALU_DEP_2)
	v_bfe_u32 v20, v21, 16, 1
	v_cmp_o_f32_e64 s0, v21, v21
	v_add3_u32 v20, v21, v20, 0x7fff
	s_delay_alu instid0(VALU_DEP_1) | instskip(NEXT) | instid1(VALU_DEP_1)
	v_lshrrev_b32_e32 v20, 16, v20
	v_cndmask_b32_e64 v20, 0x7fc0, v20, s0
	s_delay_alu instid0(VALU_DEP_1) | instskip(NEXT) | instid1(VALU_DEP_1)
	v_lshlrev_b32_e32 v21, 16, v20
	v_max_f32_e32 v22, v21, v21
	v_cmp_u_f32_e64 s0, v21, v21
	s_delay_alu instid0(VALU_DEP_2) | instskip(SKIP_1) | instid1(VALU_DEP_2)
	v_min_f32_e32 v23, v22, v36
	v_max_f32_e32 v22, v22, v36
	v_cndmask_b32_e64 v23, v23, v21, s0
	s_delay_alu instid0(VALU_DEP_2) | instskip(NEXT) | instid1(VALU_DEP_2)
	v_cndmask_b32_e64 v24, v22, v21, s0
	v_cndmask_b32_e64 v22, v23, v7, s38
	s_delay_alu instid0(VALU_DEP_2) | instskip(NEXT) | instid1(VALU_DEP_2)
	v_cndmask_b32_e64 v7, v24, v7, s38
	v_cmp_class_f32_e64 s1, v22, 0x1f8
	s_delay_alu instid0(VALU_DEP_2) | instskip(NEXT) | instid1(VALU_DEP_1)
	v_cmp_neq_f32_e64 s0, v22, v7
	s_or_b32 s0, s0, s1
	s_delay_alu instid0(SALU_CYCLE_1)
	s_and_saveexec_b32 s1, s0
	s_cbranch_execz .LBB511_152
; %bb.151:
	v_sub_f32_e32 v21, v22, v7
	s_delay_alu instid0(VALU_DEP_1) | instskip(SKIP_1) | instid1(VALU_DEP_2)
	v_mul_f32_e32 v22, 0x3fb8aa3b, v21
	v_cmp_ngt_f32_e64 s0, 0xc2ce8ed0, v21
	v_fma_f32 v23, 0x3fb8aa3b, v21, -v22
	v_rndne_f32_e32 v24, v22
	s_delay_alu instid0(VALU_DEP_1) | instskip(NEXT) | instid1(VALU_DEP_1)
	v_dual_fmamk_f32 v23, v21, 0x32a5705f, v23 :: v_dual_sub_f32 v22, v22, v24
	v_add_f32_e32 v22, v22, v23
	v_cvt_i32_f32_e32 v23, v24
	s_delay_alu instid0(VALU_DEP_2) | instskip(SKIP_2) | instid1(VALU_DEP_1)
	v_exp_f32_e32 v22, v22
	s_waitcnt_depctr 0xfff
	v_ldexp_f32 v22, v22, v23
	v_cndmask_b32_e64 v22, 0, v22, s0
	v_cmp_nlt_f32_e64 s0, 0x42b17218, v21
	s_delay_alu instid0(VALU_DEP_1) | instskip(NEXT) | instid1(VALU_DEP_1)
	v_cndmask_b32_e64 v23, 0x7f800000, v22, s0
	v_add_f32_e32 v24, 1.0, v23
	v_cmp_gt_f32_e64 s23, 0x33800000, |v23|
	s_delay_alu instid0(VALU_DEP_2) | instskip(NEXT) | instid1(VALU_DEP_1)
	v_cvt_f64_f32_e32 v[21:22], v24
	v_frexp_exp_i32_f64_e32 v21, v[21:22]
	v_frexp_mant_f32_e32 v22, v24
	s_delay_alu instid0(VALU_DEP_1) | instskip(SKIP_1) | instid1(VALU_DEP_1)
	v_cmp_gt_f32_e64 s0, 0x3f2aaaab, v22
	v_add_f32_e32 v22, -1.0, v24
	v_sub_f32_e32 v26, v22, v24
	v_sub_f32_e32 v22, v23, v22
	s_delay_alu instid0(VALU_DEP_4) | instskip(SKIP_1) | instid1(VALU_DEP_1)
	v_subrev_co_ci_u32_e64 v21, s0, 0, v21, s0
	s_mov_b32 s0, 0x3e9b6dac
	v_sub_nc_u32_e32 v25, 0, v21
	v_cvt_f32_i32_e32 v21, v21
	s_delay_alu instid0(VALU_DEP_2) | instskip(NEXT) | instid1(VALU_DEP_1)
	v_ldexp_f32 v24, v24, v25
	v_dual_add_f32 v27, 1.0, v24 :: v_dual_add_f32 v26, 1.0, v26
	s_delay_alu instid0(VALU_DEP_1) | instskip(NEXT) | instid1(VALU_DEP_2)
	v_add_f32_e32 v22, v22, v26
	v_add_f32_e32 v26, -1.0, v27
	s_delay_alu instid0(VALU_DEP_2) | instskip(NEXT) | instid1(VALU_DEP_2)
	v_ldexp_f32 v22, v22, v25
	v_dual_add_f32 v25, -1.0, v24 :: v_dual_sub_f32 v26, v24, v26
	s_delay_alu instid0(VALU_DEP_1) | instskip(NEXT) | instid1(VALU_DEP_2)
	v_add_f32_e32 v28, 1.0, v25
	v_add_f32_e32 v26, v22, v26
	s_delay_alu instid0(VALU_DEP_2) | instskip(NEXT) | instid1(VALU_DEP_2)
	v_sub_f32_e32 v24, v24, v28
	v_add_f32_e32 v28, v27, v26
	s_delay_alu instid0(VALU_DEP_2) | instskip(NEXT) | instid1(VALU_DEP_2)
	v_add_f32_e32 v22, v22, v24
	v_rcp_f32_e32 v24, v28
	v_sub_f32_e32 v27, v27, v28
	s_delay_alu instid0(VALU_DEP_1) | instskip(NEXT) | instid1(VALU_DEP_1)
	v_dual_add_f32 v29, v25, v22 :: v_dual_add_f32 v26, v26, v27
	v_sub_f32_e32 v25, v25, v29
	s_waitcnt_depctr 0xfff
	v_mul_f32_e32 v30, v29, v24
	s_delay_alu instid0(VALU_DEP_1) | instskip(NEXT) | instid1(VALU_DEP_1)
	v_dual_add_f32 v22, v22, v25 :: v_dual_mul_f32 v31, v28, v30
	v_fma_f32 v27, v30, v28, -v31
	s_delay_alu instid0(VALU_DEP_1) | instskip(NEXT) | instid1(VALU_DEP_1)
	v_fmac_f32_e32 v27, v30, v26
	v_add_f32_e32 v32, v31, v27
	s_delay_alu instid0(VALU_DEP_1) | instskip(SKIP_1) | instid1(VALU_DEP_2)
	v_sub_f32_e32 v33, v29, v32
	v_sub_f32_e32 v25, v32, v31
	;; [unrolled: 1-line block ×3, first 2 shown]
	s_delay_alu instid0(VALU_DEP_2) | instskip(NEXT) | instid1(VALU_DEP_2)
	v_sub_f32_e32 v25, v25, v27
	v_sub_f32_e32 v29, v29, v32
	s_delay_alu instid0(VALU_DEP_1) | instskip(NEXT) | instid1(VALU_DEP_1)
	v_add_f32_e32 v22, v22, v29
	v_add_f32_e32 v22, v25, v22
	s_delay_alu instid0(VALU_DEP_1) | instskip(NEXT) | instid1(VALU_DEP_1)
	v_add_f32_e32 v25, v33, v22
	v_mul_f32_e32 v27, v24, v25
	s_delay_alu instid0(VALU_DEP_1) | instskip(NEXT) | instid1(VALU_DEP_1)
	v_dual_sub_f32 v32, v33, v25 :: v_dual_mul_f32 v29, v28, v27
	v_add_f32_e32 v22, v22, v32
	s_delay_alu instid0(VALU_DEP_2) | instskip(NEXT) | instid1(VALU_DEP_1)
	v_fma_f32 v28, v27, v28, -v29
	v_fmac_f32_e32 v28, v27, v26
	s_delay_alu instid0(VALU_DEP_1) | instskip(NEXT) | instid1(VALU_DEP_1)
	v_add_f32_e32 v26, v29, v28
	v_sub_f32_e32 v31, v25, v26
	v_sub_f32_e32 v29, v26, v29
	s_delay_alu instid0(VALU_DEP_2) | instskip(NEXT) | instid1(VALU_DEP_1)
	v_sub_f32_e32 v25, v25, v31
	v_sub_f32_e32 v25, v25, v26
	s_delay_alu instid0(VALU_DEP_3) | instskip(NEXT) | instid1(VALU_DEP_2)
	v_sub_f32_e32 v26, v29, v28
	v_add_f32_e32 v22, v22, v25
	v_add_f32_e32 v25, v30, v27
	s_delay_alu instid0(VALU_DEP_2) | instskip(NEXT) | instid1(VALU_DEP_2)
	v_add_f32_e32 v22, v26, v22
	v_sub_f32_e32 v26, v25, v30
	s_delay_alu instid0(VALU_DEP_2) | instskip(NEXT) | instid1(VALU_DEP_2)
	v_add_f32_e32 v22, v31, v22
	v_sub_f32_e32 v26, v27, v26
	s_delay_alu instid0(VALU_DEP_2) | instskip(NEXT) | instid1(VALU_DEP_1)
	v_mul_f32_e32 v22, v24, v22
	v_add_f32_e32 v22, v26, v22
	s_delay_alu instid0(VALU_DEP_1) | instskip(NEXT) | instid1(VALU_DEP_1)
	v_add_f32_e32 v24, v25, v22
	v_mul_f32_e32 v26, v24, v24
	s_delay_alu instid0(VALU_DEP_1) | instskip(SKIP_2) | instid1(VALU_DEP_3)
	v_fmaak_f32 v27, s0, v26, 0x3ecc95a3
	v_mul_f32_e32 v28, v24, v26
	v_cmp_eq_f32_e64 s0, 0x7f800000, v23
	v_fmaak_f32 v26, v26, v27, 0x3f2aaada
	v_ldexp_f32 v27, v24, 1
	v_sub_f32_e32 v24, v24, v25
	s_delay_alu instid0(VALU_DEP_4) | instskip(NEXT) | instid1(VALU_DEP_3)
	s_or_b32 s0, s0, s23
	v_mul_f32_e32 v26, v28, v26
	v_mul_f32_e32 v28, 0x3f317218, v21
	s_delay_alu instid0(VALU_DEP_2) | instskip(NEXT) | instid1(VALU_DEP_1)
	v_dual_sub_f32 v22, v22, v24 :: v_dual_add_f32 v25, v27, v26
	v_ldexp_f32 v22, v22, 1
	s_delay_alu instid0(VALU_DEP_2) | instskip(NEXT) | instid1(VALU_DEP_4)
	v_sub_f32_e32 v24, v25, v27
	v_fma_f32 v27, 0x3f317218, v21, -v28
	s_delay_alu instid0(VALU_DEP_1) | instskip(NEXT) | instid1(VALU_DEP_1)
	v_dual_sub_f32 v24, v26, v24 :: v_dual_fmamk_f32 v21, v21, 0xb102e308, v27
	v_add_f32_e32 v22, v22, v24
	s_delay_alu instid0(VALU_DEP_2) | instskip(NEXT) | instid1(VALU_DEP_2)
	v_add_f32_e32 v24, v28, v21
	v_add_f32_e32 v26, v25, v22
	s_delay_alu instid0(VALU_DEP_2) | instskip(NEXT) | instid1(VALU_DEP_2)
	v_sub_f32_e32 v28, v24, v28
	v_add_f32_e32 v27, v24, v26
	v_sub_f32_e32 v25, v26, v25
	s_delay_alu instid0(VALU_DEP_3) | instskip(NEXT) | instid1(VALU_DEP_2)
	v_sub_f32_e32 v21, v21, v28
	v_dual_sub_f32 v29, v27, v24 :: v_dual_sub_f32 v22, v22, v25
	s_delay_alu instid0(VALU_DEP_1) | instskip(NEXT) | instid1(VALU_DEP_2)
	v_sub_f32_e32 v30, v27, v29
	v_dual_sub_f32 v25, v26, v29 :: v_dual_add_f32 v26, v21, v22
	s_delay_alu instid0(VALU_DEP_2) | instskip(NEXT) | instid1(VALU_DEP_1)
	v_sub_f32_e32 v24, v24, v30
	v_dual_add_f32 v24, v25, v24 :: v_dual_sub_f32 v25, v26, v21
	s_delay_alu instid0(VALU_DEP_1) | instskip(NEXT) | instid1(VALU_DEP_2)
	v_add_f32_e32 v24, v26, v24
	v_sub_f32_e32 v26, v26, v25
	v_sub_f32_e32 v22, v22, v25
	s_delay_alu instid0(VALU_DEP_2) | instskip(NEXT) | instid1(VALU_DEP_1)
	v_dual_add_f32 v28, v27, v24 :: v_dual_sub_f32 v21, v21, v26
	v_sub_f32_e32 v25, v28, v27
	s_delay_alu instid0(VALU_DEP_2) | instskip(NEXT) | instid1(VALU_DEP_2)
	v_add_f32_e32 v21, v22, v21
	v_sub_f32_e32 v22, v24, v25
	s_delay_alu instid0(VALU_DEP_1) | instskip(NEXT) | instid1(VALU_DEP_1)
	v_add_f32_e32 v21, v21, v22
	v_add_f32_e32 v21, v28, v21
	s_delay_alu instid0(VALU_DEP_1) | instskip(NEXT) | instid1(VALU_DEP_1)
	v_cndmask_b32_e64 v21, v21, v23, s0
	v_add_f32_e32 v21, v7, v21
.LBB511_152:
	s_or_b32 exec_lo, exec_lo, s1
	s_delay_alu instid0(VALU_DEP_1) | instskip(SKIP_1) | instid1(VALU_DEP_2)
	v_bfe_u32 v7, v21, 16, 1
	v_cmp_o_f32_e64 s0, v21, v21
	v_add3_u32 v7, v21, v7, 0x7fff
	s_delay_alu instid0(VALU_DEP_1) | instskip(NEXT) | instid1(VALU_DEP_1)
	v_lshrrev_b32_e32 v7, 16, v7
	v_cndmask_b32_e64 v7, 0x7fc0, v7, s0
	s_delay_alu instid0(VALU_DEP_1) | instskip(NEXT) | instid1(VALU_DEP_1)
	v_lshlrev_b32_e32 v22, 16, v7
	v_max_f32_e32 v21, v22, v22
	s_delay_alu instid0(VALU_DEP_1) | instskip(SKIP_2) | instid1(VALU_DEP_1)
	v_min_f32_e32 v23, v21, v38
	v_max_f32_e32 v21, v21, v38
	v_cmp_u_f32_e64 s0, v22, v22
	v_cndmask_b32_e64 v23, v23, v22, s0
	s_delay_alu instid0(VALU_DEP_3) | instskip(NEXT) | instid1(VALU_DEP_2)
	v_cndmask_b32_e64 v21, v21, v22, s0
	v_cndmask_b32_e64 v23, v23, v34, s39
	s_delay_alu instid0(VALU_DEP_2) | instskip(NEXT) | instid1(VALU_DEP_2)
	v_cndmask_b32_e64 v21, v21, v34, s39
	v_cmp_class_f32_e64 s1, v23, 0x1f8
	s_delay_alu instid0(VALU_DEP_2) | instskip(NEXT) | instid1(VALU_DEP_1)
	v_cmp_neq_f32_e64 s0, v23, v21
	s_or_b32 s0, s0, s1
	s_delay_alu instid0(SALU_CYCLE_1)
	s_and_saveexec_b32 s1, s0
	s_cbranch_execz .LBB511_154
; %bb.153:
	v_sub_f32_e32 v22, v23, v21
	s_delay_alu instid0(VALU_DEP_1) | instskip(SKIP_1) | instid1(VALU_DEP_2)
	v_mul_f32_e32 v23, 0x3fb8aa3b, v22
	v_cmp_ngt_f32_e64 s0, 0xc2ce8ed0, v22
	v_fma_f32 v24, 0x3fb8aa3b, v22, -v23
	v_rndne_f32_e32 v25, v23
	s_delay_alu instid0(VALU_DEP_1) | instskip(NEXT) | instid1(VALU_DEP_1)
	v_dual_fmamk_f32 v24, v22, 0x32a5705f, v24 :: v_dual_sub_f32 v23, v23, v25
	v_add_f32_e32 v23, v23, v24
	v_cvt_i32_f32_e32 v24, v25
	s_delay_alu instid0(VALU_DEP_2) | instskip(SKIP_2) | instid1(VALU_DEP_1)
	v_exp_f32_e32 v23, v23
	s_waitcnt_depctr 0xfff
	v_ldexp_f32 v23, v23, v24
	v_cndmask_b32_e64 v23, 0, v23, s0
	v_cmp_nlt_f32_e64 s0, 0x42b17218, v22
	s_delay_alu instid0(VALU_DEP_1) | instskip(NEXT) | instid1(VALU_DEP_1)
	v_cndmask_b32_e64 v24, 0x7f800000, v23, s0
	v_add_f32_e32 v25, 1.0, v24
	v_cmp_gt_f32_e64 s23, 0x33800000, |v24|
	s_delay_alu instid0(VALU_DEP_2) | instskip(NEXT) | instid1(VALU_DEP_1)
	v_cvt_f64_f32_e32 v[22:23], v25
	v_frexp_exp_i32_f64_e32 v22, v[22:23]
	v_frexp_mant_f32_e32 v23, v25
	s_delay_alu instid0(VALU_DEP_1) | instskip(SKIP_1) | instid1(VALU_DEP_1)
	v_cmp_gt_f32_e64 s0, 0x3f2aaaab, v23
	v_add_f32_e32 v23, -1.0, v25
	v_sub_f32_e32 v27, v23, v25
	v_sub_f32_e32 v23, v24, v23
	s_delay_alu instid0(VALU_DEP_4) | instskip(SKIP_1) | instid1(VALU_DEP_1)
	v_subrev_co_ci_u32_e64 v22, s0, 0, v22, s0
	s_mov_b32 s0, 0x3e9b6dac
	v_sub_nc_u32_e32 v26, 0, v22
	v_cvt_f32_i32_e32 v22, v22
	s_delay_alu instid0(VALU_DEP_2) | instskip(NEXT) | instid1(VALU_DEP_1)
	v_ldexp_f32 v25, v25, v26
	v_dual_add_f32 v28, 1.0, v25 :: v_dual_add_f32 v27, 1.0, v27
	s_delay_alu instid0(VALU_DEP_1) | instskip(NEXT) | instid1(VALU_DEP_2)
	v_add_f32_e32 v23, v23, v27
	v_add_f32_e32 v27, -1.0, v28
	s_delay_alu instid0(VALU_DEP_2) | instskip(NEXT) | instid1(VALU_DEP_2)
	v_ldexp_f32 v23, v23, v26
	v_dual_add_f32 v26, -1.0, v25 :: v_dual_sub_f32 v27, v25, v27
	s_delay_alu instid0(VALU_DEP_1) | instskip(NEXT) | instid1(VALU_DEP_2)
	v_add_f32_e32 v29, 1.0, v26
	v_add_f32_e32 v27, v23, v27
	s_delay_alu instid0(VALU_DEP_2) | instskip(NEXT) | instid1(VALU_DEP_2)
	v_sub_f32_e32 v25, v25, v29
	v_add_f32_e32 v29, v28, v27
	s_delay_alu instid0(VALU_DEP_2) | instskip(NEXT) | instid1(VALU_DEP_2)
	v_add_f32_e32 v23, v23, v25
	v_rcp_f32_e32 v25, v29
	v_sub_f32_e32 v28, v28, v29
	s_delay_alu instid0(VALU_DEP_1) | instskip(NEXT) | instid1(VALU_DEP_1)
	v_dual_add_f32 v30, v26, v23 :: v_dual_add_f32 v27, v27, v28
	v_sub_f32_e32 v26, v26, v30
	s_waitcnt_depctr 0xfff
	v_mul_f32_e32 v31, v30, v25
	s_delay_alu instid0(VALU_DEP_1) | instskip(NEXT) | instid1(VALU_DEP_1)
	v_dual_add_f32 v23, v23, v26 :: v_dual_mul_f32 v32, v29, v31
	v_fma_f32 v28, v31, v29, -v32
	s_delay_alu instid0(VALU_DEP_1) | instskip(NEXT) | instid1(VALU_DEP_1)
	v_fmac_f32_e32 v28, v31, v27
	v_add_f32_e32 v33, v32, v28
	s_delay_alu instid0(VALU_DEP_1) | instskip(SKIP_1) | instid1(VALU_DEP_2)
	v_sub_f32_e32 v34, v30, v33
	v_sub_f32_e32 v26, v33, v32
	;; [unrolled: 1-line block ×3, first 2 shown]
	s_delay_alu instid0(VALU_DEP_2) | instskip(NEXT) | instid1(VALU_DEP_2)
	v_sub_f32_e32 v26, v26, v28
	v_sub_f32_e32 v30, v30, v33
	s_delay_alu instid0(VALU_DEP_1) | instskip(NEXT) | instid1(VALU_DEP_1)
	v_add_f32_e32 v23, v23, v30
	v_add_f32_e32 v23, v26, v23
	s_delay_alu instid0(VALU_DEP_1) | instskip(NEXT) | instid1(VALU_DEP_1)
	v_add_f32_e32 v26, v34, v23
	v_mul_f32_e32 v28, v25, v26
	s_delay_alu instid0(VALU_DEP_1) | instskip(NEXT) | instid1(VALU_DEP_1)
	v_dual_sub_f32 v33, v34, v26 :: v_dual_mul_f32 v30, v29, v28
	v_add_f32_e32 v23, v23, v33
	s_delay_alu instid0(VALU_DEP_2) | instskip(NEXT) | instid1(VALU_DEP_1)
	v_fma_f32 v29, v28, v29, -v30
	v_fmac_f32_e32 v29, v28, v27
	s_delay_alu instid0(VALU_DEP_1) | instskip(NEXT) | instid1(VALU_DEP_1)
	v_add_f32_e32 v27, v30, v29
	v_sub_f32_e32 v32, v26, v27
	v_sub_f32_e32 v30, v27, v30
	s_delay_alu instid0(VALU_DEP_2) | instskip(NEXT) | instid1(VALU_DEP_1)
	v_sub_f32_e32 v26, v26, v32
	v_sub_f32_e32 v26, v26, v27
	s_delay_alu instid0(VALU_DEP_3) | instskip(NEXT) | instid1(VALU_DEP_2)
	v_sub_f32_e32 v27, v30, v29
	v_add_f32_e32 v23, v23, v26
	v_add_f32_e32 v26, v31, v28
	s_delay_alu instid0(VALU_DEP_2) | instskip(NEXT) | instid1(VALU_DEP_2)
	v_add_f32_e32 v23, v27, v23
	v_sub_f32_e32 v27, v26, v31
	s_delay_alu instid0(VALU_DEP_2) | instskip(NEXT) | instid1(VALU_DEP_2)
	v_add_f32_e32 v23, v32, v23
	v_sub_f32_e32 v27, v28, v27
	s_delay_alu instid0(VALU_DEP_2) | instskip(NEXT) | instid1(VALU_DEP_1)
	v_mul_f32_e32 v23, v25, v23
	v_add_f32_e32 v23, v27, v23
	s_delay_alu instid0(VALU_DEP_1) | instskip(NEXT) | instid1(VALU_DEP_1)
	v_add_f32_e32 v25, v26, v23
	v_mul_f32_e32 v27, v25, v25
	s_delay_alu instid0(VALU_DEP_1) | instskip(SKIP_2) | instid1(VALU_DEP_3)
	v_fmaak_f32 v28, s0, v27, 0x3ecc95a3
	v_mul_f32_e32 v29, v25, v27
	v_cmp_eq_f32_e64 s0, 0x7f800000, v24
	v_fmaak_f32 v27, v27, v28, 0x3f2aaada
	v_ldexp_f32 v28, v25, 1
	v_sub_f32_e32 v25, v25, v26
	s_delay_alu instid0(VALU_DEP_4) | instskip(NEXT) | instid1(VALU_DEP_3)
	s_or_b32 s0, s0, s23
	v_mul_f32_e32 v27, v29, v27
	v_mul_f32_e32 v29, 0x3f317218, v22
	s_delay_alu instid0(VALU_DEP_2) | instskip(NEXT) | instid1(VALU_DEP_1)
	v_dual_sub_f32 v23, v23, v25 :: v_dual_add_f32 v26, v28, v27
	v_ldexp_f32 v23, v23, 1
	s_delay_alu instid0(VALU_DEP_2) | instskip(NEXT) | instid1(VALU_DEP_4)
	v_sub_f32_e32 v25, v26, v28
	v_fma_f32 v28, 0x3f317218, v22, -v29
	s_delay_alu instid0(VALU_DEP_1) | instskip(NEXT) | instid1(VALU_DEP_1)
	v_dual_sub_f32 v25, v27, v25 :: v_dual_fmamk_f32 v22, v22, 0xb102e308, v28
	v_add_f32_e32 v23, v23, v25
	s_delay_alu instid0(VALU_DEP_2) | instskip(NEXT) | instid1(VALU_DEP_2)
	v_add_f32_e32 v25, v29, v22
	v_add_f32_e32 v27, v26, v23
	s_delay_alu instid0(VALU_DEP_2) | instskip(NEXT) | instid1(VALU_DEP_2)
	v_sub_f32_e32 v29, v25, v29
	v_add_f32_e32 v28, v25, v27
	v_sub_f32_e32 v26, v27, v26
	s_delay_alu instid0(VALU_DEP_3) | instskip(NEXT) | instid1(VALU_DEP_2)
	v_sub_f32_e32 v22, v22, v29
	v_dual_sub_f32 v30, v28, v25 :: v_dual_sub_f32 v23, v23, v26
	s_delay_alu instid0(VALU_DEP_1) | instskip(NEXT) | instid1(VALU_DEP_2)
	v_sub_f32_e32 v31, v28, v30
	v_dual_sub_f32 v26, v27, v30 :: v_dual_add_f32 v27, v22, v23
	s_delay_alu instid0(VALU_DEP_2) | instskip(NEXT) | instid1(VALU_DEP_1)
	v_sub_f32_e32 v25, v25, v31
	v_dual_add_f32 v25, v26, v25 :: v_dual_sub_f32 v26, v27, v22
	s_delay_alu instid0(VALU_DEP_1) | instskip(NEXT) | instid1(VALU_DEP_2)
	v_add_f32_e32 v25, v27, v25
	v_sub_f32_e32 v27, v27, v26
	v_sub_f32_e32 v23, v23, v26
	s_delay_alu instid0(VALU_DEP_2) | instskip(NEXT) | instid1(VALU_DEP_1)
	v_dual_add_f32 v29, v28, v25 :: v_dual_sub_f32 v22, v22, v27
	v_sub_f32_e32 v26, v29, v28
	s_delay_alu instid0(VALU_DEP_2) | instskip(NEXT) | instid1(VALU_DEP_2)
	v_add_f32_e32 v22, v23, v22
	v_sub_f32_e32 v23, v25, v26
	s_delay_alu instid0(VALU_DEP_1) | instskip(NEXT) | instid1(VALU_DEP_1)
	v_add_f32_e32 v22, v22, v23
	v_add_f32_e32 v22, v29, v22
	s_delay_alu instid0(VALU_DEP_1) | instskip(NEXT) | instid1(VALU_DEP_1)
	v_cndmask_b32_e64 v22, v22, v24, s0
	v_add_f32_e32 v22, v21, v22
.LBB511_154:
	s_or_b32 exec_lo, exec_lo, s1
	s_delay_alu instid0(VALU_DEP_1) | instskip(SKIP_1) | instid1(VALU_DEP_2)
	v_bfe_u32 v21, v22, 16, 1
	v_cmp_o_f32_e64 s0, v22, v22
	v_add3_u32 v21, v22, v21, 0x7fff
	s_delay_alu instid0(VALU_DEP_1) | instskip(NEXT) | instid1(VALU_DEP_1)
	v_lshrrev_b32_e32 v21, 16, v21
	v_cndmask_b32_e64 v21, 0x7fc0, v21, s0
	s_delay_alu instid0(VALU_DEP_1) | instskip(NEXT) | instid1(VALU_DEP_1)
	v_lshlrev_b32_e32 v22, 16, v21
	v_max_f32_e32 v23, v22, v22
	s_delay_alu instid0(VALU_DEP_1) | instskip(SKIP_2) | instid1(VALU_DEP_1)
	v_min_f32_e32 v24, v23, v39
	v_max_f32_e32 v23, v23, v39
	v_cmp_u_f32_e64 s0, v22, v22
	v_cndmask_b32_e64 v24, v24, v22, s0
	s_delay_alu instid0(VALU_DEP_3) | instskip(NEXT) | instid1(VALU_DEP_2)
	v_cndmask_b32_e64 v25, v23, v22, s0
	v_cndmask_b32_e64 v23, v24, v4, s40
	s_delay_alu instid0(VALU_DEP_2) | instskip(NEXT) | instid1(VALU_DEP_2)
	v_cndmask_b32_e64 v4, v25, v4, s40
	v_cmp_class_f32_e64 s1, v23, 0x1f8
	s_delay_alu instid0(VALU_DEP_2) | instskip(NEXT) | instid1(VALU_DEP_1)
	v_cmp_neq_f32_e64 s0, v23, v4
	s_or_b32 s0, s0, s1
	s_delay_alu instid0(SALU_CYCLE_1)
	s_and_saveexec_b32 s1, s0
	s_cbranch_execz .LBB511_156
; %bb.155:
	v_sub_f32_e32 v22, v23, v4
	s_delay_alu instid0(VALU_DEP_1) | instskip(SKIP_1) | instid1(VALU_DEP_2)
	v_mul_f32_e32 v23, 0x3fb8aa3b, v22
	v_cmp_ngt_f32_e64 s0, 0xc2ce8ed0, v22
	v_fma_f32 v24, 0x3fb8aa3b, v22, -v23
	v_rndne_f32_e32 v25, v23
	s_delay_alu instid0(VALU_DEP_1) | instskip(NEXT) | instid1(VALU_DEP_1)
	v_dual_fmamk_f32 v24, v22, 0x32a5705f, v24 :: v_dual_sub_f32 v23, v23, v25
	v_add_f32_e32 v23, v23, v24
	v_cvt_i32_f32_e32 v24, v25
	s_delay_alu instid0(VALU_DEP_2) | instskip(SKIP_2) | instid1(VALU_DEP_1)
	v_exp_f32_e32 v23, v23
	s_waitcnt_depctr 0xfff
	v_ldexp_f32 v23, v23, v24
	v_cndmask_b32_e64 v23, 0, v23, s0
	v_cmp_nlt_f32_e64 s0, 0x42b17218, v22
	s_delay_alu instid0(VALU_DEP_1) | instskip(NEXT) | instid1(VALU_DEP_1)
	v_cndmask_b32_e64 v24, 0x7f800000, v23, s0
	v_add_f32_e32 v25, 1.0, v24
	v_cmp_gt_f32_e64 s23, 0x33800000, |v24|
	s_delay_alu instid0(VALU_DEP_2) | instskip(NEXT) | instid1(VALU_DEP_1)
	v_cvt_f64_f32_e32 v[22:23], v25
	v_frexp_exp_i32_f64_e32 v22, v[22:23]
	v_frexp_mant_f32_e32 v23, v25
	s_delay_alu instid0(VALU_DEP_1) | instskip(SKIP_1) | instid1(VALU_DEP_1)
	v_cmp_gt_f32_e64 s0, 0x3f2aaaab, v23
	v_add_f32_e32 v23, -1.0, v25
	v_sub_f32_e32 v27, v23, v25
	v_sub_f32_e32 v23, v24, v23
	s_delay_alu instid0(VALU_DEP_4) | instskip(SKIP_1) | instid1(VALU_DEP_1)
	v_subrev_co_ci_u32_e64 v22, s0, 0, v22, s0
	s_mov_b32 s0, 0x3e9b6dac
	v_sub_nc_u32_e32 v26, 0, v22
	v_cvt_f32_i32_e32 v22, v22
	s_delay_alu instid0(VALU_DEP_2) | instskip(NEXT) | instid1(VALU_DEP_1)
	v_ldexp_f32 v25, v25, v26
	v_dual_add_f32 v28, 1.0, v25 :: v_dual_add_f32 v27, 1.0, v27
	s_delay_alu instid0(VALU_DEP_1) | instskip(NEXT) | instid1(VALU_DEP_2)
	v_add_f32_e32 v23, v23, v27
	v_add_f32_e32 v27, -1.0, v28
	s_delay_alu instid0(VALU_DEP_2) | instskip(NEXT) | instid1(VALU_DEP_2)
	v_ldexp_f32 v23, v23, v26
	v_dual_add_f32 v26, -1.0, v25 :: v_dual_sub_f32 v27, v25, v27
	s_delay_alu instid0(VALU_DEP_1) | instskip(NEXT) | instid1(VALU_DEP_2)
	v_add_f32_e32 v29, 1.0, v26
	v_add_f32_e32 v27, v23, v27
	s_delay_alu instid0(VALU_DEP_2) | instskip(NEXT) | instid1(VALU_DEP_2)
	v_sub_f32_e32 v25, v25, v29
	v_add_f32_e32 v29, v28, v27
	s_delay_alu instid0(VALU_DEP_2) | instskip(NEXT) | instid1(VALU_DEP_2)
	v_add_f32_e32 v23, v23, v25
	v_rcp_f32_e32 v25, v29
	v_sub_f32_e32 v28, v28, v29
	s_delay_alu instid0(VALU_DEP_1) | instskip(NEXT) | instid1(VALU_DEP_1)
	v_dual_add_f32 v30, v26, v23 :: v_dual_add_f32 v27, v27, v28
	v_sub_f32_e32 v26, v26, v30
	s_waitcnt_depctr 0xfff
	v_mul_f32_e32 v31, v30, v25
	s_delay_alu instid0(VALU_DEP_1) | instskip(NEXT) | instid1(VALU_DEP_1)
	v_dual_add_f32 v23, v23, v26 :: v_dual_mul_f32 v32, v29, v31
	v_fma_f32 v28, v31, v29, -v32
	s_delay_alu instid0(VALU_DEP_1) | instskip(NEXT) | instid1(VALU_DEP_1)
	v_fmac_f32_e32 v28, v31, v27
	v_add_f32_e32 v33, v32, v28
	s_delay_alu instid0(VALU_DEP_1) | instskip(SKIP_1) | instid1(VALU_DEP_2)
	v_sub_f32_e32 v34, v30, v33
	v_sub_f32_e32 v26, v33, v32
	;; [unrolled: 1-line block ×3, first 2 shown]
	s_delay_alu instid0(VALU_DEP_2) | instskip(NEXT) | instid1(VALU_DEP_2)
	v_sub_f32_e32 v26, v26, v28
	v_sub_f32_e32 v30, v30, v33
	s_delay_alu instid0(VALU_DEP_1) | instskip(NEXT) | instid1(VALU_DEP_1)
	v_add_f32_e32 v23, v23, v30
	v_add_f32_e32 v23, v26, v23
	s_delay_alu instid0(VALU_DEP_1) | instskip(NEXT) | instid1(VALU_DEP_1)
	v_add_f32_e32 v26, v34, v23
	v_mul_f32_e32 v28, v25, v26
	s_delay_alu instid0(VALU_DEP_1) | instskip(NEXT) | instid1(VALU_DEP_1)
	v_dual_sub_f32 v33, v34, v26 :: v_dual_mul_f32 v30, v29, v28
	v_add_f32_e32 v23, v23, v33
	s_delay_alu instid0(VALU_DEP_2) | instskip(NEXT) | instid1(VALU_DEP_1)
	v_fma_f32 v29, v28, v29, -v30
	v_fmac_f32_e32 v29, v28, v27
	s_delay_alu instid0(VALU_DEP_1) | instskip(NEXT) | instid1(VALU_DEP_1)
	v_add_f32_e32 v27, v30, v29
	v_sub_f32_e32 v32, v26, v27
	v_sub_f32_e32 v30, v27, v30
	s_delay_alu instid0(VALU_DEP_2) | instskip(NEXT) | instid1(VALU_DEP_1)
	v_sub_f32_e32 v26, v26, v32
	v_sub_f32_e32 v26, v26, v27
	s_delay_alu instid0(VALU_DEP_3) | instskip(NEXT) | instid1(VALU_DEP_2)
	v_sub_f32_e32 v27, v30, v29
	v_add_f32_e32 v23, v23, v26
	v_add_f32_e32 v26, v31, v28
	s_delay_alu instid0(VALU_DEP_2) | instskip(NEXT) | instid1(VALU_DEP_2)
	v_add_f32_e32 v23, v27, v23
	v_sub_f32_e32 v27, v26, v31
	s_delay_alu instid0(VALU_DEP_2) | instskip(NEXT) | instid1(VALU_DEP_2)
	v_add_f32_e32 v23, v32, v23
	v_sub_f32_e32 v27, v28, v27
	s_delay_alu instid0(VALU_DEP_2) | instskip(NEXT) | instid1(VALU_DEP_1)
	v_mul_f32_e32 v23, v25, v23
	v_add_f32_e32 v23, v27, v23
	s_delay_alu instid0(VALU_DEP_1) | instskip(NEXT) | instid1(VALU_DEP_1)
	v_add_f32_e32 v25, v26, v23
	v_mul_f32_e32 v27, v25, v25
	s_delay_alu instid0(VALU_DEP_1) | instskip(SKIP_2) | instid1(VALU_DEP_3)
	v_fmaak_f32 v28, s0, v27, 0x3ecc95a3
	v_mul_f32_e32 v29, v25, v27
	v_cmp_eq_f32_e64 s0, 0x7f800000, v24
	v_fmaak_f32 v27, v27, v28, 0x3f2aaada
	v_ldexp_f32 v28, v25, 1
	v_sub_f32_e32 v25, v25, v26
	s_delay_alu instid0(VALU_DEP_4) | instskip(NEXT) | instid1(VALU_DEP_3)
	s_or_b32 s0, s0, s23
	v_mul_f32_e32 v27, v29, v27
	v_mul_f32_e32 v29, 0x3f317218, v22
	s_delay_alu instid0(VALU_DEP_2) | instskip(NEXT) | instid1(VALU_DEP_1)
	v_dual_sub_f32 v23, v23, v25 :: v_dual_add_f32 v26, v28, v27
	v_ldexp_f32 v23, v23, 1
	s_delay_alu instid0(VALU_DEP_2) | instskip(NEXT) | instid1(VALU_DEP_4)
	v_sub_f32_e32 v25, v26, v28
	v_fma_f32 v28, 0x3f317218, v22, -v29
	s_delay_alu instid0(VALU_DEP_1) | instskip(NEXT) | instid1(VALU_DEP_1)
	v_dual_sub_f32 v25, v27, v25 :: v_dual_fmamk_f32 v22, v22, 0xb102e308, v28
	v_add_f32_e32 v23, v23, v25
	s_delay_alu instid0(VALU_DEP_2) | instskip(NEXT) | instid1(VALU_DEP_2)
	v_add_f32_e32 v25, v29, v22
	v_add_f32_e32 v27, v26, v23
	s_delay_alu instid0(VALU_DEP_2) | instskip(NEXT) | instid1(VALU_DEP_2)
	v_sub_f32_e32 v29, v25, v29
	v_add_f32_e32 v28, v25, v27
	v_sub_f32_e32 v26, v27, v26
	s_delay_alu instid0(VALU_DEP_3) | instskip(NEXT) | instid1(VALU_DEP_2)
	v_sub_f32_e32 v22, v22, v29
	v_dual_sub_f32 v30, v28, v25 :: v_dual_sub_f32 v23, v23, v26
	s_delay_alu instid0(VALU_DEP_1) | instskip(NEXT) | instid1(VALU_DEP_2)
	v_sub_f32_e32 v31, v28, v30
	v_dual_sub_f32 v26, v27, v30 :: v_dual_add_f32 v27, v22, v23
	s_delay_alu instid0(VALU_DEP_2) | instskip(NEXT) | instid1(VALU_DEP_1)
	v_sub_f32_e32 v25, v25, v31
	v_dual_add_f32 v25, v26, v25 :: v_dual_sub_f32 v26, v27, v22
	s_delay_alu instid0(VALU_DEP_1) | instskip(NEXT) | instid1(VALU_DEP_2)
	v_add_f32_e32 v25, v27, v25
	v_sub_f32_e32 v27, v27, v26
	v_sub_f32_e32 v23, v23, v26
	s_delay_alu instid0(VALU_DEP_2) | instskip(NEXT) | instid1(VALU_DEP_1)
	v_dual_add_f32 v29, v28, v25 :: v_dual_sub_f32 v22, v22, v27
	v_sub_f32_e32 v26, v29, v28
	s_delay_alu instid0(VALU_DEP_2) | instskip(NEXT) | instid1(VALU_DEP_2)
	v_add_f32_e32 v22, v23, v22
	v_sub_f32_e32 v23, v25, v26
	s_delay_alu instid0(VALU_DEP_1) | instskip(NEXT) | instid1(VALU_DEP_1)
	v_add_f32_e32 v22, v22, v23
	v_add_f32_e32 v22, v29, v22
	s_delay_alu instid0(VALU_DEP_1) | instskip(NEXT) | instid1(VALU_DEP_1)
	v_cndmask_b32_e64 v22, v22, v24, s0
	v_add_f32_e32 v22, v4, v22
.LBB511_156:
	s_or_b32 exec_lo, exec_lo, s1
	s_delay_alu instid0(VALU_DEP_1) | instskip(SKIP_1) | instid1(VALU_DEP_2)
	v_bfe_u32 v4, v22, 16, 1
	v_cmp_o_f32_e64 s0, v22, v22
	v_add3_u32 v4, v22, v4, 0x7fff
	s_delay_alu instid0(VALU_DEP_1) | instskip(NEXT) | instid1(VALU_DEP_1)
	v_lshrrev_b32_e32 v4, 16, v4
	v_cndmask_b32_e64 v4, 0x7fc0, v4, s0
	s_delay_alu instid0(VALU_DEP_1) | instskip(NEXT) | instid1(VALU_DEP_1)
	v_lshlrev_b32_e32 v23, 16, v4
	v_max_f32_e32 v22, v23, v23
	s_delay_alu instid0(VALU_DEP_1) | instskip(SKIP_2) | instid1(VALU_DEP_1)
	v_min_f32_e32 v24, v22, v41
	v_max_f32_e32 v22, v22, v41
	v_cmp_u_f32_e64 s0, v23, v23
	v_cndmask_b32_e64 v24, v24, v23, s0
	s_delay_alu instid0(VALU_DEP_3) | instskip(NEXT) | instid1(VALU_DEP_2)
	v_cndmask_b32_e64 v22, v22, v23, s0
	v_cndmask_b32_e64 v24, v24, v37, s41
	s_delay_alu instid0(VALU_DEP_2) | instskip(NEXT) | instid1(VALU_DEP_2)
	v_cndmask_b32_e64 v22, v22, v37, s41
	v_cmp_class_f32_e64 s1, v24, 0x1f8
	s_delay_alu instid0(VALU_DEP_2) | instskip(NEXT) | instid1(VALU_DEP_1)
	v_cmp_neq_f32_e64 s0, v24, v22
	s_or_b32 s0, s0, s1
	s_delay_alu instid0(SALU_CYCLE_1)
	s_and_saveexec_b32 s1, s0
	s_cbranch_execz .LBB511_158
; %bb.157:
	v_sub_f32_e32 v23, v24, v22
	s_delay_alu instid0(VALU_DEP_1) | instskip(SKIP_1) | instid1(VALU_DEP_2)
	v_mul_f32_e32 v24, 0x3fb8aa3b, v23
	v_cmp_ngt_f32_e64 s0, 0xc2ce8ed0, v23
	v_fma_f32 v25, 0x3fb8aa3b, v23, -v24
	v_rndne_f32_e32 v26, v24
	s_delay_alu instid0(VALU_DEP_1) | instskip(NEXT) | instid1(VALU_DEP_1)
	v_dual_fmamk_f32 v25, v23, 0x32a5705f, v25 :: v_dual_sub_f32 v24, v24, v26
	v_add_f32_e32 v24, v24, v25
	v_cvt_i32_f32_e32 v25, v26
	s_delay_alu instid0(VALU_DEP_2) | instskip(SKIP_2) | instid1(VALU_DEP_1)
	v_exp_f32_e32 v24, v24
	s_waitcnt_depctr 0xfff
	v_ldexp_f32 v24, v24, v25
	v_cndmask_b32_e64 v24, 0, v24, s0
	v_cmp_nlt_f32_e64 s0, 0x42b17218, v23
	s_delay_alu instid0(VALU_DEP_1) | instskip(NEXT) | instid1(VALU_DEP_1)
	v_cndmask_b32_e64 v25, 0x7f800000, v24, s0
	v_add_f32_e32 v26, 1.0, v25
	v_cmp_gt_f32_e64 s23, 0x33800000, |v25|
	s_delay_alu instid0(VALU_DEP_2) | instskip(NEXT) | instid1(VALU_DEP_1)
	v_cvt_f64_f32_e32 v[23:24], v26
	v_frexp_exp_i32_f64_e32 v23, v[23:24]
	v_frexp_mant_f32_e32 v24, v26
	s_delay_alu instid0(VALU_DEP_1) | instskip(SKIP_1) | instid1(VALU_DEP_1)
	v_cmp_gt_f32_e64 s0, 0x3f2aaaab, v24
	v_add_f32_e32 v24, -1.0, v26
	v_sub_f32_e32 v28, v24, v26
	v_sub_f32_e32 v24, v25, v24
	s_delay_alu instid0(VALU_DEP_4) | instskip(SKIP_1) | instid1(VALU_DEP_1)
	v_subrev_co_ci_u32_e64 v23, s0, 0, v23, s0
	s_mov_b32 s0, 0x3e9b6dac
	v_sub_nc_u32_e32 v27, 0, v23
	v_cvt_f32_i32_e32 v23, v23
	s_delay_alu instid0(VALU_DEP_2) | instskip(NEXT) | instid1(VALU_DEP_1)
	v_ldexp_f32 v26, v26, v27
	v_dual_add_f32 v29, 1.0, v26 :: v_dual_add_f32 v28, 1.0, v28
	s_delay_alu instid0(VALU_DEP_1) | instskip(NEXT) | instid1(VALU_DEP_2)
	v_add_f32_e32 v24, v24, v28
	v_add_f32_e32 v28, -1.0, v29
	s_delay_alu instid0(VALU_DEP_2) | instskip(NEXT) | instid1(VALU_DEP_2)
	v_ldexp_f32 v24, v24, v27
	v_dual_add_f32 v27, -1.0, v26 :: v_dual_sub_f32 v28, v26, v28
	s_delay_alu instid0(VALU_DEP_1) | instskip(NEXT) | instid1(VALU_DEP_2)
	v_add_f32_e32 v30, 1.0, v27
	v_add_f32_e32 v28, v24, v28
	s_delay_alu instid0(VALU_DEP_2) | instskip(NEXT) | instid1(VALU_DEP_2)
	v_sub_f32_e32 v26, v26, v30
	v_add_f32_e32 v30, v29, v28
	s_delay_alu instid0(VALU_DEP_2) | instskip(NEXT) | instid1(VALU_DEP_2)
	v_add_f32_e32 v24, v24, v26
	v_rcp_f32_e32 v26, v30
	v_sub_f32_e32 v29, v29, v30
	s_delay_alu instid0(VALU_DEP_1) | instskip(NEXT) | instid1(VALU_DEP_1)
	v_dual_add_f32 v31, v27, v24 :: v_dual_add_f32 v28, v28, v29
	v_sub_f32_e32 v27, v27, v31
	s_waitcnt_depctr 0xfff
	v_mul_f32_e32 v32, v31, v26
	s_delay_alu instid0(VALU_DEP_1) | instskip(NEXT) | instid1(VALU_DEP_1)
	v_dual_add_f32 v24, v24, v27 :: v_dual_mul_f32 v33, v30, v32
	v_fma_f32 v29, v32, v30, -v33
	s_delay_alu instid0(VALU_DEP_1) | instskip(NEXT) | instid1(VALU_DEP_1)
	v_fmac_f32_e32 v29, v32, v28
	v_add_f32_e32 v34, v33, v29
	s_delay_alu instid0(VALU_DEP_1) | instskip(SKIP_1) | instid1(VALU_DEP_2)
	v_sub_f32_e32 v35, v31, v34
	v_sub_f32_e32 v27, v34, v33
	;; [unrolled: 1-line block ×3, first 2 shown]
	s_delay_alu instid0(VALU_DEP_2) | instskip(NEXT) | instid1(VALU_DEP_2)
	v_sub_f32_e32 v27, v27, v29
	v_sub_f32_e32 v31, v31, v34
	s_delay_alu instid0(VALU_DEP_1) | instskip(NEXT) | instid1(VALU_DEP_1)
	v_add_f32_e32 v24, v24, v31
	v_add_f32_e32 v24, v27, v24
	s_delay_alu instid0(VALU_DEP_1) | instskip(NEXT) | instid1(VALU_DEP_1)
	v_add_f32_e32 v27, v35, v24
	v_mul_f32_e32 v29, v26, v27
	s_delay_alu instid0(VALU_DEP_1) | instskip(NEXT) | instid1(VALU_DEP_1)
	v_dual_sub_f32 v34, v35, v27 :: v_dual_mul_f32 v31, v30, v29
	v_add_f32_e32 v24, v24, v34
	s_delay_alu instid0(VALU_DEP_2) | instskip(NEXT) | instid1(VALU_DEP_1)
	v_fma_f32 v30, v29, v30, -v31
	v_fmac_f32_e32 v30, v29, v28
	s_delay_alu instid0(VALU_DEP_1) | instskip(NEXT) | instid1(VALU_DEP_1)
	v_add_f32_e32 v28, v31, v30
	v_sub_f32_e32 v33, v27, v28
	v_sub_f32_e32 v31, v28, v31
	s_delay_alu instid0(VALU_DEP_2) | instskip(NEXT) | instid1(VALU_DEP_1)
	v_sub_f32_e32 v27, v27, v33
	v_sub_f32_e32 v27, v27, v28
	s_delay_alu instid0(VALU_DEP_3) | instskip(NEXT) | instid1(VALU_DEP_2)
	v_sub_f32_e32 v28, v31, v30
	v_add_f32_e32 v24, v24, v27
	v_add_f32_e32 v27, v32, v29
	s_delay_alu instid0(VALU_DEP_2) | instskip(NEXT) | instid1(VALU_DEP_2)
	v_add_f32_e32 v24, v28, v24
	v_sub_f32_e32 v28, v27, v32
	s_delay_alu instid0(VALU_DEP_2) | instskip(NEXT) | instid1(VALU_DEP_2)
	v_add_f32_e32 v24, v33, v24
	v_sub_f32_e32 v28, v29, v28
	s_delay_alu instid0(VALU_DEP_2) | instskip(NEXT) | instid1(VALU_DEP_1)
	v_mul_f32_e32 v24, v26, v24
	v_add_f32_e32 v24, v28, v24
	s_delay_alu instid0(VALU_DEP_1) | instskip(NEXT) | instid1(VALU_DEP_1)
	v_add_f32_e32 v26, v27, v24
	v_mul_f32_e32 v28, v26, v26
	s_delay_alu instid0(VALU_DEP_1) | instskip(SKIP_2) | instid1(VALU_DEP_3)
	v_fmaak_f32 v29, s0, v28, 0x3ecc95a3
	v_mul_f32_e32 v30, v26, v28
	v_cmp_eq_f32_e64 s0, 0x7f800000, v25
	v_fmaak_f32 v28, v28, v29, 0x3f2aaada
	v_ldexp_f32 v29, v26, 1
	v_sub_f32_e32 v26, v26, v27
	s_delay_alu instid0(VALU_DEP_4) | instskip(NEXT) | instid1(VALU_DEP_3)
	s_or_b32 s0, s0, s23
	v_mul_f32_e32 v28, v30, v28
	v_mul_f32_e32 v30, 0x3f317218, v23
	s_delay_alu instid0(VALU_DEP_2) | instskip(NEXT) | instid1(VALU_DEP_1)
	v_dual_sub_f32 v24, v24, v26 :: v_dual_add_f32 v27, v29, v28
	v_ldexp_f32 v24, v24, 1
	s_delay_alu instid0(VALU_DEP_2) | instskip(NEXT) | instid1(VALU_DEP_4)
	v_sub_f32_e32 v26, v27, v29
	v_fma_f32 v29, 0x3f317218, v23, -v30
	s_delay_alu instid0(VALU_DEP_1) | instskip(NEXT) | instid1(VALU_DEP_1)
	v_dual_sub_f32 v26, v28, v26 :: v_dual_fmamk_f32 v23, v23, 0xb102e308, v29
	v_add_f32_e32 v24, v24, v26
	s_delay_alu instid0(VALU_DEP_2) | instskip(NEXT) | instid1(VALU_DEP_2)
	v_add_f32_e32 v26, v30, v23
	v_add_f32_e32 v28, v27, v24
	s_delay_alu instid0(VALU_DEP_2) | instskip(NEXT) | instid1(VALU_DEP_2)
	v_sub_f32_e32 v30, v26, v30
	v_add_f32_e32 v29, v26, v28
	v_sub_f32_e32 v27, v28, v27
	s_delay_alu instid0(VALU_DEP_3) | instskip(NEXT) | instid1(VALU_DEP_2)
	v_sub_f32_e32 v23, v23, v30
	v_dual_sub_f32 v31, v29, v26 :: v_dual_sub_f32 v24, v24, v27
	s_delay_alu instid0(VALU_DEP_1) | instskip(NEXT) | instid1(VALU_DEP_2)
	v_sub_f32_e32 v32, v29, v31
	v_dual_sub_f32 v27, v28, v31 :: v_dual_add_f32 v28, v23, v24
	s_delay_alu instid0(VALU_DEP_2) | instskip(NEXT) | instid1(VALU_DEP_1)
	v_sub_f32_e32 v26, v26, v32
	v_dual_add_f32 v26, v27, v26 :: v_dual_sub_f32 v27, v28, v23
	s_delay_alu instid0(VALU_DEP_1) | instskip(NEXT) | instid1(VALU_DEP_2)
	v_add_f32_e32 v26, v28, v26
	v_sub_f32_e32 v28, v28, v27
	v_sub_f32_e32 v24, v24, v27
	s_delay_alu instid0(VALU_DEP_2) | instskip(NEXT) | instid1(VALU_DEP_1)
	v_dual_add_f32 v30, v29, v26 :: v_dual_sub_f32 v23, v23, v28
	v_sub_f32_e32 v27, v30, v29
	s_delay_alu instid0(VALU_DEP_2) | instskip(NEXT) | instid1(VALU_DEP_2)
	v_add_f32_e32 v23, v24, v23
	v_sub_f32_e32 v24, v26, v27
	s_delay_alu instid0(VALU_DEP_1) | instskip(NEXT) | instid1(VALU_DEP_1)
	v_add_f32_e32 v23, v23, v24
	v_add_f32_e32 v23, v30, v23
	s_delay_alu instid0(VALU_DEP_1) | instskip(NEXT) | instid1(VALU_DEP_1)
	v_cndmask_b32_e64 v23, v23, v25, s0
	v_add_f32_e32 v23, v22, v23
.LBB511_158:
	s_or_b32 exec_lo, exec_lo, s1
	s_delay_alu instid0(VALU_DEP_1) | instskip(SKIP_1) | instid1(VALU_DEP_2)
	v_bfe_u32 v22, v23, 16, 1
	v_cmp_o_f32_e64 s0, v23, v23
	v_add3_u32 v22, v23, v22, 0x7fff
	s_delay_alu instid0(VALU_DEP_1) | instskip(NEXT) | instid1(VALU_DEP_1)
	v_lshrrev_b32_e32 v22, 16, v22
	v_cndmask_b32_e64 v22, 0x7fc0, v22, s0
	s_delay_alu instid0(VALU_DEP_1) | instskip(NEXT) | instid1(VALU_DEP_1)
	v_lshlrev_b32_e32 v23, 16, v22
	v_max_f32_e32 v24, v23, v23
	s_delay_alu instid0(VALU_DEP_1) | instskip(SKIP_2) | instid1(VALU_DEP_1)
	v_min_f32_e32 v25, v24, v43
	v_max_f32_e32 v24, v24, v43
	v_cmp_u_f32_e64 s0, v23, v23
	v_cndmask_b32_e64 v25, v25, v23, s0
	s_delay_alu instid0(VALU_DEP_3) | instskip(NEXT) | instid1(VALU_DEP_2)
	v_cndmask_b32_e64 v26, v24, v23, s0
	v_cndmask_b32_e64 v24, v25, v5, s42
	s_delay_alu instid0(VALU_DEP_2) | instskip(NEXT) | instid1(VALU_DEP_2)
	v_cndmask_b32_e64 v5, v26, v5, s42
	v_cmp_class_f32_e64 s1, v24, 0x1f8
	s_delay_alu instid0(VALU_DEP_2) | instskip(NEXT) | instid1(VALU_DEP_1)
	v_cmp_neq_f32_e64 s0, v24, v5
	s_or_b32 s0, s0, s1
	s_delay_alu instid0(SALU_CYCLE_1)
	s_and_saveexec_b32 s1, s0
	s_cbranch_execz .LBB511_160
; %bb.159:
	v_sub_f32_e32 v23, v24, v5
	s_delay_alu instid0(VALU_DEP_1) | instskip(SKIP_1) | instid1(VALU_DEP_2)
	v_mul_f32_e32 v24, 0x3fb8aa3b, v23
	v_cmp_ngt_f32_e64 s0, 0xc2ce8ed0, v23
	v_fma_f32 v25, 0x3fb8aa3b, v23, -v24
	v_rndne_f32_e32 v26, v24
	s_delay_alu instid0(VALU_DEP_1) | instskip(NEXT) | instid1(VALU_DEP_1)
	v_dual_fmamk_f32 v25, v23, 0x32a5705f, v25 :: v_dual_sub_f32 v24, v24, v26
	v_add_f32_e32 v24, v24, v25
	v_cvt_i32_f32_e32 v25, v26
	s_delay_alu instid0(VALU_DEP_2) | instskip(SKIP_2) | instid1(VALU_DEP_1)
	v_exp_f32_e32 v24, v24
	s_waitcnt_depctr 0xfff
	v_ldexp_f32 v24, v24, v25
	v_cndmask_b32_e64 v24, 0, v24, s0
	v_cmp_nlt_f32_e64 s0, 0x42b17218, v23
	s_delay_alu instid0(VALU_DEP_1) | instskip(NEXT) | instid1(VALU_DEP_1)
	v_cndmask_b32_e64 v25, 0x7f800000, v24, s0
	v_add_f32_e32 v26, 1.0, v25
	v_cmp_gt_f32_e64 s23, 0x33800000, |v25|
	s_delay_alu instid0(VALU_DEP_2) | instskip(NEXT) | instid1(VALU_DEP_1)
	v_cvt_f64_f32_e32 v[23:24], v26
	v_frexp_exp_i32_f64_e32 v23, v[23:24]
	v_frexp_mant_f32_e32 v24, v26
	s_delay_alu instid0(VALU_DEP_1) | instskip(SKIP_1) | instid1(VALU_DEP_1)
	v_cmp_gt_f32_e64 s0, 0x3f2aaaab, v24
	v_add_f32_e32 v24, -1.0, v26
	v_sub_f32_e32 v28, v24, v26
	v_sub_f32_e32 v24, v25, v24
	s_delay_alu instid0(VALU_DEP_4) | instskip(SKIP_1) | instid1(VALU_DEP_1)
	v_subrev_co_ci_u32_e64 v23, s0, 0, v23, s0
	s_mov_b32 s0, 0x3e9b6dac
	v_sub_nc_u32_e32 v27, 0, v23
	v_cvt_f32_i32_e32 v23, v23
	s_delay_alu instid0(VALU_DEP_2) | instskip(NEXT) | instid1(VALU_DEP_1)
	v_ldexp_f32 v26, v26, v27
	v_dual_add_f32 v29, 1.0, v26 :: v_dual_add_f32 v28, 1.0, v28
	s_delay_alu instid0(VALU_DEP_1) | instskip(NEXT) | instid1(VALU_DEP_2)
	v_add_f32_e32 v24, v24, v28
	v_add_f32_e32 v28, -1.0, v29
	s_delay_alu instid0(VALU_DEP_2) | instskip(NEXT) | instid1(VALU_DEP_2)
	v_ldexp_f32 v24, v24, v27
	v_dual_add_f32 v27, -1.0, v26 :: v_dual_sub_f32 v28, v26, v28
	s_delay_alu instid0(VALU_DEP_1) | instskip(NEXT) | instid1(VALU_DEP_2)
	v_add_f32_e32 v30, 1.0, v27
	v_add_f32_e32 v28, v24, v28
	s_delay_alu instid0(VALU_DEP_2) | instskip(NEXT) | instid1(VALU_DEP_2)
	v_sub_f32_e32 v26, v26, v30
	v_add_f32_e32 v30, v29, v28
	s_delay_alu instid0(VALU_DEP_2) | instskip(NEXT) | instid1(VALU_DEP_2)
	v_add_f32_e32 v24, v24, v26
	v_rcp_f32_e32 v26, v30
	v_sub_f32_e32 v29, v29, v30
	s_delay_alu instid0(VALU_DEP_1) | instskip(NEXT) | instid1(VALU_DEP_1)
	v_dual_add_f32 v31, v27, v24 :: v_dual_add_f32 v28, v28, v29
	v_sub_f32_e32 v27, v27, v31
	s_waitcnt_depctr 0xfff
	v_mul_f32_e32 v32, v31, v26
	s_delay_alu instid0(VALU_DEP_1) | instskip(NEXT) | instid1(VALU_DEP_1)
	v_dual_add_f32 v24, v24, v27 :: v_dual_mul_f32 v33, v30, v32
	v_fma_f32 v29, v32, v30, -v33
	s_delay_alu instid0(VALU_DEP_1) | instskip(NEXT) | instid1(VALU_DEP_1)
	v_fmac_f32_e32 v29, v32, v28
	v_add_f32_e32 v34, v33, v29
	s_delay_alu instid0(VALU_DEP_1) | instskip(SKIP_1) | instid1(VALU_DEP_2)
	v_sub_f32_e32 v35, v31, v34
	v_sub_f32_e32 v27, v34, v33
	;; [unrolled: 1-line block ×3, first 2 shown]
	s_delay_alu instid0(VALU_DEP_2) | instskip(NEXT) | instid1(VALU_DEP_2)
	v_sub_f32_e32 v27, v27, v29
	v_sub_f32_e32 v31, v31, v34
	s_delay_alu instid0(VALU_DEP_1) | instskip(NEXT) | instid1(VALU_DEP_1)
	v_add_f32_e32 v24, v24, v31
	v_add_f32_e32 v24, v27, v24
	s_delay_alu instid0(VALU_DEP_1) | instskip(NEXT) | instid1(VALU_DEP_1)
	v_add_f32_e32 v27, v35, v24
	v_mul_f32_e32 v29, v26, v27
	s_delay_alu instid0(VALU_DEP_1) | instskip(NEXT) | instid1(VALU_DEP_1)
	v_dual_sub_f32 v34, v35, v27 :: v_dual_mul_f32 v31, v30, v29
	v_add_f32_e32 v24, v24, v34
	s_delay_alu instid0(VALU_DEP_2) | instskip(NEXT) | instid1(VALU_DEP_1)
	v_fma_f32 v30, v29, v30, -v31
	v_fmac_f32_e32 v30, v29, v28
	s_delay_alu instid0(VALU_DEP_1) | instskip(NEXT) | instid1(VALU_DEP_1)
	v_add_f32_e32 v28, v31, v30
	v_sub_f32_e32 v33, v27, v28
	v_sub_f32_e32 v31, v28, v31
	s_delay_alu instid0(VALU_DEP_2) | instskip(NEXT) | instid1(VALU_DEP_1)
	v_sub_f32_e32 v27, v27, v33
	v_sub_f32_e32 v27, v27, v28
	s_delay_alu instid0(VALU_DEP_3) | instskip(NEXT) | instid1(VALU_DEP_2)
	v_sub_f32_e32 v28, v31, v30
	v_add_f32_e32 v24, v24, v27
	v_add_f32_e32 v27, v32, v29
	s_delay_alu instid0(VALU_DEP_2) | instskip(NEXT) | instid1(VALU_DEP_2)
	v_add_f32_e32 v24, v28, v24
	v_sub_f32_e32 v28, v27, v32
	s_delay_alu instid0(VALU_DEP_2) | instskip(NEXT) | instid1(VALU_DEP_2)
	v_add_f32_e32 v24, v33, v24
	v_sub_f32_e32 v28, v29, v28
	s_delay_alu instid0(VALU_DEP_2) | instskip(NEXT) | instid1(VALU_DEP_1)
	v_mul_f32_e32 v24, v26, v24
	v_add_f32_e32 v24, v28, v24
	s_delay_alu instid0(VALU_DEP_1) | instskip(NEXT) | instid1(VALU_DEP_1)
	v_add_f32_e32 v26, v27, v24
	v_mul_f32_e32 v28, v26, v26
	s_delay_alu instid0(VALU_DEP_1) | instskip(SKIP_2) | instid1(VALU_DEP_3)
	v_fmaak_f32 v29, s0, v28, 0x3ecc95a3
	v_mul_f32_e32 v30, v26, v28
	v_cmp_eq_f32_e64 s0, 0x7f800000, v25
	v_fmaak_f32 v28, v28, v29, 0x3f2aaada
	v_ldexp_f32 v29, v26, 1
	v_sub_f32_e32 v26, v26, v27
	s_delay_alu instid0(VALU_DEP_4) | instskip(NEXT) | instid1(VALU_DEP_3)
	s_or_b32 s0, s0, s23
	v_mul_f32_e32 v28, v30, v28
	v_mul_f32_e32 v30, 0x3f317218, v23
	s_delay_alu instid0(VALU_DEP_2) | instskip(NEXT) | instid1(VALU_DEP_1)
	v_dual_sub_f32 v24, v24, v26 :: v_dual_add_f32 v27, v29, v28
	v_ldexp_f32 v24, v24, 1
	s_delay_alu instid0(VALU_DEP_2) | instskip(NEXT) | instid1(VALU_DEP_4)
	v_sub_f32_e32 v26, v27, v29
	v_fma_f32 v29, 0x3f317218, v23, -v30
	s_delay_alu instid0(VALU_DEP_1) | instskip(NEXT) | instid1(VALU_DEP_1)
	v_dual_sub_f32 v26, v28, v26 :: v_dual_fmamk_f32 v23, v23, 0xb102e308, v29
	v_add_f32_e32 v24, v24, v26
	s_delay_alu instid0(VALU_DEP_2) | instskip(NEXT) | instid1(VALU_DEP_2)
	v_add_f32_e32 v26, v30, v23
	v_add_f32_e32 v28, v27, v24
	s_delay_alu instid0(VALU_DEP_2) | instskip(NEXT) | instid1(VALU_DEP_2)
	v_sub_f32_e32 v30, v26, v30
	v_add_f32_e32 v29, v26, v28
	v_sub_f32_e32 v27, v28, v27
	s_delay_alu instid0(VALU_DEP_3) | instskip(NEXT) | instid1(VALU_DEP_2)
	v_sub_f32_e32 v23, v23, v30
	v_dual_sub_f32 v31, v29, v26 :: v_dual_sub_f32 v24, v24, v27
	s_delay_alu instid0(VALU_DEP_1) | instskip(NEXT) | instid1(VALU_DEP_2)
	v_sub_f32_e32 v32, v29, v31
	v_dual_sub_f32 v27, v28, v31 :: v_dual_add_f32 v28, v23, v24
	s_delay_alu instid0(VALU_DEP_2) | instskip(NEXT) | instid1(VALU_DEP_1)
	v_sub_f32_e32 v26, v26, v32
	v_dual_add_f32 v26, v27, v26 :: v_dual_sub_f32 v27, v28, v23
	s_delay_alu instid0(VALU_DEP_1) | instskip(NEXT) | instid1(VALU_DEP_2)
	v_add_f32_e32 v26, v28, v26
	v_sub_f32_e32 v28, v28, v27
	v_sub_f32_e32 v24, v24, v27
	s_delay_alu instid0(VALU_DEP_2) | instskip(NEXT) | instid1(VALU_DEP_1)
	v_dual_add_f32 v30, v29, v26 :: v_dual_sub_f32 v23, v23, v28
	v_sub_f32_e32 v27, v30, v29
	s_delay_alu instid0(VALU_DEP_2) | instskip(NEXT) | instid1(VALU_DEP_2)
	v_add_f32_e32 v23, v24, v23
	v_sub_f32_e32 v24, v26, v27
	s_delay_alu instid0(VALU_DEP_1) | instskip(NEXT) | instid1(VALU_DEP_1)
	v_add_f32_e32 v23, v23, v24
	v_add_f32_e32 v23, v30, v23
	s_delay_alu instid0(VALU_DEP_1) | instskip(NEXT) | instid1(VALU_DEP_1)
	v_cndmask_b32_e64 v23, v23, v25, s0
	v_add_f32_e32 v23, v5, v23
.LBB511_160:
	s_or_b32 exec_lo, exec_lo, s1
	s_delay_alu instid0(VALU_DEP_1) | instskip(SKIP_1) | instid1(VALU_DEP_2)
	v_bfe_u32 v5, v23, 16, 1
	v_cmp_o_f32_e64 s0, v23, v23
	v_add3_u32 v5, v23, v5, 0x7fff
	s_delay_alu instid0(VALU_DEP_1) | instskip(NEXT) | instid1(VALU_DEP_1)
	v_lshrrev_b32_e32 v5, 16, v5
	v_cndmask_b32_e64 v5, 0x7fc0, v5, s0
	s_delay_alu instid0(VALU_DEP_1) | instskip(NEXT) | instid1(VALU_DEP_1)
	v_lshlrev_b32_e32 v24, 16, v5
	v_max_f32_e32 v23, v24, v24
	s_delay_alu instid0(VALU_DEP_1) | instskip(SKIP_2) | instid1(VALU_DEP_1)
	v_min_f32_e32 v25, v23, v44
	v_max_f32_e32 v23, v23, v44
	v_cmp_u_f32_e64 s0, v24, v24
	v_cndmask_b32_e64 v25, v25, v24, s0
	s_delay_alu instid0(VALU_DEP_3) | instskip(NEXT) | instid1(VALU_DEP_2)
	v_cndmask_b32_e64 v23, v23, v24, s0
	v_cndmask_b32_e64 v25, v25, v40, s43
	s_delay_alu instid0(VALU_DEP_2) | instskip(NEXT) | instid1(VALU_DEP_2)
	v_cndmask_b32_e64 v23, v23, v40, s43
	v_cmp_class_f32_e64 s1, v25, 0x1f8
	s_delay_alu instid0(VALU_DEP_2) | instskip(NEXT) | instid1(VALU_DEP_1)
	v_cmp_neq_f32_e64 s0, v25, v23
	s_or_b32 s0, s0, s1
	s_delay_alu instid0(SALU_CYCLE_1)
	s_and_saveexec_b32 s1, s0
	s_cbranch_execz .LBB511_162
; %bb.161:
	v_sub_f32_e32 v24, v25, v23
	s_delay_alu instid0(VALU_DEP_1) | instskip(SKIP_1) | instid1(VALU_DEP_2)
	v_mul_f32_e32 v25, 0x3fb8aa3b, v24
	v_cmp_ngt_f32_e64 s0, 0xc2ce8ed0, v24
	v_fma_f32 v26, 0x3fb8aa3b, v24, -v25
	v_rndne_f32_e32 v27, v25
	s_delay_alu instid0(VALU_DEP_1) | instskip(NEXT) | instid1(VALU_DEP_1)
	v_dual_fmamk_f32 v26, v24, 0x32a5705f, v26 :: v_dual_sub_f32 v25, v25, v27
	v_add_f32_e32 v25, v25, v26
	v_cvt_i32_f32_e32 v26, v27
	s_delay_alu instid0(VALU_DEP_2) | instskip(SKIP_2) | instid1(VALU_DEP_1)
	v_exp_f32_e32 v25, v25
	s_waitcnt_depctr 0xfff
	v_ldexp_f32 v25, v25, v26
	v_cndmask_b32_e64 v25, 0, v25, s0
	v_cmp_nlt_f32_e64 s0, 0x42b17218, v24
	s_delay_alu instid0(VALU_DEP_1) | instskip(NEXT) | instid1(VALU_DEP_1)
	v_cndmask_b32_e64 v26, 0x7f800000, v25, s0
	v_add_f32_e32 v27, 1.0, v26
	v_cmp_gt_f32_e64 s23, 0x33800000, |v26|
	s_delay_alu instid0(VALU_DEP_2) | instskip(NEXT) | instid1(VALU_DEP_1)
	v_cvt_f64_f32_e32 v[24:25], v27
	v_frexp_exp_i32_f64_e32 v24, v[24:25]
	v_frexp_mant_f32_e32 v25, v27
	s_delay_alu instid0(VALU_DEP_1) | instskip(SKIP_1) | instid1(VALU_DEP_1)
	v_cmp_gt_f32_e64 s0, 0x3f2aaaab, v25
	v_add_f32_e32 v25, -1.0, v27
	v_sub_f32_e32 v29, v25, v27
	v_sub_f32_e32 v25, v26, v25
	s_delay_alu instid0(VALU_DEP_4) | instskip(SKIP_1) | instid1(VALU_DEP_1)
	v_subrev_co_ci_u32_e64 v24, s0, 0, v24, s0
	s_mov_b32 s0, 0x3e9b6dac
	v_sub_nc_u32_e32 v28, 0, v24
	v_cvt_f32_i32_e32 v24, v24
	s_delay_alu instid0(VALU_DEP_2) | instskip(NEXT) | instid1(VALU_DEP_1)
	v_ldexp_f32 v27, v27, v28
	v_dual_add_f32 v30, 1.0, v27 :: v_dual_add_f32 v29, 1.0, v29
	s_delay_alu instid0(VALU_DEP_1) | instskip(NEXT) | instid1(VALU_DEP_2)
	v_add_f32_e32 v25, v25, v29
	v_add_f32_e32 v29, -1.0, v30
	s_delay_alu instid0(VALU_DEP_2) | instskip(NEXT) | instid1(VALU_DEP_2)
	v_ldexp_f32 v25, v25, v28
	v_dual_add_f32 v28, -1.0, v27 :: v_dual_sub_f32 v29, v27, v29
	s_delay_alu instid0(VALU_DEP_1) | instskip(NEXT) | instid1(VALU_DEP_2)
	v_add_f32_e32 v31, 1.0, v28
	v_add_f32_e32 v29, v25, v29
	s_delay_alu instid0(VALU_DEP_2) | instskip(NEXT) | instid1(VALU_DEP_2)
	v_sub_f32_e32 v27, v27, v31
	v_add_f32_e32 v31, v30, v29
	s_delay_alu instid0(VALU_DEP_2) | instskip(NEXT) | instid1(VALU_DEP_2)
	v_add_f32_e32 v25, v25, v27
	v_rcp_f32_e32 v27, v31
	v_sub_f32_e32 v30, v30, v31
	s_delay_alu instid0(VALU_DEP_1) | instskip(NEXT) | instid1(VALU_DEP_1)
	v_dual_add_f32 v32, v28, v25 :: v_dual_add_f32 v29, v29, v30
	v_sub_f32_e32 v28, v28, v32
	s_waitcnt_depctr 0xfff
	v_mul_f32_e32 v33, v32, v27
	s_delay_alu instid0(VALU_DEP_1) | instskip(NEXT) | instid1(VALU_DEP_1)
	v_dual_add_f32 v25, v25, v28 :: v_dual_mul_f32 v34, v31, v33
	v_fma_f32 v30, v33, v31, -v34
	s_delay_alu instid0(VALU_DEP_1) | instskip(NEXT) | instid1(VALU_DEP_1)
	v_fmac_f32_e32 v30, v33, v29
	v_add_f32_e32 v35, v34, v30
	s_delay_alu instid0(VALU_DEP_1) | instskip(SKIP_1) | instid1(VALU_DEP_2)
	v_sub_f32_e32 v36, v32, v35
	v_sub_f32_e32 v28, v35, v34
	v_sub_f32_e32 v32, v32, v36
	s_delay_alu instid0(VALU_DEP_2) | instskip(NEXT) | instid1(VALU_DEP_2)
	v_sub_f32_e32 v28, v28, v30
	v_sub_f32_e32 v32, v32, v35
	s_delay_alu instid0(VALU_DEP_1) | instskip(NEXT) | instid1(VALU_DEP_1)
	v_add_f32_e32 v25, v25, v32
	v_add_f32_e32 v25, v28, v25
	s_delay_alu instid0(VALU_DEP_1) | instskip(NEXT) | instid1(VALU_DEP_1)
	v_add_f32_e32 v28, v36, v25
	v_mul_f32_e32 v30, v27, v28
	s_delay_alu instid0(VALU_DEP_1) | instskip(NEXT) | instid1(VALU_DEP_1)
	v_dual_sub_f32 v35, v36, v28 :: v_dual_mul_f32 v32, v31, v30
	v_add_f32_e32 v25, v25, v35
	s_delay_alu instid0(VALU_DEP_2) | instskip(NEXT) | instid1(VALU_DEP_1)
	v_fma_f32 v31, v30, v31, -v32
	v_fmac_f32_e32 v31, v30, v29
	s_delay_alu instid0(VALU_DEP_1) | instskip(NEXT) | instid1(VALU_DEP_1)
	v_add_f32_e32 v29, v32, v31
	v_sub_f32_e32 v34, v28, v29
	v_sub_f32_e32 v32, v29, v32
	s_delay_alu instid0(VALU_DEP_2) | instskip(NEXT) | instid1(VALU_DEP_1)
	v_sub_f32_e32 v28, v28, v34
	v_sub_f32_e32 v28, v28, v29
	s_delay_alu instid0(VALU_DEP_3) | instskip(NEXT) | instid1(VALU_DEP_2)
	v_sub_f32_e32 v29, v32, v31
	v_add_f32_e32 v25, v25, v28
	v_add_f32_e32 v28, v33, v30
	s_delay_alu instid0(VALU_DEP_2) | instskip(NEXT) | instid1(VALU_DEP_2)
	v_add_f32_e32 v25, v29, v25
	v_sub_f32_e32 v29, v28, v33
	s_delay_alu instid0(VALU_DEP_2) | instskip(NEXT) | instid1(VALU_DEP_2)
	v_add_f32_e32 v25, v34, v25
	v_sub_f32_e32 v29, v30, v29
	s_delay_alu instid0(VALU_DEP_2) | instskip(NEXT) | instid1(VALU_DEP_1)
	v_mul_f32_e32 v25, v27, v25
	v_add_f32_e32 v25, v29, v25
	s_delay_alu instid0(VALU_DEP_1) | instskip(NEXT) | instid1(VALU_DEP_1)
	v_add_f32_e32 v27, v28, v25
	v_mul_f32_e32 v29, v27, v27
	s_delay_alu instid0(VALU_DEP_1) | instskip(SKIP_2) | instid1(VALU_DEP_3)
	v_fmaak_f32 v30, s0, v29, 0x3ecc95a3
	v_mul_f32_e32 v31, v27, v29
	v_cmp_eq_f32_e64 s0, 0x7f800000, v26
	v_fmaak_f32 v29, v29, v30, 0x3f2aaada
	v_ldexp_f32 v30, v27, 1
	v_sub_f32_e32 v27, v27, v28
	s_delay_alu instid0(VALU_DEP_4) | instskip(NEXT) | instid1(VALU_DEP_3)
	s_or_b32 s0, s0, s23
	v_mul_f32_e32 v29, v31, v29
	v_mul_f32_e32 v31, 0x3f317218, v24
	s_delay_alu instid0(VALU_DEP_2) | instskip(NEXT) | instid1(VALU_DEP_1)
	v_dual_sub_f32 v25, v25, v27 :: v_dual_add_f32 v28, v30, v29
	v_ldexp_f32 v25, v25, 1
	s_delay_alu instid0(VALU_DEP_2) | instskip(NEXT) | instid1(VALU_DEP_4)
	v_sub_f32_e32 v27, v28, v30
	v_fma_f32 v30, 0x3f317218, v24, -v31
	s_delay_alu instid0(VALU_DEP_1) | instskip(NEXT) | instid1(VALU_DEP_1)
	v_dual_sub_f32 v27, v29, v27 :: v_dual_fmamk_f32 v24, v24, 0xb102e308, v30
	v_add_f32_e32 v25, v25, v27
	s_delay_alu instid0(VALU_DEP_2) | instskip(NEXT) | instid1(VALU_DEP_2)
	v_add_f32_e32 v27, v31, v24
	v_add_f32_e32 v29, v28, v25
	s_delay_alu instid0(VALU_DEP_2) | instskip(NEXT) | instid1(VALU_DEP_2)
	v_sub_f32_e32 v31, v27, v31
	v_add_f32_e32 v30, v27, v29
	v_sub_f32_e32 v28, v29, v28
	s_delay_alu instid0(VALU_DEP_3) | instskip(NEXT) | instid1(VALU_DEP_2)
	v_sub_f32_e32 v24, v24, v31
	v_dual_sub_f32 v32, v30, v27 :: v_dual_sub_f32 v25, v25, v28
	s_delay_alu instid0(VALU_DEP_1) | instskip(NEXT) | instid1(VALU_DEP_2)
	v_sub_f32_e32 v33, v30, v32
	v_dual_sub_f32 v28, v29, v32 :: v_dual_add_f32 v29, v24, v25
	s_delay_alu instid0(VALU_DEP_2) | instskip(NEXT) | instid1(VALU_DEP_1)
	v_sub_f32_e32 v27, v27, v33
	v_dual_add_f32 v27, v28, v27 :: v_dual_sub_f32 v28, v29, v24
	s_delay_alu instid0(VALU_DEP_1) | instskip(NEXT) | instid1(VALU_DEP_2)
	v_add_f32_e32 v27, v29, v27
	v_sub_f32_e32 v29, v29, v28
	v_sub_f32_e32 v25, v25, v28
	s_delay_alu instid0(VALU_DEP_2) | instskip(NEXT) | instid1(VALU_DEP_1)
	v_dual_add_f32 v31, v30, v27 :: v_dual_sub_f32 v24, v24, v29
	v_sub_f32_e32 v28, v31, v30
	s_delay_alu instid0(VALU_DEP_2) | instskip(NEXT) | instid1(VALU_DEP_2)
	v_add_f32_e32 v24, v25, v24
	v_sub_f32_e32 v25, v27, v28
	s_delay_alu instid0(VALU_DEP_1) | instskip(NEXT) | instid1(VALU_DEP_1)
	v_add_f32_e32 v24, v24, v25
	v_add_f32_e32 v24, v31, v24
	s_delay_alu instid0(VALU_DEP_1) | instskip(NEXT) | instid1(VALU_DEP_1)
	v_cndmask_b32_e64 v24, v24, v26, s0
	v_add_f32_e32 v24, v23, v24
.LBB511_162:
	s_or_b32 exec_lo, exec_lo, s1
	s_delay_alu instid0(VALU_DEP_1) | instskip(SKIP_1) | instid1(VALU_DEP_2)
	v_bfe_u32 v23, v24, 16, 1
	v_cmp_o_f32_e64 s0, v24, v24
	v_add3_u32 v23, v24, v23, 0x7fff
	s_delay_alu instid0(VALU_DEP_1) | instskip(NEXT) | instid1(VALU_DEP_1)
	v_lshrrev_b32_e32 v23, 16, v23
	v_cndmask_b32_e64 v23, 0x7fc0, v23, s0
	s_delay_alu instid0(VALU_DEP_1) | instskip(NEXT) | instid1(VALU_DEP_1)
	v_lshlrev_b32_e32 v25, 16, v23
	v_max_f32_e32 v24, v25, v25
	s_delay_alu instid0(VALU_DEP_1) | instskip(SKIP_2) | instid1(VALU_DEP_1)
	v_min_f32_e32 v26, v24, v45
	v_max_f32_e32 v24, v24, v45
	v_cmp_u_f32_e64 s0, v25, v25
	v_cndmask_b32_e64 v26, v26, v25, s0
	s_delay_alu instid0(VALU_DEP_3) | instskip(NEXT) | instid1(VALU_DEP_2)
	v_cndmask_b32_e64 v24, v24, v25, s0
	v_cndmask_b32_e64 v26, v26, v42, s44
	s_delay_alu instid0(VALU_DEP_2) | instskip(NEXT) | instid1(VALU_DEP_2)
	v_cndmask_b32_e64 v24, v24, v42, s44
	v_cmp_class_f32_e64 s1, v26, 0x1f8
	s_delay_alu instid0(VALU_DEP_2) | instskip(NEXT) | instid1(VALU_DEP_1)
	v_cmp_neq_f32_e64 s0, v26, v24
	s_or_b32 s0, s0, s1
	s_delay_alu instid0(SALU_CYCLE_1)
	s_and_saveexec_b32 s1, s0
	s_cbranch_execz .LBB511_164
; %bb.163:
	v_sub_f32_e32 v25, v26, v24
	s_delay_alu instid0(VALU_DEP_1) | instskip(SKIP_1) | instid1(VALU_DEP_2)
	v_mul_f32_e32 v26, 0x3fb8aa3b, v25
	v_cmp_ngt_f32_e64 s0, 0xc2ce8ed0, v25
	v_fma_f32 v27, 0x3fb8aa3b, v25, -v26
	v_rndne_f32_e32 v28, v26
	s_delay_alu instid0(VALU_DEP_1) | instskip(NEXT) | instid1(VALU_DEP_1)
	v_dual_fmamk_f32 v27, v25, 0x32a5705f, v27 :: v_dual_sub_f32 v26, v26, v28
	v_add_f32_e32 v26, v26, v27
	v_cvt_i32_f32_e32 v27, v28
	s_delay_alu instid0(VALU_DEP_2) | instskip(SKIP_2) | instid1(VALU_DEP_1)
	v_exp_f32_e32 v26, v26
	s_waitcnt_depctr 0xfff
	v_ldexp_f32 v26, v26, v27
	v_cndmask_b32_e64 v26, 0, v26, s0
	v_cmp_nlt_f32_e64 s0, 0x42b17218, v25
	s_delay_alu instid0(VALU_DEP_1) | instskip(NEXT) | instid1(VALU_DEP_1)
	v_cndmask_b32_e64 v27, 0x7f800000, v26, s0
	v_add_f32_e32 v28, 1.0, v27
	v_cmp_gt_f32_e64 s23, 0x33800000, |v27|
	s_delay_alu instid0(VALU_DEP_2) | instskip(NEXT) | instid1(VALU_DEP_1)
	v_cvt_f64_f32_e32 v[25:26], v28
	v_frexp_exp_i32_f64_e32 v25, v[25:26]
	v_frexp_mant_f32_e32 v26, v28
	s_delay_alu instid0(VALU_DEP_1) | instskip(SKIP_1) | instid1(VALU_DEP_1)
	v_cmp_gt_f32_e64 s0, 0x3f2aaaab, v26
	v_add_f32_e32 v26, -1.0, v28
	v_sub_f32_e32 v30, v26, v28
	v_sub_f32_e32 v26, v27, v26
	s_delay_alu instid0(VALU_DEP_4) | instskip(SKIP_1) | instid1(VALU_DEP_1)
	v_subrev_co_ci_u32_e64 v25, s0, 0, v25, s0
	s_mov_b32 s0, 0x3e9b6dac
	v_sub_nc_u32_e32 v29, 0, v25
	v_cvt_f32_i32_e32 v25, v25
	s_delay_alu instid0(VALU_DEP_2) | instskip(NEXT) | instid1(VALU_DEP_1)
	v_ldexp_f32 v28, v28, v29
	v_dual_add_f32 v31, 1.0, v28 :: v_dual_add_f32 v30, 1.0, v30
	s_delay_alu instid0(VALU_DEP_1) | instskip(NEXT) | instid1(VALU_DEP_2)
	v_add_f32_e32 v26, v26, v30
	v_add_f32_e32 v30, -1.0, v31
	s_delay_alu instid0(VALU_DEP_2) | instskip(NEXT) | instid1(VALU_DEP_2)
	v_ldexp_f32 v26, v26, v29
	v_dual_add_f32 v29, -1.0, v28 :: v_dual_sub_f32 v30, v28, v30
	s_delay_alu instid0(VALU_DEP_1) | instskip(NEXT) | instid1(VALU_DEP_2)
	v_add_f32_e32 v32, 1.0, v29
	v_add_f32_e32 v30, v26, v30
	s_delay_alu instid0(VALU_DEP_2) | instskip(NEXT) | instid1(VALU_DEP_2)
	v_sub_f32_e32 v28, v28, v32
	v_add_f32_e32 v32, v31, v30
	s_delay_alu instid0(VALU_DEP_2) | instskip(NEXT) | instid1(VALU_DEP_2)
	v_add_f32_e32 v26, v26, v28
	v_rcp_f32_e32 v28, v32
	v_sub_f32_e32 v31, v31, v32
	s_delay_alu instid0(VALU_DEP_1) | instskip(NEXT) | instid1(VALU_DEP_1)
	v_dual_add_f32 v33, v29, v26 :: v_dual_add_f32 v30, v30, v31
	v_sub_f32_e32 v29, v29, v33
	s_waitcnt_depctr 0xfff
	v_mul_f32_e32 v34, v33, v28
	s_delay_alu instid0(VALU_DEP_1) | instskip(NEXT) | instid1(VALU_DEP_1)
	v_dual_add_f32 v26, v26, v29 :: v_dual_mul_f32 v35, v32, v34
	v_fma_f32 v31, v34, v32, -v35
	s_delay_alu instid0(VALU_DEP_1) | instskip(NEXT) | instid1(VALU_DEP_1)
	v_fmac_f32_e32 v31, v34, v30
	v_add_f32_e32 v36, v35, v31
	s_delay_alu instid0(VALU_DEP_1) | instskip(SKIP_1) | instid1(VALU_DEP_2)
	v_sub_f32_e32 v37, v33, v36
	v_sub_f32_e32 v29, v36, v35
	;; [unrolled: 1-line block ×3, first 2 shown]
	s_delay_alu instid0(VALU_DEP_2) | instskip(NEXT) | instid1(VALU_DEP_2)
	v_sub_f32_e32 v29, v29, v31
	v_sub_f32_e32 v33, v33, v36
	s_delay_alu instid0(VALU_DEP_1) | instskip(NEXT) | instid1(VALU_DEP_1)
	v_add_f32_e32 v26, v26, v33
	v_add_f32_e32 v26, v29, v26
	s_delay_alu instid0(VALU_DEP_1) | instskip(NEXT) | instid1(VALU_DEP_1)
	v_add_f32_e32 v29, v37, v26
	v_mul_f32_e32 v31, v28, v29
	s_delay_alu instid0(VALU_DEP_1) | instskip(NEXT) | instid1(VALU_DEP_1)
	v_dual_sub_f32 v36, v37, v29 :: v_dual_mul_f32 v33, v32, v31
	v_add_f32_e32 v26, v26, v36
	s_delay_alu instid0(VALU_DEP_2) | instskip(NEXT) | instid1(VALU_DEP_1)
	v_fma_f32 v32, v31, v32, -v33
	v_fmac_f32_e32 v32, v31, v30
	s_delay_alu instid0(VALU_DEP_1) | instskip(NEXT) | instid1(VALU_DEP_1)
	v_add_f32_e32 v30, v33, v32
	v_sub_f32_e32 v35, v29, v30
	v_sub_f32_e32 v33, v30, v33
	s_delay_alu instid0(VALU_DEP_2) | instskip(NEXT) | instid1(VALU_DEP_1)
	v_sub_f32_e32 v29, v29, v35
	v_sub_f32_e32 v29, v29, v30
	s_delay_alu instid0(VALU_DEP_3) | instskip(NEXT) | instid1(VALU_DEP_2)
	v_sub_f32_e32 v30, v33, v32
	v_add_f32_e32 v26, v26, v29
	v_add_f32_e32 v29, v34, v31
	s_delay_alu instid0(VALU_DEP_2) | instskip(NEXT) | instid1(VALU_DEP_2)
	v_add_f32_e32 v26, v30, v26
	v_sub_f32_e32 v30, v29, v34
	s_delay_alu instid0(VALU_DEP_2) | instskip(NEXT) | instid1(VALU_DEP_2)
	v_add_f32_e32 v26, v35, v26
	v_sub_f32_e32 v30, v31, v30
	s_delay_alu instid0(VALU_DEP_2) | instskip(NEXT) | instid1(VALU_DEP_1)
	v_mul_f32_e32 v26, v28, v26
	v_add_f32_e32 v26, v30, v26
	s_delay_alu instid0(VALU_DEP_1) | instskip(NEXT) | instid1(VALU_DEP_1)
	v_add_f32_e32 v28, v29, v26
	v_mul_f32_e32 v30, v28, v28
	s_delay_alu instid0(VALU_DEP_1) | instskip(SKIP_2) | instid1(VALU_DEP_3)
	v_fmaak_f32 v31, s0, v30, 0x3ecc95a3
	v_mul_f32_e32 v32, v28, v30
	v_cmp_eq_f32_e64 s0, 0x7f800000, v27
	v_fmaak_f32 v30, v30, v31, 0x3f2aaada
	v_ldexp_f32 v31, v28, 1
	v_sub_f32_e32 v28, v28, v29
	s_delay_alu instid0(VALU_DEP_4) | instskip(NEXT) | instid1(VALU_DEP_3)
	s_or_b32 s0, s0, s23
	v_mul_f32_e32 v30, v32, v30
	v_mul_f32_e32 v32, 0x3f317218, v25
	s_delay_alu instid0(VALU_DEP_2) | instskip(NEXT) | instid1(VALU_DEP_1)
	v_dual_sub_f32 v26, v26, v28 :: v_dual_add_f32 v29, v31, v30
	v_ldexp_f32 v26, v26, 1
	s_delay_alu instid0(VALU_DEP_2) | instskip(NEXT) | instid1(VALU_DEP_4)
	v_sub_f32_e32 v28, v29, v31
	v_fma_f32 v31, 0x3f317218, v25, -v32
	s_delay_alu instid0(VALU_DEP_1) | instskip(NEXT) | instid1(VALU_DEP_1)
	v_dual_sub_f32 v28, v30, v28 :: v_dual_fmamk_f32 v25, v25, 0xb102e308, v31
	v_add_f32_e32 v26, v26, v28
	s_delay_alu instid0(VALU_DEP_2) | instskip(NEXT) | instid1(VALU_DEP_2)
	v_add_f32_e32 v28, v32, v25
	v_add_f32_e32 v30, v29, v26
	s_delay_alu instid0(VALU_DEP_2) | instskip(NEXT) | instid1(VALU_DEP_2)
	v_sub_f32_e32 v32, v28, v32
	v_add_f32_e32 v31, v28, v30
	v_sub_f32_e32 v29, v30, v29
	s_delay_alu instid0(VALU_DEP_3) | instskip(NEXT) | instid1(VALU_DEP_2)
	v_sub_f32_e32 v25, v25, v32
	v_dual_sub_f32 v33, v31, v28 :: v_dual_sub_f32 v26, v26, v29
	s_delay_alu instid0(VALU_DEP_1) | instskip(NEXT) | instid1(VALU_DEP_2)
	v_sub_f32_e32 v34, v31, v33
	v_dual_sub_f32 v29, v30, v33 :: v_dual_add_f32 v30, v25, v26
	s_delay_alu instid0(VALU_DEP_2) | instskip(NEXT) | instid1(VALU_DEP_1)
	v_sub_f32_e32 v28, v28, v34
	v_dual_add_f32 v28, v29, v28 :: v_dual_sub_f32 v29, v30, v25
	s_delay_alu instid0(VALU_DEP_1) | instskip(NEXT) | instid1(VALU_DEP_2)
	v_add_f32_e32 v28, v30, v28
	v_sub_f32_e32 v30, v30, v29
	v_sub_f32_e32 v26, v26, v29
	s_delay_alu instid0(VALU_DEP_2) | instskip(NEXT) | instid1(VALU_DEP_1)
	v_dual_add_f32 v32, v31, v28 :: v_dual_sub_f32 v25, v25, v30
	v_sub_f32_e32 v29, v32, v31
	s_delay_alu instid0(VALU_DEP_2) | instskip(NEXT) | instid1(VALU_DEP_2)
	v_add_f32_e32 v25, v26, v25
	v_sub_f32_e32 v26, v28, v29
	s_delay_alu instid0(VALU_DEP_1) | instskip(NEXT) | instid1(VALU_DEP_1)
	v_add_f32_e32 v25, v25, v26
	v_add_f32_e32 v25, v32, v25
	s_delay_alu instid0(VALU_DEP_1) | instskip(NEXT) | instid1(VALU_DEP_1)
	v_cndmask_b32_e64 v25, v25, v27, s0
	v_add_f32_e32 v25, v24, v25
.LBB511_164:
	s_or_b32 exec_lo, exec_lo, s1
	s_delay_alu instid0(VALU_DEP_1)
	v_bfe_u32 v24, v25, 16, 1
	v_perm_b32 v2, v13, v2, 0x5040100
	v_cmp_o_f32_e64 s0, v25, v25
	v_add_nc_u32_e32 v26, v12, v50
	v_perm_b32 v3, v3, v14, 0x5040100
	v_add3_u32 v24, v25, v24, 0x7fff
	v_perm_b32 v11, v11, v16, 0x5040100
	v_perm_b32 v10, v10, v15, 0x5040100
	;; [unrolled: 1-line block ×4, first 2 shown]
	v_lshrrev_b32_e32 v13, 16, v24
	v_perm_b32 v7, v7, v20, 0x5040100
	v_perm_b32 v6, v6, v19, 0x5040100
	v_perm_b32 v5, v5, v22, 0x5040100
	v_perm_b32 v4, v4, v21, 0x5040100
	v_cndmask_b32_e64 v13, 0x7fc0, v13, s0
	s_waitcnt lgkmcnt(0)
	s_barrier
	buffer_gl0_inv
	v_lshlrev_b64 v[0:1], 1, v[0:1]
	v_perm_b32 v13, v13, v23, 0x5040100
	ds_store_2addr_b32 v26, v2, v3 offset1:1
	ds_store_2addr_b32 v26, v10, v11 offset0:2 offset1:3
	ds_store_2addr_b32 v26, v8, v9 offset0:4 offset1:5
	;; [unrolled: 1-line block ×4, first 2 shown]
	ds_store_b32 v26, v13 offset:40
	s_waitcnt lgkmcnt(0)
	s_barrier
	buffer_gl0_inv
	ds_load_u16 v23, v12 offset:128
	ds_load_u16 v22, v12 offset:256
	;; [unrolled: 1-line block ×21, first 2 shown]
	v_add_co_u32 v0, s0, s46, v0
	s_delay_alu instid0(VALU_DEP_1)
	v_add_co_ci_u32_e64 v1, s0, s47, v1, s0
	s_and_saveexec_b32 s0, vcc_lo
	s_cbranch_execnz .LBB511_187
; %bb.165:
	s_or_b32 exec_lo, exec_lo, s0
	s_and_saveexec_b32 s0, s2
	s_cbranch_execnz .LBB511_188
.LBB511_166:
	s_or_b32 exec_lo, exec_lo, s0
	s_and_saveexec_b32 s0, s3
	s_cbranch_execnz .LBB511_189
.LBB511_167:
	s_or_b32 exec_lo, exec_lo, s0
	s_and_saveexec_b32 s0, s4
	s_cbranch_execnz .LBB511_190
.LBB511_168:
	s_or_b32 exec_lo, exec_lo, s0
	s_and_saveexec_b32 s0, s5
	s_cbranch_execnz .LBB511_191
.LBB511_169:
	s_or_b32 exec_lo, exec_lo, s0
	s_and_saveexec_b32 s0, s6
	s_cbranch_execnz .LBB511_192
.LBB511_170:
	s_or_b32 exec_lo, exec_lo, s0
	s_and_saveexec_b32 s0, s7
	s_cbranch_execnz .LBB511_193
.LBB511_171:
	s_or_b32 exec_lo, exec_lo, s0
	s_and_saveexec_b32 s0, s8
	s_cbranch_execnz .LBB511_194
.LBB511_172:
	s_or_b32 exec_lo, exec_lo, s0
	s_and_saveexec_b32 s0, s9
	s_cbranch_execnz .LBB511_195
.LBB511_173:
	s_or_b32 exec_lo, exec_lo, s0
	s_and_saveexec_b32 s0, s10
	s_cbranch_execnz .LBB511_196
.LBB511_174:
	s_or_b32 exec_lo, exec_lo, s0
	s_and_saveexec_b32 s0, s11
	s_cbranch_execnz .LBB511_197
.LBB511_175:
	s_or_b32 exec_lo, exec_lo, s0
	s_and_saveexec_b32 s0, s12
	s_cbranch_execnz .LBB511_198
.LBB511_176:
	s_or_b32 exec_lo, exec_lo, s0
	s_and_saveexec_b32 s0, s13
	s_cbranch_execnz .LBB511_199
.LBB511_177:
	s_or_b32 exec_lo, exec_lo, s0
	s_and_saveexec_b32 s0, s14
	s_cbranch_execnz .LBB511_200
.LBB511_178:
	s_or_b32 exec_lo, exec_lo, s0
	s_and_saveexec_b32 s0, s15
	s_cbranch_execnz .LBB511_201
.LBB511_179:
	s_or_b32 exec_lo, exec_lo, s0
	s_and_saveexec_b32 s0, s16
	s_cbranch_execnz .LBB511_202
.LBB511_180:
	s_or_b32 exec_lo, exec_lo, s0
	s_and_saveexec_b32 s0, s17
	s_cbranch_execnz .LBB511_203
.LBB511_181:
	s_or_b32 exec_lo, exec_lo, s0
	s_and_saveexec_b32 s0, s18
	s_cbranch_execnz .LBB511_204
.LBB511_182:
	s_or_b32 exec_lo, exec_lo, s0
	s_and_saveexec_b32 s0, s19
	s_cbranch_execnz .LBB511_205
.LBB511_183:
	s_or_b32 exec_lo, exec_lo, s0
	s_and_saveexec_b32 s0, s20
	s_cbranch_execnz .LBB511_206
.LBB511_184:
	s_or_b32 exec_lo, exec_lo, s0
	s_and_saveexec_b32 s0, s21
	s_cbranch_execnz .LBB511_207
.LBB511_185:
	s_or_b32 exec_lo, exec_lo, s0
	s_and_saveexec_b32 s0, s22
	s_cbranch_execnz .LBB511_208
.LBB511_186:
	s_nop 0
	s_sendmsg sendmsg(MSG_DEALLOC_VGPRS)
	s_endpgm
.LBB511_187:
	ds_load_u16 v12, v12
	s_waitcnt lgkmcnt(0)
	global_store_b16 v[0:1], v12, off
	s_or_b32 exec_lo, exec_lo, s0
	s_and_saveexec_b32 s0, s2
	s_cbranch_execz .LBB511_166
.LBB511_188:
	s_waitcnt lgkmcnt(20)
	global_store_b16 v[0:1], v23, off offset:128
	s_or_b32 exec_lo, exec_lo, s0
	s_and_saveexec_b32 s0, s3
	s_cbranch_execz .LBB511_167
.LBB511_189:
	s_waitcnt lgkmcnt(19)
	global_store_b16 v[0:1], v22, off offset:256
	s_or_b32 exec_lo, exec_lo, s0
	s_and_saveexec_b32 s0, s4
	s_cbranch_execz .LBB511_168
.LBB511_190:
	s_waitcnt lgkmcnt(18)
	global_store_b16 v[0:1], v21, off offset:384
	s_or_b32 exec_lo, exec_lo, s0
	s_and_saveexec_b32 s0, s5
	s_cbranch_execz .LBB511_169
.LBB511_191:
	s_waitcnt lgkmcnt(17)
	global_store_b16 v[0:1], v20, off offset:512
	s_or_b32 exec_lo, exec_lo, s0
	s_and_saveexec_b32 s0, s6
	s_cbranch_execz .LBB511_170
.LBB511_192:
	s_waitcnt lgkmcnt(16)
	global_store_b16 v[0:1], v19, off offset:640
	s_or_b32 exec_lo, exec_lo, s0
	s_and_saveexec_b32 s0, s7
	s_cbranch_execz .LBB511_171
.LBB511_193:
	s_waitcnt lgkmcnt(15)
	global_store_b16 v[0:1], v18, off offset:768
	s_or_b32 exec_lo, exec_lo, s0
	s_and_saveexec_b32 s0, s8
	s_cbranch_execz .LBB511_172
.LBB511_194:
	s_waitcnt lgkmcnt(14)
	global_store_b16 v[0:1], v17, off offset:896
	s_or_b32 exec_lo, exec_lo, s0
	s_and_saveexec_b32 s0, s9
	s_cbranch_execz .LBB511_173
.LBB511_195:
	s_waitcnt lgkmcnt(13)
	global_store_b16 v[0:1], v16, off offset:1024
	s_or_b32 exec_lo, exec_lo, s0
	s_and_saveexec_b32 s0, s10
	s_cbranch_execz .LBB511_174
.LBB511_196:
	s_waitcnt lgkmcnt(12)
	global_store_b16 v[0:1], v15, off offset:1152
	s_or_b32 exec_lo, exec_lo, s0
	s_and_saveexec_b32 s0, s11
	s_cbranch_execz .LBB511_175
.LBB511_197:
	s_waitcnt lgkmcnt(11)
	global_store_b16 v[0:1], v14, off offset:1280
	s_or_b32 exec_lo, exec_lo, s0
	s_and_saveexec_b32 s0, s12
	s_cbranch_execz .LBB511_176
.LBB511_198:
	s_waitcnt lgkmcnt(10)
	global_store_b16 v[0:1], v13, off offset:1408
	s_or_b32 exec_lo, exec_lo, s0
	s_and_saveexec_b32 s0, s13
	s_cbranch_execz .LBB511_177
.LBB511_199:
	s_waitcnt lgkmcnt(9)
	global_store_b16 v[0:1], v11, off offset:1536
	s_or_b32 exec_lo, exec_lo, s0
	s_and_saveexec_b32 s0, s14
	s_cbranch_execz .LBB511_178
.LBB511_200:
	s_waitcnt lgkmcnt(8)
	global_store_b16 v[0:1], v10, off offset:1664
	s_or_b32 exec_lo, exec_lo, s0
	s_and_saveexec_b32 s0, s15
	s_cbranch_execz .LBB511_179
.LBB511_201:
	s_waitcnt lgkmcnt(7)
	global_store_b16 v[0:1], v9, off offset:1792
	s_or_b32 exec_lo, exec_lo, s0
	s_and_saveexec_b32 s0, s16
	s_cbranch_execz .LBB511_180
.LBB511_202:
	s_waitcnt lgkmcnt(6)
	global_store_b16 v[0:1], v8, off offset:1920
	s_or_b32 exec_lo, exec_lo, s0
	s_and_saveexec_b32 s0, s17
	s_cbranch_execz .LBB511_181
.LBB511_203:
	s_waitcnt lgkmcnt(5)
	global_store_b16 v[0:1], v7, off offset:2048
	s_or_b32 exec_lo, exec_lo, s0
	s_and_saveexec_b32 s0, s18
	s_cbranch_execz .LBB511_182
.LBB511_204:
	s_waitcnt lgkmcnt(4)
	global_store_b16 v[0:1], v6, off offset:2176
	s_or_b32 exec_lo, exec_lo, s0
	s_and_saveexec_b32 s0, s19
	s_cbranch_execz .LBB511_183
.LBB511_205:
	s_waitcnt lgkmcnt(3)
	global_store_b16 v[0:1], v5, off offset:2304
	s_or_b32 exec_lo, exec_lo, s0
	s_and_saveexec_b32 s0, s20
	s_cbranch_execz .LBB511_184
.LBB511_206:
	s_waitcnt lgkmcnt(2)
	global_store_b16 v[0:1], v4, off offset:2432
	s_or_b32 exec_lo, exec_lo, s0
	s_and_saveexec_b32 s0, s21
	s_cbranch_execz .LBB511_185
.LBB511_207:
	s_waitcnt lgkmcnt(1)
	global_store_b16 v[0:1], v3, off offset:2560
	s_or_b32 exec_lo, exec_lo, s0
	s_and_saveexec_b32 s0, s22
	s_cbranch_execz .LBB511_186
.LBB511_208:
	s_waitcnt lgkmcnt(0)
	global_store_b16 v[0:1], v2, off offset:2688
	s_nop 0
	s_sendmsg sendmsg(MSG_DEALLOC_VGPRS)
	s_endpgm
	.section	.rodata,"a",@progbits
	.p2align	6, 0x0
	.amdhsa_kernel _ZN7rocprim17ROCPRIM_400000_NS6detail17trampoline_kernelINS0_14default_configENS1_20scan_config_selectorIN3c108BFloat16EEEZZNS1_9scan_implILNS1_25lookback_scan_determinismE0ELb0ELb0ES3_PKS6_PS6_S6_ZZZN2at6native31launch_logcumsumexp_cuda_kernelERKNSD_10TensorBaseESH_lENKUlvE_clEvENKUlvE4_clEvEUlS6_S6_E_S6_EEDaPvRmT3_T4_T5_mT6_P12ihipStream_tbENKUlT_T0_E_clISt17integral_constantIbLb1EESX_IbLb0EEEEDaST_SU_EUlST_E0_NS1_11comp_targetILNS1_3genE9ELNS1_11target_archE1100ELNS1_3gpuE3ELNS1_3repE0EEENS1_30default_config_static_selectorELNS0_4arch9wavefront6targetE0EEEvT1_
		.amdhsa_group_segment_fixed_size 2816
		.amdhsa_private_segment_fixed_size 0
		.amdhsa_kernarg_size 32
		.amdhsa_user_sgpr_count 15
		.amdhsa_user_sgpr_dispatch_ptr 0
		.amdhsa_user_sgpr_queue_ptr 0
		.amdhsa_user_sgpr_kernarg_segment_ptr 1
		.amdhsa_user_sgpr_dispatch_id 0
		.amdhsa_user_sgpr_private_segment_size 0
		.amdhsa_wavefront_size32 1
		.amdhsa_uses_dynamic_stack 0
		.amdhsa_enable_private_segment 0
		.amdhsa_system_sgpr_workgroup_id_x 1
		.amdhsa_system_sgpr_workgroup_id_y 0
		.amdhsa_system_sgpr_workgroup_id_z 0
		.amdhsa_system_sgpr_workgroup_info 0
		.amdhsa_system_vgpr_workitem_id 0
		.amdhsa_next_free_vgpr 70
		.amdhsa_next_free_sgpr 52
		.amdhsa_reserve_vcc 1
		.amdhsa_float_round_mode_32 0
		.amdhsa_float_round_mode_16_64 0
		.amdhsa_float_denorm_mode_32 3
		.amdhsa_float_denorm_mode_16_64 3
		.amdhsa_dx10_clamp 1
		.amdhsa_ieee_mode 1
		.amdhsa_fp16_overflow 0
		.amdhsa_workgroup_processor_mode 1
		.amdhsa_memory_ordered 1
		.amdhsa_forward_progress 0
		.amdhsa_shared_vgpr_count 0
		.amdhsa_exception_fp_ieee_invalid_op 0
		.amdhsa_exception_fp_denorm_src 0
		.amdhsa_exception_fp_ieee_div_zero 0
		.amdhsa_exception_fp_ieee_overflow 0
		.amdhsa_exception_fp_ieee_underflow 0
		.amdhsa_exception_fp_ieee_inexact 0
		.amdhsa_exception_int_div_zero 0
	.end_amdhsa_kernel
	.section	.text._ZN7rocprim17ROCPRIM_400000_NS6detail17trampoline_kernelINS0_14default_configENS1_20scan_config_selectorIN3c108BFloat16EEEZZNS1_9scan_implILNS1_25lookback_scan_determinismE0ELb0ELb0ES3_PKS6_PS6_S6_ZZZN2at6native31launch_logcumsumexp_cuda_kernelERKNSD_10TensorBaseESH_lENKUlvE_clEvENKUlvE4_clEvEUlS6_S6_E_S6_EEDaPvRmT3_T4_T5_mT6_P12ihipStream_tbENKUlT_T0_E_clISt17integral_constantIbLb1EESX_IbLb0EEEEDaST_SU_EUlST_E0_NS1_11comp_targetILNS1_3genE9ELNS1_11target_archE1100ELNS1_3gpuE3ELNS1_3repE0EEENS1_30default_config_static_selectorELNS0_4arch9wavefront6targetE0EEEvT1_,"axG",@progbits,_ZN7rocprim17ROCPRIM_400000_NS6detail17trampoline_kernelINS0_14default_configENS1_20scan_config_selectorIN3c108BFloat16EEEZZNS1_9scan_implILNS1_25lookback_scan_determinismE0ELb0ELb0ES3_PKS6_PS6_S6_ZZZN2at6native31launch_logcumsumexp_cuda_kernelERKNSD_10TensorBaseESH_lENKUlvE_clEvENKUlvE4_clEvEUlS6_S6_E_S6_EEDaPvRmT3_T4_T5_mT6_P12ihipStream_tbENKUlT_T0_E_clISt17integral_constantIbLb1EESX_IbLb0EEEEDaST_SU_EUlST_E0_NS1_11comp_targetILNS1_3genE9ELNS1_11target_archE1100ELNS1_3gpuE3ELNS1_3repE0EEENS1_30default_config_static_selectorELNS0_4arch9wavefront6targetE0EEEvT1_,comdat
.Lfunc_end511:
	.size	_ZN7rocprim17ROCPRIM_400000_NS6detail17trampoline_kernelINS0_14default_configENS1_20scan_config_selectorIN3c108BFloat16EEEZZNS1_9scan_implILNS1_25lookback_scan_determinismE0ELb0ELb0ES3_PKS6_PS6_S6_ZZZN2at6native31launch_logcumsumexp_cuda_kernelERKNSD_10TensorBaseESH_lENKUlvE_clEvENKUlvE4_clEvEUlS6_S6_E_S6_EEDaPvRmT3_T4_T5_mT6_P12ihipStream_tbENKUlT_T0_E_clISt17integral_constantIbLb1EESX_IbLb0EEEEDaST_SU_EUlST_E0_NS1_11comp_targetILNS1_3genE9ELNS1_11target_archE1100ELNS1_3gpuE3ELNS1_3repE0EEENS1_30default_config_static_selectorELNS0_4arch9wavefront6targetE0EEEvT1_, .Lfunc_end511-_ZN7rocprim17ROCPRIM_400000_NS6detail17trampoline_kernelINS0_14default_configENS1_20scan_config_selectorIN3c108BFloat16EEEZZNS1_9scan_implILNS1_25lookback_scan_determinismE0ELb0ELb0ES3_PKS6_PS6_S6_ZZZN2at6native31launch_logcumsumexp_cuda_kernelERKNSD_10TensorBaseESH_lENKUlvE_clEvENKUlvE4_clEvEUlS6_S6_E_S6_EEDaPvRmT3_T4_T5_mT6_P12ihipStream_tbENKUlT_T0_E_clISt17integral_constantIbLb1EESX_IbLb0EEEEDaST_SU_EUlST_E0_NS1_11comp_targetILNS1_3genE9ELNS1_11target_archE1100ELNS1_3gpuE3ELNS1_3repE0EEENS1_30default_config_static_selectorELNS0_4arch9wavefront6targetE0EEEvT1_
                                        ; -- End function
	.section	.AMDGPU.csdata,"",@progbits
; Kernel info:
; codeLenInByte = 53412
; NumSgprs: 54
; NumVgprs: 70
; ScratchSize: 0
; MemoryBound: 0
; FloatMode: 240
; IeeeMode: 1
; LDSByteSize: 2816 bytes/workgroup (compile time only)
; SGPRBlocks: 6
; VGPRBlocks: 8
; NumSGPRsForWavesPerEU: 54
; NumVGPRsForWavesPerEU: 70
; Occupancy: 16
; WaveLimiterHint : 0
; COMPUTE_PGM_RSRC2:SCRATCH_EN: 0
; COMPUTE_PGM_RSRC2:USER_SGPR: 15
; COMPUTE_PGM_RSRC2:TRAP_HANDLER: 0
; COMPUTE_PGM_RSRC2:TGID_X_EN: 1
; COMPUTE_PGM_RSRC2:TGID_Y_EN: 0
; COMPUTE_PGM_RSRC2:TGID_Z_EN: 0
; COMPUTE_PGM_RSRC2:TIDIG_COMP_CNT: 0
	.section	.text._ZN7rocprim17ROCPRIM_400000_NS6detail17trampoline_kernelINS0_14default_configENS1_20scan_config_selectorIN3c108BFloat16EEEZZNS1_9scan_implILNS1_25lookback_scan_determinismE0ELb0ELb0ES3_PKS6_PS6_S6_ZZZN2at6native31launch_logcumsumexp_cuda_kernelERKNSD_10TensorBaseESH_lENKUlvE_clEvENKUlvE4_clEvEUlS6_S6_E_S6_EEDaPvRmT3_T4_T5_mT6_P12ihipStream_tbENKUlT_T0_E_clISt17integral_constantIbLb1EESX_IbLb0EEEEDaST_SU_EUlST_E0_NS1_11comp_targetILNS1_3genE8ELNS1_11target_archE1030ELNS1_3gpuE2ELNS1_3repE0EEENS1_30default_config_static_selectorELNS0_4arch9wavefront6targetE0EEEvT1_,"axG",@progbits,_ZN7rocprim17ROCPRIM_400000_NS6detail17trampoline_kernelINS0_14default_configENS1_20scan_config_selectorIN3c108BFloat16EEEZZNS1_9scan_implILNS1_25lookback_scan_determinismE0ELb0ELb0ES3_PKS6_PS6_S6_ZZZN2at6native31launch_logcumsumexp_cuda_kernelERKNSD_10TensorBaseESH_lENKUlvE_clEvENKUlvE4_clEvEUlS6_S6_E_S6_EEDaPvRmT3_T4_T5_mT6_P12ihipStream_tbENKUlT_T0_E_clISt17integral_constantIbLb1EESX_IbLb0EEEEDaST_SU_EUlST_E0_NS1_11comp_targetILNS1_3genE8ELNS1_11target_archE1030ELNS1_3gpuE2ELNS1_3repE0EEENS1_30default_config_static_selectorELNS0_4arch9wavefront6targetE0EEEvT1_,comdat
	.globl	_ZN7rocprim17ROCPRIM_400000_NS6detail17trampoline_kernelINS0_14default_configENS1_20scan_config_selectorIN3c108BFloat16EEEZZNS1_9scan_implILNS1_25lookback_scan_determinismE0ELb0ELb0ES3_PKS6_PS6_S6_ZZZN2at6native31launch_logcumsumexp_cuda_kernelERKNSD_10TensorBaseESH_lENKUlvE_clEvENKUlvE4_clEvEUlS6_S6_E_S6_EEDaPvRmT3_T4_T5_mT6_P12ihipStream_tbENKUlT_T0_E_clISt17integral_constantIbLb1EESX_IbLb0EEEEDaST_SU_EUlST_E0_NS1_11comp_targetILNS1_3genE8ELNS1_11target_archE1030ELNS1_3gpuE2ELNS1_3repE0EEENS1_30default_config_static_selectorELNS0_4arch9wavefront6targetE0EEEvT1_ ; -- Begin function _ZN7rocprim17ROCPRIM_400000_NS6detail17trampoline_kernelINS0_14default_configENS1_20scan_config_selectorIN3c108BFloat16EEEZZNS1_9scan_implILNS1_25lookback_scan_determinismE0ELb0ELb0ES3_PKS6_PS6_S6_ZZZN2at6native31launch_logcumsumexp_cuda_kernelERKNSD_10TensorBaseESH_lENKUlvE_clEvENKUlvE4_clEvEUlS6_S6_E_S6_EEDaPvRmT3_T4_T5_mT6_P12ihipStream_tbENKUlT_T0_E_clISt17integral_constantIbLb1EESX_IbLb0EEEEDaST_SU_EUlST_E0_NS1_11comp_targetILNS1_3genE8ELNS1_11target_archE1030ELNS1_3gpuE2ELNS1_3repE0EEENS1_30default_config_static_selectorELNS0_4arch9wavefront6targetE0EEEvT1_
	.p2align	8
	.type	_ZN7rocprim17ROCPRIM_400000_NS6detail17trampoline_kernelINS0_14default_configENS1_20scan_config_selectorIN3c108BFloat16EEEZZNS1_9scan_implILNS1_25lookback_scan_determinismE0ELb0ELb0ES3_PKS6_PS6_S6_ZZZN2at6native31launch_logcumsumexp_cuda_kernelERKNSD_10TensorBaseESH_lENKUlvE_clEvENKUlvE4_clEvEUlS6_S6_E_S6_EEDaPvRmT3_T4_T5_mT6_P12ihipStream_tbENKUlT_T0_E_clISt17integral_constantIbLb1EESX_IbLb0EEEEDaST_SU_EUlST_E0_NS1_11comp_targetILNS1_3genE8ELNS1_11target_archE1030ELNS1_3gpuE2ELNS1_3repE0EEENS1_30default_config_static_selectorELNS0_4arch9wavefront6targetE0EEEvT1_,@function
_ZN7rocprim17ROCPRIM_400000_NS6detail17trampoline_kernelINS0_14default_configENS1_20scan_config_selectorIN3c108BFloat16EEEZZNS1_9scan_implILNS1_25lookback_scan_determinismE0ELb0ELb0ES3_PKS6_PS6_S6_ZZZN2at6native31launch_logcumsumexp_cuda_kernelERKNSD_10TensorBaseESH_lENKUlvE_clEvENKUlvE4_clEvEUlS6_S6_E_S6_EEDaPvRmT3_T4_T5_mT6_P12ihipStream_tbENKUlT_T0_E_clISt17integral_constantIbLb1EESX_IbLb0EEEEDaST_SU_EUlST_E0_NS1_11comp_targetILNS1_3genE8ELNS1_11target_archE1030ELNS1_3gpuE2ELNS1_3repE0EEENS1_30default_config_static_selectorELNS0_4arch9wavefront6targetE0EEEvT1_: ; @_ZN7rocprim17ROCPRIM_400000_NS6detail17trampoline_kernelINS0_14default_configENS1_20scan_config_selectorIN3c108BFloat16EEEZZNS1_9scan_implILNS1_25lookback_scan_determinismE0ELb0ELb0ES3_PKS6_PS6_S6_ZZZN2at6native31launch_logcumsumexp_cuda_kernelERKNSD_10TensorBaseESH_lENKUlvE_clEvENKUlvE4_clEvEUlS6_S6_E_S6_EEDaPvRmT3_T4_T5_mT6_P12ihipStream_tbENKUlT_T0_E_clISt17integral_constantIbLb1EESX_IbLb0EEEEDaST_SU_EUlST_E0_NS1_11comp_targetILNS1_3genE8ELNS1_11target_archE1030ELNS1_3gpuE2ELNS1_3repE0EEENS1_30default_config_static_selectorELNS0_4arch9wavefront6targetE0EEEvT1_
; %bb.0:
	.section	.rodata,"a",@progbits
	.p2align	6, 0x0
	.amdhsa_kernel _ZN7rocprim17ROCPRIM_400000_NS6detail17trampoline_kernelINS0_14default_configENS1_20scan_config_selectorIN3c108BFloat16EEEZZNS1_9scan_implILNS1_25lookback_scan_determinismE0ELb0ELb0ES3_PKS6_PS6_S6_ZZZN2at6native31launch_logcumsumexp_cuda_kernelERKNSD_10TensorBaseESH_lENKUlvE_clEvENKUlvE4_clEvEUlS6_S6_E_S6_EEDaPvRmT3_T4_T5_mT6_P12ihipStream_tbENKUlT_T0_E_clISt17integral_constantIbLb1EESX_IbLb0EEEEDaST_SU_EUlST_E0_NS1_11comp_targetILNS1_3genE8ELNS1_11target_archE1030ELNS1_3gpuE2ELNS1_3repE0EEENS1_30default_config_static_selectorELNS0_4arch9wavefront6targetE0EEEvT1_
		.amdhsa_group_segment_fixed_size 0
		.amdhsa_private_segment_fixed_size 0
		.amdhsa_kernarg_size 32
		.amdhsa_user_sgpr_count 15
		.amdhsa_user_sgpr_dispatch_ptr 0
		.amdhsa_user_sgpr_queue_ptr 0
		.amdhsa_user_sgpr_kernarg_segment_ptr 1
		.amdhsa_user_sgpr_dispatch_id 0
		.amdhsa_user_sgpr_private_segment_size 0
		.amdhsa_wavefront_size32 1
		.amdhsa_uses_dynamic_stack 0
		.amdhsa_enable_private_segment 0
		.amdhsa_system_sgpr_workgroup_id_x 1
		.amdhsa_system_sgpr_workgroup_id_y 0
		.amdhsa_system_sgpr_workgroup_id_z 0
		.amdhsa_system_sgpr_workgroup_info 0
		.amdhsa_system_vgpr_workitem_id 0
		.amdhsa_next_free_vgpr 1
		.amdhsa_next_free_sgpr 1
		.amdhsa_reserve_vcc 0
		.amdhsa_float_round_mode_32 0
		.amdhsa_float_round_mode_16_64 0
		.amdhsa_float_denorm_mode_32 3
		.amdhsa_float_denorm_mode_16_64 3
		.amdhsa_dx10_clamp 1
		.amdhsa_ieee_mode 1
		.amdhsa_fp16_overflow 0
		.amdhsa_workgroup_processor_mode 1
		.amdhsa_memory_ordered 1
		.amdhsa_forward_progress 0
		.amdhsa_shared_vgpr_count 0
		.amdhsa_exception_fp_ieee_invalid_op 0
		.amdhsa_exception_fp_denorm_src 0
		.amdhsa_exception_fp_ieee_div_zero 0
		.amdhsa_exception_fp_ieee_overflow 0
		.amdhsa_exception_fp_ieee_underflow 0
		.amdhsa_exception_fp_ieee_inexact 0
		.amdhsa_exception_int_div_zero 0
	.end_amdhsa_kernel
	.section	.text._ZN7rocprim17ROCPRIM_400000_NS6detail17trampoline_kernelINS0_14default_configENS1_20scan_config_selectorIN3c108BFloat16EEEZZNS1_9scan_implILNS1_25lookback_scan_determinismE0ELb0ELb0ES3_PKS6_PS6_S6_ZZZN2at6native31launch_logcumsumexp_cuda_kernelERKNSD_10TensorBaseESH_lENKUlvE_clEvENKUlvE4_clEvEUlS6_S6_E_S6_EEDaPvRmT3_T4_T5_mT6_P12ihipStream_tbENKUlT_T0_E_clISt17integral_constantIbLb1EESX_IbLb0EEEEDaST_SU_EUlST_E0_NS1_11comp_targetILNS1_3genE8ELNS1_11target_archE1030ELNS1_3gpuE2ELNS1_3repE0EEENS1_30default_config_static_selectorELNS0_4arch9wavefront6targetE0EEEvT1_,"axG",@progbits,_ZN7rocprim17ROCPRIM_400000_NS6detail17trampoline_kernelINS0_14default_configENS1_20scan_config_selectorIN3c108BFloat16EEEZZNS1_9scan_implILNS1_25lookback_scan_determinismE0ELb0ELb0ES3_PKS6_PS6_S6_ZZZN2at6native31launch_logcumsumexp_cuda_kernelERKNSD_10TensorBaseESH_lENKUlvE_clEvENKUlvE4_clEvEUlS6_S6_E_S6_EEDaPvRmT3_T4_T5_mT6_P12ihipStream_tbENKUlT_T0_E_clISt17integral_constantIbLb1EESX_IbLb0EEEEDaST_SU_EUlST_E0_NS1_11comp_targetILNS1_3genE8ELNS1_11target_archE1030ELNS1_3gpuE2ELNS1_3repE0EEENS1_30default_config_static_selectorELNS0_4arch9wavefront6targetE0EEEvT1_,comdat
.Lfunc_end512:
	.size	_ZN7rocprim17ROCPRIM_400000_NS6detail17trampoline_kernelINS0_14default_configENS1_20scan_config_selectorIN3c108BFloat16EEEZZNS1_9scan_implILNS1_25lookback_scan_determinismE0ELb0ELb0ES3_PKS6_PS6_S6_ZZZN2at6native31launch_logcumsumexp_cuda_kernelERKNSD_10TensorBaseESH_lENKUlvE_clEvENKUlvE4_clEvEUlS6_S6_E_S6_EEDaPvRmT3_T4_T5_mT6_P12ihipStream_tbENKUlT_T0_E_clISt17integral_constantIbLb1EESX_IbLb0EEEEDaST_SU_EUlST_E0_NS1_11comp_targetILNS1_3genE8ELNS1_11target_archE1030ELNS1_3gpuE2ELNS1_3repE0EEENS1_30default_config_static_selectorELNS0_4arch9wavefront6targetE0EEEvT1_, .Lfunc_end512-_ZN7rocprim17ROCPRIM_400000_NS6detail17trampoline_kernelINS0_14default_configENS1_20scan_config_selectorIN3c108BFloat16EEEZZNS1_9scan_implILNS1_25lookback_scan_determinismE0ELb0ELb0ES3_PKS6_PS6_S6_ZZZN2at6native31launch_logcumsumexp_cuda_kernelERKNSD_10TensorBaseESH_lENKUlvE_clEvENKUlvE4_clEvEUlS6_S6_E_S6_EEDaPvRmT3_T4_T5_mT6_P12ihipStream_tbENKUlT_T0_E_clISt17integral_constantIbLb1EESX_IbLb0EEEEDaST_SU_EUlST_E0_NS1_11comp_targetILNS1_3genE8ELNS1_11target_archE1030ELNS1_3gpuE2ELNS1_3repE0EEENS1_30default_config_static_selectorELNS0_4arch9wavefront6targetE0EEEvT1_
                                        ; -- End function
	.section	.AMDGPU.csdata,"",@progbits
; Kernel info:
; codeLenInByte = 0
; NumSgprs: 0
; NumVgprs: 0
; ScratchSize: 0
; MemoryBound: 0
; FloatMode: 240
; IeeeMode: 1
; LDSByteSize: 0 bytes/workgroup (compile time only)
; SGPRBlocks: 0
; VGPRBlocks: 0
; NumSGPRsForWavesPerEU: 1
; NumVGPRsForWavesPerEU: 1
; Occupancy: 16
; WaveLimiterHint : 0
; COMPUTE_PGM_RSRC2:SCRATCH_EN: 0
; COMPUTE_PGM_RSRC2:USER_SGPR: 15
; COMPUTE_PGM_RSRC2:TRAP_HANDLER: 0
; COMPUTE_PGM_RSRC2:TGID_X_EN: 1
; COMPUTE_PGM_RSRC2:TGID_Y_EN: 0
; COMPUTE_PGM_RSRC2:TGID_Z_EN: 0
; COMPUTE_PGM_RSRC2:TIDIG_COMP_CNT: 0
	.section	.text._ZN7rocprim17ROCPRIM_400000_NS6detail31init_lookback_scan_state_kernelINS1_19lookback_scan_stateIN3c108BFloat16ELb0ELb1EEENS1_16block_id_wrapperIjLb1EEEEEvT_jT0_jPNS9_10value_typeE,"axG",@progbits,_ZN7rocprim17ROCPRIM_400000_NS6detail31init_lookback_scan_state_kernelINS1_19lookback_scan_stateIN3c108BFloat16ELb0ELb1EEENS1_16block_id_wrapperIjLb1EEEEEvT_jT0_jPNS9_10value_typeE,comdat
	.protected	_ZN7rocprim17ROCPRIM_400000_NS6detail31init_lookback_scan_state_kernelINS1_19lookback_scan_stateIN3c108BFloat16ELb0ELb1EEENS1_16block_id_wrapperIjLb1EEEEEvT_jT0_jPNS9_10value_typeE ; -- Begin function _ZN7rocprim17ROCPRIM_400000_NS6detail31init_lookback_scan_state_kernelINS1_19lookback_scan_stateIN3c108BFloat16ELb0ELb1EEENS1_16block_id_wrapperIjLb1EEEEEvT_jT0_jPNS9_10value_typeE
	.globl	_ZN7rocprim17ROCPRIM_400000_NS6detail31init_lookback_scan_state_kernelINS1_19lookback_scan_stateIN3c108BFloat16ELb0ELb1EEENS1_16block_id_wrapperIjLb1EEEEEvT_jT0_jPNS9_10value_typeE
	.p2align	8
	.type	_ZN7rocprim17ROCPRIM_400000_NS6detail31init_lookback_scan_state_kernelINS1_19lookback_scan_stateIN3c108BFloat16ELb0ELb1EEENS1_16block_id_wrapperIjLb1EEEEEvT_jT0_jPNS9_10value_typeE,@function
_ZN7rocprim17ROCPRIM_400000_NS6detail31init_lookback_scan_state_kernelINS1_19lookback_scan_stateIN3c108BFloat16ELb0ELb1EEENS1_16block_id_wrapperIjLb1EEEEEvT_jT0_jPNS9_10value_typeE: ; @_ZN7rocprim17ROCPRIM_400000_NS6detail31init_lookback_scan_state_kernelINS1_19lookback_scan_stateIN3c108BFloat16ELb0ELb1EEENS1_16block_id_wrapperIjLb1EEEEEvT_jT0_jPNS9_10value_typeE
; %bb.0:
	s_clause 0x3
	s_load_b32 s6, s[0:1], 0x34
	s_load_b64 s[4:5], s[0:1], 0x20
	s_load_b64 s[2:3], s[0:1], 0x0
	s_load_b32 s8, s[0:1], 0x8
	s_waitcnt lgkmcnt(0)
	s_and_b32 s6, s6, 0xffff
	s_cmp_eq_u64 s[4:5], 0
	v_mad_u64_u32 v[1:2], null, s15, s6, v[0:1]
	s_cbranch_scc1 .LBB513_6
; %bb.1:
	s_load_b32 s6, s[0:1], 0x18
	s_waitcnt lgkmcnt(0)
	s_cmp_lt_u32 s6, s8
	s_cselect_b32 s7, s6, 0
	s_delay_alu instid0(VALU_DEP_1) | instid1(SALU_CYCLE_1)
	v_cmp_eq_u32_e32 vcc_lo, s7, v1
	s_mov_b32 s7, 0
	s_and_saveexec_b32 s9, vcc_lo
	s_cbranch_execz .LBB513_5
; %bb.2:
	s_add_i32 s6, s6, 32
	v_mov_b32_e32 v2, 0
	s_lshl_b64 s[6:7], s[6:7], 2
	s_delay_alu instid0(SALU_CYCLE_1) | instskip(SKIP_4) | instid1(VALU_DEP_1)
	s_add_u32 s6, s2, s6
	s_addc_u32 s7, s3, s7
	global_load_b32 v0, v2, s[6:7] glc
	s_waitcnt vmcnt(0)
	v_and_b32_e32 v3, 0xff0000, v0
	v_cmp_ne_u32_e32 vcc_lo, 0, v3
	s_cbranch_vccnz .LBB513_4
.LBB513_3:                              ; =>This Inner Loop Header: Depth=1
	global_load_b32 v0, v2, s[6:7] glc
	s_waitcnt vmcnt(0)
	v_and_b32_e32 v3, 0xff0000, v0
	s_delay_alu instid0(VALU_DEP_1)
	v_cmp_eq_u32_e32 vcc_lo, 0, v3
	s_cbranch_vccnz .LBB513_3
.LBB513_4:
	v_mov_b32_e32 v2, 0
	global_store_b16 v2, v0, s[4:5]
.LBB513_5:
	s_or_b32 exec_lo, exec_lo, s9
.LBB513_6:
	s_delay_alu instid0(SALU_CYCLE_1) | instskip(NEXT) | instid1(VALU_DEP_1)
	s_mov_b32 s4, exec_lo
	v_cmpx_eq_u32_e32 0, v1
	s_cbranch_execz .LBB513_8
; %bb.7:
	s_load_b64 s[0:1], s[0:1], 0x10
	v_mov_b32_e32 v0, 0
	s_waitcnt lgkmcnt(0)
	global_store_b32 v0, v0, s[0:1]
.LBB513_8:
	s_or_b32 exec_lo, exec_lo, s4
	s_delay_alu instid0(SALU_CYCLE_1)
	s_mov_b32 s0, exec_lo
	v_cmpx_gt_u32_e64 s8, v1
	s_cbranch_execz .LBB513_10
; %bb.9:
	v_dual_mov_b32 v3, 0 :: v_dual_add_nc_u32 v2, 32, v1
	s_delay_alu instid0(VALU_DEP_1) | instskip(NEXT) | instid1(VALU_DEP_1)
	v_lshlrev_b64 v[4:5], 2, v[2:3]
	v_add_co_u32 v4, vcc_lo, s2, v4
	s_delay_alu instid0(VALU_DEP_2)
	v_add_co_ci_u32_e32 v5, vcc_lo, s3, v5, vcc_lo
	global_store_b32 v[4:5], v3, off
.LBB513_10:
	s_or_b32 exec_lo, exec_lo, s0
	s_delay_alu instid0(SALU_CYCLE_1)
	s_mov_b32 s0, exec_lo
	v_cmpx_gt_u32_e32 32, v1
	s_cbranch_execz .LBB513_12
; %bb.11:
	v_mov_b32_e32 v2, 0
	s_delay_alu instid0(VALU_DEP_1) | instskip(SKIP_1) | instid1(VALU_DEP_2)
	v_lshlrev_b64 v[0:1], 2, v[1:2]
	v_mov_b32_e32 v2, 0xff0000
	v_add_co_u32 v0, vcc_lo, s2, v0
	s_delay_alu instid0(VALU_DEP_3)
	v_add_co_ci_u32_e32 v1, vcc_lo, s3, v1, vcc_lo
	global_store_b32 v[0:1], v2, off
.LBB513_12:
	s_nop 0
	s_sendmsg sendmsg(MSG_DEALLOC_VGPRS)
	s_endpgm
	.section	.rodata,"a",@progbits
	.p2align	6, 0x0
	.amdhsa_kernel _ZN7rocprim17ROCPRIM_400000_NS6detail31init_lookback_scan_state_kernelINS1_19lookback_scan_stateIN3c108BFloat16ELb0ELb1EEENS1_16block_id_wrapperIjLb1EEEEEvT_jT0_jPNS9_10value_typeE
		.amdhsa_group_segment_fixed_size 0
		.amdhsa_private_segment_fixed_size 0
		.amdhsa_kernarg_size 296
		.amdhsa_user_sgpr_count 15
		.amdhsa_user_sgpr_dispatch_ptr 0
		.amdhsa_user_sgpr_queue_ptr 0
		.amdhsa_user_sgpr_kernarg_segment_ptr 1
		.amdhsa_user_sgpr_dispatch_id 0
		.amdhsa_user_sgpr_private_segment_size 0
		.amdhsa_wavefront_size32 1
		.amdhsa_uses_dynamic_stack 0
		.amdhsa_enable_private_segment 0
		.amdhsa_system_sgpr_workgroup_id_x 1
		.amdhsa_system_sgpr_workgroup_id_y 0
		.amdhsa_system_sgpr_workgroup_id_z 0
		.amdhsa_system_sgpr_workgroup_info 0
		.amdhsa_system_vgpr_workitem_id 0
		.amdhsa_next_free_vgpr 6
		.amdhsa_next_free_sgpr 16
		.amdhsa_reserve_vcc 1
		.amdhsa_float_round_mode_32 0
		.amdhsa_float_round_mode_16_64 0
		.amdhsa_float_denorm_mode_32 3
		.amdhsa_float_denorm_mode_16_64 3
		.amdhsa_dx10_clamp 1
		.amdhsa_ieee_mode 1
		.amdhsa_fp16_overflow 0
		.amdhsa_workgroup_processor_mode 1
		.amdhsa_memory_ordered 1
		.amdhsa_forward_progress 0
		.amdhsa_shared_vgpr_count 0
		.amdhsa_exception_fp_ieee_invalid_op 0
		.amdhsa_exception_fp_denorm_src 0
		.amdhsa_exception_fp_ieee_div_zero 0
		.amdhsa_exception_fp_ieee_overflow 0
		.amdhsa_exception_fp_ieee_underflow 0
		.amdhsa_exception_fp_ieee_inexact 0
		.amdhsa_exception_int_div_zero 0
	.end_amdhsa_kernel
	.section	.text._ZN7rocprim17ROCPRIM_400000_NS6detail31init_lookback_scan_state_kernelINS1_19lookback_scan_stateIN3c108BFloat16ELb0ELb1EEENS1_16block_id_wrapperIjLb1EEEEEvT_jT0_jPNS9_10value_typeE,"axG",@progbits,_ZN7rocprim17ROCPRIM_400000_NS6detail31init_lookback_scan_state_kernelINS1_19lookback_scan_stateIN3c108BFloat16ELb0ELb1EEENS1_16block_id_wrapperIjLb1EEEEEvT_jT0_jPNS9_10value_typeE,comdat
.Lfunc_end513:
	.size	_ZN7rocprim17ROCPRIM_400000_NS6detail31init_lookback_scan_state_kernelINS1_19lookback_scan_stateIN3c108BFloat16ELb0ELb1EEENS1_16block_id_wrapperIjLb1EEEEEvT_jT0_jPNS9_10value_typeE, .Lfunc_end513-_ZN7rocprim17ROCPRIM_400000_NS6detail31init_lookback_scan_state_kernelINS1_19lookback_scan_stateIN3c108BFloat16ELb0ELb1EEENS1_16block_id_wrapperIjLb1EEEEEvT_jT0_jPNS9_10value_typeE
                                        ; -- End function
	.section	.AMDGPU.csdata,"",@progbits
; Kernel info:
; codeLenInByte = 392
; NumSgprs: 18
; NumVgprs: 6
; ScratchSize: 0
; MemoryBound: 0
; FloatMode: 240
; IeeeMode: 1
; LDSByteSize: 0 bytes/workgroup (compile time only)
; SGPRBlocks: 2
; VGPRBlocks: 0
; NumSGPRsForWavesPerEU: 18
; NumVGPRsForWavesPerEU: 6
; Occupancy: 16
; WaveLimiterHint : 0
; COMPUTE_PGM_RSRC2:SCRATCH_EN: 0
; COMPUTE_PGM_RSRC2:USER_SGPR: 15
; COMPUTE_PGM_RSRC2:TRAP_HANDLER: 0
; COMPUTE_PGM_RSRC2:TGID_X_EN: 1
; COMPUTE_PGM_RSRC2:TGID_Y_EN: 0
; COMPUTE_PGM_RSRC2:TGID_Z_EN: 0
; COMPUTE_PGM_RSRC2:TIDIG_COMP_CNT: 0
	.section	.text._ZN7rocprim17ROCPRIM_400000_NS6detail17trampoline_kernelINS0_14default_configENS1_20scan_config_selectorIN3c108BFloat16EEEZZNS1_9scan_implILNS1_25lookback_scan_determinismE0ELb0ELb0ES3_PKS6_PS6_S6_ZZZN2at6native31launch_logcumsumexp_cuda_kernelERKNSD_10TensorBaseESH_lENKUlvE_clEvENKUlvE4_clEvEUlS6_S6_E_S6_EEDaPvRmT3_T4_T5_mT6_P12ihipStream_tbENKUlT_T0_E_clISt17integral_constantIbLb0EESX_IbLb1EEEEDaST_SU_EUlST_E_NS1_11comp_targetILNS1_3genE0ELNS1_11target_archE4294967295ELNS1_3gpuE0ELNS1_3repE0EEENS1_30default_config_static_selectorELNS0_4arch9wavefront6targetE0EEEvT1_,"axG",@progbits,_ZN7rocprim17ROCPRIM_400000_NS6detail17trampoline_kernelINS0_14default_configENS1_20scan_config_selectorIN3c108BFloat16EEEZZNS1_9scan_implILNS1_25lookback_scan_determinismE0ELb0ELb0ES3_PKS6_PS6_S6_ZZZN2at6native31launch_logcumsumexp_cuda_kernelERKNSD_10TensorBaseESH_lENKUlvE_clEvENKUlvE4_clEvEUlS6_S6_E_S6_EEDaPvRmT3_T4_T5_mT6_P12ihipStream_tbENKUlT_T0_E_clISt17integral_constantIbLb0EESX_IbLb1EEEEDaST_SU_EUlST_E_NS1_11comp_targetILNS1_3genE0ELNS1_11target_archE4294967295ELNS1_3gpuE0ELNS1_3repE0EEENS1_30default_config_static_selectorELNS0_4arch9wavefront6targetE0EEEvT1_,comdat
	.globl	_ZN7rocprim17ROCPRIM_400000_NS6detail17trampoline_kernelINS0_14default_configENS1_20scan_config_selectorIN3c108BFloat16EEEZZNS1_9scan_implILNS1_25lookback_scan_determinismE0ELb0ELb0ES3_PKS6_PS6_S6_ZZZN2at6native31launch_logcumsumexp_cuda_kernelERKNSD_10TensorBaseESH_lENKUlvE_clEvENKUlvE4_clEvEUlS6_S6_E_S6_EEDaPvRmT3_T4_T5_mT6_P12ihipStream_tbENKUlT_T0_E_clISt17integral_constantIbLb0EESX_IbLb1EEEEDaST_SU_EUlST_E_NS1_11comp_targetILNS1_3genE0ELNS1_11target_archE4294967295ELNS1_3gpuE0ELNS1_3repE0EEENS1_30default_config_static_selectorELNS0_4arch9wavefront6targetE0EEEvT1_ ; -- Begin function _ZN7rocprim17ROCPRIM_400000_NS6detail17trampoline_kernelINS0_14default_configENS1_20scan_config_selectorIN3c108BFloat16EEEZZNS1_9scan_implILNS1_25lookback_scan_determinismE0ELb0ELb0ES3_PKS6_PS6_S6_ZZZN2at6native31launch_logcumsumexp_cuda_kernelERKNSD_10TensorBaseESH_lENKUlvE_clEvENKUlvE4_clEvEUlS6_S6_E_S6_EEDaPvRmT3_T4_T5_mT6_P12ihipStream_tbENKUlT_T0_E_clISt17integral_constantIbLb0EESX_IbLb1EEEEDaST_SU_EUlST_E_NS1_11comp_targetILNS1_3genE0ELNS1_11target_archE4294967295ELNS1_3gpuE0ELNS1_3repE0EEENS1_30default_config_static_selectorELNS0_4arch9wavefront6targetE0EEEvT1_
	.p2align	8
	.type	_ZN7rocprim17ROCPRIM_400000_NS6detail17trampoline_kernelINS0_14default_configENS1_20scan_config_selectorIN3c108BFloat16EEEZZNS1_9scan_implILNS1_25lookback_scan_determinismE0ELb0ELb0ES3_PKS6_PS6_S6_ZZZN2at6native31launch_logcumsumexp_cuda_kernelERKNSD_10TensorBaseESH_lENKUlvE_clEvENKUlvE4_clEvEUlS6_S6_E_S6_EEDaPvRmT3_T4_T5_mT6_P12ihipStream_tbENKUlT_T0_E_clISt17integral_constantIbLb0EESX_IbLb1EEEEDaST_SU_EUlST_E_NS1_11comp_targetILNS1_3genE0ELNS1_11target_archE4294967295ELNS1_3gpuE0ELNS1_3repE0EEENS1_30default_config_static_selectorELNS0_4arch9wavefront6targetE0EEEvT1_,@function
_ZN7rocprim17ROCPRIM_400000_NS6detail17trampoline_kernelINS0_14default_configENS1_20scan_config_selectorIN3c108BFloat16EEEZZNS1_9scan_implILNS1_25lookback_scan_determinismE0ELb0ELb0ES3_PKS6_PS6_S6_ZZZN2at6native31launch_logcumsumexp_cuda_kernelERKNSD_10TensorBaseESH_lENKUlvE_clEvENKUlvE4_clEvEUlS6_S6_E_S6_EEDaPvRmT3_T4_T5_mT6_P12ihipStream_tbENKUlT_T0_E_clISt17integral_constantIbLb0EESX_IbLb1EEEEDaST_SU_EUlST_E_NS1_11comp_targetILNS1_3genE0ELNS1_11target_archE4294967295ELNS1_3gpuE0ELNS1_3repE0EEENS1_30default_config_static_selectorELNS0_4arch9wavefront6targetE0EEEvT1_: ; @_ZN7rocprim17ROCPRIM_400000_NS6detail17trampoline_kernelINS0_14default_configENS1_20scan_config_selectorIN3c108BFloat16EEEZZNS1_9scan_implILNS1_25lookback_scan_determinismE0ELb0ELb0ES3_PKS6_PS6_S6_ZZZN2at6native31launch_logcumsumexp_cuda_kernelERKNSD_10TensorBaseESH_lENKUlvE_clEvENKUlvE4_clEvEUlS6_S6_E_S6_EEDaPvRmT3_T4_T5_mT6_P12ihipStream_tbENKUlT_T0_E_clISt17integral_constantIbLb0EESX_IbLb1EEEEDaST_SU_EUlST_E_NS1_11comp_targetILNS1_3genE0ELNS1_11target_archE4294967295ELNS1_3gpuE0ELNS1_3repE0EEENS1_30default_config_static_selectorELNS0_4arch9wavefront6targetE0EEEvT1_
; %bb.0:
	.section	.rodata,"a",@progbits
	.p2align	6, 0x0
	.amdhsa_kernel _ZN7rocprim17ROCPRIM_400000_NS6detail17trampoline_kernelINS0_14default_configENS1_20scan_config_selectorIN3c108BFloat16EEEZZNS1_9scan_implILNS1_25lookback_scan_determinismE0ELb0ELb0ES3_PKS6_PS6_S6_ZZZN2at6native31launch_logcumsumexp_cuda_kernelERKNSD_10TensorBaseESH_lENKUlvE_clEvENKUlvE4_clEvEUlS6_S6_E_S6_EEDaPvRmT3_T4_T5_mT6_P12ihipStream_tbENKUlT_T0_E_clISt17integral_constantIbLb0EESX_IbLb1EEEEDaST_SU_EUlST_E_NS1_11comp_targetILNS1_3genE0ELNS1_11target_archE4294967295ELNS1_3gpuE0ELNS1_3repE0EEENS1_30default_config_static_selectorELNS0_4arch9wavefront6targetE0EEEvT1_
		.amdhsa_group_segment_fixed_size 0
		.amdhsa_private_segment_fixed_size 0
		.amdhsa_kernarg_size 96
		.amdhsa_user_sgpr_count 15
		.amdhsa_user_sgpr_dispatch_ptr 0
		.amdhsa_user_sgpr_queue_ptr 0
		.amdhsa_user_sgpr_kernarg_segment_ptr 1
		.amdhsa_user_sgpr_dispatch_id 0
		.amdhsa_user_sgpr_private_segment_size 0
		.amdhsa_wavefront_size32 1
		.amdhsa_uses_dynamic_stack 0
		.amdhsa_enable_private_segment 0
		.amdhsa_system_sgpr_workgroup_id_x 1
		.amdhsa_system_sgpr_workgroup_id_y 0
		.amdhsa_system_sgpr_workgroup_id_z 0
		.amdhsa_system_sgpr_workgroup_info 0
		.amdhsa_system_vgpr_workitem_id 0
		.amdhsa_next_free_vgpr 1
		.amdhsa_next_free_sgpr 1
		.amdhsa_reserve_vcc 0
		.amdhsa_float_round_mode_32 0
		.amdhsa_float_round_mode_16_64 0
		.amdhsa_float_denorm_mode_32 3
		.amdhsa_float_denorm_mode_16_64 3
		.amdhsa_dx10_clamp 1
		.amdhsa_ieee_mode 1
		.amdhsa_fp16_overflow 0
		.amdhsa_workgroup_processor_mode 1
		.amdhsa_memory_ordered 1
		.amdhsa_forward_progress 0
		.amdhsa_shared_vgpr_count 0
		.amdhsa_exception_fp_ieee_invalid_op 0
		.amdhsa_exception_fp_denorm_src 0
		.amdhsa_exception_fp_ieee_div_zero 0
		.amdhsa_exception_fp_ieee_overflow 0
		.amdhsa_exception_fp_ieee_underflow 0
		.amdhsa_exception_fp_ieee_inexact 0
		.amdhsa_exception_int_div_zero 0
	.end_amdhsa_kernel
	.section	.text._ZN7rocprim17ROCPRIM_400000_NS6detail17trampoline_kernelINS0_14default_configENS1_20scan_config_selectorIN3c108BFloat16EEEZZNS1_9scan_implILNS1_25lookback_scan_determinismE0ELb0ELb0ES3_PKS6_PS6_S6_ZZZN2at6native31launch_logcumsumexp_cuda_kernelERKNSD_10TensorBaseESH_lENKUlvE_clEvENKUlvE4_clEvEUlS6_S6_E_S6_EEDaPvRmT3_T4_T5_mT6_P12ihipStream_tbENKUlT_T0_E_clISt17integral_constantIbLb0EESX_IbLb1EEEEDaST_SU_EUlST_E_NS1_11comp_targetILNS1_3genE0ELNS1_11target_archE4294967295ELNS1_3gpuE0ELNS1_3repE0EEENS1_30default_config_static_selectorELNS0_4arch9wavefront6targetE0EEEvT1_,"axG",@progbits,_ZN7rocprim17ROCPRIM_400000_NS6detail17trampoline_kernelINS0_14default_configENS1_20scan_config_selectorIN3c108BFloat16EEEZZNS1_9scan_implILNS1_25lookback_scan_determinismE0ELb0ELb0ES3_PKS6_PS6_S6_ZZZN2at6native31launch_logcumsumexp_cuda_kernelERKNSD_10TensorBaseESH_lENKUlvE_clEvENKUlvE4_clEvEUlS6_S6_E_S6_EEDaPvRmT3_T4_T5_mT6_P12ihipStream_tbENKUlT_T0_E_clISt17integral_constantIbLb0EESX_IbLb1EEEEDaST_SU_EUlST_E_NS1_11comp_targetILNS1_3genE0ELNS1_11target_archE4294967295ELNS1_3gpuE0ELNS1_3repE0EEENS1_30default_config_static_selectorELNS0_4arch9wavefront6targetE0EEEvT1_,comdat
.Lfunc_end514:
	.size	_ZN7rocprim17ROCPRIM_400000_NS6detail17trampoline_kernelINS0_14default_configENS1_20scan_config_selectorIN3c108BFloat16EEEZZNS1_9scan_implILNS1_25lookback_scan_determinismE0ELb0ELb0ES3_PKS6_PS6_S6_ZZZN2at6native31launch_logcumsumexp_cuda_kernelERKNSD_10TensorBaseESH_lENKUlvE_clEvENKUlvE4_clEvEUlS6_S6_E_S6_EEDaPvRmT3_T4_T5_mT6_P12ihipStream_tbENKUlT_T0_E_clISt17integral_constantIbLb0EESX_IbLb1EEEEDaST_SU_EUlST_E_NS1_11comp_targetILNS1_3genE0ELNS1_11target_archE4294967295ELNS1_3gpuE0ELNS1_3repE0EEENS1_30default_config_static_selectorELNS0_4arch9wavefront6targetE0EEEvT1_, .Lfunc_end514-_ZN7rocprim17ROCPRIM_400000_NS6detail17trampoline_kernelINS0_14default_configENS1_20scan_config_selectorIN3c108BFloat16EEEZZNS1_9scan_implILNS1_25lookback_scan_determinismE0ELb0ELb0ES3_PKS6_PS6_S6_ZZZN2at6native31launch_logcumsumexp_cuda_kernelERKNSD_10TensorBaseESH_lENKUlvE_clEvENKUlvE4_clEvEUlS6_S6_E_S6_EEDaPvRmT3_T4_T5_mT6_P12ihipStream_tbENKUlT_T0_E_clISt17integral_constantIbLb0EESX_IbLb1EEEEDaST_SU_EUlST_E_NS1_11comp_targetILNS1_3genE0ELNS1_11target_archE4294967295ELNS1_3gpuE0ELNS1_3repE0EEENS1_30default_config_static_selectorELNS0_4arch9wavefront6targetE0EEEvT1_
                                        ; -- End function
	.section	.AMDGPU.csdata,"",@progbits
; Kernel info:
; codeLenInByte = 0
; NumSgprs: 0
; NumVgprs: 0
; ScratchSize: 0
; MemoryBound: 0
; FloatMode: 240
; IeeeMode: 1
; LDSByteSize: 0 bytes/workgroup (compile time only)
; SGPRBlocks: 0
; VGPRBlocks: 0
; NumSGPRsForWavesPerEU: 1
; NumVGPRsForWavesPerEU: 1
; Occupancy: 16
; WaveLimiterHint : 0
; COMPUTE_PGM_RSRC2:SCRATCH_EN: 0
; COMPUTE_PGM_RSRC2:USER_SGPR: 15
; COMPUTE_PGM_RSRC2:TRAP_HANDLER: 0
; COMPUTE_PGM_RSRC2:TGID_X_EN: 1
; COMPUTE_PGM_RSRC2:TGID_Y_EN: 0
; COMPUTE_PGM_RSRC2:TGID_Z_EN: 0
; COMPUTE_PGM_RSRC2:TIDIG_COMP_CNT: 0
	.section	.text._ZN7rocprim17ROCPRIM_400000_NS6detail17trampoline_kernelINS0_14default_configENS1_20scan_config_selectorIN3c108BFloat16EEEZZNS1_9scan_implILNS1_25lookback_scan_determinismE0ELb0ELb0ES3_PKS6_PS6_S6_ZZZN2at6native31launch_logcumsumexp_cuda_kernelERKNSD_10TensorBaseESH_lENKUlvE_clEvENKUlvE4_clEvEUlS6_S6_E_S6_EEDaPvRmT3_T4_T5_mT6_P12ihipStream_tbENKUlT_T0_E_clISt17integral_constantIbLb0EESX_IbLb1EEEEDaST_SU_EUlST_E_NS1_11comp_targetILNS1_3genE5ELNS1_11target_archE942ELNS1_3gpuE9ELNS1_3repE0EEENS1_30default_config_static_selectorELNS0_4arch9wavefront6targetE0EEEvT1_,"axG",@progbits,_ZN7rocprim17ROCPRIM_400000_NS6detail17trampoline_kernelINS0_14default_configENS1_20scan_config_selectorIN3c108BFloat16EEEZZNS1_9scan_implILNS1_25lookback_scan_determinismE0ELb0ELb0ES3_PKS6_PS6_S6_ZZZN2at6native31launch_logcumsumexp_cuda_kernelERKNSD_10TensorBaseESH_lENKUlvE_clEvENKUlvE4_clEvEUlS6_S6_E_S6_EEDaPvRmT3_T4_T5_mT6_P12ihipStream_tbENKUlT_T0_E_clISt17integral_constantIbLb0EESX_IbLb1EEEEDaST_SU_EUlST_E_NS1_11comp_targetILNS1_3genE5ELNS1_11target_archE942ELNS1_3gpuE9ELNS1_3repE0EEENS1_30default_config_static_selectorELNS0_4arch9wavefront6targetE0EEEvT1_,comdat
	.globl	_ZN7rocprim17ROCPRIM_400000_NS6detail17trampoline_kernelINS0_14default_configENS1_20scan_config_selectorIN3c108BFloat16EEEZZNS1_9scan_implILNS1_25lookback_scan_determinismE0ELb0ELb0ES3_PKS6_PS6_S6_ZZZN2at6native31launch_logcumsumexp_cuda_kernelERKNSD_10TensorBaseESH_lENKUlvE_clEvENKUlvE4_clEvEUlS6_S6_E_S6_EEDaPvRmT3_T4_T5_mT6_P12ihipStream_tbENKUlT_T0_E_clISt17integral_constantIbLb0EESX_IbLb1EEEEDaST_SU_EUlST_E_NS1_11comp_targetILNS1_3genE5ELNS1_11target_archE942ELNS1_3gpuE9ELNS1_3repE0EEENS1_30default_config_static_selectorELNS0_4arch9wavefront6targetE0EEEvT1_ ; -- Begin function _ZN7rocprim17ROCPRIM_400000_NS6detail17trampoline_kernelINS0_14default_configENS1_20scan_config_selectorIN3c108BFloat16EEEZZNS1_9scan_implILNS1_25lookback_scan_determinismE0ELb0ELb0ES3_PKS6_PS6_S6_ZZZN2at6native31launch_logcumsumexp_cuda_kernelERKNSD_10TensorBaseESH_lENKUlvE_clEvENKUlvE4_clEvEUlS6_S6_E_S6_EEDaPvRmT3_T4_T5_mT6_P12ihipStream_tbENKUlT_T0_E_clISt17integral_constantIbLb0EESX_IbLb1EEEEDaST_SU_EUlST_E_NS1_11comp_targetILNS1_3genE5ELNS1_11target_archE942ELNS1_3gpuE9ELNS1_3repE0EEENS1_30default_config_static_selectorELNS0_4arch9wavefront6targetE0EEEvT1_
	.p2align	8
	.type	_ZN7rocprim17ROCPRIM_400000_NS6detail17trampoline_kernelINS0_14default_configENS1_20scan_config_selectorIN3c108BFloat16EEEZZNS1_9scan_implILNS1_25lookback_scan_determinismE0ELb0ELb0ES3_PKS6_PS6_S6_ZZZN2at6native31launch_logcumsumexp_cuda_kernelERKNSD_10TensorBaseESH_lENKUlvE_clEvENKUlvE4_clEvEUlS6_S6_E_S6_EEDaPvRmT3_T4_T5_mT6_P12ihipStream_tbENKUlT_T0_E_clISt17integral_constantIbLb0EESX_IbLb1EEEEDaST_SU_EUlST_E_NS1_11comp_targetILNS1_3genE5ELNS1_11target_archE942ELNS1_3gpuE9ELNS1_3repE0EEENS1_30default_config_static_selectorELNS0_4arch9wavefront6targetE0EEEvT1_,@function
_ZN7rocprim17ROCPRIM_400000_NS6detail17trampoline_kernelINS0_14default_configENS1_20scan_config_selectorIN3c108BFloat16EEEZZNS1_9scan_implILNS1_25lookback_scan_determinismE0ELb0ELb0ES3_PKS6_PS6_S6_ZZZN2at6native31launch_logcumsumexp_cuda_kernelERKNSD_10TensorBaseESH_lENKUlvE_clEvENKUlvE4_clEvEUlS6_S6_E_S6_EEDaPvRmT3_T4_T5_mT6_P12ihipStream_tbENKUlT_T0_E_clISt17integral_constantIbLb0EESX_IbLb1EEEEDaST_SU_EUlST_E_NS1_11comp_targetILNS1_3genE5ELNS1_11target_archE942ELNS1_3gpuE9ELNS1_3repE0EEENS1_30default_config_static_selectorELNS0_4arch9wavefront6targetE0EEEvT1_: ; @_ZN7rocprim17ROCPRIM_400000_NS6detail17trampoline_kernelINS0_14default_configENS1_20scan_config_selectorIN3c108BFloat16EEEZZNS1_9scan_implILNS1_25lookback_scan_determinismE0ELb0ELb0ES3_PKS6_PS6_S6_ZZZN2at6native31launch_logcumsumexp_cuda_kernelERKNSD_10TensorBaseESH_lENKUlvE_clEvENKUlvE4_clEvEUlS6_S6_E_S6_EEDaPvRmT3_T4_T5_mT6_P12ihipStream_tbENKUlT_T0_E_clISt17integral_constantIbLb0EESX_IbLb1EEEEDaST_SU_EUlST_E_NS1_11comp_targetILNS1_3genE5ELNS1_11target_archE942ELNS1_3gpuE9ELNS1_3repE0EEENS1_30default_config_static_selectorELNS0_4arch9wavefront6targetE0EEEvT1_
; %bb.0:
	.section	.rodata,"a",@progbits
	.p2align	6, 0x0
	.amdhsa_kernel _ZN7rocprim17ROCPRIM_400000_NS6detail17trampoline_kernelINS0_14default_configENS1_20scan_config_selectorIN3c108BFloat16EEEZZNS1_9scan_implILNS1_25lookback_scan_determinismE0ELb0ELb0ES3_PKS6_PS6_S6_ZZZN2at6native31launch_logcumsumexp_cuda_kernelERKNSD_10TensorBaseESH_lENKUlvE_clEvENKUlvE4_clEvEUlS6_S6_E_S6_EEDaPvRmT3_T4_T5_mT6_P12ihipStream_tbENKUlT_T0_E_clISt17integral_constantIbLb0EESX_IbLb1EEEEDaST_SU_EUlST_E_NS1_11comp_targetILNS1_3genE5ELNS1_11target_archE942ELNS1_3gpuE9ELNS1_3repE0EEENS1_30default_config_static_selectorELNS0_4arch9wavefront6targetE0EEEvT1_
		.amdhsa_group_segment_fixed_size 0
		.amdhsa_private_segment_fixed_size 0
		.amdhsa_kernarg_size 96
		.amdhsa_user_sgpr_count 15
		.amdhsa_user_sgpr_dispatch_ptr 0
		.amdhsa_user_sgpr_queue_ptr 0
		.amdhsa_user_sgpr_kernarg_segment_ptr 1
		.amdhsa_user_sgpr_dispatch_id 0
		.amdhsa_user_sgpr_private_segment_size 0
		.amdhsa_wavefront_size32 1
		.amdhsa_uses_dynamic_stack 0
		.amdhsa_enable_private_segment 0
		.amdhsa_system_sgpr_workgroup_id_x 1
		.amdhsa_system_sgpr_workgroup_id_y 0
		.amdhsa_system_sgpr_workgroup_id_z 0
		.amdhsa_system_sgpr_workgroup_info 0
		.amdhsa_system_vgpr_workitem_id 0
		.amdhsa_next_free_vgpr 1
		.amdhsa_next_free_sgpr 1
		.amdhsa_reserve_vcc 0
		.amdhsa_float_round_mode_32 0
		.amdhsa_float_round_mode_16_64 0
		.amdhsa_float_denorm_mode_32 3
		.amdhsa_float_denorm_mode_16_64 3
		.amdhsa_dx10_clamp 1
		.amdhsa_ieee_mode 1
		.amdhsa_fp16_overflow 0
		.amdhsa_workgroup_processor_mode 1
		.amdhsa_memory_ordered 1
		.amdhsa_forward_progress 0
		.amdhsa_shared_vgpr_count 0
		.amdhsa_exception_fp_ieee_invalid_op 0
		.amdhsa_exception_fp_denorm_src 0
		.amdhsa_exception_fp_ieee_div_zero 0
		.amdhsa_exception_fp_ieee_overflow 0
		.amdhsa_exception_fp_ieee_underflow 0
		.amdhsa_exception_fp_ieee_inexact 0
		.amdhsa_exception_int_div_zero 0
	.end_amdhsa_kernel
	.section	.text._ZN7rocprim17ROCPRIM_400000_NS6detail17trampoline_kernelINS0_14default_configENS1_20scan_config_selectorIN3c108BFloat16EEEZZNS1_9scan_implILNS1_25lookback_scan_determinismE0ELb0ELb0ES3_PKS6_PS6_S6_ZZZN2at6native31launch_logcumsumexp_cuda_kernelERKNSD_10TensorBaseESH_lENKUlvE_clEvENKUlvE4_clEvEUlS6_S6_E_S6_EEDaPvRmT3_T4_T5_mT6_P12ihipStream_tbENKUlT_T0_E_clISt17integral_constantIbLb0EESX_IbLb1EEEEDaST_SU_EUlST_E_NS1_11comp_targetILNS1_3genE5ELNS1_11target_archE942ELNS1_3gpuE9ELNS1_3repE0EEENS1_30default_config_static_selectorELNS0_4arch9wavefront6targetE0EEEvT1_,"axG",@progbits,_ZN7rocprim17ROCPRIM_400000_NS6detail17trampoline_kernelINS0_14default_configENS1_20scan_config_selectorIN3c108BFloat16EEEZZNS1_9scan_implILNS1_25lookback_scan_determinismE0ELb0ELb0ES3_PKS6_PS6_S6_ZZZN2at6native31launch_logcumsumexp_cuda_kernelERKNSD_10TensorBaseESH_lENKUlvE_clEvENKUlvE4_clEvEUlS6_S6_E_S6_EEDaPvRmT3_T4_T5_mT6_P12ihipStream_tbENKUlT_T0_E_clISt17integral_constantIbLb0EESX_IbLb1EEEEDaST_SU_EUlST_E_NS1_11comp_targetILNS1_3genE5ELNS1_11target_archE942ELNS1_3gpuE9ELNS1_3repE0EEENS1_30default_config_static_selectorELNS0_4arch9wavefront6targetE0EEEvT1_,comdat
.Lfunc_end515:
	.size	_ZN7rocprim17ROCPRIM_400000_NS6detail17trampoline_kernelINS0_14default_configENS1_20scan_config_selectorIN3c108BFloat16EEEZZNS1_9scan_implILNS1_25lookback_scan_determinismE0ELb0ELb0ES3_PKS6_PS6_S6_ZZZN2at6native31launch_logcumsumexp_cuda_kernelERKNSD_10TensorBaseESH_lENKUlvE_clEvENKUlvE4_clEvEUlS6_S6_E_S6_EEDaPvRmT3_T4_T5_mT6_P12ihipStream_tbENKUlT_T0_E_clISt17integral_constantIbLb0EESX_IbLb1EEEEDaST_SU_EUlST_E_NS1_11comp_targetILNS1_3genE5ELNS1_11target_archE942ELNS1_3gpuE9ELNS1_3repE0EEENS1_30default_config_static_selectorELNS0_4arch9wavefront6targetE0EEEvT1_, .Lfunc_end515-_ZN7rocprim17ROCPRIM_400000_NS6detail17trampoline_kernelINS0_14default_configENS1_20scan_config_selectorIN3c108BFloat16EEEZZNS1_9scan_implILNS1_25lookback_scan_determinismE0ELb0ELb0ES3_PKS6_PS6_S6_ZZZN2at6native31launch_logcumsumexp_cuda_kernelERKNSD_10TensorBaseESH_lENKUlvE_clEvENKUlvE4_clEvEUlS6_S6_E_S6_EEDaPvRmT3_T4_T5_mT6_P12ihipStream_tbENKUlT_T0_E_clISt17integral_constantIbLb0EESX_IbLb1EEEEDaST_SU_EUlST_E_NS1_11comp_targetILNS1_3genE5ELNS1_11target_archE942ELNS1_3gpuE9ELNS1_3repE0EEENS1_30default_config_static_selectorELNS0_4arch9wavefront6targetE0EEEvT1_
                                        ; -- End function
	.section	.AMDGPU.csdata,"",@progbits
; Kernel info:
; codeLenInByte = 0
; NumSgprs: 0
; NumVgprs: 0
; ScratchSize: 0
; MemoryBound: 0
; FloatMode: 240
; IeeeMode: 1
; LDSByteSize: 0 bytes/workgroup (compile time only)
; SGPRBlocks: 0
; VGPRBlocks: 0
; NumSGPRsForWavesPerEU: 1
; NumVGPRsForWavesPerEU: 1
; Occupancy: 16
; WaveLimiterHint : 0
; COMPUTE_PGM_RSRC2:SCRATCH_EN: 0
; COMPUTE_PGM_RSRC2:USER_SGPR: 15
; COMPUTE_PGM_RSRC2:TRAP_HANDLER: 0
; COMPUTE_PGM_RSRC2:TGID_X_EN: 1
; COMPUTE_PGM_RSRC2:TGID_Y_EN: 0
; COMPUTE_PGM_RSRC2:TGID_Z_EN: 0
; COMPUTE_PGM_RSRC2:TIDIG_COMP_CNT: 0
	.section	.text._ZN7rocprim17ROCPRIM_400000_NS6detail17trampoline_kernelINS0_14default_configENS1_20scan_config_selectorIN3c108BFloat16EEEZZNS1_9scan_implILNS1_25lookback_scan_determinismE0ELb0ELb0ES3_PKS6_PS6_S6_ZZZN2at6native31launch_logcumsumexp_cuda_kernelERKNSD_10TensorBaseESH_lENKUlvE_clEvENKUlvE4_clEvEUlS6_S6_E_S6_EEDaPvRmT3_T4_T5_mT6_P12ihipStream_tbENKUlT_T0_E_clISt17integral_constantIbLb0EESX_IbLb1EEEEDaST_SU_EUlST_E_NS1_11comp_targetILNS1_3genE4ELNS1_11target_archE910ELNS1_3gpuE8ELNS1_3repE0EEENS1_30default_config_static_selectorELNS0_4arch9wavefront6targetE0EEEvT1_,"axG",@progbits,_ZN7rocprim17ROCPRIM_400000_NS6detail17trampoline_kernelINS0_14default_configENS1_20scan_config_selectorIN3c108BFloat16EEEZZNS1_9scan_implILNS1_25lookback_scan_determinismE0ELb0ELb0ES3_PKS6_PS6_S6_ZZZN2at6native31launch_logcumsumexp_cuda_kernelERKNSD_10TensorBaseESH_lENKUlvE_clEvENKUlvE4_clEvEUlS6_S6_E_S6_EEDaPvRmT3_T4_T5_mT6_P12ihipStream_tbENKUlT_T0_E_clISt17integral_constantIbLb0EESX_IbLb1EEEEDaST_SU_EUlST_E_NS1_11comp_targetILNS1_3genE4ELNS1_11target_archE910ELNS1_3gpuE8ELNS1_3repE0EEENS1_30default_config_static_selectorELNS0_4arch9wavefront6targetE0EEEvT1_,comdat
	.globl	_ZN7rocprim17ROCPRIM_400000_NS6detail17trampoline_kernelINS0_14default_configENS1_20scan_config_selectorIN3c108BFloat16EEEZZNS1_9scan_implILNS1_25lookback_scan_determinismE0ELb0ELb0ES3_PKS6_PS6_S6_ZZZN2at6native31launch_logcumsumexp_cuda_kernelERKNSD_10TensorBaseESH_lENKUlvE_clEvENKUlvE4_clEvEUlS6_S6_E_S6_EEDaPvRmT3_T4_T5_mT6_P12ihipStream_tbENKUlT_T0_E_clISt17integral_constantIbLb0EESX_IbLb1EEEEDaST_SU_EUlST_E_NS1_11comp_targetILNS1_3genE4ELNS1_11target_archE910ELNS1_3gpuE8ELNS1_3repE0EEENS1_30default_config_static_selectorELNS0_4arch9wavefront6targetE0EEEvT1_ ; -- Begin function _ZN7rocprim17ROCPRIM_400000_NS6detail17trampoline_kernelINS0_14default_configENS1_20scan_config_selectorIN3c108BFloat16EEEZZNS1_9scan_implILNS1_25lookback_scan_determinismE0ELb0ELb0ES3_PKS6_PS6_S6_ZZZN2at6native31launch_logcumsumexp_cuda_kernelERKNSD_10TensorBaseESH_lENKUlvE_clEvENKUlvE4_clEvEUlS6_S6_E_S6_EEDaPvRmT3_T4_T5_mT6_P12ihipStream_tbENKUlT_T0_E_clISt17integral_constantIbLb0EESX_IbLb1EEEEDaST_SU_EUlST_E_NS1_11comp_targetILNS1_3genE4ELNS1_11target_archE910ELNS1_3gpuE8ELNS1_3repE0EEENS1_30default_config_static_selectorELNS0_4arch9wavefront6targetE0EEEvT1_
	.p2align	8
	.type	_ZN7rocprim17ROCPRIM_400000_NS6detail17trampoline_kernelINS0_14default_configENS1_20scan_config_selectorIN3c108BFloat16EEEZZNS1_9scan_implILNS1_25lookback_scan_determinismE0ELb0ELb0ES3_PKS6_PS6_S6_ZZZN2at6native31launch_logcumsumexp_cuda_kernelERKNSD_10TensorBaseESH_lENKUlvE_clEvENKUlvE4_clEvEUlS6_S6_E_S6_EEDaPvRmT3_T4_T5_mT6_P12ihipStream_tbENKUlT_T0_E_clISt17integral_constantIbLb0EESX_IbLb1EEEEDaST_SU_EUlST_E_NS1_11comp_targetILNS1_3genE4ELNS1_11target_archE910ELNS1_3gpuE8ELNS1_3repE0EEENS1_30default_config_static_selectorELNS0_4arch9wavefront6targetE0EEEvT1_,@function
_ZN7rocprim17ROCPRIM_400000_NS6detail17trampoline_kernelINS0_14default_configENS1_20scan_config_selectorIN3c108BFloat16EEEZZNS1_9scan_implILNS1_25lookback_scan_determinismE0ELb0ELb0ES3_PKS6_PS6_S6_ZZZN2at6native31launch_logcumsumexp_cuda_kernelERKNSD_10TensorBaseESH_lENKUlvE_clEvENKUlvE4_clEvEUlS6_S6_E_S6_EEDaPvRmT3_T4_T5_mT6_P12ihipStream_tbENKUlT_T0_E_clISt17integral_constantIbLb0EESX_IbLb1EEEEDaST_SU_EUlST_E_NS1_11comp_targetILNS1_3genE4ELNS1_11target_archE910ELNS1_3gpuE8ELNS1_3repE0EEENS1_30default_config_static_selectorELNS0_4arch9wavefront6targetE0EEEvT1_: ; @_ZN7rocprim17ROCPRIM_400000_NS6detail17trampoline_kernelINS0_14default_configENS1_20scan_config_selectorIN3c108BFloat16EEEZZNS1_9scan_implILNS1_25lookback_scan_determinismE0ELb0ELb0ES3_PKS6_PS6_S6_ZZZN2at6native31launch_logcumsumexp_cuda_kernelERKNSD_10TensorBaseESH_lENKUlvE_clEvENKUlvE4_clEvEUlS6_S6_E_S6_EEDaPvRmT3_T4_T5_mT6_P12ihipStream_tbENKUlT_T0_E_clISt17integral_constantIbLb0EESX_IbLb1EEEEDaST_SU_EUlST_E_NS1_11comp_targetILNS1_3genE4ELNS1_11target_archE910ELNS1_3gpuE8ELNS1_3repE0EEENS1_30default_config_static_selectorELNS0_4arch9wavefront6targetE0EEEvT1_
; %bb.0:
	.section	.rodata,"a",@progbits
	.p2align	6, 0x0
	.amdhsa_kernel _ZN7rocprim17ROCPRIM_400000_NS6detail17trampoline_kernelINS0_14default_configENS1_20scan_config_selectorIN3c108BFloat16EEEZZNS1_9scan_implILNS1_25lookback_scan_determinismE0ELb0ELb0ES3_PKS6_PS6_S6_ZZZN2at6native31launch_logcumsumexp_cuda_kernelERKNSD_10TensorBaseESH_lENKUlvE_clEvENKUlvE4_clEvEUlS6_S6_E_S6_EEDaPvRmT3_T4_T5_mT6_P12ihipStream_tbENKUlT_T0_E_clISt17integral_constantIbLb0EESX_IbLb1EEEEDaST_SU_EUlST_E_NS1_11comp_targetILNS1_3genE4ELNS1_11target_archE910ELNS1_3gpuE8ELNS1_3repE0EEENS1_30default_config_static_selectorELNS0_4arch9wavefront6targetE0EEEvT1_
		.amdhsa_group_segment_fixed_size 0
		.amdhsa_private_segment_fixed_size 0
		.amdhsa_kernarg_size 96
		.amdhsa_user_sgpr_count 15
		.amdhsa_user_sgpr_dispatch_ptr 0
		.amdhsa_user_sgpr_queue_ptr 0
		.amdhsa_user_sgpr_kernarg_segment_ptr 1
		.amdhsa_user_sgpr_dispatch_id 0
		.amdhsa_user_sgpr_private_segment_size 0
		.amdhsa_wavefront_size32 1
		.amdhsa_uses_dynamic_stack 0
		.amdhsa_enable_private_segment 0
		.amdhsa_system_sgpr_workgroup_id_x 1
		.amdhsa_system_sgpr_workgroup_id_y 0
		.amdhsa_system_sgpr_workgroup_id_z 0
		.amdhsa_system_sgpr_workgroup_info 0
		.amdhsa_system_vgpr_workitem_id 0
		.amdhsa_next_free_vgpr 1
		.amdhsa_next_free_sgpr 1
		.amdhsa_reserve_vcc 0
		.amdhsa_float_round_mode_32 0
		.amdhsa_float_round_mode_16_64 0
		.amdhsa_float_denorm_mode_32 3
		.amdhsa_float_denorm_mode_16_64 3
		.amdhsa_dx10_clamp 1
		.amdhsa_ieee_mode 1
		.amdhsa_fp16_overflow 0
		.amdhsa_workgroup_processor_mode 1
		.amdhsa_memory_ordered 1
		.amdhsa_forward_progress 0
		.amdhsa_shared_vgpr_count 0
		.amdhsa_exception_fp_ieee_invalid_op 0
		.amdhsa_exception_fp_denorm_src 0
		.amdhsa_exception_fp_ieee_div_zero 0
		.amdhsa_exception_fp_ieee_overflow 0
		.amdhsa_exception_fp_ieee_underflow 0
		.amdhsa_exception_fp_ieee_inexact 0
		.amdhsa_exception_int_div_zero 0
	.end_amdhsa_kernel
	.section	.text._ZN7rocprim17ROCPRIM_400000_NS6detail17trampoline_kernelINS0_14default_configENS1_20scan_config_selectorIN3c108BFloat16EEEZZNS1_9scan_implILNS1_25lookback_scan_determinismE0ELb0ELb0ES3_PKS6_PS6_S6_ZZZN2at6native31launch_logcumsumexp_cuda_kernelERKNSD_10TensorBaseESH_lENKUlvE_clEvENKUlvE4_clEvEUlS6_S6_E_S6_EEDaPvRmT3_T4_T5_mT6_P12ihipStream_tbENKUlT_T0_E_clISt17integral_constantIbLb0EESX_IbLb1EEEEDaST_SU_EUlST_E_NS1_11comp_targetILNS1_3genE4ELNS1_11target_archE910ELNS1_3gpuE8ELNS1_3repE0EEENS1_30default_config_static_selectorELNS0_4arch9wavefront6targetE0EEEvT1_,"axG",@progbits,_ZN7rocprim17ROCPRIM_400000_NS6detail17trampoline_kernelINS0_14default_configENS1_20scan_config_selectorIN3c108BFloat16EEEZZNS1_9scan_implILNS1_25lookback_scan_determinismE0ELb0ELb0ES3_PKS6_PS6_S6_ZZZN2at6native31launch_logcumsumexp_cuda_kernelERKNSD_10TensorBaseESH_lENKUlvE_clEvENKUlvE4_clEvEUlS6_S6_E_S6_EEDaPvRmT3_T4_T5_mT6_P12ihipStream_tbENKUlT_T0_E_clISt17integral_constantIbLb0EESX_IbLb1EEEEDaST_SU_EUlST_E_NS1_11comp_targetILNS1_3genE4ELNS1_11target_archE910ELNS1_3gpuE8ELNS1_3repE0EEENS1_30default_config_static_selectorELNS0_4arch9wavefront6targetE0EEEvT1_,comdat
.Lfunc_end516:
	.size	_ZN7rocprim17ROCPRIM_400000_NS6detail17trampoline_kernelINS0_14default_configENS1_20scan_config_selectorIN3c108BFloat16EEEZZNS1_9scan_implILNS1_25lookback_scan_determinismE0ELb0ELb0ES3_PKS6_PS6_S6_ZZZN2at6native31launch_logcumsumexp_cuda_kernelERKNSD_10TensorBaseESH_lENKUlvE_clEvENKUlvE4_clEvEUlS6_S6_E_S6_EEDaPvRmT3_T4_T5_mT6_P12ihipStream_tbENKUlT_T0_E_clISt17integral_constantIbLb0EESX_IbLb1EEEEDaST_SU_EUlST_E_NS1_11comp_targetILNS1_3genE4ELNS1_11target_archE910ELNS1_3gpuE8ELNS1_3repE0EEENS1_30default_config_static_selectorELNS0_4arch9wavefront6targetE0EEEvT1_, .Lfunc_end516-_ZN7rocprim17ROCPRIM_400000_NS6detail17trampoline_kernelINS0_14default_configENS1_20scan_config_selectorIN3c108BFloat16EEEZZNS1_9scan_implILNS1_25lookback_scan_determinismE0ELb0ELb0ES3_PKS6_PS6_S6_ZZZN2at6native31launch_logcumsumexp_cuda_kernelERKNSD_10TensorBaseESH_lENKUlvE_clEvENKUlvE4_clEvEUlS6_S6_E_S6_EEDaPvRmT3_T4_T5_mT6_P12ihipStream_tbENKUlT_T0_E_clISt17integral_constantIbLb0EESX_IbLb1EEEEDaST_SU_EUlST_E_NS1_11comp_targetILNS1_3genE4ELNS1_11target_archE910ELNS1_3gpuE8ELNS1_3repE0EEENS1_30default_config_static_selectorELNS0_4arch9wavefront6targetE0EEEvT1_
                                        ; -- End function
	.section	.AMDGPU.csdata,"",@progbits
; Kernel info:
; codeLenInByte = 0
; NumSgprs: 0
; NumVgprs: 0
; ScratchSize: 0
; MemoryBound: 0
; FloatMode: 240
; IeeeMode: 1
; LDSByteSize: 0 bytes/workgroup (compile time only)
; SGPRBlocks: 0
; VGPRBlocks: 0
; NumSGPRsForWavesPerEU: 1
; NumVGPRsForWavesPerEU: 1
; Occupancy: 16
; WaveLimiterHint : 0
; COMPUTE_PGM_RSRC2:SCRATCH_EN: 0
; COMPUTE_PGM_RSRC2:USER_SGPR: 15
; COMPUTE_PGM_RSRC2:TRAP_HANDLER: 0
; COMPUTE_PGM_RSRC2:TGID_X_EN: 1
; COMPUTE_PGM_RSRC2:TGID_Y_EN: 0
; COMPUTE_PGM_RSRC2:TGID_Z_EN: 0
; COMPUTE_PGM_RSRC2:TIDIG_COMP_CNT: 0
	.section	.text._ZN7rocprim17ROCPRIM_400000_NS6detail17trampoline_kernelINS0_14default_configENS1_20scan_config_selectorIN3c108BFloat16EEEZZNS1_9scan_implILNS1_25lookback_scan_determinismE0ELb0ELb0ES3_PKS6_PS6_S6_ZZZN2at6native31launch_logcumsumexp_cuda_kernelERKNSD_10TensorBaseESH_lENKUlvE_clEvENKUlvE4_clEvEUlS6_S6_E_S6_EEDaPvRmT3_T4_T5_mT6_P12ihipStream_tbENKUlT_T0_E_clISt17integral_constantIbLb0EESX_IbLb1EEEEDaST_SU_EUlST_E_NS1_11comp_targetILNS1_3genE3ELNS1_11target_archE908ELNS1_3gpuE7ELNS1_3repE0EEENS1_30default_config_static_selectorELNS0_4arch9wavefront6targetE0EEEvT1_,"axG",@progbits,_ZN7rocprim17ROCPRIM_400000_NS6detail17trampoline_kernelINS0_14default_configENS1_20scan_config_selectorIN3c108BFloat16EEEZZNS1_9scan_implILNS1_25lookback_scan_determinismE0ELb0ELb0ES3_PKS6_PS6_S6_ZZZN2at6native31launch_logcumsumexp_cuda_kernelERKNSD_10TensorBaseESH_lENKUlvE_clEvENKUlvE4_clEvEUlS6_S6_E_S6_EEDaPvRmT3_T4_T5_mT6_P12ihipStream_tbENKUlT_T0_E_clISt17integral_constantIbLb0EESX_IbLb1EEEEDaST_SU_EUlST_E_NS1_11comp_targetILNS1_3genE3ELNS1_11target_archE908ELNS1_3gpuE7ELNS1_3repE0EEENS1_30default_config_static_selectorELNS0_4arch9wavefront6targetE0EEEvT1_,comdat
	.globl	_ZN7rocprim17ROCPRIM_400000_NS6detail17trampoline_kernelINS0_14default_configENS1_20scan_config_selectorIN3c108BFloat16EEEZZNS1_9scan_implILNS1_25lookback_scan_determinismE0ELb0ELb0ES3_PKS6_PS6_S6_ZZZN2at6native31launch_logcumsumexp_cuda_kernelERKNSD_10TensorBaseESH_lENKUlvE_clEvENKUlvE4_clEvEUlS6_S6_E_S6_EEDaPvRmT3_T4_T5_mT6_P12ihipStream_tbENKUlT_T0_E_clISt17integral_constantIbLb0EESX_IbLb1EEEEDaST_SU_EUlST_E_NS1_11comp_targetILNS1_3genE3ELNS1_11target_archE908ELNS1_3gpuE7ELNS1_3repE0EEENS1_30default_config_static_selectorELNS0_4arch9wavefront6targetE0EEEvT1_ ; -- Begin function _ZN7rocprim17ROCPRIM_400000_NS6detail17trampoline_kernelINS0_14default_configENS1_20scan_config_selectorIN3c108BFloat16EEEZZNS1_9scan_implILNS1_25lookback_scan_determinismE0ELb0ELb0ES3_PKS6_PS6_S6_ZZZN2at6native31launch_logcumsumexp_cuda_kernelERKNSD_10TensorBaseESH_lENKUlvE_clEvENKUlvE4_clEvEUlS6_S6_E_S6_EEDaPvRmT3_T4_T5_mT6_P12ihipStream_tbENKUlT_T0_E_clISt17integral_constantIbLb0EESX_IbLb1EEEEDaST_SU_EUlST_E_NS1_11comp_targetILNS1_3genE3ELNS1_11target_archE908ELNS1_3gpuE7ELNS1_3repE0EEENS1_30default_config_static_selectorELNS0_4arch9wavefront6targetE0EEEvT1_
	.p2align	8
	.type	_ZN7rocprim17ROCPRIM_400000_NS6detail17trampoline_kernelINS0_14default_configENS1_20scan_config_selectorIN3c108BFloat16EEEZZNS1_9scan_implILNS1_25lookback_scan_determinismE0ELb0ELb0ES3_PKS6_PS6_S6_ZZZN2at6native31launch_logcumsumexp_cuda_kernelERKNSD_10TensorBaseESH_lENKUlvE_clEvENKUlvE4_clEvEUlS6_S6_E_S6_EEDaPvRmT3_T4_T5_mT6_P12ihipStream_tbENKUlT_T0_E_clISt17integral_constantIbLb0EESX_IbLb1EEEEDaST_SU_EUlST_E_NS1_11comp_targetILNS1_3genE3ELNS1_11target_archE908ELNS1_3gpuE7ELNS1_3repE0EEENS1_30default_config_static_selectorELNS0_4arch9wavefront6targetE0EEEvT1_,@function
_ZN7rocprim17ROCPRIM_400000_NS6detail17trampoline_kernelINS0_14default_configENS1_20scan_config_selectorIN3c108BFloat16EEEZZNS1_9scan_implILNS1_25lookback_scan_determinismE0ELb0ELb0ES3_PKS6_PS6_S6_ZZZN2at6native31launch_logcumsumexp_cuda_kernelERKNSD_10TensorBaseESH_lENKUlvE_clEvENKUlvE4_clEvEUlS6_S6_E_S6_EEDaPvRmT3_T4_T5_mT6_P12ihipStream_tbENKUlT_T0_E_clISt17integral_constantIbLb0EESX_IbLb1EEEEDaST_SU_EUlST_E_NS1_11comp_targetILNS1_3genE3ELNS1_11target_archE908ELNS1_3gpuE7ELNS1_3repE0EEENS1_30default_config_static_selectorELNS0_4arch9wavefront6targetE0EEEvT1_: ; @_ZN7rocprim17ROCPRIM_400000_NS6detail17trampoline_kernelINS0_14default_configENS1_20scan_config_selectorIN3c108BFloat16EEEZZNS1_9scan_implILNS1_25lookback_scan_determinismE0ELb0ELb0ES3_PKS6_PS6_S6_ZZZN2at6native31launch_logcumsumexp_cuda_kernelERKNSD_10TensorBaseESH_lENKUlvE_clEvENKUlvE4_clEvEUlS6_S6_E_S6_EEDaPvRmT3_T4_T5_mT6_P12ihipStream_tbENKUlT_T0_E_clISt17integral_constantIbLb0EESX_IbLb1EEEEDaST_SU_EUlST_E_NS1_11comp_targetILNS1_3genE3ELNS1_11target_archE908ELNS1_3gpuE7ELNS1_3repE0EEENS1_30default_config_static_selectorELNS0_4arch9wavefront6targetE0EEEvT1_
; %bb.0:
	.section	.rodata,"a",@progbits
	.p2align	6, 0x0
	.amdhsa_kernel _ZN7rocprim17ROCPRIM_400000_NS6detail17trampoline_kernelINS0_14default_configENS1_20scan_config_selectorIN3c108BFloat16EEEZZNS1_9scan_implILNS1_25lookback_scan_determinismE0ELb0ELb0ES3_PKS6_PS6_S6_ZZZN2at6native31launch_logcumsumexp_cuda_kernelERKNSD_10TensorBaseESH_lENKUlvE_clEvENKUlvE4_clEvEUlS6_S6_E_S6_EEDaPvRmT3_T4_T5_mT6_P12ihipStream_tbENKUlT_T0_E_clISt17integral_constantIbLb0EESX_IbLb1EEEEDaST_SU_EUlST_E_NS1_11comp_targetILNS1_3genE3ELNS1_11target_archE908ELNS1_3gpuE7ELNS1_3repE0EEENS1_30default_config_static_selectorELNS0_4arch9wavefront6targetE0EEEvT1_
		.amdhsa_group_segment_fixed_size 0
		.amdhsa_private_segment_fixed_size 0
		.amdhsa_kernarg_size 96
		.amdhsa_user_sgpr_count 15
		.amdhsa_user_sgpr_dispatch_ptr 0
		.amdhsa_user_sgpr_queue_ptr 0
		.amdhsa_user_sgpr_kernarg_segment_ptr 1
		.amdhsa_user_sgpr_dispatch_id 0
		.amdhsa_user_sgpr_private_segment_size 0
		.amdhsa_wavefront_size32 1
		.amdhsa_uses_dynamic_stack 0
		.amdhsa_enable_private_segment 0
		.amdhsa_system_sgpr_workgroup_id_x 1
		.amdhsa_system_sgpr_workgroup_id_y 0
		.amdhsa_system_sgpr_workgroup_id_z 0
		.amdhsa_system_sgpr_workgroup_info 0
		.amdhsa_system_vgpr_workitem_id 0
		.amdhsa_next_free_vgpr 1
		.amdhsa_next_free_sgpr 1
		.amdhsa_reserve_vcc 0
		.amdhsa_float_round_mode_32 0
		.amdhsa_float_round_mode_16_64 0
		.amdhsa_float_denorm_mode_32 3
		.amdhsa_float_denorm_mode_16_64 3
		.amdhsa_dx10_clamp 1
		.amdhsa_ieee_mode 1
		.amdhsa_fp16_overflow 0
		.amdhsa_workgroup_processor_mode 1
		.amdhsa_memory_ordered 1
		.amdhsa_forward_progress 0
		.amdhsa_shared_vgpr_count 0
		.amdhsa_exception_fp_ieee_invalid_op 0
		.amdhsa_exception_fp_denorm_src 0
		.amdhsa_exception_fp_ieee_div_zero 0
		.amdhsa_exception_fp_ieee_overflow 0
		.amdhsa_exception_fp_ieee_underflow 0
		.amdhsa_exception_fp_ieee_inexact 0
		.amdhsa_exception_int_div_zero 0
	.end_amdhsa_kernel
	.section	.text._ZN7rocprim17ROCPRIM_400000_NS6detail17trampoline_kernelINS0_14default_configENS1_20scan_config_selectorIN3c108BFloat16EEEZZNS1_9scan_implILNS1_25lookback_scan_determinismE0ELb0ELb0ES3_PKS6_PS6_S6_ZZZN2at6native31launch_logcumsumexp_cuda_kernelERKNSD_10TensorBaseESH_lENKUlvE_clEvENKUlvE4_clEvEUlS6_S6_E_S6_EEDaPvRmT3_T4_T5_mT6_P12ihipStream_tbENKUlT_T0_E_clISt17integral_constantIbLb0EESX_IbLb1EEEEDaST_SU_EUlST_E_NS1_11comp_targetILNS1_3genE3ELNS1_11target_archE908ELNS1_3gpuE7ELNS1_3repE0EEENS1_30default_config_static_selectorELNS0_4arch9wavefront6targetE0EEEvT1_,"axG",@progbits,_ZN7rocprim17ROCPRIM_400000_NS6detail17trampoline_kernelINS0_14default_configENS1_20scan_config_selectorIN3c108BFloat16EEEZZNS1_9scan_implILNS1_25lookback_scan_determinismE0ELb0ELb0ES3_PKS6_PS6_S6_ZZZN2at6native31launch_logcumsumexp_cuda_kernelERKNSD_10TensorBaseESH_lENKUlvE_clEvENKUlvE4_clEvEUlS6_S6_E_S6_EEDaPvRmT3_T4_T5_mT6_P12ihipStream_tbENKUlT_T0_E_clISt17integral_constantIbLb0EESX_IbLb1EEEEDaST_SU_EUlST_E_NS1_11comp_targetILNS1_3genE3ELNS1_11target_archE908ELNS1_3gpuE7ELNS1_3repE0EEENS1_30default_config_static_selectorELNS0_4arch9wavefront6targetE0EEEvT1_,comdat
.Lfunc_end517:
	.size	_ZN7rocprim17ROCPRIM_400000_NS6detail17trampoline_kernelINS0_14default_configENS1_20scan_config_selectorIN3c108BFloat16EEEZZNS1_9scan_implILNS1_25lookback_scan_determinismE0ELb0ELb0ES3_PKS6_PS6_S6_ZZZN2at6native31launch_logcumsumexp_cuda_kernelERKNSD_10TensorBaseESH_lENKUlvE_clEvENKUlvE4_clEvEUlS6_S6_E_S6_EEDaPvRmT3_T4_T5_mT6_P12ihipStream_tbENKUlT_T0_E_clISt17integral_constantIbLb0EESX_IbLb1EEEEDaST_SU_EUlST_E_NS1_11comp_targetILNS1_3genE3ELNS1_11target_archE908ELNS1_3gpuE7ELNS1_3repE0EEENS1_30default_config_static_selectorELNS0_4arch9wavefront6targetE0EEEvT1_, .Lfunc_end517-_ZN7rocprim17ROCPRIM_400000_NS6detail17trampoline_kernelINS0_14default_configENS1_20scan_config_selectorIN3c108BFloat16EEEZZNS1_9scan_implILNS1_25lookback_scan_determinismE0ELb0ELb0ES3_PKS6_PS6_S6_ZZZN2at6native31launch_logcumsumexp_cuda_kernelERKNSD_10TensorBaseESH_lENKUlvE_clEvENKUlvE4_clEvEUlS6_S6_E_S6_EEDaPvRmT3_T4_T5_mT6_P12ihipStream_tbENKUlT_T0_E_clISt17integral_constantIbLb0EESX_IbLb1EEEEDaST_SU_EUlST_E_NS1_11comp_targetILNS1_3genE3ELNS1_11target_archE908ELNS1_3gpuE7ELNS1_3repE0EEENS1_30default_config_static_selectorELNS0_4arch9wavefront6targetE0EEEvT1_
                                        ; -- End function
	.section	.AMDGPU.csdata,"",@progbits
; Kernel info:
; codeLenInByte = 0
; NumSgprs: 0
; NumVgprs: 0
; ScratchSize: 0
; MemoryBound: 0
; FloatMode: 240
; IeeeMode: 1
; LDSByteSize: 0 bytes/workgroup (compile time only)
; SGPRBlocks: 0
; VGPRBlocks: 0
; NumSGPRsForWavesPerEU: 1
; NumVGPRsForWavesPerEU: 1
; Occupancy: 16
; WaveLimiterHint : 0
; COMPUTE_PGM_RSRC2:SCRATCH_EN: 0
; COMPUTE_PGM_RSRC2:USER_SGPR: 15
; COMPUTE_PGM_RSRC2:TRAP_HANDLER: 0
; COMPUTE_PGM_RSRC2:TGID_X_EN: 1
; COMPUTE_PGM_RSRC2:TGID_Y_EN: 0
; COMPUTE_PGM_RSRC2:TGID_Z_EN: 0
; COMPUTE_PGM_RSRC2:TIDIG_COMP_CNT: 0
	.section	.text._ZN7rocprim17ROCPRIM_400000_NS6detail17trampoline_kernelINS0_14default_configENS1_20scan_config_selectorIN3c108BFloat16EEEZZNS1_9scan_implILNS1_25lookback_scan_determinismE0ELb0ELb0ES3_PKS6_PS6_S6_ZZZN2at6native31launch_logcumsumexp_cuda_kernelERKNSD_10TensorBaseESH_lENKUlvE_clEvENKUlvE4_clEvEUlS6_S6_E_S6_EEDaPvRmT3_T4_T5_mT6_P12ihipStream_tbENKUlT_T0_E_clISt17integral_constantIbLb0EESX_IbLb1EEEEDaST_SU_EUlST_E_NS1_11comp_targetILNS1_3genE2ELNS1_11target_archE906ELNS1_3gpuE6ELNS1_3repE0EEENS1_30default_config_static_selectorELNS0_4arch9wavefront6targetE0EEEvT1_,"axG",@progbits,_ZN7rocprim17ROCPRIM_400000_NS6detail17trampoline_kernelINS0_14default_configENS1_20scan_config_selectorIN3c108BFloat16EEEZZNS1_9scan_implILNS1_25lookback_scan_determinismE0ELb0ELb0ES3_PKS6_PS6_S6_ZZZN2at6native31launch_logcumsumexp_cuda_kernelERKNSD_10TensorBaseESH_lENKUlvE_clEvENKUlvE4_clEvEUlS6_S6_E_S6_EEDaPvRmT3_T4_T5_mT6_P12ihipStream_tbENKUlT_T0_E_clISt17integral_constantIbLb0EESX_IbLb1EEEEDaST_SU_EUlST_E_NS1_11comp_targetILNS1_3genE2ELNS1_11target_archE906ELNS1_3gpuE6ELNS1_3repE0EEENS1_30default_config_static_selectorELNS0_4arch9wavefront6targetE0EEEvT1_,comdat
	.globl	_ZN7rocprim17ROCPRIM_400000_NS6detail17trampoline_kernelINS0_14default_configENS1_20scan_config_selectorIN3c108BFloat16EEEZZNS1_9scan_implILNS1_25lookback_scan_determinismE0ELb0ELb0ES3_PKS6_PS6_S6_ZZZN2at6native31launch_logcumsumexp_cuda_kernelERKNSD_10TensorBaseESH_lENKUlvE_clEvENKUlvE4_clEvEUlS6_S6_E_S6_EEDaPvRmT3_T4_T5_mT6_P12ihipStream_tbENKUlT_T0_E_clISt17integral_constantIbLb0EESX_IbLb1EEEEDaST_SU_EUlST_E_NS1_11comp_targetILNS1_3genE2ELNS1_11target_archE906ELNS1_3gpuE6ELNS1_3repE0EEENS1_30default_config_static_selectorELNS0_4arch9wavefront6targetE0EEEvT1_ ; -- Begin function _ZN7rocprim17ROCPRIM_400000_NS6detail17trampoline_kernelINS0_14default_configENS1_20scan_config_selectorIN3c108BFloat16EEEZZNS1_9scan_implILNS1_25lookback_scan_determinismE0ELb0ELb0ES3_PKS6_PS6_S6_ZZZN2at6native31launch_logcumsumexp_cuda_kernelERKNSD_10TensorBaseESH_lENKUlvE_clEvENKUlvE4_clEvEUlS6_S6_E_S6_EEDaPvRmT3_T4_T5_mT6_P12ihipStream_tbENKUlT_T0_E_clISt17integral_constantIbLb0EESX_IbLb1EEEEDaST_SU_EUlST_E_NS1_11comp_targetILNS1_3genE2ELNS1_11target_archE906ELNS1_3gpuE6ELNS1_3repE0EEENS1_30default_config_static_selectorELNS0_4arch9wavefront6targetE0EEEvT1_
	.p2align	8
	.type	_ZN7rocprim17ROCPRIM_400000_NS6detail17trampoline_kernelINS0_14default_configENS1_20scan_config_selectorIN3c108BFloat16EEEZZNS1_9scan_implILNS1_25lookback_scan_determinismE0ELb0ELb0ES3_PKS6_PS6_S6_ZZZN2at6native31launch_logcumsumexp_cuda_kernelERKNSD_10TensorBaseESH_lENKUlvE_clEvENKUlvE4_clEvEUlS6_S6_E_S6_EEDaPvRmT3_T4_T5_mT6_P12ihipStream_tbENKUlT_T0_E_clISt17integral_constantIbLb0EESX_IbLb1EEEEDaST_SU_EUlST_E_NS1_11comp_targetILNS1_3genE2ELNS1_11target_archE906ELNS1_3gpuE6ELNS1_3repE0EEENS1_30default_config_static_selectorELNS0_4arch9wavefront6targetE0EEEvT1_,@function
_ZN7rocprim17ROCPRIM_400000_NS6detail17trampoline_kernelINS0_14default_configENS1_20scan_config_selectorIN3c108BFloat16EEEZZNS1_9scan_implILNS1_25lookback_scan_determinismE0ELb0ELb0ES3_PKS6_PS6_S6_ZZZN2at6native31launch_logcumsumexp_cuda_kernelERKNSD_10TensorBaseESH_lENKUlvE_clEvENKUlvE4_clEvEUlS6_S6_E_S6_EEDaPvRmT3_T4_T5_mT6_P12ihipStream_tbENKUlT_T0_E_clISt17integral_constantIbLb0EESX_IbLb1EEEEDaST_SU_EUlST_E_NS1_11comp_targetILNS1_3genE2ELNS1_11target_archE906ELNS1_3gpuE6ELNS1_3repE0EEENS1_30default_config_static_selectorELNS0_4arch9wavefront6targetE0EEEvT1_: ; @_ZN7rocprim17ROCPRIM_400000_NS6detail17trampoline_kernelINS0_14default_configENS1_20scan_config_selectorIN3c108BFloat16EEEZZNS1_9scan_implILNS1_25lookback_scan_determinismE0ELb0ELb0ES3_PKS6_PS6_S6_ZZZN2at6native31launch_logcumsumexp_cuda_kernelERKNSD_10TensorBaseESH_lENKUlvE_clEvENKUlvE4_clEvEUlS6_S6_E_S6_EEDaPvRmT3_T4_T5_mT6_P12ihipStream_tbENKUlT_T0_E_clISt17integral_constantIbLb0EESX_IbLb1EEEEDaST_SU_EUlST_E_NS1_11comp_targetILNS1_3genE2ELNS1_11target_archE906ELNS1_3gpuE6ELNS1_3repE0EEENS1_30default_config_static_selectorELNS0_4arch9wavefront6targetE0EEEvT1_
; %bb.0:
	.section	.rodata,"a",@progbits
	.p2align	6, 0x0
	.amdhsa_kernel _ZN7rocprim17ROCPRIM_400000_NS6detail17trampoline_kernelINS0_14default_configENS1_20scan_config_selectorIN3c108BFloat16EEEZZNS1_9scan_implILNS1_25lookback_scan_determinismE0ELb0ELb0ES3_PKS6_PS6_S6_ZZZN2at6native31launch_logcumsumexp_cuda_kernelERKNSD_10TensorBaseESH_lENKUlvE_clEvENKUlvE4_clEvEUlS6_S6_E_S6_EEDaPvRmT3_T4_T5_mT6_P12ihipStream_tbENKUlT_T0_E_clISt17integral_constantIbLb0EESX_IbLb1EEEEDaST_SU_EUlST_E_NS1_11comp_targetILNS1_3genE2ELNS1_11target_archE906ELNS1_3gpuE6ELNS1_3repE0EEENS1_30default_config_static_selectorELNS0_4arch9wavefront6targetE0EEEvT1_
		.amdhsa_group_segment_fixed_size 0
		.amdhsa_private_segment_fixed_size 0
		.amdhsa_kernarg_size 96
		.amdhsa_user_sgpr_count 15
		.amdhsa_user_sgpr_dispatch_ptr 0
		.amdhsa_user_sgpr_queue_ptr 0
		.amdhsa_user_sgpr_kernarg_segment_ptr 1
		.amdhsa_user_sgpr_dispatch_id 0
		.amdhsa_user_sgpr_private_segment_size 0
		.amdhsa_wavefront_size32 1
		.amdhsa_uses_dynamic_stack 0
		.amdhsa_enable_private_segment 0
		.amdhsa_system_sgpr_workgroup_id_x 1
		.amdhsa_system_sgpr_workgroup_id_y 0
		.amdhsa_system_sgpr_workgroup_id_z 0
		.amdhsa_system_sgpr_workgroup_info 0
		.amdhsa_system_vgpr_workitem_id 0
		.amdhsa_next_free_vgpr 1
		.amdhsa_next_free_sgpr 1
		.amdhsa_reserve_vcc 0
		.amdhsa_float_round_mode_32 0
		.amdhsa_float_round_mode_16_64 0
		.amdhsa_float_denorm_mode_32 3
		.amdhsa_float_denorm_mode_16_64 3
		.amdhsa_dx10_clamp 1
		.amdhsa_ieee_mode 1
		.amdhsa_fp16_overflow 0
		.amdhsa_workgroup_processor_mode 1
		.amdhsa_memory_ordered 1
		.amdhsa_forward_progress 0
		.amdhsa_shared_vgpr_count 0
		.amdhsa_exception_fp_ieee_invalid_op 0
		.amdhsa_exception_fp_denorm_src 0
		.amdhsa_exception_fp_ieee_div_zero 0
		.amdhsa_exception_fp_ieee_overflow 0
		.amdhsa_exception_fp_ieee_underflow 0
		.amdhsa_exception_fp_ieee_inexact 0
		.amdhsa_exception_int_div_zero 0
	.end_amdhsa_kernel
	.section	.text._ZN7rocprim17ROCPRIM_400000_NS6detail17trampoline_kernelINS0_14default_configENS1_20scan_config_selectorIN3c108BFloat16EEEZZNS1_9scan_implILNS1_25lookback_scan_determinismE0ELb0ELb0ES3_PKS6_PS6_S6_ZZZN2at6native31launch_logcumsumexp_cuda_kernelERKNSD_10TensorBaseESH_lENKUlvE_clEvENKUlvE4_clEvEUlS6_S6_E_S6_EEDaPvRmT3_T4_T5_mT6_P12ihipStream_tbENKUlT_T0_E_clISt17integral_constantIbLb0EESX_IbLb1EEEEDaST_SU_EUlST_E_NS1_11comp_targetILNS1_3genE2ELNS1_11target_archE906ELNS1_3gpuE6ELNS1_3repE0EEENS1_30default_config_static_selectorELNS0_4arch9wavefront6targetE0EEEvT1_,"axG",@progbits,_ZN7rocprim17ROCPRIM_400000_NS6detail17trampoline_kernelINS0_14default_configENS1_20scan_config_selectorIN3c108BFloat16EEEZZNS1_9scan_implILNS1_25lookback_scan_determinismE0ELb0ELb0ES3_PKS6_PS6_S6_ZZZN2at6native31launch_logcumsumexp_cuda_kernelERKNSD_10TensorBaseESH_lENKUlvE_clEvENKUlvE4_clEvEUlS6_S6_E_S6_EEDaPvRmT3_T4_T5_mT6_P12ihipStream_tbENKUlT_T0_E_clISt17integral_constantIbLb0EESX_IbLb1EEEEDaST_SU_EUlST_E_NS1_11comp_targetILNS1_3genE2ELNS1_11target_archE906ELNS1_3gpuE6ELNS1_3repE0EEENS1_30default_config_static_selectorELNS0_4arch9wavefront6targetE0EEEvT1_,comdat
.Lfunc_end518:
	.size	_ZN7rocprim17ROCPRIM_400000_NS6detail17trampoline_kernelINS0_14default_configENS1_20scan_config_selectorIN3c108BFloat16EEEZZNS1_9scan_implILNS1_25lookback_scan_determinismE0ELb0ELb0ES3_PKS6_PS6_S6_ZZZN2at6native31launch_logcumsumexp_cuda_kernelERKNSD_10TensorBaseESH_lENKUlvE_clEvENKUlvE4_clEvEUlS6_S6_E_S6_EEDaPvRmT3_T4_T5_mT6_P12ihipStream_tbENKUlT_T0_E_clISt17integral_constantIbLb0EESX_IbLb1EEEEDaST_SU_EUlST_E_NS1_11comp_targetILNS1_3genE2ELNS1_11target_archE906ELNS1_3gpuE6ELNS1_3repE0EEENS1_30default_config_static_selectorELNS0_4arch9wavefront6targetE0EEEvT1_, .Lfunc_end518-_ZN7rocprim17ROCPRIM_400000_NS6detail17trampoline_kernelINS0_14default_configENS1_20scan_config_selectorIN3c108BFloat16EEEZZNS1_9scan_implILNS1_25lookback_scan_determinismE0ELb0ELb0ES3_PKS6_PS6_S6_ZZZN2at6native31launch_logcumsumexp_cuda_kernelERKNSD_10TensorBaseESH_lENKUlvE_clEvENKUlvE4_clEvEUlS6_S6_E_S6_EEDaPvRmT3_T4_T5_mT6_P12ihipStream_tbENKUlT_T0_E_clISt17integral_constantIbLb0EESX_IbLb1EEEEDaST_SU_EUlST_E_NS1_11comp_targetILNS1_3genE2ELNS1_11target_archE906ELNS1_3gpuE6ELNS1_3repE0EEENS1_30default_config_static_selectorELNS0_4arch9wavefront6targetE0EEEvT1_
                                        ; -- End function
	.section	.AMDGPU.csdata,"",@progbits
; Kernel info:
; codeLenInByte = 0
; NumSgprs: 0
; NumVgprs: 0
; ScratchSize: 0
; MemoryBound: 0
; FloatMode: 240
; IeeeMode: 1
; LDSByteSize: 0 bytes/workgroup (compile time only)
; SGPRBlocks: 0
; VGPRBlocks: 0
; NumSGPRsForWavesPerEU: 1
; NumVGPRsForWavesPerEU: 1
; Occupancy: 16
; WaveLimiterHint : 0
; COMPUTE_PGM_RSRC2:SCRATCH_EN: 0
; COMPUTE_PGM_RSRC2:USER_SGPR: 15
; COMPUTE_PGM_RSRC2:TRAP_HANDLER: 0
; COMPUTE_PGM_RSRC2:TGID_X_EN: 1
; COMPUTE_PGM_RSRC2:TGID_Y_EN: 0
; COMPUTE_PGM_RSRC2:TGID_Z_EN: 0
; COMPUTE_PGM_RSRC2:TIDIG_COMP_CNT: 0
	.section	.text._ZN7rocprim17ROCPRIM_400000_NS6detail17trampoline_kernelINS0_14default_configENS1_20scan_config_selectorIN3c108BFloat16EEEZZNS1_9scan_implILNS1_25lookback_scan_determinismE0ELb0ELb0ES3_PKS6_PS6_S6_ZZZN2at6native31launch_logcumsumexp_cuda_kernelERKNSD_10TensorBaseESH_lENKUlvE_clEvENKUlvE4_clEvEUlS6_S6_E_S6_EEDaPvRmT3_T4_T5_mT6_P12ihipStream_tbENKUlT_T0_E_clISt17integral_constantIbLb0EESX_IbLb1EEEEDaST_SU_EUlST_E_NS1_11comp_targetILNS1_3genE10ELNS1_11target_archE1201ELNS1_3gpuE5ELNS1_3repE0EEENS1_30default_config_static_selectorELNS0_4arch9wavefront6targetE0EEEvT1_,"axG",@progbits,_ZN7rocprim17ROCPRIM_400000_NS6detail17trampoline_kernelINS0_14default_configENS1_20scan_config_selectorIN3c108BFloat16EEEZZNS1_9scan_implILNS1_25lookback_scan_determinismE0ELb0ELb0ES3_PKS6_PS6_S6_ZZZN2at6native31launch_logcumsumexp_cuda_kernelERKNSD_10TensorBaseESH_lENKUlvE_clEvENKUlvE4_clEvEUlS6_S6_E_S6_EEDaPvRmT3_T4_T5_mT6_P12ihipStream_tbENKUlT_T0_E_clISt17integral_constantIbLb0EESX_IbLb1EEEEDaST_SU_EUlST_E_NS1_11comp_targetILNS1_3genE10ELNS1_11target_archE1201ELNS1_3gpuE5ELNS1_3repE0EEENS1_30default_config_static_selectorELNS0_4arch9wavefront6targetE0EEEvT1_,comdat
	.globl	_ZN7rocprim17ROCPRIM_400000_NS6detail17trampoline_kernelINS0_14default_configENS1_20scan_config_selectorIN3c108BFloat16EEEZZNS1_9scan_implILNS1_25lookback_scan_determinismE0ELb0ELb0ES3_PKS6_PS6_S6_ZZZN2at6native31launch_logcumsumexp_cuda_kernelERKNSD_10TensorBaseESH_lENKUlvE_clEvENKUlvE4_clEvEUlS6_S6_E_S6_EEDaPvRmT3_T4_T5_mT6_P12ihipStream_tbENKUlT_T0_E_clISt17integral_constantIbLb0EESX_IbLb1EEEEDaST_SU_EUlST_E_NS1_11comp_targetILNS1_3genE10ELNS1_11target_archE1201ELNS1_3gpuE5ELNS1_3repE0EEENS1_30default_config_static_selectorELNS0_4arch9wavefront6targetE0EEEvT1_ ; -- Begin function _ZN7rocprim17ROCPRIM_400000_NS6detail17trampoline_kernelINS0_14default_configENS1_20scan_config_selectorIN3c108BFloat16EEEZZNS1_9scan_implILNS1_25lookback_scan_determinismE0ELb0ELb0ES3_PKS6_PS6_S6_ZZZN2at6native31launch_logcumsumexp_cuda_kernelERKNSD_10TensorBaseESH_lENKUlvE_clEvENKUlvE4_clEvEUlS6_S6_E_S6_EEDaPvRmT3_T4_T5_mT6_P12ihipStream_tbENKUlT_T0_E_clISt17integral_constantIbLb0EESX_IbLb1EEEEDaST_SU_EUlST_E_NS1_11comp_targetILNS1_3genE10ELNS1_11target_archE1201ELNS1_3gpuE5ELNS1_3repE0EEENS1_30default_config_static_selectorELNS0_4arch9wavefront6targetE0EEEvT1_
	.p2align	8
	.type	_ZN7rocprim17ROCPRIM_400000_NS6detail17trampoline_kernelINS0_14default_configENS1_20scan_config_selectorIN3c108BFloat16EEEZZNS1_9scan_implILNS1_25lookback_scan_determinismE0ELb0ELb0ES3_PKS6_PS6_S6_ZZZN2at6native31launch_logcumsumexp_cuda_kernelERKNSD_10TensorBaseESH_lENKUlvE_clEvENKUlvE4_clEvEUlS6_S6_E_S6_EEDaPvRmT3_T4_T5_mT6_P12ihipStream_tbENKUlT_T0_E_clISt17integral_constantIbLb0EESX_IbLb1EEEEDaST_SU_EUlST_E_NS1_11comp_targetILNS1_3genE10ELNS1_11target_archE1201ELNS1_3gpuE5ELNS1_3repE0EEENS1_30default_config_static_selectorELNS0_4arch9wavefront6targetE0EEEvT1_,@function
_ZN7rocprim17ROCPRIM_400000_NS6detail17trampoline_kernelINS0_14default_configENS1_20scan_config_selectorIN3c108BFloat16EEEZZNS1_9scan_implILNS1_25lookback_scan_determinismE0ELb0ELb0ES3_PKS6_PS6_S6_ZZZN2at6native31launch_logcumsumexp_cuda_kernelERKNSD_10TensorBaseESH_lENKUlvE_clEvENKUlvE4_clEvEUlS6_S6_E_S6_EEDaPvRmT3_T4_T5_mT6_P12ihipStream_tbENKUlT_T0_E_clISt17integral_constantIbLb0EESX_IbLb1EEEEDaST_SU_EUlST_E_NS1_11comp_targetILNS1_3genE10ELNS1_11target_archE1201ELNS1_3gpuE5ELNS1_3repE0EEENS1_30default_config_static_selectorELNS0_4arch9wavefront6targetE0EEEvT1_: ; @_ZN7rocprim17ROCPRIM_400000_NS6detail17trampoline_kernelINS0_14default_configENS1_20scan_config_selectorIN3c108BFloat16EEEZZNS1_9scan_implILNS1_25lookback_scan_determinismE0ELb0ELb0ES3_PKS6_PS6_S6_ZZZN2at6native31launch_logcumsumexp_cuda_kernelERKNSD_10TensorBaseESH_lENKUlvE_clEvENKUlvE4_clEvEUlS6_S6_E_S6_EEDaPvRmT3_T4_T5_mT6_P12ihipStream_tbENKUlT_T0_E_clISt17integral_constantIbLb0EESX_IbLb1EEEEDaST_SU_EUlST_E_NS1_11comp_targetILNS1_3genE10ELNS1_11target_archE1201ELNS1_3gpuE5ELNS1_3repE0EEENS1_30default_config_static_selectorELNS0_4arch9wavefront6targetE0EEEvT1_
; %bb.0:
	.section	.rodata,"a",@progbits
	.p2align	6, 0x0
	.amdhsa_kernel _ZN7rocprim17ROCPRIM_400000_NS6detail17trampoline_kernelINS0_14default_configENS1_20scan_config_selectorIN3c108BFloat16EEEZZNS1_9scan_implILNS1_25lookback_scan_determinismE0ELb0ELb0ES3_PKS6_PS6_S6_ZZZN2at6native31launch_logcumsumexp_cuda_kernelERKNSD_10TensorBaseESH_lENKUlvE_clEvENKUlvE4_clEvEUlS6_S6_E_S6_EEDaPvRmT3_T4_T5_mT6_P12ihipStream_tbENKUlT_T0_E_clISt17integral_constantIbLb0EESX_IbLb1EEEEDaST_SU_EUlST_E_NS1_11comp_targetILNS1_3genE10ELNS1_11target_archE1201ELNS1_3gpuE5ELNS1_3repE0EEENS1_30default_config_static_selectorELNS0_4arch9wavefront6targetE0EEEvT1_
		.amdhsa_group_segment_fixed_size 0
		.amdhsa_private_segment_fixed_size 0
		.amdhsa_kernarg_size 96
		.amdhsa_user_sgpr_count 15
		.amdhsa_user_sgpr_dispatch_ptr 0
		.amdhsa_user_sgpr_queue_ptr 0
		.amdhsa_user_sgpr_kernarg_segment_ptr 1
		.amdhsa_user_sgpr_dispatch_id 0
		.amdhsa_user_sgpr_private_segment_size 0
		.amdhsa_wavefront_size32 1
		.amdhsa_uses_dynamic_stack 0
		.amdhsa_enable_private_segment 0
		.amdhsa_system_sgpr_workgroup_id_x 1
		.amdhsa_system_sgpr_workgroup_id_y 0
		.amdhsa_system_sgpr_workgroup_id_z 0
		.amdhsa_system_sgpr_workgroup_info 0
		.amdhsa_system_vgpr_workitem_id 0
		.amdhsa_next_free_vgpr 1
		.amdhsa_next_free_sgpr 1
		.amdhsa_reserve_vcc 0
		.amdhsa_float_round_mode_32 0
		.amdhsa_float_round_mode_16_64 0
		.amdhsa_float_denorm_mode_32 3
		.amdhsa_float_denorm_mode_16_64 3
		.amdhsa_dx10_clamp 1
		.amdhsa_ieee_mode 1
		.amdhsa_fp16_overflow 0
		.amdhsa_workgroup_processor_mode 1
		.amdhsa_memory_ordered 1
		.amdhsa_forward_progress 0
		.amdhsa_shared_vgpr_count 0
		.amdhsa_exception_fp_ieee_invalid_op 0
		.amdhsa_exception_fp_denorm_src 0
		.amdhsa_exception_fp_ieee_div_zero 0
		.amdhsa_exception_fp_ieee_overflow 0
		.amdhsa_exception_fp_ieee_underflow 0
		.amdhsa_exception_fp_ieee_inexact 0
		.amdhsa_exception_int_div_zero 0
	.end_amdhsa_kernel
	.section	.text._ZN7rocprim17ROCPRIM_400000_NS6detail17trampoline_kernelINS0_14default_configENS1_20scan_config_selectorIN3c108BFloat16EEEZZNS1_9scan_implILNS1_25lookback_scan_determinismE0ELb0ELb0ES3_PKS6_PS6_S6_ZZZN2at6native31launch_logcumsumexp_cuda_kernelERKNSD_10TensorBaseESH_lENKUlvE_clEvENKUlvE4_clEvEUlS6_S6_E_S6_EEDaPvRmT3_T4_T5_mT6_P12ihipStream_tbENKUlT_T0_E_clISt17integral_constantIbLb0EESX_IbLb1EEEEDaST_SU_EUlST_E_NS1_11comp_targetILNS1_3genE10ELNS1_11target_archE1201ELNS1_3gpuE5ELNS1_3repE0EEENS1_30default_config_static_selectorELNS0_4arch9wavefront6targetE0EEEvT1_,"axG",@progbits,_ZN7rocprim17ROCPRIM_400000_NS6detail17trampoline_kernelINS0_14default_configENS1_20scan_config_selectorIN3c108BFloat16EEEZZNS1_9scan_implILNS1_25lookback_scan_determinismE0ELb0ELb0ES3_PKS6_PS6_S6_ZZZN2at6native31launch_logcumsumexp_cuda_kernelERKNSD_10TensorBaseESH_lENKUlvE_clEvENKUlvE4_clEvEUlS6_S6_E_S6_EEDaPvRmT3_T4_T5_mT6_P12ihipStream_tbENKUlT_T0_E_clISt17integral_constantIbLb0EESX_IbLb1EEEEDaST_SU_EUlST_E_NS1_11comp_targetILNS1_3genE10ELNS1_11target_archE1201ELNS1_3gpuE5ELNS1_3repE0EEENS1_30default_config_static_selectorELNS0_4arch9wavefront6targetE0EEEvT1_,comdat
.Lfunc_end519:
	.size	_ZN7rocprim17ROCPRIM_400000_NS6detail17trampoline_kernelINS0_14default_configENS1_20scan_config_selectorIN3c108BFloat16EEEZZNS1_9scan_implILNS1_25lookback_scan_determinismE0ELb0ELb0ES3_PKS6_PS6_S6_ZZZN2at6native31launch_logcumsumexp_cuda_kernelERKNSD_10TensorBaseESH_lENKUlvE_clEvENKUlvE4_clEvEUlS6_S6_E_S6_EEDaPvRmT3_T4_T5_mT6_P12ihipStream_tbENKUlT_T0_E_clISt17integral_constantIbLb0EESX_IbLb1EEEEDaST_SU_EUlST_E_NS1_11comp_targetILNS1_3genE10ELNS1_11target_archE1201ELNS1_3gpuE5ELNS1_3repE0EEENS1_30default_config_static_selectorELNS0_4arch9wavefront6targetE0EEEvT1_, .Lfunc_end519-_ZN7rocprim17ROCPRIM_400000_NS6detail17trampoline_kernelINS0_14default_configENS1_20scan_config_selectorIN3c108BFloat16EEEZZNS1_9scan_implILNS1_25lookback_scan_determinismE0ELb0ELb0ES3_PKS6_PS6_S6_ZZZN2at6native31launch_logcumsumexp_cuda_kernelERKNSD_10TensorBaseESH_lENKUlvE_clEvENKUlvE4_clEvEUlS6_S6_E_S6_EEDaPvRmT3_T4_T5_mT6_P12ihipStream_tbENKUlT_T0_E_clISt17integral_constantIbLb0EESX_IbLb1EEEEDaST_SU_EUlST_E_NS1_11comp_targetILNS1_3genE10ELNS1_11target_archE1201ELNS1_3gpuE5ELNS1_3repE0EEENS1_30default_config_static_selectorELNS0_4arch9wavefront6targetE0EEEvT1_
                                        ; -- End function
	.section	.AMDGPU.csdata,"",@progbits
; Kernel info:
; codeLenInByte = 0
; NumSgprs: 0
; NumVgprs: 0
; ScratchSize: 0
; MemoryBound: 0
; FloatMode: 240
; IeeeMode: 1
; LDSByteSize: 0 bytes/workgroup (compile time only)
; SGPRBlocks: 0
; VGPRBlocks: 0
; NumSGPRsForWavesPerEU: 1
; NumVGPRsForWavesPerEU: 1
; Occupancy: 16
; WaveLimiterHint : 0
; COMPUTE_PGM_RSRC2:SCRATCH_EN: 0
; COMPUTE_PGM_RSRC2:USER_SGPR: 15
; COMPUTE_PGM_RSRC2:TRAP_HANDLER: 0
; COMPUTE_PGM_RSRC2:TGID_X_EN: 1
; COMPUTE_PGM_RSRC2:TGID_Y_EN: 0
; COMPUTE_PGM_RSRC2:TGID_Z_EN: 0
; COMPUTE_PGM_RSRC2:TIDIG_COMP_CNT: 0
	.section	.text._ZN7rocprim17ROCPRIM_400000_NS6detail17trampoline_kernelINS0_14default_configENS1_20scan_config_selectorIN3c108BFloat16EEEZZNS1_9scan_implILNS1_25lookback_scan_determinismE0ELb0ELb0ES3_PKS6_PS6_S6_ZZZN2at6native31launch_logcumsumexp_cuda_kernelERKNSD_10TensorBaseESH_lENKUlvE_clEvENKUlvE4_clEvEUlS6_S6_E_S6_EEDaPvRmT3_T4_T5_mT6_P12ihipStream_tbENKUlT_T0_E_clISt17integral_constantIbLb0EESX_IbLb1EEEEDaST_SU_EUlST_E_NS1_11comp_targetILNS1_3genE10ELNS1_11target_archE1200ELNS1_3gpuE4ELNS1_3repE0EEENS1_30default_config_static_selectorELNS0_4arch9wavefront6targetE0EEEvT1_,"axG",@progbits,_ZN7rocprim17ROCPRIM_400000_NS6detail17trampoline_kernelINS0_14default_configENS1_20scan_config_selectorIN3c108BFloat16EEEZZNS1_9scan_implILNS1_25lookback_scan_determinismE0ELb0ELb0ES3_PKS6_PS6_S6_ZZZN2at6native31launch_logcumsumexp_cuda_kernelERKNSD_10TensorBaseESH_lENKUlvE_clEvENKUlvE4_clEvEUlS6_S6_E_S6_EEDaPvRmT3_T4_T5_mT6_P12ihipStream_tbENKUlT_T0_E_clISt17integral_constantIbLb0EESX_IbLb1EEEEDaST_SU_EUlST_E_NS1_11comp_targetILNS1_3genE10ELNS1_11target_archE1200ELNS1_3gpuE4ELNS1_3repE0EEENS1_30default_config_static_selectorELNS0_4arch9wavefront6targetE0EEEvT1_,comdat
	.globl	_ZN7rocprim17ROCPRIM_400000_NS6detail17trampoline_kernelINS0_14default_configENS1_20scan_config_selectorIN3c108BFloat16EEEZZNS1_9scan_implILNS1_25lookback_scan_determinismE0ELb0ELb0ES3_PKS6_PS6_S6_ZZZN2at6native31launch_logcumsumexp_cuda_kernelERKNSD_10TensorBaseESH_lENKUlvE_clEvENKUlvE4_clEvEUlS6_S6_E_S6_EEDaPvRmT3_T4_T5_mT6_P12ihipStream_tbENKUlT_T0_E_clISt17integral_constantIbLb0EESX_IbLb1EEEEDaST_SU_EUlST_E_NS1_11comp_targetILNS1_3genE10ELNS1_11target_archE1200ELNS1_3gpuE4ELNS1_3repE0EEENS1_30default_config_static_selectorELNS0_4arch9wavefront6targetE0EEEvT1_ ; -- Begin function _ZN7rocprim17ROCPRIM_400000_NS6detail17trampoline_kernelINS0_14default_configENS1_20scan_config_selectorIN3c108BFloat16EEEZZNS1_9scan_implILNS1_25lookback_scan_determinismE0ELb0ELb0ES3_PKS6_PS6_S6_ZZZN2at6native31launch_logcumsumexp_cuda_kernelERKNSD_10TensorBaseESH_lENKUlvE_clEvENKUlvE4_clEvEUlS6_S6_E_S6_EEDaPvRmT3_T4_T5_mT6_P12ihipStream_tbENKUlT_T0_E_clISt17integral_constantIbLb0EESX_IbLb1EEEEDaST_SU_EUlST_E_NS1_11comp_targetILNS1_3genE10ELNS1_11target_archE1200ELNS1_3gpuE4ELNS1_3repE0EEENS1_30default_config_static_selectorELNS0_4arch9wavefront6targetE0EEEvT1_
	.p2align	8
	.type	_ZN7rocprim17ROCPRIM_400000_NS6detail17trampoline_kernelINS0_14default_configENS1_20scan_config_selectorIN3c108BFloat16EEEZZNS1_9scan_implILNS1_25lookback_scan_determinismE0ELb0ELb0ES3_PKS6_PS6_S6_ZZZN2at6native31launch_logcumsumexp_cuda_kernelERKNSD_10TensorBaseESH_lENKUlvE_clEvENKUlvE4_clEvEUlS6_S6_E_S6_EEDaPvRmT3_T4_T5_mT6_P12ihipStream_tbENKUlT_T0_E_clISt17integral_constantIbLb0EESX_IbLb1EEEEDaST_SU_EUlST_E_NS1_11comp_targetILNS1_3genE10ELNS1_11target_archE1200ELNS1_3gpuE4ELNS1_3repE0EEENS1_30default_config_static_selectorELNS0_4arch9wavefront6targetE0EEEvT1_,@function
_ZN7rocprim17ROCPRIM_400000_NS6detail17trampoline_kernelINS0_14default_configENS1_20scan_config_selectorIN3c108BFloat16EEEZZNS1_9scan_implILNS1_25lookback_scan_determinismE0ELb0ELb0ES3_PKS6_PS6_S6_ZZZN2at6native31launch_logcumsumexp_cuda_kernelERKNSD_10TensorBaseESH_lENKUlvE_clEvENKUlvE4_clEvEUlS6_S6_E_S6_EEDaPvRmT3_T4_T5_mT6_P12ihipStream_tbENKUlT_T0_E_clISt17integral_constantIbLb0EESX_IbLb1EEEEDaST_SU_EUlST_E_NS1_11comp_targetILNS1_3genE10ELNS1_11target_archE1200ELNS1_3gpuE4ELNS1_3repE0EEENS1_30default_config_static_selectorELNS0_4arch9wavefront6targetE0EEEvT1_: ; @_ZN7rocprim17ROCPRIM_400000_NS6detail17trampoline_kernelINS0_14default_configENS1_20scan_config_selectorIN3c108BFloat16EEEZZNS1_9scan_implILNS1_25lookback_scan_determinismE0ELb0ELb0ES3_PKS6_PS6_S6_ZZZN2at6native31launch_logcumsumexp_cuda_kernelERKNSD_10TensorBaseESH_lENKUlvE_clEvENKUlvE4_clEvEUlS6_S6_E_S6_EEDaPvRmT3_T4_T5_mT6_P12ihipStream_tbENKUlT_T0_E_clISt17integral_constantIbLb0EESX_IbLb1EEEEDaST_SU_EUlST_E_NS1_11comp_targetILNS1_3genE10ELNS1_11target_archE1200ELNS1_3gpuE4ELNS1_3repE0EEENS1_30default_config_static_selectorELNS0_4arch9wavefront6targetE0EEEvT1_
; %bb.0:
	.section	.rodata,"a",@progbits
	.p2align	6, 0x0
	.amdhsa_kernel _ZN7rocprim17ROCPRIM_400000_NS6detail17trampoline_kernelINS0_14default_configENS1_20scan_config_selectorIN3c108BFloat16EEEZZNS1_9scan_implILNS1_25lookback_scan_determinismE0ELb0ELb0ES3_PKS6_PS6_S6_ZZZN2at6native31launch_logcumsumexp_cuda_kernelERKNSD_10TensorBaseESH_lENKUlvE_clEvENKUlvE4_clEvEUlS6_S6_E_S6_EEDaPvRmT3_T4_T5_mT6_P12ihipStream_tbENKUlT_T0_E_clISt17integral_constantIbLb0EESX_IbLb1EEEEDaST_SU_EUlST_E_NS1_11comp_targetILNS1_3genE10ELNS1_11target_archE1200ELNS1_3gpuE4ELNS1_3repE0EEENS1_30default_config_static_selectorELNS0_4arch9wavefront6targetE0EEEvT1_
		.amdhsa_group_segment_fixed_size 0
		.amdhsa_private_segment_fixed_size 0
		.amdhsa_kernarg_size 96
		.amdhsa_user_sgpr_count 15
		.amdhsa_user_sgpr_dispatch_ptr 0
		.amdhsa_user_sgpr_queue_ptr 0
		.amdhsa_user_sgpr_kernarg_segment_ptr 1
		.amdhsa_user_sgpr_dispatch_id 0
		.amdhsa_user_sgpr_private_segment_size 0
		.amdhsa_wavefront_size32 1
		.amdhsa_uses_dynamic_stack 0
		.amdhsa_enable_private_segment 0
		.amdhsa_system_sgpr_workgroup_id_x 1
		.amdhsa_system_sgpr_workgroup_id_y 0
		.amdhsa_system_sgpr_workgroup_id_z 0
		.amdhsa_system_sgpr_workgroup_info 0
		.amdhsa_system_vgpr_workitem_id 0
		.amdhsa_next_free_vgpr 1
		.amdhsa_next_free_sgpr 1
		.amdhsa_reserve_vcc 0
		.amdhsa_float_round_mode_32 0
		.amdhsa_float_round_mode_16_64 0
		.amdhsa_float_denorm_mode_32 3
		.amdhsa_float_denorm_mode_16_64 3
		.amdhsa_dx10_clamp 1
		.amdhsa_ieee_mode 1
		.amdhsa_fp16_overflow 0
		.amdhsa_workgroup_processor_mode 1
		.amdhsa_memory_ordered 1
		.amdhsa_forward_progress 0
		.amdhsa_shared_vgpr_count 0
		.amdhsa_exception_fp_ieee_invalid_op 0
		.amdhsa_exception_fp_denorm_src 0
		.amdhsa_exception_fp_ieee_div_zero 0
		.amdhsa_exception_fp_ieee_overflow 0
		.amdhsa_exception_fp_ieee_underflow 0
		.amdhsa_exception_fp_ieee_inexact 0
		.amdhsa_exception_int_div_zero 0
	.end_amdhsa_kernel
	.section	.text._ZN7rocprim17ROCPRIM_400000_NS6detail17trampoline_kernelINS0_14default_configENS1_20scan_config_selectorIN3c108BFloat16EEEZZNS1_9scan_implILNS1_25lookback_scan_determinismE0ELb0ELb0ES3_PKS6_PS6_S6_ZZZN2at6native31launch_logcumsumexp_cuda_kernelERKNSD_10TensorBaseESH_lENKUlvE_clEvENKUlvE4_clEvEUlS6_S6_E_S6_EEDaPvRmT3_T4_T5_mT6_P12ihipStream_tbENKUlT_T0_E_clISt17integral_constantIbLb0EESX_IbLb1EEEEDaST_SU_EUlST_E_NS1_11comp_targetILNS1_3genE10ELNS1_11target_archE1200ELNS1_3gpuE4ELNS1_3repE0EEENS1_30default_config_static_selectorELNS0_4arch9wavefront6targetE0EEEvT1_,"axG",@progbits,_ZN7rocprim17ROCPRIM_400000_NS6detail17trampoline_kernelINS0_14default_configENS1_20scan_config_selectorIN3c108BFloat16EEEZZNS1_9scan_implILNS1_25lookback_scan_determinismE0ELb0ELb0ES3_PKS6_PS6_S6_ZZZN2at6native31launch_logcumsumexp_cuda_kernelERKNSD_10TensorBaseESH_lENKUlvE_clEvENKUlvE4_clEvEUlS6_S6_E_S6_EEDaPvRmT3_T4_T5_mT6_P12ihipStream_tbENKUlT_T0_E_clISt17integral_constantIbLb0EESX_IbLb1EEEEDaST_SU_EUlST_E_NS1_11comp_targetILNS1_3genE10ELNS1_11target_archE1200ELNS1_3gpuE4ELNS1_3repE0EEENS1_30default_config_static_selectorELNS0_4arch9wavefront6targetE0EEEvT1_,comdat
.Lfunc_end520:
	.size	_ZN7rocprim17ROCPRIM_400000_NS6detail17trampoline_kernelINS0_14default_configENS1_20scan_config_selectorIN3c108BFloat16EEEZZNS1_9scan_implILNS1_25lookback_scan_determinismE0ELb0ELb0ES3_PKS6_PS6_S6_ZZZN2at6native31launch_logcumsumexp_cuda_kernelERKNSD_10TensorBaseESH_lENKUlvE_clEvENKUlvE4_clEvEUlS6_S6_E_S6_EEDaPvRmT3_T4_T5_mT6_P12ihipStream_tbENKUlT_T0_E_clISt17integral_constantIbLb0EESX_IbLb1EEEEDaST_SU_EUlST_E_NS1_11comp_targetILNS1_3genE10ELNS1_11target_archE1200ELNS1_3gpuE4ELNS1_3repE0EEENS1_30default_config_static_selectorELNS0_4arch9wavefront6targetE0EEEvT1_, .Lfunc_end520-_ZN7rocprim17ROCPRIM_400000_NS6detail17trampoline_kernelINS0_14default_configENS1_20scan_config_selectorIN3c108BFloat16EEEZZNS1_9scan_implILNS1_25lookback_scan_determinismE0ELb0ELb0ES3_PKS6_PS6_S6_ZZZN2at6native31launch_logcumsumexp_cuda_kernelERKNSD_10TensorBaseESH_lENKUlvE_clEvENKUlvE4_clEvEUlS6_S6_E_S6_EEDaPvRmT3_T4_T5_mT6_P12ihipStream_tbENKUlT_T0_E_clISt17integral_constantIbLb0EESX_IbLb1EEEEDaST_SU_EUlST_E_NS1_11comp_targetILNS1_3genE10ELNS1_11target_archE1200ELNS1_3gpuE4ELNS1_3repE0EEENS1_30default_config_static_selectorELNS0_4arch9wavefront6targetE0EEEvT1_
                                        ; -- End function
	.section	.AMDGPU.csdata,"",@progbits
; Kernel info:
; codeLenInByte = 0
; NumSgprs: 0
; NumVgprs: 0
; ScratchSize: 0
; MemoryBound: 0
; FloatMode: 240
; IeeeMode: 1
; LDSByteSize: 0 bytes/workgroup (compile time only)
; SGPRBlocks: 0
; VGPRBlocks: 0
; NumSGPRsForWavesPerEU: 1
; NumVGPRsForWavesPerEU: 1
; Occupancy: 16
; WaveLimiterHint : 0
; COMPUTE_PGM_RSRC2:SCRATCH_EN: 0
; COMPUTE_PGM_RSRC2:USER_SGPR: 15
; COMPUTE_PGM_RSRC2:TRAP_HANDLER: 0
; COMPUTE_PGM_RSRC2:TGID_X_EN: 1
; COMPUTE_PGM_RSRC2:TGID_Y_EN: 0
; COMPUTE_PGM_RSRC2:TGID_Z_EN: 0
; COMPUTE_PGM_RSRC2:TIDIG_COMP_CNT: 0
	.text
	.p2align	2                               ; -- Begin function _ZZZN7rocprim17ROCPRIM_400000_NS6detail9scan_implILNS1_25lookback_scan_determinismE0ELb0ELb0ENS0_14default_configEPKN3c108BFloat16EPS6_S6_ZZZN2at6native31launch_logcumsumexp_cuda_kernelERKNSA_10TensorBaseESE_lENKUlvE_clEvENKUlvE4_clEvEUlS6_S6_E_S6_EEDaPvRmT3_T4_T5_mT6_P12ihipStream_tbENKUlT_T0_E_clISt17integral_constantIbLb0EESU_IbLb1EEEEDaSQ_SR_ENKUlSQ_E_clINS1_13target_configIS4_NS1_20scan_config_selectorIS6_EENS1_11comp_targetILNS1_3genE9ELNS1_11target_archE1100ELNS1_3gpuE3ELNS1_3repE0EEELNS0_4arch9wavefront6targetE0EEEEEDaSQ_
	.type	_ZZZN7rocprim17ROCPRIM_400000_NS6detail9scan_implILNS1_25lookback_scan_determinismE0ELb0ELb0ENS0_14default_configEPKN3c108BFloat16EPS6_S6_ZZZN2at6native31launch_logcumsumexp_cuda_kernelERKNSA_10TensorBaseESE_lENKUlvE_clEvENKUlvE4_clEvEUlS6_S6_E_S6_EEDaPvRmT3_T4_T5_mT6_P12ihipStream_tbENKUlT_T0_E_clISt17integral_constantIbLb0EESU_IbLb1EEEEDaSQ_SR_ENKUlSQ_E_clINS1_13target_configIS4_NS1_20scan_config_selectorIS6_EENS1_11comp_targetILNS1_3genE9ELNS1_11target_archE1100ELNS1_3gpuE3ELNS1_3repE0EEELNS0_4arch9wavefront6targetE0EEEEEDaSQ_,@function
_ZZZN7rocprim17ROCPRIM_400000_NS6detail9scan_implILNS1_25lookback_scan_determinismE0ELb0ELb0ENS0_14default_configEPKN3c108BFloat16EPS6_S6_ZZZN2at6native31launch_logcumsumexp_cuda_kernelERKNSA_10TensorBaseESE_lENKUlvE_clEvENKUlvE4_clEvEUlS6_S6_E_S6_EEDaPvRmT3_T4_T5_mT6_P12ihipStream_tbENKUlT_T0_E_clISt17integral_constantIbLb0EESU_IbLb1EEEEDaSQ_SR_ENKUlSQ_E_clINS1_13target_configIS4_NS1_20scan_config_selectorIS6_EENS1_11comp_targetILNS1_3genE9ELNS1_11target_archE1100ELNS1_3gpuE3ELNS1_3repE0EEELNS0_4arch9wavefront6targetE0EEEEEDaSQ_: ; @_ZZZN7rocprim17ROCPRIM_400000_NS6detail9scan_implILNS1_25lookback_scan_determinismE0ELb0ELb0ENS0_14default_configEPKN3c108BFloat16EPS6_S6_ZZZN2at6native31launch_logcumsumexp_cuda_kernelERKNSA_10TensorBaseESE_lENKUlvE_clEvENKUlvE4_clEvEUlS6_S6_E_S6_EEDaPvRmT3_T4_T5_mT6_P12ihipStream_tbENKUlT_T0_E_clISt17integral_constantIbLb0EESU_IbLb1EEEEDaSQ_SR_ENKUlSQ_E_clINS1_13target_configIS4_NS1_20scan_config_selectorIS6_EENS1_11comp_targetILNS1_3genE9ELNS1_11target_archE1100ELNS1_3gpuE3ELNS1_3repE0EEELNS0_4arch9wavefront6targetE0EEEEEDaSQ_
; %bb.0:
	s_waitcnt vmcnt(0) expcnt(0) lgkmcnt(0)
	s_or_saveexec_b32 s0, -1
	scratch_store_b32 off, v40, s32         ; 4-byte Folded Spill
	s_mov_b32 exec_lo, s0
	v_writelane_b32 v40, s30, 0
	v_writelane_b32 v40, s31, 1
	s_clause 0x4
	flat_load_b128 v[14:17], v[0:1]
	flat_load_b128 v[10:13], v[0:1] offset:16
	flat_load_b96 v[18:20], v[0:1] offset:40
	flat_load_b128 v[2:5], v[0:1] offset:56
	flat_load_b128 v[6:9], v[0:1] offset:72
	v_and_b32_e32 v21, 0x3ff, v31
	s_delay_alu instid0(VALU_DEP_1) | instskip(SKIP_1) | instid1(VALU_DEP_1)
	v_cmp_ne_u32_e64 s1, 0, v21
	v_cmp_eq_u32_e64 s2, 0, v21
	s_and_saveexec_b32 s0, s2
	s_cbranch_execz .LBB521_2
; %bb.1:
	flat_load_b64 v[0:1], v[0:1] offset:88
	v_mov_b32_e32 v22, 1
	s_waitcnt vmcnt(0) lgkmcnt(0)
	flat_atomic_add_u32 v0, v[0:1], v22 glc
	v_mov_b32_e32 v1, 0
	s_waitcnt vmcnt(0) lgkmcnt(0)
	ds_store_b32 v1, v0
.LBB521_2:
	s_or_b32 exec_lo, exec_lo, s0
	s_waitcnt vmcnt(2) lgkmcnt(2)
	v_dual_mov_b32 v23, 0 :: v_dual_add_nc_u32 v26, -1, v20
	s_waitcnt vmcnt(0) lgkmcnt(0)
	s_waitcnt_vscnt null, 0x0
	s_barrier
	buffer_gl0_inv
	ds_load_b32 v25, v23
	v_lshlrev_b64 v[0:1], 1, v[16:17]
	v_mul_lo_u32 v16, 0x580, v26
	s_waitcnt lgkmcnt(0)
	s_barrier
	buffer_gl0_inv
	v_add_co_u32 v17, vcc_lo, v14, v0
	v_add_co_ci_u32_e32 v27, vcc_lo, v15, v1, vcc_lo
	v_sub_co_u32 v20, vcc_lo, v12, v16
	v_subrev_co_ci_u32_e32 v24, vcc_lo, 0, v13, vcc_lo
	v_mul_lo_u32 v22, 0x580, v25
	v_readfirstlane_b32 s28, v25
	v_cmp_ne_u32_e64 s0, v25, v26
	v_lshlrev_b32_e32 v25, 1, v21
	s_delay_alu instid0(VALU_DEP_4) | instskip(NEXT) | instid1(VALU_DEP_1)
	v_lshlrev_b64 v[14:15], 1, v[22:23]
	v_add_co_u32 v12, vcc_lo, v17, v14
	s_delay_alu instid0(VALU_DEP_2) | instskip(SKIP_1) | instid1(SALU_CYCLE_1)
	v_add_co_ci_u32_e32 v13, vcc_lo, v27, v15, vcc_lo
	s_and_saveexec_b32 s3, s0
	s_xor_b32 s3, exec_lo, s3
	s_cbranch_execz .LBB521_4
; %bb.3:
	v_add_co_u32 v12, vcc_lo, v12, v25
	v_add_co_ci_u32_e32 v13, vcc_lo, 0, v13, vcc_lo
	s_clause 0x15
	flat_load_u16 v16, v[12:13]
	flat_load_u16 v17, v[12:13] offset:128
	flat_load_u16 v22, v[12:13] offset:256
	;; [unrolled: 1-line block ×21, first 2 shown]
	s_waitcnt vmcnt(21) lgkmcnt(21)
	ds_store_b16 v25, v16
	s_waitcnt vmcnt(20) lgkmcnt(21)
	ds_store_b16 v25, v17 offset:128
	s_waitcnt vmcnt(19) lgkmcnt(21)
	ds_store_b16 v25, v22 offset:256
	;; [unrolled: 2-line block ×21, first 2 shown]
	s_waitcnt lgkmcnt(0)
	s_barrier
                                        ; implicit-def: $vgpr12
.LBB521_4:
	s_and_not1_saveexec_b32 s3, s3
	s_cbranch_execz .LBB521_50
; %bb.5:
	flat_load_u16 v16, v[12:13]
	s_mov_b32 s4, exec_lo
	s_waitcnt vmcnt(0) lgkmcnt(0)
	v_mov_b32_e32 v17, v16
	v_cmpx_lt_u32_e64 v21, v20
	s_cbranch_execz .LBB521_7
; %bb.6:
	v_add_co_u32 v22, vcc_lo, v12, v25
	v_add_co_ci_u32_e32 v23, vcc_lo, 0, v13, vcc_lo
	flat_load_u16 v17, v[22:23]
.LBB521_7:
	s_or_b32 exec_lo, exec_lo, s4
	v_add_nc_u32_e32 v22, 64, v21
	s_delay_alu instid0(VALU_DEP_1)
	v_cmp_lt_u32_e32 vcc_lo, v22, v20
	v_mov_b32_e32 v22, v16
	s_and_saveexec_b32 s4, vcc_lo
	s_cbranch_execz .LBB521_9
; %bb.8:
	v_add_co_u32 v22, vcc_lo, v12, v25
	v_add_co_ci_u32_e32 v23, vcc_lo, 0, v13, vcc_lo
	flat_load_u16 v22, v[22:23] offset:128
.LBB521_9:
	s_or_b32 exec_lo, exec_lo, s4
	v_add_nc_u32_e32 v23, 0x80, v21
	s_delay_alu instid0(VALU_DEP_1)
	v_cmp_lt_u32_e32 vcc_lo, v23, v20
	v_mov_b32_e32 v23, v16
	s_and_saveexec_b32 s4, vcc_lo
	s_cbranch_execz .LBB521_11
; %bb.10:
	v_add_co_u32 v26, vcc_lo, v12, v25
	v_add_co_ci_u32_e32 v27, vcc_lo, 0, v13, vcc_lo
	flat_load_u16 v23, v[26:27] offset:256
.LBB521_11:
	s_or_b32 exec_lo, exec_lo, s4
	v_add_nc_u32_e32 v26, 0xc0, v21
	s_delay_alu instid0(VALU_DEP_1)
	v_cmp_lt_u32_e32 vcc_lo, v26, v20
	v_mov_b32_e32 v26, v16
	s_and_saveexec_b32 s4, vcc_lo
	s_cbranch_execz .LBB521_13
; %bb.12:
	v_add_co_u32 v26, vcc_lo, v12, v25
	v_add_co_ci_u32_e32 v27, vcc_lo, 0, v13, vcc_lo
	flat_load_u16 v26, v[26:27] offset:384
.LBB521_13:
	s_or_b32 exec_lo, exec_lo, s4
	v_add_nc_u32_e32 v27, 0x100, v21
	s_delay_alu instid0(VALU_DEP_1)
	v_cmp_lt_u32_e32 vcc_lo, v27, v20
	v_mov_b32_e32 v27, v16
	s_and_saveexec_b32 s4, vcc_lo
	s_cbranch_execz .LBB521_15
; %bb.14:
	v_add_co_u32 v27, vcc_lo, v12, v25
	v_add_co_ci_u32_e32 v28, vcc_lo, 0, v13, vcc_lo
	flat_load_u16 v27, v[27:28] offset:512
.LBB521_15:
	s_or_b32 exec_lo, exec_lo, s4
	v_add_nc_u32_e32 v28, 0x140, v21
	s_delay_alu instid0(VALU_DEP_1)
	v_cmp_lt_u32_e32 vcc_lo, v28, v20
	v_mov_b32_e32 v28, v16
	s_and_saveexec_b32 s4, vcc_lo
	s_cbranch_execz .LBB521_17
; %bb.16:
	v_add_co_u32 v28, vcc_lo, v12, v25
	v_add_co_ci_u32_e32 v29, vcc_lo, 0, v13, vcc_lo
	flat_load_u16 v28, v[28:29] offset:640
.LBB521_17:
	s_or_b32 exec_lo, exec_lo, s4
	v_add_nc_u32_e32 v29, 0x180, v21
	s_delay_alu instid0(VALU_DEP_1)
	v_cmp_lt_u32_e32 vcc_lo, v29, v20
	v_mov_b32_e32 v29, v16
	s_and_saveexec_b32 s4, vcc_lo
	s_cbranch_execz .LBB521_19
; %bb.18:
	v_add_co_u32 v29, vcc_lo, v12, v25
	v_add_co_ci_u32_e32 v30, vcc_lo, 0, v13, vcc_lo
	flat_load_u16 v29, v[29:30] offset:768
.LBB521_19:
	s_or_b32 exec_lo, exec_lo, s4
	v_add_nc_u32_e32 v30, 0x1c0, v21
	s_delay_alu instid0(VALU_DEP_1)
	v_cmp_lt_u32_e32 vcc_lo, v30, v20
	v_mov_b32_e32 v30, v16
	s_and_saveexec_b32 s4, vcc_lo
	s_cbranch_execz .LBB521_21
; %bb.20:
	v_add_co_u32 v30, vcc_lo, v12, v25
	v_add_co_ci_u32_e32 v31, vcc_lo, 0, v13, vcc_lo
	flat_load_u16 v30, v[30:31] offset:896
.LBB521_21:
	s_or_b32 exec_lo, exec_lo, s4
	v_add_nc_u32_e32 v31, 0x200, v21
	s_delay_alu instid0(VALU_DEP_1)
	v_cmp_lt_u32_e32 vcc_lo, v31, v20
	v_mov_b32_e32 v31, v16
	s_and_saveexec_b32 s4, vcc_lo
	s_cbranch_execz .LBB521_23
; %bb.22:
	v_add_co_u32 v31, vcc_lo, v12, v25
	v_add_co_ci_u32_e32 v32, vcc_lo, 0, v13, vcc_lo
	flat_load_u16 v31, v[31:32] offset:1024
.LBB521_23:
	s_or_b32 exec_lo, exec_lo, s4
	v_add_nc_u32_e32 v32, 0x240, v21
	s_delay_alu instid0(VALU_DEP_1)
	v_cmp_lt_u32_e32 vcc_lo, v32, v20
	v_mov_b32_e32 v32, v16
	s_and_saveexec_b32 s4, vcc_lo
	s_cbranch_execz .LBB521_25
; %bb.24:
	v_add_co_u32 v32, vcc_lo, v12, v25
	v_add_co_ci_u32_e32 v33, vcc_lo, 0, v13, vcc_lo
	flat_load_u16 v32, v[32:33] offset:1152
.LBB521_25:
	s_or_b32 exec_lo, exec_lo, s4
	v_add_nc_u32_e32 v33, 0x280, v21
	s_delay_alu instid0(VALU_DEP_1)
	v_cmp_lt_u32_e32 vcc_lo, v33, v20
	v_mov_b32_e32 v33, v16
	s_and_saveexec_b32 s4, vcc_lo
	s_cbranch_execz .LBB521_27
; %bb.26:
	v_add_co_u32 v33, vcc_lo, v12, v25
	v_add_co_ci_u32_e32 v34, vcc_lo, 0, v13, vcc_lo
	flat_load_u16 v33, v[33:34] offset:1280
.LBB521_27:
	s_or_b32 exec_lo, exec_lo, s4
	v_add_nc_u32_e32 v34, 0x2c0, v21
	s_delay_alu instid0(VALU_DEP_1)
	v_cmp_lt_u32_e32 vcc_lo, v34, v20
	v_mov_b32_e32 v34, v16
	s_and_saveexec_b32 s4, vcc_lo
	s_cbranch_execz .LBB521_29
; %bb.28:
	v_add_co_u32 v34, vcc_lo, v12, v25
	v_add_co_ci_u32_e32 v35, vcc_lo, 0, v13, vcc_lo
	flat_load_u16 v34, v[34:35] offset:1408
.LBB521_29:
	s_or_b32 exec_lo, exec_lo, s4
	v_add_nc_u32_e32 v35, 0x300, v21
	s_delay_alu instid0(VALU_DEP_1)
	v_cmp_lt_u32_e32 vcc_lo, v35, v20
	v_mov_b32_e32 v35, v16
	s_and_saveexec_b32 s4, vcc_lo
	s_cbranch_execz .LBB521_31
; %bb.30:
	v_add_co_u32 v35, vcc_lo, v12, v25
	v_add_co_ci_u32_e32 v36, vcc_lo, 0, v13, vcc_lo
	flat_load_u16 v35, v[35:36] offset:1536
.LBB521_31:
	s_or_b32 exec_lo, exec_lo, s4
	v_add_nc_u32_e32 v36, 0x340, v21
	s_delay_alu instid0(VALU_DEP_1)
	v_cmp_lt_u32_e32 vcc_lo, v36, v20
	v_mov_b32_e32 v36, v16
	s_and_saveexec_b32 s4, vcc_lo
	s_cbranch_execz .LBB521_33
; %bb.32:
	v_add_co_u32 v36, vcc_lo, v12, v25
	v_add_co_ci_u32_e32 v37, vcc_lo, 0, v13, vcc_lo
	flat_load_u16 v36, v[36:37] offset:1664
.LBB521_33:
	s_or_b32 exec_lo, exec_lo, s4
	v_add_nc_u32_e32 v37, 0x380, v21
	s_delay_alu instid0(VALU_DEP_1)
	v_cmp_lt_u32_e32 vcc_lo, v37, v20
	v_mov_b32_e32 v37, v16
	s_and_saveexec_b32 s4, vcc_lo
	s_cbranch_execz .LBB521_35
; %bb.34:
	v_add_co_u32 v37, vcc_lo, v12, v25
	v_add_co_ci_u32_e32 v38, vcc_lo, 0, v13, vcc_lo
	flat_load_u16 v37, v[37:38] offset:1792
.LBB521_35:
	s_or_b32 exec_lo, exec_lo, s4
	v_add_nc_u32_e32 v38, 0x3c0, v21
	s_delay_alu instid0(VALU_DEP_1)
	v_cmp_lt_u32_e32 vcc_lo, v38, v20
	v_mov_b32_e32 v38, v16
	s_and_saveexec_b32 s4, vcc_lo
	s_cbranch_execz .LBB521_37
; %bb.36:
	v_add_co_u32 v38, vcc_lo, v12, v25
	v_add_co_ci_u32_e32 v39, vcc_lo, 0, v13, vcc_lo
	flat_load_u16 v38, v[38:39] offset:1920
.LBB521_37:
	s_or_b32 exec_lo, exec_lo, s4
	v_or_b32_e32 v39, 0x400, v21
	s_delay_alu instid0(VALU_DEP_1)
	v_cmp_lt_u32_e32 vcc_lo, v39, v20
	v_mov_b32_e32 v39, v16
	s_and_saveexec_b32 s4, vcc_lo
	s_cbranch_execz .LBB521_39
; %bb.38:
	v_add_co_u32 v48, vcc_lo, v12, v25
	v_add_co_ci_u32_e32 v49, vcc_lo, 0, v13, vcc_lo
	flat_load_u16 v39, v[48:49] offset:2048
.LBB521_39:
	s_or_b32 exec_lo, exec_lo, s4
	v_add_nc_u32_e32 v48, 0x440, v21
	s_delay_alu instid0(VALU_DEP_1)
	v_cmp_lt_u32_e32 vcc_lo, v48, v20
	v_mov_b32_e32 v48, v16
	s_and_saveexec_b32 s4, vcc_lo
	s_cbranch_execz .LBB521_41
; %bb.40:
	v_add_co_u32 v48, vcc_lo, v12, v25
	v_add_co_ci_u32_e32 v49, vcc_lo, 0, v13, vcc_lo
	flat_load_u16 v48, v[48:49] offset:2176
.LBB521_41:
	s_or_b32 exec_lo, exec_lo, s4
	v_add_nc_u32_e32 v49, 0x480, v21
	;; [unrolled: 12-line block ×5, first 2 shown]
	s_mov_b32 s4, exec_lo
	s_delay_alu instid0(VALU_DEP_1)
	v_cmpx_lt_u32_e64 v52, v20
	s_cbranch_execz .LBB521_49
; %bb.48:
	v_add_co_u32 v12, vcc_lo, v12, v25
	v_add_co_ci_u32_e32 v13, vcc_lo, 0, v13, vcc_lo
	flat_load_u16 v16, v[12:13] offset:2688
.LBB521_49:
	s_or_b32 exec_lo, exec_lo, s4
	s_waitcnt vmcnt(0) lgkmcnt(0)
	ds_store_b16 v25, v17
	ds_store_b16 v25, v22 offset:128
	ds_store_b16 v25, v23 offset:256
	;; [unrolled: 1-line block ×21, first 2 shown]
	s_waitcnt lgkmcnt(0)
	s_barrier
.LBB521_50:
	s_or_b32 exec_lo, exec_lo, s3
	v_mul_u32_u24_e32 v26, 22, v21
	buffer_gl0_inv
	s_cmp_lg_u32 s28, 0
	v_lshlrev_b32_e32 v27, 1, v26
	ds_load_2addr_b32 v[12:13], v27 offset1:1
	ds_load_2addr_b32 v[16:17], v27 offset0:2 offset1:3
	ds_load_2addr_b32 v[22:23], v27 offset0:4 offset1:5
	;; [unrolled: 1-line block ×4, first 2 shown]
	ds_load_b32 v66, v27 offset:40
	s_waitcnt lgkmcnt(0)
	s_barrier
	buffer_gl0_inv
	v_lshrrev_b32_e32 v67, 16, v12
	v_lshrrev_b32_e32 v54, 16, v13
	v_and_b32_e32 v55, 0xffff, v13
	v_lshrrev_b32_e32 v52, 16, v16
	v_lshrrev_b32_e32 v50, 16, v17
	v_and_b32_e32 v53, 0xffff, v16
	v_and_b32_e32 v51, 0xffff, v17
	v_lshrrev_b32_e32 v48, 16, v22
	v_lshrrev_b32_e32 v38, 16, v23
	v_and_b32_e32 v49, 0xffff, v22
	;; [unrolled: 4-line block ×4, first 2 shown]
	v_and_b32_e32 v31, 0xffff, v65
	v_lshrrev_b32_e32 v28, 16, v66
	v_and_b32_e32 v29, 0xffff, v66
	v_lshlrev_b32_e32 v13, 16, v67
	s_cbranch_scc0 .LBB521_235
; %bb.51:
	s_delay_alu instid0(VALU_DEP_1) | instskip(SKIP_2) | instid1(VALU_DEP_2)
	v_max_f32_e32 v65, v13, v13
	v_lshlrev_b32_e32 v145, 16, v12
	v_cmp_u_f32_e64 s3, v13, v13
	v_max_f32_e32 v146, v145, v145
	s_delay_alu instid0(VALU_DEP_1) | instskip(SKIP_2) | instid1(VALU_DEP_1)
	v_min_f32_e32 v16, v146, v65
	v_max_f32_e32 v17, v146, v65
	v_cmp_u_f32_e64 s24, v145, v145
	v_cndmask_b32_e64 v16, v16, v145, s24
	s_delay_alu instid0(VALU_DEP_3) | instskip(NEXT) | instid1(VALU_DEP_2)
	v_cndmask_b32_e64 v17, v17, v145, s24
	v_cndmask_b32_e64 v22, v16, v13, s3
	s_delay_alu instid0(VALU_DEP_2) | instskip(SKIP_1) | instid1(VALU_DEP_3)
	v_cndmask_b32_e64 v16, v17, v13, s3
	v_mov_b32_e32 v17, v145
	v_cmp_class_f32_e64 s4, v22, 0x1f8
	s_delay_alu instid0(VALU_DEP_3) | instskip(NEXT) | instid1(VALU_DEP_2)
	v_cmp_neq_f32_e32 vcc_lo, v22, v16
	s_or_b32 s5, vcc_lo, s4
	s_delay_alu instid0(SALU_CYCLE_1)
	s_and_saveexec_b32 s4, s5
	s_cbranch_execz .LBB521_53
; %bb.52:
	v_sub_f32_e32 v17, v22, v16
	s_mov_b32 s5, 0x3e9b6dac
	s_delay_alu instid0(VALU_DEP_1) | instskip(SKIP_1) | instid1(VALU_DEP_2)
	v_mul_f32_e32 v22, 0x3fb8aa3b, v17
	v_cmp_ngt_f32_e32 vcc_lo, 0xc2ce8ed0, v17
	v_fma_f32 v23, 0x3fb8aa3b, v17, -v22
	v_rndne_f32_e32 v64, v22
	s_delay_alu instid0(VALU_DEP_1) | instskip(NEXT) | instid1(VALU_DEP_1)
	v_dual_fmamk_f32 v23, v17, 0x32a5705f, v23 :: v_dual_sub_f32 v22, v22, v64
	v_add_f32_e32 v22, v22, v23
	v_cvt_i32_f32_e32 v23, v64
	s_delay_alu instid0(VALU_DEP_2) | instskip(SKIP_2) | instid1(VALU_DEP_1)
	v_exp_f32_e32 v22, v22
	s_waitcnt_depctr 0xfff
	v_ldexp_f32 v22, v22, v23
	v_cndmask_b32_e32 v22, 0, v22, vcc_lo
	v_cmp_nlt_f32_e32 vcc_lo, 0x42b17218, v17
	s_delay_alu instid0(VALU_DEP_2) | instskip(NEXT) | instid1(VALU_DEP_1)
	v_cndmask_b32_e32 v17, 0x7f800000, v22, vcc_lo
	v_add_f32_e32 v64, 1.0, v17
	s_delay_alu instid0(VALU_DEP_1) | instskip(NEXT) | instid1(VALU_DEP_1)
	v_cvt_f64_f32_e32 v[22:23], v64
	v_frexp_exp_i32_f64_e32 v22, v[22:23]
	v_frexp_mant_f32_e32 v23, v64
	s_delay_alu instid0(VALU_DEP_1) | instskip(SKIP_1) | instid1(VALU_DEP_1)
	v_cmp_gt_f32_e32 vcc_lo, 0x3f2aaaab, v23
	v_add_f32_e32 v23, -1.0, v64
	v_sub_f32_e32 v67, v23, v64
	v_subrev_co_ci_u32_e32 v22, vcc_lo, 0, v22, vcc_lo
	s_delay_alu instid0(VALU_DEP_1) | instskip(SKIP_1) | instid1(VALU_DEP_2)
	v_sub_nc_u32_e32 v66, 0, v22
	v_cvt_f32_i32_e32 v22, v22
	v_ldexp_f32 v64, v64, v66
	s_delay_alu instid0(VALU_DEP_1) | instskip(SKIP_2) | instid1(VALU_DEP_2)
	v_dual_add_f32 v67, 1.0, v67 :: v_dual_add_f32 v68, 1.0, v64
	v_sub_f32_e32 v23, v17, v23
	v_cmp_eq_f32_e32 vcc_lo, 0x7f800000, v17
	v_add_f32_e32 v23, v23, v67
	s_delay_alu instid0(VALU_DEP_1) | instskip(SKIP_2) | instid1(VALU_DEP_2)
	v_ldexp_f32 v23, v23, v66
	v_add_f32_e32 v66, -1.0, v64
	v_add_f32_e32 v67, -1.0, v68
	v_add_f32_e32 v69, 1.0, v66
	s_delay_alu instid0(VALU_DEP_2) | instskip(NEXT) | instid1(VALU_DEP_1)
	v_sub_f32_e32 v67, v64, v67
	v_dual_sub_f32 v64, v64, v69 :: v_dual_add_f32 v67, v23, v67
	s_delay_alu instid0(VALU_DEP_1) | instskip(NEXT) | instid1(VALU_DEP_1)
	v_add_f32_e32 v23, v23, v64
	v_add_f32_e32 v70, v66, v23
	s_delay_alu instid0(VALU_DEP_1) | instskip(NEXT) | instid1(VALU_DEP_1)
	v_dual_add_f32 v69, v68, v67 :: v_dual_sub_f32 v66, v66, v70
	v_rcp_f32_e32 v64, v69
	v_sub_f32_e32 v68, v68, v69
	s_delay_alu instid0(VALU_DEP_1) | instskip(SKIP_2) | instid1(VALU_DEP_1)
	v_add_f32_e32 v67, v67, v68
	s_waitcnt_depctr 0xfff
	v_mul_f32_e32 v71, v70, v64
	v_mul_f32_e32 v80, v69, v71
	s_delay_alu instid0(VALU_DEP_1) | instskip(NEXT) | instid1(VALU_DEP_1)
	v_fma_f32 v68, v71, v69, -v80
	v_fmac_f32_e32 v68, v71, v67
	s_delay_alu instid0(VALU_DEP_1) | instskip(NEXT) | instid1(VALU_DEP_1)
	v_add_f32_e32 v81, v80, v68
	v_dual_add_f32 v23, v23, v66 :: v_dual_sub_f32 v66, v81, v80
	v_sub_f32_e32 v82, v70, v81
	s_delay_alu instid0(VALU_DEP_1) | instskip(NEXT) | instid1(VALU_DEP_1)
	v_sub_f32_e32 v70, v70, v82
	v_sub_f32_e32 v70, v70, v81
	s_delay_alu instid0(VALU_DEP_1) | instskip(NEXT) | instid1(VALU_DEP_1)
	v_dual_sub_f32 v66, v66, v68 :: v_dual_add_f32 v23, v23, v70
	v_add_f32_e32 v23, v66, v23
	s_delay_alu instid0(VALU_DEP_1) | instskip(NEXT) | instid1(VALU_DEP_1)
	v_add_f32_e32 v66, v82, v23
	v_mul_f32_e32 v68, v64, v66
	s_delay_alu instid0(VALU_DEP_1) | instskip(NEXT) | instid1(VALU_DEP_1)
	v_dual_sub_f32 v81, v82, v66 :: v_dual_mul_f32 v70, v69, v68
	v_add_f32_e32 v23, v23, v81
	s_delay_alu instid0(VALU_DEP_2) | instskip(NEXT) | instid1(VALU_DEP_1)
	v_fma_f32 v69, v68, v69, -v70
	v_fmac_f32_e32 v69, v68, v67
	s_delay_alu instid0(VALU_DEP_1) | instskip(NEXT) | instid1(VALU_DEP_1)
	v_add_f32_e32 v67, v70, v69
	v_sub_f32_e32 v80, v66, v67
	s_delay_alu instid0(VALU_DEP_1) | instskip(NEXT) | instid1(VALU_DEP_1)
	v_sub_f32_e32 v66, v66, v80
	v_sub_f32_e32 v66, v66, v67
	s_delay_alu instid0(VALU_DEP_1) | instskip(SKIP_2) | instid1(VALU_DEP_1)
	v_add_f32_e32 v23, v23, v66
	v_add_f32_e32 v66, v71, v68
	v_sub_f32_e32 v70, v67, v70
	v_sub_f32_e32 v67, v70, v69
	s_delay_alu instid0(VALU_DEP_1) | instskip(NEXT) | instid1(VALU_DEP_4)
	v_add_f32_e32 v23, v67, v23
	v_sub_f32_e32 v67, v66, v71
	s_delay_alu instid0(VALU_DEP_2) | instskip(NEXT) | instid1(VALU_DEP_2)
	v_add_f32_e32 v23, v80, v23
	v_sub_f32_e32 v67, v68, v67
	s_delay_alu instid0(VALU_DEP_2) | instskip(NEXT) | instid1(VALU_DEP_1)
	v_mul_f32_e32 v23, v64, v23
	v_add_f32_e32 v23, v67, v23
	s_delay_alu instid0(VALU_DEP_1) | instskip(NEXT) | instid1(VALU_DEP_1)
	v_add_f32_e32 v64, v66, v23
	v_mul_f32_e32 v67, v64, v64
	s_delay_alu instid0(VALU_DEP_1) | instskip(SKIP_2) | instid1(VALU_DEP_3)
	v_fmaak_f32 v68, s5, v67, 0x3ecc95a3
	v_mul_f32_e32 v69, v64, v67
	v_cmp_gt_f32_e64 s5, 0x33800000, |v17|
	v_fmaak_f32 v67, v67, v68, 0x3f2aaada
	v_ldexp_f32 v68, v64, 1
	v_sub_f32_e32 v64, v64, v66
	s_delay_alu instid0(VALU_DEP_4) | instskip(NEXT) | instid1(VALU_DEP_3)
	s_or_b32 vcc_lo, vcc_lo, s5
	v_mul_f32_e32 v67, v69, v67
	s_delay_alu instid0(VALU_DEP_1) | instskip(NEXT) | instid1(VALU_DEP_1)
	v_dual_sub_f32 v23, v23, v64 :: v_dual_add_f32 v66, v68, v67
	v_ldexp_f32 v23, v23, 1
	s_delay_alu instid0(VALU_DEP_2) | instskip(NEXT) | instid1(VALU_DEP_1)
	v_sub_f32_e32 v64, v66, v68
	v_sub_f32_e32 v64, v67, v64
	s_delay_alu instid0(VALU_DEP_1) | instskip(NEXT) | instid1(VALU_DEP_1)
	v_add_f32_e32 v23, v23, v64
	v_add_f32_e32 v67, v66, v23
	v_mul_f32_e32 v69, 0x3f317218, v22
	s_delay_alu instid0(VALU_DEP_2) | instskip(NEXT) | instid1(VALU_DEP_2)
	v_sub_f32_e32 v66, v67, v66
	v_fma_f32 v68, 0x3f317218, v22, -v69
	s_delay_alu instid0(VALU_DEP_1) | instskip(NEXT) | instid1(VALU_DEP_1)
	v_fmamk_f32 v22, v22, 0xb102e308, v68
	v_add_f32_e32 v64, v69, v22
	s_delay_alu instid0(VALU_DEP_1) | instskip(NEXT) | instid1(VALU_DEP_1)
	v_add_f32_e32 v68, v64, v67
	v_sub_f32_e32 v70, v68, v64
	v_sub_f32_e32 v69, v64, v69
	s_delay_alu instid0(VALU_DEP_2) | instskip(NEXT) | instid1(VALU_DEP_1)
	v_sub_f32_e32 v71, v68, v70
	v_dual_sub_f32 v64, v64, v71 :: v_dual_sub_f32 v23, v23, v66
	v_sub_f32_e32 v66, v67, v70
	s_delay_alu instid0(VALU_DEP_4) | instskip(NEXT) | instid1(VALU_DEP_2)
	v_sub_f32_e32 v22, v22, v69
	v_add_f32_e32 v64, v66, v64
	s_delay_alu instid0(VALU_DEP_2) | instskip(NEXT) | instid1(VALU_DEP_1)
	v_add_f32_e32 v67, v22, v23
	v_add_f32_e32 v64, v67, v64
	s_delay_alu instid0(VALU_DEP_1) | instskip(NEXT) | instid1(VALU_DEP_1)
	v_dual_sub_f32 v66, v67, v22 :: v_dual_add_f32 v69, v68, v64
	v_sub_f32_e32 v67, v67, v66
	s_delay_alu instid0(VALU_DEP_1) | instskip(NEXT) | instid1(VALU_DEP_3)
	v_dual_sub_f32 v22, v22, v67 :: v_dual_sub_f32 v23, v23, v66
	v_sub_f32_e32 v66, v69, v68
	s_delay_alu instid0(VALU_DEP_2) | instskip(NEXT) | instid1(VALU_DEP_2)
	v_add_f32_e32 v22, v23, v22
	v_sub_f32_e32 v23, v64, v66
	s_delay_alu instid0(VALU_DEP_1) | instskip(NEXT) | instid1(VALU_DEP_1)
	v_add_f32_e32 v22, v22, v23
	v_add_f32_e32 v22, v69, v22
	s_delay_alu instid0(VALU_DEP_1) | instskip(NEXT) | instid1(VALU_DEP_1)
	v_cndmask_b32_e32 v17, v22, v17, vcc_lo
	v_add_f32_e32 v17, v16, v17
.LBB521_53:
	s_or_b32 exec_lo, exec_lo, s4
	s_delay_alu instid0(VALU_DEP_1) | instskip(SKIP_1) | instid1(VALU_DEP_2)
	v_bfe_u32 v16, v17, 16, 1
	v_cmp_o_f32_e32 vcc_lo, v17, v17
	v_add3_u32 v16, v17, v16, 0x7fff
	s_delay_alu instid0(VALU_DEP_1) | instskip(NEXT) | instid1(VALU_DEP_1)
	v_and_b32_e32 v16, 0xffff0000, v16
	v_dual_cndmask_b32 v17, 0x7fc00000, v16 :: v_dual_lshlrev_b32 v64, 16, v55
	s_delay_alu instid0(VALU_DEP_1) | instskip(SKIP_1) | instid1(VALU_DEP_3)
	v_max_f32_e32 v68, v64, v64
	v_cmp_u_f32_e64 s4, v64, v64
	v_max_f32_e32 v16, v17, v17
	v_cmp_u_f32_e32 vcc_lo, v17, v17
	s_delay_alu instid0(VALU_DEP_2) | instskip(SKIP_1) | instid1(VALU_DEP_2)
	v_min_f32_e32 v22, v16, v68
	v_max_f32_e32 v16, v16, v68
	v_cndmask_b32_e32 v22, v22, v17, vcc_lo
	s_delay_alu instid0(VALU_DEP_2) | instskip(NEXT) | instid1(VALU_DEP_2)
	v_cndmask_b32_e32 v16, v16, v17, vcc_lo
	v_cndmask_b32_e64 v22, v22, v64, s4
	s_delay_alu instid0(VALU_DEP_2) | instskip(NEXT) | instid1(VALU_DEP_2)
	v_cndmask_b32_e64 v16, v16, v64, s4
	v_cmp_class_f32_e64 s5, v22, 0x1f8
	s_delay_alu instid0(VALU_DEP_2) | instskip(NEXT) | instid1(VALU_DEP_2)
	v_cmp_neq_f32_e32 vcc_lo, v22, v16
	s_or_b32 s6, vcc_lo, s5
	s_delay_alu instid0(SALU_CYCLE_1)
	s_and_saveexec_b32 s5, s6
	s_cbranch_execz .LBB521_55
; %bb.54:
	v_sub_f32_e32 v17, v22, v16
	s_mov_b32 s6, 0x3e9b6dac
	s_delay_alu instid0(VALU_DEP_1) | instskip(SKIP_1) | instid1(VALU_DEP_2)
	v_mul_f32_e32 v22, 0x3fb8aa3b, v17
	v_cmp_ngt_f32_e32 vcc_lo, 0xc2ce8ed0, v17
	v_fma_f32 v23, 0x3fb8aa3b, v17, -v22
	v_rndne_f32_e32 v66, v22
	s_delay_alu instid0(VALU_DEP_1) | instskip(NEXT) | instid1(VALU_DEP_1)
	v_dual_fmamk_f32 v23, v17, 0x32a5705f, v23 :: v_dual_sub_f32 v22, v22, v66
	v_add_f32_e32 v22, v22, v23
	v_cvt_i32_f32_e32 v23, v66
	s_delay_alu instid0(VALU_DEP_2) | instskip(SKIP_2) | instid1(VALU_DEP_1)
	v_exp_f32_e32 v22, v22
	s_waitcnt_depctr 0xfff
	v_ldexp_f32 v22, v22, v23
	v_cndmask_b32_e32 v22, 0, v22, vcc_lo
	v_cmp_nlt_f32_e32 vcc_lo, 0x42b17218, v17
	s_delay_alu instid0(VALU_DEP_2) | instskip(NEXT) | instid1(VALU_DEP_1)
	v_cndmask_b32_e32 v17, 0x7f800000, v22, vcc_lo
	v_add_f32_e32 v66, 1.0, v17
	s_delay_alu instid0(VALU_DEP_1) | instskip(NEXT) | instid1(VALU_DEP_1)
	v_cvt_f64_f32_e32 v[22:23], v66
	v_frexp_exp_i32_f64_e32 v22, v[22:23]
	v_frexp_mant_f32_e32 v23, v66
	s_delay_alu instid0(VALU_DEP_1) | instskip(SKIP_1) | instid1(VALU_DEP_1)
	v_cmp_gt_f32_e32 vcc_lo, 0x3f2aaaab, v23
	v_add_f32_e32 v23, -1.0, v66
	v_sub_f32_e32 v69, v23, v66
	v_sub_f32_e32 v23, v17, v23
	v_subrev_co_ci_u32_e32 v22, vcc_lo, 0, v22, vcc_lo
	s_delay_alu instid0(VALU_DEP_1) | instskip(SKIP_1) | instid1(VALU_DEP_2)
	v_sub_nc_u32_e32 v67, 0, v22
	v_cvt_f32_i32_e32 v22, v22
	v_ldexp_f32 v66, v66, v67
	s_delay_alu instid0(VALU_DEP_1) | instskip(NEXT) | instid1(VALU_DEP_1)
	v_dual_add_f32 v69, 1.0, v69 :: v_dual_add_f32 v70, 1.0, v66
	v_add_f32_e32 v23, v23, v69
	s_delay_alu instid0(VALU_DEP_1) | instskip(SKIP_1) | instid1(VALU_DEP_4)
	v_ldexp_f32 v23, v23, v67
	v_add_f32_e32 v67, -1.0, v66
	v_add_f32_e32 v69, -1.0, v70
	s_delay_alu instid0(VALU_DEP_2) | instskip(NEXT) | instid1(VALU_DEP_2)
	v_add_f32_e32 v71, 1.0, v67
	v_sub_f32_e32 v69, v66, v69
	s_delay_alu instid0(VALU_DEP_1) | instskip(SKIP_1) | instid1(VALU_DEP_2)
	v_dual_sub_f32 v66, v66, v71 :: v_dual_add_f32 v69, v23, v69
	v_cmp_eq_f32_e32 vcc_lo, 0x7f800000, v17
	v_add_f32_e32 v23, v23, v66
	s_delay_alu instid0(VALU_DEP_1) | instskip(NEXT) | instid1(VALU_DEP_1)
	v_dual_add_f32 v71, v70, v69 :: v_dual_add_f32 v80, v67, v23
	v_rcp_f32_e32 v66, v71
	v_sub_f32_e32 v70, v70, v71
	s_delay_alu instid0(VALU_DEP_1) | instskip(SKIP_2) | instid1(VALU_DEP_1)
	v_add_f32_e32 v69, v69, v70
	s_waitcnt_depctr 0xfff
	v_mul_f32_e32 v81, v80, v66
	v_mul_f32_e32 v82, v71, v81
	v_sub_f32_e32 v67, v67, v80
	s_delay_alu instid0(VALU_DEP_2) | instskip(NEXT) | instid1(VALU_DEP_1)
	v_fma_f32 v70, v81, v71, -v82
	v_dual_add_f32 v23, v23, v67 :: v_dual_fmac_f32 v70, v81, v69
	s_delay_alu instid0(VALU_DEP_1) | instskip(NEXT) | instid1(VALU_DEP_1)
	v_add_f32_e32 v83, v82, v70
	v_dual_sub_f32 v84, v80, v83 :: v_dual_sub_f32 v67, v83, v82
	s_delay_alu instid0(VALU_DEP_1) | instskip(NEXT) | instid1(VALU_DEP_1)
	v_dual_sub_f32 v80, v80, v84 :: v_dual_sub_f32 v67, v67, v70
	v_sub_f32_e32 v80, v80, v83
	s_delay_alu instid0(VALU_DEP_1) | instskip(NEXT) | instid1(VALU_DEP_1)
	v_add_f32_e32 v23, v23, v80
	v_add_f32_e32 v23, v67, v23
	s_delay_alu instid0(VALU_DEP_1) | instskip(NEXT) | instid1(VALU_DEP_1)
	v_add_f32_e32 v67, v84, v23
	v_mul_f32_e32 v70, v66, v67
	s_delay_alu instid0(VALU_DEP_1) | instskip(NEXT) | instid1(VALU_DEP_1)
	v_dual_mul_f32 v80, v71, v70 :: v_dual_sub_f32 v83, v84, v67
	v_fma_f32 v71, v70, v71, -v80
	s_delay_alu instid0(VALU_DEP_2) | instskip(NEXT) | instid1(VALU_DEP_2)
	v_add_f32_e32 v23, v23, v83
	v_fmac_f32_e32 v71, v70, v69
	s_delay_alu instid0(VALU_DEP_1) | instskip(NEXT) | instid1(VALU_DEP_1)
	v_add_f32_e32 v69, v80, v71
	v_sub_f32_e32 v82, v67, v69
	s_delay_alu instid0(VALU_DEP_1) | instskip(NEXT) | instid1(VALU_DEP_1)
	v_dual_sub_f32 v80, v69, v80 :: v_dual_sub_f32 v67, v67, v82
	v_sub_f32_e32 v67, v67, v69
	s_delay_alu instid0(VALU_DEP_2) | instskip(NEXT) | instid1(VALU_DEP_2)
	v_sub_f32_e32 v69, v80, v71
	v_add_f32_e32 v23, v23, v67
	v_add_f32_e32 v67, v81, v70
	s_delay_alu instid0(VALU_DEP_2) | instskip(NEXT) | instid1(VALU_DEP_2)
	v_add_f32_e32 v23, v69, v23
	v_sub_f32_e32 v69, v67, v81
	s_delay_alu instid0(VALU_DEP_2) | instskip(NEXT) | instid1(VALU_DEP_2)
	v_add_f32_e32 v23, v82, v23
	v_sub_f32_e32 v69, v70, v69
	s_delay_alu instid0(VALU_DEP_2) | instskip(NEXT) | instid1(VALU_DEP_1)
	v_mul_f32_e32 v23, v66, v23
	v_add_f32_e32 v23, v69, v23
	s_delay_alu instid0(VALU_DEP_1) | instskip(NEXT) | instid1(VALU_DEP_1)
	v_add_f32_e32 v66, v67, v23
	v_mul_f32_e32 v69, v66, v66
	s_delay_alu instid0(VALU_DEP_1) | instskip(SKIP_2) | instid1(VALU_DEP_3)
	v_fmaak_f32 v70, s6, v69, 0x3ecc95a3
	v_mul_f32_e32 v71, v66, v69
	v_cmp_gt_f32_e64 s6, 0x33800000, |v17|
	v_fmaak_f32 v69, v69, v70, 0x3f2aaada
	v_ldexp_f32 v70, v66, 1
	v_sub_f32_e32 v66, v66, v67
	s_delay_alu instid0(VALU_DEP_4) | instskip(NEXT) | instid1(VALU_DEP_3)
	s_or_b32 vcc_lo, vcc_lo, s6
	v_mul_f32_e32 v69, v71, v69
	v_mul_f32_e32 v71, 0x3f317218, v22
	s_delay_alu instid0(VALU_DEP_3) | instskip(NEXT) | instid1(VALU_DEP_3)
	v_sub_f32_e32 v23, v23, v66
	v_add_f32_e32 v67, v70, v69
	s_delay_alu instid0(VALU_DEP_2) | instskip(NEXT) | instid1(VALU_DEP_2)
	v_ldexp_f32 v23, v23, 1
	v_sub_f32_e32 v66, v67, v70
	v_fma_f32 v70, 0x3f317218, v22, -v71
	s_delay_alu instid0(VALU_DEP_2) | instskip(NEXT) | instid1(VALU_DEP_1)
	v_sub_f32_e32 v66, v69, v66
	v_dual_fmamk_f32 v22, v22, 0xb102e308, v70 :: v_dual_add_f32 v23, v23, v66
	s_delay_alu instid0(VALU_DEP_1) | instskip(NEXT) | instid1(VALU_DEP_2)
	v_add_f32_e32 v66, v71, v22
	v_add_f32_e32 v69, v67, v23
	s_delay_alu instid0(VALU_DEP_2) | instskip(NEXT) | instid1(VALU_DEP_2)
	v_sub_f32_e32 v71, v66, v71
	v_dual_add_f32 v70, v66, v69 :: v_dual_sub_f32 v67, v69, v67
	s_delay_alu instid0(VALU_DEP_2) | instskip(NEXT) | instid1(VALU_DEP_2)
	v_sub_f32_e32 v22, v22, v71
	v_dual_sub_f32 v80, v70, v66 :: v_dual_sub_f32 v23, v23, v67
	s_delay_alu instid0(VALU_DEP_1) | instskip(SKIP_1) | instid1(VALU_DEP_3)
	v_sub_f32_e32 v81, v70, v80
	v_sub_f32_e32 v67, v69, v80
	v_add_f32_e32 v69, v22, v23
	s_delay_alu instid0(VALU_DEP_3) | instskip(NEXT) | instid1(VALU_DEP_1)
	v_sub_f32_e32 v66, v66, v81
	v_add_f32_e32 v66, v67, v66
	s_delay_alu instid0(VALU_DEP_3) | instskip(NEXT) | instid1(VALU_DEP_2)
	v_sub_f32_e32 v67, v69, v22
	v_add_f32_e32 v66, v69, v66
	s_delay_alu instid0(VALU_DEP_2) | instskip(SKIP_1) | instid1(VALU_DEP_3)
	v_sub_f32_e32 v69, v69, v67
	v_sub_f32_e32 v23, v23, v67
	v_add_f32_e32 v71, v70, v66
	s_delay_alu instid0(VALU_DEP_1) | instskip(NEXT) | instid1(VALU_DEP_1)
	v_dual_sub_f32 v22, v22, v69 :: v_dual_sub_f32 v67, v71, v70
	v_dual_add_f32 v22, v23, v22 :: v_dual_sub_f32 v23, v66, v67
	s_delay_alu instid0(VALU_DEP_1) | instskip(NEXT) | instid1(VALU_DEP_1)
	v_add_f32_e32 v22, v22, v23
	v_add_f32_e32 v22, v71, v22
	s_delay_alu instid0(VALU_DEP_1) | instskip(NEXT) | instid1(VALU_DEP_1)
	v_cndmask_b32_e32 v17, v22, v17, vcc_lo
	v_add_f32_e32 v17, v16, v17
.LBB521_55:
	s_or_b32 exec_lo, exec_lo, s5
	s_delay_alu instid0(VALU_DEP_1) | instskip(SKIP_1) | instid1(VALU_DEP_2)
	v_bfe_u32 v16, v17, 16, 1
	v_cmp_o_f32_e32 vcc_lo, v17, v17
	v_add3_u32 v16, v17, v16, 0x7fff
	s_delay_alu instid0(VALU_DEP_1) | instskip(NEXT) | instid1(VALU_DEP_1)
	v_and_b32_e32 v16, 0xffff0000, v16
	v_dual_cndmask_b32 v17, 0x7fc00000, v16 :: v_dual_lshlrev_b32 v66, 16, v54
	s_delay_alu instid0(VALU_DEP_1) | instskip(SKIP_1) | instid1(VALU_DEP_3)
	v_max_f32_e32 v70, v66, v66
	v_cmp_u_f32_e64 s5, v66, v66
	v_max_f32_e32 v16, v17, v17
	v_cmp_u_f32_e32 vcc_lo, v17, v17
	s_delay_alu instid0(VALU_DEP_2) | instskip(SKIP_1) | instid1(VALU_DEP_2)
	v_min_f32_e32 v22, v16, v70
	v_max_f32_e32 v16, v16, v70
	v_cndmask_b32_e32 v22, v22, v17, vcc_lo
	s_delay_alu instid0(VALU_DEP_2) | instskip(NEXT) | instid1(VALU_DEP_2)
	v_cndmask_b32_e32 v16, v16, v17, vcc_lo
	v_cndmask_b32_e64 v22, v22, v66, s5
	s_delay_alu instid0(VALU_DEP_2) | instskip(NEXT) | instid1(VALU_DEP_2)
	v_cndmask_b32_e64 v16, v16, v66, s5
	v_cmp_class_f32_e64 s6, v22, 0x1f8
	s_delay_alu instid0(VALU_DEP_2) | instskip(NEXT) | instid1(VALU_DEP_2)
	v_cmp_neq_f32_e32 vcc_lo, v22, v16
	s_or_b32 s7, vcc_lo, s6
	s_delay_alu instid0(SALU_CYCLE_1)
	s_and_saveexec_b32 s6, s7
	s_cbranch_execz .LBB521_57
; %bb.56:
	v_sub_f32_e32 v17, v22, v16
	s_mov_b32 s7, 0x3e9b6dac
	s_delay_alu instid0(VALU_DEP_1) | instskip(SKIP_1) | instid1(VALU_DEP_2)
	v_mul_f32_e32 v22, 0x3fb8aa3b, v17
	v_cmp_ngt_f32_e32 vcc_lo, 0xc2ce8ed0, v17
	v_fma_f32 v23, 0x3fb8aa3b, v17, -v22
	v_rndne_f32_e32 v67, v22
	s_delay_alu instid0(VALU_DEP_1) | instskip(NEXT) | instid1(VALU_DEP_1)
	v_dual_fmamk_f32 v23, v17, 0x32a5705f, v23 :: v_dual_sub_f32 v22, v22, v67
	v_add_f32_e32 v22, v22, v23
	v_cvt_i32_f32_e32 v23, v67
	s_delay_alu instid0(VALU_DEP_2) | instskip(SKIP_2) | instid1(VALU_DEP_1)
	v_exp_f32_e32 v22, v22
	s_waitcnt_depctr 0xfff
	v_ldexp_f32 v22, v22, v23
	v_cndmask_b32_e32 v22, 0, v22, vcc_lo
	v_cmp_nlt_f32_e32 vcc_lo, 0x42b17218, v17
	s_delay_alu instid0(VALU_DEP_2) | instskip(NEXT) | instid1(VALU_DEP_1)
	v_cndmask_b32_e32 v17, 0x7f800000, v22, vcc_lo
	v_add_f32_e32 v67, 1.0, v17
	s_delay_alu instid0(VALU_DEP_1) | instskip(NEXT) | instid1(VALU_DEP_1)
	v_cvt_f64_f32_e32 v[22:23], v67
	v_frexp_exp_i32_f64_e32 v22, v[22:23]
	v_frexp_mant_f32_e32 v23, v67
	s_delay_alu instid0(VALU_DEP_1) | instskip(SKIP_1) | instid1(VALU_DEP_1)
	v_cmp_gt_f32_e32 vcc_lo, 0x3f2aaaab, v23
	v_add_f32_e32 v23, -1.0, v67
	v_sub_f32_e32 v71, v23, v67
	s_delay_alu instid0(VALU_DEP_1) | instskip(SKIP_1) | instid1(VALU_DEP_1)
	v_add_f32_e32 v71, 1.0, v71
	v_subrev_co_ci_u32_e32 v22, vcc_lo, 0, v22, vcc_lo
	v_sub_nc_u32_e32 v69, 0, v22
	v_cvt_f32_i32_e32 v22, v22
	s_delay_alu instid0(VALU_DEP_2) | instskip(NEXT) | instid1(VALU_DEP_1)
	v_ldexp_f32 v67, v67, v69
	v_add_f32_e32 v80, 1.0, v67
	v_sub_f32_e32 v23, v17, v23
	v_cmp_eq_f32_e32 vcc_lo, 0x7f800000, v17
	s_delay_alu instid0(VALU_DEP_2) | instskip(NEXT) | instid1(VALU_DEP_1)
	v_add_f32_e32 v23, v23, v71
	v_ldexp_f32 v23, v23, v69
	v_add_f32_e32 v69, -1.0, v67
	v_add_f32_e32 v71, -1.0, v80
	s_delay_alu instid0(VALU_DEP_2) | instskip(NEXT) | instid1(VALU_DEP_2)
	v_add_f32_e32 v81, 1.0, v69
	v_sub_f32_e32 v71, v67, v71
	s_delay_alu instid0(VALU_DEP_2) | instskip(NEXT) | instid1(VALU_DEP_2)
	v_sub_f32_e32 v67, v67, v81
	v_add_f32_e32 v71, v23, v71
	s_delay_alu instid0(VALU_DEP_2) | instskip(NEXT) | instid1(VALU_DEP_2)
	v_add_f32_e32 v23, v23, v67
	v_add_f32_e32 v81, v80, v71
	s_delay_alu instid0(VALU_DEP_2) | instskip(NEXT) | instid1(VALU_DEP_2)
	v_add_f32_e32 v82, v69, v23
	v_rcp_f32_e32 v67, v81
	s_delay_alu instid0(VALU_DEP_1) | instskip(NEXT) | instid1(VALU_DEP_1)
	v_dual_sub_f32 v80, v80, v81 :: v_dual_sub_f32 v69, v69, v82
	v_add_f32_e32 v71, v71, v80
	s_delay_alu instid0(VALU_DEP_2) | instskip(SKIP_2) | instid1(VALU_DEP_1)
	v_add_f32_e32 v23, v23, v69
	s_waitcnt_depctr 0xfff
	v_mul_f32_e32 v83, v82, v67
	v_mul_f32_e32 v84, v81, v83
	s_delay_alu instid0(VALU_DEP_1) | instskip(NEXT) | instid1(VALU_DEP_1)
	v_fma_f32 v80, v83, v81, -v84
	v_fmac_f32_e32 v80, v83, v71
	s_delay_alu instid0(VALU_DEP_1) | instskip(NEXT) | instid1(VALU_DEP_1)
	v_add_f32_e32 v85, v84, v80
	v_dual_sub_f32 v86, v82, v85 :: v_dual_sub_f32 v69, v85, v84
	s_delay_alu instid0(VALU_DEP_1) | instskip(NEXT) | instid1(VALU_DEP_1)
	v_dual_sub_f32 v82, v82, v86 :: v_dual_sub_f32 v69, v69, v80
	v_sub_f32_e32 v82, v82, v85
	s_delay_alu instid0(VALU_DEP_1) | instskip(NEXT) | instid1(VALU_DEP_1)
	v_add_f32_e32 v23, v23, v82
	v_add_f32_e32 v23, v69, v23
	s_delay_alu instid0(VALU_DEP_1) | instskip(NEXT) | instid1(VALU_DEP_1)
	v_add_f32_e32 v69, v86, v23
	v_mul_f32_e32 v80, v67, v69
	s_delay_alu instid0(VALU_DEP_1) | instskip(NEXT) | instid1(VALU_DEP_1)
	v_dual_sub_f32 v85, v86, v69 :: v_dual_mul_f32 v82, v81, v80
	v_add_f32_e32 v23, v23, v85
	s_delay_alu instid0(VALU_DEP_2) | instskip(NEXT) | instid1(VALU_DEP_1)
	v_fma_f32 v81, v80, v81, -v82
	v_fmac_f32_e32 v81, v80, v71
	s_delay_alu instid0(VALU_DEP_1) | instskip(NEXT) | instid1(VALU_DEP_1)
	v_add_f32_e32 v71, v82, v81
	v_sub_f32_e32 v84, v69, v71
	s_delay_alu instid0(VALU_DEP_1) | instskip(NEXT) | instid1(VALU_DEP_1)
	v_dual_sub_f32 v82, v71, v82 :: v_dual_sub_f32 v69, v69, v84
	v_sub_f32_e32 v69, v69, v71
	s_delay_alu instid0(VALU_DEP_2) | instskip(NEXT) | instid1(VALU_DEP_2)
	v_sub_f32_e32 v71, v82, v81
	v_add_f32_e32 v23, v23, v69
	v_add_f32_e32 v69, v83, v80
	s_delay_alu instid0(VALU_DEP_2) | instskip(NEXT) | instid1(VALU_DEP_2)
	v_add_f32_e32 v23, v71, v23
	v_sub_f32_e32 v71, v69, v83
	s_delay_alu instid0(VALU_DEP_2) | instskip(NEXT) | instid1(VALU_DEP_2)
	v_add_f32_e32 v23, v84, v23
	v_sub_f32_e32 v71, v80, v71
	s_delay_alu instid0(VALU_DEP_2) | instskip(NEXT) | instid1(VALU_DEP_1)
	v_mul_f32_e32 v23, v67, v23
	v_add_f32_e32 v23, v71, v23
	s_delay_alu instid0(VALU_DEP_1) | instskip(NEXT) | instid1(VALU_DEP_1)
	v_add_f32_e32 v67, v69, v23
	v_mul_f32_e32 v71, v67, v67
	s_delay_alu instid0(VALU_DEP_1) | instskip(SKIP_2) | instid1(VALU_DEP_3)
	v_fmaak_f32 v80, s7, v71, 0x3ecc95a3
	v_mul_f32_e32 v81, v67, v71
	v_cmp_gt_f32_e64 s7, 0x33800000, |v17|
	v_fmaak_f32 v71, v71, v80, 0x3f2aaada
	v_ldexp_f32 v80, v67, 1
	v_sub_f32_e32 v67, v67, v69
	s_delay_alu instid0(VALU_DEP_4) | instskip(NEXT) | instid1(VALU_DEP_3)
	s_or_b32 vcc_lo, vcc_lo, s7
	v_mul_f32_e32 v71, v81, v71
	v_mul_f32_e32 v81, 0x3f317218, v22
	s_delay_alu instid0(VALU_DEP_3) | instskip(NEXT) | instid1(VALU_DEP_3)
	v_sub_f32_e32 v23, v23, v67
	v_add_f32_e32 v69, v80, v71
	s_delay_alu instid0(VALU_DEP_2) | instskip(NEXT) | instid1(VALU_DEP_2)
	v_ldexp_f32 v23, v23, 1
	v_sub_f32_e32 v67, v69, v80
	v_fma_f32 v80, 0x3f317218, v22, -v81
	s_delay_alu instid0(VALU_DEP_1) | instskip(NEXT) | instid1(VALU_DEP_1)
	v_dual_sub_f32 v67, v71, v67 :: v_dual_fmamk_f32 v22, v22, 0xb102e308, v80
	v_add_f32_e32 v23, v23, v67
	s_delay_alu instid0(VALU_DEP_2) | instskip(NEXT) | instid1(VALU_DEP_2)
	v_add_f32_e32 v67, v81, v22
	v_add_f32_e32 v71, v69, v23
	s_delay_alu instid0(VALU_DEP_2) | instskip(NEXT) | instid1(VALU_DEP_2)
	v_sub_f32_e32 v81, v67, v81
	v_add_f32_e32 v80, v67, v71
	v_sub_f32_e32 v69, v71, v69
	s_delay_alu instid0(VALU_DEP_3) | instskip(NEXT) | instid1(VALU_DEP_2)
	v_sub_f32_e32 v22, v22, v81
	v_dual_sub_f32 v82, v80, v67 :: v_dual_sub_f32 v23, v23, v69
	s_delay_alu instid0(VALU_DEP_1) | instskip(SKIP_1) | instid1(VALU_DEP_3)
	v_sub_f32_e32 v83, v80, v82
	v_sub_f32_e32 v69, v71, v82
	v_add_f32_e32 v71, v22, v23
	s_delay_alu instid0(VALU_DEP_3) | instskip(NEXT) | instid1(VALU_DEP_1)
	v_sub_f32_e32 v67, v67, v83
	v_add_f32_e32 v67, v69, v67
	s_delay_alu instid0(VALU_DEP_3) | instskip(NEXT) | instid1(VALU_DEP_2)
	v_sub_f32_e32 v69, v71, v22
	v_add_f32_e32 v67, v71, v67
	s_delay_alu instid0(VALU_DEP_2) | instskip(SKIP_1) | instid1(VALU_DEP_3)
	v_sub_f32_e32 v71, v71, v69
	v_sub_f32_e32 v23, v23, v69
	v_add_f32_e32 v81, v80, v67
	s_delay_alu instid0(VALU_DEP_1) | instskip(NEXT) | instid1(VALU_DEP_1)
	v_dual_sub_f32 v22, v22, v71 :: v_dual_sub_f32 v69, v81, v80
	v_add_f32_e32 v22, v23, v22
	s_delay_alu instid0(VALU_DEP_2) | instskip(NEXT) | instid1(VALU_DEP_1)
	v_sub_f32_e32 v23, v67, v69
	v_add_f32_e32 v22, v22, v23
	s_delay_alu instid0(VALU_DEP_1) | instskip(NEXT) | instid1(VALU_DEP_1)
	v_add_f32_e32 v22, v81, v22
	v_cndmask_b32_e32 v17, v22, v17, vcc_lo
	s_delay_alu instid0(VALU_DEP_1)
	v_add_f32_e32 v17, v16, v17
.LBB521_57:
	s_or_b32 exec_lo, exec_lo, s6
	s_delay_alu instid0(VALU_DEP_1) | instskip(SKIP_1) | instid1(VALU_DEP_2)
	v_bfe_u32 v16, v17, 16, 1
	v_cmp_o_f32_e32 vcc_lo, v17, v17
	v_add3_u32 v16, v17, v16, 0x7fff
	s_delay_alu instid0(VALU_DEP_1) | instskip(NEXT) | instid1(VALU_DEP_1)
	v_and_b32_e32 v16, 0xffff0000, v16
	v_cndmask_b32_e32 v17, 0x7fc00000, v16, vcc_lo
	s_delay_alu instid0(VALU_DEP_1) | instskip(SKIP_1) | instid1(VALU_DEP_1)
	v_max_f32_e32 v16, v17, v17
	v_lshlrev_b32_e32 v67, 16, v53
	v_max_f32_e32 v80, v67, v67
	v_cmp_u_f32_e32 vcc_lo, v17, v17
	s_delay_alu instid0(VALU_DEP_2) | instskip(SKIP_2) | instid1(VALU_DEP_3)
	v_min_f32_e32 v22, v16, v80
	v_max_f32_e32 v16, v16, v80
	v_cmp_u_f32_e64 s6, v67, v67
	v_cndmask_b32_e32 v22, v22, v17, vcc_lo
	s_delay_alu instid0(VALU_DEP_3) | instskip(NEXT) | instid1(VALU_DEP_2)
	v_cndmask_b32_e32 v16, v16, v17, vcc_lo
	v_cndmask_b32_e64 v22, v22, v67, s6
	s_delay_alu instid0(VALU_DEP_2) | instskip(NEXT) | instid1(VALU_DEP_2)
	v_cndmask_b32_e64 v16, v16, v67, s6
	v_cmp_class_f32_e64 s7, v22, 0x1f8
	s_delay_alu instid0(VALU_DEP_2) | instskip(NEXT) | instid1(VALU_DEP_2)
	v_cmp_neq_f32_e32 vcc_lo, v22, v16
	s_or_b32 s8, vcc_lo, s7
	s_delay_alu instid0(SALU_CYCLE_1)
	s_and_saveexec_b32 s7, s8
	s_cbranch_execz .LBB521_59
; %bb.58:
	v_sub_f32_e32 v17, v22, v16
	s_mov_b32 s8, 0x3e9b6dac
	s_delay_alu instid0(VALU_DEP_1) | instskip(SKIP_1) | instid1(VALU_DEP_2)
	v_mul_f32_e32 v22, 0x3fb8aa3b, v17
	v_cmp_ngt_f32_e32 vcc_lo, 0xc2ce8ed0, v17
	v_fma_f32 v23, 0x3fb8aa3b, v17, -v22
	v_rndne_f32_e32 v69, v22
	s_delay_alu instid0(VALU_DEP_1) | instskip(NEXT) | instid1(VALU_DEP_1)
	v_dual_fmamk_f32 v23, v17, 0x32a5705f, v23 :: v_dual_sub_f32 v22, v22, v69
	v_add_f32_e32 v22, v22, v23
	v_cvt_i32_f32_e32 v23, v69
	s_delay_alu instid0(VALU_DEP_2) | instskip(SKIP_2) | instid1(VALU_DEP_1)
	v_exp_f32_e32 v22, v22
	s_waitcnt_depctr 0xfff
	v_ldexp_f32 v22, v22, v23
	v_cndmask_b32_e32 v22, 0, v22, vcc_lo
	v_cmp_nlt_f32_e32 vcc_lo, 0x42b17218, v17
	s_delay_alu instid0(VALU_DEP_2) | instskip(NEXT) | instid1(VALU_DEP_1)
	v_cndmask_b32_e32 v17, 0x7f800000, v22, vcc_lo
	v_add_f32_e32 v69, 1.0, v17
	s_delay_alu instid0(VALU_DEP_1) | instskip(NEXT) | instid1(VALU_DEP_1)
	v_cvt_f64_f32_e32 v[22:23], v69
	v_frexp_exp_i32_f64_e32 v22, v[22:23]
	v_frexp_mant_f32_e32 v23, v69
	s_delay_alu instid0(VALU_DEP_1) | instskip(SKIP_1) | instid1(VALU_DEP_1)
	v_cmp_gt_f32_e32 vcc_lo, 0x3f2aaaab, v23
	v_add_f32_e32 v23, -1.0, v69
	v_sub_f32_e32 v81, v23, v69
	s_delay_alu instid0(VALU_DEP_1) | instskip(SKIP_1) | instid1(VALU_DEP_1)
	v_add_f32_e32 v81, 1.0, v81
	v_subrev_co_ci_u32_e32 v22, vcc_lo, 0, v22, vcc_lo
	v_sub_nc_u32_e32 v71, 0, v22
	v_cvt_f32_i32_e32 v22, v22
	s_delay_alu instid0(VALU_DEP_2) | instskip(NEXT) | instid1(VALU_DEP_1)
	v_ldexp_f32 v69, v69, v71
	v_dual_add_f32 v82, 1.0, v69 :: v_dual_sub_f32 v23, v17, v23
	v_cmp_eq_f32_e32 vcc_lo, 0x7f800000, v17
	s_delay_alu instid0(VALU_DEP_2) | instskip(NEXT) | instid1(VALU_DEP_3)
	v_add_f32_e32 v23, v23, v81
	v_add_f32_e32 v81, -1.0, v82
	s_delay_alu instid0(VALU_DEP_2) | instskip(SKIP_1) | instid1(VALU_DEP_3)
	v_ldexp_f32 v23, v23, v71
	v_add_f32_e32 v71, -1.0, v69
	v_sub_f32_e32 v81, v69, v81
	s_delay_alu instid0(VALU_DEP_2) | instskip(NEXT) | instid1(VALU_DEP_2)
	v_add_f32_e32 v83, 1.0, v71
	v_add_f32_e32 v81, v23, v81
	s_delay_alu instid0(VALU_DEP_2) | instskip(NEXT) | instid1(VALU_DEP_2)
	v_sub_f32_e32 v69, v69, v83
	v_add_f32_e32 v83, v82, v81
	s_delay_alu instid0(VALU_DEP_2) | instskip(NEXT) | instid1(VALU_DEP_2)
	v_add_f32_e32 v23, v23, v69
	v_rcp_f32_e32 v69, v83
	v_sub_f32_e32 v82, v82, v83
	s_delay_alu instid0(VALU_DEP_1) | instskip(NEXT) | instid1(VALU_DEP_1)
	v_dual_add_f32 v84, v71, v23 :: v_dual_add_f32 v81, v81, v82
	v_sub_f32_e32 v71, v71, v84
	s_waitcnt_depctr 0xfff
	v_mul_f32_e32 v85, v84, v69
	v_add_f32_e32 v23, v23, v71
	s_delay_alu instid0(VALU_DEP_2) | instskip(NEXT) | instid1(VALU_DEP_1)
	v_mul_f32_e32 v86, v83, v85
	v_fma_f32 v82, v85, v83, -v86
	s_delay_alu instid0(VALU_DEP_1) | instskip(NEXT) | instid1(VALU_DEP_1)
	v_fmac_f32_e32 v82, v85, v81
	v_add_f32_e32 v87, v86, v82
	s_delay_alu instid0(VALU_DEP_1) | instskip(NEXT) | instid1(VALU_DEP_1)
	v_dual_sub_f32 v96, v84, v87 :: v_dual_sub_f32 v71, v87, v86
	v_dual_sub_f32 v84, v84, v96 :: v_dual_sub_f32 v71, v71, v82
	s_delay_alu instid0(VALU_DEP_1) | instskip(NEXT) | instid1(VALU_DEP_1)
	v_sub_f32_e32 v84, v84, v87
	v_add_f32_e32 v23, v23, v84
	s_delay_alu instid0(VALU_DEP_1) | instskip(NEXT) | instid1(VALU_DEP_1)
	v_add_f32_e32 v23, v71, v23
	v_add_f32_e32 v71, v96, v23
	s_delay_alu instid0(VALU_DEP_1) | instskip(NEXT) | instid1(VALU_DEP_1)
	v_mul_f32_e32 v82, v69, v71
	v_dual_sub_f32 v87, v96, v71 :: v_dual_mul_f32 v84, v83, v82
	s_delay_alu instid0(VALU_DEP_1) | instskip(NEXT) | instid1(VALU_DEP_2)
	v_add_f32_e32 v23, v23, v87
	v_fma_f32 v83, v82, v83, -v84
	s_delay_alu instid0(VALU_DEP_1) | instskip(NEXT) | instid1(VALU_DEP_1)
	v_fmac_f32_e32 v83, v82, v81
	v_add_f32_e32 v81, v84, v83
	s_delay_alu instid0(VALU_DEP_1) | instskip(NEXT) | instid1(VALU_DEP_1)
	v_sub_f32_e32 v86, v71, v81
	v_dual_sub_f32 v84, v81, v84 :: v_dual_sub_f32 v71, v71, v86
	s_delay_alu instid0(VALU_DEP_1) | instskip(NEXT) | instid1(VALU_DEP_2)
	v_sub_f32_e32 v71, v71, v81
	v_sub_f32_e32 v81, v84, v83
	s_delay_alu instid0(VALU_DEP_2) | instskip(SKIP_1) | instid1(VALU_DEP_2)
	v_add_f32_e32 v23, v23, v71
	v_add_f32_e32 v71, v85, v82
	;; [unrolled: 1-line block ×3, first 2 shown]
	s_delay_alu instid0(VALU_DEP_2) | instskip(NEXT) | instid1(VALU_DEP_2)
	v_sub_f32_e32 v81, v71, v85
	v_add_f32_e32 v23, v86, v23
	s_delay_alu instid0(VALU_DEP_2) | instskip(NEXT) | instid1(VALU_DEP_2)
	v_sub_f32_e32 v81, v82, v81
	v_mul_f32_e32 v23, v69, v23
	s_delay_alu instid0(VALU_DEP_1) | instskip(NEXT) | instid1(VALU_DEP_1)
	v_add_f32_e32 v23, v81, v23
	v_add_f32_e32 v69, v71, v23
	s_delay_alu instid0(VALU_DEP_1) | instskip(NEXT) | instid1(VALU_DEP_1)
	v_mul_f32_e32 v81, v69, v69
	v_fmaak_f32 v82, s8, v81, 0x3ecc95a3
	v_mul_f32_e32 v83, v69, v81
	v_cmp_gt_f32_e64 s8, 0x33800000, |v17|
	s_delay_alu instid0(VALU_DEP_3) | instskip(SKIP_2) | instid1(VALU_DEP_4)
	v_fmaak_f32 v81, v81, v82, 0x3f2aaada
	v_ldexp_f32 v82, v69, 1
	v_sub_f32_e32 v69, v69, v71
	s_or_b32 vcc_lo, vcc_lo, s8
	s_delay_alu instid0(VALU_DEP_3) | instskip(SKIP_1) | instid1(VALU_DEP_3)
	v_mul_f32_e32 v81, v83, v81
	v_mul_f32_e32 v83, 0x3f317218, v22
	v_sub_f32_e32 v23, v23, v69
	s_delay_alu instid0(VALU_DEP_3) | instskip(NEXT) | instid1(VALU_DEP_2)
	v_add_f32_e32 v71, v82, v81
	v_ldexp_f32 v23, v23, 1
	s_delay_alu instid0(VALU_DEP_2) | instskip(SKIP_1) | instid1(VALU_DEP_1)
	v_sub_f32_e32 v69, v71, v82
	v_fma_f32 v82, 0x3f317218, v22, -v83
	v_dual_sub_f32 v69, v81, v69 :: v_dual_fmamk_f32 v22, v22, 0xb102e308, v82
	s_delay_alu instid0(VALU_DEP_1) | instskip(NEXT) | instid1(VALU_DEP_2)
	v_add_f32_e32 v23, v23, v69
	v_add_f32_e32 v69, v83, v22
	s_delay_alu instid0(VALU_DEP_2) | instskip(NEXT) | instid1(VALU_DEP_2)
	v_add_f32_e32 v81, v71, v23
	v_sub_f32_e32 v83, v69, v83
	s_delay_alu instid0(VALU_DEP_2) | instskip(SKIP_1) | instid1(VALU_DEP_3)
	v_add_f32_e32 v82, v69, v81
	v_sub_f32_e32 v71, v81, v71
	v_sub_f32_e32 v22, v22, v83
	s_delay_alu instid0(VALU_DEP_2) | instskip(NEXT) | instid1(VALU_DEP_1)
	v_dual_sub_f32 v84, v82, v69 :: v_dual_sub_f32 v23, v23, v71
	v_sub_f32_e32 v85, v82, v84
	v_sub_f32_e32 v71, v81, v84
	s_delay_alu instid0(VALU_DEP_3) | instskip(NEXT) | instid1(VALU_DEP_3)
	v_add_f32_e32 v81, v22, v23
	v_sub_f32_e32 v69, v69, v85
	s_delay_alu instid0(VALU_DEP_1) | instskip(NEXT) | instid1(VALU_DEP_3)
	v_add_f32_e32 v69, v71, v69
	v_sub_f32_e32 v71, v81, v22
	s_delay_alu instid0(VALU_DEP_2) | instskip(NEXT) | instid1(VALU_DEP_2)
	v_add_f32_e32 v69, v81, v69
	v_sub_f32_e32 v81, v81, v71
	v_sub_f32_e32 v23, v23, v71
	s_delay_alu instid0(VALU_DEP_3) | instskip(NEXT) | instid1(VALU_DEP_1)
	v_add_f32_e32 v83, v82, v69
	v_dual_sub_f32 v22, v22, v81 :: v_dual_sub_f32 v71, v83, v82
	s_delay_alu instid0(VALU_DEP_1) | instskip(NEXT) | instid1(VALU_DEP_1)
	v_dual_add_f32 v22, v23, v22 :: v_dual_sub_f32 v23, v69, v71
	v_add_f32_e32 v22, v22, v23
	s_delay_alu instid0(VALU_DEP_1) | instskip(NEXT) | instid1(VALU_DEP_1)
	v_add_f32_e32 v22, v83, v22
	v_cndmask_b32_e32 v17, v22, v17, vcc_lo
	s_delay_alu instid0(VALU_DEP_1)
	v_add_f32_e32 v17, v16, v17
.LBB521_59:
	s_or_b32 exec_lo, exec_lo, s7
	s_delay_alu instid0(VALU_DEP_1) | instskip(SKIP_1) | instid1(VALU_DEP_2)
	v_bfe_u32 v16, v17, 16, 1
	v_cmp_o_f32_e32 vcc_lo, v17, v17
	v_add3_u32 v16, v17, v16, 0x7fff
	s_delay_alu instid0(VALU_DEP_1) | instskip(NEXT) | instid1(VALU_DEP_1)
	v_and_b32_e32 v16, 0xffff0000, v16
	v_cndmask_b32_e32 v17, 0x7fc00000, v16, vcc_lo
	s_delay_alu instid0(VALU_DEP_1) | instskip(NEXT) | instid1(VALU_DEP_1)
	v_dual_max_f32 v16, v17, v17 :: v_dual_lshlrev_b32 v69, 16, v52
	v_max_f32_e32 v82, v69, v69
	v_cmp_u_f32_e32 vcc_lo, v17, v17
	v_cmp_u_f32_e64 s7, v69, v69
	s_delay_alu instid0(VALU_DEP_3) | instskip(SKIP_1) | instid1(VALU_DEP_2)
	v_min_f32_e32 v22, v16, v82
	v_max_f32_e32 v16, v16, v82
	v_cndmask_b32_e32 v22, v22, v17, vcc_lo
	s_delay_alu instid0(VALU_DEP_2) | instskip(NEXT) | instid1(VALU_DEP_2)
	v_cndmask_b32_e32 v16, v16, v17, vcc_lo
	v_cndmask_b32_e64 v22, v22, v69, s7
	s_delay_alu instid0(VALU_DEP_2) | instskip(NEXT) | instid1(VALU_DEP_2)
	v_cndmask_b32_e64 v16, v16, v69, s7
	v_cmp_class_f32_e64 s8, v22, 0x1f8
	s_delay_alu instid0(VALU_DEP_2) | instskip(NEXT) | instid1(VALU_DEP_2)
	v_cmp_neq_f32_e32 vcc_lo, v22, v16
	s_or_b32 s9, vcc_lo, s8
	s_delay_alu instid0(SALU_CYCLE_1)
	s_and_saveexec_b32 s8, s9
	s_cbranch_execz .LBB521_61
; %bb.60:
	v_sub_f32_e32 v17, v22, v16
	s_mov_b32 s9, 0x3e9b6dac
	s_delay_alu instid0(VALU_DEP_1) | instskip(SKIP_1) | instid1(VALU_DEP_2)
	v_mul_f32_e32 v22, 0x3fb8aa3b, v17
	v_cmp_ngt_f32_e32 vcc_lo, 0xc2ce8ed0, v17
	v_fma_f32 v23, 0x3fb8aa3b, v17, -v22
	v_rndne_f32_e32 v71, v22
	s_delay_alu instid0(VALU_DEP_1) | instskip(NEXT) | instid1(VALU_DEP_1)
	v_dual_fmamk_f32 v23, v17, 0x32a5705f, v23 :: v_dual_sub_f32 v22, v22, v71
	v_add_f32_e32 v22, v22, v23
	v_cvt_i32_f32_e32 v23, v71
	s_delay_alu instid0(VALU_DEP_2) | instskip(SKIP_2) | instid1(VALU_DEP_1)
	v_exp_f32_e32 v22, v22
	s_waitcnt_depctr 0xfff
	v_ldexp_f32 v22, v22, v23
	v_cndmask_b32_e32 v22, 0, v22, vcc_lo
	v_cmp_nlt_f32_e32 vcc_lo, 0x42b17218, v17
	s_delay_alu instid0(VALU_DEP_2) | instskip(NEXT) | instid1(VALU_DEP_1)
	v_cndmask_b32_e32 v17, 0x7f800000, v22, vcc_lo
	v_add_f32_e32 v71, 1.0, v17
	s_delay_alu instid0(VALU_DEP_1) | instskip(NEXT) | instid1(VALU_DEP_1)
	v_cvt_f64_f32_e32 v[22:23], v71
	v_frexp_exp_i32_f64_e32 v22, v[22:23]
	v_frexp_mant_f32_e32 v23, v71
	s_delay_alu instid0(VALU_DEP_1) | instskip(SKIP_1) | instid1(VALU_DEP_1)
	v_cmp_gt_f32_e32 vcc_lo, 0x3f2aaaab, v23
	v_add_f32_e32 v23, -1.0, v71
	v_sub_f32_e32 v83, v23, v71
	s_delay_alu instid0(VALU_DEP_1) | instskip(SKIP_1) | instid1(VALU_DEP_1)
	v_add_f32_e32 v83, 1.0, v83
	v_subrev_co_ci_u32_e32 v22, vcc_lo, 0, v22, vcc_lo
	v_sub_nc_u32_e32 v81, 0, v22
	v_cvt_f32_i32_e32 v22, v22
	s_delay_alu instid0(VALU_DEP_2) | instskip(NEXT) | instid1(VALU_DEP_1)
	v_ldexp_f32 v71, v71, v81
	v_add_f32_e32 v84, 1.0, v71
	v_sub_f32_e32 v23, v17, v23
	v_cmp_eq_f32_e32 vcc_lo, 0x7f800000, v17
	s_delay_alu instid0(VALU_DEP_2) | instskip(NEXT) | instid1(VALU_DEP_1)
	v_add_f32_e32 v23, v23, v83
	v_ldexp_f32 v23, v23, v81
	v_add_f32_e32 v81, -1.0, v71
	v_add_f32_e32 v83, -1.0, v84
	s_delay_alu instid0(VALU_DEP_2) | instskip(NEXT) | instid1(VALU_DEP_2)
	v_add_f32_e32 v85, 1.0, v81
	v_sub_f32_e32 v83, v71, v83
	s_delay_alu instid0(VALU_DEP_2) | instskip(NEXT) | instid1(VALU_DEP_2)
	v_sub_f32_e32 v71, v71, v85
	v_add_f32_e32 v83, v23, v83
	s_delay_alu instid0(VALU_DEP_2) | instskip(NEXT) | instid1(VALU_DEP_2)
	v_add_f32_e32 v23, v23, v71
	v_add_f32_e32 v85, v84, v83
	s_delay_alu instid0(VALU_DEP_2) | instskip(NEXT) | instid1(VALU_DEP_2)
	v_add_f32_e32 v86, v81, v23
	v_rcp_f32_e32 v71, v85
	s_delay_alu instid0(VALU_DEP_1) | instskip(NEXT) | instid1(VALU_DEP_1)
	v_dual_sub_f32 v84, v84, v85 :: v_dual_sub_f32 v81, v81, v86
	v_add_f32_e32 v83, v83, v84
	s_delay_alu instid0(VALU_DEP_2) | instskip(SKIP_2) | instid1(VALU_DEP_1)
	v_add_f32_e32 v23, v23, v81
	s_waitcnt_depctr 0xfff
	v_mul_f32_e32 v87, v86, v71
	v_mul_f32_e32 v96, v85, v87
	s_delay_alu instid0(VALU_DEP_1) | instskip(NEXT) | instid1(VALU_DEP_1)
	v_fma_f32 v84, v87, v85, -v96
	v_fmac_f32_e32 v84, v87, v83
	s_delay_alu instid0(VALU_DEP_1) | instskip(NEXT) | instid1(VALU_DEP_1)
	v_add_f32_e32 v97, v96, v84
	v_dual_sub_f32 v98, v86, v97 :: v_dual_sub_f32 v81, v97, v96
	s_delay_alu instid0(VALU_DEP_1) | instskip(NEXT) | instid1(VALU_DEP_1)
	v_dual_sub_f32 v86, v86, v98 :: v_dual_sub_f32 v81, v81, v84
	v_sub_f32_e32 v86, v86, v97
	s_delay_alu instid0(VALU_DEP_1) | instskip(NEXT) | instid1(VALU_DEP_1)
	v_add_f32_e32 v23, v23, v86
	v_add_f32_e32 v23, v81, v23
	s_delay_alu instid0(VALU_DEP_1) | instskip(NEXT) | instid1(VALU_DEP_1)
	v_add_f32_e32 v81, v98, v23
	v_mul_f32_e32 v84, v71, v81
	s_delay_alu instid0(VALU_DEP_1) | instskip(NEXT) | instid1(VALU_DEP_1)
	v_dual_sub_f32 v97, v98, v81 :: v_dual_mul_f32 v86, v85, v84
	v_add_f32_e32 v23, v23, v97
	s_delay_alu instid0(VALU_DEP_2) | instskip(NEXT) | instid1(VALU_DEP_1)
	v_fma_f32 v85, v84, v85, -v86
	v_fmac_f32_e32 v85, v84, v83
	s_delay_alu instid0(VALU_DEP_1) | instskip(NEXT) | instid1(VALU_DEP_1)
	v_add_f32_e32 v83, v86, v85
	v_sub_f32_e32 v96, v81, v83
	s_delay_alu instid0(VALU_DEP_1) | instskip(NEXT) | instid1(VALU_DEP_1)
	v_dual_sub_f32 v86, v83, v86 :: v_dual_sub_f32 v81, v81, v96
	v_sub_f32_e32 v81, v81, v83
	s_delay_alu instid0(VALU_DEP_2) | instskip(NEXT) | instid1(VALU_DEP_2)
	v_sub_f32_e32 v83, v86, v85
	v_add_f32_e32 v23, v23, v81
	v_add_f32_e32 v81, v87, v84
	s_delay_alu instid0(VALU_DEP_2) | instskip(NEXT) | instid1(VALU_DEP_2)
	v_add_f32_e32 v23, v83, v23
	v_sub_f32_e32 v83, v81, v87
	s_delay_alu instid0(VALU_DEP_2) | instskip(NEXT) | instid1(VALU_DEP_2)
	v_add_f32_e32 v23, v96, v23
	v_sub_f32_e32 v83, v84, v83
	s_delay_alu instid0(VALU_DEP_2) | instskip(NEXT) | instid1(VALU_DEP_1)
	v_mul_f32_e32 v23, v71, v23
	v_add_f32_e32 v23, v83, v23
	s_delay_alu instid0(VALU_DEP_1) | instskip(NEXT) | instid1(VALU_DEP_1)
	v_add_f32_e32 v71, v81, v23
	v_mul_f32_e32 v83, v71, v71
	s_delay_alu instid0(VALU_DEP_1) | instskip(SKIP_2) | instid1(VALU_DEP_3)
	v_fmaak_f32 v84, s9, v83, 0x3ecc95a3
	v_mul_f32_e32 v85, v71, v83
	v_cmp_gt_f32_e64 s9, 0x33800000, |v17|
	v_fmaak_f32 v83, v83, v84, 0x3f2aaada
	v_ldexp_f32 v84, v71, 1
	v_sub_f32_e32 v71, v71, v81
	s_delay_alu instid0(VALU_DEP_4) | instskip(NEXT) | instid1(VALU_DEP_3)
	s_or_b32 vcc_lo, vcc_lo, s9
	v_mul_f32_e32 v83, v85, v83
	v_mul_f32_e32 v85, 0x3f317218, v22
	s_delay_alu instid0(VALU_DEP_3) | instskip(NEXT) | instid1(VALU_DEP_3)
	v_sub_f32_e32 v23, v23, v71
	v_add_f32_e32 v81, v84, v83
	s_delay_alu instid0(VALU_DEP_2) | instskip(NEXT) | instid1(VALU_DEP_2)
	v_ldexp_f32 v23, v23, 1
	v_sub_f32_e32 v71, v81, v84
	v_fma_f32 v84, 0x3f317218, v22, -v85
	s_delay_alu instid0(VALU_DEP_1) | instskip(NEXT) | instid1(VALU_DEP_1)
	v_dual_sub_f32 v71, v83, v71 :: v_dual_fmamk_f32 v22, v22, 0xb102e308, v84
	v_add_f32_e32 v23, v23, v71
	s_delay_alu instid0(VALU_DEP_2) | instskip(NEXT) | instid1(VALU_DEP_2)
	v_add_f32_e32 v71, v85, v22
	v_add_f32_e32 v83, v81, v23
	s_delay_alu instid0(VALU_DEP_2) | instskip(NEXT) | instid1(VALU_DEP_2)
	v_sub_f32_e32 v85, v71, v85
	v_add_f32_e32 v84, v71, v83
	v_sub_f32_e32 v81, v83, v81
	s_delay_alu instid0(VALU_DEP_3) | instskip(NEXT) | instid1(VALU_DEP_2)
	v_sub_f32_e32 v22, v22, v85
	v_dual_sub_f32 v86, v84, v71 :: v_dual_sub_f32 v23, v23, v81
	s_delay_alu instid0(VALU_DEP_1) | instskip(SKIP_1) | instid1(VALU_DEP_3)
	v_sub_f32_e32 v87, v84, v86
	v_sub_f32_e32 v81, v83, v86
	v_add_f32_e32 v83, v22, v23
	s_delay_alu instid0(VALU_DEP_3) | instskip(NEXT) | instid1(VALU_DEP_1)
	v_sub_f32_e32 v71, v71, v87
	v_add_f32_e32 v71, v81, v71
	s_delay_alu instid0(VALU_DEP_3) | instskip(NEXT) | instid1(VALU_DEP_2)
	v_sub_f32_e32 v81, v83, v22
	v_add_f32_e32 v71, v83, v71
	s_delay_alu instid0(VALU_DEP_2) | instskip(SKIP_1) | instid1(VALU_DEP_3)
	v_sub_f32_e32 v83, v83, v81
	v_sub_f32_e32 v23, v23, v81
	v_add_f32_e32 v85, v84, v71
	s_delay_alu instid0(VALU_DEP_1) | instskip(NEXT) | instid1(VALU_DEP_1)
	v_dual_sub_f32 v22, v22, v83 :: v_dual_sub_f32 v81, v85, v84
	v_add_f32_e32 v22, v23, v22
	s_delay_alu instid0(VALU_DEP_2) | instskip(NEXT) | instid1(VALU_DEP_1)
	v_sub_f32_e32 v23, v71, v81
	v_add_f32_e32 v22, v22, v23
	s_delay_alu instid0(VALU_DEP_1) | instskip(NEXT) | instid1(VALU_DEP_1)
	v_add_f32_e32 v22, v85, v22
	v_cndmask_b32_e32 v17, v22, v17, vcc_lo
	s_delay_alu instid0(VALU_DEP_1)
	v_add_f32_e32 v17, v16, v17
.LBB521_61:
	s_or_b32 exec_lo, exec_lo, s8
	s_delay_alu instid0(VALU_DEP_1) | instskip(SKIP_1) | instid1(VALU_DEP_2)
	v_bfe_u32 v16, v17, 16, 1
	v_cmp_o_f32_e32 vcc_lo, v17, v17
	v_add3_u32 v16, v17, v16, 0x7fff
	s_delay_alu instid0(VALU_DEP_1) | instskip(NEXT) | instid1(VALU_DEP_1)
	v_and_b32_e32 v16, 0xffff0000, v16
	v_cndmask_b32_e32 v17, 0x7fc00000, v16, vcc_lo
	s_delay_alu instid0(VALU_DEP_1) | instskip(NEXT) | instid1(VALU_DEP_1)
	v_dual_max_f32 v16, v17, v17 :: v_dual_lshlrev_b32 v71, 16, v51
	v_max_f32_e32 v84, v71, v71
	v_cmp_u_f32_e32 vcc_lo, v17, v17
	v_cmp_u_f32_e64 s8, v71, v71
	s_delay_alu instid0(VALU_DEP_3) | instskip(SKIP_1) | instid1(VALU_DEP_2)
	v_min_f32_e32 v22, v16, v84
	v_max_f32_e32 v16, v16, v84
	v_cndmask_b32_e32 v22, v22, v17, vcc_lo
	s_delay_alu instid0(VALU_DEP_2) | instskip(NEXT) | instid1(VALU_DEP_2)
	v_cndmask_b32_e32 v16, v16, v17, vcc_lo
	v_cndmask_b32_e64 v22, v22, v71, s8
	s_delay_alu instid0(VALU_DEP_2) | instskip(NEXT) | instid1(VALU_DEP_2)
	v_cndmask_b32_e64 v16, v16, v71, s8
	v_cmp_class_f32_e64 s9, v22, 0x1f8
	s_delay_alu instid0(VALU_DEP_2) | instskip(NEXT) | instid1(VALU_DEP_2)
	v_cmp_neq_f32_e32 vcc_lo, v22, v16
	s_or_b32 s10, vcc_lo, s9
	s_delay_alu instid0(SALU_CYCLE_1)
	s_and_saveexec_b32 s9, s10
	s_cbranch_execz .LBB521_63
; %bb.62:
	v_sub_f32_e32 v17, v22, v16
	s_mov_b32 s10, 0x3e9b6dac
	s_delay_alu instid0(VALU_DEP_1) | instskip(SKIP_1) | instid1(VALU_DEP_2)
	v_mul_f32_e32 v22, 0x3fb8aa3b, v17
	v_cmp_ngt_f32_e32 vcc_lo, 0xc2ce8ed0, v17
	v_fma_f32 v23, 0x3fb8aa3b, v17, -v22
	v_rndne_f32_e32 v81, v22
	s_delay_alu instid0(VALU_DEP_1) | instskip(NEXT) | instid1(VALU_DEP_1)
	v_dual_fmamk_f32 v23, v17, 0x32a5705f, v23 :: v_dual_sub_f32 v22, v22, v81
	v_add_f32_e32 v22, v22, v23
	v_cvt_i32_f32_e32 v23, v81
	s_delay_alu instid0(VALU_DEP_2) | instskip(SKIP_2) | instid1(VALU_DEP_1)
	v_exp_f32_e32 v22, v22
	s_waitcnt_depctr 0xfff
	v_ldexp_f32 v22, v22, v23
	v_cndmask_b32_e32 v22, 0, v22, vcc_lo
	v_cmp_nlt_f32_e32 vcc_lo, 0x42b17218, v17
	s_delay_alu instid0(VALU_DEP_2) | instskip(NEXT) | instid1(VALU_DEP_1)
	v_cndmask_b32_e32 v17, 0x7f800000, v22, vcc_lo
	v_add_f32_e32 v81, 1.0, v17
	s_delay_alu instid0(VALU_DEP_1) | instskip(NEXT) | instid1(VALU_DEP_1)
	v_cvt_f64_f32_e32 v[22:23], v81
	v_frexp_exp_i32_f64_e32 v22, v[22:23]
	v_frexp_mant_f32_e32 v23, v81
	s_delay_alu instid0(VALU_DEP_1) | instskip(SKIP_1) | instid1(VALU_DEP_1)
	v_cmp_gt_f32_e32 vcc_lo, 0x3f2aaaab, v23
	v_add_f32_e32 v23, -1.0, v81
	v_sub_f32_e32 v85, v23, v81
	s_delay_alu instid0(VALU_DEP_1) | instskip(SKIP_1) | instid1(VALU_DEP_1)
	v_add_f32_e32 v85, 1.0, v85
	v_subrev_co_ci_u32_e32 v22, vcc_lo, 0, v22, vcc_lo
	v_sub_nc_u32_e32 v83, 0, v22
	v_cvt_f32_i32_e32 v22, v22
	s_delay_alu instid0(VALU_DEP_2) | instskip(NEXT) | instid1(VALU_DEP_1)
	v_ldexp_f32 v81, v81, v83
	v_dual_add_f32 v86, 1.0, v81 :: v_dual_sub_f32 v23, v17, v23
	v_cmp_eq_f32_e32 vcc_lo, 0x7f800000, v17
	s_delay_alu instid0(VALU_DEP_2) | instskip(NEXT) | instid1(VALU_DEP_3)
	v_add_f32_e32 v23, v23, v85
	v_add_f32_e32 v85, -1.0, v86
	s_delay_alu instid0(VALU_DEP_2) | instskip(SKIP_1) | instid1(VALU_DEP_3)
	v_ldexp_f32 v23, v23, v83
	v_add_f32_e32 v83, -1.0, v81
	v_sub_f32_e32 v85, v81, v85
	s_delay_alu instid0(VALU_DEP_2) | instskip(NEXT) | instid1(VALU_DEP_2)
	v_add_f32_e32 v87, 1.0, v83
	v_add_f32_e32 v85, v23, v85
	s_delay_alu instid0(VALU_DEP_2) | instskip(NEXT) | instid1(VALU_DEP_2)
	v_sub_f32_e32 v81, v81, v87
	v_add_f32_e32 v87, v86, v85
	s_delay_alu instid0(VALU_DEP_2) | instskip(NEXT) | instid1(VALU_DEP_2)
	v_add_f32_e32 v23, v23, v81
	v_rcp_f32_e32 v81, v87
	v_sub_f32_e32 v86, v86, v87
	s_delay_alu instid0(VALU_DEP_1) | instskip(NEXT) | instid1(VALU_DEP_1)
	v_dual_add_f32 v96, v83, v23 :: v_dual_add_f32 v85, v85, v86
	v_sub_f32_e32 v83, v83, v96
	s_waitcnt_depctr 0xfff
	v_mul_f32_e32 v97, v96, v81
	v_add_f32_e32 v23, v23, v83
	s_delay_alu instid0(VALU_DEP_2) | instskip(NEXT) | instid1(VALU_DEP_1)
	v_mul_f32_e32 v98, v87, v97
	v_fma_f32 v86, v97, v87, -v98
	s_delay_alu instid0(VALU_DEP_1) | instskip(NEXT) | instid1(VALU_DEP_1)
	v_fmac_f32_e32 v86, v97, v85
	v_add_f32_e32 v99, v98, v86
	s_delay_alu instid0(VALU_DEP_1) | instskip(NEXT) | instid1(VALU_DEP_1)
	v_dual_sub_f32 v100, v96, v99 :: v_dual_sub_f32 v83, v99, v98
	v_dual_sub_f32 v96, v96, v100 :: v_dual_sub_f32 v83, v83, v86
	s_delay_alu instid0(VALU_DEP_1) | instskip(NEXT) | instid1(VALU_DEP_1)
	v_sub_f32_e32 v96, v96, v99
	v_add_f32_e32 v23, v23, v96
	s_delay_alu instid0(VALU_DEP_1) | instskip(NEXT) | instid1(VALU_DEP_1)
	v_add_f32_e32 v23, v83, v23
	v_add_f32_e32 v83, v100, v23
	s_delay_alu instid0(VALU_DEP_1) | instskip(NEXT) | instid1(VALU_DEP_1)
	v_mul_f32_e32 v86, v81, v83
	v_dual_sub_f32 v99, v100, v83 :: v_dual_mul_f32 v96, v87, v86
	s_delay_alu instid0(VALU_DEP_1) | instskip(NEXT) | instid1(VALU_DEP_2)
	v_add_f32_e32 v23, v23, v99
	v_fma_f32 v87, v86, v87, -v96
	s_delay_alu instid0(VALU_DEP_1) | instskip(NEXT) | instid1(VALU_DEP_1)
	v_fmac_f32_e32 v87, v86, v85
	v_add_f32_e32 v85, v96, v87
	s_delay_alu instid0(VALU_DEP_1) | instskip(NEXT) | instid1(VALU_DEP_1)
	v_sub_f32_e32 v98, v83, v85
	v_dual_sub_f32 v96, v85, v96 :: v_dual_sub_f32 v83, v83, v98
	s_delay_alu instid0(VALU_DEP_1) | instskip(NEXT) | instid1(VALU_DEP_2)
	v_sub_f32_e32 v83, v83, v85
	v_sub_f32_e32 v85, v96, v87
	s_delay_alu instid0(VALU_DEP_2) | instskip(SKIP_1) | instid1(VALU_DEP_2)
	v_add_f32_e32 v23, v23, v83
	v_add_f32_e32 v83, v97, v86
	;; [unrolled: 1-line block ×3, first 2 shown]
	s_delay_alu instid0(VALU_DEP_2) | instskip(NEXT) | instid1(VALU_DEP_2)
	v_sub_f32_e32 v85, v83, v97
	v_add_f32_e32 v23, v98, v23
	s_delay_alu instid0(VALU_DEP_2) | instskip(NEXT) | instid1(VALU_DEP_2)
	v_sub_f32_e32 v85, v86, v85
	v_mul_f32_e32 v23, v81, v23
	s_delay_alu instid0(VALU_DEP_1) | instskip(NEXT) | instid1(VALU_DEP_1)
	v_add_f32_e32 v23, v85, v23
	v_add_f32_e32 v81, v83, v23
	s_delay_alu instid0(VALU_DEP_1) | instskip(NEXT) | instid1(VALU_DEP_1)
	v_mul_f32_e32 v85, v81, v81
	v_fmaak_f32 v86, s10, v85, 0x3ecc95a3
	v_mul_f32_e32 v87, v81, v85
	v_cmp_gt_f32_e64 s10, 0x33800000, |v17|
	s_delay_alu instid0(VALU_DEP_3) | instskip(SKIP_2) | instid1(VALU_DEP_4)
	v_fmaak_f32 v85, v85, v86, 0x3f2aaada
	v_ldexp_f32 v86, v81, 1
	v_sub_f32_e32 v81, v81, v83
	s_or_b32 vcc_lo, vcc_lo, s10
	s_delay_alu instid0(VALU_DEP_3) | instskip(SKIP_1) | instid1(VALU_DEP_3)
	v_mul_f32_e32 v85, v87, v85
	v_mul_f32_e32 v87, 0x3f317218, v22
	v_sub_f32_e32 v23, v23, v81
	s_delay_alu instid0(VALU_DEP_3) | instskip(NEXT) | instid1(VALU_DEP_2)
	v_add_f32_e32 v83, v86, v85
	v_ldexp_f32 v23, v23, 1
	s_delay_alu instid0(VALU_DEP_2) | instskip(SKIP_1) | instid1(VALU_DEP_1)
	v_sub_f32_e32 v81, v83, v86
	v_fma_f32 v86, 0x3f317218, v22, -v87
	v_dual_sub_f32 v81, v85, v81 :: v_dual_fmamk_f32 v22, v22, 0xb102e308, v86
	s_delay_alu instid0(VALU_DEP_1) | instskip(NEXT) | instid1(VALU_DEP_2)
	v_add_f32_e32 v23, v23, v81
	v_add_f32_e32 v81, v87, v22
	s_delay_alu instid0(VALU_DEP_2) | instskip(NEXT) | instid1(VALU_DEP_2)
	v_add_f32_e32 v85, v83, v23
	v_sub_f32_e32 v87, v81, v87
	s_delay_alu instid0(VALU_DEP_2) | instskip(SKIP_1) | instid1(VALU_DEP_3)
	v_add_f32_e32 v86, v81, v85
	v_sub_f32_e32 v83, v85, v83
	v_sub_f32_e32 v22, v22, v87
	s_delay_alu instid0(VALU_DEP_2) | instskip(NEXT) | instid1(VALU_DEP_1)
	v_dual_sub_f32 v96, v86, v81 :: v_dual_sub_f32 v23, v23, v83
	v_sub_f32_e32 v97, v86, v96
	v_sub_f32_e32 v83, v85, v96
	s_delay_alu instid0(VALU_DEP_3) | instskip(NEXT) | instid1(VALU_DEP_3)
	v_add_f32_e32 v85, v22, v23
	v_sub_f32_e32 v81, v81, v97
	s_delay_alu instid0(VALU_DEP_1) | instskip(NEXT) | instid1(VALU_DEP_3)
	v_add_f32_e32 v81, v83, v81
	v_sub_f32_e32 v83, v85, v22
	s_delay_alu instid0(VALU_DEP_2) | instskip(NEXT) | instid1(VALU_DEP_2)
	v_add_f32_e32 v81, v85, v81
	v_sub_f32_e32 v85, v85, v83
	v_sub_f32_e32 v23, v23, v83
	s_delay_alu instid0(VALU_DEP_3) | instskip(NEXT) | instid1(VALU_DEP_1)
	v_add_f32_e32 v87, v86, v81
	v_dual_sub_f32 v22, v22, v85 :: v_dual_sub_f32 v83, v87, v86
	s_delay_alu instid0(VALU_DEP_1) | instskip(NEXT) | instid1(VALU_DEP_1)
	v_dual_add_f32 v22, v23, v22 :: v_dual_sub_f32 v23, v81, v83
	v_add_f32_e32 v22, v22, v23
	s_delay_alu instid0(VALU_DEP_1) | instskip(NEXT) | instid1(VALU_DEP_1)
	v_add_f32_e32 v22, v87, v22
	v_cndmask_b32_e32 v17, v22, v17, vcc_lo
	s_delay_alu instid0(VALU_DEP_1)
	v_add_f32_e32 v17, v16, v17
.LBB521_63:
	s_or_b32 exec_lo, exec_lo, s9
	s_delay_alu instid0(VALU_DEP_1) | instskip(SKIP_1) | instid1(VALU_DEP_2)
	v_bfe_u32 v16, v17, 16, 1
	v_cmp_o_f32_e32 vcc_lo, v17, v17
	v_add3_u32 v16, v17, v16, 0x7fff
	s_delay_alu instid0(VALU_DEP_1) | instskip(NEXT) | instid1(VALU_DEP_1)
	v_and_b32_e32 v16, 0xffff0000, v16
	v_cndmask_b32_e32 v17, 0x7fc00000, v16, vcc_lo
	s_delay_alu instid0(VALU_DEP_1) | instskip(NEXT) | instid1(VALU_DEP_1)
	v_dual_max_f32 v16, v17, v17 :: v_dual_lshlrev_b32 v81, 16, v50
	v_max_f32_e32 v86, v81, v81
	v_cmp_u_f32_e32 vcc_lo, v17, v17
	v_cmp_u_f32_e64 s9, v81, v81
	s_delay_alu instid0(VALU_DEP_3) | instskip(SKIP_1) | instid1(VALU_DEP_2)
	v_min_f32_e32 v22, v16, v86
	v_max_f32_e32 v16, v16, v86
	v_cndmask_b32_e32 v22, v22, v17, vcc_lo
	s_delay_alu instid0(VALU_DEP_2) | instskip(NEXT) | instid1(VALU_DEP_2)
	v_cndmask_b32_e32 v16, v16, v17, vcc_lo
	v_cndmask_b32_e64 v22, v22, v81, s9
	s_delay_alu instid0(VALU_DEP_2) | instskip(NEXT) | instid1(VALU_DEP_2)
	v_cndmask_b32_e64 v16, v16, v81, s9
	v_cmp_class_f32_e64 s10, v22, 0x1f8
	s_delay_alu instid0(VALU_DEP_2) | instskip(NEXT) | instid1(VALU_DEP_2)
	v_cmp_neq_f32_e32 vcc_lo, v22, v16
	s_or_b32 s11, vcc_lo, s10
	s_delay_alu instid0(SALU_CYCLE_1)
	s_and_saveexec_b32 s10, s11
	s_cbranch_execz .LBB521_65
; %bb.64:
	v_sub_f32_e32 v17, v22, v16
	s_mov_b32 s11, 0x3e9b6dac
	s_delay_alu instid0(VALU_DEP_1) | instskip(SKIP_1) | instid1(VALU_DEP_2)
	v_mul_f32_e32 v22, 0x3fb8aa3b, v17
	v_cmp_ngt_f32_e32 vcc_lo, 0xc2ce8ed0, v17
	v_fma_f32 v23, 0x3fb8aa3b, v17, -v22
	v_rndne_f32_e32 v83, v22
	s_delay_alu instid0(VALU_DEP_1) | instskip(NEXT) | instid1(VALU_DEP_1)
	v_dual_fmamk_f32 v23, v17, 0x32a5705f, v23 :: v_dual_sub_f32 v22, v22, v83
	v_add_f32_e32 v22, v22, v23
	v_cvt_i32_f32_e32 v23, v83
	s_delay_alu instid0(VALU_DEP_2) | instskip(SKIP_2) | instid1(VALU_DEP_1)
	v_exp_f32_e32 v22, v22
	s_waitcnt_depctr 0xfff
	v_ldexp_f32 v22, v22, v23
	v_cndmask_b32_e32 v22, 0, v22, vcc_lo
	v_cmp_nlt_f32_e32 vcc_lo, 0x42b17218, v17
	s_delay_alu instid0(VALU_DEP_2) | instskip(NEXT) | instid1(VALU_DEP_1)
	v_cndmask_b32_e32 v17, 0x7f800000, v22, vcc_lo
	v_add_f32_e32 v83, 1.0, v17
	s_delay_alu instid0(VALU_DEP_1) | instskip(NEXT) | instid1(VALU_DEP_1)
	v_cvt_f64_f32_e32 v[22:23], v83
	v_frexp_exp_i32_f64_e32 v22, v[22:23]
	v_frexp_mant_f32_e32 v23, v83
	s_delay_alu instid0(VALU_DEP_1) | instskip(SKIP_1) | instid1(VALU_DEP_1)
	v_cmp_gt_f32_e32 vcc_lo, 0x3f2aaaab, v23
	v_add_f32_e32 v23, -1.0, v83
	v_sub_f32_e32 v87, v23, v83
	s_delay_alu instid0(VALU_DEP_1) | instskip(SKIP_1) | instid1(VALU_DEP_1)
	v_add_f32_e32 v87, 1.0, v87
	v_subrev_co_ci_u32_e32 v22, vcc_lo, 0, v22, vcc_lo
	v_sub_nc_u32_e32 v85, 0, v22
	v_cvt_f32_i32_e32 v22, v22
	s_delay_alu instid0(VALU_DEP_2) | instskip(NEXT) | instid1(VALU_DEP_1)
	v_ldexp_f32 v83, v83, v85
	v_add_f32_e32 v96, 1.0, v83
	v_sub_f32_e32 v23, v17, v23
	v_cmp_eq_f32_e32 vcc_lo, 0x7f800000, v17
	s_delay_alu instid0(VALU_DEP_2) | instskip(NEXT) | instid1(VALU_DEP_1)
	v_add_f32_e32 v23, v23, v87
	v_ldexp_f32 v23, v23, v85
	v_add_f32_e32 v85, -1.0, v83
	v_add_f32_e32 v87, -1.0, v96
	s_delay_alu instid0(VALU_DEP_2) | instskip(NEXT) | instid1(VALU_DEP_2)
	v_add_f32_e32 v97, 1.0, v85
	v_sub_f32_e32 v87, v83, v87
	s_delay_alu instid0(VALU_DEP_2) | instskip(NEXT) | instid1(VALU_DEP_2)
	v_sub_f32_e32 v83, v83, v97
	v_add_f32_e32 v87, v23, v87
	s_delay_alu instid0(VALU_DEP_2) | instskip(NEXT) | instid1(VALU_DEP_2)
	v_add_f32_e32 v23, v23, v83
	v_add_f32_e32 v97, v96, v87
	s_delay_alu instid0(VALU_DEP_2) | instskip(NEXT) | instid1(VALU_DEP_2)
	v_add_f32_e32 v98, v85, v23
	v_rcp_f32_e32 v83, v97
	s_delay_alu instid0(VALU_DEP_1) | instskip(NEXT) | instid1(VALU_DEP_1)
	v_dual_sub_f32 v96, v96, v97 :: v_dual_sub_f32 v85, v85, v98
	v_add_f32_e32 v87, v87, v96
	s_delay_alu instid0(VALU_DEP_2) | instskip(SKIP_2) | instid1(VALU_DEP_1)
	v_add_f32_e32 v23, v23, v85
	s_waitcnt_depctr 0xfff
	v_mul_f32_e32 v99, v98, v83
	v_mul_f32_e32 v100, v97, v99
	s_delay_alu instid0(VALU_DEP_1) | instskip(NEXT) | instid1(VALU_DEP_1)
	v_fma_f32 v96, v99, v97, -v100
	v_fmac_f32_e32 v96, v99, v87
	s_delay_alu instid0(VALU_DEP_1) | instskip(NEXT) | instid1(VALU_DEP_1)
	v_add_f32_e32 v101, v100, v96
	v_dual_sub_f32 v102, v98, v101 :: v_dual_sub_f32 v85, v101, v100
	s_delay_alu instid0(VALU_DEP_1) | instskip(NEXT) | instid1(VALU_DEP_1)
	v_dual_sub_f32 v98, v98, v102 :: v_dual_sub_f32 v85, v85, v96
	v_sub_f32_e32 v98, v98, v101
	s_delay_alu instid0(VALU_DEP_1) | instskip(NEXT) | instid1(VALU_DEP_1)
	v_add_f32_e32 v23, v23, v98
	v_add_f32_e32 v23, v85, v23
	s_delay_alu instid0(VALU_DEP_1) | instskip(NEXT) | instid1(VALU_DEP_1)
	v_add_f32_e32 v85, v102, v23
	v_mul_f32_e32 v96, v83, v85
	s_delay_alu instid0(VALU_DEP_1) | instskip(NEXT) | instid1(VALU_DEP_1)
	v_dual_sub_f32 v101, v102, v85 :: v_dual_mul_f32 v98, v97, v96
	v_add_f32_e32 v23, v23, v101
	s_delay_alu instid0(VALU_DEP_2) | instskip(NEXT) | instid1(VALU_DEP_1)
	v_fma_f32 v97, v96, v97, -v98
	v_fmac_f32_e32 v97, v96, v87
	s_delay_alu instid0(VALU_DEP_1) | instskip(NEXT) | instid1(VALU_DEP_1)
	v_add_f32_e32 v87, v98, v97
	v_sub_f32_e32 v100, v85, v87
	s_delay_alu instid0(VALU_DEP_1) | instskip(NEXT) | instid1(VALU_DEP_1)
	v_dual_sub_f32 v98, v87, v98 :: v_dual_sub_f32 v85, v85, v100
	v_sub_f32_e32 v85, v85, v87
	s_delay_alu instid0(VALU_DEP_2) | instskip(NEXT) | instid1(VALU_DEP_2)
	v_sub_f32_e32 v87, v98, v97
	v_add_f32_e32 v23, v23, v85
	v_add_f32_e32 v85, v99, v96
	s_delay_alu instid0(VALU_DEP_2) | instskip(NEXT) | instid1(VALU_DEP_2)
	v_add_f32_e32 v23, v87, v23
	v_sub_f32_e32 v87, v85, v99
	s_delay_alu instid0(VALU_DEP_2) | instskip(NEXT) | instid1(VALU_DEP_2)
	v_add_f32_e32 v23, v100, v23
	v_sub_f32_e32 v87, v96, v87
	s_delay_alu instid0(VALU_DEP_2) | instskip(NEXT) | instid1(VALU_DEP_1)
	v_mul_f32_e32 v23, v83, v23
	v_add_f32_e32 v23, v87, v23
	s_delay_alu instid0(VALU_DEP_1) | instskip(NEXT) | instid1(VALU_DEP_1)
	v_add_f32_e32 v83, v85, v23
	v_mul_f32_e32 v87, v83, v83
	s_delay_alu instid0(VALU_DEP_1) | instskip(SKIP_2) | instid1(VALU_DEP_3)
	v_fmaak_f32 v96, s11, v87, 0x3ecc95a3
	v_mul_f32_e32 v97, v83, v87
	v_cmp_gt_f32_e64 s11, 0x33800000, |v17|
	v_fmaak_f32 v87, v87, v96, 0x3f2aaada
	v_ldexp_f32 v96, v83, 1
	v_sub_f32_e32 v83, v83, v85
	s_delay_alu instid0(VALU_DEP_4) | instskip(NEXT) | instid1(VALU_DEP_3)
	s_or_b32 vcc_lo, vcc_lo, s11
	v_mul_f32_e32 v87, v97, v87
	v_mul_f32_e32 v97, 0x3f317218, v22
	s_delay_alu instid0(VALU_DEP_3) | instskip(NEXT) | instid1(VALU_DEP_3)
	v_sub_f32_e32 v23, v23, v83
	v_add_f32_e32 v85, v96, v87
	s_delay_alu instid0(VALU_DEP_2) | instskip(NEXT) | instid1(VALU_DEP_2)
	v_ldexp_f32 v23, v23, 1
	v_sub_f32_e32 v83, v85, v96
	v_fma_f32 v96, 0x3f317218, v22, -v97
	s_delay_alu instid0(VALU_DEP_1) | instskip(NEXT) | instid1(VALU_DEP_1)
	v_dual_sub_f32 v83, v87, v83 :: v_dual_fmamk_f32 v22, v22, 0xb102e308, v96
	v_add_f32_e32 v23, v23, v83
	s_delay_alu instid0(VALU_DEP_2) | instskip(NEXT) | instid1(VALU_DEP_2)
	v_add_f32_e32 v83, v97, v22
	v_add_f32_e32 v87, v85, v23
	s_delay_alu instid0(VALU_DEP_2) | instskip(NEXT) | instid1(VALU_DEP_2)
	v_sub_f32_e32 v97, v83, v97
	v_add_f32_e32 v96, v83, v87
	v_sub_f32_e32 v85, v87, v85
	s_delay_alu instid0(VALU_DEP_3) | instskip(NEXT) | instid1(VALU_DEP_2)
	v_sub_f32_e32 v22, v22, v97
	v_dual_sub_f32 v98, v96, v83 :: v_dual_sub_f32 v23, v23, v85
	s_delay_alu instid0(VALU_DEP_1) | instskip(SKIP_1) | instid1(VALU_DEP_3)
	v_sub_f32_e32 v99, v96, v98
	v_sub_f32_e32 v85, v87, v98
	v_add_f32_e32 v87, v22, v23
	s_delay_alu instid0(VALU_DEP_3) | instskip(NEXT) | instid1(VALU_DEP_1)
	v_sub_f32_e32 v83, v83, v99
	v_add_f32_e32 v83, v85, v83
	s_delay_alu instid0(VALU_DEP_3) | instskip(NEXT) | instid1(VALU_DEP_2)
	v_sub_f32_e32 v85, v87, v22
	v_add_f32_e32 v83, v87, v83
	s_delay_alu instid0(VALU_DEP_2) | instskip(SKIP_1) | instid1(VALU_DEP_3)
	v_sub_f32_e32 v87, v87, v85
	v_sub_f32_e32 v23, v23, v85
	v_add_f32_e32 v97, v96, v83
	s_delay_alu instid0(VALU_DEP_1) | instskip(NEXT) | instid1(VALU_DEP_1)
	v_dual_sub_f32 v22, v22, v87 :: v_dual_sub_f32 v85, v97, v96
	v_add_f32_e32 v22, v23, v22
	s_delay_alu instid0(VALU_DEP_2) | instskip(NEXT) | instid1(VALU_DEP_1)
	v_sub_f32_e32 v23, v83, v85
	v_add_f32_e32 v22, v22, v23
	s_delay_alu instid0(VALU_DEP_1) | instskip(NEXT) | instid1(VALU_DEP_1)
	v_add_f32_e32 v22, v97, v22
	v_cndmask_b32_e32 v17, v22, v17, vcc_lo
	s_delay_alu instid0(VALU_DEP_1)
	v_add_f32_e32 v17, v16, v17
.LBB521_65:
	s_or_b32 exec_lo, exec_lo, s10
	s_delay_alu instid0(VALU_DEP_1) | instskip(SKIP_1) | instid1(VALU_DEP_2)
	v_bfe_u32 v16, v17, 16, 1
	v_cmp_o_f32_e32 vcc_lo, v17, v17
	v_add3_u32 v16, v17, v16, 0x7fff
	s_delay_alu instid0(VALU_DEP_1) | instskip(NEXT) | instid1(VALU_DEP_1)
	v_and_b32_e32 v16, 0xffff0000, v16
	v_cndmask_b32_e32 v17, 0x7fc00000, v16, vcc_lo
	s_delay_alu instid0(VALU_DEP_1) | instskip(SKIP_1) | instid1(VALU_DEP_1)
	v_max_f32_e32 v16, v17, v17
	v_lshlrev_b32_e32 v83, 16, v49
	v_max_f32_e32 v96, v83, v83
	v_cmp_u_f32_e32 vcc_lo, v17, v17
	s_delay_alu instid0(VALU_DEP_2) | instskip(SKIP_2) | instid1(VALU_DEP_3)
	v_min_f32_e32 v22, v16, v96
	v_max_f32_e32 v16, v16, v96
	v_cmp_u_f32_e64 s10, v83, v83
	v_cndmask_b32_e32 v22, v22, v17, vcc_lo
	s_delay_alu instid0(VALU_DEP_3) | instskip(NEXT) | instid1(VALU_DEP_2)
	v_cndmask_b32_e32 v16, v16, v17, vcc_lo
	v_cndmask_b32_e64 v22, v22, v83, s10
	s_delay_alu instid0(VALU_DEP_2) | instskip(NEXT) | instid1(VALU_DEP_2)
	v_cndmask_b32_e64 v16, v16, v83, s10
	v_cmp_class_f32_e64 s11, v22, 0x1f8
	s_delay_alu instid0(VALU_DEP_2) | instskip(NEXT) | instid1(VALU_DEP_2)
	v_cmp_neq_f32_e32 vcc_lo, v22, v16
	s_or_b32 s12, vcc_lo, s11
	s_delay_alu instid0(SALU_CYCLE_1)
	s_and_saveexec_b32 s11, s12
	s_cbranch_execz .LBB521_67
; %bb.66:
	v_sub_f32_e32 v17, v22, v16
	s_mov_b32 s12, 0x3e9b6dac
	s_delay_alu instid0(VALU_DEP_1) | instskip(SKIP_1) | instid1(VALU_DEP_2)
	v_mul_f32_e32 v22, 0x3fb8aa3b, v17
	v_cmp_ngt_f32_e32 vcc_lo, 0xc2ce8ed0, v17
	v_fma_f32 v23, 0x3fb8aa3b, v17, -v22
	v_rndne_f32_e32 v85, v22
	s_delay_alu instid0(VALU_DEP_1) | instskip(NEXT) | instid1(VALU_DEP_1)
	v_dual_fmamk_f32 v23, v17, 0x32a5705f, v23 :: v_dual_sub_f32 v22, v22, v85
	v_add_f32_e32 v22, v22, v23
	v_cvt_i32_f32_e32 v23, v85
	s_delay_alu instid0(VALU_DEP_2) | instskip(SKIP_2) | instid1(VALU_DEP_1)
	v_exp_f32_e32 v22, v22
	s_waitcnt_depctr 0xfff
	v_ldexp_f32 v22, v22, v23
	v_cndmask_b32_e32 v22, 0, v22, vcc_lo
	v_cmp_nlt_f32_e32 vcc_lo, 0x42b17218, v17
	s_delay_alu instid0(VALU_DEP_2) | instskip(NEXT) | instid1(VALU_DEP_1)
	v_cndmask_b32_e32 v17, 0x7f800000, v22, vcc_lo
	v_add_f32_e32 v85, 1.0, v17
	s_delay_alu instid0(VALU_DEP_1) | instskip(NEXT) | instid1(VALU_DEP_1)
	v_cvt_f64_f32_e32 v[22:23], v85
	v_frexp_exp_i32_f64_e32 v22, v[22:23]
	v_frexp_mant_f32_e32 v23, v85
	s_delay_alu instid0(VALU_DEP_1) | instskip(SKIP_1) | instid1(VALU_DEP_1)
	v_cmp_gt_f32_e32 vcc_lo, 0x3f2aaaab, v23
	v_add_f32_e32 v23, -1.0, v85
	v_sub_f32_e32 v97, v23, v85
	s_delay_alu instid0(VALU_DEP_1) | instskip(SKIP_1) | instid1(VALU_DEP_1)
	v_add_f32_e32 v97, 1.0, v97
	v_subrev_co_ci_u32_e32 v22, vcc_lo, 0, v22, vcc_lo
	v_sub_nc_u32_e32 v87, 0, v22
	v_cvt_f32_i32_e32 v22, v22
	s_delay_alu instid0(VALU_DEP_2) | instskip(NEXT) | instid1(VALU_DEP_1)
	v_ldexp_f32 v85, v85, v87
	v_dual_add_f32 v98, 1.0, v85 :: v_dual_sub_f32 v23, v17, v23
	v_cmp_eq_f32_e32 vcc_lo, 0x7f800000, v17
	s_delay_alu instid0(VALU_DEP_2) | instskip(NEXT) | instid1(VALU_DEP_3)
	v_add_f32_e32 v23, v23, v97
	v_add_f32_e32 v97, -1.0, v98
	s_delay_alu instid0(VALU_DEP_2) | instskip(SKIP_1) | instid1(VALU_DEP_3)
	v_ldexp_f32 v23, v23, v87
	v_add_f32_e32 v87, -1.0, v85
	v_sub_f32_e32 v97, v85, v97
	s_delay_alu instid0(VALU_DEP_2) | instskip(NEXT) | instid1(VALU_DEP_2)
	v_add_f32_e32 v99, 1.0, v87
	v_add_f32_e32 v97, v23, v97
	s_delay_alu instid0(VALU_DEP_2) | instskip(NEXT) | instid1(VALU_DEP_2)
	v_sub_f32_e32 v85, v85, v99
	v_add_f32_e32 v99, v98, v97
	s_delay_alu instid0(VALU_DEP_2) | instskip(NEXT) | instid1(VALU_DEP_2)
	v_add_f32_e32 v23, v23, v85
	v_rcp_f32_e32 v85, v99
	v_sub_f32_e32 v98, v98, v99
	s_delay_alu instid0(VALU_DEP_1) | instskip(NEXT) | instid1(VALU_DEP_1)
	v_dual_add_f32 v100, v87, v23 :: v_dual_add_f32 v97, v97, v98
	v_sub_f32_e32 v87, v87, v100
	s_waitcnt_depctr 0xfff
	v_mul_f32_e32 v101, v100, v85
	v_add_f32_e32 v23, v23, v87
	s_delay_alu instid0(VALU_DEP_2) | instskip(NEXT) | instid1(VALU_DEP_1)
	v_mul_f32_e32 v102, v99, v101
	v_fma_f32 v98, v101, v99, -v102
	s_delay_alu instid0(VALU_DEP_1) | instskip(NEXT) | instid1(VALU_DEP_1)
	v_fmac_f32_e32 v98, v101, v97
	v_add_f32_e32 v103, v102, v98
	s_delay_alu instid0(VALU_DEP_1) | instskip(NEXT) | instid1(VALU_DEP_1)
	v_dual_sub_f32 v112, v100, v103 :: v_dual_sub_f32 v87, v103, v102
	v_dual_sub_f32 v100, v100, v112 :: v_dual_sub_f32 v87, v87, v98
	s_delay_alu instid0(VALU_DEP_1) | instskip(NEXT) | instid1(VALU_DEP_1)
	v_sub_f32_e32 v100, v100, v103
	v_add_f32_e32 v23, v23, v100
	s_delay_alu instid0(VALU_DEP_1) | instskip(NEXT) | instid1(VALU_DEP_1)
	v_add_f32_e32 v23, v87, v23
	v_add_f32_e32 v87, v112, v23
	s_delay_alu instid0(VALU_DEP_1) | instskip(NEXT) | instid1(VALU_DEP_1)
	v_mul_f32_e32 v98, v85, v87
	v_dual_sub_f32 v103, v112, v87 :: v_dual_mul_f32 v100, v99, v98
	s_delay_alu instid0(VALU_DEP_1) | instskip(NEXT) | instid1(VALU_DEP_2)
	v_add_f32_e32 v23, v23, v103
	v_fma_f32 v99, v98, v99, -v100
	s_delay_alu instid0(VALU_DEP_1) | instskip(NEXT) | instid1(VALU_DEP_1)
	v_fmac_f32_e32 v99, v98, v97
	v_add_f32_e32 v97, v100, v99
	s_delay_alu instid0(VALU_DEP_1) | instskip(NEXT) | instid1(VALU_DEP_1)
	v_sub_f32_e32 v102, v87, v97
	v_dual_sub_f32 v100, v97, v100 :: v_dual_sub_f32 v87, v87, v102
	s_delay_alu instid0(VALU_DEP_1) | instskip(NEXT) | instid1(VALU_DEP_2)
	v_sub_f32_e32 v87, v87, v97
	v_sub_f32_e32 v97, v100, v99
	s_delay_alu instid0(VALU_DEP_2) | instskip(SKIP_1) | instid1(VALU_DEP_2)
	v_add_f32_e32 v23, v23, v87
	v_add_f32_e32 v87, v101, v98
	;; [unrolled: 1-line block ×3, first 2 shown]
	s_delay_alu instid0(VALU_DEP_2) | instskip(NEXT) | instid1(VALU_DEP_2)
	v_sub_f32_e32 v97, v87, v101
	v_add_f32_e32 v23, v102, v23
	s_delay_alu instid0(VALU_DEP_2) | instskip(NEXT) | instid1(VALU_DEP_2)
	v_sub_f32_e32 v97, v98, v97
	v_mul_f32_e32 v23, v85, v23
	s_delay_alu instid0(VALU_DEP_1) | instskip(NEXT) | instid1(VALU_DEP_1)
	v_add_f32_e32 v23, v97, v23
	v_add_f32_e32 v85, v87, v23
	s_delay_alu instid0(VALU_DEP_1) | instskip(NEXT) | instid1(VALU_DEP_1)
	v_mul_f32_e32 v97, v85, v85
	v_fmaak_f32 v98, s12, v97, 0x3ecc95a3
	v_mul_f32_e32 v99, v85, v97
	v_cmp_gt_f32_e64 s12, 0x33800000, |v17|
	s_delay_alu instid0(VALU_DEP_3) | instskip(SKIP_2) | instid1(VALU_DEP_4)
	v_fmaak_f32 v97, v97, v98, 0x3f2aaada
	v_ldexp_f32 v98, v85, 1
	v_sub_f32_e32 v85, v85, v87
	s_or_b32 vcc_lo, vcc_lo, s12
	s_delay_alu instid0(VALU_DEP_3) | instskip(SKIP_1) | instid1(VALU_DEP_3)
	v_mul_f32_e32 v97, v99, v97
	v_mul_f32_e32 v99, 0x3f317218, v22
	v_sub_f32_e32 v23, v23, v85
	s_delay_alu instid0(VALU_DEP_3) | instskip(NEXT) | instid1(VALU_DEP_2)
	v_add_f32_e32 v87, v98, v97
	v_ldexp_f32 v23, v23, 1
	s_delay_alu instid0(VALU_DEP_2) | instskip(SKIP_1) | instid1(VALU_DEP_1)
	v_sub_f32_e32 v85, v87, v98
	v_fma_f32 v98, 0x3f317218, v22, -v99
	v_dual_sub_f32 v85, v97, v85 :: v_dual_fmamk_f32 v22, v22, 0xb102e308, v98
	s_delay_alu instid0(VALU_DEP_1) | instskip(NEXT) | instid1(VALU_DEP_2)
	v_add_f32_e32 v23, v23, v85
	v_add_f32_e32 v85, v99, v22
	s_delay_alu instid0(VALU_DEP_2) | instskip(NEXT) | instid1(VALU_DEP_2)
	v_add_f32_e32 v97, v87, v23
	v_sub_f32_e32 v99, v85, v99
	s_delay_alu instid0(VALU_DEP_2) | instskip(SKIP_1) | instid1(VALU_DEP_3)
	v_add_f32_e32 v98, v85, v97
	v_sub_f32_e32 v87, v97, v87
	v_sub_f32_e32 v22, v22, v99
	s_delay_alu instid0(VALU_DEP_2) | instskip(NEXT) | instid1(VALU_DEP_1)
	v_dual_sub_f32 v100, v98, v85 :: v_dual_sub_f32 v23, v23, v87
	v_sub_f32_e32 v101, v98, v100
	v_sub_f32_e32 v87, v97, v100
	s_delay_alu instid0(VALU_DEP_3) | instskip(NEXT) | instid1(VALU_DEP_3)
	v_add_f32_e32 v97, v22, v23
	v_sub_f32_e32 v85, v85, v101
	s_delay_alu instid0(VALU_DEP_1) | instskip(NEXT) | instid1(VALU_DEP_3)
	v_add_f32_e32 v85, v87, v85
	v_sub_f32_e32 v87, v97, v22
	s_delay_alu instid0(VALU_DEP_2) | instskip(NEXT) | instid1(VALU_DEP_2)
	v_add_f32_e32 v85, v97, v85
	v_sub_f32_e32 v97, v97, v87
	v_sub_f32_e32 v23, v23, v87
	s_delay_alu instid0(VALU_DEP_3) | instskip(NEXT) | instid1(VALU_DEP_1)
	v_add_f32_e32 v99, v98, v85
	v_dual_sub_f32 v22, v22, v97 :: v_dual_sub_f32 v87, v99, v98
	s_delay_alu instid0(VALU_DEP_1) | instskip(NEXT) | instid1(VALU_DEP_1)
	v_dual_add_f32 v22, v23, v22 :: v_dual_sub_f32 v23, v85, v87
	v_add_f32_e32 v22, v22, v23
	s_delay_alu instid0(VALU_DEP_1) | instskip(NEXT) | instid1(VALU_DEP_1)
	v_add_f32_e32 v22, v99, v22
	v_cndmask_b32_e32 v17, v22, v17, vcc_lo
	s_delay_alu instid0(VALU_DEP_1)
	v_add_f32_e32 v17, v16, v17
.LBB521_67:
	s_or_b32 exec_lo, exec_lo, s11
	s_delay_alu instid0(VALU_DEP_1) | instskip(SKIP_1) | instid1(VALU_DEP_2)
	v_bfe_u32 v16, v17, 16, 1
	v_cmp_o_f32_e32 vcc_lo, v17, v17
	v_add3_u32 v16, v17, v16, 0x7fff
	s_delay_alu instid0(VALU_DEP_1) | instskip(NEXT) | instid1(VALU_DEP_1)
	v_and_b32_e32 v16, 0xffff0000, v16
	v_cndmask_b32_e32 v17, 0x7fc00000, v16, vcc_lo
	s_delay_alu instid0(VALU_DEP_1) | instskip(NEXT) | instid1(VALU_DEP_1)
	v_dual_max_f32 v16, v17, v17 :: v_dual_lshlrev_b32 v85, 16, v48
	v_max_f32_e32 v98, v85, v85
	v_cmp_u_f32_e32 vcc_lo, v17, v17
	v_cmp_u_f32_e64 s11, v85, v85
	s_delay_alu instid0(VALU_DEP_3) | instskip(SKIP_1) | instid1(VALU_DEP_2)
	v_min_f32_e32 v22, v16, v98
	v_max_f32_e32 v16, v16, v98
	v_cndmask_b32_e32 v22, v22, v17, vcc_lo
	s_delay_alu instid0(VALU_DEP_2) | instskip(NEXT) | instid1(VALU_DEP_2)
	v_cndmask_b32_e32 v16, v16, v17, vcc_lo
	v_cndmask_b32_e64 v22, v22, v85, s11
	s_delay_alu instid0(VALU_DEP_2) | instskip(NEXT) | instid1(VALU_DEP_2)
	v_cndmask_b32_e64 v16, v16, v85, s11
	v_cmp_class_f32_e64 s12, v22, 0x1f8
	s_delay_alu instid0(VALU_DEP_2) | instskip(NEXT) | instid1(VALU_DEP_2)
	v_cmp_neq_f32_e32 vcc_lo, v22, v16
	s_or_b32 s13, vcc_lo, s12
	s_delay_alu instid0(SALU_CYCLE_1)
	s_and_saveexec_b32 s12, s13
	s_cbranch_execz .LBB521_69
; %bb.68:
	v_sub_f32_e32 v17, v22, v16
	s_mov_b32 s13, 0x3e9b6dac
	s_delay_alu instid0(VALU_DEP_1) | instskip(SKIP_1) | instid1(VALU_DEP_2)
	v_mul_f32_e32 v22, 0x3fb8aa3b, v17
	v_cmp_ngt_f32_e32 vcc_lo, 0xc2ce8ed0, v17
	v_fma_f32 v23, 0x3fb8aa3b, v17, -v22
	v_rndne_f32_e32 v87, v22
	s_delay_alu instid0(VALU_DEP_1) | instskip(NEXT) | instid1(VALU_DEP_1)
	v_dual_fmamk_f32 v23, v17, 0x32a5705f, v23 :: v_dual_sub_f32 v22, v22, v87
	v_add_f32_e32 v22, v22, v23
	v_cvt_i32_f32_e32 v23, v87
	s_delay_alu instid0(VALU_DEP_2) | instskip(SKIP_2) | instid1(VALU_DEP_1)
	v_exp_f32_e32 v22, v22
	s_waitcnt_depctr 0xfff
	v_ldexp_f32 v22, v22, v23
	v_cndmask_b32_e32 v22, 0, v22, vcc_lo
	v_cmp_nlt_f32_e32 vcc_lo, 0x42b17218, v17
	s_delay_alu instid0(VALU_DEP_2) | instskip(NEXT) | instid1(VALU_DEP_1)
	v_cndmask_b32_e32 v17, 0x7f800000, v22, vcc_lo
	v_add_f32_e32 v87, 1.0, v17
	s_delay_alu instid0(VALU_DEP_1) | instskip(NEXT) | instid1(VALU_DEP_1)
	v_cvt_f64_f32_e32 v[22:23], v87
	v_frexp_exp_i32_f64_e32 v22, v[22:23]
	v_frexp_mant_f32_e32 v23, v87
	s_delay_alu instid0(VALU_DEP_1) | instskip(SKIP_1) | instid1(VALU_DEP_1)
	v_cmp_gt_f32_e32 vcc_lo, 0x3f2aaaab, v23
	v_add_f32_e32 v23, -1.0, v87
	v_sub_f32_e32 v99, v23, v87
	s_delay_alu instid0(VALU_DEP_1) | instskip(SKIP_1) | instid1(VALU_DEP_1)
	v_add_f32_e32 v99, 1.0, v99
	v_subrev_co_ci_u32_e32 v22, vcc_lo, 0, v22, vcc_lo
	v_sub_nc_u32_e32 v97, 0, v22
	v_cvt_f32_i32_e32 v22, v22
	s_delay_alu instid0(VALU_DEP_2) | instskip(NEXT) | instid1(VALU_DEP_1)
	v_ldexp_f32 v87, v87, v97
	v_add_f32_e32 v100, 1.0, v87
	v_sub_f32_e32 v23, v17, v23
	v_cmp_eq_f32_e32 vcc_lo, 0x7f800000, v17
	s_delay_alu instid0(VALU_DEP_2) | instskip(NEXT) | instid1(VALU_DEP_1)
	v_add_f32_e32 v23, v23, v99
	v_ldexp_f32 v23, v23, v97
	v_add_f32_e32 v97, -1.0, v87
	v_add_f32_e32 v99, -1.0, v100
	s_delay_alu instid0(VALU_DEP_2) | instskip(NEXT) | instid1(VALU_DEP_2)
	v_add_f32_e32 v101, 1.0, v97
	v_sub_f32_e32 v99, v87, v99
	s_delay_alu instid0(VALU_DEP_2) | instskip(NEXT) | instid1(VALU_DEP_2)
	v_sub_f32_e32 v87, v87, v101
	v_add_f32_e32 v99, v23, v99
	s_delay_alu instid0(VALU_DEP_2) | instskip(NEXT) | instid1(VALU_DEP_2)
	v_add_f32_e32 v23, v23, v87
	v_add_f32_e32 v101, v100, v99
	s_delay_alu instid0(VALU_DEP_2) | instskip(NEXT) | instid1(VALU_DEP_2)
	v_add_f32_e32 v102, v97, v23
	v_rcp_f32_e32 v87, v101
	s_delay_alu instid0(VALU_DEP_1) | instskip(NEXT) | instid1(VALU_DEP_1)
	v_dual_sub_f32 v100, v100, v101 :: v_dual_sub_f32 v97, v97, v102
	v_add_f32_e32 v99, v99, v100
	s_delay_alu instid0(VALU_DEP_2) | instskip(SKIP_2) | instid1(VALU_DEP_1)
	v_add_f32_e32 v23, v23, v97
	s_waitcnt_depctr 0xfff
	v_mul_f32_e32 v103, v102, v87
	v_mul_f32_e32 v112, v101, v103
	s_delay_alu instid0(VALU_DEP_1) | instskip(NEXT) | instid1(VALU_DEP_1)
	v_fma_f32 v100, v103, v101, -v112
	v_fmac_f32_e32 v100, v103, v99
	s_delay_alu instid0(VALU_DEP_1) | instskip(NEXT) | instid1(VALU_DEP_1)
	v_add_f32_e32 v113, v112, v100
	v_dual_sub_f32 v114, v102, v113 :: v_dual_sub_f32 v97, v113, v112
	s_delay_alu instid0(VALU_DEP_1) | instskip(NEXT) | instid1(VALU_DEP_1)
	v_dual_sub_f32 v102, v102, v114 :: v_dual_sub_f32 v97, v97, v100
	v_sub_f32_e32 v102, v102, v113
	s_delay_alu instid0(VALU_DEP_1) | instskip(NEXT) | instid1(VALU_DEP_1)
	v_add_f32_e32 v23, v23, v102
	v_add_f32_e32 v23, v97, v23
	s_delay_alu instid0(VALU_DEP_1) | instskip(NEXT) | instid1(VALU_DEP_1)
	v_add_f32_e32 v97, v114, v23
	v_mul_f32_e32 v100, v87, v97
	s_delay_alu instid0(VALU_DEP_1) | instskip(NEXT) | instid1(VALU_DEP_1)
	v_dual_sub_f32 v113, v114, v97 :: v_dual_mul_f32 v102, v101, v100
	v_add_f32_e32 v23, v23, v113
	s_delay_alu instid0(VALU_DEP_2) | instskip(NEXT) | instid1(VALU_DEP_1)
	v_fma_f32 v101, v100, v101, -v102
	v_fmac_f32_e32 v101, v100, v99
	s_delay_alu instid0(VALU_DEP_1) | instskip(NEXT) | instid1(VALU_DEP_1)
	v_add_f32_e32 v99, v102, v101
	v_sub_f32_e32 v112, v97, v99
	s_delay_alu instid0(VALU_DEP_1) | instskip(NEXT) | instid1(VALU_DEP_1)
	v_dual_sub_f32 v102, v99, v102 :: v_dual_sub_f32 v97, v97, v112
	v_sub_f32_e32 v97, v97, v99
	s_delay_alu instid0(VALU_DEP_2) | instskip(NEXT) | instid1(VALU_DEP_2)
	v_sub_f32_e32 v99, v102, v101
	v_add_f32_e32 v23, v23, v97
	v_add_f32_e32 v97, v103, v100
	s_delay_alu instid0(VALU_DEP_2) | instskip(NEXT) | instid1(VALU_DEP_2)
	v_add_f32_e32 v23, v99, v23
	v_sub_f32_e32 v99, v97, v103
	s_delay_alu instid0(VALU_DEP_2) | instskip(NEXT) | instid1(VALU_DEP_2)
	v_add_f32_e32 v23, v112, v23
	v_sub_f32_e32 v99, v100, v99
	s_delay_alu instid0(VALU_DEP_2) | instskip(NEXT) | instid1(VALU_DEP_1)
	v_mul_f32_e32 v23, v87, v23
	v_add_f32_e32 v23, v99, v23
	s_delay_alu instid0(VALU_DEP_1) | instskip(NEXT) | instid1(VALU_DEP_1)
	v_add_f32_e32 v87, v97, v23
	v_mul_f32_e32 v99, v87, v87
	s_delay_alu instid0(VALU_DEP_1) | instskip(SKIP_2) | instid1(VALU_DEP_3)
	v_fmaak_f32 v100, s13, v99, 0x3ecc95a3
	v_mul_f32_e32 v101, v87, v99
	v_cmp_gt_f32_e64 s13, 0x33800000, |v17|
	v_fmaak_f32 v99, v99, v100, 0x3f2aaada
	v_ldexp_f32 v100, v87, 1
	v_sub_f32_e32 v87, v87, v97
	s_delay_alu instid0(VALU_DEP_4) | instskip(NEXT) | instid1(VALU_DEP_3)
	s_or_b32 vcc_lo, vcc_lo, s13
	v_mul_f32_e32 v99, v101, v99
	v_mul_f32_e32 v101, 0x3f317218, v22
	s_delay_alu instid0(VALU_DEP_3) | instskip(NEXT) | instid1(VALU_DEP_3)
	v_sub_f32_e32 v23, v23, v87
	v_add_f32_e32 v97, v100, v99
	s_delay_alu instid0(VALU_DEP_2) | instskip(NEXT) | instid1(VALU_DEP_2)
	v_ldexp_f32 v23, v23, 1
	v_sub_f32_e32 v87, v97, v100
	v_fma_f32 v100, 0x3f317218, v22, -v101
	s_delay_alu instid0(VALU_DEP_1) | instskip(NEXT) | instid1(VALU_DEP_1)
	v_dual_sub_f32 v87, v99, v87 :: v_dual_fmamk_f32 v22, v22, 0xb102e308, v100
	v_add_f32_e32 v23, v23, v87
	s_delay_alu instid0(VALU_DEP_2) | instskip(NEXT) | instid1(VALU_DEP_2)
	v_add_f32_e32 v87, v101, v22
	v_add_f32_e32 v99, v97, v23
	s_delay_alu instid0(VALU_DEP_2) | instskip(NEXT) | instid1(VALU_DEP_2)
	v_sub_f32_e32 v101, v87, v101
	v_add_f32_e32 v100, v87, v99
	v_sub_f32_e32 v97, v99, v97
	s_delay_alu instid0(VALU_DEP_3) | instskip(NEXT) | instid1(VALU_DEP_2)
	v_sub_f32_e32 v22, v22, v101
	v_dual_sub_f32 v102, v100, v87 :: v_dual_sub_f32 v23, v23, v97
	s_delay_alu instid0(VALU_DEP_1) | instskip(SKIP_1) | instid1(VALU_DEP_3)
	v_sub_f32_e32 v103, v100, v102
	v_sub_f32_e32 v97, v99, v102
	v_add_f32_e32 v99, v22, v23
	s_delay_alu instid0(VALU_DEP_3) | instskip(NEXT) | instid1(VALU_DEP_1)
	v_sub_f32_e32 v87, v87, v103
	v_add_f32_e32 v87, v97, v87
	s_delay_alu instid0(VALU_DEP_3) | instskip(NEXT) | instid1(VALU_DEP_2)
	v_sub_f32_e32 v97, v99, v22
	v_add_f32_e32 v87, v99, v87
	s_delay_alu instid0(VALU_DEP_2) | instskip(SKIP_1) | instid1(VALU_DEP_3)
	v_sub_f32_e32 v99, v99, v97
	v_sub_f32_e32 v23, v23, v97
	v_add_f32_e32 v101, v100, v87
	s_delay_alu instid0(VALU_DEP_1) | instskip(NEXT) | instid1(VALU_DEP_1)
	v_dual_sub_f32 v22, v22, v99 :: v_dual_sub_f32 v97, v101, v100
	v_add_f32_e32 v22, v23, v22
	s_delay_alu instid0(VALU_DEP_2) | instskip(NEXT) | instid1(VALU_DEP_1)
	v_sub_f32_e32 v23, v87, v97
	v_add_f32_e32 v22, v22, v23
	s_delay_alu instid0(VALU_DEP_1) | instskip(NEXT) | instid1(VALU_DEP_1)
	v_add_f32_e32 v22, v101, v22
	v_cndmask_b32_e32 v17, v22, v17, vcc_lo
	s_delay_alu instid0(VALU_DEP_1)
	v_add_f32_e32 v17, v16, v17
.LBB521_69:
	s_or_b32 exec_lo, exec_lo, s12
	s_delay_alu instid0(VALU_DEP_1) | instskip(SKIP_1) | instid1(VALU_DEP_2)
	v_bfe_u32 v16, v17, 16, 1
	v_cmp_o_f32_e32 vcc_lo, v17, v17
	v_add3_u32 v16, v17, v16, 0x7fff
	s_delay_alu instid0(VALU_DEP_1) | instskip(NEXT) | instid1(VALU_DEP_1)
	v_and_b32_e32 v16, 0xffff0000, v16
	v_cndmask_b32_e32 v17, 0x7fc00000, v16, vcc_lo
	s_delay_alu instid0(VALU_DEP_1) | instskip(NEXT) | instid1(VALU_DEP_1)
	v_dual_max_f32 v16, v17, v17 :: v_dual_lshlrev_b32 v87, 16, v39
	v_max_f32_e32 v100, v87, v87
	v_cmp_u_f32_e32 vcc_lo, v17, v17
	v_cmp_u_f32_e64 s12, v87, v87
	s_delay_alu instid0(VALU_DEP_3) | instskip(SKIP_1) | instid1(VALU_DEP_2)
	v_min_f32_e32 v22, v16, v100
	v_max_f32_e32 v16, v16, v100
	v_cndmask_b32_e32 v22, v22, v17, vcc_lo
	s_delay_alu instid0(VALU_DEP_2) | instskip(NEXT) | instid1(VALU_DEP_2)
	v_cndmask_b32_e32 v16, v16, v17, vcc_lo
	v_cndmask_b32_e64 v22, v22, v87, s12
	s_delay_alu instid0(VALU_DEP_2) | instskip(NEXT) | instid1(VALU_DEP_2)
	v_cndmask_b32_e64 v16, v16, v87, s12
	v_cmp_class_f32_e64 s13, v22, 0x1f8
	s_delay_alu instid0(VALU_DEP_2) | instskip(NEXT) | instid1(VALU_DEP_2)
	v_cmp_neq_f32_e32 vcc_lo, v22, v16
	s_or_b32 s14, vcc_lo, s13
	s_delay_alu instid0(SALU_CYCLE_1)
	s_and_saveexec_b32 s13, s14
	s_cbranch_execz .LBB521_71
; %bb.70:
	v_sub_f32_e32 v17, v22, v16
	s_mov_b32 s14, 0x3e9b6dac
	s_delay_alu instid0(VALU_DEP_1) | instskip(SKIP_1) | instid1(VALU_DEP_2)
	v_mul_f32_e32 v22, 0x3fb8aa3b, v17
	v_cmp_ngt_f32_e32 vcc_lo, 0xc2ce8ed0, v17
	v_fma_f32 v23, 0x3fb8aa3b, v17, -v22
	v_rndne_f32_e32 v97, v22
	s_delay_alu instid0(VALU_DEP_1) | instskip(NEXT) | instid1(VALU_DEP_1)
	v_dual_fmamk_f32 v23, v17, 0x32a5705f, v23 :: v_dual_sub_f32 v22, v22, v97
	v_add_f32_e32 v22, v22, v23
	v_cvt_i32_f32_e32 v23, v97
	s_delay_alu instid0(VALU_DEP_2) | instskip(SKIP_2) | instid1(VALU_DEP_1)
	v_exp_f32_e32 v22, v22
	s_waitcnt_depctr 0xfff
	v_ldexp_f32 v22, v22, v23
	v_cndmask_b32_e32 v22, 0, v22, vcc_lo
	v_cmp_nlt_f32_e32 vcc_lo, 0x42b17218, v17
	s_delay_alu instid0(VALU_DEP_2) | instskip(NEXT) | instid1(VALU_DEP_1)
	v_cndmask_b32_e32 v17, 0x7f800000, v22, vcc_lo
	v_add_f32_e32 v97, 1.0, v17
	s_delay_alu instid0(VALU_DEP_1) | instskip(NEXT) | instid1(VALU_DEP_1)
	v_cvt_f64_f32_e32 v[22:23], v97
	v_frexp_exp_i32_f64_e32 v22, v[22:23]
	v_frexp_mant_f32_e32 v23, v97
	s_delay_alu instid0(VALU_DEP_1) | instskip(SKIP_1) | instid1(VALU_DEP_1)
	v_cmp_gt_f32_e32 vcc_lo, 0x3f2aaaab, v23
	v_add_f32_e32 v23, -1.0, v97
	v_sub_f32_e32 v101, v23, v97
	s_delay_alu instid0(VALU_DEP_1) | instskip(SKIP_1) | instid1(VALU_DEP_1)
	v_add_f32_e32 v101, 1.0, v101
	v_subrev_co_ci_u32_e32 v22, vcc_lo, 0, v22, vcc_lo
	v_sub_nc_u32_e32 v99, 0, v22
	v_cvt_f32_i32_e32 v22, v22
	s_delay_alu instid0(VALU_DEP_2) | instskip(NEXT) | instid1(VALU_DEP_1)
	v_ldexp_f32 v97, v97, v99
	v_dual_add_f32 v102, 1.0, v97 :: v_dual_sub_f32 v23, v17, v23
	v_cmp_eq_f32_e32 vcc_lo, 0x7f800000, v17
	s_delay_alu instid0(VALU_DEP_2) | instskip(NEXT) | instid1(VALU_DEP_3)
	v_add_f32_e32 v23, v23, v101
	v_add_f32_e32 v101, -1.0, v102
	s_delay_alu instid0(VALU_DEP_2) | instskip(SKIP_1) | instid1(VALU_DEP_3)
	v_ldexp_f32 v23, v23, v99
	v_add_f32_e32 v99, -1.0, v97
	v_sub_f32_e32 v101, v97, v101
	s_delay_alu instid0(VALU_DEP_2) | instskip(NEXT) | instid1(VALU_DEP_2)
	v_add_f32_e32 v103, 1.0, v99
	v_add_f32_e32 v101, v23, v101
	s_delay_alu instid0(VALU_DEP_2) | instskip(NEXT) | instid1(VALU_DEP_2)
	v_sub_f32_e32 v97, v97, v103
	v_add_f32_e32 v103, v102, v101
	s_delay_alu instid0(VALU_DEP_2) | instskip(NEXT) | instid1(VALU_DEP_2)
	v_add_f32_e32 v23, v23, v97
	v_rcp_f32_e32 v97, v103
	v_sub_f32_e32 v102, v102, v103
	s_delay_alu instid0(VALU_DEP_1) | instskip(NEXT) | instid1(VALU_DEP_1)
	v_dual_add_f32 v112, v99, v23 :: v_dual_add_f32 v101, v101, v102
	v_sub_f32_e32 v99, v99, v112
	s_waitcnt_depctr 0xfff
	v_mul_f32_e32 v113, v112, v97
	v_add_f32_e32 v23, v23, v99
	s_delay_alu instid0(VALU_DEP_2) | instskip(NEXT) | instid1(VALU_DEP_1)
	v_mul_f32_e32 v114, v103, v113
	v_fma_f32 v102, v113, v103, -v114
	s_delay_alu instid0(VALU_DEP_1) | instskip(NEXT) | instid1(VALU_DEP_1)
	v_fmac_f32_e32 v102, v113, v101
	v_add_f32_e32 v115, v114, v102
	s_delay_alu instid0(VALU_DEP_1) | instskip(NEXT) | instid1(VALU_DEP_1)
	v_dual_sub_f32 v116, v112, v115 :: v_dual_sub_f32 v99, v115, v114
	v_dual_sub_f32 v112, v112, v116 :: v_dual_sub_f32 v99, v99, v102
	s_delay_alu instid0(VALU_DEP_1) | instskip(NEXT) | instid1(VALU_DEP_1)
	v_sub_f32_e32 v112, v112, v115
	v_add_f32_e32 v23, v23, v112
	s_delay_alu instid0(VALU_DEP_1) | instskip(NEXT) | instid1(VALU_DEP_1)
	v_add_f32_e32 v23, v99, v23
	v_add_f32_e32 v99, v116, v23
	s_delay_alu instid0(VALU_DEP_1) | instskip(NEXT) | instid1(VALU_DEP_1)
	v_mul_f32_e32 v102, v97, v99
	v_dual_sub_f32 v115, v116, v99 :: v_dual_mul_f32 v112, v103, v102
	s_delay_alu instid0(VALU_DEP_1) | instskip(NEXT) | instid1(VALU_DEP_2)
	v_add_f32_e32 v23, v23, v115
	v_fma_f32 v103, v102, v103, -v112
	s_delay_alu instid0(VALU_DEP_1) | instskip(NEXT) | instid1(VALU_DEP_1)
	v_fmac_f32_e32 v103, v102, v101
	v_add_f32_e32 v101, v112, v103
	s_delay_alu instid0(VALU_DEP_1) | instskip(NEXT) | instid1(VALU_DEP_1)
	v_sub_f32_e32 v114, v99, v101
	v_dual_sub_f32 v112, v101, v112 :: v_dual_sub_f32 v99, v99, v114
	s_delay_alu instid0(VALU_DEP_1) | instskip(NEXT) | instid1(VALU_DEP_2)
	v_sub_f32_e32 v99, v99, v101
	v_sub_f32_e32 v101, v112, v103
	s_delay_alu instid0(VALU_DEP_2) | instskip(SKIP_1) | instid1(VALU_DEP_2)
	v_add_f32_e32 v23, v23, v99
	v_add_f32_e32 v99, v113, v102
	;; [unrolled: 1-line block ×3, first 2 shown]
	s_delay_alu instid0(VALU_DEP_2) | instskip(NEXT) | instid1(VALU_DEP_2)
	v_sub_f32_e32 v101, v99, v113
	v_add_f32_e32 v23, v114, v23
	s_delay_alu instid0(VALU_DEP_2) | instskip(NEXT) | instid1(VALU_DEP_2)
	v_sub_f32_e32 v101, v102, v101
	v_mul_f32_e32 v23, v97, v23
	s_delay_alu instid0(VALU_DEP_1) | instskip(NEXT) | instid1(VALU_DEP_1)
	v_add_f32_e32 v23, v101, v23
	v_add_f32_e32 v97, v99, v23
	s_delay_alu instid0(VALU_DEP_1) | instskip(NEXT) | instid1(VALU_DEP_1)
	v_mul_f32_e32 v101, v97, v97
	v_fmaak_f32 v102, s14, v101, 0x3ecc95a3
	v_mul_f32_e32 v103, v97, v101
	v_cmp_gt_f32_e64 s14, 0x33800000, |v17|
	s_delay_alu instid0(VALU_DEP_3) | instskip(SKIP_2) | instid1(VALU_DEP_4)
	v_fmaak_f32 v101, v101, v102, 0x3f2aaada
	v_ldexp_f32 v102, v97, 1
	v_sub_f32_e32 v97, v97, v99
	s_or_b32 vcc_lo, vcc_lo, s14
	s_delay_alu instid0(VALU_DEP_3) | instskip(SKIP_1) | instid1(VALU_DEP_3)
	v_mul_f32_e32 v101, v103, v101
	v_mul_f32_e32 v103, 0x3f317218, v22
	v_sub_f32_e32 v23, v23, v97
	s_delay_alu instid0(VALU_DEP_3) | instskip(NEXT) | instid1(VALU_DEP_2)
	v_add_f32_e32 v99, v102, v101
	v_ldexp_f32 v23, v23, 1
	s_delay_alu instid0(VALU_DEP_2) | instskip(SKIP_1) | instid1(VALU_DEP_1)
	v_sub_f32_e32 v97, v99, v102
	v_fma_f32 v102, 0x3f317218, v22, -v103
	v_dual_sub_f32 v97, v101, v97 :: v_dual_fmamk_f32 v22, v22, 0xb102e308, v102
	s_delay_alu instid0(VALU_DEP_1) | instskip(NEXT) | instid1(VALU_DEP_2)
	v_add_f32_e32 v23, v23, v97
	v_add_f32_e32 v97, v103, v22
	s_delay_alu instid0(VALU_DEP_2) | instskip(NEXT) | instid1(VALU_DEP_2)
	v_add_f32_e32 v101, v99, v23
	v_sub_f32_e32 v103, v97, v103
	s_delay_alu instid0(VALU_DEP_2) | instskip(SKIP_1) | instid1(VALU_DEP_3)
	v_add_f32_e32 v102, v97, v101
	v_sub_f32_e32 v99, v101, v99
	v_sub_f32_e32 v22, v22, v103
	s_delay_alu instid0(VALU_DEP_2) | instskip(NEXT) | instid1(VALU_DEP_1)
	v_dual_sub_f32 v112, v102, v97 :: v_dual_sub_f32 v23, v23, v99
	v_sub_f32_e32 v113, v102, v112
	v_sub_f32_e32 v99, v101, v112
	s_delay_alu instid0(VALU_DEP_3) | instskip(NEXT) | instid1(VALU_DEP_3)
	v_add_f32_e32 v101, v22, v23
	v_sub_f32_e32 v97, v97, v113
	s_delay_alu instid0(VALU_DEP_1) | instskip(NEXT) | instid1(VALU_DEP_3)
	v_add_f32_e32 v97, v99, v97
	v_sub_f32_e32 v99, v101, v22
	s_delay_alu instid0(VALU_DEP_2) | instskip(NEXT) | instid1(VALU_DEP_2)
	v_add_f32_e32 v97, v101, v97
	v_sub_f32_e32 v101, v101, v99
	v_sub_f32_e32 v23, v23, v99
	s_delay_alu instid0(VALU_DEP_3) | instskip(NEXT) | instid1(VALU_DEP_1)
	v_add_f32_e32 v103, v102, v97
	v_dual_sub_f32 v22, v22, v101 :: v_dual_sub_f32 v99, v103, v102
	s_delay_alu instid0(VALU_DEP_1) | instskip(NEXT) | instid1(VALU_DEP_1)
	v_dual_add_f32 v22, v23, v22 :: v_dual_sub_f32 v23, v97, v99
	v_add_f32_e32 v22, v22, v23
	s_delay_alu instid0(VALU_DEP_1) | instskip(NEXT) | instid1(VALU_DEP_1)
	v_add_f32_e32 v22, v103, v22
	v_cndmask_b32_e32 v17, v22, v17, vcc_lo
	s_delay_alu instid0(VALU_DEP_1)
	v_add_f32_e32 v17, v16, v17
.LBB521_71:
	s_or_b32 exec_lo, exec_lo, s13
	s_delay_alu instid0(VALU_DEP_1) | instskip(SKIP_1) | instid1(VALU_DEP_2)
	v_bfe_u32 v16, v17, 16, 1
	v_cmp_o_f32_e32 vcc_lo, v17, v17
	v_add3_u32 v16, v17, v16, 0x7fff
	s_delay_alu instid0(VALU_DEP_1) | instskip(NEXT) | instid1(VALU_DEP_1)
	v_and_b32_e32 v16, 0xffff0000, v16
	v_cndmask_b32_e32 v17, 0x7fc00000, v16, vcc_lo
	s_delay_alu instid0(VALU_DEP_1) | instskip(NEXT) | instid1(VALU_DEP_1)
	v_dual_max_f32 v16, v17, v17 :: v_dual_lshlrev_b32 v97, 16, v38
	v_max_f32_e32 v102, v97, v97
	v_cmp_u_f32_e32 vcc_lo, v17, v17
	v_cmp_u_f32_e64 s13, v97, v97
	s_delay_alu instid0(VALU_DEP_3) | instskip(SKIP_1) | instid1(VALU_DEP_2)
	v_min_f32_e32 v22, v16, v102
	v_max_f32_e32 v16, v16, v102
	v_cndmask_b32_e32 v22, v22, v17, vcc_lo
	s_delay_alu instid0(VALU_DEP_2) | instskip(NEXT) | instid1(VALU_DEP_2)
	v_cndmask_b32_e32 v16, v16, v17, vcc_lo
	v_cndmask_b32_e64 v22, v22, v97, s13
	s_delay_alu instid0(VALU_DEP_2) | instskip(NEXT) | instid1(VALU_DEP_2)
	v_cndmask_b32_e64 v16, v16, v97, s13
	v_cmp_class_f32_e64 s14, v22, 0x1f8
	s_delay_alu instid0(VALU_DEP_2) | instskip(NEXT) | instid1(VALU_DEP_2)
	v_cmp_neq_f32_e32 vcc_lo, v22, v16
	s_or_b32 s15, vcc_lo, s14
	s_delay_alu instid0(SALU_CYCLE_1)
	s_and_saveexec_b32 s14, s15
	s_cbranch_execz .LBB521_73
; %bb.72:
	v_sub_f32_e32 v17, v22, v16
	s_mov_b32 s15, 0x3e9b6dac
	s_delay_alu instid0(VALU_DEP_1) | instskip(SKIP_1) | instid1(VALU_DEP_2)
	v_mul_f32_e32 v22, 0x3fb8aa3b, v17
	v_cmp_ngt_f32_e32 vcc_lo, 0xc2ce8ed0, v17
	v_fma_f32 v23, 0x3fb8aa3b, v17, -v22
	v_rndne_f32_e32 v99, v22
	s_delay_alu instid0(VALU_DEP_1) | instskip(NEXT) | instid1(VALU_DEP_1)
	v_dual_fmamk_f32 v23, v17, 0x32a5705f, v23 :: v_dual_sub_f32 v22, v22, v99
	v_add_f32_e32 v22, v22, v23
	v_cvt_i32_f32_e32 v23, v99
	s_delay_alu instid0(VALU_DEP_2) | instskip(SKIP_2) | instid1(VALU_DEP_1)
	v_exp_f32_e32 v22, v22
	s_waitcnt_depctr 0xfff
	v_ldexp_f32 v22, v22, v23
	v_cndmask_b32_e32 v22, 0, v22, vcc_lo
	v_cmp_nlt_f32_e32 vcc_lo, 0x42b17218, v17
	s_delay_alu instid0(VALU_DEP_2) | instskip(NEXT) | instid1(VALU_DEP_1)
	v_cndmask_b32_e32 v17, 0x7f800000, v22, vcc_lo
	v_add_f32_e32 v99, 1.0, v17
	s_delay_alu instid0(VALU_DEP_1) | instskip(NEXT) | instid1(VALU_DEP_1)
	v_cvt_f64_f32_e32 v[22:23], v99
	v_frexp_exp_i32_f64_e32 v22, v[22:23]
	v_frexp_mant_f32_e32 v23, v99
	s_delay_alu instid0(VALU_DEP_1) | instskip(SKIP_1) | instid1(VALU_DEP_1)
	v_cmp_gt_f32_e32 vcc_lo, 0x3f2aaaab, v23
	v_add_f32_e32 v23, -1.0, v99
	v_sub_f32_e32 v103, v23, v99
	s_delay_alu instid0(VALU_DEP_1) | instskip(SKIP_1) | instid1(VALU_DEP_1)
	v_add_f32_e32 v103, 1.0, v103
	v_subrev_co_ci_u32_e32 v22, vcc_lo, 0, v22, vcc_lo
	v_sub_nc_u32_e32 v101, 0, v22
	v_cvt_f32_i32_e32 v22, v22
	s_delay_alu instid0(VALU_DEP_2) | instskip(NEXT) | instid1(VALU_DEP_1)
	v_ldexp_f32 v99, v99, v101
	v_add_f32_e32 v112, 1.0, v99
	v_sub_f32_e32 v23, v17, v23
	v_cmp_eq_f32_e32 vcc_lo, 0x7f800000, v17
	s_delay_alu instid0(VALU_DEP_2) | instskip(NEXT) | instid1(VALU_DEP_1)
	v_add_f32_e32 v23, v23, v103
	v_ldexp_f32 v23, v23, v101
	v_add_f32_e32 v101, -1.0, v99
	v_add_f32_e32 v103, -1.0, v112
	s_delay_alu instid0(VALU_DEP_2) | instskip(NEXT) | instid1(VALU_DEP_2)
	v_add_f32_e32 v113, 1.0, v101
	v_sub_f32_e32 v103, v99, v103
	s_delay_alu instid0(VALU_DEP_2) | instskip(NEXT) | instid1(VALU_DEP_2)
	v_sub_f32_e32 v99, v99, v113
	v_add_f32_e32 v103, v23, v103
	s_delay_alu instid0(VALU_DEP_2) | instskip(NEXT) | instid1(VALU_DEP_2)
	v_add_f32_e32 v23, v23, v99
	v_add_f32_e32 v113, v112, v103
	s_delay_alu instid0(VALU_DEP_2) | instskip(NEXT) | instid1(VALU_DEP_2)
	v_add_f32_e32 v114, v101, v23
	v_rcp_f32_e32 v99, v113
	s_delay_alu instid0(VALU_DEP_1) | instskip(NEXT) | instid1(VALU_DEP_1)
	v_dual_sub_f32 v112, v112, v113 :: v_dual_sub_f32 v101, v101, v114
	v_add_f32_e32 v103, v103, v112
	s_delay_alu instid0(VALU_DEP_2) | instskip(SKIP_2) | instid1(VALU_DEP_1)
	v_add_f32_e32 v23, v23, v101
	s_waitcnt_depctr 0xfff
	v_mul_f32_e32 v115, v114, v99
	v_mul_f32_e32 v116, v113, v115
	s_delay_alu instid0(VALU_DEP_1) | instskip(NEXT) | instid1(VALU_DEP_1)
	v_fma_f32 v112, v115, v113, -v116
	v_fmac_f32_e32 v112, v115, v103
	s_delay_alu instid0(VALU_DEP_1) | instskip(NEXT) | instid1(VALU_DEP_1)
	v_add_f32_e32 v117, v116, v112
	v_dual_sub_f32 v118, v114, v117 :: v_dual_sub_f32 v101, v117, v116
	s_delay_alu instid0(VALU_DEP_1) | instskip(NEXT) | instid1(VALU_DEP_1)
	v_dual_sub_f32 v114, v114, v118 :: v_dual_sub_f32 v101, v101, v112
	v_sub_f32_e32 v114, v114, v117
	s_delay_alu instid0(VALU_DEP_1) | instskip(NEXT) | instid1(VALU_DEP_1)
	v_add_f32_e32 v23, v23, v114
	v_add_f32_e32 v23, v101, v23
	s_delay_alu instid0(VALU_DEP_1) | instskip(NEXT) | instid1(VALU_DEP_1)
	v_add_f32_e32 v101, v118, v23
	v_mul_f32_e32 v112, v99, v101
	s_delay_alu instid0(VALU_DEP_1) | instskip(NEXT) | instid1(VALU_DEP_1)
	v_dual_sub_f32 v117, v118, v101 :: v_dual_mul_f32 v114, v113, v112
	v_add_f32_e32 v23, v23, v117
	s_delay_alu instid0(VALU_DEP_2) | instskip(NEXT) | instid1(VALU_DEP_1)
	v_fma_f32 v113, v112, v113, -v114
	v_fmac_f32_e32 v113, v112, v103
	s_delay_alu instid0(VALU_DEP_1) | instskip(NEXT) | instid1(VALU_DEP_1)
	v_add_f32_e32 v103, v114, v113
	v_sub_f32_e32 v116, v101, v103
	s_delay_alu instid0(VALU_DEP_1) | instskip(NEXT) | instid1(VALU_DEP_1)
	v_dual_sub_f32 v114, v103, v114 :: v_dual_sub_f32 v101, v101, v116
	v_sub_f32_e32 v101, v101, v103
	s_delay_alu instid0(VALU_DEP_2) | instskip(NEXT) | instid1(VALU_DEP_2)
	v_sub_f32_e32 v103, v114, v113
	v_add_f32_e32 v23, v23, v101
	v_add_f32_e32 v101, v115, v112
	s_delay_alu instid0(VALU_DEP_2) | instskip(NEXT) | instid1(VALU_DEP_2)
	v_add_f32_e32 v23, v103, v23
	v_sub_f32_e32 v103, v101, v115
	s_delay_alu instid0(VALU_DEP_2) | instskip(NEXT) | instid1(VALU_DEP_2)
	v_add_f32_e32 v23, v116, v23
	v_sub_f32_e32 v103, v112, v103
	s_delay_alu instid0(VALU_DEP_2) | instskip(NEXT) | instid1(VALU_DEP_1)
	v_mul_f32_e32 v23, v99, v23
	v_add_f32_e32 v23, v103, v23
	s_delay_alu instid0(VALU_DEP_1) | instskip(NEXT) | instid1(VALU_DEP_1)
	v_add_f32_e32 v99, v101, v23
	v_mul_f32_e32 v103, v99, v99
	s_delay_alu instid0(VALU_DEP_1) | instskip(SKIP_2) | instid1(VALU_DEP_3)
	v_fmaak_f32 v112, s15, v103, 0x3ecc95a3
	v_mul_f32_e32 v113, v99, v103
	v_cmp_gt_f32_e64 s15, 0x33800000, |v17|
	v_fmaak_f32 v103, v103, v112, 0x3f2aaada
	v_ldexp_f32 v112, v99, 1
	v_sub_f32_e32 v99, v99, v101
	s_delay_alu instid0(VALU_DEP_4) | instskip(NEXT) | instid1(VALU_DEP_3)
	s_or_b32 vcc_lo, vcc_lo, s15
	v_mul_f32_e32 v103, v113, v103
	v_mul_f32_e32 v113, 0x3f317218, v22
	s_delay_alu instid0(VALU_DEP_3) | instskip(NEXT) | instid1(VALU_DEP_3)
	v_sub_f32_e32 v23, v23, v99
	v_add_f32_e32 v101, v112, v103
	s_delay_alu instid0(VALU_DEP_2) | instskip(NEXT) | instid1(VALU_DEP_2)
	v_ldexp_f32 v23, v23, 1
	v_sub_f32_e32 v99, v101, v112
	v_fma_f32 v112, 0x3f317218, v22, -v113
	s_delay_alu instid0(VALU_DEP_1) | instskip(NEXT) | instid1(VALU_DEP_1)
	v_dual_sub_f32 v99, v103, v99 :: v_dual_fmamk_f32 v22, v22, 0xb102e308, v112
	v_add_f32_e32 v23, v23, v99
	s_delay_alu instid0(VALU_DEP_2) | instskip(NEXT) | instid1(VALU_DEP_2)
	v_add_f32_e32 v99, v113, v22
	v_add_f32_e32 v103, v101, v23
	s_delay_alu instid0(VALU_DEP_2) | instskip(NEXT) | instid1(VALU_DEP_2)
	v_sub_f32_e32 v113, v99, v113
	v_add_f32_e32 v112, v99, v103
	v_sub_f32_e32 v101, v103, v101
	s_delay_alu instid0(VALU_DEP_3) | instskip(NEXT) | instid1(VALU_DEP_2)
	v_sub_f32_e32 v22, v22, v113
	v_dual_sub_f32 v114, v112, v99 :: v_dual_sub_f32 v23, v23, v101
	s_delay_alu instid0(VALU_DEP_1) | instskip(SKIP_1) | instid1(VALU_DEP_3)
	v_sub_f32_e32 v115, v112, v114
	v_sub_f32_e32 v101, v103, v114
	v_add_f32_e32 v103, v22, v23
	s_delay_alu instid0(VALU_DEP_3) | instskip(NEXT) | instid1(VALU_DEP_1)
	v_sub_f32_e32 v99, v99, v115
	v_add_f32_e32 v99, v101, v99
	s_delay_alu instid0(VALU_DEP_3) | instskip(NEXT) | instid1(VALU_DEP_2)
	v_sub_f32_e32 v101, v103, v22
	v_add_f32_e32 v99, v103, v99
	s_delay_alu instid0(VALU_DEP_2) | instskip(SKIP_1) | instid1(VALU_DEP_3)
	v_sub_f32_e32 v103, v103, v101
	v_sub_f32_e32 v23, v23, v101
	v_add_f32_e32 v113, v112, v99
	s_delay_alu instid0(VALU_DEP_1) | instskip(NEXT) | instid1(VALU_DEP_1)
	v_dual_sub_f32 v22, v22, v103 :: v_dual_sub_f32 v101, v113, v112
	v_add_f32_e32 v22, v23, v22
	s_delay_alu instid0(VALU_DEP_2) | instskip(NEXT) | instid1(VALU_DEP_1)
	v_sub_f32_e32 v23, v99, v101
	v_add_f32_e32 v22, v22, v23
	s_delay_alu instid0(VALU_DEP_1) | instskip(NEXT) | instid1(VALU_DEP_1)
	v_add_f32_e32 v22, v113, v22
	v_cndmask_b32_e32 v17, v22, v17, vcc_lo
	s_delay_alu instid0(VALU_DEP_1)
	v_add_f32_e32 v17, v16, v17
.LBB521_73:
	s_or_b32 exec_lo, exec_lo, s14
	s_delay_alu instid0(VALU_DEP_1) | instskip(SKIP_1) | instid1(VALU_DEP_2)
	v_bfe_u32 v16, v17, 16, 1
	v_cmp_o_f32_e32 vcc_lo, v17, v17
	v_add3_u32 v16, v17, v16, 0x7fff
	s_delay_alu instid0(VALU_DEP_1) | instskip(NEXT) | instid1(VALU_DEP_1)
	v_and_b32_e32 v16, 0xffff0000, v16
	v_cndmask_b32_e32 v17, 0x7fc00000, v16, vcc_lo
	s_delay_alu instid0(VALU_DEP_1) | instskip(SKIP_1) | instid1(VALU_DEP_1)
	v_max_f32_e32 v16, v17, v17
	v_lshlrev_b32_e32 v99, 16, v37
	v_max_f32_e32 v112, v99, v99
	v_cmp_u_f32_e32 vcc_lo, v17, v17
	s_delay_alu instid0(VALU_DEP_2) | instskip(SKIP_2) | instid1(VALU_DEP_3)
	v_min_f32_e32 v22, v16, v112
	v_max_f32_e32 v16, v16, v112
	v_cmp_u_f32_e64 s14, v99, v99
	v_cndmask_b32_e32 v22, v22, v17, vcc_lo
	s_delay_alu instid0(VALU_DEP_3) | instskip(NEXT) | instid1(VALU_DEP_2)
	v_cndmask_b32_e32 v16, v16, v17, vcc_lo
	v_cndmask_b32_e64 v22, v22, v99, s14
	s_delay_alu instid0(VALU_DEP_2) | instskip(NEXT) | instid1(VALU_DEP_2)
	v_cndmask_b32_e64 v16, v16, v99, s14
	v_cmp_class_f32_e64 s15, v22, 0x1f8
	s_delay_alu instid0(VALU_DEP_2) | instskip(NEXT) | instid1(VALU_DEP_2)
	v_cmp_neq_f32_e32 vcc_lo, v22, v16
	s_or_b32 s16, vcc_lo, s15
	s_delay_alu instid0(SALU_CYCLE_1)
	s_and_saveexec_b32 s15, s16
	s_cbranch_execz .LBB521_75
; %bb.74:
	v_sub_f32_e32 v17, v22, v16
	s_mov_b32 s16, 0x3e9b6dac
	s_delay_alu instid0(VALU_DEP_1) | instskip(SKIP_1) | instid1(VALU_DEP_2)
	v_mul_f32_e32 v22, 0x3fb8aa3b, v17
	v_cmp_ngt_f32_e32 vcc_lo, 0xc2ce8ed0, v17
	v_fma_f32 v23, 0x3fb8aa3b, v17, -v22
	v_rndne_f32_e32 v101, v22
	s_delay_alu instid0(VALU_DEP_1) | instskip(NEXT) | instid1(VALU_DEP_1)
	v_dual_fmamk_f32 v23, v17, 0x32a5705f, v23 :: v_dual_sub_f32 v22, v22, v101
	v_add_f32_e32 v22, v22, v23
	v_cvt_i32_f32_e32 v23, v101
	s_delay_alu instid0(VALU_DEP_2) | instskip(SKIP_2) | instid1(VALU_DEP_1)
	v_exp_f32_e32 v22, v22
	s_waitcnt_depctr 0xfff
	v_ldexp_f32 v22, v22, v23
	v_cndmask_b32_e32 v22, 0, v22, vcc_lo
	v_cmp_nlt_f32_e32 vcc_lo, 0x42b17218, v17
	s_delay_alu instid0(VALU_DEP_2) | instskip(NEXT) | instid1(VALU_DEP_1)
	v_cndmask_b32_e32 v17, 0x7f800000, v22, vcc_lo
	v_add_f32_e32 v101, 1.0, v17
	s_delay_alu instid0(VALU_DEP_1) | instskip(NEXT) | instid1(VALU_DEP_1)
	v_cvt_f64_f32_e32 v[22:23], v101
	v_frexp_exp_i32_f64_e32 v22, v[22:23]
	v_frexp_mant_f32_e32 v23, v101
	s_delay_alu instid0(VALU_DEP_1) | instskip(SKIP_1) | instid1(VALU_DEP_1)
	v_cmp_gt_f32_e32 vcc_lo, 0x3f2aaaab, v23
	v_add_f32_e32 v23, -1.0, v101
	v_sub_f32_e32 v113, v23, v101
	s_delay_alu instid0(VALU_DEP_1) | instskip(SKIP_1) | instid1(VALU_DEP_1)
	v_add_f32_e32 v113, 1.0, v113
	v_subrev_co_ci_u32_e32 v22, vcc_lo, 0, v22, vcc_lo
	v_sub_nc_u32_e32 v103, 0, v22
	v_cvt_f32_i32_e32 v22, v22
	s_delay_alu instid0(VALU_DEP_2) | instskip(NEXT) | instid1(VALU_DEP_1)
	v_ldexp_f32 v101, v101, v103
	v_dual_add_f32 v114, 1.0, v101 :: v_dual_sub_f32 v23, v17, v23
	v_cmp_eq_f32_e32 vcc_lo, 0x7f800000, v17
	s_delay_alu instid0(VALU_DEP_2) | instskip(NEXT) | instid1(VALU_DEP_3)
	v_add_f32_e32 v23, v23, v113
	v_add_f32_e32 v113, -1.0, v114
	s_delay_alu instid0(VALU_DEP_2) | instskip(SKIP_1) | instid1(VALU_DEP_3)
	v_ldexp_f32 v23, v23, v103
	v_add_f32_e32 v103, -1.0, v101
	v_sub_f32_e32 v113, v101, v113
	s_delay_alu instid0(VALU_DEP_2) | instskip(NEXT) | instid1(VALU_DEP_2)
	v_add_f32_e32 v115, 1.0, v103
	v_add_f32_e32 v113, v23, v113
	s_delay_alu instid0(VALU_DEP_2) | instskip(NEXT) | instid1(VALU_DEP_2)
	v_sub_f32_e32 v101, v101, v115
	v_add_f32_e32 v115, v114, v113
	s_delay_alu instid0(VALU_DEP_2) | instskip(NEXT) | instid1(VALU_DEP_2)
	v_add_f32_e32 v23, v23, v101
	v_rcp_f32_e32 v101, v115
	v_sub_f32_e32 v114, v114, v115
	s_delay_alu instid0(VALU_DEP_1) | instskip(NEXT) | instid1(VALU_DEP_1)
	v_dual_add_f32 v116, v103, v23 :: v_dual_add_f32 v113, v113, v114
	v_sub_f32_e32 v103, v103, v116
	s_waitcnt_depctr 0xfff
	v_mul_f32_e32 v117, v116, v101
	v_add_f32_e32 v23, v23, v103
	s_delay_alu instid0(VALU_DEP_2) | instskip(NEXT) | instid1(VALU_DEP_1)
	v_mul_f32_e32 v118, v115, v117
	v_fma_f32 v114, v117, v115, -v118
	s_delay_alu instid0(VALU_DEP_1) | instskip(NEXT) | instid1(VALU_DEP_1)
	v_fmac_f32_e32 v114, v117, v113
	v_add_f32_e32 v119, v118, v114
	s_delay_alu instid0(VALU_DEP_1) | instskip(NEXT) | instid1(VALU_DEP_1)
	v_dual_sub_f32 v128, v116, v119 :: v_dual_sub_f32 v103, v119, v118
	v_dual_sub_f32 v116, v116, v128 :: v_dual_sub_f32 v103, v103, v114
	s_delay_alu instid0(VALU_DEP_1) | instskip(NEXT) | instid1(VALU_DEP_1)
	v_sub_f32_e32 v116, v116, v119
	v_add_f32_e32 v23, v23, v116
	s_delay_alu instid0(VALU_DEP_1) | instskip(NEXT) | instid1(VALU_DEP_1)
	v_add_f32_e32 v23, v103, v23
	v_add_f32_e32 v103, v128, v23
	s_delay_alu instid0(VALU_DEP_1) | instskip(NEXT) | instid1(VALU_DEP_1)
	v_mul_f32_e32 v114, v101, v103
	v_dual_sub_f32 v119, v128, v103 :: v_dual_mul_f32 v116, v115, v114
	s_delay_alu instid0(VALU_DEP_1) | instskip(NEXT) | instid1(VALU_DEP_2)
	v_add_f32_e32 v23, v23, v119
	v_fma_f32 v115, v114, v115, -v116
	s_delay_alu instid0(VALU_DEP_1) | instskip(NEXT) | instid1(VALU_DEP_1)
	v_fmac_f32_e32 v115, v114, v113
	v_add_f32_e32 v113, v116, v115
	s_delay_alu instid0(VALU_DEP_1) | instskip(NEXT) | instid1(VALU_DEP_1)
	v_sub_f32_e32 v118, v103, v113
	v_dual_sub_f32 v116, v113, v116 :: v_dual_sub_f32 v103, v103, v118
	s_delay_alu instid0(VALU_DEP_1) | instskip(NEXT) | instid1(VALU_DEP_2)
	v_sub_f32_e32 v103, v103, v113
	v_sub_f32_e32 v113, v116, v115
	s_delay_alu instid0(VALU_DEP_2) | instskip(SKIP_1) | instid1(VALU_DEP_2)
	v_add_f32_e32 v23, v23, v103
	v_add_f32_e32 v103, v117, v114
	;; [unrolled: 1-line block ×3, first 2 shown]
	s_delay_alu instid0(VALU_DEP_2) | instskip(NEXT) | instid1(VALU_DEP_2)
	v_sub_f32_e32 v113, v103, v117
	v_add_f32_e32 v23, v118, v23
	s_delay_alu instid0(VALU_DEP_2) | instskip(NEXT) | instid1(VALU_DEP_2)
	v_sub_f32_e32 v113, v114, v113
	v_mul_f32_e32 v23, v101, v23
	s_delay_alu instid0(VALU_DEP_1) | instskip(NEXT) | instid1(VALU_DEP_1)
	v_add_f32_e32 v23, v113, v23
	v_add_f32_e32 v101, v103, v23
	s_delay_alu instid0(VALU_DEP_1) | instskip(NEXT) | instid1(VALU_DEP_1)
	v_mul_f32_e32 v113, v101, v101
	v_fmaak_f32 v114, s16, v113, 0x3ecc95a3
	v_mul_f32_e32 v115, v101, v113
	v_cmp_gt_f32_e64 s16, 0x33800000, |v17|
	s_delay_alu instid0(VALU_DEP_3) | instskip(SKIP_2) | instid1(VALU_DEP_4)
	v_fmaak_f32 v113, v113, v114, 0x3f2aaada
	v_ldexp_f32 v114, v101, 1
	v_sub_f32_e32 v101, v101, v103
	s_or_b32 vcc_lo, vcc_lo, s16
	s_delay_alu instid0(VALU_DEP_3) | instskip(SKIP_1) | instid1(VALU_DEP_3)
	v_mul_f32_e32 v113, v115, v113
	v_mul_f32_e32 v115, 0x3f317218, v22
	v_sub_f32_e32 v23, v23, v101
	s_delay_alu instid0(VALU_DEP_3) | instskip(NEXT) | instid1(VALU_DEP_2)
	v_add_f32_e32 v103, v114, v113
	v_ldexp_f32 v23, v23, 1
	s_delay_alu instid0(VALU_DEP_2) | instskip(SKIP_1) | instid1(VALU_DEP_1)
	v_sub_f32_e32 v101, v103, v114
	v_fma_f32 v114, 0x3f317218, v22, -v115
	v_dual_sub_f32 v101, v113, v101 :: v_dual_fmamk_f32 v22, v22, 0xb102e308, v114
	s_delay_alu instid0(VALU_DEP_1) | instskip(NEXT) | instid1(VALU_DEP_2)
	v_add_f32_e32 v23, v23, v101
	v_add_f32_e32 v101, v115, v22
	s_delay_alu instid0(VALU_DEP_2) | instskip(NEXT) | instid1(VALU_DEP_2)
	v_add_f32_e32 v113, v103, v23
	v_sub_f32_e32 v115, v101, v115
	s_delay_alu instid0(VALU_DEP_2) | instskip(SKIP_1) | instid1(VALU_DEP_3)
	v_add_f32_e32 v114, v101, v113
	v_sub_f32_e32 v103, v113, v103
	v_sub_f32_e32 v22, v22, v115
	s_delay_alu instid0(VALU_DEP_2) | instskip(NEXT) | instid1(VALU_DEP_1)
	v_dual_sub_f32 v116, v114, v101 :: v_dual_sub_f32 v23, v23, v103
	v_sub_f32_e32 v117, v114, v116
	v_sub_f32_e32 v103, v113, v116
	s_delay_alu instid0(VALU_DEP_3) | instskip(NEXT) | instid1(VALU_DEP_3)
	v_add_f32_e32 v113, v22, v23
	v_sub_f32_e32 v101, v101, v117
	s_delay_alu instid0(VALU_DEP_1) | instskip(NEXT) | instid1(VALU_DEP_3)
	v_add_f32_e32 v101, v103, v101
	v_sub_f32_e32 v103, v113, v22
	s_delay_alu instid0(VALU_DEP_2) | instskip(NEXT) | instid1(VALU_DEP_2)
	v_add_f32_e32 v101, v113, v101
	v_sub_f32_e32 v113, v113, v103
	v_sub_f32_e32 v23, v23, v103
	s_delay_alu instid0(VALU_DEP_3) | instskip(NEXT) | instid1(VALU_DEP_1)
	v_add_f32_e32 v115, v114, v101
	v_dual_sub_f32 v22, v22, v113 :: v_dual_sub_f32 v103, v115, v114
	s_delay_alu instid0(VALU_DEP_1) | instskip(NEXT) | instid1(VALU_DEP_1)
	v_dual_add_f32 v22, v23, v22 :: v_dual_sub_f32 v23, v101, v103
	v_add_f32_e32 v22, v22, v23
	s_delay_alu instid0(VALU_DEP_1) | instskip(NEXT) | instid1(VALU_DEP_1)
	v_add_f32_e32 v22, v115, v22
	v_cndmask_b32_e32 v17, v22, v17, vcc_lo
	s_delay_alu instid0(VALU_DEP_1)
	v_add_f32_e32 v17, v16, v17
.LBB521_75:
	s_or_b32 exec_lo, exec_lo, s15
	s_delay_alu instid0(VALU_DEP_1) | instskip(SKIP_1) | instid1(VALU_DEP_2)
	v_bfe_u32 v16, v17, 16, 1
	v_cmp_o_f32_e32 vcc_lo, v17, v17
	v_add3_u32 v16, v17, v16, 0x7fff
	s_delay_alu instid0(VALU_DEP_1) | instskip(NEXT) | instid1(VALU_DEP_1)
	v_and_b32_e32 v16, 0xffff0000, v16
	v_cndmask_b32_e32 v17, 0x7fc00000, v16, vcc_lo
	s_delay_alu instid0(VALU_DEP_1) | instskip(NEXT) | instid1(VALU_DEP_1)
	v_dual_max_f32 v16, v17, v17 :: v_dual_lshlrev_b32 v101, 16, v36
	v_max_f32_e32 v114, v101, v101
	v_cmp_u_f32_e32 vcc_lo, v17, v17
	v_cmp_u_f32_e64 s15, v101, v101
	s_delay_alu instid0(VALU_DEP_3) | instskip(SKIP_1) | instid1(VALU_DEP_2)
	v_min_f32_e32 v22, v16, v114
	v_max_f32_e32 v16, v16, v114
	v_cndmask_b32_e32 v22, v22, v17, vcc_lo
	s_delay_alu instid0(VALU_DEP_2) | instskip(NEXT) | instid1(VALU_DEP_2)
	v_cndmask_b32_e32 v16, v16, v17, vcc_lo
	v_cndmask_b32_e64 v22, v22, v101, s15
	s_delay_alu instid0(VALU_DEP_2) | instskip(NEXT) | instid1(VALU_DEP_2)
	v_cndmask_b32_e64 v16, v16, v101, s15
	v_cmp_class_f32_e64 s16, v22, 0x1f8
	s_delay_alu instid0(VALU_DEP_2) | instskip(NEXT) | instid1(VALU_DEP_2)
	v_cmp_neq_f32_e32 vcc_lo, v22, v16
	s_or_b32 s17, vcc_lo, s16
	s_delay_alu instid0(SALU_CYCLE_1)
	s_and_saveexec_b32 s16, s17
	s_cbranch_execz .LBB521_77
; %bb.76:
	v_sub_f32_e32 v17, v22, v16
	s_mov_b32 s17, 0x3e9b6dac
	s_delay_alu instid0(VALU_DEP_1) | instskip(SKIP_1) | instid1(VALU_DEP_2)
	v_mul_f32_e32 v22, 0x3fb8aa3b, v17
	v_cmp_ngt_f32_e32 vcc_lo, 0xc2ce8ed0, v17
	v_fma_f32 v23, 0x3fb8aa3b, v17, -v22
	v_rndne_f32_e32 v103, v22
	s_delay_alu instid0(VALU_DEP_1) | instskip(NEXT) | instid1(VALU_DEP_1)
	v_dual_fmamk_f32 v23, v17, 0x32a5705f, v23 :: v_dual_sub_f32 v22, v22, v103
	v_add_f32_e32 v22, v22, v23
	v_cvt_i32_f32_e32 v23, v103
	s_delay_alu instid0(VALU_DEP_2) | instskip(SKIP_2) | instid1(VALU_DEP_1)
	v_exp_f32_e32 v22, v22
	s_waitcnt_depctr 0xfff
	v_ldexp_f32 v22, v22, v23
	v_cndmask_b32_e32 v22, 0, v22, vcc_lo
	v_cmp_nlt_f32_e32 vcc_lo, 0x42b17218, v17
	s_delay_alu instid0(VALU_DEP_2) | instskip(NEXT) | instid1(VALU_DEP_1)
	v_cndmask_b32_e32 v17, 0x7f800000, v22, vcc_lo
	v_add_f32_e32 v103, 1.0, v17
	s_delay_alu instid0(VALU_DEP_1) | instskip(NEXT) | instid1(VALU_DEP_1)
	v_cvt_f64_f32_e32 v[22:23], v103
	v_frexp_exp_i32_f64_e32 v22, v[22:23]
	v_frexp_mant_f32_e32 v23, v103
	s_delay_alu instid0(VALU_DEP_1) | instskip(SKIP_1) | instid1(VALU_DEP_1)
	v_cmp_gt_f32_e32 vcc_lo, 0x3f2aaaab, v23
	v_add_f32_e32 v23, -1.0, v103
	v_sub_f32_e32 v115, v23, v103
	s_delay_alu instid0(VALU_DEP_1) | instskip(SKIP_1) | instid1(VALU_DEP_1)
	v_add_f32_e32 v115, 1.0, v115
	v_subrev_co_ci_u32_e32 v22, vcc_lo, 0, v22, vcc_lo
	v_sub_nc_u32_e32 v113, 0, v22
	v_cvt_f32_i32_e32 v22, v22
	s_delay_alu instid0(VALU_DEP_2) | instskip(NEXT) | instid1(VALU_DEP_1)
	v_ldexp_f32 v103, v103, v113
	v_add_f32_e32 v116, 1.0, v103
	v_sub_f32_e32 v23, v17, v23
	v_cmp_eq_f32_e32 vcc_lo, 0x7f800000, v17
	s_delay_alu instid0(VALU_DEP_2) | instskip(NEXT) | instid1(VALU_DEP_1)
	v_add_f32_e32 v23, v23, v115
	v_ldexp_f32 v23, v23, v113
	v_add_f32_e32 v113, -1.0, v103
	v_add_f32_e32 v115, -1.0, v116
	s_delay_alu instid0(VALU_DEP_2) | instskip(NEXT) | instid1(VALU_DEP_2)
	v_add_f32_e32 v117, 1.0, v113
	v_sub_f32_e32 v115, v103, v115
	s_delay_alu instid0(VALU_DEP_2) | instskip(NEXT) | instid1(VALU_DEP_2)
	v_sub_f32_e32 v103, v103, v117
	v_add_f32_e32 v115, v23, v115
	s_delay_alu instid0(VALU_DEP_2) | instskip(NEXT) | instid1(VALU_DEP_2)
	v_add_f32_e32 v23, v23, v103
	v_add_f32_e32 v117, v116, v115
	s_delay_alu instid0(VALU_DEP_2) | instskip(NEXT) | instid1(VALU_DEP_2)
	v_add_f32_e32 v118, v113, v23
	v_rcp_f32_e32 v103, v117
	s_delay_alu instid0(VALU_DEP_1) | instskip(NEXT) | instid1(VALU_DEP_1)
	v_dual_sub_f32 v116, v116, v117 :: v_dual_sub_f32 v113, v113, v118
	v_add_f32_e32 v115, v115, v116
	s_delay_alu instid0(VALU_DEP_2) | instskip(SKIP_2) | instid1(VALU_DEP_1)
	v_add_f32_e32 v23, v23, v113
	s_waitcnt_depctr 0xfff
	v_mul_f32_e32 v119, v118, v103
	v_mul_f32_e32 v128, v117, v119
	s_delay_alu instid0(VALU_DEP_1) | instskip(NEXT) | instid1(VALU_DEP_1)
	v_fma_f32 v116, v119, v117, -v128
	v_fmac_f32_e32 v116, v119, v115
	s_delay_alu instid0(VALU_DEP_1) | instskip(NEXT) | instid1(VALU_DEP_1)
	v_add_f32_e32 v129, v128, v116
	v_dual_sub_f32 v130, v118, v129 :: v_dual_sub_f32 v113, v129, v128
	s_delay_alu instid0(VALU_DEP_1) | instskip(NEXT) | instid1(VALU_DEP_1)
	v_dual_sub_f32 v118, v118, v130 :: v_dual_sub_f32 v113, v113, v116
	v_sub_f32_e32 v118, v118, v129
	s_delay_alu instid0(VALU_DEP_1) | instskip(NEXT) | instid1(VALU_DEP_1)
	v_add_f32_e32 v23, v23, v118
	v_add_f32_e32 v23, v113, v23
	s_delay_alu instid0(VALU_DEP_1) | instskip(NEXT) | instid1(VALU_DEP_1)
	v_add_f32_e32 v113, v130, v23
	v_mul_f32_e32 v116, v103, v113
	s_delay_alu instid0(VALU_DEP_1) | instskip(NEXT) | instid1(VALU_DEP_1)
	v_dual_sub_f32 v129, v130, v113 :: v_dual_mul_f32 v118, v117, v116
	v_add_f32_e32 v23, v23, v129
	s_delay_alu instid0(VALU_DEP_2) | instskip(NEXT) | instid1(VALU_DEP_1)
	v_fma_f32 v117, v116, v117, -v118
	v_fmac_f32_e32 v117, v116, v115
	s_delay_alu instid0(VALU_DEP_1) | instskip(NEXT) | instid1(VALU_DEP_1)
	v_add_f32_e32 v115, v118, v117
	v_sub_f32_e32 v128, v113, v115
	s_delay_alu instid0(VALU_DEP_1) | instskip(NEXT) | instid1(VALU_DEP_1)
	v_dual_sub_f32 v118, v115, v118 :: v_dual_sub_f32 v113, v113, v128
	v_sub_f32_e32 v113, v113, v115
	s_delay_alu instid0(VALU_DEP_2) | instskip(NEXT) | instid1(VALU_DEP_2)
	v_sub_f32_e32 v115, v118, v117
	v_add_f32_e32 v23, v23, v113
	v_add_f32_e32 v113, v119, v116
	s_delay_alu instid0(VALU_DEP_2) | instskip(NEXT) | instid1(VALU_DEP_2)
	v_add_f32_e32 v23, v115, v23
	v_sub_f32_e32 v115, v113, v119
	s_delay_alu instid0(VALU_DEP_2) | instskip(NEXT) | instid1(VALU_DEP_2)
	v_add_f32_e32 v23, v128, v23
	v_sub_f32_e32 v115, v116, v115
	s_delay_alu instid0(VALU_DEP_2) | instskip(NEXT) | instid1(VALU_DEP_1)
	v_mul_f32_e32 v23, v103, v23
	v_add_f32_e32 v23, v115, v23
	s_delay_alu instid0(VALU_DEP_1) | instskip(NEXT) | instid1(VALU_DEP_1)
	v_add_f32_e32 v103, v113, v23
	v_mul_f32_e32 v115, v103, v103
	s_delay_alu instid0(VALU_DEP_1) | instskip(SKIP_2) | instid1(VALU_DEP_3)
	v_fmaak_f32 v116, s17, v115, 0x3ecc95a3
	v_mul_f32_e32 v117, v103, v115
	v_cmp_gt_f32_e64 s17, 0x33800000, |v17|
	v_fmaak_f32 v115, v115, v116, 0x3f2aaada
	v_ldexp_f32 v116, v103, 1
	v_sub_f32_e32 v103, v103, v113
	s_delay_alu instid0(VALU_DEP_4) | instskip(NEXT) | instid1(VALU_DEP_3)
	s_or_b32 vcc_lo, vcc_lo, s17
	v_mul_f32_e32 v115, v117, v115
	v_mul_f32_e32 v117, 0x3f317218, v22
	s_delay_alu instid0(VALU_DEP_3) | instskip(NEXT) | instid1(VALU_DEP_3)
	v_sub_f32_e32 v23, v23, v103
	v_add_f32_e32 v113, v116, v115
	s_delay_alu instid0(VALU_DEP_2) | instskip(NEXT) | instid1(VALU_DEP_2)
	v_ldexp_f32 v23, v23, 1
	v_sub_f32_e32 v103, v113, v116
	v_fma_f32 v116, 0x3f317218, v22, -v117
	s_delay_alu instid0(VALU_DEP_1) | instskip(NEXT) | instid1(VALU_DEP_1)
	v_dual_sub_f32 v103, v115, v103 :: v_dual_fmamk_f32 v22, v22, 0xb102e308, v116
	v_add_f32_e32 v23, v23, v103
	s_delay_alu instid0(VALU_DEP_2) | instskip(NEXT) | instid1(VALU_DEP_2)
	v_add_f32_e32 v103, v117, v22
	v_add_f32_e32 v115, v113, v23
	s_delay_alu instid0(VALU_DEP_2) | instskip(NEXT) | instid1(VALU_DEP_2)
	v_sub_f32_e32 v117, v103, v117
	v_add_f32_e32 v116, v103, v115
	v_sub_f32_e32 v113, v115, v113
	s_delay_alu instid0(VALU_DEP_3) | instskip(NEXT) | instid1(VALU_DEP_2)
	v_sub_f32_e32 v22, v22, v117
	v_dual_sub_f32 v118, v116, v103 :: v_dual_sub_f32 v23, v23, v113
	s_delay_alu instid0(VALU_DEP_1) | instskip(SKIP_1) | instid1(VALU_DEP_3)
	v_sub_f32_e32 v119, v116, v118
	v_sub_f32_e32 v113, v115, v118
	v_add_f32_e32 v115, v22, v23
	s_delay_alu instid0(VALU_DEP_3) | instskip(NEXT) | instid1(VALU_DEP_1)
	v_sub_f32_e32 v103, v103, v119
	v_add_f32_e32 v103, v113, v103
	s_delay_alu instid0(VALU_DEP_3) | instskip(NEXT) | instid1(VALU_DEP_2)
	v_sub_f32_e32 v113, v115, v22
	v_add_f32_e32 v103, v115, v103
	s_delay_alu instid0(VALU_DEP_2) | instskip(SKIP_1) | instid1(VALU_DEP_3)
	v_sub_f32_e32 v115, v115, v113
	v_sub_f32_e32 v23, v23, v113
	v_add_f32_e32 v117, v116, v103
	s_delay_alu instid0(VALU_DEP_1) | instskip(NEXT) | instid1(VALU_DEP_1)
	v_dual_sub_f32 v22, v22, v115 :: v_dual_sub_f32 v113, v117, v116
	v_add_f32_e32 v22, v23, v22
	s_delay_alu instid0(VALU_DEP_2) | instskip(NEXT) | instid1(VALU_DEP_1)
	v_sub_f32_e32 v23, v103, v113
	v_add_f32_e32 v22, v22, v23
	s_delay_alu instid0(VALU_DEP_1) | instskip(NEXT) | instid1(VALU_DEP_1)
	v_add_f32_e32 v22, v117, v22
	v_cndmask_b32_e32 v17, v22, v17, vcc_lo
	s_delay_alu instid0(VALU_DEP_1)
	v_add_f32_e32 v17, v16, v17
.LBB521_77:
	s_or_b32 exec_lo, exec_lo, s16
	s_delay_alu instid0(VALU_DEP_1) | instskip(SKIP_1) | instid1(VALU_DEP_2)
	v_bfe_u32 v16, v17, 16, 1
	v_cmp_o_f32_e32 vcc_lo, v17, v17
	v_add3_u32 v16, v17, v16, 0x7fff
	s_delay_alu instid0(VALU_DEP_1) | instskip(NEXT) | instid1(VALU_DEP_1)
	v_and_b32_e32 v16, 0xffff0000, v16
	v_cndmask_b32_e32 v17, 0x7fc00000, v16, vcc_lo
	s_delay_alu instid0(VALU_DEP_1) | instskip(NEXT) | instid1(VALU_DEP_1)
	v_dual_max_f32 v16, v17, v17 :: v_dual_lshlrev_b32 v103, 16, v35
	v_max_f32_e32 v116, v103, v103
	v_cmp_u_f32_e32 vcc_lo, v17, v17
	v_cmp_u_f32_e64 s16, v103, v103
	s_delay_alu instid0(VALU_DEP_3) | instskip(SKIP_1) | instid1(VALU_DEP_2)
	v_min_f32_e32 v22, v16, v116
	v_max_f32_e32 v16, v16, v116
	v_cndmask_b32_e32 v22, v22, v17, vcc_lo
	s_delay_alu instid0(VALU_DEP_2) | instskip(NEXT) | instid1(VALU_DEP_2)
	v_cndmask_b32_e32 v16, v16, v17, vcc_lo
	v_cndmask_b32_e64 v22, v22, v103, s16
	s_delay_alu instid0(VALU_DEP_2) | instskip(NEXT) | instid1(VALU_DEP_2)
	v_cndmask_b32_e64 v16, v16, v103, s16
	v_cmp_class_f32_e64 s17, v22, 0x1f8
	s_delay_alu instid0(VALU_DEP_2) | instskip(NEXT) | instid1(VALU_DEP_2)
	v_cmp_neq_f32_e32 vcc_lo, v22, v16
	s_or_b32 s18, vcc_lo, s17
	s_delay_alu instid0(SALU_CYCLE_1)
	s_and_saveexec_b32 s17, s18
	s_cbranch_execz .LBB521_79
; %bb.78:
	v_sub_f32_e32 v17, v22, v16
	s_mov_b32 s18, 0x3e9b6dac
	s_delay_alu instid0(VALU_DEP_1) | instskip(SKIP_1) | instid1(VALU_DEP_2)
	v_mul_f32_e32 v22, 0x3fb8aa3b, v17
	v_cmp_ngt_f32_e32 vcc_lo, 0xc2ce8ed0, v17
	v_fma_f32 v23, 0x3fb8aa3b, v17, -v22
	v_rndne_f32_e32 v113, v22
	s_delay_alu instid0(VALU_DEP_1) | instskip(NEXT) | instid1(VALU_DEP_1)
	v_dual_fmamk_f32 v23, v17, 0x32a5705f, v23 :: v_dual_sub_f32 v22, v22, v113
	v_add_f32_e32 v22, v22, v23
	v_cvt_i32_f32_e32 v23, v113
	s_delay_alu instid0(VALU_DEP_2) | instskip(SKIP_2) | instid1(VALU_DEP_1)
	v_exp_f32_e32 v22, v22
	s_waitcnt_depctr 0xfff
	v_ldexp_f32 v22, v22, v23
	v_cndmask_b32_e32 v22, 0, v22, vcc_lo
	v_cmp_nlt_f32_e32 vcc_lo, 0x42b17218, v17
	s_delay_alu instid0(VALU_DEP_2) | instskip(NEXT) | instid1(VALU_DEP_1)
	v_cndmask_b32_e32 v17, 0x7f800000, v22, vcc_lo
	v_add_f32_e32 v113, 1.0, v17
	s_delay_alu instid0(VALU_DEP_1) | instskip(NEXT) | instid1(VALU_DEP_1)
	v_cvt_f64_f32_e32 v[22:23], v113
	v_frexp_exp_i32_f64_e32 v22, v[22:23]
	v_frexp_mant_f32_e32 v23, v113
	s_delay_alu instid0(VALU_DEP_1) | instskip(SKIP_1) | instid1(VALU_DEP_1)
	v_cmp_gt_f32_e32 vcc_lo, 0x3f2aaaab, v23
	v_add_f32_e32 v23, -1.0, v113
	v_sub_f32_e32 v117, v23, v113
	s_delay_alu instid0(VALU_DEP_1) | instskip(SKIP_1) | instid1(VALU_DEP_1)
	v_add_f32_e32 v117, 1.0, v117
	v_subrev_co_ci_u32_e32 v22, vcc_lo, 0, v22, vcc_lo
	v_sub_nc_u32_e32 v115, 0, v22
	v_cvt_f32_i32_e32 v22, v22
	s_delay_alu instid0(VALU_DEP_2) | instskip(NEXT) | instid1(VALU_DEP_1)
	v_ldexp_f32 v113, v113, v115
	v_dual_add_f32 v118, 1.0, v113 :: v_dual_sub_f32 v23, v17, v23
	v_cmp_eq_f32_e32 vcc_lo, 0x7f800000, v17
	s_delay_alu instid0(VALU_DEP_2) | instskip(NEXT) | instid1(VALU_DEP_3)
	v_add_f32_e32 v23, v23, v117
	v_add_f32_e32 v117, -1.0, v118
	s_delay_alu instid0(VALU_DEP_2) | instskip(SKIP_1) | instid1(VALU_DEP_3)
	v_ldexp_f32 v23, v23, v115
	v_add_f32_e32 v115, -1.0, v113
	v_sub_f32_e32 v117, v113, v117
	s_delay_alu instid0(VALU_DEP_2) | instskip(NEXT) | instid1(VALU_DEP_2)
	v_add_f32_e32 v119, 1.0, v115
	v_add_f32_e32 v117, v23, v117
	s_delay_alu instid0(VALU_DEP_2) | instskip(NEXT) | instid1(VALU_DEP_2)
	v_sub_f32_e32 v113, v113, v119
	v_add_f32_e32 v119, v118, v117
	s_delay_alu instid0(VALU_DEP_2) | instskip(NEXT) | instid1(VALU_DEP_2)
	v_add_f32_e32 v23, v23, v113
	v_rcp_f32_e32 v113, v119
	v_sub_f32_e32 v118, v118, v119
	s_delay_alu instid0(VALU_DEP_1) | instskip(NEXT) | instid1(VALU_DEP_1)
	v_dual_add_f32 v128, v115, v23 :: v_dual_add_f32 v117, v117, v118
	v_sub_f32_e32 v115, v115, v128
	s_waitcnt_depctr 0xfff
	v_mul_f32_e32 v129, v128, v113
	v_add_f32_e32 v23, v23, v115
	s_delay_alu instid0(VALU_DEP_2) | instskip(NEXT) | instid1(VALU_DEP_1)
	v_mul_f32_e32 v130, v119, v129
	v_fma_f32 v118, v129, v119, -v130
	s_delay_alu instid0(VALU_DEP_1) | instskip(NEXT) | instid1(VALU_DEP_1)
	v_fmac_f32_e32 v118, v129, v117
	v_add_f32_e32 v131, v130, v118
	s_delay_alu instid0(VALU_DEP_1) | instskip(NEXT) | instid1(VALU_DEP_1)
	v_dual_sub_f32 v132, v128, v131 :: v_dual_sub_f32 v115, v131, v130
	v_dual_sub_f32 v128, v128, v132 :: v_dual_sub_f32 v115, v115, v118
	s_delay_alu instid0(VALU_DEP_1) | instskip(NEXT) | instid1(VALU_DEP_1)
	v_sub_f32_e32 v128, v128, v131
	v_add_f32_e32 v23, v23, v128
	s_delay_alu instid0(VALU_DEP_1) | instskip(NEXT) | instid1(VALU_DEP_1)
	v_add_f32_e32 v23, v115, v23
	v_add_f32_e32 v115, v132, v23
	s_delay_alu instid0(VALU_DEP_1) | instskip(NEXT) | instid1(VALU_DEP_1)
	v_mul_f32_e32 v118, v113, v115
	v_dual_sub_f32 v131, v132, v115 :: v_dual_mul_f32 v128, v119, v118
	s_delay_alu instid0(VALU_DEP_1) | instskip(NEXT) | instid1(VALU_DEP_2)
	v_add_f32_e32 v23, v23, v131
	v_fma_f32 v119, v118, v119, -v128
	s_delay_alu instid0(VALU_DEP_1) | instskip(NEXT) | instid1(VALU_DEP_1)
	v_fmac_f32_e32 v119, v118, v117
	v_add_f32_e32 v117, v128, v119
	s_delay_alu instid0(VALU_DEP_1) | instskip(NEXT) | instid1(VALU_DEP_1)
	v_sub_f32_e32 v130, v115, v117
	v_dual_sub_f32 v128, v117, v128 :: v_dual_sub_f32 v115, v115, v130
	s_delay_alu instid0(VALU_DEP_1) | instskip(NEXT) | instid1(VALU_DEP_2)
	v_sub_f32_e32 v115, v115, v117
	v_sub_f32_e32 v117, v128, v119
	s_delay_alu instid0(VALU_DEP_2) | instskip(SKIP_1) | instid1(VALU_DEP_2)
	v_add_f32_e32 v23, v23, v115
	v_add_f32_e32 v115, v129, v118
	;; [unrolled: 1-line block ×3, first 2 shown]
	s_delay_alu instid0(VALU_DEP_2) | instskip(NEXT) | instid1(VALU_DEP_2)
	v_sub_f32_e32 v117, v115, v129
	v_add_f32_e32 v23, v130, v23
	s_delay_alu instid0(VALU_DEP_2) | instskip(NEXT) | instid1(VALU_DEP_2)
	v_sub_f32_e32 v117, v118, v117
	v_mul_f32_e32 v23, v113, v23
	s_delay_alu instid0(VALU_DEP_1) | instskip(NEXT) | instid1(VALU_DEP_1)
	v_add_f32_e32 v23, v117, v23
	v_add_f32_e32 v113, v115, v23
	s_delay_alu instid0(VALU_DEP_1) | instskip(NEXT) | instid1(VALU_DEP_1)
	v_mul_f32_e32 v117, v113, v113
	v_fmaak_f32 v118, s18, v117, 0x3ecc95a3
	v_mul_f32_e32 v119, v113, v117
	v_cmp_gt_f32_e64 s18, 0x33800000, |v17|
	s_delay_alu instid0(VALU_DEP_3) | instskip(SKIP_2) | instid1(VALU_DEP_4)
	v_fmaak_f32 v117, v117, v118, 0x3f2aaada
	v_ldexp_f32 v118, v113, 1
	v_sub_f32_e32 v113, v113, v115
	s_or_b32 vcc_lo, vcc_lo, s18
	s_delay_alu instid0(VALU_DEP_3) | instskip(SKIP_1) | instid1(VALU_DEP_3)
	v_mul_f32_e32 v117, v119, v117
	v_mul_f32_e32 v119, 0x3f317218, v22
	v_sub_f32_e32 v23, v23, v113
	s_delay_alu instid0(VALU_DEP_3) | instskip(NEXT) | instid1(VALU_DEP_2)
	v_add_f32_e32 v115, v118, v117
	v_ldexp_f32 v23, v23, 1
	s_delay_alu instid0(VALU_DEP_2) | instskip(SKIP_1) | instid1(VALU_DEP_1)
	v_sub_f32_e32 v113, v115, v118
	v_fma_f32 v118, 0x3f317218, v22, -v119
	v_dual_sub_f32 v113, v117, v113 :: v_dual_fmamk_f32 v22, v22, 0xb102e308, v118
	s_delay_alu instid0(VALU_DEP_1) | instskip(NEXT) | instid1(VALU_DEP_2)
	v_add_f32_e32 v23, v23, v113
	v_add_f32_e32 v113, v119, v22
	s_delay_alu instid0(VALU_DEP_2) | instskip(NEXT) | instid1(VALU_DEP_2)
	v_add_f32_e32 v117, v115, v23
	v_sub_f32_e32 v119, v113, v119
	s_delay_alu instid0(VALU_DEP_2) | instskip(SKIP_1) | instid1(VALU_DEP_3)
	v_add_f32_e32 v118, v113, v117
	v_sub_f32_e32 v115, v117, v115
	v_sub_f32_e32 v22, v22, v119
	s_delay_alu instid0(VALU_DEP_2) | instskip(NEXT) | instid1(VALU_DEP_1)
	v_dual_sub_f32 v128, v118, v113 :: v_dual_sub_f32 v23, v23, v115
	v_sub_f32_e32 v129, v118, v128
	v_sub_f32_e32 v115, v117, v128
	s_delay_alu instid0(VALU_DEP_3) | instskip(NEXT) | instid1(VALU_DEP_3)
	v_add_f32_e32 v117, v22, v23
	v_sub_f32_e32 v113, v113, v129
	s_delay_alu instid0(VALU_DEP_1) | instskip(NEXT) | instid1(VALU_DEP_3)
	v_add_f32_e32 v113, v115, v113
	v_sub_f32_e32 v115, v117, v22
	s_delay_alu instid0(VALU_DEP_2) | instskip(NEXT) | instid1(VALU_DEP_2)
	v_add_f32_e32 v113, v117, v113
	v_sub_f32_e32 v117, v117, v115
	v_sub_f32_e32 v23, v23, v115
	s_delay_alu instid0(VALU_DEP_3) | instskip(NEXT) | instid1(VALU_DEP_1)
	v_add_f32_e32 v119, v118, v113
	v_dual_sub_f32 v22, v22, v117 :: v_dual_sub_f32 v115, v119, v118
	s_delay_alu instid0(VALU_DEP_1) | instskip(NEXT) | instid1(VALU_DEP_1)
	v_dual_add_f32 v22, v23, v22 :: v_dual_sub_f32 v23, v113, v115
	v_add_f32_e32 v22, v22, v23
	s_delay_alu instid0(VALU_DEP_1) | instskip(NEXT) | instid1(VALU_DEP_1)
	v_add_f32_e32 v22, v119, v22
	v_cndmask_b32_e32 v17, v22, v17, vcc_lo
	s_delay_alu instid0(VALU_DEP_1)
	v_add_f32_e32 v17, v16, v17
.LBB521_79:
	s_or_b32 exec_lo, exec_lo, s17
	s_delay_alu instid0(VALU_DEP_1) | instskip(SKIP_1) | instid1(VALU_DEP_2)
	v_bfe_u32 v16, v17, 16, 1
	v_cmp_o_f32_e32 vcc_lo, v17, v17
	v_add3_u32 v16, v17, v16, 0x7fff
	s_delay_alu instid0(VALU_DEP_1) | instskip(NEXT) | instid1(VALU_DEP_1)
	v_and_b32_e32 v16, 0xffff0000, v16
	v_cndmask_b32_e32 v17, 0x7fc00000, v16, vcc_lo
	s_delay_alu instid0(VALU_DEP_1) | instskip(NEXT) | instid1(VALU_DEP_1)
	v_dual_max_f32 v16, v17, v17 :: v_dual_lshlrev_b32 v113, 16, v34
	v_max_f32_e32 v118, v113, v113
	v_cmp_u_f32_e32 vcc_lo, v17, v17
	v_cmp_u_f32_e64 s17, v113, v113
	s_delay_alu instid0(VALU_DEP_3) | instskip(SKIP_1) | instid1(VALU_DEP_2)
	v_min_f32_e32 v22, v16, v118
	v_max_f32_e32 v16, v16, v118
	v_cndmask_b32_e32 v22, v22, v17, vcc_lo
	s_delay_alu instid0(VALU_DEP_2) | instskip(NEXT) | instid1(VALU_DEP_2)
	v_cndmask_b32_e32 v16, v16, v17, vcc_lo
	v_cndmask_b32_e64 v22, v22, v113, s17
	s_delay_alu instid0(VALU_DEP_2) | instskip(NEXT) | instid1(VALU_DEP_2)
	v_cndmask_b32_e64 v16, v16, v113, s17
	v_cmp_class_f32_e64 s18, v22, 0x1f8
	s_delay_alu instid0(VALU_DEP_2) | instskip(NEXT) | instid1(VALU_DEP_2)
	v_cmp_neq_f32_e32 vcc_lo, v22, v16
	s_or_b32 s19, vcc_lo, s18
	s_delay_alu instid0(SALU_CYCLE_1)
	s_and_saveexec_b32 s18, s19
	s_cbranch_execz .LBB521_81
; %bb.80:
	v_sub_f32_e32 v17, v22, v16
	s_mov_b32 s19, 0x3e9b6dac
	s_delay_alu instid0(VALU_DEP_1) | instskip(SKIP_1) | instid1(VALU_DEP_2)
	v_mul_f32_e32 v22, 0x3fb8aa3b, v17
	v_cmp_ngt_f32_e32 vcc_lo, 0xc2ce8ed0, v17
	v_fma_f32 v23, 0x3fb8aa3b, v17, -v22
	v_rndne_f32_e32 v115, v22
	s_delay_alu instid0(VALU_DEP_1) | instskip(NEXT) | instid1(VALU_DEP_1)
	v_dual_fmamk_f32 v23, v17, 0x32a5705f, v23 :: v_dual_sub_f32 v22, v22, v115
	v_add_f32_e32 v22, v22, v23
	v_cvt_i32_f32_e32 v23, v115
	s_delay_alu instid0(VALU_DEP_2) | instskip(SKIP_2) | instid1(VALU_DEP_1)
	v_exp_f32_e32 v22, v22
	s_waitcnt_depctr 0xfff
	v_ldexp_f32 v22, v22, v23
	v_cndmask_b32_e32 v22, 0, v22, vcc_lo
	v_cmp_nlt_f32_e32 vcc_lo, 0x42b17218, v17
	s_delay_alu instid0(VALU_DEP_2) | instskip(NEXT) | instid1(VALU_DEP_1)
	v_cndmask_b32_e32 v17, 0x7f800000, v22, vcc_lo
	v_add_f32_e32 v115, 1.0, v17
	s_delay_alu instid0(VALU_DEP_1) | instskip(NEXT) | instid1(VALU_DEP_1)
	v_cvt_f64_f32_e32 v[22:23], v115
	v_frexp_exp_i32_f64_e32 v22, v[22:23]
	v_frexp_mant_f32_e32 v23, v115
	s_delay_alu instid0(VALU_DEP_1) | instskip(SKIP_1) | instid1(VALU_DEP_1)
	v_cmp_gt_f32_e32 vcc_lo, 0x3f2aaaab, v23
	v_add_f32_e32 v23, -1.0, v115
	v_sub_f32_e32 v119, v23, v115
	s_delay_alu instid0(VALU_DEP_1) | instskip(SKIP_1) | instid1(VALU_DEP_1)
	v_add_f32_e32 v119, 1.0, v119
	v_subrev_co_ci_u32_e32 v22, vcc_lo, 0, v22, vcc_lo
	v_sub_nc_u32_e32 v117, 0, v22
	v_cvt_f32_i32_e32 v22, v22
	s_delay_alu instid0(VALU_DEP_2) | instskip(NEXT) | instid1(VALU_DEP_1)
	v_ldexp_f32 v115, v115, v117
	v_add_f32_e32 v128, 1.0, v115
	v_sub_f32_e32 v23, v17, v23
	v_cmp_eq_f32_e32 vcc_lo, 0x7f800000, v17
	s_delay_alu instid0(VALU_DEP_2) | instskip(NEXT) | instid1(VALU_DEP_1)
	v_add_f32_e32 v23, v23, v119
	v_ldexp_f32 v23, v23, v117
	v_add_f32_e32 v117, -1.0, v115
	v_add_f32_e32 v119, -1.0, v128
	s_delay_alu instid0(VALU_DEP_2) | instskip(NEXT) | instid1(VALU_DEP_2)
	v_add_f32_e32 v129, 1.0, v117
	v_sub_f32_e32 v119, v115, v119
	s_delay_alu instid0(VALU_DEP_2) | instskip(NEXT) | instid1(VALU_DEP_2)
	v_sub_f32_e32 v115, v115, v129
	v_add_f32_e32 v119, v23, v119
	s_delay_alu instid0(VALU_DEP_2) | instskip(NEXT) | instid1(VALU_DEP_2)
	v_add_f32_e32 v23, v23, v115
	v_add_f32_e32 v129, v128, v119
	s_delay_alu instid0(VALU_DEP_2) | instskip(NEXT) | instid1(VALU_DEP_2)
	v_add_f32_e32 v130, v117, v23
	v_rcp_f32_e32 v115, v129
	s_delay_alu instid0(VALU_DEP_1) | instskip(NEXT) | instid1(VALU_DEP_1)
	v_dual_sub_f32 v128, v128, v129 :: v_dual_sub_f32 v117, v117, v130
	v_add_f32_e32 v119, v119, v128
	s_delay_alu instid0(VALU_DEP_2) | instskip(SKIP_2) | instid1(VALU_DEP_1)
	v_add_f32_e32 v23, v23, v117
	s_waitcnt_depctr 0xfff
	v_mul_f32_e32 v131, v130, v115
	v_mul_f32_e32 v132, v129, v131
	s_delay_alu instid0(VALU_DEP_1) | instskip(NEXT) | instid1(VALU_DEP_1)
	v_fma_f32 v128, v131, v129, -v132
	v_fmac_f32_e32 v128, v131, v119
	s_delay_alu instid0(VALU_DEP_1) | instskip(NEXT) | instid1(VALU_DEP_1)
	v_add_f32_e32 v133, v132, v128
	v_dual_sub_f32 v134, v130, v133 :: v_dual_sub_f32 v117, v133, v132
	s_delay_alu instid0(VALU_DEP_1) | instskip(NEXT) | instid1(VALU_DEP_1)
	v_dual_sub_f32 v130, v130, v134 :: v_dual_sub_f32 v117, v117, v128
	v_sub_f32_e32 v130, v130, v133
	s_delay_alu instid0(VALU_DEP_1) | instskip(NEXT) | instid1(VALU_DEP_1)
	v_add_f32_e32 v23, v23, v130
	v_add_f32_e32 v23, v117, v23
	s_delay_alu instid0(VALU_DEP_1) | instskip(NEXT) | instid1(VALU_DEP_1)
	v_add_f32_e32 v117, v134, v23
	v_mul_f32_e32 v128, v115, v117
	s_delay_alu instid0(VALU_DEP_1) | instskip(NEXT) | instid1(VALU_DEP_1)
	v_dual_sub_f32 v133, v134, v117 :: v_dual_mul_f32 v130, v129, v128
	v_add_f32_e32 v23, v23, v133
	s_delay_alu instid0(VALU_DEP_2) | instskip(NEXT) | instid1(VALU_DEP_1)
	v_fma_f32 v129, v128, v129, -v130
	v_fmac_f32_e32 v129, v128, v119
	s_delay_alu instid0(VALU_DEP_1) | instskip(NEXT) | instid1(VALU_DEP_1)
	v_add_f32_e32 v119, v130, v129
	v_sub_f32_e32 v132, v117, v119
	s_delay_alu instid0(VALU_DEP_1) | instskip(NEXT) | instid1(VALU_DEP_1)
	v_dual_sub_f32 v130, v119, v130 :: v_dual_sub_f32 v117, v117, v132
	v_sub_f32_e32 v117, v117, v119
	s_delay_alu instid0(VALU_DEP_2) | instskip(NEXT) | instid1(VALU_DEP_2)
	v_sub_f32_e32 v119, v130, v129
	v_add_f32_e32 v23, v23, v117
	v_add_f32_e32 v117, v131, v128
	s_delay_alu instid0(VALU_DEP_2) | instskip(NEXT) | instid1(VALU_DEP_2)
	v_add_f32_e32 v23, v119, v23
	v_sub_f32_e32 v119, v117, v131
	s_delay_alu instid0(VALU_DEP_2) | instskip(NEXT) | instid1(VALU_DEP_2)
	v_add_f32_e32 v23, v132, v23
	v_sub_f32_e32 v119, v128, v119
	s_delay_alu instid0(VALU_DEP_2) | instskip(NEXT) | instid1(VALU_DEP_1)
	v_mul_f32_e32 v23, v115, v23
	v_add_f32_e32 v23, v119, v23
	s_delay_alu instid0(VALU_DEP_1) | instskip(NEXT) | instid1(VALU_DEP_1)
	v_add_f32_e32 v115, v117, v23
	v_mul_f32_e32 v119, v115, v115
	s_delay_alu instid0(VALU_DEP_1) | instskip(SKIP_2) | instid1(VALU_DEP_3)
	v_fmaak_f32 v128, s19, v119, 0x3ecc95a3
	v_mul_f32_e32 v129, v115, v119
	v_cmp_gt_f32_e64 s19, 0x33800000, |v17|
	v_fmaak_f32 v119, v119, v128, 0x3f2aaada
	v_ldexp_f32 v128, v115, 1
	v_sub_f32_e32 v115, v115, v117
	s_delay_alu instid0(VALU_DEP_4) | instskip(NEXT) | instid1(VALU_DEP_3)
	s_or_b32 vcc_lo, vcc_lo, s19
	v_mul_f32_e32 v119, v129, v119
	v_mul_f32_e32 v129, 0x3f317218, v22
	s_delay_alu instid0(VALU_DEP_3) | instskip(NEXT) | instid1(VALU_DEP_3)
	v_sub_f32_e32 v23, v23, v115
	v_add_f32_e32 v117, v128, v119
	s_delay_alu instid0(VALU_DEP_2) | instskip(NEXT) | instid1(VALU_DEP_2)
	v_ldexp_f32 v23, v23, 1
	v_sub_f32_e32 v115, v117, v128
	v_fma_f32 v128, 0x3f317218, v22, -v129
	s_delay_alu instid0(VALU_DEP_1) | instskip(NEXT) | instid1(VALU_DEP_1)
	v_dual_sub_f32 v115, v119, v115 :: v_dual_fmamk_f32 v22, v22, 0xb102e308, v128
	v_add_f32_e32 v23, v23, v115
	s_delay_alu instid0(VALU_DEP_2) | instskip(NEXT) | instid1(VALU_DEP_2)
	v_add_f32_e32 v115, v129, v22
	v_add_f32_e32 v119, v117, v23
	s_delay_alu instid0(VALU_DEP_2) | instskip(NEXT) | instid1(VALU_DEP_2)
	v_sub_f32_e32 v129, v115, v129
	v_add_f32_e32 v128, v115, v119
	v_sub_f32_e32 v117, v119, v117
	s_delay_alu instid0(VALU_DEP_3) | instskip(NEXT) | instid1(VALU_DEP_2)
	v_sub_f32_e32 v22, v22, v129
	v_dual_sub_f32 v130, v128, v115 :: v_dual_sub_f32 v23, v23, v117
	s_delay_alu instid0(VALU_DEP_1) | instskip(SKIP_1) | instid1(VALU_DEP_3)
	v_sub_f32_e32 v131, v128, v130
	v_sub_f32_e32 v117, v119, v130
	v_add_f32_e32 v119, v22, v23
	s_delay_alu instid0(VALU_DEP_3) | instskip(NEXT) | instid1(VALU_DEP_1)
	v_sub_f32_e32 v115, v115, v131
	v_add_f32_e32 v115, v117, v115
	s_delay_alu instid0(VALU_DEP_3) | instskip(NEXT) | instid1(VALU_DEP_2)
	v_sub_f32_e32 v117, v119, v22
	v_add_f32_e32 v115, v119, v115
	s_delay_alu instid0(VALU_DEP_2) | instskip(SKIP_1) | instid1(VALU_DEP_3)
	v_sub_f32_e32 v119, v119, v117
	v_sub_f32_e32 v23, v23, v117
	v_add_f32_e32 v129, v128, v115
	s_delay_alu instid0(VALU_DEP_1) | instskip(NEXT) | instid1(VALU_DEP_1)
	v_dual_sub_f32 v22, v22, v119 :: v_dual_sub_f32 v117, v129, v128
	v_add_f32_e32 v22, v23, v22
	s_delay_alu instid0(VALU_DEP_2) | instskip(NEXT) | instid1(VALU_DEP_1)
	v_sub_f32_e32 v23, v115, v117
	v_add_f32_e32 v22, v22, v23
	s_delay_alu instid0(VALU_DEP_1) | instskip(NEXT) | instid1(VALU_DEP_1)
	v_add_f32_e32 v22, v129, v22
	v_cndmask_b32_e32 v17, v22, v17, vcc_lo
	s_delay_alu instid0(VALU_DEP_1)
	v_add_f32_e32 v17, v16, v17
.LBB521_81:
	s_or_b32 exec_lo, exec_lo, s18
	s_delay_alu instid0(VALU_DEP_1) | instskip(SKIP_1) | instid1(VALU_DEP_2)
	v_bfe_u32 v16, v17, 16, 1
	v_cmp_o_f32_e32 vcc_lo, v17, v17
	v_add3_u32 v16, v17, v16, 0x7fff
	s_delay_alu instid0(VALU_DEP_1) | instskip(NEXT) | instid1(VALU_DEP_1)
	v_and_b32_e32 v16, 0xffff0000, v16
	v_cndmask_b32_e32 v17, 0x7fc00000, v16, vcc_lo
	s_delay_alu instid0(VALU_DEP_1) | instskip(SKIP_1) | instid1(VALU_DEP_1)
	v_max_f32_e32 v16, v17, v17
	v_lshlrev_b32_e32 v115, 16, v33
	v_max_f32_e32 v128, v115, v115
	v_cmp_u_f32_e32 vcc_lo, v17, v17
	s_delay_alu instid0(VALU_DEP_2) | instskip(SKIP_2) | instid1(VALU_DEP_3)
	v_min_f32_e32 v22, v16, v128
	v_max_f32_e32 v16, v16, v128
	v_cmp_u_f32_e64 s18, v115, v115
	v_cndmask_b32_e32 v22, v22, v17, vcc_lo
	s_delay_alu instid0(VALU_DEP_3) | instskip(NEXT) | instid1(VALU_DEP_2)
	v_cndmask_b32_e32 v16, v16, v17, vcc_lo
	v_cndmask_b32_e64 v22, v22, v115, s18
	s_delay_alu instid0(VALU_DEP_2) | instskip(NEXT) | instid1(VALU_DEP_2)
	v_cndmask_b32_e64 v16, v16, v115, s18
	v_cmp_class_f32_e64 s19, v22, 0x1f8
	s_delay_alu instid0(VALU_DEP_2) | instskip(NEXT) | instid1(VALU_DEP_2)
	v_cmp_neq_f32_e32 vcc_lo, v22, v16
	s_or_b32 s20, vcc_lo, s19
	s_delay_alu instid0(SALU_CYCLE_1)
	s_and_saveexec_b32 s19, s20
	s_cbranch_execz .LBB521_83
; %bb.82:
	v_sub_f32_e32 v17, v22, v16
	s_mov_b32 s20, 0x3e9b6dac
	s_delay_alu instid0(VALU_DEP_1) | instskip(SKIP_1) | instid1(VALU_DEP_2)
	v_mul_f32_e32 v22, 0x3fb8aa3b, v17
	v_cmp_ngt_f32_e32 vcc_lo, 0xc2ce8ed0, v17
	v_fma_f32 v23, 0x3fb8aa3b, v17, -v22
	v_rndne_f32_e32 v117, v22
	s_delay_alu instid0(VALU_DEP_1) | instskip(NEXT) | instid1(VALU_DEP_1)
	v_dual_fmamk_f32 v23, v17, 0x32a5705f, v23 :: v_dual_sub_f32 v22, v22, v117
	v_add_f32_e32 v22, v22, v23
	v_cvt_i32_f32_e32 v23, v117
	s_delay_alu instid0(VALU_DEP_2) | instskip(SKIP_2) | instid1(VALU_DEP_1)
	v_exp_f32_e32 v22, v22
	s_waitcnt_depctr 0xfff
	v_ldexp_f32 v22, v22, v23
	v_cndmask_b32_e32 v22, 0, v22, vcc_lo
	v_cmp_nlt_f32_e32 vcc_lo, 0x42b17218, v17
	s_delay_alu instid0(VALU_DEP_2) | instskip(NEXT) | instid1(VALU_DEP_1)
	v_cndmask_b32_e32 v17, 0x7f800000, v22, vcc_lo
	v_add_f32_e32 v117, 1.0, v17
	s_delay_alu instid0(VALU_DEP_1) | instskip(NEXT) | instid1(VALU_DEP_1)
	v_cvt_f64_f32_e32 v[22:23], v117
	v_frexp_exp_i32_f64_e32 v22, v[22:23]
	v_frexp_mant_f32_e32 v23, v117
	s_delay_alu instid0(VALU_DEP_1) | instskip(SKIP_1) | instid1(VALU_DEP_1)
	v_cmp_gt_f32_e32 vcc_lo, 0x3f2aaaab, v23
	v_add_f32_e32 v23, -1.0, v117
	v_sub_f32_e32 v129, v23, v117
	s_delay_alu instid0(VALU_DEP_1) | instskip(SKIP_1) | instid1(VALU_DEP_1)
	v_add_f32_e32 v129, 1.0, v129
	v_subrev_co_ci_u32_e32 v22, vcc_lo, 0, v22, vcc_lo
	v_sub_nc_u32_e32 v119, 0, v22
	v_cvt_f32_i32_e32 v22, v22
	s_delay_alu instid0(VALU_DEP_2) | instskip(NEXT) | instid1(VALU_DEP_1)
	v_ldexp_f32 v117, v117, v119
	v_dual_add_f32 v130, 1.0, v117 :: v_dual_sub_f32 v23, v17, v23
	v_cmp_eq_f32_e32 vcc_lo, 0x7f800000, v17
	s_delay_alu instid0(VALU_DEP_2) | instskip(NEXT) | instid1(VALU_DEP_3)
	v_add_f32_e32 v23, v23, v129
	v_add_f32_e32 v129, -1.0, v130
	s_delay_alu instid0(VALU_DEP_2) | instskip(SKIP_1) | instid1(VALU_DEP_3)
	v_ldexp_f32 v23, v23, v119
	v_add_f32_e32 v119, -1.0, v117
	v_sub_f32_e32 v129, v117, v129
	s_delay_alu instid0(VALU_DEP_2) | instskip(NEXT) | instid1(VALU_DEP_2)
	v_add_f32_e32 v131, 1.0, v119
	v_add_f32_e32 v129, v23, v129
	s_delay_alu instid0(VALU_DEP_2) | instskip(NEXT) | instid1(VALU_DEP_2)
	v_sub_f32_e32 v117, v117, v131
	v_add_f32_e32 v131, v130, v129
	s_delay_alu instid0(VALU_DEP_2) | instskip(NEXT) | instid1(VALU_DEP_2)
	v_add_f32_e32 v23, v23, v117
	v_rcp_f32_e32 v117, v131
	v_sub_f32_e32 v130, v130, v131
	s_delay_alu instid0(VALU_DEP_1) | instskip(NEXT) | instid1(VALU_DEP_1)
	v_dual_add_f32 v132, v119, v23 :: v_dual_add_f32 v129, v129, v130
	v_sub_f32_e32 v119, v119, v132
	s_waitcnt_depctr 0xfff
	v_mul_f32_e32 v133, v132, v117
	v_add_f32_e32 v23, v23, v119
	s_delay_alu instid0(VALU_DEP_2) | instskip(NEXT) | instid1(VALU_DEP_1)
	v_mul_f32_e32 v134, v131, v133
	v_fma_f32 v130, v133, v131, -v134
	s_delay_alu instid0(VALU_DEP_1) | instskip(NEXT) | instid1(VALU_DEP_1)
	v_fmac_f32_e32 v130, v133, v129
	v_add_f32_e32 v135, v134, v130
	s_delay_alu instid0(VALU_DEP_1) | instskip(NEXT) | instid1(VALU_DEP_1)
	v_dual_sub_f32 v144, v132, v135 :: v_dual_sub_f32 v119, v135, v134
	v_dual_sub_f32 v132, v132, v144 :: v_dual_sub_f32 v119, v119, v130
	s_delay_alu instid0(VALU_DEP_1) | instskip(NEXT) | instid1(VALU_DEP_1)
	v_sub_f32_e32 v132, v132, v135
	v_add_f32_e32 v23, v23, v132
	s_delay_alu instid0(VALU_DEP_1) | instskip(NEXT) | instid1(VALU_DEP_1)
	v_add_f32_e32 v23, v119, v23
	v_add_f32_e32 v119, v144, v23
	s_delay_alu instid0(VALU_DEP_1) | instskip(NEXT) | instid1(VALU_DEP_1)
	v_mul_f32_e32 v130, v117, v119
	v_dual_sub_f32 v135, v144, v119 :: v_dual_mul_f32 v132, v131, v130
	s_delay_alu instid0(VALU_DEP_1) | instskip(NEXT) | instid1(VALU_DEP_2)
	v_add_f32_e32 v23, v23, v135
	v_fma_f32 v131, v130, v131, -v132
	s_delay_alu instid0(VALU_DEP_1) | instskip(NEXT) | instid1(VALU_DEP_1)
	v_fmac_f32_e32 v131, v130, v129
	v_add_f32_e32 v129, v132, v131
	s_delay_alu instid0(VALU_DEP_1) | instskip(NEXT) | instid1(VALU_DEP_1)
	v_sub_f32_e32 v134, v119, v129
	v_dual_sub_f32 v132, v129, v132 :: v_dual_sub_f32 v119, v119, v134
	s_delay_alu instid0(VALU_DEP_1) | instskip(NEXT) | instid1(VALU_DEP_2)
	v_sub_f32_e32 v119, v119, v129
	v_sub_f32_e32 v129, v132, v131
	s_delay_alu instid0(VALU_DEP_2) | instskip(SKIP_1) | instid1(VALU_DEP_2)
	v_add_f32_e32 v23, v23, v119
	v_add_f32_e32 v119, v133, v130
	v_add_f32_e32 v23, v129, v23
	s_delay_alu instid0(VALU_DEP_2) | instskip(NEXT) | instid1(VALU_DEP_2)
	v_sub_f32_e32 v129, v119, v133
	v_add_f32_e32 v23, v134, v23
	s_delay_alu instid0(VALU_DEP_2) | instskip(NEXT) | instid1(VALU_DEP_2)
	v_sub_f32_e32 v129, v130, v129
	v_mul_f32_e32 v23, v117, v23
	s_delay_alu instid0(VALU_DEP_1) | instskip(NEXT) | instid1(VALU_DEP_1)
	v_add_f32_e32 v23, v129, v23
	v_add_f32_e32 v117, v119, v23
	s_delay_alu instid0(VALU_DEP_1) | instskip(NEXT) | instid1(VALU_DEP_1)
	v_mul_f32_e32 v129, v117, v117
	v_fmaak_f32 v130, s20, v129, 0x3ecc95a3
	v_mul_f32_e32 v131, v117, v129
	v_cmp_gt_f32_e64 s20, 0x33800000, |v17|
	s_delay_alu instid0(VALU_DEP_3) | instskip(SKIP_2) | instid1(VALU_DEP_4)
	v_fmaak_f32 v129, v129, v130, 0x3f2aaada
	v_ldexp_f32 v130, v117, 1
	v_sub_f32_e32 v117, v117, v119
	s_or_b32 vcc_lo, vcc_lo, s20
	s_delay_alu instid0(VALU_DEP_3) | instskip(SKIP_1) | instid1(VALU_DEP_3)
	v_mul_f32_e32 v129, v131, v129
	v_mul_f32_e32 v131, 0x3f317218, v22
	v_sub_f32_e32 v23, v23, v117
	s_delay_alu instid0(VALU_DEP_3) | instskip(NEXT) | instid1(VALU_DEP_2)
	v_add_f32_e32 v119, v130, v129
	v_ldexp_f32 v23, v23, 1
	s_delay_alu instid0(VALU_DEP_2) | instskip(SKIP_1) | instid1(VALU_DEP_1)
	v_sub_f32_e32 v117, v119, v130
	v_fma_f32 v130, 0x3f317218, v22, -v131
	v_dual_sub_f32 v117, v129, v117 :: v_dual_fmamk_f32 v22, v22, 0xb102e308, v130
	s_delay_alu instid0(VALU_DEP_1) | instskip(NEXT) | instid1(VALU_DEP_2)
	v_add_f32_e32 v23, v23, v117
	v_add_f32_e32 v117, v131, v22
	s_delay_alu instid0(VALU_DEP_2) | instskip(NEXT) | instid1(VALU_DEP_2)
	v_add_f32_e32 v129, v119, v23
	v_sub_f32_e32 v131, v117, v131
	s_delay_alu instid0(VALU_DEP_2) | instskip(SKIP_1) | instid1(VALU_DEP_3)
	v_add_f32_e32 v130, v117, v129
	v_sub_f32_e32 v119, v129, v119
	v_sub_f32_e32 v22, v22, v131
	s_delay_alu instid0(VALU_DEP_2) | instskip(NEXT) | instid1(VALU_DEP_1)
	v_dual_sub_f32 v132, v130, v117 :: v_dual_sub_f32 v23, v23, v119
	v_sub_f32_e32 v133, v130, v132
	v_sub_f32_e32 v119, v129, v132
	s_delay_alu instid0(VALU_DEP_3) | instskip(NEXT) | instid1(VALU_DEP_3)
	v_add_f32_e32 v129, v22, v23
	v_sub_f32_e32 v117, v117, v133
	s_delay_alu instid0(VALU_DEP_1) | instskip(NEXT) | instid1(VALU_DEP_3)
	v_add_f32_e32 v117, v119, v117
	v_sub_f32_e32 v119, v129, v22
	s_delay_alu instid0(VALU_DEP_2) | instskip(NEXT) | instid1(VALU_DEP_2)
	v_add_f32_e32 v117, v129, v117
	v_sub_f32_e32 v129, v129, v119
	v_sub_f32_e32 v23, v23, v119
	s_delay_alu instid0(VALU_DEP_3) | instskip(NEXT) | instid1(VALU_DEP_1)
	v_add_f32_e32 v131, v130, v117
	v_dual_sub_f32 v22, v22, v129 :: v_dual_sub_f32 v119, v131, v130
	s_delay_alu instid0(VALU_DEP_1) | instskip(NEXT) | instid1(VALU_DEP_1)
	v_dual_add_f32 v22, v23, v22 :: v_dual_sub_f32 v23, v117, v119
	v_add_f32_e32 v22, v22, v23
	s_delay_alu instid0(VALU_DEP_1) | instskip(NEXT) | instid1(VALU_DEP_1)
	v_add_f32_e32 v22, v131, v22
	v_cndmask_b32_e32 v17, v22, v17, vcc_lo
	s_delay_alu instid0(VALU_DEP_1)
	v_add_f32_e32 v17, v16, v17
.LBB521_83:
	s_or_b32 exec_lo, exec_lo, s19
	s_delay_alu instid0(VALU_DEP_1) | instskip(SKIP_1) | instid1(VALU_DEP_2)
	v_bfe_u32 v16, v17, 16, 1
	v_cmp_o_f32_e32 vcc_lo, v17, v17
	v_add3_u32 v16, v17, v16, 0x7fff
	s_delay_alu instid0(VALU_DEP_1) | instskip(NEXT) | instid1(VALU_DEP_1)
	v_and_b32_e32 v16, 0xffff0000, v16
	v_cndmask_b32_e32 v17, 0x7fc00000, v16, vcc_lo
	s_delay_alu instid0(VALU_DEP_1) | instskip(NEXT) | instid1(VALU_DEP_1)
	v_dual_max_f32 v16, v17, v17 :: v_dual_lshlrev_b32 v117, 16, v32
	v_max_f32_e32 v130, v117, v117
	v_cmp_u_f32_e32 vcc_lo, v17, v17
	v_cmp_u_f32_e64 s19, v117, v117
	s_delay_alu instid0(VALU_DEP_3) | instskip(SKIP_1) | instid1(VALU_DEP_2)
	v_min_f32_e32 v22, v16, v130
	v_max_f32_e32 v16, v16, v130
	v_cndmask_b32_e32 v22, v22, v17, vcc_lo
	s_delay_alu instid0(VALU_DEP_2) | instskip(NEXT) | instid1(VALU_DEP_2)
	v_cndmask_b32_e32 v16, v16, v17, vcc_lo
	v_cndmask_b32_e64 v22, v22, v117, s19
	s_delay_alu instid0(VALU_DEP_2) | instskip(NEXT) | instid1(VALU_DEP_2)
	v_cndmask_b32_e64 v16, v16, v117, s19
	v_cmp_class_f32_e64 s20, v22, 0x1f8
	s_delay_alu instid0(VALU_DEP_2) | instskip(NEXT) | instid1(VALU_DEP_2)
	v_cmp_neq_f32_e32 vcc_lo, v22, v16
	s_or_b32 s21, vcc_lo, s20
	s_delay_alu instid0(SALU_CYCLE_1)
	s_and_saveexec_b32 s20, s21
	s_cbranch_execz .LBB521_85
; %bb.84:
	v_sub_f32_e32 v17, v22, v16
	s_mov_b32 s21, 0x3e9b6dac
	s_delay_alu instid0(VALU_DEP_1) | instskip(SKIP_1) | instid1(VALU_DEP_2)
	v_mul_f32_e32 v22, 0x3fb8aa3b, v17
	v_cmp_ngt_f32_e32 vcc_lo, 0xc2ce8ed0, v17
	v_fma_f32 v23, 0x3fb8aa3b, v17, -v22
	v_rndne_f32_e32 v119, v22
	s_delay_alu instid0(VALU_DEP_1) | instskip(NEXT) | instid1(VALU_DEP_1)
	v_dual_fmamk_f32 v23, v17, 0x32a5705f, v23 :: v_dual_sub_f32 v22, v22, v119
	v_add_f32_e32 v22, v22, v23
	v_cvt_i32_f32_e32 v23, v119
	s_delay_alu instid0(VALU_DEP_2) | instskip(SKIP_2) | instid1(VALU_DEP_1)
	v_exp_f32_e32 v22, v22
	s_waitcnt_depctr 0xfff
	v_ldexp_f32 v22, v22, v23
	v_cndmask_b32_e32 v22, 0, v22, vcc_lo
	v_cmp_nlt_f32_e32 vcc_lo, 0x42b17218, v17
	s_delay_alu instid0(VALU_DEP_2) | instskip(NEXT) | instid1(VALU_DEP_1)
	v_cndmask_b32_e32 v17, 0x7f800000, v22, vcc_lo
	v_add_f32_e32 v119, 1.0, v17
	s_delay_alu instid0(VALU_DEP_1) | instskip(NEXT) | instid1(VALU_DEP_1)
	v_cvt_f64_f32_e32 v[22:23], v119
	v_frexp_exp_i32_f64_e32 v22, v[22:23]
	v_frexp_mant_f32_e32 v23, v119
	s_delay_alu instid0(VALU_DEP_1) | instskip(SKIP_1) | instid1(VALU_DEP_1)
	v_cmp_gt_f32_e32 vcc_lo, 0x3f2aaaab, v23
	v_add_f32_e32 v23, -1.0, v119
	v_sub_f32_e32 v131, v23, v119
	s_delay_alu instid0(VALU_DEP_1) | instskip(SKIP_1) | instid1(VALU_DEP_1)
	v_add_f32_e32 v131, 1.0, v131
	v_subrev_co_ci_u32_e32 v22, vcc_lo, 0, v22, vcc_lo
	v_sub_nc_u32_e32 v129, 0, v22
	v_cvt_f32_i32_e32 v22, v22
	s_delay_alu instid0(VALU_DEP_2) | instskip(NEXT) | instid1(VALU_DEP_1)
	v_ldexp_f32 v119, v119, v129
	v_add_f32_e32 v132, 1.0, v119
	v_sub_f32_e32 v23, v17, v23
	v_cmp_eq_f32_e32 vcc_lo, 0x7f800000, v17
	s_delay_alu instid0(VALU_DEP_2) | instskip(NEXT) | instid1(VALU_DEP_1)
	v_add_f32_e32 v23, v23, v131
	v_ldexp_f32 v23, v23, v129
	v_add_f32_e32 v129, -1.0, v119
	v_add_f32_e32 v131, -1.0, v132
	s_delay_alu instid0(VALU_DEP_2) | instskip(NEXT) | instid1(VALU_DEP_2)
	v_add_f32_e32 v133, 1.0, v129
	v_sub_f32_e32 v131, v119, v131
	s_delay_alu instid0(VALU_DEP_2) | instskip(NEXT) | instid1(VALU_DEP_2)
	v_sub_f32_e32 v119, v119, v133
	v_add_f32_e32 v131, v23, v131
	s_delay_alu instid0(VALU_DEP_2) | instskip(NEXT) | instid1(VALU_DEP_2)
	v_add_f32_e32 v23, v23, v119
	v_add_f32_e32 v133, v132, v131
	s_delay_alu instid0(VALU_DEP_2) | instskip(NEXT) | instid1(VALU_DEP_2)
	v_add_f32_e32 v134, v129, v23
	v_rcp_f32_e32 v119, v133
	v_sub_f32_e32 v132, v132, v133
	s_delay_alu instid0(VALU_DEP_1) | instskip(SKIP_2) | instid1(VALU_DEP_1)
	v_add_f32_e32 v131, v131, v132
	s_waitcnt_depctr 0xfff
	v_mul_f32_e32 v135, v134, v119
	v_mul_f32_e32 v144, v133, v135
	s_delay_alu instid0(VALU_DEP_1) | instskip(NEXT) | instid1(VALU_DEP_1)
	v_fma_f32 v132, v135, v133, -v144
	v_fmac_f32_e32 v132, v135, v131
	s_delay_alu instid0(VALU_DEP_1) | instskip(NEXT) | instid1(VALU_DEP_1)
	v_add_f32_e32 v147, v144, v132
	v_dual_sub_f32 v129, v129, v134 :: v_dual_sub_f32 v148, v134, v147
	s_delay_alu instid0(VALU_DEP_1) | instskip(NEXT) | instid1(VALU_DEP_1)
	v_sub_f32_e32 v134, v134, v148
	v_dual_sub_f32 v134, v134, v147 :: v_dual_add_f32 v23, v23, v129
	v_sub_f32_e32 v129, v147, v144
	s_delay_alu instid0(VALU_DEP_2) | instskip(NEXT) | instid1(VALU_DEP_2)
	v_add_f32_e32 v23, v23, v134
	v_sub_f32_e32 v129, v129, v132
	s_delay_alu instid0(VALU_DEP_1) | instskip(NEXT) | instid1(VALU_DEP_1)
	v_add_f32_e32 v23, v129, v23
	v_add_f32_e32 v129, v148, v23
	s_delay_alu instid0(VALU_DEP_1) | instskip(NEXT) | instid1(VALU_DEP_1)
	v_mul_f32_e32 v132, v119, v129
	v_dual_sub_f32 v147, v148, v129 :: v_dual_mul_f32 v134, v133, v132
	s_delay_alu instid0(VALU_DEP_1) | instskip(NEXT) | instid1(VALU_DEP_2)
	v_add_f32_e32 v23, v23, v147
	v_fma_f32 v133, v132, v133, -v134
	s_delay_alu instid0(VALU_DEP_1) | instskip(NEXT) | instid1(VALU_DEP_1)
	v_fmac_f32_e32 v133, v132, v131
	v_add_f32_e32 v131, v134, v133
	s_delay_alu instid0(VALU_DEP_1) | instskip(NEXT) | instid1(VALU_DEP_1)
	v_sub_f32_e32 v144, v129, v131
	v_dual_sub_f32 v134, v131, v134 :: v_dual_sub_f32 v129, v129, v144
	s_delay_alu instid0(VALU_DEP_1) | instskip(NEXT) | instid1(VALU_DEP_2)
	v_sub_f32_e32 v129, v129, v131
	v_sub_f32_e32 v131, v134, v133
	s_delay_alu instid0(VALU_DEP_2) | instskip(SKIP_1) | instid1(VALU_DEP_2)
	v_add_f32_e32 v23, v23, v129
	v_add_f32_e32 v129, v135, v132
	;; [unrolled: 1-line block ×3, first 2 shown]
	s_delay_alu instid0(VALU_DEP_2) | instskip(NEXT) | instid1(VALU_DEP_2)
	v_sub_f32_e32 v131, v129, v135
	v_add_f32_e32 v23, v144, v23
	s_delay_alu instid0(VALU_DEP_2) | instskip(NEXT) | instid1(VALU_DEP_2)
	v_sub_f32_e32 v131, v132, v131
	v_mul_f32_e32 v23, v119, v23
	s_delay_alu instid0(VALU_DEP_1) | instskip(NEXT) | instid1(VALU_DEP_1)
	v_add_f32_e32 v23, v131, v23
	v_add_f32_e32 v119, v129, v23
	s_delay_alu instid0(VALU_DEP_1) | instskip(NEXT) | instid1(VALU_DEP_1)
	v_mul_f32_e32 v131, v119, v119
	v_fmaak_f32 v132, s21, v131, 0x3ecc95a3
	v_mul_f32_e32 v133, v119, v131
	v_cmp_gt_f32_e64 s21, 0x33800000, |v17|
	s_delay_alu instid0(VALU_DEP_3) | instskip(SKIP_2) | instid1(VALU_DEP_4)
	v_fmaak_f32 v131, v131, v132, 0x3f2aaada
	v_ldexp_f32 v132, v119, 1
	v_sub_f32_e32 v119, v119, v129
	s_or_b32 vcc_lo, vcc_lo, s21
	s_delay_alu instid0(VALU_DEP_3) | instskip(SKIP_1) | instid1(VALU_DEP_3)
	v_mul_f32_e32 v131, v133, v131
	v_mul_f32_e32 v133, 0x3f317218, v22
	v_sub_f32_e32 v23, v23, v119
	s_delay_alu instid0(VALU_DEP_3) | instskip(NEXT) | instid1(VALU_DEP_2)
	v_add_f32_e32 v129, v132, v131
	v_ldexp_f32 v23, v23, 1
	s_delay_alu instid0(VALU_DEP_2) | instskip(SKIP_1) | instid1(VALU_DEP_1)
	v_sub_f32_e32 v119, v129, v132
	v_fma_f32 v132, 0x3f317218, v22, -v133
	v_dual_sub_f32 v119, v131, v119 :: v_dual_fmamk_f32 v22, v22, 0xb102e308, v132
	s_delay_alu instid0(VALU_DEP_1) | instskip(NEXT) | instid1(VALU_DEP_2)
	v_add_f32_e32 v23, v23, v119
	v_add_f32_e32 v119, v133, v22
	s_delay_alu instid0(VALU_DEP_2) | instskip(NEXT) | instid1(VALU_DEP_2)
	v_add_f32_e32 v131, v129, v23
	v_sub_f32_e32 v133, v119, v133
	s_delay_alu instid0(VALU_DEP_2) | instskip(SKIP_1) | instid1(VALU_DEP_3)
	v_add_f32_e32 v132, v119, v131
	v_sub_f32_e32 v129, v131, v129
	v_sub_f32_e32 v22, v22, v133
	s_delay_alu instid0(VALU_DEP_2) | instskip(NEXT) | instid1(VALU_DEP_1)
	v_dual_sub_f32 v134, v132, v119 :: v_dual_sub_f32 v23, v23, v129
	v_sub_f32_e32 v135, v132, v134
	v_sub_f32_e32 v129, v131, v134
	s_delay_alu instid0(VALU_DEP_3) | instskip(NEXT) | instid1(VALU_DEP_3)
	v_add_f32_e32 v131, v22, v23
	v_sub_f32_e32 v119, v119, v135
	s_delay_alu instid0(VALU_DEP_1) | instskip(NEXT) | instid1(VALU_DEP_3)
	v_add_f32_e32 v119, v129, v119
	v_sub_f32_e32 v129, v131, v22
	s_delay_alu instid0(VALU_DEP_2) | instskip(NEXT) | instid1(VALU_DEP_2)
	v_add_f32_e32 v119, v131, v119
	v_sub_f32_e32 v131, v131, v129
	v_sub_f32_e32 v23, v23, v129
	s_delay_alu instid0(VALU_DEP_3) | instskip(NEXT) | instid1(VALU_DEP_1)
	v_add_f32_e32 v133, v132, v119
	v_dual_sub_f32 v22, v22, v131 :: v_dual_sub_f32 v129, v133, v132
	s_delay_alu instid0(VALU_DEP_1) | instskip(NEXT) | instid1(VALU_DEP_2)
	v_add_f32_e32 v22, v23, v22
	v_sub_f32_e32 v23, v119, v129
	s_delay_alu instid0(VALU_DEP_1) | instskip(NEXT) | instid1(VALU_DEP_1)
	v_add_f32_e32 v22, v22, v23
	v_add_f32_e32 v22, v133, v22
	s_delay_alu instid0(VALU_DEP_1) | instskip(NEXT) | instid1(VALU_DEP_1)
	v_cndmask_b32_e32 v17, v22, v17, vcc_lo
	v_add_f32_e32 v17, v16, v17
.LBB521_85:
	s_or_b32 exec_lo, exec_lo, s20
	s_delay_alu instid0(VALU_DEP_1) | instskip(SKIP_1) | instid1(VALU_DEP_2)
	v_bfe_u32 v16, v17, 16, 1
	v_cmp_o_f32_e32 vcc_lo, v17, v17
	v_add3_u32 v16, v17, v16, 0x7fff
	s_delay_alu instid0(VALU_DEP_1) | instskip(NEXT) | instid1(VALU_DEP_1)
	v_and_b32_e32 v16, 0xffff0000, v16
	v_cndmask_b32_e32 v17, 0x7fc00000, v16, vcc_lo
	s_delay_alu instid0(VALU_DEP_1) | instskip(NEXT) | instid1(VALU_DEP_1)
	v_dual_max_f32 v16, v17, v17 :: v_dual_lshlrev_b32 v119, 16, v31
	v_max_f32_e32 v132, v119, v119
	v_cmp_u_f32_e32 vcc_lo, v17, v17
	v_cmp_u_f32_e64 s20, v119, v119
	s_delay_alu instid0(VALU_DEP_3) | instskip(SKIP_1) | instid1(VALU_DEP_2)
	v_min_f32_e32 v22, v16, v132
	v_max_f32_e32 v16, v16, v132
	v_cndmask_b32_e32 v22, v22, v17, vcc_lo
	s_delay_alu instid0(VALU_DEP_2) | instskip(NEXT) | instid1(VALU_DEP_2)
	v_cndmask_b32_e32 v16, v16, v17, vcc_lo
	v_cndmask_b32_e64 v22, v22, v119, s20
	s_delay_alu instid0(VALU_DEP_2) | instskip(NEXT) | instid1(VALU_DEP_2)
	v_cndmask_b32_e64 v16, v16, v119, s20
	v_cmp_class_f32_e64 s21, v22, 0x1f8
	s_delay_alu instid0(VALU_DEP_2) | instskip(NEXT) | instid1(VALU_DEP_2)
	v_cmp_neq_f32_e32 vcc_lo, v22, v16
	s_or_b32 s22, vcc_lo, s21
	s_delay_alu instid0(SALU_CYCLE_1)
	s_and_saveexec_b32 s21, s22
	s_cbranch_execz .LBB521_87
; %bb.86:
	v_sub_f32_e32 v17, v22, v16
	s_mov_b32 s22, 0x3e9b6dac
	s_delay_alu instid0(VALU_DEP_1) | instskip(SKIP_1) | instid1(VALU_DEP_2)
	v_mul_f32_e32 v22, 0x3fb8aa3b, v17
	v_cmp_ngt_f32_e32 vcc_lo, 0xc2ce8ed0, v17
	v_fma_f32 v23, 0x3fb8aa3b, v17, -v22
	v_rndne_f32_e32 v129, v22
	s_delay_alu instid0(VALU_DEP_1) | instskip(NEXT) | instid1(VALU_DEP_1)
	v_dual_fmamk_f32 v23, v17, 0x32a5705f, v23 :: v_dual_sub_f32 v22, v22, v129
	v_add_f32_e32 v22, v22, v23
	v_cvt_i32_f32_e32 v23, v129
	s_delay_alu instid0(VALU_DEP_2) | instskip(SKIP_2) | instid1(VALU_DEP_1)
	v_exp_f32_e32 v22, v22
	s_waitcnt_depctr 0xfff
	v_ldexp_f32 v22, v22, v23
	v_cndmask_b32_e32 v22, 0, v22, vcc_lo
	v_cmp_nlt_f32_e32 vcc_lo, 0x42b17218, v17
	s_delay_alu instid0(VALU_DEP_2) | instskip(NEXT) | instid1(VALU_DEP_1)
	v_cndmask_b32_e32 v17, 0x7f800000, v22, vcc_lo
	v_add_f32_e32 v129, 1.0, v17
	s_delay_alu instid0(VALU_DEP_1) | instskip(NEXT) | instid1(VALU_DEP_1)
	v_cvt_f64_f32_e32 v[22:23], v129
	v_frexp_exp_i32_f64_e32 v22, v[22:23]
	v_frexp_mant_f32_e32 v23, v129
	s_delay_alu instid0(VALU_DEP_1) | instskip(SKIP_1) | instid1(VALU_DEP_1)
	v_cmp_gt_f32_e32 vcc_lo, 0x3f2aaaab, v23
	v_add_f32_e32 v23, -1.0, v129
	v_sub_f32_e32 v133, v23, v129
	s_delay_alu instid0(VALU_DEP_1) | instskip(SKIP_1) | instid1(VALU_DEP_1)
	v_add_f32_e32 v133, 1.0, v133
	v_subrev_co_ci_u32_e32 v22, vcc_lo, 0, v22, vcc_lo
	v_sub_nc_u32_e32 v131, 0, v22
	v_cvt_f32_i32_e32 v22, v22
	s_delay_alu instid0(VALU_DEP_2) | instskip(NEXT) | instid1(VALU_DEP_1)
	v_ldexp_f32 v129, v129, v131
	v_dual_add_f32 v134, 1.0, v129 :: v_dual_sub_f32 v23, v17, v23
	v_cmp_eq_f32_e32 vcc_lo, 0x7f800000, v17
	s_delay_alu instid0(VALU_DEP_2) | instskip(NEXT) | instid1(VALU_DEP_3)
	v_add_f32_e32 v23, v23, v133
	v_add_f32_e32 v133, -1.0, v134
	s_delay_alu instid0(VALU_DEP_2) | instskip(SKIP_1) | instid1(VALU_DEP_3)
	v_ldexp_f32 v23, v23, v131
	v_add_f32_e32 v131, -1.0, v129
	v_sub_f32_e32 v133, v129, v133
	s_delay_alu instid0(VALU_DEP_2) | instskip(NEXT) | instid1(VALU_DEP_2)
	v_add_f32_e32 v135, 1.0, v131
	v_add_f32_e32 v133, v23, v133
	s_delay_alu instid0(VALU_DEP_2) | instskip(NEXT) | instid1(VALU_DEP_2)
	v_sub_f32_e32 v129, v129, v135
	v_add_f32_e32 v135, v134, v133
	s_delay_alu instid0(VALU_DEP_2) | instskip(NEXT) | instid1(VALU_DEP_2)
	v_add_f32_e32 v23, v23, v129
	v_rcp_f32_e32 v129, v135
	v_sub_f32_e32 v134, v134, v135
	s_delay_alu instid0(VALU_DEP_1) | instskip(NEXT) | instid1(VALU_DEP_1)
	v_dual_add_f32 v144, v131, v23 :: v_dual_add_f32 v133, v133, v134
	v_sub_f32_e32 v131, v131, v144
	s_waitcnt_depctr 0xfff
	v_mul_f32_e32 v147, v144, v129
	v_add_f32_e32 v23, v23, v131
	s_delay_alu instid0(VALU_DEP_2) | instskip(NEXT) | instid1(VALU_DEP_1)
	v_mul_f32_e32 v148, v135, v147
	v_fma_f32 v134, v147, v135, -v148
	s_delay_alu instid0(VALU_DEP_1) | instskip(NEXT) | instid1(VALU_DEP_1)
	v_fmac_f32_e32 v134, v147, v133
	v_add_f32_e32 v149, v148, v134
	s_delay_alu instid0(VALU_DEP_1) | instskip(NEXT) | instid1(VALU_DEP_1)
	v_dual_sub_f32 v150, v144, v149 :: v_dual_sub_f32 v131, v149, v148
	v_sub_f32_e32 v144, v144, v150
	s_delay_alu instid0(VALU_DEP_1) | instskip(NEXT) | instid1(VALU_DEP_1)
	v_dual_sub_f32 v131, v131, v134 :: v_dual_sub_f32 v144, v144, v149
	v_add_f32_e32 v23, v23, v144
	s_delay_alu instid0(VALU_DEP_1) | instskip(NEXT) | instid1(VALU_DEP_1)
	v_add_f32_e32 v23, v131, v23
	v_add_f32_e32 v131, v150, v23
	s_delay_alu instid0(VALU_DEP_1) | instskip(NEXT) | instid1(VALU_DEP_1)
	v_mul_f32_e32 v134, v129, v131
	v_dual_sub_f32 v149, v150, v131 :: v_dual_mul_f32 v144, v135, v134
	s_delay_alu instid0(VALU_DEP_1) | instskip(NEXT) | instid1(VALU_DEP_2)
	v_add_f32_e32 v23, v23, v149
	v_fma_f32 v135, v134, v135, -v144
	s_delay_alu instid0(VALU_DEP_1) | instskip(NEXT) | instid1(VALU_DEP_1)
	v_fmac_f32_e32 v135, v134, v133
	v_add_f32_e32 v133, v144, v135
	s_delay_alu instid0(VALU_DEP_1) | instskip(SKIP_1) | instid1(VALU_DEP_2)
	v_sub_f32_e32 v148, v131, v133
	v_sub_f32_e32 v144, v133, v144
	;; [unrolled: 1-line block ×3, first 2 shown]
	s_delay_alu instid0(VALU_DEP_1) | instskip(NEXT) | instid1(VALU_DEP_3)
	v_sub_f32_e32 v131, v131, v133
	v_sub_f32_e32 v133, v144, v135
	s_delay_alu instid0(VALU_DEP_2) | instskip(SKIP_1) | instid1(VALU_DEP_2)
	v_add_f32_e32 v23, v23, v131
	v_add_f32_e32 v131, v147, v134
	;; [unrolled: 1-line block ×3, first 2 shown]
	s_delay_alu instid0(VALU_DEP_2) | instskip(NEXT) | instid1(VALU_DEP_2)
	v_sub_f32_e32 v133, v131, v147
	v_add_f32_e32 v23, v148, v23
	s_delay_alu instid0(VALU_DEP_2) | instskip(NEXT) | instid1(VALU_DEP_2)
	v_sub_f32_e32 v133, v134, v133
	v_mul_f32_e32 v23, v129, v23
	s_delay_alu instid0(VALU_DEP_1) | instskip(NEXT) | instid1(VALU_DEP_1)
	v_add_f32_e32 v23, v133, v23
	v_add_f32_e32 v129, v131, v23
	s_delay_alu instid0(VALU_DEP_1) | instskip(NEXT) | instid1(VALU_DEP_1)
	v_mul_f32_e32 v133, v129, v129
	v_fmaak_f32 v134, s22, v133, 0x3ecc95a3
	v_mul_f32_e32 v135, v129, v133
	v_cmp_gt_f32_e64 s22, 0x33800000, |v17|
	s_delay_alu instid0(VALU_DEP_3) | instskip(SKIP_2) | instid1(VALU_DEP_4)
	v_fmaak_f32 v133, v133, v134, 0x3f2aaada
	v_ldexp_f32 v134, v129, 1
	v_sub_f32_e32 v129, v129, v131
	s_or_b32 vcc_lo, vcc_lo, s22
	s_delay_alu instid0(VALU_DEP_3) | instskip(SKIP_1) | instid1(VALU_DEP_3)
	v_mul_f32_e32 v133, v135, v133
	v_mul_f32_e32 v135, 0x3f317218, v22
	v_sub_f32_e32 v23, v23, v129
	s_delay_alu instid0(VALU_DEP_3) | instskip(NEXT) | instid1(VALU_DEP_2)
	v_add_f32_e32 v131, v134, v133
	v_ldexp_f32 v23, v23, 1
	s_delay_alu instid0(VALU_DEP_2) | instskip(SKIP_1) | instid1(VALU_DEP_1)
	v_sub_f32_e32 v129, v131, v134
	v_fma_f32 v134, 0x3f317218, v22, -v135
	v_dual_sub_f32 v129, v133, v129 :: v_dual_fmamk_f32 v22, v22, 0xb102e308, v134
	s_delay_alu instid0(VALU_DEP_1) | instskip(NEXT) | instid1(VALU_DEP_2)
	v_add_f32_e32 v23, v23, v129
	v_add_f32_e32 v129, v135, v22
	s_delay_alu instid0(VALU_DEP_2) | instskip(NEXT) | instid1(VALU_DEP_2)
	v_add_f32_e32 v133, v131, v23
	v_sub_f32_e32 v135, v129, v135
	s_delay_alu instid0(VALU_DEP_2) | instskip(SKIP_1) | instid1(VALU_DEP_3)
	v_add_f32_e32 v134, v129, v133
	v_sub_f32_e32 v131, v133, v131
	v_sub_f32_e32 v22, v22, v135
	s_delay_alu instid0(VALU_DEP_2) | instskip(NEXT) | instid1(VALU_DEP_1)
	v_dual_sub_f32 v144, v134, v129 :: v_dual_sub_f32 v23, v23, v131
	v_sub_f32_e32 v147, v134, v144
	v_sub_f32_e32 v131, v133, v144
	s_delay_alu instid0(VALU_DEP_3) | instskip(NEXT) | instid1(VALU_DEP_3)
	v_add_f32_e32 v133, v22, v23
	v_sub_f32_e32 v129, v129, v147
	s_delay_alu instid0(VALU_DEP_1) | instskip(NEXT) | instid1(VALU_DEP_3)
	v_add_f32_e32 v129, v131, v129
	v_sub_f32_e32 v131, v133, v22
	s_delay_alu instid0(VALU_DEP_2) | instskip(NEXT) | instid1(VALU_DEP_2)
	v_add_f32_e32 v129, v133, v129
	v_sub_f32_e32 v133, v133, v131
	v_sub_f32_e32 v23, v23, v131
	s_delay_alu instid0(VALU_DEP_3) | instskip(NEXT) | instid1(VALU_DEP_1)
	v_add_f32_e32 v135, v134, v129
	v_dual_sub_f32 v22, v22, v133 :: v_dual_sub_f32 v131, v135, v134
	s_delay_alu instid0(VALU_DEP_1) | instskip(NEXT) | instid1(VALU_DEP_1)
	v_dual_add_f32 v22, v23, v22 :: v_dual_sub_f32 v23, v129, v131
	v_add_f32_e32 v22, v22, v23
	s_delay_alu instid0(VALU_DEP_1) | instskip(NEXT) | instid1(VALU_DEP_1)
	v_add_f32_e32 v22, v135, v22
	v_cndmask_b32_e32 v17, v22, v17, vcc_lo
	s_delay_alu instid0(VALU_DEP_1)
	v_add_f32_e32 v17, v16, v17
.LBB521_87:
	s_or_b32 exec_lo, exec_lo, s21
	s_delay_alu instid0(VALU_DEP_1) | instskip(SKIP_1) | instid1(VALU_DEP_2)
	v_bfe_u32 v16, v17, 16, 1
	v_cmp_o_f32_e32 vcc_lo, v17, v17
	v_add3_u32 v16, v17, v16, 0x7fff
	s_delay_alu instid0(VALU_DEP_1) | instskip(NEXT) | instid1(VALU_DEP_1)
	v_and_b32_e32 v16, 0xffff0000, v16
	v_cndmask_b32_e32 v17, 0x7fc00000, v16, vcc_lo
	s_delay_alu instid0(VALU_DEP_1) | instskip(NEXT) | instid1(VALU_DEP_1)
	v_dual_max_f32 v16, v17, v17 :: v_dual_lshlrev_b32 v129, 16, v30
	v_max_f32_e32 v134, v129, v129
	v_cmp_u_f32_e32 vcc_lo, v17, v17
	v_cmp_u_f32_e64 s21, v129, v129
	s_delay_alu instid0(VALU_DEP_3) | instskip(SKIP_1) | instid1(VALU_DEP_2)
	v_min_f32_e32 v22, v16, v134
	v_max_f32_e32 v16, v16, v134
	v_cndmask_b32_e32 v22, v22, v17, vcc_lo
	s_delay_alu instid0(VALU_DEP_2) | instskip(NEXT) | instid1(VALU_DEP_2)
	v_cndmask_b32_e32 v16, v16, v17, vcc_lo
	v_cndmask_b32_e64 v22, v22, v129, s21
	s_delay_alu instid0(VALU_DEP_2) | instskip(NEXT) | instid1(VALU_DEP_2)
	v_cndmask_b32_e64 v16, v16, v129, s21
	v_cmp_class_f32_e64 s22, v22, 0x1f8
	s_delay_alu instid0(VALU_DEP_2) | instskip(NEXT) | instid1(VALU_DEP_2)
	v_cmp_neq_f32_e32 vcc_lo, v22, v16
	s_or_b32 s23, vcc_lo, s22
	s_delay_alu instid0(SALU_CYCLE_1)
	s_and_saveexec_b32 s22, s23
	s_cbranch_execz .LBB521_89
; %bb.88:
	v_sub_f32_e32 v17, v22, v16
	s_mov_b32 s23, 0x3e9b6dac
	s_delay_alu instid0(VALU_DEP_1) | instskip(SKIP_1) | instid1(VALU_DEP_2)
	v_mul_f32_e32 v22, 0x3fb8aa3b, v17
	v_cmp_ngt_f32_e32 vcc_lo, 0xc2ce8ed0, v17
	v_fma_f32 v23, 0x3fb8aa3b, v17, -v22
	v_rndne_f32_e32 v131, v22
	s_delay_alu instid0(VALU_DEP_1) | instskip(NEXT) | instid1(VALU_DEP_1)
	v_dual_fmamk_f32 v23, v17, 0x32a5705f, v23 :: v_dual_sub_f32 v22, v22, v131
	v_add_f32_e32 v22, v22, v23
	v_cvt_i32_f32_e32 v23, v131
	s_delay_alu instid0(VALU_DEP_2) | instskip(SKIP_2) | instid1(VALU_DEP_1)
	v_exp_f32_e32 v22, v22
	s_waitcnt_depctr 0xfff
	v_ldexp_f32 v22, v22, v23
	v_cndmask_b32_e32 v22, 0, v22, vcc_lo
	v_cmp_nlt_f32_e32 vcc_lo, 0x42b17218, v17
	s_delay_alu instid0(VALU_DEP_2) | instskip(NEXT) | instid1(VALU_DEP_1)
	v_cndmask_b32_e32 v17, 0x7f800000, v22, vcc_lo
	v_add_f32_e32 v131, 1.0, v17
	s_delay_alu instid0(VALU_DEP_1) | instskip(NEXT) | instid1(VALU_DEP_1)
	v_cvt_f64_f32_e32 v[22:23], v131
	v_frexp_exp_i32_f64_e32 v22, v[22:23]
	v_frexp_mant_f32_e32 v23, v131
	s_delay_alu instid0(VALU_DEP_1) | instskip(SKIP_1) | instid1(VALU_DEP_1)
	v_cmp_gt_f32_e32 vcc_lo, 0x3f2aaaab, v23
	v_add_f32_e32 v23, -1.0, v131
	v_sub_f32_e32 v135, v23, v131
	s_delay_alu instid0(VALU_DEP_1) | instskip(SKIP_1) | instid1(VALU_DEP_1)
	v_add_f32_e32 v135, 1.0, v135
	v_subrev_co_ci_u32_e32 v22, vcc_lo, 0, v22, vcc_lo
	v_sub_nc_u32_e32 v133, 0, v22
	v_cvt_f32_i32_e32 v22, v22
	s_delay_alu instid0(VALU_DEP_2) | instskip(NEXT) | instid1(VALU_DEP_1)
	v_ldexp_f32 v131, v131, v133
	v_add_f32_e32 v144, 1.0, v131
	v_sub_f32_e32 v23, v17, v23
	v_cmp_eq_f32_e32 vcc_lo, 0x7f800000, v17
	s_delay_alu instid0(VALU_DEP_2) | instskip(NEXT) | instid1(VALU_DEP_1)
	v_add_f32_e32 v23, v23, v135
	v_ldexp_f32 v23, v23, v133
	v_add_f32_e32 v133, -1.0, v131
	v_add_f32_e32 v135, -1.0, v144
	s_delay_alu instid0(VALU_DEP_2) | instskip(NEXT) | instid1(VALU_DEP_2)
	v_add_f32_e32 v147, 1.0, v133
	v_sub_f32_e32 v135, v131, v135
	s_delay_alu instid0(VALU_DEP_2) | instskip(NEXT) | instid1(VALU_DEP_2)
	v_sub_f32_e32 v131, v131, v147
	v_add_f32_e32 v135, v23, v135
	s_delay_alu instid0(VALU_DEP_2) | instskip(NEXT) | instid1(VALU_DEP_2)
	v_add_f32_e32 v23, v23, v131
	v_add_f32_e32 v147, v144, v135
	s_delay_alu instid0(VALU_DEP_2) | instskip(NEXT) | instid1(VALU_DEP_2)
	v_add_f32_e32 v148, v133, v23
	v_rcp_f32_e32 v131, v147
	s_delay_alu instid0(VALU_DEP_1) | instskip(NEXT) | instid1(VALU_DEP_1)
	v_dual_sub_f32 v144, v144, v147 :: v_dual_sub_f32 v133, v133, v148
	v_add_f32_e32 v135, v135, v144
	s_waitcnt_depctr 0xfff
	v_mul_f32_e32 v149, v148, v131
	s_delay_alu instid0(VALU_DEP_1) | instskip(NEXT) | instid1(VALU_DEP_1)
	v_mul_f32_e32 v150, v147, v149
	v_fma_f32 v144, v149, v147, -v150
	s_delay_alu instid0(VALU_DEP_1) | instskip(NEXT) | instid1(VALU_DEP_1)
	v_fmac_f32_e32 v144, v149, v135
	v_add_f32_e32 v151, v150, v144
	s_delay_alu instid0(VALU_DEP_1) | instskip(NEXT) | instid1(VALU_DEP_1)
	v_sub_f32_e32 v160, v148, v151
	v_dual_sub_f32 v148, v148, v160 :: v_dual_add_f32 v23, v23, v133
	s_delay_alu instid0(VALU_DEP_1) | instskip(NEXT) | instid1(VALU_DEP_1)
	v_dual_sub_f32 v133, v151, v150 :: v_dual_sub_f32 v148, v148, v151
	v_sub_f32_e32 v133, v133, v144
	s_delay_alu instid0(VALU_DEP_2) | instskip(NEXT) | instid1(VALU_DEP_1)
	v_add_f32_e32 v23, v23, v148
	v_add_f32_e32 v23, v133, v23
	s_delay_alu instid0(VALU_DEP_1) | instskip(NEXT) | instid1(VALU_DEP_1)
	v_add_f32_e32 v133, v160, v23
	v_mul_f32_e32 v144, v131, v133
	s_delay_alu instid0(VALU_DEP_1) | instskip(NEXT) | instid1(VALU_DEP_1)
	v_dual_sub_f32 v151, v160, v133 :: v_dual_mul_f32 v148, v147, v144
	v_add_f32_e32 v23, v23, v151
	s_delay_alu instid0(VALU_DEP_2) | instskip(NEXT) | instid1(VALU_DEP_1)
	v_fma_f32 v147, v144, v147, -v148
	v_fmac_f32_e32 v147, v144, v135
	s_delay_alu instid0(VALU_DEP_1) | instskip(NEXT) | instid1(VALU_DEP_1)
	v_add_f32_e32 v135, v148, v147
	v_sub_f32_e32 v150, v133, v135
	s_delay_alu instid0(VALU_DEP_1) | instskip(NEXT) | instid1(VALU_DEP_1)
	v_dual_sub_f32 v148, v135, v148 :: v_dual_sub_f32 v133, v133, v150
	v_sub_f32_e32 v133, v133, v135
	s_delay_alu instid0(VALU_DEP_2) | instskip(NEXT) | instid1(VALU_DEP_2)
	v_sub_f32_e32 v135, v148, v147
	v_add_f32_e32 v23, v23, v133
	v_add_f32_e32 v133, v149, v144
	s_delay_alu instid0(VALU_DEP_2) | instskip(NEXT) | instid1(VALU_DEP_2)
	v_add_f32_e32 v23, v135, v23
	v_sub_f32_e32 v135, v133, v149
	s_delay_alu instid0(VALU_DEP_2) | instskip(NEXT) | instid1(VALU_DEP_2)
	v_add_f32_e32 v23, v150, v23
	v_sub_f32_e32 v135, v144, v135
	s_delay_alu instid0(VALU_DEP_2) | instskip(NEXT) | instid1(VALU_DEP_1)
	v_mul_f32_e32 v23, v131, v23
	v_add_f32_e32 v23, v135, v23
	s_delay_alu instid0(VALU_DEP_1) | instskip(NEXT) | instid1(VALU_DEP_1)
	v_add_f32_e32 v131, v133, v23
	v_mul_f32_e32 v135, v131, v131
	s_delay_alu instid0(VALU_DEP_1) | instskip(SKIP_2) | instid1(VALU_DEP_3)
	v_fmaak_f32 v144, s23, v135, 0x3ecc95a3
	v_mul_f32_e32 v147, v131, v135
	v_cmp_gt_f32_e64 s23, 0x33800000, |v17|
	v_fmaak_f32 v135, v135, v144, 0x3f2aaada
	v_ldexp_f32 v144, v131, 1
	v_sub_f32_e32 v131, v131, v133
	s_delay_alu instid0(VALU_DEP_4) | instskip(NEXT) | instid1(VALU_DEP_3)
	s_or_b32 vcc_lo, vcc_lo, s23
	v_mul_f32_e32 v135, v147, v135
	v_mul_f32_e32 v147, 0x3f317218, v22
	s_delay_alu instid0(VALU_DEP_3) | instskip(NEXT) | instid1(VALU_DEP_3)
	v_sub_f32_e32 v23, v23, v131
	v_add_f32_e32 v133, v144, v135
	s_delay_alu instid0(VALU_DEP_2) | instskip(NEXT) | instid1(VALU_DEP_2)
	v_ldexp_f32 v23, v23, 1
	v_sub_f32_e32 v131, v133, v144
	v_fma_f32 v144, 0x3f317218, v22, -v147
	s_delay_alu instid0(VALU_DEP_1) | instskip(NEXT) | instid1(VALU_DEP_1)
	v_dual_sub_f32 v131, v135, v131 :: v_dual_fmamk_f32 v22, v22, 0xb102e308, v144
	v_add_f32_e32 v23, v23, v131
	s_delay_alu instid0(VALU_DEP_2) | instskip(NEXT) | instid1(VALU_DEP_2)
	v_add_f32_e32 v131, v147, v22
	v_add_f32_e32 v135, v133, v23
	s_delay_alu instid0(VALU_DEP_2) | instskip(NEXT) | instid1(VALU_DEP_2)
	v_sub_f32_e32 v147, v131, v147
	v_add_f32_e32 v144, v131, v135
	s_delay_alu instid0(VALU_DEP_2) | instskip(NEXT) | instid1(VALU_DEP_1)
	v_dual_sub_f32 v133, v135, v133 :: v_dual_sub_f32 v22, v22, v147
	v_dual_sub_f32 v148, v144, v131 :: v_dual_sub_f32 v23, v23, v133
	s_delay_alu instid0(VALU_DEP_1) | instskip(SKIP_1) | instid1(VALU_DEP_3)
	v_sub_f32_e32 v149, v144, v148
	v_sub_f32_e32 v133, v135, v148
	v_add_f32_e32 v135, v22, v23
	s_delay_alu instid0(VALU_DEP_3) | instskip(NEXT) | instid1(VALU_DEP_1)
	v_sub_f32_e32 v131, v131, v149
	v_add_f32_e32 v131, v133, v131
	s_delay_alu instid0(VALU_DEP_3) | instskip(NEXT) | instid1(VALU_DEP_2)
	v_sub_f32_e32 v133, v135, v22
	v_add_f32_e32 v131, v135, v131
	s_delay_alu instid0(VALU_DEP_2) | instskip(SKIP_1) | instid1(VALU_DEP_3)
	v_sub_f32_e32 v135, v135, v133
	v_sub_f32_e32 v23, v23, v133
	v_add_f32_e32 v147, v144, v131
	s_delay_alu instid0(VALU_DEP_1) | instskip(NEXT) | instid1(VALU_DEP_1)
	v_dual_sub_f32 v22, v22, v135 :: v_dual_sub_f32 v133, v147, v144
	v_add_f32_e32 v22, v23, v22
	s_delay_alu instid0(VALU_DEP_2) | instskip(NEXT) | instid1(VALU_DEP_1)
	v_sub_f32_e32 v23, v131, v133
	v_add_f32_e32 v22, v22, v23
	s_delay_alu instid0(VALU_DEP_1) | instskip(NEXT) | instid1(VALU_DEP_1)
	v_add_f32_e32 v22, v147, v22
	v_cndmask_b32_e32 v17, v22, v17, vcc_lo
	s_delay_alu instid0(VALU_DEP_1)
	v_add_f32_e32 v17, v16, v17
.LBB521_89:
	s_or_b32 exec_lo, exec_lo, s22
	s_delay_alu instid0(VALU_DEP_1) | instskip(SKIP_2) | instid1(VALU_DEP_3)
	v_bfe_u32 v16, v17, 16, 1
	v_lshlrev_b32_e32 v131, 16, v29
	v_cmp_o_f32_e32 vcc_lo, v17, v17
	v_add3_u32 v16, v17, v16, 0x7fff
	s_delay_alu instid0(VALU_DEP_1) | instskip(NEXT) | instid1(VALU_DEP_1)
	v_dual_max_f32 v135, v131, v131 :: v_dual_and_b32 v16, 0xffff0000, v16
	v_cndmask_b32_e32 v17, 0x7fc00000, v16, vcc_lo
	s_delay_alu instid0(VALU_DEP_1) | instskip(NEXT) | instid1(VALU_DEP_1)
	v_max_f32_e32 v16, v17, v17
	v_min_f32_e32 v22, v16, v135
	v_max_f32_e32 v16, v16, v135
	v_cmp_u_f32_e32 vcc_lo, v17, v17
	v_cmp_u_f32_e64 s22, v131, v131
	s_delay_alu instid0(VALU_DEP_4) | instskip(NEXT) | instid1(VALU_DEP_4)
	v_cndmask_b32_e32 v22, v22, v17, vcc_lo
	v_cndmask_b32_e32 v16, v16, v17, vcc_lo
	s_delay_alu instid0(VALU_DEP_2) | instskip(NEXT) | instid1(VALU_DEP_2)
	v_cndmask_b32_e64 v22, v22, v131, s22
	v_cndmask_b32_e64 v16, v16, v131, s22
	s_delay_alu instid0(VALU_DEP_2) | instskip(NEXT) | instid1(VALU_DEP_2)
	v_cmp_class_f32_e64 s23, v22, 0x1f8
	v_cmp_neq_f32_e32 vcc_lo, v22, v16
	s_delay_alu instid0(VALU_DEP_2) | instskip(NEXT) | instid1(SALU_CYCLE_1)
	s_or_b32 s25, vcc_lo, s23
	s_and_saveexec_b32 s23, s25
	s_cbranch_execz .LBB521_91
; %bb.90:
	v_sub_f32_e32 v17, v22, v16
	s_mov_b32 s25, 0x3e9b6dac
	s_delay_alu instid0(VALU_DEP_1) | instskip(SKIP_1) | instid1(VALU_DEP_2)
	v_mul_f32_e32 v22, 0x3fb8aa3b, v17
	v_cmp_ngt_f32_e32 vcc_lo, 0xc2ce8ed0, v17
	v_fma_f32 v23, 0x3fb8aa3b, v17, -v22
	v_rndne_f32_e32 v133, v22
	s_delay_alu instid0(VALU_DEP_1) | instskip(NEXT) | instid1(VALU_DEP_1)
	v_dual_fmamk_f32 v23, v17, 0x32a5705f, v23 :: v_dual_sub_f32 v22, v22, v133
	v_add_f32_e32 v22, v22, v23
	v_cvt_i32_f32_e32 v23, v133
	s_delay_alu instid0(VALU_DEP_2) | instskip(SKIP_2) | instid1(VALU_DEP_1)
	v_exp_f32_e32 v22, v22
	s_waitcnt_depctr 0xfff
	v_ldexp_f32 v22, v22, v23
	v_cndmask_b32_e32 v22, 0, v22, vcc_lo
	v_cmp_nlt_f32_e32 vcc_lo, 0x42b17218, v17
	s_delay_alu instid0(VALU_DEP_2) | instskip(NEXT) | instid1(VALU_DEP_1)
	v_cndmask_b32_e32 v17, 0x7f800000, v22, vcc_lo
	v_add_f32_e32 v133, 1.0, v17
	s_delay_alu instid0(VALU_DEP_1) | instskip(NEXT) | instid1(VALU_DEP_1)
	v_cvt_f64_f32_e32 v[22:23], v133
	v_frexp_exp_i32_f64_e32 v22, v[22:23]
	v_frexp_mant_f32_e32 v23, v133
	s_delay_alu instid0(VALU_DEP_1) | instskip(SKIP_1) | instid1(VALU_DEP_1)
	v_cmp_gt_f32_e32 vcc_lo, 0x3f2aaaab, v23
	v_add_f32_e32 v23, -1.0, v133
	v_sub_f32_e32 v147, v23, v133
	v_subrev_co_ci_u32_e32 v22, vcc_lo, 0, v22, vcc_lo
	s_delay_alu instid0(VALU_DEP_1) | instskip(SKIP_1) | instid1(VALU_DEP_2)
	v_sub_nc_u32_e32 v144, 0, v22
	v_cvt_f32_i32_e32 v22, v22
	v_ldexp_f32 v133, v133, v144
	s_delay_alu instid0(VALU_DEP_1) | instskip(SKIP_2) | instid1(VALU_DEP_2)
	v_dual_add_f32 v147, 1.0, v147 :: v_dual_add_f32 v148, 1.0, v133
	v_sub_f32_e32 v23, v17, v23
	v_cmp_eq_f32_e32 vcc_lo, 0x7f800000, v17
	v_add_f32_e32 v23, v23, v147
	s_delay_alu instid0(VALU_DEP_4) | instskip(NEXT) | instid1(VALU_DEP_2)
	v_add_f32_e32 v147, -1.0, v148
	v_ldexp_f32 v23, v23, v144
	s_delay_alu instid0(VALU_DEP_2) | instskip(NEXT) | instid1(VALU_DEP_1)
	v_dual_add_f32 v144, -1.0, v133 :: v_dual_sub_f32 v147, v133, v147
	v_add_f32_e32 v149, 1.0, v144
	s_delay_alu instid0(VALU_DEP_2) | instskip(NEXT) | instid1(VALU_DEP_2)
	v_add_f32_e32 v147, v23, v147
	v_sub_f32_e32 v133, v133, v149
	s_delay_alu instid0(VALU_DEP_2) | instskip(NEXT) | instid1(VALU_DEP_2)
	v_add_f32_e32 v149, v148, v147
	v_add_f32_e32 v23, v23, v133
	s_delay_alu instid0(VALU_DEP_2) | instskip(SKIP_1) | instid1(VALU_DEP_1)
	v_rcp_f32_e32 v133, v149
	v_sub_f32_e32 v148, v148, v149
	v_dual_add_f32 v150, v144, v23 :: v_dual_add_f32 v147, v147, v148
	s_waitcnt_depctr 0xfff
	v_dual_sub_f32 v144, v144, v150 :: v_dual_mul_f32 v151, v150, v133
	s_delay_alu instid0(VALU_DEP_1) | instskip(NEXT) | instid1(VALU_DEP_1)
	v_dual_add_f32 v23, v23, v144 :: v_dual_mul_f32 v160, v149, v151
	v_fma_f32 v148, v151, v149, -v160
	s_delay_alu instid0(VALU_DEP_1) | instskip(NEXT) | instid1(VALU_DEP_1)
	v_fmac_f32_e32 v148, v151, v147
	v_add_f32_e32 v161, v160, v148
	s_delay_alu instid0(VALU_DEP_1) | instskip(SKIP_1) | instid1(VALU_DEP_2)
	v_sub_f32_e32 v162, v150, v161
	v_sub_f32_e32 v144, v161, v160
	;; [unrolled: 1-line block ×3, first 2 shown]
	s_delay_alu instid0(VALU_DEP_2) | instskip(NEXT) | instid1(VALU_DEP_2)
	v_sub_f32_e32 v144, v144, v148
	v_sub_f32_e32 v150, v150, v161
	s_delay_alu instid0(VALU_DEP_1) | instskip(NEXT) | instid1(VALU_DEP_1)
	v_add_f32_e32 v23, v23, v150
	v_add_f32_e32 v23, v144, v23
	s_delay_alu instid0(VALU_DEP_1) | instskip(NEXT) | instid1(VALU_DEP_1)
	v_add_f32_e32 v144, v162, v23
	v_mul_f32_e32 v148, v133, v144
	s_delay_alu instid0(VALU_DEP_1) | instskip(NEXT) | instid1(VALU_DEP_1)
	v_mul_f32_e32 v150, v149, v148
	v_fma_f32 v149, v148, v149, -v150
	s_delay_alu instid0(VALU_DEP_1) | instskip(NEXT) | instid1(VALU_DEP_1)
	v_fmac_f32_e32 v149, v148, v147
	v_add_f32_e32 v147, v150, v149
	s_delay_alu instid0(VALU_DEP_1) | instskip(SKIP_1) | instid1(VALU_DEP_2)
	v_dual_sub_f32 v161, v162, v144 :: v_dual_sub_f32 v160, v144, v147
	v_sub_f32_e32 v150, v147, v150
	v_sub_f32_e32 v144, v144, v160
	s_delay_alu instid0(VALU_DEP_1) | instskip(NEXT) | instid1(VALU_DEP_1)
	v_dual_sub_f32 v144, v144, v147 :: v_dual_add_f32 v23, v23, v161
	v_add_f32_e32 v23, v23, v144
	s_delay_alu instid0(VALU_DEP_4) | instskip(NEXT) | instid1(VALU_DEP_1)
	v_dual_add_f32 v144, v151, v148 :: v_dual_sub_f32 v147, v150, v149
	v_add_f32_e32 v23, v147, v23
	s_delay_alu instid0(VALU_DEP_2) | instskip(NEXT) | instid1(VALU_DEP_2)
	v_sub_f32_e32 v147, v144, v151
	v_add_f32_e32 v23, v160, v23
	s_delay_alu instid0(VALU_DEP_2) | instskip(NEXT) | instid1(VALU_DEP_2)
	v_sub_f32_e32 v147, v148, v147
	v_mul_f32_e32 v23, v133, v23
	s_delay_alu instid0(VALU_DEP_1) | instskip(NEXT) | instid1(VALU_DEP_1)
	v_add_f32_e32 v23, v147, v23
	v_add_f32_e32 v133, v144, v23
	s_delay_alu instid0(VALU_DEP_1) | instskip(NEXT) | instid1(VALU_DEP_1)
	v_mul_f32_e32 v147, v133, v133
	v_fmaak_f32 v148, s25, v147, 0x3ecc95a3
	v_mul_f32_e32 v149, v133, v147
	v_cmp_gt_f32_e64 s25, 0x33800000, |v17|
	s_delay_alu instid0(VALU_DEP_3) | instskip(SKIP_2) | instid1(VALU_DEP_4)
	v_fmaak_f32 v147, v147, v148, 0x3f2aaada
	v_ldexp_f32 v148, v133, 1
	v_sub_f32_e32 v133, v133, v144
	s_or_b32 vcc_lo, vcc_lo, s25
	s_delay_alu instid0(VALU_DEP_3) | instskip(NEXT) | instid1(VALU_DEP_1)
	v_mul_f32_e32 v147, v149, v147
	v_dual_sub_f32 v23, v23, v133 :: v_dual_add_f32 v144, v148, v147
	s_delay_alu instid0(VALU_DEP_1) | instskip(NEXT) | instid1(VALU_DEP_2)
	v_ldexp_f32 v23, v23, 1
	v_sub_f32_e32 v133, v144, v148
	s_delay_alu instid0(VALU_DEP_1) | instskip(NEXT) | instid1(VALU_DEP_1)
	v_sub_f32_e32 v133, v147, v133
	v_add_f32_e32 v23, v23, v133
	s_delay_alu instid0(VALU_DEP_1) | instskip(NEXT) | instid1(VALU_DEP_1)
	v_add_f32_e32 v147, v144, v23
	v_dual_mul_f32 v149, 0x3f317218, v22 :: v_dual_sub_f32 v144, v147, v144
	s_delay_alu instid0(VALU_DEP_1) | instskip(NEXT) | instid1(VALU_DEP_1)
	v_fma_f32 v148, 0x3f317218, v22, -v149
	v_dual_sub_f32 v23, v23, v144 :: v_dual_fmamk_f32 v22, v22, 0xb102e308, v148
	s_delay_alu instid0(VALU_DEP_1) | instskip(NEXT) | instid1(VALU_DEP_1)
	v_add_f32_e32 v133, v149, v22
	v_add_f32_e32 v148, v133, v147
	v_sub_f32_e32 v149, v133, v149
	s_delay_alu instid0(VALU_DEP_2) | instskip(NEXT) | instid1(VALU_DEP_1)
	v_sub_f32_e32 v150, v148, v133
	v_dual_sub_f32 v22, v22, v149 :: v_dual_sub_f32 v151, v148, v150
	s_delay_alu instid0(VALU_DEP_1) | instskip(NEXT) | instid1(VALU_DEP_2)
	v_dual_sub_f32 v144, v147, v150 :: v_dual_add_f32 v147, v22, v23
	v_sub_f32_e32 v133, v133, v151
	s_delay_alu instid0(VALU_DEP_1) | instskip(NEXT) | instid1(VALU_DEP_1)
	v_dual_add_f32 v133, v144, v133 :: v_dual_sub_f32 v144, v147, v22
	v_add_f32_e32 v133, v147, v133
	s_delay_alu instid0(VALU_DEP_2) | instskip(SKIP_1) | instid1(VALU_DEP_2)
	v_sub_f32_e32 v147, v147, v144
	v_sub_f32_e32 v23, v23, v144
	v_dual_add_f32 v149, v148, v133 :: v_dual_sub_f32 v22, v22, v147
	s_delay_alu instid0(VALU_DEP_1) | instskip(NEXT) | instid1(VALU_DEP_1)
	v_sub_f32_e32 v144, v149, v148
	v_dual_add_f32 v22, v23, v22 :: v_dual_sub_f32 v23, v133, v144
	s_delay_alu instid0(VALU_DEP_1) | instskip(NEXT) | instid1(VALU_DEP_1)
	v_add_f32_e32 v22, v22, v23
	v_add_f32_e32 v22, v149, v22
	s_delay_alu instid0(VALU_DEP_1) | instskip(NEXT) | instid1(VALU_DEP_1)
	v_cndmask_b32_e32 v17, v22, v17, vcc_lo
	v_add_f32_e32 v17, v16, v17
.LBB521_91:
	s_or_b32 exec_lo, exec_lo, s23
	s_delay_alu instid0(VALU_DEP_1) | instskip(SKIP_1) | instid1(VALU_DEP_2)
	v_bfe_u32 v16, v17, 16, 1
	v_cmp_o_f32_e32 vcc_lo, v17, v17
	v_add3_u32 v16, v17, v16, 0x7fff
	s_delay_alu instid0(VALU_DEP_1) | instskip(NEXT) | instid1(VALU_DEP_1)
	v_and_b32_e32 v16, 0xffff0000, v16
	v_cndmask_b32_e32 v17, 0x7fc00000, v16, vcc_lo
	s_delay_alu instid0(VALU_DEP_1) | instskip(NEXT) | instid1(VALU_DEP_1)
	v_dual_max_f32 v16, v17, v17 :: v_dual_lshlrev_b32 v133, 16, v28
	v_max_f32_e32 v144, v133, v133
	v_cmp_u_f32_e32 vcc_lo, v17, v17
	v_cmp_u_f32_e64 s23, v133, v133
	s_delay_alu instid0(VALU_DEP_3) | instskip(SKIP_1) | instid1(VALU_DEP_2)
	v_min_f32_e32 v22, v16, v144
	v_max_f32_e32 v16, v16, v144
	v_cndmask_b32_e32 v22, v22, v17, vcc_lo
	s_delay_alu instid0(VALU_DEP_2) | instskip(NEXT) | instid1(VALU_DEP_2)
	v_cndmask_b32_e32 v16, v16, v17, vcc_lo
	v_cndmask_b32_e64 v22, v22, v133, s23
	s_delay_alu instid0(VALU_DEP_2) | instskip(NEXT) | instid1(VALU_DEP_2)
	v_cndmask_b32_e64 v16, v16, v133, s23
	v_cmp_class_f32_e64 s25, v22, 0x1f8
	s_delay_alu instid0(VALU_DEP_2) | instskip(NEXT) | instid1(VALU_DEP_2)
	v_cmp_neq_f32_e32 vcc_lo, v22, v16
	s_or_b32 s26, vcc_lo, s25
	s_delay_alu instid0(SALU_CYCLE_1)
	s_and_saveexec_b32 s25, s26
	s_cbranch_execz .LBB521_93
; %bb.92:
	v_sub_f32_e32 v17, v22, v16
	s_mov_b32 s26, 0x3e9b6dac
	s_delay_alu instid0(VALU_DEP_1) | instskip(SKIP_1) | instid1(VALU_DEP_2)
	v_mul_f32_e32 v22, 0x3fb8aa3b, v17
	v_cmp_ngt_f32_e32 vcc_lo, 0xc2ce8ed0, v17
	v_fma_f32 v23, 0x3fb8aa3b, v17, -v22
	v_rndne_f32_e32 v147, v22
	s_delay_alu instid0(VALU_DEP_1) | instskip(NEXT) | instid1(VALU_DEP_1)
	v_dual_fmamk_f32 v23, v17, 0x32a5705f, v23 :: v_dual_sub_f32 v22, v22, v147
	v_add_f32_e32 v22, v22, v23
	v_cvt_i32_f32_e32 v23, v147
	s_delay_alu instid0(VALU_DEP_2) | instskip(SKIP_2) | instid1(VALU_DEP_1)
	v_exp_f32_e32 v22, v22
	s_waitcnt_depctr 0xfff
	v_ldexp_f32 v22, v22, v23
	v_cndmask_b32_e32 v22, 0, v22, vcc_lo
	v_cmp_nlt_f32_e32 vcc_lo, 0x42b17218, v17
	s_delay_alu instid0(VALU_DEP_2) | instskip(NEXT) | instid1(VALU_DEP_1)
	v_cndmask_b32_e32 v17, 0x7f800000, v22, vcc_lo
	v_add_f32_e32 v147, 1.0, v17
	s_delay_alu instid0(VALU_DEP_1) | instskip(NEXT) | instid1(VALU_DEP_1)
	v_cvt_f64_f32_e32 v[22:23], v147
	v_frexp_exp_i32_f64_e32 v22, v[22:23]
	v_frexp_mant_f32_e32 v23, v147
	s_delay_alu instid0(VALU_DEP_1) | instskip(SKIP_1) | instid1(VALU_DEP_1)
	v_cmp_gt_f32_e32 vcc_lo, 0x3f2aaaab, v23
	v_add_f32_e32 v23, -1.0, v147
	v_sub_f32_e32 v149, v23, v147
	v_subrev_co_ci_u32_e32 v22, vcc_lo, 0, v22, vcc_lo
	s_delay_alu instid0(VALU_DEP_1) | instskip(SKIP_1) | instid1(VALU_DEP_2)
	v_sub_nc_u32_e32 v148, 0, v22
	v_cvt_f32_i32_e32 v22, v22
	v_ldexp_f32 v147, v147, v148
	s_delay_alu instid0(VALU_DEP_1) | instskip(SKIP_2) | instid1(VALU_DEP_2)
	v_dual_add_f32 v149, 1.0, v149 :: v_dual_add_f32 v150, 1.0, v147
	v_sub_f32_e32 v23, v17, v23
	v_cmp_eq_f32_e32 vcc_lo, 0x7f800000, v17
	v_add_f32_e32 v23, v23, v149
	s_delay_alu instid0(VALU_DEP_1) | instskip(SKIP_1) | instid1(VALU_DEP_1)
	v_ldexp_f32 v23, v23, v148
	v_dual_add_f32 v148, -1.0, v147 :: v_dual_add_f32 v149, -1.0, v150
	v_add_f32_e32 v151, 1.0, v148
	s_delay_alu instid0(VALU_DEP_2) | instskip(NEXT) | instid1(VALU_DEP_2)
	v_sub_f32_e32 v149, v147, v149
	v_sub_f32_e32 v147, v147, v151
	s_delay_alu instid0(VALU_DEP_2) | instskip(NEXT) | instid1(VALU_DEP_2)
	v_add_f32_e32 v149, v23, v149
	v_add_f32_e32 v23, v23, v147
	s_delay_alu instid0(VALU_DEP_1) | instskip(NEXT) | instid1(VALU_DEP_1)
	v_dual_add_f32 v151, v150, v149 :: v_dual_add_f32 v160, v148, v23
	v_rcp_f32_e32 v147, v151
	v_sub_f32_e32 v150, v150, v151
	s_delay_alu instid0(VALU_DEP_1) | instskip(NEXT) | instid1(VALU_DEP_1)
	v_dual_sub_f32 v148, v148, v160 :: v_dual_add_f32 v149, v149, v150
	v_add_f32_e32 v23, v23, v148
	s_waitcnt_depctr 0xfff
	v_mul_f32_e32 v161, v160, v147
	s_delay_alu instid0(VALU_DEP_1) | instskip(NEXT) | instid1(VALU_DEP_1)
	v_mul_f32_e32 v162, v151, v161
	v_fma_f32 v150, v161, v151, -v162
	s_delay_alu instid0(VALU_DEP_1) | instskip(NEXT) | instid1(VALU_DEP_1)
	v_fmac_f32_e32 v150, v161, v149
	v_add_f32_e32 v163, v162, v150
	s_delay_alu instid0(VALU_DEP_1) | instskip(SKIP_1) | instid1(VALU_DEP_2)
	v_sub_f32_e32 v164, v160, v163
	v_sub_f32_e32 v148, v163, v162
	;; [unrolled: 1-line block ×3, first 2 shown]
	s_delay_alu instid0(VALU_DEP_2) | instskip(NEXT) | instid1(VALU_DEP_2)
	v_sub_f32_e32 v148, v148, v150
	v_sub_f32_e32 v160, v160, v163
	s_delay_alu instid0(VALU_DEP_1) | instskip(NEXT) | instid1(VALU_DEP_1)
	v_add_f32_e32 v23, v23, v160
	v_add_f32_e32 v23, v148, v23
	s_delay_alu instid0(VALU_DEP_1) | instskip(NEXT) | instid1(VALU_DEP_1)
	v_add_f32_e32 v148, v164, v23
	v_mul_f32_e32 v150, v147, v148
	s_delay_alu instid0(VALU_DEP_1) | instskip(NEXT) | instid1(VALU_DEP_1)
	v_dual_sub_f32 v163, v164, v148 :: v_dual_mul_f32 v160, v151, v150
	v_add_f32_e32 v23, v23, v163
	s_delay_alu instid0(VALU_DEP_2) | instskip(NEXT) | instid1(VALU_DEP_1)
	v_fma_f32 v151, v150, v151, -v160
	v_fmac_f32_e32 v151, v150, v149
	s_delay_alu instid0(VALU_DEP_1) | instskip(NEXT) | instid1(VALU_DEP_1)
	v_add_f32_e32 v149, v160, v151
	v_sub_f32_e32 v162, v148, v149
	s_delay_alu instid0(VALU_DEP_1) | instskip(NEXT) | instid1(VALU_DEP_1)
	v_sub_f32_e32 v148, v148, v162
	v_sub_f32_e32 v148, v148, v149
	s_delay_alu instid0(VALU_DEP_1) | instskip(SKIP_1) | instid1(VALU_DEP_1)
	v_dual_add_f32 v23, v23, v148 :: v_dual_add_f32 v148, v161, v150
	v_sub_f32_e32 v160, v149, v160
	v_sub_f32_e32 v149, v160, v151
	s_delay_alu instid0(VALU_DEP_1) | instskip(NEXT) | instid1(VALU_DEP_4)
	v_add_f32_e32 v23, v149, v23
	v_sub_f32_e32 v149, v148, v161
	s_delay_alu instid0(VALU_DEP_2) | instskip(NEXT) | instid1(VALU_DEP_2)
	v_add_f32_e32 v23, v162, v23
	v_sub_f32_e32 v149, v150, v149
	s_delay_alu instid0(VALU_DEP_2) | instskip(NEXT) | instid1(VALU_DEP_1)
	v_mul_f32_e32 v23, v147, v23
	v_add_f32_e32 v23, v149, v23
	s_delay_alu instid0(VALU_DEP_1) | instskip(NEXT) | instid1(VALU_DEP_1)
	v_add_f32_e32 v147, v148, v23
	v_mul_f32_e32 v149, v147, v147
	s_delay_alu instid0(VALU_DEP_1) | instskip(SKIP_2) | instid1(VALU_DEP_3)
	v_fmaak_f32 v150, s26, v149, 0x3ecc95a3
	v_mul_f32_e32 v151, v147, v149
	v_cmp_gt_f32_e64 s26, 0x33800000, |v17|
	v_fmaak_f32 v149, v149, v150, 0x3f2aaada
	v_ldexp_f32 v150, v147, 1
	v_sub_f32_e32 v147, v147, v148
	s_delay_alu instid0(VALU_DEP_4) | instskip(NEXT) | instid1(VALU_DEP_3)
	s_or_b32 vcc_lo, vcc_lo, s26
	v_mul_f32_e32 v149, v151, v149
	v_mul_f32_e32 v151, 0x3f317218, v22
	s_delay_alu instid0(VALU_DEP_2) | instskip(NEXT) | instid1(VALU_DEP_1)
	v_dual_sub_f32 v23, v23, v147 :: v_dual_add_f32 v148, v150, v149
	v_ldexp_f32 v23, v23, 1
	s_delay_alu instid0(VALU_DEP_2) | instskip(NEXT) | instid1(VALU_DEP_4)
	v_sub_f32_e32 v147, v148, v150
	v_fma_f32 v150, 0x3f317218, v22, -v151
	s_delay_alu instid0(VALU_DEP_1) | instskip(NEXT) | instid1(VALU_DEP_1)
	v_dual_sub_f32 v147, v149, v147 :: v_dual_fmamk_f32 v22, v22, 0xb102e308, v150
	v_add_f32_e32 v23, v23, v147
	s_delay_alu instid0(VALU_DEP_2) | instskip(NEXT) | instid1(VALU_DEP_2)
	v_add_f32_e32 v147, v151, v22
	v_add_f32_e32 v149, v148, v23
	s_delay_alu instid0(VALU_DEP_2) | instskip(NEXT) | instid1(VALU_DEP_2)
	v_sub_f32_e32 v151, v147, v151
	v_add_f32_e32 v150, v147, v149
	v_sub_f32_e32 v148, v149, v148
	s_delay_alu instid0(VALU_DEP_3) | instskip(NEXT) | instid1(VALU_DEP_2)
	v_sub_f32_e32 v22, v22, v151
	v_dual_sub_f32 v160, v150, v147 :: v_dual_sub_f32 v23, v23, v148
	s_delay_alu instid0(VALU_DEP_1) | instskip(NEXT) | instid1(VALU_DEP_2)
	v_sub_f32_e32 v161, v150, v160
	v_dual_sub_f32 v148, v149, v160 :: v_dual_add_f32 v149, v22, v23
	s_delay_alu instid0(VALU_DEP_2) | instskip(NEXT) | instid1(VALU_DEP_1)
	v_sub_f32_e32 v147, v147, v161
	v_dual_add_f32 v147, v148, v147 :: v_dual_sub_f32 v148, v149, v22
	s_delay_alu instid0(VALU_DEP_1) | instskip(NEXT) | instid1(VALU_DEP_2)
	v_add_f32_e32 v147, v149, v147
	v_sub_f32_e32 v149, v149, v148
	v_sub_f32_e32 v23, v23, v148
	s_delay_alu instid0(VALU_DEP_3) | instskip(NEXT) | instid1(VALU_DEP_3)
	v_add_f32_e32 v151, v150, v147
	v_sub_f32_e32 v22, v22, v149
	s_delay_alu instid0(VALU_DEP_2) | instskip(NEXT) | instid1(VALU_DEP_2)
	v_sub_f32_e32 v148, v151, v150
	v_add_f32_e32 v22, v23, v22
	s_delay_alu instid0(VALU_DEP_2) | instskip(NEXT) | instid1(VALU_DEP_1)
	v_sub_f32_e32 v23, v147, v148
	v_add_f32_e32 v22, v22, v23
	s_delay_alu instid0(VALU_DEP_1) | instskip(NEXT) | instid1(VALU_DEP_1)
	v_add_f32_e32 v22, v151, v22
	v_cndmask_b32_e32 v17, v22, v17, vcc_lo
	s_delay_alu instid0(VALU_DEP_1)
	v_add_f32_e32 v17, v16, v17
.LBB521_93:
	s_or_b32 exec_lo, exec_lo, s25
	s_delay_alu instid0(VALU_DEP_1) | instskip(SKIP_2) | instid1(VALU_DEP_3)
	v_bfe_u32 v16, v17, 16, 1
	v_lshrrev_b32_e32 v22, 5, v21
	v_cmp_o_f32_e32 vcc_lo, v17, v17
	v_add3_u32 v16, v17, v16, 0x7fff
	s_delay_alu instid0(VALU_DEP_3) | instskip(NEXT) | instid1(VALU_DEP_2)
	v_add_lshl_u32 v22, v22, v21, 1
	v_lshrrev_b32_e32 v16, 16, v16
	s_delay_alu instid0(VALU_DEP_1)
	v_cndmask_b32_e32 v147, 0x7fc0, v16, vcc_lo
	v_cmp_gt_u32_e32 vcc_lo, 32, v21
	ds_store_b16 v22, v147
	s_waitcnt lgkmcnt(0)
	s_barrier
	buffer_gl0_inv
	s_and_saveexec_b32 s27, vcc_lo
	s_cbranch_execz .LBB521_121
; %bb.94:
	v_lshrrev_b32_e32 v16, 3, v21
	s_delay_alu instid0(VALU_DEP_1) | instskip(NEXT) | instid1(VALU_DEP_1)
	v_and_b32_e32 v16, 0x7e, v16
	v_lshl_or_b32 v16, v21, 2, v16
	ds_load_u16 v17, v16 offset:2
	ds_load_u16 v22, v16
	s_waitcnt lgkmcnt(1)
	v_lshlrev_b32_e32 v23, 16, v17
	s_waitcnt lgkmcnt(0)
	s_delay_alu instid0(VALU_DEP_1) | instskip(NEXT) | instid1(VALU_DEP_1)
	v_dual_max_f32 v148, v23, v23 :: v_dual_lshlrev_b32 v17, 16, v22
	v_max_f32_e32 v22, v17, v17
	v_cmp_u_f32_e64 s25, v17, v17
	s_delay_alu instid0(VALU_DEP_2) | instskip(SKIP_2) | instid1(VALU_DEP_3)
	v_min_f32_e32 v149, v22, v148
	v_max_f32_e32 v148, v22, v148
	v_cmp_u_f32_e64 s26, v23, v23
	v_cndmask_b32_e64 v149, v149, v17, s25
	s_delay_alu instid0(VALU_DEP_3) | instskip(NEXT) | instid1(VALU_DEP_2)
	v_cndmask_b32_e64 v148, v148, v17, s25
	v_cndmask_b32_e64 v149, v149, v23, s26
	s_delay_alu instid0(VALU_DEP_2) | instskip(SKIP_1) | instid1(VALU_DEP_3)
	v_cndmask_b32_e64 v23, v148, v23, s26
	v_mov_b32_e32 v148, v17
	v_cmp_class_f32_e64 s29, v149, 0x1f8
	s_delay_alu instid0(VALU_DEP_3) | instskip(NEXT) | instid1(VALU_DEP_1)
	v_cmp_neq_f32_e64 s26, v149, v23
	s_or_b32 s26, s26, s29
	s_delay_alu instid0(SALU_CYCLE_1)
	s_and_saveexec_b32 s29, s26
	s_cbranch_execz .LBB521_96
; %bb.95:
	v_sub_f32_e32 v148, v149, v23
	s_delay_alu instid0(VALU_DEP_1) | instskip(SKIP_1) | instid1(VALU_DEP_2)
	v_mul_f32_e32 v149, 0x3fb8aa3b, v148
	v_cmp_ngt_f32_e64 s26, 0xc2ce8ed0, v148
	v_fma_f32 v150, 0x3fb8aa3b, v148, -v149
	v_rndne_f32_e32 v151, v149
	s_delay_alu instid0(VALU_DEP_1) | instskip(NEXT) | instid1(VALU_DEP_1)
	v_dual_fmamk_f32 v150, v148, 0x32a5705f, v150 :: v_dual_sub_f32 v149, v149, v151
	v_add_f32_e32 v149, v149, v150
	v_cvt_i32_f32_e32 v150, v151
	s_delay_alu instid0(VALU_DEP_2) | instskip(SKIP_2) | instid1(VALU_DEP_1)
	v_exp_f32_e32 v149, v149
	s_waitcnt_depctr 0xfff
	v_ldexp_f32 v149, v149, v150
	v_cndmask_b32_e64 v149, 0, v149, s26
	v_cmp_nlt_f32_e64 s26, 0x42b17218, v148
	s_delay_alu instid0(VALU_DEP_1) | instskip(NEXT) | instid1(VALU_DEP_1)
	v_cndmask_b32_e64 v150, 0x7f800000, v149, s26
	v_add_f32_e32 v151, 1.0, v150
	v_cmp_gt_f32_e64 vcc_hi, 0x33800000, |v150|
	s_delay_alu instid0(VALU_DEP_2) | instskip(NEXT) | instid1(VALU_DEP_1)
	v_cvt_f64_f32_e32 v[148:149], v151
	v_frexp_exp_i32_f64_e32 v148, v[148:149]
	v_frexp_mant_f32_e32 v149, v151
	s_delay_alu instid0(VALU_DEP_1) | instskip(SKIP_1) | instid1(VALU_DEP_1)
	v_cmp_gt_f32_e64 s26, 0x3f2aaaab, v149
	v_add_f32_e32 v149, -1.0, v151
	v_sub_f32_e32 v161, v149, v151
	v_sub_f32_e32 v149, v150, v149
	s_delay_alu instid0(VALU_DEP_4) | instskip(SKIP_1) | instid1(VALU_DEP_1)
	v_subrev_co_ci_u32_e64 v148, s26, 0, v148, s26
	s_mov_b32 s26, 0x3e9b6dac
	v_sub_nc_u32_e32 v160, 0, v148
	v_cvt_f32_i32_e32 v148, v148
	s_delay_alu instid0(VALU_DEP_2) | instskip(NEXT) | instid1(VALU_DEP_1)
	v_ldexp_f32 v151, v151, v160
	v_dual_add_f32 v162, 1.0, v151 :: v_dual_add_f32 v161, 1.0, v161
	s_delay_alu instid0(VALU_DEP_1) | instskip(NEXT) | instid1(VALU_DEP_2)
	v_add_f32_e32 v149, v149, v161
	v_add_f32_e32 v161, -1.0, v162
	s_delay_alu instid0(VALU_DEP_2) | instskip(NEXT) | instid1(VALU_DEP_2)
	v_ldexp_f32 v149, v149, v160
	v_dual_add_f32 v160, -1.0, v151 :: v_dual_sub_f32 v161, v151, v161
	s_delay_alu instid0(VALU_DEP_1) | instskip(NEXT) | instid1(VALU_DEP_2)
	v_add_f32_e32 v163, 1.0, v160
	v_add_f32_e32 v161, v149, v161
	s_delay_alu instid0(VALU_DEP_2) | instskip(NEXT) | instid1(VALU_DEP_2)
	v_sub_f32_e32 v151, v151, v163
	v_add_f32_e32 v163, v162, v161
	s_delay_alu instid0(VALU_DEP_2) | instskip(NEXT) | instid1(VALU_DEP_2)
	v_add_f32_e32 v149, v149, v151
	v_rcp_f32_e32 v151, v163
	v_sub_f32_e32 v162, v162, v163
	s_delay_alu instid0(VALU_DEP_1) | instskip(NEXT) | instid1(VALU_DEP_1)
	v_dual_add_f32 v164, v160, v149 :: v_dual_add_f32 v161, v161, v162
	v_sub_f32_e32 v160, v160, v164
	s_waitcnt_depctr 0xfff
	v_mul_f32_e32 v165, v164, v151
	s_delay_alu instid0(VALU_DEP_1) | instskip(NEXT) | instid1(VALU_DEP_1)
	v_dual_add_f32 v149, v149, v160 :: v_dual_mul_f32 v166, v163, v165
	v_fma_f32 v162, v165, v163, -v166
	s_delay_alu instid0(VALU_DEP_1) | instskip(NEXT) | instid1(VALU_DEP_1)
	v_fmac_f32_e32 v162, v165, v161
	v_add_f32_e32 v167, v166, v162
	s_delay_alu instid0(VALU_DEP_1) | instskip(SKIP_1) | instid1(VALU_DEP_2)
	v_sub_f32_e32 v176, v164, v167
	v_sub_f32_e32 v160, v167, v166
	;; [unrolled: 1-line block ×3, first 2 shown]
	s_delay_alu instid0(VALU_DEP_2) | instskip(NEXT) | instid1(VALU_DEP_2)
	v_sub_f32_e32 v160, v160, v162
	v_sub_f32_e32 v164, v164, v167
	s_delay_alu instid0(VALU_DEP_1) | instskip(NEXT) | instid1(VALU_DEP_1)
	v_add_f32_e32 v149, v149, v164
	v_add_f32_e32 v149, v160, v149
	s_delay_alu instid0(VALU_DEP_1) | instskip(NEXT) | instid1(VALU_DEP_1)
	v_add_f32_e32 v160, v176, v149
	v_mul_f32_e32 v162, v151, v160
	s_delay_alu instid0(VALU_DEP_1) | instskip(NEXT) | instid1(VALU_DEP_1)
	v_dual_sub_f32 v167, v176, v160 :: v_dual_mul_f32 v164, v163, v162
	v_add_f32_e32 v149, v149, v167
	s_delay_alu instid0(VALU_DEP_2) | instskip(NEXT) | instid1(VALU_DEP_1)
	v_fma_f32 v163, v162, v163, -v164
	v_fmac_f32_e32 v163, v162, v161
	s_delay_alu instid0(VALU_DEP_1) | instskip(NEXT) | instid1(VALU_DEP_1)
	v_add_f32_e32 v161, v164, v163
	v_sub_f32_e32 v166, v160, v161
	v_sub_f32_e32 v164, v161, v164
	s_delay_alu instid0(VALU_DEP_2) | instskip(NEXT) | instid1(VALU_DEP_1)
	v_sub_f32_e32 v160, v160, v166
	v_sub_f32_e32 v160, v160, v161
	s_delay_alu instid0(VALU_DEP_3) | instskip(NEXT) | instid1(VALU_DEP_2)
	v_sub_f32_e32 v161, v164, v163
	v_add_f32_e32 v149, v149, v160
	v_add_f32_e32 v160, v165, v162
	s_delay_alu instid0(VALU_DEP_2) | instskip(NEXT) | instid1(VALU_DEP_2)
	v_add_f32_e32 v149, v161, v149
	v_sub_f32_e32 v161, v160, v165
	s_delay_alu instid0(VALU_DEP_2) | instskip(NEXT) | instid1(VALU_DEP_2)
	v_add_f32_e32 v149, v166, v149
	v_sub_f32_e32 v161, v162, v161
	s_delay_alu instid0(VALU_DEP_2) | instskip(NEXT) | instid1(VALU_DEP_1)
	v_mul_f32_e32 v149, v151, v149
	v_add_f32_e32 v149, v161, v149
	s_delay_alu instid0(VALU_DEP_1) | instskip(NEXT) | instid1(VALU_DEP_1)
	v_add_f32_e32 v151, v160, v149
	v_mul_f32_e32 v161, v151, v151
	s_delay_alu instid0(VALU_DEP_1) | instskip(SKIP_2) | instid1(VALU_DEP_3)
	v_fmaak_f32 v162, s26, v161, 0x3ecc95a3
	v_mul_f32_e32 v163, v151, v161
	v_cmp_eq_f32_e64 s26, 0x7f800000, v150
	v_fmaak_f32 v161, v161, v162, 0x3f2aaada
	v_ldexp_f32 v162, v151, 1
	v_sub_f32_e32 v151, v151, v160
	s_delay_alu instid0(VALU_DEP_4) | instskip(NEXT) | instid1(VALU_DEP_3)
	s_or_b32 s26, s26, vcc_hi
	v_mul_f32_e32 v161, v163, v161
	v_mul_f32_e32 v163, 0x3f317218, v148
	s_delay_alu instid0(VALU_DEP_2) | instskip(NEXT) | instid1(VALU_DEP_1)
	v_dual_sub_f32 v149, v149, v151 :: v_dual_add_f32 v160, v162, v161
	v_ldexp_f32 v149, v149, 1
	s_delay_alu instid0(VALU_DEP_2) | instskip(NEXT) | instid1(VALU_DEP_4)
	v_sub_f32_e32 v151, v160, v162
	v_fma_f32 v162, 0x3f317218, v148, -v163
	s_delay_alu instid0(VALU_DEP_1) | instskip(NEXT) | instid1(VALU_DEP_1)
	v_dual_sub_f32 v151, v161, v151 :: v_dual_fmamk_f32 v148, v148, 0xb102e308, v162
	v_add_f32_e32 v149, v149, v151
	s_delay_alu instid0(VALU_DEP_2) | instskip(NEXT) | instid1(VALU_DEP_2)
	v_add_f32_e32 v151, v163, v148
	v_add_f32_e32 v161, v160, v149
	s_delay_alu instid0(VALU_DEP_2) | instskip(NEXT) | instid1(VALU_DEP_2)
	v_sub_f32_e32 v163, v151, v163
	v_add_f32_e32 v162, v151, v161
	v_sub_f32_e32 v160, v161, v160
	s_delay_alu instid0(VALU_DEP_3) | instskip(NEXT) | instid1(VALU_DEP_2)
	v_sub_f32_e32 v148, v148, v163
	v_dual_sub_f32 v164, v162, v151 :: v_dual_sub_f32 v149, v149, v160
	s_delay_alu instid0(VALU_DEP_1) | instskip(NEXT) | instid1(VALU_DEP_2)
	v_sub_f32_e32 v165, v162, v164
	v_dual_sub_f32 v160, v161, v164 :: v_dual_add_f32 v161, v148, v149
	s_delay_alu instid0(VALU_DEP_2) | instskip(NEXT) | instid1(VALU_DEP_1)
	v_sub_f32_e32 v151, v151, v165
	v_dual_add_f32 v151, v160, v151 :: v_dual_sub_f32 v160, v161, v148
	s_delay_alu instid0(VALU_DEP_1) | instskip(NEXT) | instid1(VALU_DEP_2)
	v_add_f32_e32 v151, v161, v151
	v_sub_f32_e32 v161, v161, v160
	v_sub_f32_e32 v149, v149, v160
	s_delay_alu instid0(VALU_DEP_2) | instskip(NEXT) | instid1(VALU_DEP_1)
	v_dual_add_f32 v163, v162, v151 :: v_dual_sub_f32 v148, v148, v161
	v_sub_f32_e32 v160, v163, v162
	s_delay_alu instid0(VALU_DEP_2) | instskip(NEXT) | instid1(VALU_DEP_2)
	v_add_f32_e32 v148, v149, v148
	v_sub_f32_e32 v149, v151, v160
	s_delay_alu instid0(VALU_DEP_1) | instskip(NEXT) | instid1(VALU_DEP_1)
	v_add_f32_e32 v148, v148, v149
	v_add_f32_e32 v148, v163, v148
	s_delay_alu instid0(VALU_DEP_1) | instskip(NEXT) | instid1(VALU_DEP_1)
	v_cndmask_b32_e64 v148, v148, v150, s26
	v_add_f32_e32 v148, v23, v148
.LBB521_96:
	s_or_b32 exec_lo, exec_lo, s29
	s_delay_alu instid0(VALU_DEP_1) | instskip(SKIP_2) | instid1(VALU_DEP_2)
	v_bfe_u32 v23, v148, 16, 1
	v_cmp_o_f32_e64 s26, v148, v148
	s_mov_b32 s29, exec_lo
	v_add3_u32 v23, v148, v23, 0x7fff
	s_delay_alu instid0(VALU_DEP_1) | instskip(NEXT) | instid1(VALU_DEP_1)
	v_lshrrev_b32_e32 v23, 16, v23
	v_cndmask_b32_e64 v149, 0x7fc0, v23, s26
	v_mbcnt_lo_u32_b32 v23, -1, 0
	s_delay_alu instid0(VALU_DEP_2) | instskip(NEXT) | instid1(VALU_DEP_2)
	v_and_b32_e32 v150, 0xffff, v149
	v_and_b32_e32 v148, 15, v23
	s_delay_alu instid0(VALU_DEP_2) | instskip(NEXT) | instid1(VALU_DEP_2)
	v_mov_b32_dpp v151, v150 row_shr:1 row_mask:0xf bank_mask:0xf
	v_cmpx_ne_u32_e32 0, v148
	s_cbranch_execz .LBB521_100
; %bb.97:
	v_lshlrev_b32_e32 v149, 16, v150
	s_delay_alu instid0(VALU_DEP_1) | instskip(NEXT) | instid1(VALU_DEP_1)
	v_dual_max_f32 v151, v149, v149 :: v_dual_lshlrev_b32 v150, 16, v151
	v_max_f32_e32 v160, v150, v150
	v_cmp_u_f32_e64 s26, v150, v150
	s_delay_alu instid0(VALU_DEP_2) | instskip(SKIP_1) | instid1(VALU_DEP_2)
	v_min_f32_e32 v161, v160, v151
	v_max_f32_e32 v151, v160, v151
	v_cndmask_b32_e64 v160, v161, v150, s26
	s_delay_alu instid0(VALU_DEP_2) | instskip(SKIP_1) | instid1(VALU_DEP_1)
	v_cndmask_b32_e64 v161, v151, v150, s26
	v_cmp_u_f32_e64 s26, v149, v149
	v_cndmask_b32_e64 v151, v160, v149, s26
	s_delay_alu instid0(VALU_DEP_3) | instskip(NEXT) | instid1(VALU_DEP_2)
	v_cndmask_b32_e64 v149, v161, v149, s26
	v_cmp_class_f32_e64 vcc_hi, v151, 0x1f8
	s_delay_alu instid0(VALU_DEP_2) | instskip(NEXT) | instid1(VALU_DEP_1)
	v_cmp_neq_f32_e64 s26, v151, v149
	s_or_b32 s26, s26, vcc_hi
	s_delay_alu instid0(SALU_CYCLE_1)
	s_and_saveexec_b32 vcc_hi, s26
	s_cbranch_execz .LBB521_99
; %bb.98:
	v_sub_f32_e32 v150, v151, v149
	s_delay_alu instid0(VALU_DEP_1) | instskip(SKIP_1) | instid1(VALU_DEP_2)
	v_mul_f32_e32 v151, 0x3fb8aa3b, v150
	v_cmp_ngt_f32_e64 s26, 0xc2ce8ed0, v150
	v_fma_f32 v160, 0x3fb8aa3b, v150, -v151
	v_rndne_f32_e32 v161, v151
	s_delay_alu instid0(VALU_DEP_1) | instskip(NEXT) | instid1(VALU_DEP_1)
	v_dual_fmamk_f32 v160, v150, 0x32a5705f, v160 :: v_dual_sub_f32 v151, v151, v161
	v_add_f32_e32 v151, v151, v160
	v_cvt_i32_f32_e32 v160, v161
	s_delay_alu instid0(VALU_DEP_2) | instskip(SKIP_2) | instid1(VALU_DEP_1)
	v_exp_f32_e32 v151, v151
	s_waitcnt_depctr 0xfff
	v_ldexp_f32 v151, v151, v160
	v_cndmask_b32_e64 v151, 0, v151, s26
	v_cmp_nlt_f32_e64 s26, 0x42b17218, v150
	s_delay_alu instid0(VALU_DEP_1) | instskip(NEXT) | instid1(VALU_DEP_1)
	v_cndmask_b32_e64 v160, 0x7f800000, v151, s26
	v_add_f32_e32 v161, 1.0, v160
	v_cmp_gt_f32_e64 s30, 0x33800000, |v160|
	s_delay_alu instid0(VALU_DEP_2) | instskip(NEXT) | instid1(VALU_DEP_1)
	v_cvt_f64_f32_e32 v[150:151], v161
	v_frexp_exp_i32_f64_e32 v150, v[150:151]
	v_frexp_mant_f32_e32 v151, v161
	s_delay_alu instid0(VALU_DEP_1) | instskip(SKIP_1) | instid1(VALU_DEP_1)
	v_cmp_gt_f32_e64 s26, 0x3f2aaaab, v151
	v_add_f32_e32 v151, -1.0, v161
	v_sub_f32_e32 v163, v151, v161
	v_sub_f32_e32 v151, v160, v151
	s_delay_alu instid0(VALU_DEP_4) | instskip(SKIP_1) | instid1(VALU_DEP_1)
	v_subrev_co_ci_u32_e64 v150, s26, 0, v150, s26
	s_mov_b32 s26, 0x3e9b6dac
	v_sub_nc_u32_e32 v162, 0, v150
	v_cvt_f32_i32_e32 v150, v150
	s_delay_alu instid0(VALU_DEP_2) | instskip(NEXT) | instid1(VALU_DEP_1)
	v_ldexp_f32 v161, v161, v162
	v_dual_add_f32 v164, 1.0, v161 :: v_dual_add_f32 v163, 1.0, v163
	s_delay_alu instid0(VALU_DEP_1) | instskip(NEXT) | instid1(VALU_DEP_2)
	v_add_f32_e32 v151, v151, v163
	v_add_f32_e32 v163, -1.0, v164
	s_delay_alu instid0(VALU_DEP_2) | instskip(NEXT) | instid1(VALU_DEP_2)
	v_ldexp_f32 v151, v151, v162
	v_dual_add_f32 v162, -1.0, v161 :: v_dual_sub_f32 v163, v161, v163
	s_delay_alu instid0(VALU_DEP_1) | instskip(NEXT) | instid1(VALU_DEP_2)
	v_add_f32_e32 v165, 1.0, v162
	v_add_f32_e32 v163, v151, v163
	s_delay_alu instid0(VALU_DEP_2) | instskip(NEXT) | instid1(VALU_DEP_2)
	v_sub_f32_e32 v161, v161, v165
	v_add_f32_e32 v165, v164, v163
	s_delay_alu instid0(VALU_DEP_2) | instskip(NEXT) | instid1(VALU_DEP_2)
	v_add_f32_e32 v151, v151, v161
	v_rcp_f32_e32 v161, v165
	v_sub_f32_e32 v164, v164, v165
	s_delay_alu instid0(VALU_DEP_1) | instskip(NEXT) | instid1(VALU_DEP_1)
	v_dual_add_f32 v166, v162, v151 :: v_dual_add_f32 v163, v163, v164
	v_sub_f32_e32 v162, v162, v166
	s_waitcnt_depctr 0xfff
	v_mul_f32_e32 v167, v166, v161
	s_delay_alu instid0(VALU_DEP_1) | instskip(NEXT) | instid1(VALU_DEP_1)
	v_dual_add_f32 v151, v151, v162 :: v_dual_mul_f32 v176, v165, v167
	v_fma_f32 v164, v167, v165, -v176
	s_delay_alu instid0(VALU_DEP_1) | instskip(NEXT) | instid1(VALU_DEP_1)
	v_fmac_f32_e32 v164, v167, v163
	v_add_f32_e32 v177, v176, v164
	s_delay_alu instid0(VALU_DEP_1) | instskip(SKIP_1) | instid1(VALU_DEP_2)
	v_sub_f32_e32 v178, v166, v177
	v_sub_f32_e32 v162, v177, v176
	;; [unrolled: 1-line block ×3, first 2 shown]
	s_delay_alu instid0(VALU_DEP_2) | instskip(NEXT) | instid1(VALU_DEP_2)
	v_sub_f32_e32 v162, v162, v164
	v_sub_f32_e32 v166, v166, v177
	s_delay_alu instid0(VALU_DEP_1) | instskip(NEXT) | instid1(VALU_DEP_1)
	v_add_f32_e32 v151, v151, v166
	v_add_f32_e32 v151, v162, v151
	s_delay_alu instid0(VALU_DEP_1) | instskip(NEXT) | instid1(VALU_DEP_1)
	v_add_f32_e32 v162, v178, v151
	v_mul_f32_e32 v164, v161, v162
	s_delay_alu instid0(VALU_DEP_1) | instskip(NEXT) | instid1(VALU_DEP_1)
	v_dual_sub_f32 v177, v178, v162 :: v_dual_mul_f32 v166, v165, v164
	v_add_f32_e32 v151, v151, v177
	s_delay_alu instid0(VALU_DEP_2) | instskip(NEXT) | instid1(VALU_DEP_1)
	v_fma_f32 v165, v164, v165, -v166
	v_fmac_f32_e32 v165, v164, v163
	s_delay_alu instid0(VALU_DEP_1) | instskip(NEXT) | instid1(VALU_DEP_1)
	v_add_f32_e32 v163, v166, v165
	v_sub_f32_e32 v176, v162, v163
	v_sub_f32_e32 v166, v163, v166
	s_delay_alu instid0(VALU_DEP_2) | instskip(NEXT) | instid1(VALU_DEP_1)
	v_sub_f32_e32 v162, v162, v176
	v_sub_f32_e32 v162, v162, v163
	s_delay_alu instid0(VALU_DEP_3) | instskip(NEXT) | instid1(VALU_DEP_2)
	v_sub_f32_e32 v163, v166, v165
	v_add_f32_e32 v151, v151, v162
	v_add_f32_e32 v162, v167, v164
	s_delay_alu instid0(VALU_DEP_2) | instskip(NEXT) | instid1(VALU_DEP_2)
	v_add_f32_e32 v151, v163, v151
	v_sub_f32_e32 v163, v162, v167
	s_delay_alu instid0(VALU_DEP_2) | instskip(NEXT) | instid1(VALU_DEP_2)
	v_add_f32_e32 v151, v176, v151
	v_sub_f32_e32 v163, v164, v163
	s_delay_alu instid0(VALU_DEP_2) | instskip(NEXT) | instid1(VALU_DEP_1)
	v_mul_f32_e32 v151, v161, v151
	v_add_f32_e32 v151, v163, v151
	s_delay_alu instid0(VALU_DEP_1) | instskip(NEXT) | instid1(VALU_DEP_1)
	v_add_f32_e32 v161, v162, v151
	v_mul_f32_e32 v163, v161, v161
	s_delay_alu instid0(VALU_DEP_1) | instskip(SKIP_2) | instid1(VALU_DEP_3)
	v_fmaak_f32 v164, s26, v163, 0x3ecc95a3
	v_mul_f32_e32 v165, v161, v163
	v_cmp_eq_f32_e64 s26, 0x7f800000, v160
	v_fmaak_f32 v163, v163, v164, 0x3f2aaada
	v_ldexp_f32 v164, v161, 1
	v_sub_f32_e32 v161, v161, v162
	s_delay_alu instid0(VALU_DEP_4) | instskip(NEXT) | instid1(VALU_DEP_3)
	s_or_b32 s26, s26, s30
	v_mul_f32_e32 v163, v165, v163
	v_mul_f32_e32 v165, 0x3f317218, v150
	s_delay_alu instid0(VALU_DEP_2) | instskip(NEXT) | instid1(VALU_DEP_1)
	v_dual_sub_f32 v151, v151, v161 :: v_dual_add_f32 v162, v164, v163
	v_ldexp_f32 v151, v151, 1
	s_delay_alu instid0(VALU_DEP_2) | instskip(NEXT) | instid1(VALU_DEP_4)
	v_sub_f32_e32 v161, v162, v164
	v_fma_f32 v164, 0x3f317218, v150, -v165
	s_delay_alu instid0(VALU_DEP_1) | instskip(NEXT) | instid1(VALU_DEP_1)
	v_dual_sub_f32 v161, v163, v161 :: v_dual_fmamk_f32 v150, v150, 0xb102e308, v164
	v_add_f32_e32 v151, v151, v161
	s_delay_alu instid0(VALU_DEP_2) | instskip(NEXT) | instid1(VALU_DEP_2)
	v_add_f32_e32 v161, v165, v150
	v_add_f32_e32 v163, v162, v151
	s_delay_alu instid0(VALU_DEP_2) | instskip(NEXT) | instid1(VALU_DEP_2)
	v_sub_f32_e32 v165, v161, v165
	v_add_f32_e32 v164, v161, v163
	v_sub_f32_e32 v162, v163, v162
	s_delay_alu instid0(VALU_DEP_3) | instskip(NEXT) | instid1(VALU_DEP_2)
	v_sub_f32_e32 v150, v150, v165
	v_dual_sub_f32 v166, v164, v161 :: v_dual_sub_f32 v151, v151, v162
	s_delay_alu instid0(VALU_DEP_1) | instskip(NEXT) | instid1(VALU_DEP_2)
	v_sub_f32_e32 v167, v164, v166
	v_dual_sub_f32 v162, v163, v166 :: v_dual_add_f32 v163, v150, v151
	s_delay_alu instid0(VALU_DEP_2) | instskip(NEXT) | instid1(VALU_DEP_1)
	v_sub_f32_e32 v161, v161, v167
	v_dual_add_f32 v161, v162, v161 :: v_dual_sub_f32 v162, v163, v150
	s_delay_alu instid0(VALU_DEP_1) | instskip(NEXT) | instid1(VALU_DEP_2)
	v_add_f32_e32 v161, v163, v161
	v_sub_f32_e32 v163, v163, v162
	v_sub_f32_e32 v151, v151, v162
	s_delay_alu instid0(VALU_DEP_2) | instskip(NEXT) | instid1(VALU_DEP_1)
	v_dual_add_f32 v165, v164, v161 :: v_dual_sub_f32 v150, v150, v163
	v_sub_f32_e32 v162, v165, v164
	s_delay_alu instid0(VALU_DEP_2) | instskip(NEXT) | instid1(VALU_DEP_2)
	v_add_f32_e32 v150, v151, v150
	v_sub_f32_e32 v151, v161, v162
	s_delay_alu instid0(VALU_DEP_1) | instskip(NEXT) | instid1(VALU_DEP_1)
	v_add_f32_e32 v150, v150, v151
	v_add_f32_e32 v150, v165, v150
	s_delay_alu instid0(VALU_DEP_1) | instskip(NEXT) | instid1(VALU_DEP_1)
	v_cndmask_b32_e64 v150, v150, v160, s26
	v_add_f32_e32 v150, v149, v150
.LBB521_99:
	s_or_b32 exec_lo, exec_lo, vcc_hi
	s_delay_alu instid0(VALU_DEP_1) | instskip(SKIP_1) | instid1(VALU_DEP_2)
	v_bfe_u32 v149, v150, 16, 1
	v_cmp_o_f32_e64 s26, v150, v150
	v_add3_u32 v149, v150, v149, 0x7fff
	s_delay_alu instid0(VALU_DEP_1) | instskip(NEXT) | instid1(VALU_DEP_1)
	v_lshrrev_b32_e32 v149, 16, v149
	v_cndmask_b32_e64 v149, 0x7fc0, v149, s26
	s_delay_alu instid0(VALU_DEP_1)
	v_and_b32_e32 v150, 0xffff, v149
.LBB521_100:
	s_or_b32 exec_lo, exec_lo, s29
	s_delay_alu instid0(VALU_DEP_1)
	v_mov_b32_dpp v151, v150 row_shr:2 row_mask:0xf bank_mask:0xf
	s_mov_b32 s29, exec_lo
	v_cmpx_lt_u32_e32 1, v148
	s_cbranch_execz .LBB521_104
; %bb.101:
	v_lshlrev_b32_e32 v149, 16, v150
	s_delay_alu instid0(VALU_DEP_1) | instskip(NEXT) | instid1(VALU_DEP_1)
	v_dual_max_f32 v151, v149, v149 :: v_dual_lshlrev_b32 v150, 16, v151
	v_max_f32_e32 v160, v150, v150
	v_cmp_u_f32_e64 s26, v150, v150
	s_delay_alu instid0(VALU_DEP_2) | instskip(SKIP_1) | instid1(VALU_DEP_2)
	v_min_f32_e32 v161, v160, v151
	v_max_f32_e32 v151, v160, v151
	v_cndmask_b32_e64 v160, v161, v150, s26
	s_delay_alu instid0(VALU_DEP_2) | instskip(SKIP_1) | instid1(VALU_DEP_1)
	v_cndmask_b32_e64 v161, v151, v150, s26
	v_cmp_u_f32_e64 s26, v149, v149
	v_cndmask_b32_e64 v151, v160, v149, s26
	s_delay_alu instid0(VALU_DEP_3) | instskip(NEXT) | instid1(VALU_DEP_2)
	v_cndmask_b32_e64 v149, v161, v149, s26
	v_cmp_class_f32_e64 vcc_hi, v151, 0x1f8
	s_delay_alu instid0(VALU_DEP_2) | instskip(NEXT) | instid1(VALU_DEP_1)
	v_cmp_neq_f32_e64 s26, v151, v149
	s_or_b32 s26, s26, vcc_hi
	s_delay_alu instid0(SALU_CYCLE_1)
	s_and_saveexec_b32 vcc_hi, s26
	s_cbranch_execz .LBB521_103
; %bb.102:
	v_sub_f32_e32 v150, v151, v149
	s_delay_alu instid0(VALU_DEP_1) | instskip(SKIP_1) | instid1(VALU_DEP_2)
	v_mul_f32_e32 v151, 0x3fb8aa3b, v150
	v_cmp_ngt_f32_e64 s26, 0xc2ce8ed0, v150
	v_fma_f32 v160, 0x3fb8aa3b, v150, -v151
	v_rndne_f32_e32 v161, v151
	s_delay_alu instid0(VALU_DEP_1) | instskip(NEXT) | instid1(VALU_DEP_1)
	v_dual_fmamk_f32 v160, v150, 0x32a5705f, v160 :: v_dual_sub_f32 v151, v151, v161
	v_add_f32_e32 v151, v151, v160
	v_cvt_i32_f32_e32 v160, v161
	s_delay_alu instid0(VALU_DEP_2) | instskip(SKIP_2) | instid1(VALU_DEP_1)
	v_exp_f32_e32 v151, v151
	s_waitcnt_depctr 0xfff
	v_ldexp_f32 v151, v151, v160
	v_cndmask_b32_e64 v151, 0, v151, s26
	v_cmp_nlt_f32_e64 s26, 0x42b17218, v150
	s_delay_alu instid0(VALU_DEP_1) | instskip(NEXT) | instid1(VALU_DEP_1)
	v_cndmask_b32_e64 v160, 0x7f800000, v151, s26
	v_add_f32_e32 v161, 1.0, v160
	v_cmp_gt_f32_e64 s30, 0x33800000, |v160|
	s_delay_alu instid0(VALU_DEP_2) | instskip(NEXT) | instid1(VALU_DEP_1)
	v_cvt_f64_f32_e32 v[150:151], v161
	v_frexp_exp_i32_f64_e32 v150, v[150:151]
	v_frexp_mant_f32_e32 v151, v161
	s_delay_alu instid0(VALU_DEP_1) | instskip(SKIP_1) | instid1(VALU_DEP_1)
	v_cmp_gt_f32_e64 s26, 0x3f2aaaab, v151
	v_add_f32_e32 v151, -1.0, v161
	v_sub_f32_e32 v163, v151, v161
	v_sub_f32_e32 v151, v160, v151
	s_delay_alu instid0(VALU_DEP_4) | instskip(SKIP_1) | instid1(VALU_DEP_1)
	v_subrev_co_ci_u32_e64 v150, s26, 0, v150, s26
	s_mov_b32 s26, 0x3e9b6dac
	v_sub_nc_u32_e32 v162, 0, v150
	v_cvt_f32_i32_e32 v150, v150
	s_delay_alu instid0(VALU_DEP_2) | instskip(NEXT) | instid1(VALU_DEP_1)
	v_ldexp_f32 v161, v161, v162
	v_dual_add_f32 v164, 1.0, v161 :: v_dual_add_f32 v163, 1.0, v163
	s_delay_alu instid0(VALU_DEP_1) | instskip(NEXT) | instid1(VALU_DEP_2)
	v_add_f32_e32 v151, v151, v163
	v_add_f32_e32 v163, -1.0, v164
	s_delay_alu instid0(VALU_DEP_2) | instskip(NEXT) | instid1(VALU_DEP_2)
	v_ldexp_f32 v151, v151, v162
	v_dual_add_f32 v162, -1.0, v161 :: v_dual_sub_f32 v163, v161, v163
	s_delay_alu instid0(VALU_DEP_1) | instskip(NEXT) | instid1(VALU_DEP_2)
	v_add_f32_e32 v165, 1.0, v162
	v_add_f32_e32 v163, v151, v163
	s_delay_alu instid0(VALU_DEP_2) | instskip(NEXT) | instid1(VALU_DEP_2)
	v_sub_f32_e32 v161, v161, v165
	v_add_f32_e32 v165, v164, v163
	s_delay_alu instid0(VALU_DEP_2) | instskip(NEXT) | instid1(VALU_DEP_2)
	v_add_f32_e32 v151, v151, v161
	v_rcp_f32_e32 v161, v165
	v_sub_f32_e32 v164, v164, v165
	s_delay_alu instid0(VALU_DEP_1) | instskip(NEXT) | instid1(VALU_DEP_1)
	v_dual_add_f32 v166, v162, v151 :: v_dual_add_f32 v163, v163, v164
	v_sub_f32_e32 v162, v162, v166
	s_waitcnt_depctr 0xfff
	v_mul_f32_e32 v167, v166, v161
	s_delay_alu instid0(VALU_DEP_1) | instskip(NEXT) | instid1(VALU_DEP_1)
	v_dual_add_f32 v151, v151, v162 :: v_dual_mul_f32 v176, v165, v167
	v_fma_f32 v164, v167, v165, -v176
	s_delay_alu instid0(VALU_DEP_1) | instskip(NEXT) | instid1(VALU_DEP_1)
	v_fmac_f32_e32 v164, v167, v163
	v_add_f32_e32 v177, v176, v164
	s_delay_alu instid0(VALU_DEP_1) | instskip(SKIP_1) | instid1(VALU_DEP_2)
	v_sub_f32_e32 v178, v166, v177
	v_sub_f32_e32 v162, v177, v176
	;; [unrolled: 1-line block ×3, first 2 shown]
	s_delay_alu instid0(VALU_DEP_2) | instskip(NEXT) | instid1(VALU_DEP_2)
	v_sub_f32_e32 v162, v162, v164
	v_sub_f32_e32 v166, v166, v177
	s_delay_alu instid0(VALU_DEP_1) | instskip(NEXT) | instid1(VALU_DEP_1)
	v_add_f32_e32 v151, v151, v166
	v_add_f32_e32 v151, v162, v151
	s_delay_alu instid0(VALU_DEP_1) | instskip(NEXT) | instid1(VALU_DEP_1)
	v_add_f32_e32 v162, v178, v151
	v_mul_f32_e32 v164, v161, v162
	s_delay_alu instid0(VALU_DEP_1) | instskip(NEXT) | instid1(VALU_DEP_1)
	v_dual_sub_f32 v177, v178, v162 :: v_dual_mul_f32 v166, v165, v164
	v_add_f32_e32 v151, v151, v177
	s_delay_alu instid0(VALU_DEP_2) | instskip(NEXT) | instid1(VALU_DEP_1)
	v_fma_f32 v165, v164, v165, -v166
	v_fmac_f32_e32 v165, v164, v163
	s_delay_alu instid0(VALU_DEP_1) | instskip(NEXT) | instid1(VALU_DEP_1)
	v_add_f32_e32 v163, v166, v165
	v_sub_f32_e32 v176, v162, v163
	v_sub_f32_e32 v166, v163, v166
	s_delay_alu instid0(VALU_DEP_2) | instskip(NEXT) | instid1(VALU_DEP_1)
	v_sub_f32_e32 v162, v162, v176
	v_sub_f32_e32 v162, v162, v163
	s_delay_alu instid0(VALU_DEP_3) | instskip(NEXT) | instid1(VALU_DEP_2)
	v_sub_f32_e32 v163, v166, v165
	v_add_f32_e32 v151, v151, v162
	v_add_f32_e32 v162, v167, v164
	s_delay_alu instid0(VALU_DEP_2) | instskip(NEXT) | instid1(VALU_DEP_2)
	v_add_f32_e32 v151, v163, v151
	v_sub_f32_e32 v163, v162, v167
	s_delay_alu instid0(VALU_DEP_2) | instskip(NEXT) | instid1(VALU_DEP_2)
	v_add_f32_e32 v151, v176, v151
	v_sub_f32_e32 v163, v164, v163
	s_delay_alu instid0(VALU_DEP_2) | instskip(NEXT) | instid1(VALU_DEP_1)
	v_mul_f32_e32 v151, v161, v151
	v_add_f32_e32 v151, v163, v151
	s_delay_alu instid0(VALU_DEP_1) | instskip(NEXT) | instid1(VALU_DEP_1)
	v_add_f32_e32 v161, v162, v151
	v_mul_f32_e32 v163, v161, v161
	s_delay_alu instid0(VALU_DEP_1) | instskip(SKIP_2) | instid1(VALU_DEP_3)
	v_fmaak_f32 v164, s26, v163, 0x3ecc95a3
	v_mul_f32_e32 v165, v161, v163
	v_cmp_eq_f32_e64 s26, 0x7f800000, v160
	v_fmaak_f32 v163, v163, v164, 0x3f2aaada
	v_ldexp_f32 v164, v161, 1
	v_sub_f32_e32 v161, v161, v162
	s_delay_alu instid0(VALU_DEP_4) | instskip(NEXT) | instid1(VALU_DEP_3)
	s_or_b32 s26, s26, s30
	v_mul_f32_e32 v163, v165, v163
	v_mul_f32_e32 v165, 0x3f317218, v150
	s_delay_alu instid0(VALU_DEP_2) | instskip(NEXT) | instid1(VALU_DEP_1)
	v_dual_sub_f32 v151, v151, v161 :: v_dual_add_f32 v162, v164, v163
	v_ldexp_f32 v151, v151, 1
	s_delay_alu instid0(VALU_DEP_2) | instskip(NEXT) | instid1(VALU_DEP_4)
	v_sub_f32_e32 v161, v162, v164
	v_fma_f32 v164, 0x3f317218, v150, -v165
	s_delay_alu instid0(VALU_DEP_1) | instskip(NEXT) | instid1(VALU_DEP_1)
	v_dual_sub_f32 v161, v163, v161 :: v_dual_fmamk_f32 v150, v150, 0xb102e308, v164
	v_add_f32_e32 v151, v151, v161
	s_delay_alu instid0(VALU_DEP_2) | instskip(NEXT) | instid1(VALU_DEP_2)
	v_add_f32_e32 v161, v165, v150
	v_add_f32_e32 v163, v162, v151
	s_delay_alu instid0(VALU_DEP_2) | instskip(NEXT) | instid1(VALU_DEP_2)
	v_sub_f32_e32 v165, v161, v165
	v_add_f32_e32 v164, v161, v163
	v_sub_f32_e32 v162, v163, v162
	s_delay_alu instid0(VALU_DEP_3) | instskip(NEXT) | instid1(VALU_DEP_2)
	v_sub_f32_e32 v150, v150, v165
	v_dual_sub_f32 v166, v164, v161 :: v_dual_sub_f32 v151, v151, v162
	s_delay_alu instid0(VALU_DEP_1) | instskip(NEXT) | instid1(VALU_DEP_2)
	v_sub_f32_e32 v167, v164, v166
	v_dual_sub_f32 v162, v163, v166 :: v_dual_add_f32 v163, v150, v151
	s_delay_alu instid0(VALU_DEP_2) | instskip(NEXT) | instid1(VALU_DEP_1)
	v_sub_f32_e32 v161, v161, v167
	v_dual_add_f32 v161, v162, v161 :: v_dual_sub_f32 v162, v163, v150
	s_delay_alu instid0(VALU_DEP_1) | instskip(NEXT) | instid1(VALU_DEP_2)
	v_add_f32_e32 v161, v163, v161
	v_sub_f32_e32 v163, v163, v162
	v_sub_f32_e32 v151, v151, v162
	s_delay_alu instid0(VALU_DEP_2) | instskip(NEXT) | instid1(VALU_DEP_1)
	v_dual_add_f32 v165, v164, v161 :: v_dual_sub_f32 v150, v150, v163
	v_sub_f32_e32 v162, v165, v164
	s_delay_alu instid0(VALU_DEP_2) | instskip(NEXT) | instid1(VALU_DEP_2)
	v_add_f32_e32 v150, v151, v150
	v_sub_f32_e32 v151, v161, v162
	s_delay_alu instid0(VALU_DEP_1) | instskip(NEXT) | instid1(VALU_DEP_1)
	v_add_f32_e32 v150, v150, v151
	v_add_f32_e32 v150, v165, v150
	s_delay_alu instid0(VALU_DEP_1) | instskip(NEXT) | instid1(VALU_DEP_1)
	v_cndmask_b32_e64 v150, v150, v160, s26
	v_add_f32_e32 v150, v149, v150
.LBB521_103:
	s_or_b32 exec_lo, exec_lo, vcc_hi
	s_delay_alu instid0(VALU_DEP_1) | instskip(SKIP_1) | instid1(VALU_DEP_2)
	v_bfe_u32 v149, v150, 16, 1
	v_cmp_o_f32_e64 s26, v150, v150
	v_add3_u32 v149, v150, v149, 0x7fff
	s_delay_alu instid0(VALU_DEP_1) | instskip(NEXT) | instid1(VALU_DEP_1)
	v_lshrrev_b32_e32 v149, 16, v149
	v_cndmask_b32_e64 v149, 0x7fc0, v149, s26
	s_delay_alu instid0(VALU_DEP_1)
	v_and_b32_e32 v150, 0xffff, v149
.LBB521_104:
	s_or_b32 exec_lo, exec_lo, s29
	s_delay_alu instid0(VALU_DEP_1)
	v_mov_b32_dpp v151, v150 row_shr:4 row_mask:0xf bank_mask:0xf
	s_mov_b32 s29, exec_lo
	v_cmpx_lt_u32_e32 3, v148
	s_cbranch_execz .LBB521_108
; %bb.105:
	v_lshlrev_b32_e32 v149, 16, v150
	s_delay_alu instid0(VALU_DEP_1) | instskip(NEXT) | instid1(VALU_DEP_1)
	v_dual_max_f32 v151, v149, v149 :: v_dual_lshlrev_b32 v150, 16, v151
	v_max_f32_e32 v160, v150, v150
	v_cmp_u_f32_e64 s26, v150, v150
	s_delay_alu instid0(VALU_DEP_2) | instskip(SKIP_1) | instid1(VALU_DEP_2)
	v_min_f32_e32 v161, v160, v151
	v_max_f32_e32 v151, v160, v151
	v_cndmask_b32_e64 v160, v161, v150, s26
	s_delay_alu instid0(VALU_DEP_2) | instskip(SKIP_1) | instid1(VALU_DEP_1)
	v_cndmask_b32_e64 v161, v151, v150, s26
	v_cmp_u_f32_e64 s26, v149, v149
	v_cndmask_b32_e64 v151, v160, v149, s26
	s_delay_alu instid0(VALU_DEP_3) | instskip(NEXT) | instid1(VALU_DEP_2)
	v_cndmask_b32_e64 v149, v161, v149, s26
	v_cmp_class_f32_e64 vcc_hi, v151, 0x1f8
	s_delay_alu instid0(VALU_DEP_2) | instskip(NEXT) | instid1(VALU_DEP_1)
	v_cmp_neq_f32_e64 s26, v151, v149
	s_or_b32 s26, s26, vcc_hi
	s_delay_alu instid0(SALU_CYCLE_1)
	s_and_saveexec_b32 vcc_hi, s26
	s_cbranch_execz .LBB521_107
; %bb.106:
	v_sub_f32_e32 v150, v151, v149
	s_delay_alu instid0(VALU_DEP_1) | instskip(SKIP_1) | instid1(VALU_DEP_2)
	v_mul_f32_e32 v151, 0x3fb8aa3b, v150
	v_cmp_ngt_f32_e64 s26, 0xc2ce8ed0, v150
	v_fma_f32 v160, 0x3fb8aa3b, v150, -v151
	v_rndne_f32_e32 v161, v151
	s_delay_alu instid0(VALU_DEP_1) | instskip(NEXT) | instid1(VALU_DEP_1)
	v_dual_fmamk_f32 v160, v150, 0x32a5705f, v160 :: v_dual_sub_f32 v151, v151, v161
	v_add_f32_e32 v151, v151, v160
	v_cvt_i32_f32_e32 v160, v161
	s_delay_alu instid0(VALU_DEP_2) | instskip(SKIP_2) | instid1(VALU_DEP_1)
	v_exp_f32_e32 v151, v151
	s_waitcnt_depctr 0xfff
	v_ldexp_f32 v151, v151, v160
	v_cndmask_b32_e64 v151, 0, v151, s26
	v_cmp_nlt_f32_e64 s26, 0x42b17218, v150
	s_delay_alu instid0(VALU_DEP_1) | instskip(NEXT) | instid1(VALU_DEP_1)
	v_cndmask_b32_e64 v160, 0x7f800000, v151, s26
	v_add_f32_e32 v161, 1.0, v160
	v_cmp_gt_f32_e64 s30, 0x33800000, |v160|
	s_delay_alu instid0(VALU_DEP_2) | instskip(NEXT) | instid1(VALU_DEP_1)
	v_cvt_f64_f32_e32 v[150:151], v161
	v_frexp_exp_i32_f64_e32 v150, v[150:151]
	v_frexp_mant_f32_e32 v151, v161
	s_delay_alu instid0(VALU_DEP_1) | instskip(SKIP_1) | instid1(VALU_DEP_1)
	v_cmp_gt_f32_e64 s26, 0x3f2aaaab, v151
	v_add_f32_e32 v151, -1.0, v161
	v_sub_f32_e32 v163, v151, v161
	v_sub_f32_e32 v151, v160, v151
	s_delay_alu instid0(VALU_DEP_4) | instskip(SKIP_1) | instid1(VALU_DEP_1)
	v_subrev_co_ci_u32_e64 v150, s26, 0, v150, s26
	s_mov_b32 s26, 0x3e9b6dac
	v_sub_nc_u32_e32 v162, 0, v150
	v_cvt_f32_i32_e32 v150, v150
	s_delay_alu instid0(VALU_DEP_2) | instskip(NEXT) | instid1(VALU_DEP_1)
	v_ldexp_f32 v161, v161, v162
	v_dual_add_f32 v164, 1.0, v161 :: v_dual_add_f32 v163, 1.0, v163
	s_delay_alu instid0(VALU_DEP_1) | instskip(NEXT) | instid1(VALU_DEP_2)
	v_add_f32_e32 v151, v151, v163
	v_add_f32_e32 v163, -1.0, v164
	s_delay_alu instid0(VALU_DEP_2) | instskip(NEXT) | instid1(VALU_DEP_2)
	v_ldexp_f32 v151, v151, v162
	v_dual_add_f32 v162, -1.0, v161 :: v_dual_sub_f32 v163, v161, v163
	s_delay_alu instid0(VALU_DEP_1) | instskip(NEXT) | instid1(VALU_DEP_2)
	v_add_f32_e32 v165, 1.0, v162
	v_add_f32_e32 v163, v151, v163
	s_delay_alu instid0(VALU_DEP_2) | instskip(NEXT) | instid1(VALU_DEP_2)
	v_sub_f32_e32 v161, v161, v165
	v_add_f32_e32 v165, v164, v163
	s_delay_alu instid0(VALU_DEP_2) | instskip(NEXT) | instid1(VALU_DEP_2)
	v_add_f32_e32 v151, v151, v161
	v_rcp_f32_e32 v161, v165
	v_sub_f32_e32 v164, v164, v165
	s_delay_alu instid0(VALU_DEP_1) | instskip(NEXT) | instid1(VALU_DEP_1)
	v_dual_add_f32 v166, v162, v151 :: v_dual_add_f32 v163, v163, v164
	v_sub_f32_e32 v162, v162, v166
	s_waitcnt_depctr 0xfff
	v_mul_f32_e32 v167, v166, v161
	s_delay_alu instid0(VALU_DEP_1) | instskip(NEXT) | instid1(VALU_DEP_1)
	v_dual_add_f32 v151, v151, v162 :: v_dual_mul_f32 v176, v165, v167
	v_fma_f32 v164, v167, v165, -v176
	s_delay_alu instid0(VALU_DEP_1) | instskip(NEXT) | instid1(VALU_DEP_1)
	v_fmac_f32_e32 v164, v167, v163
	v_add_f32_e32 v177, v176, v164
	s_delay_alu instid0(VALU_DEP_1) | instskip(SKIP_1) | instid1(VALU_DEP_2)
	v_sub_f32_e32 v178, v166, v177
	v_sub_f32_e32 v162, v177, v176
	;; [unrolled: 1-line block ×3, first 2 shown]
	s_delay_alu instid0(VALU_DEP_2) | instskip(NEXT) | instid1(VALU_DEP_2)
	v_sub_f32_e32 v162, v162, v164
	v_sub_f32_e32 v166, v166, v177
	s_delay_alu instid0(VALU_DEP_1) | instskip(NEXT) | instid1(VALU_DEP_1)
	v_add_f32_e32 v151, v151, v166
	v_add_f32_e32 v151, v162, v151
	s_delay_alu instid0(VALU_DEP_1) | instskip(NEXT) | instid1(VALU_DEP_1)
	v_add_f32_e32 v162, v178, v151
	v_mul_f32_e32 v164, v161, v162
	s_delay_alu instid0(VALU_DEP_1) | instskip(NEXT) | instid1(VALU_DEP_1)
	v_dual_sub_f32 v177, v178, v162 :: v_dual_mul_f32 v166, v165, v164
	v_add_f32_e32 v151, v151, v177
	s_delay_alu instid0(VALU_DEP_2) | instskip(NEXT) | instid1(VALU_DEP_1)
	v_fma_f32 v165, v164, v165, -v166
	v_fmac_f32_e32 v165, v164, v163
	s_delay_alu instid0(VALU_DEP_1) | instskip(NEXT) | instid1(VALU_DEP_1)
	v_add_f32_e32 v163, v166, v165
	v_sub_f32_e32 v176, v162, v163
	v_sub_f32_e32 v166, v163, v166
	s_delay_alu instid0(VALU_DEP_2) | instskip(NEXT) | instid1(VALU_DEP_1)
	v_sub_f32_e32 v162, v162, v176
	v_sub_f32_e32 v162, v162, v163
	s_delay_alu instid0(VALU_DEP_3) | instskip(NEXT) | instid1(VALU_DEP_2)
	v_sub_f32_e32 v163, v166, v165
	v_add_f32_e32 v151, v151, v162
	v_add_f32_e32 v162, v167, v164
	s_delay_alu instid0(VALU_DEP_2) | instskip(NEXT) | instid1(VALU_DEP_2)
	v_add_f32_e32 v151, v163, v151
	v_sub_f32_e32 v163, v162, v167
	s_delay_alu instid0(VALU_DEP_2) | instskip(NEXT) | instid1(VALU_DEP_2)
	v_add_f32_e32 v151, v176, v151
	v_sub_f32_e32 v163, v164, v163
	s_delay_alu instid0(VALU_DEP_2) | instskip(NEXT) | instid1(VALU_DEP_1)
	v_mul_f32_e32 v151, v161, v151
	v_add_f32_e32 v151, v163, v151
	s_delay_alu instid0(VALU_DEP_1) | instskip(NEXT) | instid1(VALU_DEP_1)
	v_add_f32_e32 v161, v162, v151
	v_mul_f32_e32 v163, v161, v161
	s_delay_alu instid0(VALU_DEP_1) | instskip(SKIP_2) | instid1(VALU_DEP_3)
	v_fmaak_f32 v164, s26, v163, 0x3ecc95a3
	v_mul_f32_e32 v165, v161, v163
	v_cmp_eq_f32_e64 s26, 0x7f800000, v160
	v_fmaak_f32 v163, v163, v164, 0x3f2aaada
	v_ldexp_f32 v164, v161, 1
	v_sub_f32_e32 v161, v161, v162
	s_delay_alu instid0(VALU_DEP_4) | instskip(NEXT) | instid1(VALU_DEP_3)
	s_or_b32 s26, s26, s30
	v_mul_f32_e32 v163, v165, v163
	v_mul_f32_e32 v165, 0x3f317218, v150
	s_delay_alu instid0(VALU_DEP_2) | instskip(NEXT) | instid1(VALU_DEP_1)
	v_dual_sub_f32 v151, v151, v161 :: v_dual_add_f32 v162, v164, v163
	v_ldexp_f32 v151, v151, 1
	s_delay_alu instid0(VALU_DEP_2) | instskip(NEXT) | instid1(VALU_DEP_4)
	v_sub_f32_e32 v161, v162, v164
	v_fma_f32 v164, 0x3f317218, v150, -v165
	s_delay_alu instid0(VALU_DEP_1) | instskip(NEXT) | instid1(VALU_DEP_1)
	v_dual_sub_f32 v161, v163, v161 :: v_dual_fmamk_f32 v150, v150, 0xb102e308, v164
	v_add_f32_e32 v151, v151, v161
	s_delay_alu instid0(VALU_DEP_2) | instskip(NEXT) | instid1(VALU_DEP_2)
	v_add_f32_e32 v161, v165, v150
	v_add_f32_e32 v163, v162, v151
	s_delay_alu instid0(VALU_DEP_2) | instskip(NEXT) | instid1(VALU_DEP_2)
	v_sub_f32_e32 v165, v161, v165
	v_add_f32_e32 v164, v161, v163
	v_sub_f32_e32 v162, v163, v162
	s_delay_alu instid0(VALU_DEP_3) | instskip(NEXT) | instid1(VALU_DEP_2)
	v_sub_f32_e32 v150, v150, v165
	v_dual_sub_f32 v166, v164, v161 :: v_dual_sub_f32 v151, v151, v162
	s_delay_alu instid0(VALU_DEP_1) | instskip(NEXT) | instid1(VALU_DEP_2)
	v_sub_f32_e32 v167, v164, v166
	v_dual_sub_f32 v162, v163, v166 :: v_dual_add_f32 v163, v150, v151
	s_delay_alu instid0(VALU_DEP_2) | instskip(NEXT) | instid1(VALU_DEP_1)
	v_sub_f32_e32 v161, v161, v167
	v_dual_add_f32 v161, v162, v161 :: v_dual_sub_f32 v162, v163, v150
	s_delay_alu instid0(VALU_DEP_1) | instskip(NEXT) | instid1(VALU_DEP_2)
	v_add_f32_e32 v161, v163, v161
	v_sub_f32_e32 v163, v163, v162
	v_sub_f32_e32 v151, v151, v162
	s_delay_alu instid0(VALU_DEP_2) | instskip(NEXT) | instid1(VALU_DEP_1)
	v_dual_add_f32 v165, v164, v161 :: v_dual_sub_f32 v150, v150, v163
	v_sub_f32_e32 v162, v165, v164
	s_delay_alu instid0(VALU_DEP_2) | instskip(NEXT) | instid1(VALU_DEP_2)
	v_add_f32_e32 v150, v151, v150
	v_sub_f32_e32 v151, v161, v162
	s_delay_alu instid0(VALU_DEP_1) | instskip(NEXT) | instid1(VALU_DEP_1)
	v_add_f32_e32 v150, v150, v151
	v_add_f32_e32 v150, v165, v150
	s_delay_alu instid0(VALU_DEP_1) | instskip(NEXT) | instid1(VALU_DEP_1)
	v_cndmask_b32_e64 v150, v150, v160, s26
	v_add_f32_e32 v150, v149, v150
.LBB521_107:
	s_or_b32 exec_lo, exec_lo, vcc_hi
	s_delay_alu instid0(VALU_DEP_1) | instskip(SKIP_1) | instid1(VALU_DEP_2)
	v_bfe_u32 v149, v150, 16, 1
	v_cmp_o_f32_e64 s26, v150, v150
	v_add3_u32 v149, v150, v149, 0x7fff
	s_delay_alu instid0(VALU_DEP_1) | instskip(NEXT) | instid1(VALU_DEP_1)
	v_lshrrev_b32_e32 v149, 16, v149
	v_cndmask_b32_e64 v149, 0x7fc0, v149, s26
	s_delay_alu instid0(VALU_DEP_1)
	v_and_b32_e32 v150, 0xffff, v149
.LBB521_108:
	s_or_b32 exec_lo, exec_lo, s29
	s_delay_alu instid0(VALU_DEP_1)
	v_mov_b32_dpp v151, v150 row_shr:8 row_mask:0xf bank_mask:0xf
	s_mov_b32 s29, exec_lo
	v_cmpx_lt_u32_e32 7, v148
	s_cbranch_execz .LBB521_112
; %bb.109:
	s_delay_alu instid0(VALU_DEP_2) | instskip(NEXT) | instid1(VALU_DEP_1)
	v_lshlrev_b32_e32 v149, 16, v151
	v_dual_max_f32 v151, v149, v149 :: v_dual_lshlrev_b32 v148, 16, v150
	s_delay_alu instid0(VALU_DEP_1) | instskip(SKIP_1) | instid1(VALU_DEP_2)
	v_max_f32_e32 v150, v148, v148
	v_cmp_u_f32_e64 s26, v149, v149
	v_min_f32_e32 v160, v151, v150
	v_max_f32_e32 v150, v151, v150
	s_delay_alu instid0(VALU_DEP_2) | instskip(NEXT) | instid1(VALU_DEP_2)
	v_cndmask_b32_e64 v151, v160, v149, s26
	v_cndmask_b32_e64 v160, v150, v149, s26
	v_cmp_u_f32_e64 s26, v148, v148
	s_delay_alu instid0(VALU_DEP_1) | instskip(NEXT) | instid1(VALU_DEP_3)
	v_cndmask_b32_e64 v150, v151, v148, s26
	v_cndmask_b32_e64 v148, v160, v148, s26
	s_delay_alu instid0(VALU_DEP_2) | instskip(NEXT) | instid1(VALU_DEP_2)
	v_cmp_class_f32_e64 vcc_hi, v150, 0x1f8
	v_cmp_neq_f32_e64 s26, v150, v148
	s_delay_alu instid0(VALU_DEP_1) | instskip(NEXT) | instid1(SALU_CYCLE_1)
	s_or_b32 s26, s26, vcc_hi
	s_and_saveexec_b32 vcc_hi, s26
	s_cbranch_execz .LBB521_111
; %bb.110:
	v_sub_f32_e32 v149, v150, v148
	s_delay_alu instid0(VALU_DEP_1) | instskip(SKIP_1) | instid1(VALU_DEP_2)
	v_mul_f32_e32 v150, 0x3fb8aa3b, v149
	v_cmp_ngt_f32_e64 s26, 0xc2ce8ed0, v149
	v_fma_f32 v151, 0x3fb8aa3b, v149, -v150
	v_rndne_f32_e32 v160, v150
	s_delay_alu instid0(VALU_DEP_1) | instskip(NEXT) | instid1(VALU_DEP_1)
	v_dual_fmamk_f32 v151, v149, 0x32a5705f, v151 :: v_dual_sub_f32 v150, v150, v160
	v_add_f32_e32 v150, v150, v151
	v_cvt_i32_f32_e32 v151, v160
	s_delay_alu instid0(VALU_DEP_2) | instskip(SKIP_2) | instid1(VALU_DEP_1)
	v_exp_f32_e32 v150, v150
	s_waitcnt_depctr 0xfff
	v_ldexp_f32 v150, v150, v151
	v_cndmask_b32_e64 v150, 0, v150, s26
	v_cmp_nlt_f32_e64 s26, 0x42b17218, v149
	s_delay_alu instid0(VALU_DEP_1) | instskip(NEXT) | instid1(VALU_DEP_1)
	v_cndmask_b32_e64 v151, 0x7f800000, v150, s26
	v_add_f32_e32 v160, 1.0, v151
	v_cmp_gt_f32_e64 s30, 0x33800000, |v151|
	s_delay_alu instid0(VALU_DEP_2) | instskip(NEXT) | instid1(VALU_DEP_1)
	v_cvt_f64_f32_e32 v[149:150], v160
	v_frexp_exp_i32_f64_e32 v149, v[149:150]
	v_frexp_mant_f32_e32 v150, v160
	s_delay_alu instid0(VALU_DEP_1) | instskip(SKIP_1) | instid1(VALU_DEP_1)
	v_cmp_gt_f32_e64 s26, 0x3f2aaaab, v150
	v_add_f32_e32 v150, -1.0, v160
	v_sub_f32_e32 v162, v150, v160
	v_sub_f32_e32 v150, v151, v150
	s_delay_alu instid0(VALU_DEP_4) | instskip(SKIP_1) | instid1(VALU_DEP_1)
	v_subrev_co_ci_u32_e64 v149, s26, 0, v149, s26
	s_mov_b32 s26, 0x3e9b6dac
	v_sub_nc_u32_e32 v161, 0, v149
	v_cvt_f32_i32_e32 v149, v149
	s_delay_alu instid0(VALU_DEP_2) | instskip(NEXT) | instid1(VALU_DEP_1)
	v_ldexp_f32 v160, v160, v161
	v_dual_add_f32 v163, 1.0, v160 :: v_dual_add_f32 v162, 1.0, v162
	s_delay_alu instid0(VALU_DEP_1) | instskip(NEXT) | instid1(VALU_DEP_2)
	v_add_f32_e32 v150, v150, v162
	v_add_f32_e32 v162, -1.0, v163
	s_delay_alu instid0(VALU_DEP_2) | instskip(NEXT) | instid1(VALU_DEP_2)
	v_ldexp_f32 v150, v150, v161
	v_dual_add_f32 v161, -1.0, v160 :: v_dual_sub_f32 v162, v160, v162
	s_delay_alu instid0(VALU_DEP_1) | instskip(NEXT) | instid1(VALU_DEP_2)
	v_add_f32_e32 v164, 1.0, v161
	v_add_f32_e32 v162, v150, v162
	s_delay_alu instid0(VALU_DEP_2) | instskip(NEXT) | instid1(VALU_DEP_2)
	v_sub_f32_e32 v160, v160, v164
	v_add_f32_e32 v164, v163, v162
	s_delay_alu instid0(VALU_DEP_2) | instskip(NEXT) | instid1(VALU_DEP_2)
	v_add_f32_e32 v150, v150, v160
	v_rcp_f32_e32 v160, v164
	v_sub_f32_e32 v163, v163, v164
	s_delay_alu instid0(VALU_DEP_1) | instskip(NEXT) | instid1(VALU_DEP_1)
	v_dual_add_f32 v165, v161, v150 :: v_dual_add_f32 v162, v162, v163
	v_sub_f32_e32 v161, v161, v165
	s_waitcnt_depctr 0xfff
	v_mul_f32_e32 v166, v165, v160
	s_delay_alu instid0(VALU_DEP_1) | instskip(NEXT) | instid1(VALU_DEP_1)
	v_dual_add_f32 v150, v150, v161 :: v_dual_mul_f32 v167, v164, v166
	v_fma_f32 v163, v166, v164, -v167
	s_delay_alu instid0(VALU_DEP_1) | instskip(NEXT) | instid1(VALU_DEP_1)
	v_fmac_f32_e32 v163, v166, v162
	v_add_f32_e32 v176, v167, v163
	s_delay_alu instid0(VALU_DEP_1) | instskip(SKIP_1) | instid1(VALU_DEP_2)
	v_sub_f32_e32 v177, v165, v176
	v_sub_f32_e32 v161, v176, v167
	;; [unrolled: 1-line block ×3, first 2 shown]
	s_delay_alu instid0(VALU_DEP_2) | instskip(NEXT) | instid1(VALU_DEP_2)
	v_sub_f32_e32 v161, v161, v163
	v_sub_f32_e32 v165, v165, v176
	s_delay_alu instid0(VALU_DEP_1) | instskip(NEXT) | instid1(VALU_DEP_1)
	v_add_f32_e32 v150, v150, v165
	v_add_f32_e32 v150, v161, v150
	s_delay_alu instid0(VALU_DEP_1) | instskip(NEXT) | instid1(VALU_DEP_1)
	v_add_f32_e32 v161, v177, v150
	v_mul_f32_e32 v163, v160, v161
	s_delay_alu instid0(VALU_DEP_1) | instskip(NEXT) | instid1(VALU_DEP_1)
	v_dual_sub_f32 v176, v177, v161 :: v_dual_mul_f32 v165, v164, v163
	v_add_f32_e32 v150, v150, v176
	s_delay_alu instid0(VALU_DEP_2) | instskip(NEXT) | instid1(VALU_DEP_1)
	v_fma_f32 v164, v163, v164, -v165
	v_fmac_f32_e32 v164, v163, v162
	s_delay_alu instid0(VALU_DEP_1) | instskip(NEXT) | instid1(VALU_DEP_1)
	v_add_f32_e32 v162, v165, v164
	v_sub_f32_e32 v167, v161, v162
	v_sub_f32_e32 v165, v162, v165
	s_delay_alu instid0(VALU_DEP_2) | instskip(NEXT) | instid1(VALU_DEP_1)
	v_sub_f32_e32 v161, v161, v167
	v_sub_f32_e32 v161, v161, v162
	s_delay_alu instid0(VALU_DEP_3) | instskip(NEXT) | instid1(VALU_DEP_2)
	v_sub_f32_e32 v162, v165, v164
	v_add_f32_e32 v150, v150, v161
	v_add_f32_e32 v161, v166, v163
	s_delay_alu instid0(VALU_DEP_2) | instskip(NEXT) | instid1(VALU_DEP_2)
	v_add_f32_e32 v150, v162, v150
	v_sub_f32_e32 v162, v161, v166
	s_delay_alu instid0(VALU_DEP_2) | instskip(NEXT) | instid1(VALU_DEP_2)
	v_add_f32_e32 v150, v167, v150
	v_sub_f32_e32 v162, v163, v162
	s_delay_alu instid0(VALU_DEP_2) | instskip(NEXT) | instid1(VALU_DEP_1)
	v_mul_f32_e32 v150, v160, v150
	v_add_f32_e32 v150, v162, v150
	s_delay_alu instid0(VALU_DEP_1) | instskip(NEXT) | instid1(VALU_DEP_1)
	v_add_f32_e32 v160, v161, v150
	v_mul_f32_e32 v162, v160, v160
	s_delay_alu instid0(VALU_DEP_1) | instskip(SKIP_2) | instid1(VALU_DEP_3)
	v_fmaak_f32 v163, s26, v162, 0x3ecc95a3
	v_mul_f32_e32 v164, v160, v162
	v_cmp_eq_f32_e64 s26, 0x7f800000, v151
	v_fmaak_f32 v162, v162, v163, 0x3f2aaada
	v_ldexp_f32 v163, v160, 1
	v_sub_f32_e32 v160, v160, v161
	s_delay_alu instid0(VALU_DEP_4) | instskip(NEXT) | instid1(VALU_DEP_3)
	s_or_b32 s26, s26, s30
	v_mul_f32_e32 v162, v164, v162
	v_mul_f32_e32 v164, 0x3f317218, v149
	s_delay_alu instid0(VALU_DEP_2) | instskip(NEXT) | instid1(VALU_DEP_1)
	v_dual_sub_f32 v150, v150, v160 :: v_dual_add_f32 v161, v163, v162
	v_ldexp_f32 v150, v150, 1
	s_delay_alu instid0(VALU_DEP_2) | instskip(NEXT) | instid1(VALU_DEP_4)
	v_sub_f32_e32 v160, v161, v163
	v_fma_f32 v163, 0x3f317218, v149, -v164
	s_delay_alu instid0(VALU_DEP_1) | instskip(NEXT) | instid1(VALU_DEP_1)
	v_dual_sub_f32 v160, v162, v160 :: v_dual_fmamk_f32 v149, v149, 0xb102e308, v163
	v_add_f32_e32 v150, v150, v160
	s_delay_alu instid0(VALU_DEP_2) | instskip(NEXT) | instid1(VALU_DEP_2)
	v_add_f32_e32 v160, v164, v149
	v_add_f32_e32 v162, v161, v150
	s_delay_alu instid0(VALU_DEP_2) | instskip(NEXT) | instid1(VALU_DEP_2)
	v_sub_f32_e32 v164, v160, v164
	v_add_f32_e32 v163, v160, v162
	v_sub_f32_e32 v161, v162, v161
	s_delay_alu instid0(VALU_DEP_3) | instskip(NEXT) | instid1(VALU_DEP_2)
	v_sub_f32_e32 v149, v149, v164
	v_dual_sub_f32 v165, v163, v160 :: v_dual_sub_f32 v150, v150, v161
	s_delay_alu instid0(VALU_DEP_1) | instskip(NEXT) | instid1(VALU_DEP_2)
	v_sub_f32_e32 v166, v163, v165
	v_dual_sub_f32 v161, v162, v165 :: v_dual_add_f32 v162, v149, v150
	s_delay_alu instid0(VALU_DEP_2) | instskip(NEXT) | instid1(VALU_DEP_1)
	v_sub_f32_e32 v160, v160, v166
	v_dual_add_f32 v160, v161, v160 :: v_dual_sub_f32 v161, v162, v149
	s_delay_alu instid0(VALU_DEP_1) | instskip(NEXT) | instid1(VALU_DEP_2)
	v_add_f32_e32 v160, v162, v160
	v_sub_f32_e32 v162, v162, v161
	v_sub_f32_e32 v150, v150, v161
	s_delay_alu instid0(VALU_DEP_2) | instskip(NEXT) | instid1(VALU_DEP_1)
	v_dual_add_f32 v164, v163, v160 :: v_dual_sub_f32 v149, v149, v162
	v_sub_f32_e32 v161, v164, v163
	s_delay_alu instid0(VALU_DEP_2) | instskip(NEXT) | instid1(VALU_DEP_2)
	v_add_f32_e32 v149, v150, v149
	v_sub_f32_e32 v150, v160, v161
	s_delay_alu instid0(VALU_DEP_1) | instskip(NEXT) | instid1(VALU_DEP_1)
	v_add_f32_e32 v149, v149, v150
	v_add_f32_e32 v149, v164, v149
	s_delay_alu instid0(VALU_DEP_1) | instskip(NEXT) | instid1(VALU_DEP_1)
	v_cndmask_b32_e64 v149, v149, v151, s26
	v_add_f32_e32 v149, v148, v149
.LBB521_111:
	s_or_b32 exec_lo, exec_lo, vcc_hi
	s_delay_alu instid0(VALU_DEP_1) | instskip(SKIP_1) | instid1(VALU_DEP_2)
	v_bfe_u32 v148, v149, 16, 1
	v_cmp_o_f32_e64 s26, v149, v149
	v_add3_u32 v148, v149, v148, 0x7fff
	s_delay_alu instid0(VALU_DEP_1) | instskip(NEXT) | instid1(VALU_DEP_1)
	v_lshrrev_b32_e32 v148, 16, v148
	v_cndmask_b32_e64 v149, 0x7fc0, v148, s26
	s_delay_alu instid0(VALU_DEP_1)
	v_and_b32_e32 v150, 0xffff, v149
.LBB521_112:
	s_or_b32 exec_lo, exec_lo, s29
	ds_swizzle_b32 v148, v150 offset:swizzle(BROADCAST,32,15)
	v_and_b32_e32 v151, 16, v23
	s_mov_b32 s29, exec_lo
	s_delay_alu instid0(VALU_DEP_1)
	v_cmpx_ne_u32_e32 0, v151
	s_cbranch_execz .LBB521_116
; %bb.113:
	s_waitcnt lgkmcnt(0)
	v_lshlrev_b32_e32 v149, 16, v148
	s_delay_alu instid0(VALU_DEP_1) | instskip(NEXT) | instid1(VALU_DEP_1)
	v_dual_max_f32 v150, v149, v149 :: v_dual_lshlrev_b32 v151, 16, v150
	v_max_f32_e32 v148, v151, v151
	v_cmp_u_f32_e64 s26, v149, v149
	s_delay_alu instid0(VALU_DEP_2) | instskip(SKIP_1) | instid1(VALU_DEP_2)
	v_min_f32_e32 v160, v150, v148
	v_max_f32_e32 v148, v150, v148
	v_cndmask_b32_e64 v150, v160, v149, s26
	s_delay_alu instid0(VALU_DEP_2) | instskip(SKIP_1) | instid1(VALU_DEP_1)
	v_cndmask_b32_e64 v148, v148, v149, s26
	v_cmp_u_f32_e64 s26, v151, v151
	v_cndmask_b32_e64 v150, v150, v151, s26
	s_delay_alu instid0(VALU_DEP_3) | instskip(NEXT) | instid1(VALU_DEP_2)
	v_cndmask_b32_e64 v148, v148, v151, s26
	v_cmp_class_f32_e64 vcc_hi, v150, 0x1f8
	s_delay_alu instid0(VALU_DEP_2) | instskip(NEXT) | instid1(VALU_DEP_1)
	v_cmp_neq_f32_e64 s26, v150, v148
	s_or_b32 s26, s26, vcc_hi
	s_delay_alu instid0(SALU_CYCLE_1)
	s_and_saveexec_b32 vcc_hi, s26
	s_cbranch_execz .LBB521_115
; %bb.114:
	v_sub_f32_e32 v149, v150, v148
	s_delay_alu instid0(VALU_DEP_1) | instskip(SKIP_1) | instid1(VALU_DEP_2)
	v_mul_f32_e32 v150, 0x3fb8aa3b, v149
	v_cmp_ngt_f32_e64 s26, 0xc2ce8ed0, v149
	v_fma_f32 v151, 0x3fb8aa3b, v149, -v150
	v_rndne_f32_e32 v160, v150
	s_delay_alu instid0(VALU_DEP_1) | instskip(NEXT) | instid1(VALU_DEP_1)
	v_dual_fmamk_f32 v151, v149, 0x32a5705f, v151 :: v_dual_sub_f32 v150, v150, v160
	v_add_f32_e32 v150, v150, v151
	v_cvt_i32_f32_e32 v151, v160
	s_delay_alu instid0(VALU_DEP_2) | instskip(SKIP_2) | instid1(VALU_DEP_1)
	v_exp_f32_e32 v150, v150
	s_waitcnt_depctr 0xfff
	v_ldexp_f32 v150, v150, v151
	v_cndmask_b32_e64 v150, 0, v150, s26
	v_cmp_nlt_f32_e64 s26, 0x42b17218, v149
	s_delay_alu instid0(VALU_DEP_1) | instskip(NEXT) | instid1(VALU_DEP_1)
	v_cndmask_b32_e64 v151, 0x7f800000, v150, s26
	v_add_f32_e32 v160, 1.0, v151
	v_cmp_gt_f32_e64 s30, 0x33800000, |v151|
	s_delay_alu instid0(VALU_DEP_2) | instskip(NEXT) | instid1(VALU_DEP_1)
	v_cvt_f64_f32_e32 v[149:150], v160
	v_frexp_exp_i32_f64_e32 v149, v[149:150]
	v_frexp_mant_f32_e32 v150, v160
	s_delay_alu instid0(VALU_DEP_1) | instskip(SKIP_1) | instid1(VALU_DEP_1)
	v_cmp_gt_f32_e64 s26, 0x3f2aaaab, v150
	v_add_f32_e32 v150, -1.0, v160
	v_sub_f32_e32 v162, v150, v160
	v_sub_f32_e32 v150, v151, v150
	s_delay_alu instid0(VALU_DEP_4) | instskip(SKIP_1) | instid1(VALU_DEP_1)
	v_subrev_co_ci_u32_e64 v149, s26, 0, v149, s26
	s_mov_b32 s26, 0x3e9b6dac
	v_sub_nc_u32_e32 v161, 0, v149
	v_cvt_f32_i32_e32 v149, v149
	s_delay_alu instid0(VALU_DEP_2) | instskip(NEXT) | instid1(VALU_DEP_1)
	v_ldexp_f32 v160, v160, v161
	v_dual_add_f32 v163, 1.0, v160 :: v_dual_add_f32 v162, 1.0, v162
	s_delay_alu instid0(VALU_DEP_1) | instskip(NEXT) | instid1(VALU_DEP_2)
	v_add_f32_e32 v150, v150, v162
	v_add_f32_e32 v162, -1.0, v163
	s_delay_alu instid0(VALU_DEP_2) | instskip(NEXT) | instid1(VALU_DEP_2)
	v_ldexp_f32 v150, v150, v161
	v_dual_add_f32 v161, -1.0, v160 :: v_dual_sub_f32 v162, v160, v162
	s_delay_alu instid0(VALU_DEP_1) | instskip(NEXT) | instid1(VALU_DEP_2)
	v_add_f32_e32 v164, 1.0, v161
	v_add_f32_e32 v162, v150, v162
	s_delay_alu instid0(VALU_DEP_2) | instskip(NEXT) | instid1(VALU_DEP_2)
	v_sub_f32_e32 v160, v160, v164
	v_add_f32_e32 v164, v163, v162
	s_delay_alu instid0(VALU_DEP_2) | instskip(NEXT) | instid1(VALU_DEP_2)
	v_add_f32_e32 v150, v150, v160
	v_rcp_f32_e32 v160, v164
	v_sub_f32_e32 v163, v163, v164
	s_delay_alu instid0(VALU_DEP_1) | instskip(NEXT) | instid1(VALU_DEP_1)
	v_dual_add_f32 v165, v161, v150 :: v_dual_add_f32 v162, v162, v163
	v_sub_f32_e32 v161, v161, v165
	s_waitcnt_depctr 0xfff
	v_mul_f32_e32 v166, v165, v160
	s_delay_alu instid0(VALU_DEP_1) | instskip(NEXT) | instid1(VALU_DEP_1)
	v_dual_add_f32 v150, v150, v161 :: v_dual_mul_f32 v167, v164, v166
	v_fma_f32 v163, v166, v164, -v167
	s_delay_alu instid0(VALU_DEP_1) | instskip(NEXT) | instid1(VALU_DEP_1)
	v_fmac_f32_e32 v163, v166, v162
	v_add_f32_e32 v176, v167, v163
	s_delay_alu instid0(VALU_DEP_1) | instskip(SKIP_1) | instid1(VALU_DEP_2)
	v_sub_f32_e32 v177, v165, v176
	v_sub_f32_e32 v161, v176, v167
	;; [unrolled: 1-line block ×3, first 2 shown]
	s_delay_alu instid0(VALU_DEP_2) | instskip(NEXT) | instid1(VALU_DEP_2)
	v_sub_f32_e32 v161, v161, v163
	v_sub_f32_e32 v165, v165, v176
	s_delay_alu instid0(VALU_DEP_1) | instskip(NEXT) | instid1(VALU_DEP_1)
	v_add_f32_e32 v150, v150, v165
	v_add_f32_e32 v150, v161, v150
	s_delay_alu instid0(VALU_DEP_1) | instskip(NEXT) | instid1(VALU_DEP_1)
	v_add_f32_e32 v161, v177, v150
	v_mul_f32_e32 v163, v160, v161
	s_delay_alu instid0(VALU_DEP_1) | instskip(NEXT) | instid1(VALU_DEP_1)
	v_dual_sub_f32 v176, v177, v161 :: v_dual_mul_f32 v165, v164, v163
	v_add_f32_e32 v150, v150, v176
	s_delay_alu instid0(VALU_DEP_2) | instskip(NEXT) | instid1(VALU_DEP_1)
	v_fma_f32 v164, v163, v164, -v165
	v_fmac_f32_e32 v164, v163, v162
	s_delay_alu instid0(VALU_DEP_1) | instskip(NEXT) | instid1(VALU_DEP_1)
	v_add_f32_e32 v162, v165, v164
	v_sub_f32_e32 v167, v161, v162
	v_sub_f32_e32 v165, v162, v165
	s_delay_alu instid0(VALU_DEP_2) | instskip(NEXT) | instid1(VALU_DEP_1)
	v_sub_f32_e32 v161, v161, v167
	v_sub_f32_e32 v161, v161, v162
	s_delay_alu instid0(VALU_DEP_3) | instskip(NEXT) | instid1(VALU_DEP_2)
	v_sub_f32_e32 v162, v165, v164
	v_add_f32_e32 v150, v150, v161
	v_add_f32_e32 v161, v166, v163
	s_delay_alu instid0(VALU_DEP_2) | instskip(NEXT) | instid1(VALU_DEP_2)
	v_add_f32_e32 v150, v162, v150
	v_sub_f32_e32 v162, v161, v166
	s_delay_alu instid0(VALU_DEP_2) | instskip(NEXT) | instid1(VALU_DEP_2)
	v_add_f32_e32 v150, v167, v150
	v_sub_f32_e32 v162, v163, v162
	s_delay_alu instid0(VALU_DEP_2) | instskip(NEXT) | instid1(VALU_DEP_1)
	v_mul_f32_e32 v150, v160, v150
	v_add_f32_e32 v150, v162, v150
	s_delay_alu instid0(VALU_DEP_1) | instskip(NEXT) | instid1(VALU_DEP_1)
	v_add_f32_e32 v160, v161, v150
	v_mul_f32_e32 v162, v160, v160
	s_delay_alu instid0(VALU_DEP_1) | instskip(SKIP_2) | instid1(VALU_DEP_3)
	v_fmaak_f32 v163, s26, v162, 0x3ecc95a3
	v_mul_f32_e32 v164, v160, v162
	v_cmp_eq_f32_e64 s26, 0x7f800000, v151
	v_fmaak_f32 v162, v162, v163, 0x3f2aaada
	v_ldexp_f32 v163, v160, 1
	v_sub_f32_e32 v160, v160, v161
	s_delay_alu instid0(VALU_DEP_4) | instskip(NEXT) | instid1(VALU_DEP_3)
	s_or_b32 s26, s26, s30
	v_mul_f32_e32 v162, v164, v162
	v_mul_f32_e32 v164, 0x3f317218, v149
	s_delay_alu instid0(VALU_DEP_2) | instskip(NEXT) | instid1(VALU_DEP_1)
	v_dual_sub_f32 v150, v150, v160 :: v_dual_add_f32 v161, v163, v162
	v_ldexp_f32 v150, v150, 1
	s_delay_alu instid0(VALU_DEP_2) | instskip(NEXT) | instid1(VALU_DEP_4)
	v_sub_f32_e32 v160, v161, v163
	v_fma_f32 v163, 0x3f317218, v149, -v164
	s_delay_alu instid0(VALU_DEP_1) | instskip(NEXT) | instid1(VALU_DEP_1)
	v_dual_sub_f32 v160, v162, v160 :: v_dual_fmamk_f32 v149, v149, 0xb102e308, v163
	v_add_f32_e32 v150, v150, v160
	s_delay_alu instid0(VALU_DEP_2) | instskip(NEXT) | instid1(VALU_DEP_2)
	v_add_f32_e32 v160, v164, v149
	v_add_f32_e32 v162, v161, v150
	s_delay_alu instid0(VALU_DEP_2) | instskip(NEXT) | instid1(VALU_DEP_2)
	v_sub_f32_e32 v164, v160, v164
	v_add_f32_e32 v163, v160, v162
	v_sub_f32_e32 v161, v162, v161
	s_delay_alu instid0(VALU_DEP_3) | instskip(NEXT) | instid1(VALU_DEP_2)
	v_sub_f32_e32 v149, v149, v164
	v_dual_sub_f32 v165, v163, v160 :: v_dual_sub_f32 v150, v150, v161
	s_delay_alu instid0(VALU_DEP_1) | instskip(NEXT) | instid1(VALU_DEP_2)
	v_sub_f32_e32 v166, v163, v165
	v_dual_sub_f32 v161, v162, v165 :: v_dual_add_f32 v162, v149, v150
	s_delay_alu instid0(VALU_DEP_2) | instskip(NEXT) | instid1(VALU_DEP_1)
	v_sub_f32_e32 v160, v160, v166
	v_dual_add_f32 v160, v161, v160 :: v_dual_sub_f32 v161, v162, v149
	s_delay_alu instid0(VALU_DEP_1) | instskip(NEXT) | instid1(VALU_DEP_2)
	v_add_f32_e32 v160, v162, v160
	v_sub_f32_e32 v162, v162, v161
	v_sub_f32_e32 v150, v150, v161
	s_delay_alu instid0(VALU_DEP_2) | instskip(NEXT) | instid1(VALU_DEP_1)
	v_dual_add_f32 v164, v163, v160 :: v_dual_sub_f32 v149, v149, v162
	v_sub_f32_e32 v161, v164, v163
	s_delay_alu instid0(VALU_DEP_2) | instskip(NEXT) | instid1(VALU_DEP_2)
	v_add_f32_e32 v149, v150, v149
	v_sub_f32_e32 v150, v160, v161
	s_delay_alu instid0(VALU_DEP_1) | instskip(NEXT) | instid1(VALU_DEP_1)
	v_add_f32_e32 v149, v149, v150
	v_add_f32_e32 v149, v164, v149
	s_delay_alu instid0(VALU_DEP_1) | instskip(NEXT) | instid1(VALU_DEP_1)
	v_cndmask_b32_e64 v149, v149, v151, s26
	v_add_f32_e32 v149, v148, v149
.LBB521_115:
	s_or_b32 exec_lo, exec_lo, vcc_hi
	s_delay_alu instid0(VALU_DEP_1) | instskip(SKIP_1) | instid1(VALU_DEP_2)
	v_bfe_u32 v148, v149, 16, 1
	v_cmp_o_f32_e64 s26, v149, v149
	v_add3_u32 v148, v149, v148, 0x7fff
	s_delay_alu instid0(VALU_DEP_1) | instskip(NEXT) | instid1(VALU_DEP_1)
	v_lshrrev_b32_e32 v148, 16, v148
	v_cndmask_b32_e64 v149, 0x7fc0, v148, s26
.LBB521_116:
	s_or_b32 exec_lo, exec_lo, s29
	s_waitcnt lgkmcnt(0)
	v_add_nc_u32_e32 v148, -1, v23
	s_delay_alu instid0(VALU_DEP_1) | instskip(NEXT) | instid1(VALU_DEP_1)
	v_cmp_gt_i32_e64 s26, 0, v148
	v_cndmask_b32_e64 v23, v148, v23, s26
	v_and_b32_e32 v148, 0xffff, v149
	s_delay_alu instid0(VALU_DEP_2) | instskip(SKIP_3) | instid1(VALU_DEP_1)
	v_lshlrev_b32_e32 v23, 2, v23
	ds_bpermute_b32 v23, v23, v148
	s_waitcnt lgkmcnt(0)
	v_lshlrev_b32_e32 v23, 16, v23
	v_max_f32_e32 v148, v23, v23
	v_cmp_u_f32_e64 s26, v23, v23
	s_delay_alu instid0(VALU_DEP_2) | instskip(SKIP_1) | instid1(VALU_DEP_2)
	v_min_f32_e32 v149, v148, v22
	v_max_f32_e32 v22, v148, v22
	v_cndmask_b32_e64 v148, v149, v23, s26
	s_delay_alu instid0(VALU_DEP_2) | instskip(NEXT) | instid1(VALU_DEP_2)
	v_cndmask_b32_e64 v149, v22, v23, s26
	v_cndmask_b32_e64 v22, v148, v17, s25
	s_delay_alu instid0(VALU_DEP_2) | instskip(NEXT) | instid1(VALU_DEP_2)
	v_cndmask_b32_e64 v17, v149, v17, s25
	v_cmp_class_f32_e64 s26, v22, 0x1f8
	s_delay_alu instid0(VALU_DEP_2) | instskip(NEXT) | instid1(VALU_DEP_1)
	v_cmp_neq_f32_e64 s25, v22, v17
	s_or_b32 s25, s25, s26
	s_delay_alu instid0(SALU_CYCLE_1)
	s_and_saveexec_b32 s26, s25
	s_cbranch_execz .LBB521_118
; %bb.117:
	v_sub_f32_e32 v22, v22, v17
	s_delay_alu instid0(VALU_DEP_1) | instskip(NEXT) | instid1(VALU_DEP_1)
	v_mul_f32_e32 v23, 0x3fb8aa3b, v22
	v_fma_f32 v148, 0x3fb8aa3b, v22, -v23
	v_rndne_f32_e32 v149, v23
	s_delay_alu instid0(VALU_DEP_1) | instskip(NEXT) | instid1(VALU_DEP_1)
	v_dual_fmamk_f32 v148, v22, 0x32a5705f, v148 :: v_dual_sub_f32 v23, v23, v149
	v_add_f32_e32 v23, v23, v148
	v_cvt_i32_f32_e32 v148, v149
	v_cmp_ngt_f32_e64 s25, 0xc2ce8ed0, v22
	s_delay_alu instid0(VALU_DEP_3) | instskip(SKIP_2) | instid1(VALU_DEP_1)
	v_exp_f32_e32 v23, v23
	s_waitcnt_depctr 0xfff
	v_ldexp_f32 v23, v23, v148
	v_cndmask_b32_e64 v23, 0, v23, s25
	v_cmp_nlt_f32_e64 s25, 0x42b17218, v22
	s_delay_alu instid0(VALU_DEP_1) | instskip(NEXT) | instid1(VALU_DEP_1)
	v_cndmask_b32_e64 v148, 0x7f800000, v23, s25
	v_add_f32_e32 v149, 1.0, v148
	v_cmp_gt_f32_e64 s29, 0x33800000, |v148|
	s_delay_alu instid0(VALU_DEP_2) | instskip(NEXT) | instid1(VALU_DEP_1)
	v_cvt_f64_f32_e32 v[22:23], v149
	v_frexp_exp_i32_f64_e32 v22, v[22:23]
	v_frexp_mant_f32_e32 v23, v149
	s_delay_alu instid0(VALU_DEP_1) | instskip(SKIP_1) | instid1(VALU_DEP_1)
	v_cmp_gt_f32_e64 s25, 0x3f2aaaab, v23
	v_add_f32_e32 v23, -1.0, v149
	v_sub_f32_e32 v151, v23, v149
	s_delay_alu instid0(VALU_DEP_3) | instskip(SKIP_1) | instid1(VALU_DEP_1)
	v_subrev_co_ci_u32_e64 v22, s25, 0, v22, s25
	s_mov_b32 s25, 0x3e9b6dac
	v_sub_nc_u32_e32 v150, 0, v22
	v_cvt_f32_i32_e32 v22, v22
	s_delay_alu instid0(VALU_DEP_2) | instskip(NEXT) | instid1(VALU_DEP_1)
	v_ldexp_f32 v149, v149, v150
	v_dual_sub_f32 v23, v148, v23 :: v_dual_add_f32 v160, 1.0, v149
	v_add_f32_e32 v151, 1.0, v151
	s_delay_alu instid0(VALU_DEP_1) | instskip(NEXT) | instid1(VALU_DEP_3)
	v_add_f32_e32 v23, v23, v151
	v_add_f32_e32 v151, -1.0, v160
	s_delay_alu instid0(VALU_DEP_2) | instskip(NEXT) | instid1(VALU_DEP_2)
	v_ldexp_f32 v23, v23, v150
	v_dual_add_f32 v150, -1.0, v149 :: v_dual_sub_f32 v151, v149, v151
	s_delay_alu instid0(VALU_DEP_1) | instskip(NEXT) | instid1(VALU_DEP_2)
	v_add_f32_e32 v161, 1.0, v150
	v_add_f32_e32 v151, v23, v151
	s_delay_alu instid0(VALU_DEP_2) | instskip(NEXT) | instid1(VALU_DEP_2)
	v_sub_f32_e32 v149, v149, v161
	v_add_f32_e32 v161, v160, v151
	s_delay_alu instid0(VALU_DEP_2) | instskip(NEXT) | instid1(VALU_DEP_2)
	v_add_f32_e32 v23, v23, v149
	v_rcp_f32_e32 v149, v161
	v_sub_f32_e32 v160, v160, v161
	s_delay_alu instid0(VALU_DEP_1) | instskip(NEXT) | instid1(VALU_DEP_1)
	v_dual_add_f32 v162, v150, v23 :: v_dual_add_f32 v151, v151, v160
	v_sub_f32_e32 v150, v150, v162
	s_waitcnt_depctr 0xfff
	v_mul_f32_e32 v163, v162, v149
	s_delay_alu instid0(VALU_DEP_1) | instskip(NEXT) | instid1(VALU_DEP_1)
	v_dual_add_f32 v23, v23, v150 :: v_dual_mul_f32 v164, v161, v163
	v_fma_f32 v160, v163, v161, -v164
	s_delay_alu instid0(VALU_DEP_1) | instskip(NEXT) | instid1(VALU_DEP_1)
	v_fmac_f32_e32 v160, v163, v151
	v_add_f32_e32 v165, v164, v160
	s_delay_alu instid0(VALU_DEP_1) | instskip(SKIP_1) | instid1(VALU_DEP_2)
	v_sub_f32_e32 v166, v162, v165
	v_sub_f32_e32 v150, v165, v164
	;; [unrolled: 1-line block ×3, first 2 shown]
	s_delay_alu instid0(VALU_DEP_2) | instskip(NEXT) | instid1(VALU_DEP_2)
	v_sub_f32_e32 v150, v150, v160
	v_sub_f32_e32 v162, v162, v165
	s_delay_alu instid0(VALU_DEP_1) | instskip(NEXT) | instid1(VALU_DEP_1)
	v_add_f32_e32 v23, v23, v162
	v_add_f32_e32 v23, v150, v23
	s_delay_alu instid0(VALU_DEP_1) | instskip(NEXT) | instid1(VALU_DEP_1)
	v_add_f32_e32 v150, v166, v23
	v_mul_f32_e32 v160, v149, v150
	s_delay_alu instid0(VALU_DEP_1) | instskip(NEXT) | instid1(VALU_DEP_1)
	v_dual_sub_f32 v165, v166, v150 :: v_dual_mul_f32 v162, v161, v160
	v_add_f32_e32 v23, v23, v165
	s_delay_alu instid0(VALU_DEP_2) | instskip(NEXT) | instid1(VALU_DEP_1)
	v_fma_f32 v161, v160, v161, -v162
	v_fmac_f32_e32 v161, v160, v151
	s_delay_alu instid0(VALU_DEP_1) | instskip(NEXT) | instid1(VALU_DEP_1)
	v_add_f32_e32 v151, v162, v161
	v_sub_f32_e32 v164, v150, v151
	v_sub_f32_e32 v162, v151, v162
	s_delay_alu instid0(VALU_DEP_2) | instskip(NEXT) | instid1(VALU_DEP_1)
	v_sub_f32_e32 v150, v150, v164
	v_sub_f32_e32 v150, v150, v151
	s_delay_alu instid0(VALU_DEP_3) | instskip(NEXT) | instid1(VALU_DEP_2)
	v_sub_f32_e32 v151, v162, v161
	v_add_f32_e32 v23, v23, v150
	v_add_f32_e32 v150, v163, v160
	s_delay_alu instid0(VALU_DEP_2) | instskip(NEXT) | instid1(VALU_DEP_2)
	v_add_f32_e32 v23, v151, v23
	v_sub_f32_e32 v151, v150, v163
	s_delay_alu instid0(VALU_DEP_2) | instskip(NEXT) | instid1(VALU_DEP_2)
	v_add_f32_e32 v23, v164, v23
	v_sub_f32_e32 v151, v160, v151
	s_delay_alu instid0(VALU_DEP_2) | instskip(NEXT) | instid1(VALU_DEP_1)
	v_mul_f32_e32 v23, v149, v23
	v_add_f32_e32 v23, v151, v23
	s_delay_alu instid0(VALU_DEP_1) | instskip(NEXT) | instid1(VALU_DEP_1)
	v_add_f32_e32 v149, v150, v23
	v_mul_f32_e32 v151, v149, v149
	s_delay_alu instid0(VALU_DEP_1) | instskip(SKIP_2) | instid1(VALU_DEP_3)
	v_fmaak_f32 v160, s25, v151, 0x3ecc95a3
	v_mul_f32_e32 v161, v149, v151
	v_cmp_eq_f32_e64 s25, 0x7f800000, v148
	v_fmaak_f32 v151, v151, v160, 0x3f2aaada
	v_ldexp_f32 v160, v149, 1
	v_sub_f32_e32 v149, v149, v150
	s_delay_alu instid0(VALU_DEP_4) | instskip(NEXT) | instid1(VALU_DEP_3)
	s_or_b32 s25, s25, s29
	v_mul_f32_e32 v151, v161, v151
	v_mul_f32_e32 v161, 0x3f317218, v22
	s_delay_alu instid0(VALU_DEP_2) | instskip(NEXT) | instid1(VALU_DEP_1)
	v_dual_sub_f32 v23, v23, v149 :: v_dual_add_f32 v150, v160, v151
	v_ldexp_f32 v23, v23, 1
	s_delay_alu instid0(VALU_DEP_2) | instskip(NEXT) | instid1(VALU_DEP_4)
	v_sub_f32_e32 v149, v150, v160
	v_fma_f32 v160, 0x3f317218, v22, -v161
	s_delay_alu instid0(VALU_DEP_1) | instskip(NEXT) | instid1(VALU_DEP_1)
	v_dual_sub_f32 v149, v151, v149 :: v_dual_fmamk_f32 v22, v22, 0xb102e308, v160
	v_add_f32_e32 v23, v23, v149
	s_delay_alu instid0(VALU_DEP_2) | instskip(NEXT) | instid1(VALU_DEP_2)
	v_add_f32_e32 v149, v161, v22
	v_add_f32_e32 v151, v150, v23
	s_delay_alu instid0(VALU_DEP_2) | instskip(NEXT) | instid1(VALU_DEP_2)
	v_sub_f32_e32 v161, v149, v161
	v_add_f32_e32 v160, v149, v151
	v_sub_f32_e32 v150, v151, v150
	s_delay_alu instid0(VALU_DEP_3) | instskip(NEXT) | instid1(VALU_DEP_2)
	v_sub_f32_e32 v22, v22, v161
	v_dual_sub_f32 v162, v160, v149 :: v_dual_sub_f32 v23, v23, v150
	s_delay_alu instid0(VALU_DEP_1) | instskip(NEXT) | instid1(VALU_DEP_2)
	v_sub_f32_e32 v163, v160, v162
	v_dual_sub_f32 v150, v151, v162 :: v_dual_add_f32 v151, v22, v23
	s_delay_alu instid0(VALU_DEP_2) | instskip(NEXT) | instid1(VALU_DEP_1)
	v_sub_f32_e32 v149, v149, v163
	v_dual_add_f32 v149, v150, v149 :: v_dual_sub_f32 v150, v151, v22
	s_delay_alu instid0(VALU_DEP_1) | instskip(NEXT) | instid1(VALU_DEP_2)
	v_add_f32_e32 v149, v151, v149
	v_sub_f32_e32 v151, v151, v150
	v_sub_f32_e32 v23, v23, v150
	s_delay_alu instid0(VALU_DEP_2) | instskip(NEXT) | instid1(VALU_DEP_1)
	v_dual_add_f32 v161, v160, v149 :: v_dual_sub_f32 v22, v22, v151
	v_sub_f32_e32 v150, v161, v160
	s_delay_alu instid0(VALU_DEP_2) | instskip(NEXT) | instid1(VALU_DEP_2)
	v_add_f32_e32 v22, v23, v22
	v_sub_f32_e32 v23, v149, v150
	s_delay_alu instid0(VALU_DEP_1) | instskip(NEXT) | instid1(VALU_DEP_1)
	v_add_f32_e32 v22, v22, v23
	v_add_f32_e32 v22, v161, v22
	s_delay_alu instid0(VALU_DEP_1) | instskip(NEXT) | instid1(VALU_DEP_1)
	v_cndmask_b32_e64 v22, v22, v148, s25
	v_add_f32_e32 v23, v17, v22
.LBB521_118:
	s_or_b32 exec_lo, exec_lo, s26
	s_delay_alu instid0(VALU_DEP_1) | instskip(SKIP_1) | instid1(VALU_DEP_2)
	v_bfe_u32 v17, v23, 16, 1
	v_cmp_o_f32_e64 s25, v23, v23
	; wave barrier
	v_add3_u32 v17, v23, v17, 0x7fff
	s_delay_alu instid0(VALU_DEP_1) | instskip(NEXT) | instid1(VALU_DEP_1)
	v_lshrrev_b32_e32 v17, 16, v17
	v_cndmask_b32_e64 v17, 0x7fc0, v17, s25
	s_delay_alu instid0(VALU_DEP_1)
	v_cndmask_b32_e64 v17, v17, v147, s2
	ds_store_b16 v16, v17
	; wave barrier
	ds_load_u16 v23, v16 offset:2
	v_lshlrev_b32_e32 v22, 16, v17
	s_waitcnt lgkmcnt(0)
	v_lshlrev_b32_e32 v17, 16, v23
	s_delay_alu instid0(VALU_DEP_1) | instskip(NEXT) | instid1(VALU_DEP_1)
	v_dual_max_f32 v23, v22, v22 :: v_dual_max_f32 v148, v17, v17
	v_min_f32_e32 v149, v23, v148
	v_max_f32_e32 v23, v23, v148
	v_cmp_u_f32_e64 s25, v22, v22
	s_delay_alu instid0(VALU_DEP_1) | instskip(NEXT) | instid1(VALU_DEP_3)
	v_cndmask_b32_e64 v148, v149, v22, s25
	v_cndmask_b32_e64 v149, v23, v22, s25
	v_cmp_u_f32_e64 s25, v17, v17
	s_delay_alu instid0(VALU_DEP_1) | instskip(NEXT) | instid1(VALU_DEP_3)
	v_cndmask_b32_e64 v23, v148, v17, s25
	v_cndmask_b32_e64 v17, v149, v17, s25
	s_delay_alu instid0(VALU_DEP_2) | instskip(NEXT) | instid1(VALU_DEP_2)
	v_cmp_class_f32_e64 s26, v23, 0x1f8
	v_cmp_neq_f32_e64 s25, v23, v17
	s_delay_alu instid0(VALU_DEP_1) | instskip(NEXT) | instid1(SALU_CYCLE_1)
	s_or_b32 s25, s25, s26
	s_and_saveexec_b32 s26, s25
	s_cbranch_execz .LBB521_120
; %bb.119:
	v_sub_f32_e32 v22, v23, v17
	s_delay_alu instid0(VALU_DEP_1) | instskip(SKIP_1) | instid1(VALU_DEP_2)
	v_mul_f32_e32 v23, 0x3fb8aa3b, v22
	v_cmp_ngt_f32_e64 s25, 0xc2ce8ed0, v22
	v_fma_f32 v148, 0x3fb8aa3b, v22, -v23
	v_rndne_f32_e32 v149, v23
	s_delay_alu instid0(VALU_DEP_1) | instskip(NEXT) | instid1(VALU_DEP_1)
	v_dual_fmamk_f32 v148, v22, 0x32a5705f, v148 :: v_dual_sub_f32 v23, v23, v149
	v_add_f32_e32 v23, v23, v148
	v_cvt_i32_f32_e32 v148, v149
	s_delay_alu instid0(VALU_DEP_2) | instskip(SKIP_2) | instid1(VALU_DEP_1)
	v_exp_f32_e32 v23, v23
	s_waitcnt_depctr 0xfff
	v_ldexp_f32 v23, v23, v148
	v_cndmask_b32_e64 v23, 0, v23, s25
	v_cmp_nlt_f32_e64 s25, 0x42b17218, v22
	s_delay_alu instid0(VALU_DEP_1) | instskip(NEXT) | instid1(VALU_DEP_1)
	v_cndmask_b32_e64 v148, 0x7f800000, v23, s25
	v_add_f32_e32 v149, 1.0, v148
	v_cmp_gt_f32_e64 s29, 0x33800000, |v148|
	s_delay_alu instid0(VALU_DEP_2) | instskip(NEXT) | instid1(VALU_DEP_1)
	v_cvt_f64_f32_e32 v[22:23], v149
	v_frexp_exp_i32_f64_e32 v22, v[22:23]
	v_frexp_mant_f32_e32 v23, v149
	s_delay_alu instid0(VALU_DEP_1) | instskip(SKIP_1) | instid1(VALU_DEP_1)
	v_cmp_gt_f32_e64 s25, 0x3f2aaaab, v23
	v_add_f32_e32 v23, -1.0, v149
	v_sub_f32_e32 v151, v23, v149
	v_sub_f32_e32 v23, v148, v23
	s_delay_alu instid0(VALU_DEP_4) | instskip(SKIP_1) | instid1(VALU_DEP_1)
	v_subrev_co_ci_u32_e64 v22, s25, 0, v22, s25
	s_mov_b32 s25, 0x3e9b6dac
	v_sub_nc_u32_e32 v150, 0, v22
	v_cvt_f32_i32_e32 v22, v22
	s_delay_alu instid0(VALU_DEP_2) | instskip(NEXT) | instid1(VALU_DEP_1)
	v_ldexp_f32 v149, v149, v150
	v_dual_add_f32 v160, 1.0, v149 :: v_dual_add_f32 v151, 1.0, v151
	s_delay_alu instid0(VALU_DEP_1) | instskip(NEXT) | instid1(VALU_DEP_2)
	v_add_f32_e32 v23, v23, v151
	v_add_f32_e32 v151, -1.0, v160
	s_delay_alu instid0(VALU_DEP_2) | instskip(NEXT) | instid1(VALU_DEP_2)
	v_ldexp_f32 v23, v23, v150
	v_dual_add_f32 v150, -1.0, v149 :: v_dual_sub_f32 v151, v149, v151
	s_delay_alu instid0(VALU_DEP_1) | instskip(NEXT) | instid1(VALU_DEP_2)
	v_add_f32_e32 v161, 1.0, v150
	v_add_f32_e32 v151, v23, v151
	s_delay_alu instid0(VALU_DEP_2) | instskip(NEXT) | instid1(VALU_DEP_2)
	v_sub_f32_e32 v149, v149, v161
	v_add_f32_e32 v161, v160, v151
	s_delay_alu instid0(VALU_DEP_2) | instskip(NEXT) | instid1(VALU_DEP_2)
	v_add_f32_e32 v23, v23, v149
	v_rcp_f32_e32 v149, v161
	v_sub_f32_e32 v160, v160, v161
	s_delay_alu instid0(VALU_DEP_1) | instskip(NEXT) | instid1(VALU_DEP_1)
	v_dual_add_f32 v162, v150, v23 :: v_dual_add_f32 v151, v151, v160
	v_sub_f32_e32 v150, v150, v162
	s_waitcnt_depctr 0xfff
	v_mul_f32_e32 v163, v162, v149
	s_delay_alu instid0(VALU_DEP_1) | instskip(NEXT) | instid1(VALU_DEP_1)
	v_dual_add_f32 v23, v23, v150 :: v_dual_mul_f32 v164, v161, v163
	v_fma_f32 v160, v163, v161, -v164
	s_delay_alu instid0(VALU_DEP_1) | instskip(NEXT) | instid1(VALU_DEP_1)
	v_fmac_f32_e32 v160, v163, v151
	v_add_f32_e32 v165, v164, v160
	s_delay_alu instid0(VALU_DEP_1) | instskip(SKIP_1) | instid1(VALU_DEP_2)
	v_sub_f32_e32 v166, v162, v165
	v_sub_f32_e32 v150, v165, v164
	;; [unrolled: 1-line block ×3, first 2 shown]
	s_delay_alu instid0(VALU_DEP_2) | instskip(NEXT) | instid1(VALU_DEP_2)
	v_sub_f32_e32 v150, v150, v160
	v_sub_f32_e32 v162, v162, v165
	s_delay_alu instid0(VALU_DEP_1) | instskip(NEXT) | instid1(VALU_DEP_1)
	v_add_f32_e32 v23, v23, v162
	v_add_f32_e32 v23, v150, v23
	s_delay_alu instid0(VALU_DEP_1) | instskip(NEXT) | instid1(VALU_DEP_1)
	v_add_f32_e32 v150, v166, v23
	v_mul_f32_e32 v160, v149, v150
	s_delay_alu instid0(VALU_DEP_1) | instskip(NEXT) | instid1(VALU_DEP_1)
	v_dual_sub_f32 v165, v166, v150 :: v_dual_mul_f32 v162, v161, v160
	v_add_f32_e32 v23, v23, v165
	s_delay_alu instid0(VALU_DEP_2) | instskip(NEXT) | instid1(VALU_DEP_1)
	v_fma_f32 v161, v160, v161, -v162
	v_fmac_f32_e32 v161, v160, v151
	s_delay_alu instid0(VALU_DEP_1) | instskip(NEXT) | instid1(VALU_DEP_1)
	v_add_f32_e32 v151, v162, v161
	v_sub_f32_e32 v164, v150, v151
	v_sub_f32_e32 v162, v151, v162
	s_delay_alu instid0(VALU_DEP_2) | instskip(NEXT) | instid1(VALU_DEP_1)
	v_sub_f32_e32 v150, v150, v164
	v_sub_f32_e32 v150, v150, v151
	s_delay_alu instid0(VALU_DEP_3) | instskip(NEXT) | instid1(VALU_DEP_2)
	v_sub_f32_e32 v151, v162, v161
	v_add_f32_e32 v23, v23, v150
	v_add_f32_e32 v150, v163, v160
	s_delay_alu instid0(VALU_DEP_2) | instskip(NEXT) | instid1(VALU_DEP_2)
	v_add_f32_e32 v23, v151, v23
	v_sub_f32_e32 v151, v150, v163
	s_delay_alu instid0(VALU_DEP_2) | instskip(NEXT) | instid1(VALU_DEP_2)
	v_add_f32_e32 v23, v164, v23
	v_sub_f32_e32 v151, v160, v151
	s_delay_alu instid0(VALU_DEP_2) | instskip(NEXT) | instid1(VALU_DEP_1)
	v_mul_f32_e32 v23, v149, v23
	v_add_f32_e32 v23, v151, v23
	s_delay_alu instid0(VALU_DEP_1) | instskip(NEXT) | instid1(VALU_DEP_1)
	v_add_f32_e32 v149, v150, v23
	v_mul_f32_e32 v151, v149, v149
	s_delay_alu instid0(VALU_DEP_1) | instskip(SKIP_2) | instid1(VALU_DEP_3)
	v_fmaak_f32 v160, s25, v151, 0x3ecc95a3
	v_mul_f32_e32 v161, v149, v151
	v_cmp_eq_f32_e64 s25, 0x7f800000, v148
	v_fmaak_f32 v151, v151, v160, 0x3f2aaada
	v_ldexp_f32 v160, v149, 1
	v_sub_f32_e32 v149, v149, v150
	s_delay_alu instid0(VALU_DEP_4) | instskip(NEXT) | instid1(VALU_DEP_3)
	s_or_b32 s25, s25, s29
	v_mul_f32_e32 v151, v161, v151
	v_mul_f32_e32 v161, 0x3f317218, v22
	s_delay_alu instid0(VALU_DEP_2) | instskip(NEXT) | instid1(VALU_DEP_1)
	v_dual_sub_f32 v23, v23, v149 :: v_dual_add_f32 v150, v160, v151
	v_ldexp_f32 v23, v23, 1
	s_delay_alu instid0(VALU_DEP_2) | instskip(NEXT) | instid1(VALU_DEP_4)
	v_sub_f32_e32 v149, v150, v160
	v_fma_f32 v160, 0x3f317218, v22, -v161
	s_delay_alu instid0(VALU_DEP_1) | instskip(NEXT) | instid1(VALU_DEP_1)
	v_dual_sub_f32 v149, v151, v149 :: v_dual_fmamk_f32 v22, v22, 0xb102e308, v160
	v_add_f32_e32 v23, v23, v149
	s_delay_alu instid0(VALU_DEP_2) | instskip(NEXT) | instid1(VALU_DEP_2)
	v_add_f32_e32 v149, v161, v22
	v_add_f32_e32 v151, v150, v23
	s_delay_alu instid0(VALU_DEP_2) | instskip(NEXT) | instid1(VALU_DEP_2)
	v_sub_f32_e32 v161, v149, v161
	v_add_f32_e32 v160, v149, v151
	v_sub_f32_e32 v150, v151, v150
	s_delay_alu instid0(VALU_DEP_3) | instskip(NEXT) | instid1(VALU_DEP_2)
	v_sub_f32_e32 v22, v22, v161
	v_dual_sub_f32 v162, v160, v149 :: v_dual_sub_f32 v23, v23, v150
	s_delay_alu instid0(VALU_DEP_1) | instskip(NEXT) | instid1(VALU_DEP_2)
	v_sub_f32_e32 v163, v160, v162
	v_dual_sub_f32 v150, v151, v162 :: v_dual_add_f32 v151, v22, v23
	s_delay_alu instid0(VALU_DEP_2) | instskip(NEXT) | instid1(VALU_DEP_1)
	v_sub_f32_e32 v149, v149, v163
	v_dual_add_f32 v149, v150, v149 :: v_dual_sub_f32 v150, v151, v22
	s_delay_alu instid0(VALU_DEP_1) | instskip(NEXT) | instid1(VALU_DEP_2)
	v_add_f32_e32 v149, v151, v149
	v_sub_f32_e32 v151, v151, v150
	v_sub_f32_e32 v23, v23, v150
	s_delay_alu instid0(VALU_DEP_2) | instskip(NEXT) | instid1(VALU_DEP_1)
	v_dual_add_f32 v161, v160, v149 :: v_dual_sub_f32 v22, v22, v151
	v_sub_f32_e32 v150, v161, v160
	s_delay_alu instid0(VALU_DEP_2) | instskip(NEXT) | instid1(VALU_DEP_2)
	v_add_f32_e32 v22, v23, v22
	v_sub_f32_e32 v23, v149, v150
	s_delay_alu instid0(VALU_DEP_1) | instskip(NEXT) | instid1(VALU_DEP_1)
	v_add_f32_e32 v22, v22, v23
	v_add_f32_e32 v22, v161, v22
	s_delay_alu instid0(VALU_DEP_1) | instskip(NEXT) | instid1(VALU_DEP_1)
	v_cndmask_b32_e64 v22, v22, v148, s25
	v_add_f32_e32 v22, v17, v22
.LBB521_120:
	s_or_b32 exec_lo, exec_lo, s26
	s_delay_alu instid0(VALU_DEP_1) | instskip(SKIP_1) | instid1(VALU_DEP_2)
	v_bfe_u32 v17, v22, 16, 1
	v_cmp_o_f32_e64 s25, v22, v22
	v_add3_u32 v17, v22, v17, 0x7fff
	s_delay_alu instid0(VALU_DEP_1) | instskip(NEXT) | instid1(VALU_DEP_1)
	v_lshrrev_b32_e32 v17, 16, v17
	v_cndmask_b32_e64 v17, 0x7fc0, v17, s25
	ds_store_b16 v16, v17 offset:2
.LBB521_121:
	s_or_b32 exec_lo, exec_lo, s27
	s_waitcnt lgkmcnt(0)
	s_barrier
	buffer_gl0_inv
	s_and_saveexec_b32 s25, s1
	s_cbranch_execz .LBB521_123
; %bb.122:
	v_add_nc_u32_e32 v16, -1, v21
	s_delay_alu instid0(VALU_DEP_1) | instskip(NEXT) | instid1(VALU_DEP_1)
	v_lshrrev_b32_e32 v17, 5, v16
	v_add_lshl_u32 v16, v17, v16, 1
	ds_load_u16 v147, v16
.LBB521_123:
	s_or_b32 exec_lo, exec_lo, s25
	s_and_saveexec_b32 s29, vcc_lo
	s_cbranch_execz .LBB521_186
; %bb.124:
	v_mov_b32_e32 v23, 0
	v_mbcnt_lo_u32_b32 v149, -1, 0
	s_mov_b32 s27, 0
	ds_load_u16 v148, v23 offset:128
	v_cmp_eq_u32_e64 s25, 0, v149
	s_delay_alu instid0(VALU_DEP_1)
	s_and_saveexec_b32 vcc_hi, s25
	s_cbranch_execz .LBB521_126
; %bb.125:
	s_add_i32 s26, s28, 32
	s_waitcnt lgkmcnt(0)
	v_or_b32_e32 v22, 0x10000, v148
	s_lshl_b64 s[26:27], s[26:27], 2
	s_delay_alu instid0(SALU_CYCLE_1)
	v_add_co_u32 v16, vcc_lo, v18, s26
	v_add_co_ci_u32_e32 v17, vcc_lo, s27, v19, vcc_lo
	flat_store_b32 v[16:17], v22
.LBB521_126:
	s_or_b32 exec_lo, exec_lo, vcc_hi
	v_xad_u32 v16, v149, -1, s28
	s_mov_b32 s26, exec_lo
	s_delay_alu instid0(VALU_DEP_1) | instskip(NEXT) | instid1(VALU_DEP_1)
	v_add_nc_u32_e32 v22, 32, v16
	v_lshlrev_b64 v[22:23], 2, v[22:23]
	s_delay_alu instid0(VALU_DEP_1) | instskip(NEXT) | instid1(VALU_DEP_2)
	v_add_co_u32 v22, vcc_lo, v18, v22
	v_add_co_ci_u32_e32 v23, vcc_lo, v19, v23, vcc_lo
	flat_load_b32 v178, v[22:23] glc
	s_waitcnt vmcnt(0) lgkmcnt(0)
	v_lshrrev_b32_e32 v150, 16, v178
	s_delay_alu instid0(VALU_DEP_1) | instskip(NEXT) | instid1(VALU_DEP_1)
	v_and_b32_e32 v17, 0xff, v150
	v_cmpx_eq_u16_e32 0, v17
	s_cbranch_execz .LBB521_130
; %bb.127:
	s_mov_b32 s27, 0
.LBB521_128:                            ; =>This Inner Loop Header: Depth=1
	flat_load_b32 v178, v[22:23] glc
	s_waitcnt vmcnt(0) lgkmcnt(0)
	v_lshrrev_b32_e32 v150, 16, v178
	s_delay_alu instid0(VALU_DEP_1) | instskip(NEXT) | instid1(VALU_DEP_1)
	v_and_b32_e32 v17, 0xff, v150
	v_cmp_ne_u16_e32 vcc_lo, 0, v17
	s_or_b32 s27, vcc_lo, s27
	s_delay_alu instid0(SALU_CYCLE_1)
	s_and_not1_b32 exec_lo, exec_lo, s27
	s_cbranch_execnz .LBB521_128
; %bb.129:
	s_or_b32 exec_lo, exec_lo, s27
.LBB521_130:
	s_delay_alu instid0(SALU_CYCLE_1)
	s_or_b32 exec_lo, exec_lo, s26
	v_cmp_ne_u32_e32 vcc_lo, 31, v149
	v_and_b32_e32 v23, 0xff, v150
	v_and_b32_e32 v22, 0xffff, v178
	v_lshlrev_b32_e64 v160, v149, -1
	s_mov_b32 s26, exec_lo
	v_add_co_ci_u32_e32 v17, vcc_lo, 0, v149, vcc_lo
	v_cmp_eq_u16_e32 vcc_lo, 2, v23
	s_delay_alu instid0(VALU_DEP_2) | instskip(SKIP_3) | instid1(VALU_DEP_1)
	v_lshlrev_b32_e32 v151, 2, v17
	v_and_or_b32 v17, vcc_lo, v160, 0x80000000
	ds_bpermute_b32 v23, v151, v22
	v_ctz_i32_b32_e32 v17, v17
	v_cmpx_lt_u32_e64 v149, v17
	s_cbranch_execz .LBB521_134
; %bb.131:
	s_waitcnt lgkmcnt(0)
	v_lshlrev_b32_e32 v23, 16, v23
	s_delay_alu instid0(VALU_DEP_1) | instskip(SKIP_2) | instid1(VALU_DEP_2)
	v_max_f32_e32 v162, v23, v23
	v_lshlrev_b32_e32 v22, 16, v22
	v_cmp_u_f32_e32 vcc_lo, v23, v23
	v_max_f32_e32 v161, v22, v22
	s_delay_alu instid0(VALU_DEP_1) | instskip(NEXT) | instid1(VALU_DEP_1)
	v_min_f32_e32 v163, v162, v161
	v_dual_max_f32 v161, v162, v161 :: v_dual_cndmask_b32 v162, v163, v23
	s_delay_alu instid0(VALU_DEP_1) | instskip(SKIP_1) | instid1(VALU_DEP_3)
	v_cndmask_b32_e32 v163, v161, v23, vcc_lo
	v_cmp_u_f32_e32 vcc_lo, v22, v22
	v_cndmask_b32_e32 v161, v162, v22, vcc_lo
	s_delay_alu instid0(VALU_DEP_3) | instskip(NEXT) | instid1(VALU_DEP_2)
	v_cndmask_b32_e32 v22, v163, v22, vcc_lo
	v_cmp_class_f32_e64 s27, v161, 0x1f8
	s_delay_alu instid0(VALU_DEP_2) | instskip(NEXT) | instid1(VALU_DEP_2)
	v_cmp_neq_f32_e32 vcc_lo, v161, v22
	s_or_b32 vcc_lo, vcc_lo, s27
	s_delay_alu instid0(SALU_CYCLE_1)
	s_and_saveexec_b32 s27, vcc_lo
	s_cbranch_execz .LBB521_133
; %bb.132:
	v_sub_f32_e32 v23, v161, v22
	s_mov_b32 s30, 0x3e9b6dac
	s_delay_alu instid0(VALU_DEP_1) | instskip(SKIP_1) | instid1(VALU_DEP_2)
	v_mul_f32_e32 v161, 0x3fb8aa3b, v23
	v_cmp_ngt_f32_e32 vcc_lo, 0xc2ce8ed0, v23
	v_fma_f32 v162, 0x3fb8aa3b, v23, -v161
	v_rndne_f32_e32 v163, v161
	s_delay_alu instid0(VALU_DEP_1) | instskip(NEXT) | instid1(VALU_DEP_1)
	v_dual_fmamk_f32 v162, v23, 0x32a5705f, v162 :: v_dual_sub_f32 v161, v161, v163
	v_add_f32_e32 v161, v161, v162
	v_cvt_i32_f32_e32 v162, v163
	s_delay_alu instid0(VALU_DEP_2) | instskip(SKIP_2) | instid1(VALU_DEP_1)
	v_exp_f32_e32 v161, v161
	s_waitcnt_depctr 0xfff
	v_ldexp_f32 v161, v161, v162
	v_cndmask_b32_e32 v161, 0, v161, vcc_lo
	v_cmp_nlt_f32_e32 vcc_lo, 0x42b17218, v23
	s_delay_alu instid0(VALU_DEP_2) | instskip(NEXT) | instid1(VALU_DEP_1)
	v_cndmask_b32_e32 v23, 0x7f800000, v161, vcc_lo
	v_add_f32_e32 v163, 1.0, v23
	s_delay_alu instid0(VALU_DEP_1) | instskip(NEXT) | instid1(VALU_DEP_1)
	v_cvt_f64_f32_e32 v[161:162], v163
	v_frexp_exp_i32_f64_e32 v161, v[161:162]
	v_frexp_mant_f32_e32 v162, v163
	s_delay_alu instid0(VALU_DEP_1) | instskip(SKIP_1) | instid1(VALU_DEP_1)
	v_cmp_gt_f32_e32 vcc_lo, 0x3f2aaaab, v162
	v_add_f32_e32 v162, -1.0, v163
	v_dual_sub_f32 v165, v162, v163 :: v_dual_sub_f32 v162, v23, v162
	s_delay_alu instid0(VALU_DEP_1) | instskip(NEXT) | instid1(VALU_DEP_1)
	v_add_f32_e32 v165, 1.0, v165
	v_add_f32_e32 v162, v162, v165
	v_subrev_co_ci_u32_e32 v161, vcc_lo, 0, v161, vcc_lo
	s_delay_alu instid0(VALU_DEP_1) | instskip(SKIP_1) | instid1(VALU_DEP_2)
	v_sub_nc_u32_e32 v164, 0, v161
	v_cvt_f32_i32_e32 v161, v161
	v_ldexp_f32 v163, v163, v164
	v_ldexp_f32 v162, v162, v164
	s_delay_alu instid0(VALU_DEP_2) | instskip(NEXT) | instid1(VALU_DEP_1)
	v_add_f32_e32 v166, 1.0, v163
	v_dual_add_f32 v164, -1.0, v163 :: v_dual_add_f32 v165, -1.0, v166
	s_delay_alu instid0(VALU_DEP_1) | instskip(NEXT) | instid1(VALU_DEP_2)
	v_add_f32_e32 v167, 1.0, v164
	v_sub_f32_e32 v165, v163, v165
	s_delay_alu instid0(VALU_DEP_2) | instskip(NEXT) | instid1(VALU_DEP_2)
	v_sub_f32_e32 v163, v163, v167
	v_add_f32_e32 v165, v162, v165
	s_delay_alu instid0(VALU_DEP_2) | instskip(SKIP_2) | instid1(VALU_DEP_3)
	v_add_f32_e32 v162, v162, v163
	v_cmp_eq_f32_e32 vcc_lo, 0x7f800000, v23
	v_cmp_gt_f32_e64 vcc_hi, 0x33800000, |v23|
	v_add_f32_e32 v176, v164, v162
	s_delay_alu instid0(VALU_DEP_2) | instskip(NEXT) | instid1(VALU_DEP_1)
	s_or_b32 vcc_lo, vcc_lo, vcc_hi
	v_dual_sub_f32 v164, v164, v176 :: v_dual_add_f32 v167, v166, v165
	s_delay_alu instid0(VALU_DEP_1) | instskip(NEXT) | instid1(VALU_DEP_2)
	v_add_f32_e32 v162, v162, v164
	v_rcp_f32_e32 v163, v167
	v_sub_f32_e32 v166, v166, v167
	s_delay_alu instid0(VALU_DEP_1) | instskip(SKIP_2) | instid1(VALU_DEP_1)
	v_add_f32_e32 v165, v165, v166
	s_waitcnt_depctr 0xfff
	v_mul_f32_e32 v177, v176, v163
	v_mul_f32_e32 v178, v167, v177
	s_delay_alu instid0(VALU_DEP_1) | instskip(NEXT) | instid1(VALU_DEP_1)
	v_fma_f32 v166, v177, v167, -v178
	v_fmac_f32_e32 v166, v177, v165
	s_delay_alu instid0(VALU_DEP_1) | instskip(NEXT) | instid1(VALU_DEP_1)
	v_add_f32_e32 v179, v178, v166
	v_sub_f32_e32 v180, v176, v179
	v_sub_f32_e32 v164, v179, v178
	s_delay_alu instid0(VALU_DEP_2) | instskip(NEXT) | instid1(VALU_DEP_1)
	v_sub_f32_e32 v176, v176, v180
	v_sub_f32_e32 v176, v176, v179
	s_delay_alu instid0(VALU_DEP_3) | instskip(NEXT) | instid1(VALU_DEP_2)
	v_sub_f32_e32 v164, v164, v166
	v_add_f32_e32 v162, v162, v176
	s_delay_alu instid0(VALU_DEP_1) | instskip(NEXT) | instid1(VALU_DEP_1)
	v_add_f32_e32 v162, v164, v162
	v_add_f32_e32 v164, v180, v162
	s_delay_alu instid0(VALU_DEP_1) | instskip(NEXT) | instid1(VALU_DEP_1)
	v_mul_f32_e32 v166, v163, v164
	v_dual_sub_f32 v179, v180, v164 :: v_dual_mul_f32 v176, v167, v166
	s_delay_alu instid0(VALU_DEP_1) | instskip(NEXT) | instid1(VALU_DEP_2)
	v_add_f32_e32 v162, v162, v179
	v_fma_f32 v167, v166, v167, -v176
	s_delay_alu instid0(VALU_DEP_1) | instskip(NEXT) | instid1(VALU_DEP_1)
	v_fmac_f32_e32 v167, v166, v165
	v_add_f32_e32 v165, v176, v167
	s_delay_alu instid0(VALU_DEP_1) | instskip(NEXT) | instid1(VALU_DEP_1)
	v_sub_f32_e32 v178, v164, v165
	v_sub_f32_e32 v164, v164, v178
	s_delay_alu instid0(VALU_DEP_1) | instskip(NEXT) | instid1(VALU_DEP_1)
	v_sub_f32_e32 v164, v164, v165
	v_add_f32_e32 v162, v162, v164
	v_add_f32_e32 v164, v177, v166
	v_sub_f32_e32 v176, v165, v176
	s_delay_alu instid0(VALU_DEP_1) | instskip(NEXT) | instid1(VALU_DEP_1)
	v_sub_f32_e32 v165, v176, v167
	v_dual_add_f32 v162, v165, v162 :: v_dual_sub_f32 v165, v164, v177
	s_delay_alu instid0(VALU_DEP_1) | instskip(NEXT) | instid1(VALU_DEP_1)
	v_add_f32_e32 v162, v178, v162
	v_dual_sub_f32 v165, v166, v165 :: v_dual_mul_f32 v162, v163, v162
	s_delay_alu instid0(VALU_DEP_1) | instskip(NEXT) | instid1(VALU_DEP_1)
	v_add_f32_e32 v162, v165, v162
	v_add_f32_e32 v163, v164, v162
	s_delay_alu instid0(VALU_DEP_1) | instskip(NEXT) | instid1(VALU_DEP_1)
	v_mul_f32_e32 v165, v163, v163
	v_fmaak_f32 v166, s30, v165, 0x3ecc95a3
	v_mul_f32_e32 v167, v163, v165
	s_delay_alu instid0(VALU_DEP_2) | instskip(SKIP_1) | instid1(VALU_DEP_2)
	v_fmaak_f32 v165, v165, v166, 0x3f2aaada
	v_ldexp_f32 v166, v163, 1
	v_mul_f32_e32 v165, v167, v165
	v_mul_f32_e32 v167, 0x3f317218, v161
	s_delay_alu instid0(VALU_DEP_2) | instskip(NEXT) | instid1(VALU_DEP_1)
	v_dual_sub_f32 v163, v163, v164 :: v_dual_add_f32 v164, v166, v165
	v_dual_sub_f32 v162, v162, v163 :: v_dual_sub_f32 v163, v164, v166
	s_delay_alu instid0(VALU_DEP_3) | instskip(NEXT) | instid1(VALU_DEP_2)
	v_fma_f32 v166, 0x3f317218, v161, -v167
	v_ldexp_f32 v162, v162, 1
	s_delay_alu instid0(VALU_DEP_3) | instskip(NEXT) | instid1(VALU_DEP_1)
	v_sub_f32_e32 v163, v165, v163
	v_dual_fmamk_f32 v161, v161, 0xb102e308, v166 :: v_dual_add_f32 v162, v162, v163
	s_delay_alu instid0(VALU_DEP_1) | instskip(NEXT) | instid1(VALU_DEP_1)
	v_add_f32_e32 v163, v167, v161
	v_sub_f32_e32 v167, v163, v167
	s_delay_alu instid0(VALU_DEP_3) | instskip(NEXT) | instid1(VALU_DEP_1)
	v_add_f32_e32 v165, v164, v162
	v_dual_sub_f32 v161, v161, v167 :: v_dual_add_f32 v166, v163, v165
	v_sub_f32_e32 v164, v165, v164
	s_delay_alu instid0(VALU_DEP_2) | instskip(NEXT) | instid1(VALU_DEP_1)
	v_sub_f32_e32 v176, v166, v163
	v_sub_f32_e32 v177, v166, v176
	s_delay_alu instid0(VALU_DEP_1) | instskip(SKIP_1) | instid1(VALU_DEP_1)
	v_dual_sub_f32 v163, v163, v177 :: v_dual_sub_f32 v162, v162, v164
	v_sub_f32_e32 v164, v165, v176
	v_add_f32_e32 v163, v164, v163
	s_delay_alu instid0(VALU_DEP_3) | instskip(NEXT) | instid1(VALU_DEP_1)
	v_add_f32_e32 v165, v161, v162
	v_sub_f32_e32 v164, v165, v161
	s_delay_alu instid0(VALU_DEP_1) | instskip(NEXT) | instid1(VALU_DEP_1)
	v_dual_add_f32 v163, v165, v163 :: v_dual_sub_f32 v162, v162, v164
	v_add_f32_e32 v167, v166, v163
	s_delay_alu instid0(VALU_DEP_1) | instskip(NEXT) | instid1(VALU_DEP_1)
	v_dual_sub_f32 v165, v165, v164 :: v_dual_sub_f32 v164, v167, v166
	v_sub_f32_e32 v161, v161, v165
	s_delay_alu instid0(VALU_DEP_1) | instskip(NEXT) | instid1(VALU_DEP_1)
	v_dual_add_f32 v161, v162, v161 :: v_dual_sub_f32 v162, v163, v164
	v_add_f32_e32 v161, v161, v162
	s_delay_alu instid0(VALU_DEP_1) | instskip(NEXT) | instid1(VALU_DEP_1)
	v_add_f32_e32 v161, v167, v161
	v_cndmask_b32_e32 v23, v161, v23, vcc_lo
	s_delay_alu instid0(VALU_DEP_1)
	v_add_f32_e32 v23, v22, v23
.LBB521_133:
	s_or_b32 exec_lo, exec_lo, s27
	s_delay_alu instid0(VALU_DEP_1) | instskip(SKIP_1) | instid1(VALU_DEP_2)
	v_bfe_u32 v22, v23, 16, 1
	v_cmp_o_f32_e32 vcc_lo, v23, v23
	v_add3_u32 v22, v23, v22, 0x7fff
	s_delay_alu instid0(VALU_DEP_1) | instskip(NEXT) | instid1(VALU_DEP_1)
	v_lshrrev_b32_e32 v22, 16, v22
	v_cndmask_b32_e32 v178, 0x7fc0, v22, vcc_lo
	s_delay_alu instid0(VALU_DEP_1)
	v_and_b32_e32 v22, 0xffff, v178
.LBB521_134:
	s_or_b32 exec_lo, exec_lo, s26
	v_cmp_gt_u32_e32 vcc_lo, 30, v149
	v_add_nc_u32_e32 v162, 2, v149
	s_mov_b32 s26, exec_lo
	s_waitcnt lgkmcnt(0)
	v_cndmask_b32_e64 v23, 0, 1, vcc_lo
	s_delay_alu instid0(VALU_DEP_1) | instskip(NEXT) | instid1(VALU_DEP_1)
	v_lshlrev_b32_e32 v23, 1, v23
	v_add_lshl_u32 v161, v23, v149, 2
	ds_bpermute_b32 v23, v161, v22
	v_cmpx_le_u32_e64 v162, v17
	s_cbranch_execz .LBB521_138
; %bb.135:
	s_waitcnt lgkmcnt(0)
	v_lshlrev_b32_e32 v23, 16, v23
	s_delay_alu instid0(VALU_DEP_1) | instskip(SKIP_2) | instid1(VALU_DEP_2)
	v_max_f32_e32 v164, v23, v23
	v_lshlrev_b32_e32 v22, 16, v22
	v_cmp_u_f32_e32 vcc_lo, v23, v23
	v_max_f32_e32 v163, v22, v22
	s_delay_alu instid0(VALU_DEP_1) | instskip(SKIP_1) | instid1(VALU_DEP_2)
	v_min_f32_e32 v165, v164, v163
	v_max_f32_e32 v163, v164, v163
	v_cndmask_b32_e32 v164, v165, v23, vcc_lo
	s_delay_alu instid0(VALU_DEP_2) | instskip(SKIP_1) | instid1(VALU_DEP_3)
	v_cndmask_b32_e32 v165, v163, v23, vcc_lo
	v_cmp_u_f32_e32 vcc_lo, v22, v22
	v_cndmask_b32_e32 v163, v164, v22, vcc_lo
	s_delay_alu instid0(VALU_DEP_3) | instskip(NEXT) | instid1(VALU_DEP_2)
	v_cndmask_b32_e32 v22, v165, v22, vcc_lo
	v_cmp_class_f32_e64 s27, v163, 0x1f8
	s_delay_alu instid0(VALU_DEP_2) | instskip(NEXT) | instid1(VALU_DEP_2)
	v_cmp_neq_f32_e32 vcc_lo, v163, v22
	s_or_b32 vcc_lo, vcc_lo, s27
	s_delay_alu instid0(SALU_CYCLE_1)
	s_and_saveexec_b32 s27, vcc_lo
	s_cbranch_execz .LBB521_137
; %bb.136:
	v_sub_f32_e32 v23, v163, v22
	s_mov_b32 s30, 0x3e9b6dac
	s_delay_alu instid0(VALU_DEP_1) | instskip(SKIP_1) | instid1(VALU_DEP_2)
	v_mul_f32_e32 v163, 0x3fb8aa3b, v23
	v_cmp_ngt_f32_e32 vcc_lo, 0xc2ce8ed0, v23
	v_fma_f32 v164, 0x3fb8aa3b, v23, -v163
	v_rndne_f32_e32 v165, v163
	s_delay_alu instid0(VALU_DEP_2) | instskip(NEXT) | instid1(VALU_DEP_2)
	v_fmamk_f32 v164, v23, 0x32a5705f, v164
	v_sub_f32_e32 v163, v163, v165
	s_delay_alu instid0(VALU_DEP_1) | instskip(SKIP_1) | instid1(VALU_DEP_2)
	v_add_f32_e32 v163, v163, v164
	v_cvt_i32_f32_e32 v164, v165
	v_exp_f32_e32 v163, v163
	s_waitcnt_depctr 0xfff
	v_ldexp_f32 v163, v163, v164
	s_delay_alu instid0(VALU_DEP_1) | instskip(SKIP_1) | instid1(VALU_DEP_2)
	v_cndmask_b32_e32 v163, 0, v163, vcc_lo
	v_cmp_nlt_f32_e32 vcc_lo, 0x42b17218, v23
	v_cndmask_b32_e32 v23, 0x7f800000, v163, vcc_lo
	s_delay_alu instid0(VALU_DEP_1) | instskip(NEXT) | instid1(VALU_DEP_1)
	v_add_f32_e32 v165, 1.0, v23
	v_cvt_f64_f32_e32 v[163:164], v165
	s_delay_alu instid0(VALU_DEP_1) | instskip(SKIP_1) | instid1(VALU_DEP_1)
	v_frexp_exp_i32_f64_e32 v163, v[163:164]
	v_frexp_mant_f32_e32 v164, v165
	v_cmp_gt_f32_e32 vcc_lo, 0x3f2aaaab, v164
	v_add_f32_e32 v164, -1.0, v165
	s_delay_alu instid0(VALU_DEP_1) | instskip(NEXT) | instid1(VALU_DEP_1)
	v_dual_sub_f32 v167, v164, v165 :: v_dual_sub_f32 v164, v23, v164
	v_add_f32_e32 v167, 1.0, v167
	s_delay_alu instid0(VALU_DEP_1) | instskip(SKIP_1) | instid1(VALU_DEP_1)
	v_add_f32_e32 v164, v164, v167
	v_subrev_co_ci_u32_e32 v163, vcc_lo, 0, v163, vcc_lo
	v_sub_nc_u32_e32 v166, 0, v163
	v_cvt_f32_i32_e32 v163, v163
	s_delay_alu instid0(VALU_DEP_2) | instskip(SKIP_1) | instid1(VALU_DEP_2)
	v_ldexp_f32 v165, v165, v166
	v_ldexp_f32 v164, v164, v166
	v_add_f32_e32 v176, 1.0, v165
	v_add_f32_e32 v166, -1.0, v165
	v_cmp_eq_f32_e32 vcc_lo, 0x7f800000, v23
	v_cmp_gt_f32_e64 vcc_hi, 0x33800000, |v23|
	s_delay_alu instid0(VALU_DEP_4) | instskip(NEXT) | instid1(VALU_DEP_4)
	v_add_f32_e32 v167, -1.0, v176
	v_add_f32_e32 v177, 1.0, v166
	s_delay_alu instid0(VALU_DEP_3) | instskip(NEXT) | instid1(VALU_DEP_2)
	s_or_b32 vcc_lo, vcc_lo, vcc_hi
	v_sub_f32_e32 v167, v165, v167
	s_delay_alu instid0(VALU_DEP_2) | instskip(NEXT) | instid1(VALU_DEP_2)
	v_sub_f32_e32 v165, v165, v177
	v_add_f32_e32 v167, v164, v167
	s_delay_alu instid0(VALU_DEP_2) | instskip(NEXT) | instid1(VALU_DEP_1)
	v_add_f32_e32 v164, v164, v165
	v_add_f32_e32 v178, v166, v164
	s_delay_alu instid0(VALU_DEP_1) | instskip(NEXT) | instid1(VALU_DEP_1)
	v_dual_sub_f32 v166, v166, v178 :: v_dual_add_f32 v177, v176, v167
	v_add_f32_e32 v164, v164, v166
	s_delay_alu instid0(VALU_DEP_2) | instskip(SKIP_1) | instid1(VALU_DEP_1)
	v_rcp_f32_e32 v165, v177
	v_sub_f32_e32 v176, v176, v177
	v_add_f32_e32 v167, v167, v176
	s_waitcnt_depctr 0xfff
	v_mul_f32_e32 v179, v178, v165
	s_delay_alu instid0(VALU_DEP_1) | instskip(NEXT) | instid1(VALU_DEP_1)
	v_mul_f32_e32 v180, v177, v179
	v_fma_f32 v176, v179, v177, -v180
	s_delay_alu instid0(VALU_DEP_1) | instskip(NEXT) | instid1(VALU_DEP_1)
	v_fmac_f32_e32 v176, v179, v167
	v_add_f32_e32 v181, v180, v176
	s_delay_alu instid0(VALU_DEP_1) | instskip(SKIP_1) | instid1(VALU_DEP_2)
	v_sub_f32_e32 v182, v178, v181
	v_sub_f32_e32 v166, v181, v180
	;; [unrolled: 1-line block ×3, first 2 shown]
	s_delay_alu instid0(VALU_DEP_1) | instskip(NEXT) | instid1(VALU_DEP_3)
	v_sub_f32_e32 v178, v178, v181
	v_sub_f32_e32 v166, v166, v176
	s_delay_alu instid0(VALU_DEP_2) | instskip(NEXT) | instid1(VALU_DEP_1)
	v_add_f32_e32 v164, v164, v178
	v_add_f32_e32 v164, v166, v164
	s_delay_alu instid0(VALU_DEP_1) | instskip(NEXT) | instid1(VALU_DEP_1)
	v_add_f32_e32 v166, v182, v164
	v_mul_f32_e32 v176, v165, v166
	s_delay_alu instid0(VALU_DEP_1) | instskip(NEXT) | instid1(VALU_DEP_1)
	v_dual_sub_f32 v181, v182, v166 :: v_dual_mul_f32 v178, v177, v176
	v_add_f32_e32 v164, v164, v181
	s_delay_alu instid0(VALU_DEP_2) | instskip(NEXT) | instid1(VALU_DEP_1)
	v_fma_f32 v177, v176, v177, -v178
	v_fmac_f32_e32 v177, v176, v167
	s_delay_alu instid0(VALU_DEP_1) | instskip(NEXT) | instid1(VALU_DEP_1)
	v_add_f32_e32 v167, v178, v177
	v_sub_f32_e32 v180, v166, v167
	s_delay_alu instid0(VALU_DEP_1) | instskip(NEXT) | instid1(VALU_DEP_1)
	v_sub_f32_e32 v166, v166, v180
	v_sub_f32_e32 v166, v166, v167
	s_delay_alu instid0(VALU_DEP_1) | instskip(SKIP_2) | instid1(VALU_DEP_1)
	v_add_f32_e32 v164, v164, v166
	v_add_f32_e32 v166, v179, v176
	v_sub_f32_e32 v178, v167, v178
	v_sub_f32_e32 v167, v178, v177
	s_delay_alu instid0(VALU_DEP_1) | instskip(NEXT) | instid1(VALU_DEP_1)
	v_dual_add_f32 v164, v167, v164 :: v_dual_sub_f32 v167, v166, v179
	v_add_f32_e32 v164, v180, v164
	s_delay_alu instid0(VALU_DEP_1) | instskip(NEXT) | instid1(VALU_DEP_1)
	v_dual_sub_f32 v167, v176, v167 :: v_dual_mul_f32 v164, v165, v164
	v_add_f32_e32 v164, v167, v164
	s_delay_alu instid0(VALU_DEP_1) | instskip(NEXT) | instid1(VALU_DEP_1)
	v_add_f32_e32 v165, v166, v164
	v_mul_f32_e32 v167, v165, v165
	s_delay_alu instid0(VALU_DEP_1) | instskip(SKIP_1) | instid1(VALU_DEP_2)
	v_fmaak_f32 v176, s30, v167, 0x3ecc95a3
	v_mul_f32_e32 v177, v165, v167
	v_fmaak_f32 v167, v167, v176, 0x3f2aaada
	v_ldexp_f32 v176, v165, 1
	s_delay_alu instid0(VALU_DEP_2) | instskip(SKIP_1) | instid1(VALU_DEP_2)
	v_mul_f32_e32 v167, v177, v167
	v_mul_f32_e32 v177, 0x3f317218, v163
	v_dual_sub_f32 v165, v165, v166 :: v_dual_add_f32 v166, v176, v167
	s_delay_alu instid0(VALU_DEP_1) | instskip(NEXT) | instid1(VALU_DEP_3)
	v_dual_sub_f32 v164, v164, v165 :: v_dual_sub_f32 v165, v166, v176
	v_fma_f32 v176, 0x3f317218, v163, -v177
	s_delay_alu instid0(VALU_DEP_2) | instskip(NEXT) | instid1(VALU_DEP_3)
	v_ldexp_f32 v164, v164, 1
	v_sub_f32_e32 v165, v167, v165
	s_delay_alu instid0(VALU_DEP_1) | instskip(NEXT) | instid1(VALU_DEP_1)
	v_dual_fmamk_f32 v163, v163, 0xb102e308, v176 :: v_dual_add_f32 v164, v164, v165
	v_add_f32_e32 v165, v177, v163
	s_delay_alu instid0(VALU_DEP_1) | instskip(NEXT) | instid1(VALU_DEP_3)
	v_sub_f32_e32 v177, v165, v177
	v_add_f32_e32 v167, v166, v164
	s_delay_alu instid0(VALU_DEP_1) | instskip(SKIP_1) | instid1(VALU_DEP_2)
	v_dual_sub_f32 v163, v163, v177 :: v_dual_add_f32 v176, v165, v167
	v_sub_f32_e32 v166, v167, v166
	v_sub_f32_e32 v178, v176, v165
	s_delay_alu instid0(VALU_DEP_1) | instskip(NEXT) | instid1(VALU_DEP_1)
	v_sub_f32_e32 v179, v176, v178
	v_dual_sub_f32 v165, v165, v179 :: v_dual_sub_f32 v164, v164, v166
	v_sub_f32_e32 v166, v167, v178
	s_delay_alu instid0(VALU_DEP_1) | instskip(NEXT) | instid1(VALU_DEP_3)
	v_add_f32_e32 v165, v166, v165
	v_add_f32_e32 v167, v163, v164
	s_delay_alu instid0(VALU_DEP_1) | instskip(NEXT) | instid1(VALU_DEP_1)
	v_sub_f32_e32 v166, v167, v163
	v_dual_add_f32 v165, v167, v165 :: v_dual_sub_f32 v164, v164, v166
	s_delay_alu instid0(VALU_DEP_1) | instskip(NEXT) | instid1(VALU_DEP_1)
	v_add_f32_e32 v177, v176, v165
	v_dual_sub_f32 v167, v167, v166 :: v_dual_sub_f32 v166, v177, v176
	s_delay_alu instid0(VALU_DEP_1) | instskip(NEXT) | instid1(VALU_DEP_1)
	v_sub_f32_e32 v163, v163, v167
	v_dual_add_f32 v163, v164, v163 :: v_dual_sub_f32 v164, v165, v166
	s_delay_alu instid0(VALU_DEP_1) | instskip(NEXT) | instid1(VALU_DEP_1)
	v_add_f32_e32 v163, v163, v164
	v_add_f32_e32 v163, v177, v163
	s_delay_alu instid0(VALU_DEP_1) | instskip(NEXT) | instid1(VALU_DEP_1)
	v_cndmask_b32_e32 v23, v163, v23, vcc_lo
	v_add_f32_e32 v23, v22, v23
.LBB521_137:
	s_or_b32 exec_lo, exec_lo, s27
	s_delay_alu instid0(VALU_DEP_1) | instskip(SKIP_1) | instid1(VALU_DEP_2)
	v_bfe_u32 v22, v23, 16, 1
	v_cmp_o_f32_e32 vcc_lo, v23, v23
	v_add3_u32 v22, v23, v22, 0x7fff
	s_delay_alu instid0(VALU_DEP_1) | instskip(NEXT) | instid1(VALU_DEP_1)
	v_lshrrev_b32_e32 v22, 16, v22
	v_cndmask_b32_e32 v178, 0x7fc0, v22, vcc_lo
	s_delay_alu instid0(VALU_DEP_1)
	v_and_b32_e32 v22, 0xffff, v178
.LBB521_138:
	s_or_b32 exec_lo, exec_lo, s26
	v_cmp_gt_u32_e32 vcc_lo, 28, v149
	v_add_nc_u32_e32 v164, 4, v149
	s_mov_b32 s26, exec_lo
	s_waitcnt lgkmcnt(0)
	v_cndmask_b32_e64 v23, 0, 1, vcc_lo
	s_delay_alu instid0(VALU_DEP_1) | instskip(NEXT) | instid1(VALU_DEP_1)
	v_lshlrev_b32_e32 v23, 2, v23
	v_add_lshl_u32 v163, v23, v149, 2
	ds_bpermute_b32 v23, v163, v22
	v_cmpx_le_u32_e64 v164, v17
	s_cbranch_execz .LBB521_142
; %bb.139:
	s_waitcnt lgkmcnt(0)
	v_lshlrev_b32_e32 v23, 16, v23
	s_delay_alu instid0(VALU_DEP_1) | instskip(SKIP_2) | instid1(VALU_DEP_2)
	v_max_f32_e32 v166, v23, v23
	v_lshlrev_b32_e32 v22, 16, v22
	v_cmp_u_f32_e32 vcc_lo, v23, v23
	v_max_f32_e32 v165, v22, v22
	s_delay_alu instid0(VALU_DEP_1) | instskip(NEXT) | instid1(VALU_DEP_1)
	v_min_f32_e32 v167, v166, v165
	v_dual_max_f32 v165, v166, v165 :: v_dual_cndmask_b32 v166, v167, v23
	s_delay_alu instid0(VALU_DEP_1) | instskip(SKIP_1) | instid1(VALU_DEP_3)
	v_cndmask_b32_e32 v167, v165, v23, vcc_lo
	v_cmp_u_f32_e32 vcc_lo, v22, v22
	v_cndmask_b32_e32 v165, v166, v22, vcc_lo
	s_delay_alu instid0(VALU_DEP_3) | instskip(NEXT) | instid1(VALU_DEP_2)
	v_cndmask_b32_e32 v22, v167, v22, vcc_lo
	v_cmp_class_f32_e64 s27, v165, 0x1f8
	s_delay_alu instid0(VALU_DEP_2) | instskip(NEXT) | instid1(VALU_DEP_2)
	v_cmp_neq_f32_e32 vcc_lo, v165, v22
	s_or_b32 vcc_lo, vcc_lo, s27
	s_delay_alu instid0(SALU_CYCLE_1)
	s_and_saveexec_b32 s27, vcc_lo
	s_cbranch_execz .LBB521_141
; %bb.140:
	v_sub_f32_e32 v23, v165, v22
	s_mov_b32 s30, 0x3e9b6dac
	s_delay_alu instid0(VALU_DEP_1) | instskip(SKIP_1) | instid1(VALU_DEP_2)
	v_mul_f32_e32 v165, 0x3fb8aa3b, v23
	v_cmp_ngt_f32_e32 vcc_lo, 0xc2ce8ed0, v23
	v_fma_f32 v166, 0x3fb8aa3b, v23, -v165
	v_rndne_f32_e32 v167, v165
	s_delay_alu instid0(VALU_DEP_1) | instskip(NEXT) | instid1(VALU_DEP_1)
	v_dual_fmamk_f32 v166, v23, 0x32a5705f, v166 :: v_dual_sub_f32 v165, v165, v167
	v_add_f32_e32 v165, v165, v166
	v_cvt_i32_f32_e32 v166, v167
	s_delay_alu instid0(VALU_DEP_2) | instskip(SKIP_2) | instid1(VALU_DEP_1)
	v_exp_f32_e32 v165, v165
	s_waitcnt_depctr 0xfff
	v_ldexp_f32 v165, v165, v166
	v_cndmask_b32_e32 v165, 0, v165, vcc_lo
	v_cmp_nlt_f32_e32 vcc_lo, 0x42b17218, v23
	s_delay_alu instid0(VALU_DEP_2) | instskip(NEXT) | instid1(VALU_DEP_1)
	v_cndmask_b32_e32 v23, 0x7f800000, v165, vcc_lo
	v_add_f32_e32 v167, 1.0, v23
	s_delay_alu instid0(VALU_DEP_1) | instskip(NEXT) | instid1(VALU_DEP_1)
	v_cvt_f64_f32_e32 v[165:166], v167
	v_frexp_exp_i32_f64_e32 v165, v[165:166]
	v_frexp_mant_f32_e32 v166, v167
	s_delay_alu instid0(VALU_DEP_1) | instskip(SKIP_1) | instid1(VALU_DEP_1)
	v_cmp_gt_f32_e32 vcc_lo, 0x3f2aaaab, v166
	v_add_f32_e32 v166, -1.0, v167
	v_dual_sub_f32 v177, v166, v167 :: v_dual_sub_f32 v166, v23, v166
	s_delay_alu instid0(VALU_DEP_1) | instskip(NEXT) | instid1(VALU_DEP_1)
	v_add_f32_e32 v177, 1.0, v177
	v_add_f32_e32 v166, v166, v177
	v_subrev_co_ci_u32_e32 v165, vcc_lo, 0, v165, vcc_lo
	s_delay_alu instid0(VALU_DEP_1) | instskip(SKIP_1) | instid1(VALU_DEP_2)
	v_sub_nc_u32_e32 v176, 0, v165
	v_cvt_f32_i32_e32 v165, v165
	v_ldexp_f32 v167, v167, v176
	v_ldexp_f32 v166, v166, v176
	s_delay_alu instid0(VALU_DEP_2) | instskip(NEXT) | instid1(VALU_DEP_1)
	v_add_f32_e32 v178, 1.0, v167
	v_dual_add_f32 v176, -1.0, v167 :: v_dual_add_f32 v177, -1.0, v178
	s_delay_alu instid0(VALU_DEP_1) | instskip(NEXT) | instid1(VALU_DEP_2)
	v_add_f32_e32 v179, 1.0, v176
	v_sub_f32_e32 v177, v167, v177
	s_delay_alu instid0(VALU_DEP_2) | instskip(NEXT) | instid1(VALU_DEP_2)
	v_sub_f32_e32 v167, v167, v179
	v_add_f32_e32 v177, v166, v177
	s_delay_alu instid0(VALU_DEP_2) | instskip(SKIP_2) | instid1(VALU_DEP_3)
	v_add_f32_e32 v166, v166, v167
	v_cmp_eq_f32_e32 vcc_lo, 0x7f800000, v23
	v_cmp_gt_f32_e64 vcc_hi, 0x33800000, |v23|
	v_add_f32_e32 v180, v176, v166
	s_delay_alu instid0(VALU_DEP_2) | instskip(NEXT) | instid1(VALU_DEP_1)
	s_or_b32 vcc_lo, vcc_lo, vcc_hi
	v_dual_sub_f32 v176, v176, v180 :: v_dual_add_f32 v179, v178, v177
	s_delay_alu instid0(VALU_DEP_1) | instskip(NEXT) | instid1(VALU_DEP_2)
	v_add_f32_e32 v166, v166, v176
	v_rcp_f32_e32 v167, v179
	v_sub_f32_e32 v178, v178, v179
	s_delay_alu instid0(VALU_DEP_1) | instskip(SKIP_2) | instid1(VALU_DEP_1)
	v_add_f32_e32 v177, v177, v178
	s_waitcnt_depctr 0xfff
	v_mul_f32_e32 v181, v180, v167
	v_mul_f32_e32 v182, v179, v181
	s_delay_alu instid0(VALU_DEP_1) | instskip(NEXT) | instid1(VALU_DEP_1)
	v_fma_f32 v178, v181, v179, -v182
	v_fmac_f32_e32 v178, v181, v177
	s_delay_alu instid0(VALU_DEP_1) | instskip(NEXT) | instid1(VALU_DEP_1)
	v_add_f32_e32 v183, v182, v178
	v_sub_f32_e32 v192, v180, v183
	v_sub_f32_e32 v176, v183, v182
	s_delay_alu instid0(VALU_DEP_2) | instskip(NEXT) | instid1(VALU_DEP_1)
	v_sub_f32_e32 v180, v180, v192
	v_sub_f32_e32 v180, v180, v183
	s_delay_alu instid0(VALU_DEP_3) | instskip(NEXT) | instid1(VALU_DEP_2)
	v_sub_f32_e32 v176, v176, v178
	v_add_f32_e32 v166, v166, v180
	s_delay_alu instid0(VALU_DEP_1) | instskip(NEXT) | instid1(VALU_DEP_1)
	v_add_f32_e32 v166, v176, v166
	v_add_f32_e32 v176, v192, v166
	s_delay_alu instid0(VALU_DEP_1) | instskip(NEXT) | instid1(VALU_DEP_1)
	v_mul_f32_e32 v178, v167, v176
	v_dual_sub_f32 v183, v192, v176 :: v_dual_mul_f32 v180, v179, v178
	s_delay_alu instid0(VALU_DEP_1) | instskip(NEXT) | instid1(VALU_DEP_2)
	v_add_f32_e32 v166, v166, v183
	v_fma_f32 v179, v178, v179, -v180
	s_delay_alu instid0(VALU_DEP_1) | instskip(NEXT) | instid1(VALU_DEP_1)
	v_fmac_f32_e32 v179, v178, v177
	v_add_f32_e32 v177, v180, v179
	s_delay_alu instid0(VALU_DEP_1) | instskip(NEXT) | instid1(VALU_DEP_1)
	v_sub_f32_e32 v182, v176, v177
	v_sub_f32_e32 v176, v176, v182
	s_delay_alu instid0(VALU_DEP_1) | instskip(NEXT) | instid1(VALU_DEP_1)
	v_sub_f32_e32 v176, v176, v177
	v_add_f32_e32 v166, v166, v176
	v_add_f32_e32 v176, v181, v178
	v_sub_f32_e32 v180, v177, v180
	s_delay_alu instid0(VALU_DEP_1) | instskip(NEXT) | instid1(VALU_DEP_1)
	v_sub_f32_e32 v177, v180, v179
	v_dual_add_f32 v166, v177, v166 :: v_dual_sub_f32 v177, v176, v181
	s_delay_alu instid0(VALU_DEP_1) | instskip(NEXT) | instid1(VALU_DEP_1)
	v_add_f32_e32 v166, v182, v166
	v_dual_sub_f32 v177, v178, v177 :: v_dual_mul_f32 v166, v167, v166
	s_delay_alu instid0(VALU_DEP_1) | instskip(NEXT) | instid1(VALU_DEP_1)
	v_add_f32_e32 v166, v177, v166
	v_add_f32_e32 v167, v176, v166
	s_delay_alu instid0(VALU_DEP_1) | instskip(NEXT) | instid1(VALU_DEP_1)
	v_mul_f32_e32 v177, v167, v167
	v_fmaak_f32 v178, s30, v177, 0x3ecc95a3
	v_mul_f32_e32 v179, v167, v177
	s_delay_alu instid0(VALU_DEP_2) | instskip(SKIP_1) | instid1(VALU_DEP_2)
	v_fmaak_f32 v177, v177, v178, 0x3f2aaada
	v_ldexp_f32 v178, v167, 1
	v_mul_f32_e32 v177, v179, v177
	v_mul_f32_e32 v179, 0x3f317218, v165
	s_delay_alu instid0(VALU_DEP_2) | instskip(NEXT) | instid1(VALU_DEP_1)
	v_dual_sub_f32 v167, v167, v176 :: v_dual_add_f32 v176, v178, v177
	v_dual_sub_f32 v166, v166, v167 :: v_dual_sub_f32 v167, v176, v178
	s_delay_alu instid0(VALU_DEP_3) | instskip(NEXT) | instid1(VALU_DEP_2)
	v_fma_f32 v178, 0x3f317218, v165, -v179
	v_ldexp_f32 v166, v166, 1
	s_delay_alu instid0(VALU_DEP_3) | instskip(NEXT) | instid1(VALU_DEP_1)
	v_sub_f32_e32 v167, v177, v167
	v_dual_fmamk_f32 v165, v165, 0xb102e308, v178 :: v_dual_add_f32 v166, v166, v167
	s_delay_alu instid0(VALU_DEP_1) | instskip(NEXT) | instid1(VALU_DEP_1)
	v_add_f32_e32 v167, v179, v165
	v_sub_f32_e32 v179, v167, v179
	s_delay_alu instid0(VALU_DEP_3) | instskip(NEXT) | instid1(VALU_DEP_1)
	v_add_f32_e32 v177, v176, v166
	v_dual_sub_f32 v165, v165, v179 :: v_dual_add_f32 v178, v167, v177
	v_sub_f32_e32 v176, v177, v176
	s_delay_alu instid0(VALU_DEP_2) | instskip(NEXT) | instid1(VALU_DEP_1)
	v_sub_f32_e32 v180, v178, v167
	v_sub_f32_e32 v181, v178, v180
	s_delay_alu instid0(VALU_DEP_1) | instskip(SKIP_1) | instid1(VALU_DEP_1)
	v_dual_sub_f32 v167, v167, v181 :: v_dual_sub_f32 v166, v166, v176
	v_sub_f32_e32 v176, v177, v180
	v_add_f32_e32 v167, v176, v167
	s_delay_alu instid0(VALU_DEP_3) | instskip(NEXT) | instid1(VALU_DEP_1)
	v_add_f32_e32 v177, v165, v166
	v_sub_f32_e32 v176, v177, v165
	s_delay_alu instid0(VALU_DEP_1) | instskip(NEXT) | instid1(VALU_DEP_1)
	v_dual_add_f32 v167, v177, v167 :: v_dual_sub_f32 v166, v166, v176
	v_add_f32_e32 v179, v178, v167
	s_delay_alu instid0(VALU_DEP_1) | instskip(NEXT) | instid1(VALU_DEP_1)
	v_dual_sub_f32 v177, v177, v176 :: v_dual_sub_f32 v176, v179, v178
	v_sub_f32_e32 v165, v165, v177
	s_delay_alu instid0(VALU_DEP_1) | instskip(NEXT) | instid1(VALU_DEP_1)
	v_dual_add_f32 v165, v166, v165 :: v_dual_sub_f32 v166, v167, v176
	v_add_f32_e32 v165, v165, v166
	s_delay_alu instid0(VALU_DEP_1) | instskip(NEXT) | instid1(VALU_DEP_1)
	v_add_f32_e32 v165, v179, v165
	v_cndmask_b32_e32 v23, v165, v23, vcc_lo
	s_delay_alu instid0(VALU_DEP_1)
	v_add_f32_e32 v23, v22, v23
.LBB521_141:
	s_or_b32 exec_lo, exec_lo, s27
	s_delay_alu instid0(VALU_DEP_1) | instskip(SKIP_1) | instid1(VALU_DEP_2)
	v_bfe_u32 v22, v23, 16, 1
	v_cmp_o_f32_e32 vcc_lo, v23, v23
	v_add3_u32 v22, v23, v22, 0x7fff
	s_delay_alu instid0(VALU_DEP_1) | instskip(NEXT) | instid1(VALU_DEP_1)
	v_lshrrev_b32_e32 v22, 16, v22
	v_cndmask_b32_e32 v178, 0x7fc0, v22, vcc_lo
	s_delay_alu instid0(VALU_DEP_1)
	v_and_b32_e32 v22, 0xffff, v178
.LBB521_142:
	s_or_b32 exec_lo, exec_lo, s26
	v_cmp_gt_u32_e32 vcc_lo, 24, v149
	v_add_nc_u32_e32 v166, 8, v149
	s_mov_b32 s26, exec_lo
	s_waitcnt lgkmcnt(0)
	v_cndmask_b32_e64 v23, 0, 1, vcc_lo
	s_delay_alu instid0(VALU_DEP_1) | instskip(NEXT) | instid1(VALU_DEP_1)
	v_lshlrev_b32_e32 v23, 3, v23
	v_add_lshl_u32 v165, v23, v149, 2
	ds_bpermute_b32 v23, v165, v22
	v_cmpx_le_u32_e64 v166, v17
	s_cbranch_execz .LBB521_146
; %bb.143:
	s_waitcnt lgkmcnt(0)
	v_lshlrev_b32_e32 v23, 16, v23
	s_delay_alu instid0(VALU_DEP_1) | instskip(SKIP_2) | instid1(VALU_DEP_2)
	v_max_f32_e32 v176, v23, v23
	v_lshlrev_b32_e32 v22, 16, v22
	v_cmp_u_f32_e32 vcc_lo, v23, v23
	v_max_f32_e32 v167, v22, v22
	s_delay_alu instid0(VALU_DEP_1) | instskip(SKIP_1) | instid1(VALU_DEP_2)
	v_min_f32_e32 v177, v176, v167
	v_max_f32_e32 v167, v176, v167
	v_cndmask_b32_e32 v176, v177, v23, vcc_lo
	s_delay_alu instid0(VALU_DEP_2) | instskip(SKIP_1) | instid1(VALU_DEP_3)
	v_cndmask_b32_e32 v177, v167, v23, vcc_lo
	v_cmp_u_f32_e32 vcc_lo, v22, v22
	v_cndmask_b32_e32 v167, v176, v22, vcc_lo
	s_delay_alu instid0(VALU_DEP_3) | instskip(NEXT) | instid1(VALU_DEP_2)
	v_cndmask_b32_e32 v22, v177, v22, vcc_lo
	v_cmp_class_f32_e64 s27, v167, 0x1f8
	s_delay_alu instid0(VALU_DEP_2) | instskip(NEXT) | instid1(VALU_DEP_2)
	v_cmp_neq_f32_e32 vcc_lo, v167, v22
	s_or_b32 vcc_lo, vcc_lo, s27
	s_delay_alu instid0(SALU_CYCLE_1)
	s_and_saveexec_b32 s27, vcc_lo
	s_cbranch_execz .LBB521_145
; %bb.144:
	v_sub_f32_e32 v23, v167, v22
	s_mov_b32 s30, 0x3e9b6dac
	s_delay_alu instid0(VALU_DEP_1) | instskip(SKIP_1) | instid1(VALU_DEP_2)
	v_mul_f32_e32 v167, 0x3fb8aa3b, v23
	v_cmp_ngt_f32_e32 vcc_lo, 0xc2ce8ed0, v23
	v_fma_f32 v176, 0x3fb8aa3b, v23, -v167
	v_rndne_f32_e32 v177, v167
	s_delay_alu instid0(VALU_DEP_2) | instskip(NEXT) | instid1(VALU_DEP_2)
	v_fmamk_f32 v176, v23, 0x32a5705f, v176
	v_sub_f32_e32 v167, v167, v177
	s_delay_alu instid0(VALU_DEP_1) | instskip(SKIP_1) | instid1(VALU_DEP_2)
	v_add_f32_e32 v167, v167, v176
	v_cvt_i32_f32_e32 v176, v177
	v_exp_f32_e32 v167, v167
	s_waitcnt_depctr 0xfff
	v_ldexp_f32 v167, v167, v176
	s_delay_alu instid0(VALU_DEP_1) | instskip(SKIP_1) | instid1(VALU_DEP_2)
	v_cndmask_b32_e32 v167, 0, v167, vcc_lo
	v_cmp_nlt_f32_e32 vcc_lo, 0x42b17218, v23
	v_cndmask_b32_e32 v23, 0x7f800000, v167, vcc_lo
	s_delay_alu instid0(VALU_DEP_1) | instskip(NEXT) | instid1(VALU_DEP_1)
	v_add_f32_e32 v167, 1.0, v23
	v_cvt_f64_f32_e32 v[176:177], v167
	s_delay_alu instid0(VALU_DEP_1) | instskip(SKIP_1) | instid1(VALU_DEP_1)
	v_frexp_exp_i32_f64_e32 v176, v[176:177]
	v_frexp_mant_f32_e32 v177, v167
	v_cmp_gt_f32_e32 vcc_lo, 0x3f2aaaab, v177
	v_add_f32_e32 v177, -1.0, v167
	s_delay_alu instid0(VALU_DEP_1) | instskip(NEXT) | instid1(VALU_DEP_1)
	v_sub_f32_e32 v179, v177, v167
	v_add_f32_e32 v179, 1.0, v179
	v_subrev_co_ci_u32_e32 v176, vcc_lo, 0, v176, vcc_lo
	s_delay_alu instid0(VALU_DEP_1) | instskip(SKIP_1) | instid1(VALU_DEP_2)
	v_sub_nc_u32_e32 v178, 0, v176
	v_cvt_f32_i32_e32 v176, v176
	v_ldexp_f32 v167, v167, v178
	s_delay_alu instid0(VALU_DEP_1) | instskip(NEXT) | instid1(VALU_DEP_1)
	v_dual_sub_f32 v177, v23, v177 :: v_dual_add_f32 v180, 1.0, v167
	v_add_f32_e32 v177, v177, v179
	s_delay_alu instid0(VALU_DEP_1) | instskip(NEXT) | instid1(VALU_DEP_3)
	v_ldexp_f32 v177, v177, v178
	v_dual_add_f32 v178, -1.0, v167 :: v_dual_add_f32 v179, -1.0, v180
	s_delay_alu instid0(VALU_DEP_1) | instskip(NEXT) | instid1(VALU_DEP_2)
	v_add_f32_e32 v181, 1.0, v178
	v_sub_f32_e32 v179, v167, v179
	s_delay_alu instid0(VALU_DEP_2) | instskip(NEXT) | instid1(VALU_DEP_2)
	v_sub_f32_e32 v167, v167, v181
	v_add_f32_e32 v179, v177, v179
	s_delay_alu instid0(VALU_DEP_2) | instskip(NEXT) | instid1(VALU_DEP_2)
	v_add_f32_e32 v167, v177, v167
	v_add_f32_e32 v181, v180, v179
	s_delay_alu instid0(VALU_DEP_2) | instskip(NEXT) | instid1(VALU_DEP_2)
	v_add_f32_e32 v182, v178, v167
	v_rcp_f32_e32 v177, v181
	v_sub_f32_e32 v180, v180, v181
	s_delay_alu instid0(VALU_DEP_2) | instskip(SKIP_1) | instid1(VALU_DEP_3)
	v_sub_f32_e32 v178, v178, v182
	v_cmp_eq_f32_e32 vcc_lo, 0x7f800000, v23
	v_add_f32_e32 v179, v179, v180
	v_cmp_gt_f32_e64 vcc_hi, 0x33800000, |v23|
	s_delay_alu instid0(VALU_DEP_4) | instskip(NEXT) | instid1(TRANS32_DEP_1)
	v_add_f32_e32 v167, v167, v178
	v_mul_f32_e32 v183, v182, v177
	s_delay_alu instid0(VALU_DEP_3) | instskip(NEXT) | instid1(VALU_DEP_1)
	s_or_b32 vcc_lo, vcc_lo, vcc_hi
	v_mul_f32_e32 v192, v181, v183
	s_delay_alu instid0(VALU_DEP_1) | instskip(NEXT) | instid1(VALU_DEP_1)
	v_fma_f32 v180, v183, v181, -v192
	v_fmac_f32_e32 v180, v183, v179
	s_delay_alu instid0(VALU_DEP_1) | instskip(NEXT) | instid1(VALU_DEP_1)
	v_add_f32_e32 v193, v192, v180
	v_sub_f32_e32 v194, v182, v193
	v_sub_f32_e32 v178, v193, v192
	s_delay_alu instid0(VALU_DEP_2) | instskip(NEXT) | instid1(VALU_DEP_2)
	v_sub_f32_e32 v182, v182, v194
	v_sub_f32_e32 v178, v178, v180
	s_delay_alu instid0(VALU_DEP_2) | instskip(NEXT) | instid1(VALU_DEP_1)
	v_sub_f32_e32 v182, v182, v193
	v_add_f32_e32 v167, v167, v182
	s_delay_alu instid0(VALU_DEP_1) | instskip(NEXT) | instid1(VALU_DEP_1)
	v_add_f32_e32 v167, v178, v167
	v_add_f32_e32 v178, v194, v167
	s_delay_alu instid0(VALU_DEP_1) | instskip(NEXT) | instid1(VALU_DEP_1)
	v_mul_f32_e32 v180, v177, v178
	v_dual_sub_f32 v193, v194, v178 :: v_dual_mul_f32 v182, v181, v180
	s_delay_alu instid0(VALU_DEP_1) | instskip(NEXT) | instid1(VALU_DEP_2)
	v_add_f32_e32 v167, v167, v193
	v_fma_f32 v181, v180, v181, -v182
	s_delay_alu instid0(VALU_DEP_1) | instskip(NEXT) | instid1(VALU_DEP_1)
	v_fmac_f32_e32 v181, v180, v179
	v_add_f32_e32 v179, v182, v181
	s_delay_alu instid0(VALU_DEP_1) | instskip(SKIP_1) | instid1(VALU_DEP_2)
	v_sub_f32_e32 v192, v178, v179
	v_sub_f32_e32 v182, v179, v182
	v_sub_f32_e32 v178, v178, v192
	s_delay_alu instid0(VALU_DEP_1) | instskip(NEXT) | instid1(VALU_DEP_3)
	v_sub_f32_e32 v178, v178, v179
	v_sub_f32_e32 v179, v182, v181
	s_delay_alu instid0(VALU_DEP_2) | instskip(SKIP_1) | instid1(VALU_DEP_2)
	v_add_f32_e32 v167, v167, v178
	v_add_f32_e32 v178, v183, v180
	;; [unrolled: 1-line block ×3, first 2 shown]
	s_delay_alu instid0(VALU_DEP_2) | instskip(NEXT) | instid1(VALU_DEP_2)
	v_sub_f32_e32 v179, v178, v183
	v_add_f32_e32 v167, v192, v167
	s_delay_alu instid0(VALU_DEP_2) | instskip(NEXT) | instid1(VALU_DEP_2)
	v_sub_f32_e32 v179, v180, v179
	v_mul_f32_e32 v167, v177, v167
	s_delay_alu instid0(VALU_DEP_1) | instskip(NEXT) | instid1(VALU_DEP_1)
	v_add_f32_e32 v167, v179, v167
	v_add_f32_e32 v177, v178, v167
	s_delay_alu instid0(VALU_DEP_1) | instskip(NEXT) | instid1(VALU_DEP_1)
	v_mul_f32_e32 v179, v177, v177
	v_fmaak_f32 v180, s30, v179, 0x3ecc95a3
	v_mul_f32_e32 v181, v177, v179
	s_delay_alu instid0(VALU_DEP_2) | instskip(SKIP_2) | instid1(VALU_DEP_3)
	v_fmaak_f32 v179, v179, v180, 0x3f2aaada
	v_ldexp_f32 v180, v177, 1
	v_sub_f32_e32 v177, v177, v178
	v_mul_f32_e32 v179, v181, v179
	v_mul_f32_e32 v181, 0x3f317218, v176
	s_delay_alu instid0(VALU_DEP_2) | instskip(NEXT) | instid1(VALU_DEP_1)
	v_dual_sub_f32 v167, v167, v177 :: v_dual_add_f32 v178, v180, v179
	v_ldexp_f32 v167, v167, 1
	s_delay_alu instid0(VALU_DEP_2) | instskip(NEXT) | instid1(VALU_DEP_4)
	v_sub_f32_e32 v177, v178, v180
	v_fma_f32 v180, 0x3f317218, v176, -v181
	s_delay_alu instid0(VALU_DEP_1) | instskip(NEXT) | instid1(VALU_DEP_1)
	v_dual_sub_f32 v177, v179, v177 :: v_dual_fmamk_f32 v176, v176, 0xb102e308, v180
	v_add_f32_e32 v167, v167, v177
	s_delay_alu instid0(VALU_DEP_2) | instskip(NEXT) | instid1(VALU_DEP_2)
	v_add_f32_e32 v177, v181, v176
	v_add_f32_e32 v179, v178, v167
	s_delay_alu instid0(VALU_DEP_2) | instskip(NEXT) | instid1(VALU_DEP_2)
	v_sub_f32_e32 v181, v177, v181
	v_add_f32_e32 v180, v177, v179
	v_sub_f32_e32 v178, v179, v178
	s_delay_alu instid0(VALU_DEP_3) | instskip(NEXT) | instid1(VALU_DEP_2)
	v_sub_f32_e32 v176, v176, v181
	v_dual_sub_f32 v182, v180, v177 :: v_dual_sub_f32 v167, v167, v178
	s_delay_alu instid0(VALU_DEP_1) | instskip(NEXT) | instid1(VALU_DEP_2)
	v_sub_f32_e32 v183, v180, v182
	v_dual_sub_f32 v178, v179, v182 :: v_dual_add_f32 v179, v176, v167
	s_delay_alu instid0(VALU_DEP_2) | instskip(NEXT) | instid1(VALU_DEP_1)
	v_sub_f32_e32 v177, v177, v183
	v_dual_add_f32 v177, v178, v177 :: v_dual_sub_f32 v178, v179, v176
	s_delay_alu instid0(VALU_DEP_1) | instskip(NEXT) | instid1(VALU_DEP_2)
	v_add_f32_e32 v177, v179, v177
	v_sub_f32_e32 v179, v179, v178
	v_sub_f32_e32 v167, v167, v178
	s_delay_alu instid0(VALU_DEP_3) | instskip(NEXT) | instid1(VALU_DEP_3)
	v_add_f32_e32 v181, v180, v177
	v_sub_f32_e32 v176, v176, v179
	s_delay_alu instid0(VALU_DEP_2) | instskip(NEXT) | instid1(VALU_DEP_1)
	v_sub_f32_e32 v178, v181, v180
	v_dual_add_f32 v167, v167, v176 :: v_dual_sub_f32 v176, v177, v178
	s_delay_alu instid0(VALU_DEP_1) | instskip(NEXT) | instid1(VALU_DEP_1)
	v_add_f32_e32 v167, v167, v176
	v_add_f32_e32 v167, v181, v167
	s_delay_alu instid0(VALU_DEP_1) | instskip(NEXT) | instid1(VALU_DEP_1)
	v_cndmask_b32_e32 v23, v167, v23, vcc_lo
	v_add_f32_e32 v23, v22, v23
.LBB521_145:
	s_or_b32 exec_lo, exec_lo, s27
	s_delay_alu instid0(VALU_DEP_1) | instskip(SKIP_1) | instid1(VALU_DEP_2)
	v_bfe_u32 v22, v23, 16, 1
	v_cmp_o_f32_e32 vcc_lo, v23, v23
	v_add3_u32 v22, v23, v22, 0x7fff
	s_delay_alu instid0(VALU_DEP_1) | instskip(NEXT) | instid1(VALU_DEP_1)
	v_lshrrev_b32_e32 v22, 16, v22
	v_cndmask_b32_e32 v178, 0x7fc0, v22, vcc_lo
	s_delay_alu instid0(VALU_DEP_1)
	v_and_b32_e32 v22, 0xffff, v178
.LBB521_146:
	s_or_b32 exec_lo, exec_lo, s26
	v_cmp_gt_u32_e32 vcc_lo, 16, v149
	v_add_nc_u32_e32 v177, 16, v149
	s_mov_b32 s26, exec_lo
	s_waitcnt lgkmcnt(0)
	v_cndmask_b32_e64 v23, 0, 1, vcc_lo
	s_delay_alu instid0(VALU_DEP_1) | instskip(NEXT) | instid1(VALU_DEP_1)
	v_lshlrev_b32_e32 v23, 4, v23
	v_add_lshl_u32 v167, v23, v149, 2
	ds_bpermute_b32 v23, v167, v22
	v_cmpx_le_u32_e64 v177, v17
	s_cbranch_execz .LBB521_150
; %bb.147:
	v_lshlrev_b32_e32 v17, 16, v22
	s_waitcnt lgkmcnt(0)
	s_delay_alu instid0(VALU_DEP_1) | instskip(NEXT) | instid1(VALU_DEP_1)
	v_dual_max_f32 v23, v17, v17 :: v_dual_lshlrev_b32 v22, 16, v23
	v_max_f32_e32 v176, v22, v22
	v_cmp_u_f32_e32 vcc_lo, v22, v22
	s_delay_alu instid0(VALU_DEP_2) | instskip(NEXT) | instid1(VALU_DEP_1)
	v_min_f32_e32 v178, v176, v23
	v_dual_max_f32 v23, v176, v23 :: v_dual_cndmask_b32 v176, v178, v22
	s_delay_alu instid0(VALU_DEP_1) | instskip(SKIP_1) | instid1(VALU_DEP_3)
	v_cndmask_b32_e32 v178, v23, v22, vcc_lo
	v_cmp_u_f32_e32 vcc_lo, v17, v17
	v_cndmask_b32_e32 v23, v176, v17, vcc_lo
	s_delay_alu instid0(VALU_DEP_3) | instskip(NEXT) | instid1(VALU_DEP_2)
	v_cndmask_b32_e32 v17, v178, v17, vcc_lo
	v_cmp_class_f32_e64 s27, v23, 0x1f8
	s_delay_alu instid0(VALU_DEP_2) | instskip(NEXT) | instid1(VALU_DEP_2)
	v_cmp_neq_f32_e32 vcc_lo, v23, v17
	s_or_b32 vcc_lo, vcc_lo, s27
	s_delay_alu instid0(SALU_CYCLE_1)
	s_and_saveexec_b32 s27, vcc_lo
	s_cbranch_execz .LBB521_149
; %bb.148:
	v_sub_f32_e32 v22, v23, v17
	s_mov_b32 s30, 0x3e9b6dac
	s_delay_alu instid0(VALU_DEP_1) | instskip(SKIP_1) | instid1(VALU_DEP_2)
	v_mul_f32_e32 v23, 0x3fb8aa3b, v22
	v_cmp_ngt_f32_e32 vcc_lo, 0xc2ce8ed0, v22
	v_fma_f32 v176, 0x3fb8aa3b, v22, -v23
	v_rndne_f32_e32 v178, v23
	s_delay_alu instid0(VALU_DEP_1) | instskip(NEXT) | instid1(VALU_DEP_1)
	v_dual_fmamk_f32 v176, v22, 0x32a5705f, v176 :: v_dual_sub_f32 v23, v23, v178
	v_add_f32_e32 v23, v23, v176
	v_cvt_i32_f32_e32 v176, v178
	s_delay_alu instid0(VALU_DEP_2) | instskip(SKIP_2) | instid1(VALU_DEP_1)
	v_exp_f32_e32 v23, v23
	s_waitcnt_depctr 0xfff
	v_ldexp_f32 v23, v23, v176
	v_cndmask_b32_e32 v23, 0, v23, vcc_lo
	v_cmp_nlt_f32_e32 vcc_lo, 0x42b17218, v22
	s_delay_alu instid0(VALU_DEP_2) | instskip(NEXT) | instid1(VALU_DEP_1)
	v_cndmask_b32_e32 v176, 0x7f800000, v23, vcc_lo
	v_add_f32_e32 v178, 1.0, v176
	s_delay_alu instid0(VALU_DEP_1) | instskip(NEXT) | instid1(VALU_DEP_1)
	v_cvt_f64_f32_e32 v[22:23], v178
	v_frexp_exp_i32_f64_e32 v22, v[22:23]
	v_frexp_mant_f32_e32 v23, v178
	s_delay_alu instid0(VALU_DEP_1) | instskip(SKIP_1) | instid1(VALU_DEP_1)
	v_cmp_gt_f32_e32 vcc_lo, 0x3f2aaaab, v23
	v_add_f32_e32 v23, -1.0, v178
	v_dual_sub_f32 v180, v23, v178 :: v_dual_sub_f32 v23, v176, v23
	v_subrev_co_ci_u32_e32 v22, vcc_lo, 0, v22, vcc_lo
	v_cmp_eq_f32_e32 vcc_lo, 0x7f800000, v176
	v_cmp_gt_f32_e64 vcc_hi, 0x33800000, |v176|
	s_delay_alu instid0(VALU_DEP_3) | instskip(SKIP_1) | instid1(VALU_DEP_3)
	v_sub_nc_u32_e32 v179, 0, v22
	v_cvt_f32_i32_e32 v22, v22
	s_or_b32 vcc_lo, vcc_lo, vcc_hi
	s_delay_alu instid0(VALU_DEP_2) | instskip(NEXT) | instid1(VALU_DEP_1)
	v_ldexp_f32 v178, v178, v179
	v_dual_add_f32 v180, 1.0, v180 :: v_dual_add_f32 v181, 1.0, v178
	s_delay_alu instid0(VALU_DEP_1) | instskip(NEXT) | instid1(VALU_DEP_1)
	v_dual_add_f32 v23, v23, v180 :: v_dual_add_f32 v180, -1.0, v181
	v_ldexp_f32 v23, v23, v179
	s_delay_alu instid0(VALU_DEP_2) | instskip(NEXT) | instid1(VALU_DEP_1)
	v_dual_add_f32 v179, -1.0, v178 :: v_dual_sub_f32 v180, v178, v180
	v_add_f32_e32 v182, 1.0, v179
	s_delay_alu instid0(VALU_DEP_2) | instskip(NEXT) | instid1(VALU_DEP_2)
	v_add_f32_e32 v180, v23, v180
	v_sub_f32_e32 v178, v178, v182
	s_delay_alu instid0(VALU_DEP_1) | instskip(NEXT) | instid1(VALU_DEP_1)
	v_dual_add_f32 v182, v181, v180 :: v_dual_add_f32 v23, v23, v178
	v_rcp_f32_e32 v178, v182
	v_sub_f32_e32 v181, v181, v182
	s_delay_alu instid0(VALU_DEP_1) | instskip(NEXT) | instid1(VALU_DEP_1)
	v_dual_add_f32 v183, v179, v23 :: v_dual_add_f32 v180, v180, v181
	v_sub_f32_e32 v179, v179, v183
	s_waitcnt_depctr 0xfff
	v_mul_f32_e32 v192, v183, v178
	v_add_f32_e32 v23, v23, v179
	s_delay_alu instid0(VALU_DEP_2) | instskip(NEXT) | instid1(VALU_DEP_1)
	v_mul_f32_e32 v193, v182, v192
	v_fma_f32 v181, v192, v182, -v193
	s_delay_alu instid0(VALU_DEP_1) | instskip(NEXT) | instid1(VALU_DEP_1)
	v_fmac_f32_e32 v181, v192, v180
	v_add_f32_e32 v194, v193, v181
	s_delay_alu instid0(VALU_DEP_1) | instskip(SKIP_1) | instid1(VALU_DEP_2)
	v_sub_f32_e32 v195, v183, v194
	v_sub_f32_e32 v179, v194, v193
	;; [unrolled: 1-line block ×3, first 2 shown]
	s_delay_alu instid0(VALU_DEP_2) | instskip(NEXT) | instid1(VALU_DEP_2)
	v_sub_f32_e32 v179, v179, v181
	v_sub_f32_e32 v183, v183, v194
	s_delay_alu instid0(VALU_DEP_1) | instskip(NEXT) | instid1(VALU_DEP_1)
	v_add_f32_e32 v23, v23, v183
	v_add_f32_e32 v23, v179, v23
	s_delay_alu instid0(VALU_DEP_1) | instskip(NEXT) | instid1(VALU_DEP_1)
	v_add_f32_e32 v179, v195, v23
	v_mul_f32_e32 v181, v178, v179
	s_delay_alu instid0(VALU_DEP_1) | instskip(NEXT) | instid1(VALU_DEP_1)
	v_mul_f32_e32 v183, v182, v181
	v_fma_f32 v182, v181, v182, -v183
	s_delay_alu instid0(VALU_DEP_1) | instskip(SKIP_1) | instid1(VALU_DEP_2)
	v_fmac_f32_e32 v182, v181, v180
	v_sub_f32_e32 v194, v195, v179
	v_add_f32_e32 v180, v183, v182
	s_delay_alu instid0(VALU_DEP_2) | instskip(NEXT) | instid1(VALU_DEP_2)
	v_add_f32_e32 v23, v23, v194
	v_sub_f32_e32 v193, v179, v180
	v_sub_f32_e32 v183, v180, v183
	s_delay_alu instid0(VALU_DEP_2) | instskip(NEXT) | instid1(VALU_DEP_1)
	v_sub_f32_e32 v179, v179, v193
	v_sub_f32_e32 v179, v179, v180
	s_delay_alu instid0(VALU_DEP_3) | instskip(NEXT) | instid1(VALU_DEP_2)
	v_sub_f32_e32 v180, v183, v182
	v_add_f32_e32 v23, v23, v179
	v_add_f32_e32 v179, v192, v181
	s_delay_alu instid0(VALU_DEP_1) | instskip(NEXT) | instid1(VALU_DEP_1)
	v_dual_add_f32 v23, v180, v23 :: v_dual_sub_f32 v180, v179, v192
	v_add_f32_e32 v23, v193, v23
	s_delay_alu instid0(VALU_DEP_1) | instskip(NEXT) | instid1(VALU_DEP_1)
	v_dual_sub_f32 v180, v181, v180 :: v_dual_mul_f32 v23, v178, v23
	v_add_f32_e32 v23, v180, v23
	s_delay_alu instid0(VALU_DEP_1) | instskip(NEXT) | instid1(VALU_DEP_1)
	v_add_f32_e32 v178, v179, v23
	v_mul_f32_e32 v180, v178, v178
	s_delay_alu instid0(VALU_DEP_1) | instskip(SKIP_1) | instid1(VALU_DEP_2)
	v_fmaak_f32 v181, s30, v180, 0x3ecc95a3
	v_mul_f32_e32 v182, v178, v180
	v_fmaak_f32 v180, v180, v181, 0x3f2aaada
	v_ldexp_f32 v181, v178, 1
	v_sub_f32_e32 v178, v178, v179
	s_delay_alu instid0(VALU_DEP_3) | instskip(SKIP_1) | instid1(VALU_DEP_3)
	v_mul_f32_e32 v180, v182, v180
	v_mul_f32_e32 v182, 0x3f317218, v22
	v_sub_f32_e32 v23, v23, v178
	s_delay_alu instid0(VALU_DEP_3) | instskip(NEXT) | instid1(VALU_DEP_2)
	v_add_f32_e32 v179, v181, v180
	v_ldexp_f32 v23, v23, 1
	s_delay_alu instid0(VALU_DEP_2) | instskip(SKIP_1) | instid1(VALU_DEP_2)
	v_sub_f32_e32 v178, v179, v181
	v_fma_f32 v181, 0x3f317218, v22, -v182
	v_sub_f32_e32 v178, v180, v178
	s_delay_alu instid0(VALU_DEP_1) | instskip(NEXT) | instid1(VALU_DEP_1)
	v_dual_fmamk_f32 v22, v22, 0xb102e308, v181 :: v_dual_add_f32 v23, v23, v178
	v_add_f32_e32 v178, v182, v22
	s_delay_alu instid0(VALU_DEP_2) | instskip(NEXT) | instid1(VALU_DEP_2)
	v_add_f32_e32 v180, v179, v23
	v_sub_f32_e32 v182, v178, v182
	s_delay_alu instid0(VALU_DEP_2) | instskip(NEXT) | instid1(VALU_DEP_2)
	v_add_f32_e32 v181, v178, v180
	v_sub_f32_e32 v22, v22, v182
	s_delay_alu instid0(VALU_DEP_2) | instskip(SKIP_1) | instid1(VALU_DEP_2)
	v_sub_f32_e32 v183, v181, v178
	v_sub_f32_e32 v179, v180, v179
	;; [unrolled: 1-line block ×3, first 2 shown]
	s_delay_alu instid0(VALU_DEP_2) | instskip(NEXT) | instid1(VALU_DEP_2)
	v_sub_f32_e32 v23, v23, v179
	v_dual_sub_f32 v179, v180, v183 :: v_dual_sub_f32 v178, v178, v192
	s_delay_alu instid0(VALU_DEP_2) | instskip(NEXT) | instid1(VALU_DEP_2)
	v_add_f32_e32 v180, v22, v23
	v_add_f32_e32 v178, v179, v178
	s_delay_alu instid0(VALU_DEP_2) | instskip(NEXT) | instid1(VALU_DEP_2)
	v_sub_f32_e32 v179, v180, v22
	v_add_f32_e32 v178, v180, v178
	s_delay_alu instid0(VALU_DEP_2) | instskip(NEXT) | instid1(VALU_DEP_2)
	v_sub_f32_e32 v180, v180, v179
	v_dual_sub_f32 v23, v23, v179 :: v_dual_add_f32 v182, v181, v178
	s_delay_alu instid0(VALU_DEP_2) | instskip(NEXT) | instid1(VALU_DEP_1)
	v_sub_f32_e32 v22, v22, v180
	v_dual_sub_f32 v179, v182, v181 :: v_dual_add_f32 v22, v23, v22
	s_delay_alu instid0(VALU_DEP_1) | instskip(NEXT) | instid1(VALU_DEP_1)
	v_sub_f32_e32 v23, v178, v179
	v_add_f32_e32 v22, v22, v23
	s_delay_alu instid0(VALU_DEP_1) | instskip(NEXT) | instid1(VALU_DEP_1)
	v_add_f32_e32 v22, v182, v22
	v_cndmask_b32_e32 v22, v22, v176, vcc_lo
	s_delay_alu instid0(VALU_DEP_1)
	v_add_f32_e32 v22, v17, v22
.LBB521_149:
	s_or_b32 exec_lo, exec_lo, s27
	s_delay_alu instid0(VALU_DEP_1) | instskip(SKIP_1) | instid1(VALU_DEP_2)
	v_bfe_u32 v17, v22, 16, 1
	v_cmp_o_f32_e32 vcc_lo, v22, v22
	v_add3_u32 v17, v22, v17, 0x7fff
	s_delay_alu instid0(VALU_DEP_1) | instskip(NEXT) | instid1(VALU_DEP_1)
	v_lshrrev_b32_e32 v17, 16, v17
	v_cndmask_b32_e32 v178, 0x7fc0, v17, vcc_lo
.LBB521_150:
	s_or_b32 exec_lo, exec_lo, s26
	v_mov_b32_e32 v17, 0
	s_mov_b32 s26, 0x3e9b6dac
	s_branch .LBB521_152
.LBB521_151:                            ;   in Loop: Header=BB521_152 Depth=1
                                        ; implicit-def: $vgpr178
                                        ; implicit-def: $vgpr150
	s_cbranch_execnz .LBB521_180
.LBB521_152:                            ; =>This Loop Header: Depth=1
                                        ;     Child Loop BB521_155 Depth 2
	v_and_b32_e32 v22, 0xff, v150
	s_delay_alu instid0(VALU_DEP_2) | instskip(NEXT) | instid1(VALU_DEP_2)
	v_mov_b32_e32 v176, v178
	v_cmp_ne_u16_e32 vcc_lo, 2, v22
	v_cndmask_b32_e64 v22, 0, 1, vcc_lo
	;;#ASMSTART
	;;#ASMEND
	s_delay_alu instid0(VALU_DEP_1)
	v_cmp_ne_u32_e32 vcc_lo, 0, v22
	s_cmp_lg_u32 vcc_lo, exec_lo
	s_cbranch_scc1 .LBB521_151
; %bb.153:                              ;   in Loop: Header=BB521_152 Depth=1
	s_waitcnt lgkmcnt(0)
	v_lshlrev_b64 v[22:23], 2, v[16:17]
	s_mov_b32 s27, exec_lo
	s_delay_alu instid0(VALU_DEP_1) | instskip(NEXT) | instid1(VALU_DEP_2)
	v_add_co_u32 v22, vcc_lo, v18, v22
	v_add_co_ci_u32_e32 v23, vcc_lo, v19, v23, vcc_lo
	flat_load_b32 v178, v[22:23] glc
	s_waitcnt vmcnt(0) lgkmcnt(0)
	v_lshrrev_b32_e32 v150, 16, v178
	s_delay_alu instid0(VALU_DEP_1) | instskip(NEXT) | instid1(VALU_DEP_1)
	v_and_b32_e32 v179, 0xff, v150
	v_cmpx_eq_u16_e64 0, v179
	s_cbranch_execz .LBB521_157
; %bb.154:                              ;   in Loop: Header=BB521_152 Depth=1
	s_mov_b32 vcc_hi, 0
.LBB521_155:                            ;   Parent Loop BB521_152 Depth=1
                                        ; =>  This Inner Loop Header: Depth=2
	flat_load_b32 v178, v[22:23] glc
	s_waitcnt vmcnt(0) lgkmcnt(0)
	v_lshrrev_b32_e32 v150, 16, v178
	s_delay_alu instid0(VALU_DEP_1) | instskip(NEXT) | instid1(VALU_DEP_1)
	v_and_b32_e32 v179, 0xff, v150
	v_cmp_ne_u16_e64 vcc_lo, 0, v179
	s_delay_alu instid0(VALU_DEP_1) | instskip(NEXT) | instid1(SALU_CYCLE_1)
	s_or_b32 vcc_hi, vcc_lo, vcc_hi
	s_and_not1_b32 exec_lo, exec_lo, vcc_hi
	s_cbranch_execnz .LBB521_155
; %bb.156:                              ;   in Loop: Header=BB521_152 Depth=1
	s_or_b32 exec_lo, exec_lo, vcc_hi
.LBB521_157:                            ;   in Loop: Header=BB521_152 Depth=1
	s_delay_alu instid0(SALU_CYCLE_1)
	s_or_b32 exec_lo, exec_lo, s27
	v_and_b32_e32 v23, 0xffff, v178
	v_and_b32_e32 v22, 0xff, v150
	s_mov_b32 s27, exec_lo
	ds_bpermute_b32 v179, v151, v23
	v_cmp_eq_u16_e32 vcc_lo, 2, v22
	v_and_or_b32 v22, vcc_lo, v160, 0x80000000
	s_delay_alu instid0(VALU_DEP_1) | instskip(NEXT) | instid1(VALU_DEP_1)
	v_ctz_i32_b32_e32 v22, v22
	v_cmpx_lt_u32_e64 v149, v22
	s_cbranch_execz .LBB521_161
; %bb.158:                              ;   in Loop: Header=BB521_152 Depth=1
	s_waitcnt lgkmcnt(0)
	v_lshlrev_b32_e32 v178, 16, v179
	s_delay_alu instid0(VALU_DEP_1) | instskip(SKIP_1) | instid1(VALU_DEP_2)
	v_dual_max_f32 v180, v178, v178 :: v_dual_lshlrev_b32 v23, 16, v23
	v_cmp_u_f32_e32 vcc_lo, v178, v178
	v_max_f32_e32 v179, v23, v23
	s_delay_alu instid0(VALU_DEP_1) | instskip(NEXT) | instid1(VALU_DEP_1)
	v_min_f32_e32 v181, v180, v179
	v_dual_max_f32 v179, v180, v179 :: v_dual_cndmask_b32 v180, v181, v178
	s_delay_alu instid0(VALU_DEP_1) | instskip(SKIP_1) | instid1(VALU_DEP_3)
	v_cndmask_b32_e32 v181, v179, v178, vcc_lo
	v_cmp_u_f32_e32 vcc_lo, v23, v23
	v_cndmask_b32_e32 v179, v180, v23, vcc_lo
	s_delay_alu instid0(VALU_DEP_3) | instskip(NEXT) | instid1(VALU_DEP_1)
	v_cndmask_b32_e32 v23, v181, v23, vcc_lo
	v_cmp_neq_f32_e32 vcc_lo, v179, v23
	v_cmp_class_f32_e64 vcc_hi, v179, 0x1f8
	s_delay_alu instid0(VALU_DEP_1) | instskip(NEXT) | instid1(SALU_CYCLE_1)
	s_or_b32 vcc_lo, vcc_lo, vcc_hi
	s_and_saveexec_b32 vcc_hi, vcc_lo
	s_cbranch_execz .LBB521_160
; %bb.159:                              ;   in Loop: Header=BB521_152 Depth=1
	v_sub_f32_e32 v178, v179, v23
	s_delay_alu instid0(VALU_DEP_1) | instskip(SKIP_1) | instid1(VALU_DEP_2)
	v_mul_f32_e32 v179, 0x3fb8aa3b, v178
	v_cmp_ngt_f32_e32 vcc_lo, 0xc2ce8ed0, v178
	v_fma_f32 v180, 0x3fb8aa3b, v178, -v179
	v_rndne_f32_e32 v181, v179
	s_delay_alu instid0(VALU_DEP_1) | instskip(NEXT) | instid1(VALU_DEP_1)
	v_dual_fmac_f32 v180, 0x32a5705f, v178 :: v_dual_sub_f32 v179, v179, v181
	v_add_f32_e32 v179, v179, v180
	v_cvt_i32_f32_e32 v180, v181
	s_delay_alu instid0(VALU_DEP_2) | instskip(SKIP_2) | instid1(VALU_DEP_1)
	v_exp_f32_e32 v179, v179
	s_waitcnt_depctr 0xfff
	v_ldexp_f32 v179, v179, v180
	v_cndmask_b32_e32 v179, 0, v179, vcc_lo
	v_cmp_nlt_f32_e32 vcc_lo, 0x42b17218, v178
	s_delay_alu instid0(VALU_DEP_2) | instskip(NEXT) | instid1(VALU_DEP_1)
	v_cndmask_b32_e32 v180, 0x7f800000, v179, vcc_lo
	v_add_f32_e32 v181, 1.0, v180
	s_delay_alu instid0(VALU_DEP_1) | instskip(NEXT) | instid1(VALU_DEP_1)
	v_cvt_f64_f32_e32 v[178:179], v181
	v_frexp_exp_i32_f64_e32 v178, v[178:179]
	v_frexp_mant_f32_e32 v179, v181
	s_delay_alu instid0(VALU_DEP_1) | instskip(SKIP_2) | instid1(VALU_DEP_2)
	v_cmp_gt_f32_e32 vcc_lo, 0x3f2aaaab, v179
	v_add_f32_e32 v179, -1.0, v181
	v_cmp_gt_f32_e64 s30, 0x33800000, |v180|
	v_sub_f32_e32 v183, v179, v181
	v_sub_f32_e32 v179, v180, v179
	s_delay_alu instid0(VALU_DEP_2) | instskip(NEXT) | instid1(VALU_DEP_1)
	v_add_f32_e32 v183, 1.0, v183
	v_add_f32_e32 v179, v179, v183
	v_subrev_co_ci_u32_e32 v178, vcc_lo, 0, v178, vcc_lo
	v_cmp_eq_f32_e32 vcc_lo, 0x7f800000, v180
	s_delay_alu instid0(VALU_DEP_2) | instskip(SKIP_2) | instid1(VALU_DEP_2)
	v_sub_nc_u32_e32 v182, 0, v178
	v_cvt_f32_i32_e32 v178, v178
	s_or_b32 vcc_lo, vcc_lo, s30
	v_ldexp_f32 v181, v181, v182
	v_ldexp_f32 v179, v179, v182
	s_delay_alu instid0(VALU_DEP_2) | instskip(NEXT) | instid1(VALU_DEP_1)
	v_add_f32_e32 v192, 1.0, v181
	v_dual_add_f32 v182, -1.0, v181 :: v_dual_add_f32 v183, -1.0, v192
	s_delay_alu instid0(VALU_DEP_1) | instskip(NEXT) | instid1(VALU_DEP_2)
	v_add_f32_e32 v193, 1.0, v182
	v_sub_f32_e32 v183, v181, v183
	s_delay_alu instid0(VALU_DEP_2) | instskip(NEXT) | instid1(VALU_DEP_2)
	v_sub_f32_e32 v181, v181, v193
	v_add_f32_e32 v183, v179, v183
	s_delay_alu instid0(VALU_DEP_1) | instskip(NEXT) | instid1(VALU_DEP_3)
	v_add_f32_e32 v193, v192, v183
	v_add_f32_e32 v179, v179, v181
	s_delay_alu instid0(VALU_DEP_2) | instskip(NEXT) | instid1(VALU_DEP_1)
	v_rcp_f32_e32 v181, v193
	v_add_f32_e32 v194, v182, v179
	v_sub_f32_e32 v192, v192, v193
	s_delay_alu instid0(VALU_DEP_1) | instskip(SKIP_2) | instid1(VALU_DEP_1)
	v_dual_sub_f32 v182, v182, v194 :: v_dual_add_f32 v183, v183, v192
	s_waitcnt_depctr 0xfff
	v_mul_f32_e32 v195, v194, v181
	v_dual_add_f32 v179, v179, v182 :: v_dual_mul_f32 v196, v193, v195
	s_delay_alu instid0(VALU_DEP_1) | instskip(NEXT) | instid1(VALU_DEP_1)
	v_fma_f32 v192, v195, v193, -v196
	v_fmac_f32_e32 v192, v195, v183
	s_delay_alu instid0(VALU_DEP_1) | instskip(NEXT) | instid1(VALU_DEP_1)
	v_add_f32_e32 v197, v196, v192
	v_sub_f32_e32 v198, v194, v197
	v_sub_f32_e32 v182, v197, v196
	s_delay_alu instid0(VALU_DEP_2) | instskip(NEXT) | instid1(VALU_DEP_2)
	v_sub_f32_e32 v194, v194, v198
	v_sub_f32_e32 v182, v182, v192
	s_delay_alu instid0(VALU_DEP_2) | instskip(NEXT) | instid1(VALU_DEP_1)
	v_sub_f32_e32 v194, v194, v197
	v_add_f32_e32 v179, v179, v194
	s_delay_alu instid0(VALU_DEP_1) | instskip(NEXT) | instid1(VALU_DEP_1)
	v_add_f32_e32 v179, v182, v179
	v_add_f32_e32 v182, v198, v179
	s_delay_alu instid0(VALU_DEP_1) | instskip(NEXT) | instid1(VALU_DEP_1)
	v_mul_f32_e32 v192, v181, v182
	v_dual_sub_f32 v197, v198, v182 :: v_dual_mul_f32 v194, v193, v192
	s_delay_alu instid0(VALU_DEP_1) | instskip(NEXT) | instid1(VALU_DEP_2)
	v_add_f32_e32 v179, v179, v197
	v_fma_f32 v193, v192, v193, -v194
	s_delay_alu instid0(VALU_DEP_1) | instskip(NEXT) | instid1(VALU_DEP_1)
	v_fmac_f32_e32 v193, v192, v183
	v_add_f32_e32 v183, v194, v193
	s_delay_alu instid0(VALU_DEP_1) | instskip(SKIP_1) | instid1(VALU_DEP_2)
	v_sub_f32_e32 v196, v182, v183
	v_sub_f32_e32 v194, v183, v194
	;; [unrolled: 1-line block ×3, first 2 shown]
	s_delay_alu instid0(VALU_DEP_1) | instskip(NEXT) | instid1(VALU_DEP_3)
	v_sub_f32_e32 v182, v182, v183
	v_sub_f32_e32 v183, v194, v193
	s_delay_alu instid0(VALU_DEP_2) | instskip(SKIP_1) | instid1(VALU_DEP_2)
	v_add_f32_e32 v179, v179, v182
	v_add_f32_e32 v182, v195, v192
	;; [unrolled: 1-line block ×3, first 2 shown]
	s_delay_alu instid0(VALU_DEP_2) | instskip(NEXT) | instid1(VALU_DEP_2)
	v_sub_f32_e32 v183, v182, v195
	v_add_f32_e32 v179, v196, v179
	s_delay_alu instid0(VALU_DEP_2) | instskip(NEXT) | instid1(VALU_DEP_2)
	v_sub_f32_e32 v183, v192, v183
	v_mul_f32_e32 v179, v181, v179
	s_delay_alu instid0(VALU_DEP_1) | instskip(NEXT) | instid1(VALU_DEP_1)
	v_add_f32_e32 v179, v183, v179
	v_add_f32_e32 v181, v182, v179
	s_delay_alu instid0(VALU_DEP_1) | instskip(NEXT) | instid1(VALU_DEP_1)
	v_mul_f32_e32 v183, v181, v181
	v_fmaak_f32 v192, s26, v183, 0x3ecc95a3
	v_mul_f32_e32 v193, v181, v183
	s_delay_alu instid0(VALU_DEP_2) | instskip(SKIP_2) | instid1(VALU_DEP_3)
	v_fmaak_f32 v183, v183, v192, 0x3f2aaada
	v_ldexp_f32 v192, v181, 1
	v_sub_f32_e32 v181, v181, v182
	v_mul_f32_e32 v183, v193, v183
	v_mul_f32_e32 v193, 0x3f317218, v178
	s_delay_alu instid0(VALU_DEP_2) | instskip(NEXT) | instid1(VALU_DEP_1)
	v_dual_sub_f32 v179, v179, v181 :: v_dual_add_f32 v182, v192, v183
	v_ldexp_f32 v179, v179, 1
	s_delay_alu instid0(VALU_DEP_2) | instskip(NEXT) | instid1(VALU_DEP_4)
	v_sub_f32_e32 v181, v182, v192
	v_fma_f32 v192, 0x3f317218, v178, -v193
	s_delay_alu instid0(VALU_DEP_1) | instskip(NEXT) | instid1(VALU_DEP_1)
	v_dual_sub_f32 v181, v183, v181 :: v_dual_fmac_f32 v192, 0xb102e308, v178
	v_dual_add_f32 v178, v179, v181 :: v_dual_add_f32 v179, v193, v192
	s_delay_alu instid0(VALU_DEP_1) | instskip(NEXT) | instid1(VALU_DEP_2)
	v_add_f32_e32 v181, v182, v178
	v_sub_f32_e32 v193, v179, v193
	s_delay_alu instid0(VALU_DEP_2) | instskip(NEXT) | instid1(VALU_DEP_2)
	v_dual_add_f32 v183, v179, v181 :: v_dual_sub_f32 v182, v181, v182
	v_sub_f32_e32 v192, v192, v193
	s_delay_alu instid0(VALU_DEP_2) | instskip(NEXT) | instid1(VALU_DEP_3)
	v_sub_f32_e32 v194, v183, v179
	v_sub_f32_e32 v178, v178, v182
	s_delay_alu instid0(VALU_DEP_2) | instskip(SKIP_1) | instid1(VALU_DEP_2)
	v_sub_f32_e32 v195, v183, v194
	v_sub_f32_e32 v181, v181, v194
	v_dual_add_f32 v182, v192, v178 :: v_dual_sub_f32 v179, v179, v195
	s_delay_alu instid0(VALU_DEP_1) | instskip(NEXT) | instid1(VALU_DEP_2)
	v_add_f32_e32 v179, v181, v179
	v_sub_f32_e32 v181, v182, v192
	s_delay_alu instid0(VALU_DEP_2) | instskip(NEXT) | instid1(VALU_DEP_2)
	v_add_f32_e32 v179, v182, v179
	v_sub_f32_e32 v182, v182, v181
	s_delay_alu instid0(VALU_DEP_2) | instskip(NEXT) | instid1(VALU_DEP_1)
	v_dual_sub_f32 v178, v178, v181 :: v_dual_add_f32 v193, v183, v179
	v_dual_sub_f32 v182, v192, v182 :: v_dual_sub_f32 v181, v193, v183
	s_delay_alu instid0(VALU_DEP_1) | instskip(NEXT) | instid1(VALU_DEP_1)
	v_dual_add_f32 v178, v178, v182 :: v_dual_sub_f32 v179, v179, v181
	v_add_f32_e32 v178, v178, v179
	s_delay_alu instid0(VALU_DEP_1) | instskip(NEXT) | instid1(VALU_DEP_1)
	v_add_f32_e32 v178, v193, v178
	v_cndmask_b32_e32 v178, v178, v180, vcc_lo
	s_delay_alu instid0(VALU_DEP_1)
	v_add_f32_e32 v178, v23, v178
.LBB521_160:                            ;   in Loop: Header=BB521_152 Depth=1
	s_or_b32 exec_lo, exec_lo, vcc_hi
	s_delay_alu instid0(VALU_DEP_1) | instskip(SKIP_1) | instid1(VALU_DEP_2)
	v_bfe_u32 v23, v178, 16, 1
	v_cmp_o_f32_e32 vcc_lo, v178, v178
	v_add3_u32 v23, v178, v23, 0x7fff
	s_delay_alu instid0(VALU_DEP_1) | instskip(NEXT) | instid1(VALU_DEP_1)
	v_lshrrev_b32_e32 v23, 16, v23
	v_cndmask_b32_e32 v178, 0x7fc0, v23, vcc_lo
	s_delay_alu instid0(VALU_DEP_1)
	v_and_b32_e32 v23, 0xffff, v178
.LBB521_161:                            ;   in Loop: Header=BB521_152 Depth=1
	s_or_b32 exec_lo, exec_lo, s27
	s_waitcnt lgkmcnt(0)
	ds_bpermute_b32 v179, v161, v23
	s_mov_b32 s27, exec_lo
	v_cmpx_le_u32_e64 v162, v22
	s_cbranch_execz .LBB521_165
; %bb.162:                              ;   in Loop: Header=BB521_152 Depth=1
	s_waitcnt lgkmcnt(0)
	v_lshlrev_b32_e32 v178, 16, v179
	s_delay_alu instid0(VALU_DEP_1) | instskip(SKIP_1) | instid1(VALU_DEP_2)
	v_dual_max_f32 v180, v178, v178 :: v_dual_lshlrev_b32 v23, 16, v23
	v_cmp_u_f32_e32 vcc_lo, v178, v178
	v_max_f32_e32 v179, v23, v23
	s_delay_alu instid0(VALU_DEP_1) | instskip(NEXT) | instid1(VALU_DEP_1)
	v_min_f32_e32 v181, v180, v179
	v_dual_max_f32 v179, v180, v179 :: v_dual_cndmask_b32 v180, v181, v178
	s_delay_alu instid0(VALU_DEP_1) | instskip(SKIP_1) | instid1(VALU_DEP_3)
	v_cndmask_b32_e32 v181, v179, v178, vcc_lo
	v_cmp_u_f32_e32 vcc_lo, v23, v23
	v_cndmask_b32_e32 v179, v180, v23, vcc_lo
	s_delay_alu instid0(VALU_DEP_3) | instskip(NEXT) | instid1(VALU_DEP_1)
	v_cndmask_b32_e32 v23, v181, v23, vcc_lo
	v_cmp_neq_f32_e32 vcc_lo, v179, v23
	v_cmp_class_f32_e64 vcc_hi, v179, 0x1f8
	s_delay_alu instid0(VALU_DEP_1) | instskip(NEXT) | instid1(SALU_CYCLE_1)
	s_or_b32 vcc_lo, vcc_lo, vcc_hi
	s_and_saveexec_b32 vcc_hi, vcc_lo
	s_cbranch_execz .LBB521_164
; %bb.163:                              ;   in Loop: Header=BB521_152 Depth=1
	v_sub_f32_e32 v178, v179, v23
	s_delay_alu instid0(VALU_DEP_1) | instskip(SKIP_1) | instid1(VALU_DEP_2)
	v_mul_f32_e32 v179, 0x3fb8aa3b, v178
	v_cmp_ngt_f32_e32 vcc_lo, 0xc2ce8ed0, v178
	v_fma_f32 v180, 0x3fb8aa3b, v178, -v179
	v_rndne_f32_e32 v181, v179
	s_delay_alu instid0(VALU_DEP_1) | instskip(NEXT) | instid1(VALU_DEP_1)
	v_dual_fmac_f32 v180, 0x32a5705f, v178 :: v_dual_sub_f32 v179, v179, v181
	v_add_f32_e32 v179, v179, v180
	v_cvt_i32_f32_e32 v180, v181
	s_delay_alu instid0(VALU_DEP_2) | instskip(SKIP_2) | instid1(VALU_DEP_1)
	v_exp_f32_e32 v179, v179
	s_waitcnt_depctr 0xfff
	v_ldexp_f32 v179, v179, v180
	v_cndmask_b32_e32 v179, 0, v179, vcc_lo
	v_cmp_nlt_f32_e32 vcc_lo, 0x42b17218, v178
	s_delay_alu instid0(VALU_DEP_2) | instskip(NEXT) | instid1(VALU_DEP_1)
	v_cndmask_b32_e32 v180, 0x7f800000, v179, vcc_lo
	v_add_f32_e32 v181, 1.0, v180
	s_delay_alu instid0(VALU_DEP_1) | instskip(NEXT) | instid1(VALU_DEP_1)
	v_cvt_f64_f32_e32 v[178:179], v181
	v_frexp_exp_i32_f64_e32 v178, v[178:179]
	v_frexp_mant_f32_e32 v179, v181
	s_delay_alu instid0(VALU_DEP_1) | instskip(SKIP_2) | instid1(VALU_DEP_2)
	v_cmp_gt_f32_e32 vcc_lo, 0x3f2aaaab, v179
	v_add_f32_e32 v179, -1.0, v181
	v_cmp_gt_f32_e64 s30, 0x33800000, |v180|
	v_sub_f32_e32 v183, v179, v181
	v_sub_f32_e32 v179, v180, v179
	s_delay_alu instid0(VALU_DEP_2) | instskip(NEXT) | instid1(VALU_DEP_1)
	v_add_f32_e32 v183, 1.0, v183
	v_add_f32_e32 v179, v179, v183
	v_subrev_co_ci_u32_e32 v178, vcc_lo, 0, v178, vcc_lo
	v_cmp_eq_f32_e32 vcc_lo, 0x7f800000, v180
	s_delay_alu instid0(VALU_DEP_2) | instskip(SKIP_2) | instid1(VALU_DEP_2)
	v_sub_nc_u32_e32 v182, 0, v178
	v_cvt_f32_i32_e32 v178, v178
	s_or_b32 vcc_lo, vcc_lo, s30
	v_ldexp_f32 v181, v181, v182
	v_ldexp_f32 v179, v179, v182
	s_delay_alu instid0(VALU_DEP_2) | instskip(NEXT) | instid1(VALU_DEP_1)
	v_add_f32_e32 v192, 1.0, v181
	v_dual_add_f32 v182, -1.0, v181 :: v_dual_add_f32 v183, -1.0, v192
	s_delay_alu instid0(VALU_DEP_1) | instskip(NEXT) | instid1(VALU_DEP_2)
	v_add_f32_e32 v193, 1.0, v182
	v_sub_f32_e32 v183, v181, v183
	s_delay_alu instid0(VALU_DEP_2) | instskip(NEXT) | instid1(VALU_DEP_2)
	v_sub_f32_e32 v181, v181, v193
	v_add_f32_e32 v183, v179, v183
	s_delay_alu instid0(VALU_DEP_1) | instskip(NEXT) | instid1(VALU_DEP_3)
	v_add_f32_e32 v193, v192, v183
	v_add_f32_e32 v179, v179, v181
	s_delay_alu instid0(VALU_DEP_2) | instskip(NEXT) | instid1(VALU_DEP_1)
	v_rcp_f32_e32 v181, v193
	v_add_f32_e32 v194, v182, v179
	v_sub_f32_e32 v192, v192, v193
	s_delay_alu instid0(VALU_DEP_1) | instskip(SKIP_2) | instid1(VALU_DEP_1)
	v_dual_sub_f32 v182, v182, v194 :: v_dual_add_f32 v183, v183, v192
	s_waitcnt_depctr 0xfff
	v_mul_f32_e32 v195, v194, v181
	v_dual_add_f32 v179, v179, v182 :: v_dual_mul_f32 v196, v193, v195
	s_delay_alu instid0(VALU_DEP_1) | instskip(NEXT) | instid1(VALU_DEP_1)
	v_fma_f32 v192, v195, v193, -v196
	v_fmac_f32_e32 v192, v195, v183
	s_delay_alu instid0(VALU_DEP_1) | instskip(NEXT) | instid1(VALU_DEP_1)
	v_add_f32_e32 v197, v196, v192
	v_sub_f32_e32 v198, v194, v197
	v_sub_f32_e32 v182, v197, v196
	s_delay_alu instid0(VALU_DEP_2) | instskip(NEXT) | instid1(VALU_DEP_2)
	v_sub_f32_e32 v194, v194, v198
	v_sub_f32_e32 v182, v182, v192
	s_delay_alu instid0(VALU_DEP_2) | instskip(NEXT) | instid1(VALU_DEP_1)
	v_sub_f32_e32 v194, v194, v197
	v_add_f32_e32 v179, v179, v194
	s_delay_alu instid0(VALU_DEP_1) | instskip(NEXT) | instid1(VALU_DEP_1)
	v_add_f32_e32 v179, v182, v179
	v_add_f32_e32 v182, v198, v179
	s_delay_alu instid0(VALU_DEP_1) | instskip(NEXT) | instid1(VALU_DEP_1)
	v_mul_f32_e32 v192, v181, v182
	v_dual_sub_f32 v197, v198, v182 :: v_dual_mul_f32 v194, v193, v192
	s_delay_alu instid0(VALU_DEP_1) | instskip(NEXT) | instid1(VALU_DEP_2)
	v_add_f32_e32 v179, v179, v197
	v_fma_f32 v193, v192, v193, -v194
	s_delay_alu instid0(VALU_DEP_1) | instskip(NEXT) | instid1(VALU_DEP_1)
	v_fmac_f32_e32 v193, v192, v183
	v_add_f32_e32 v183, v194, v193
	s_delay_alu instid0(VALU_DEP_1) | instskip(SKIP_1) | instid1(VALU_DEP_2)
	v_sub_f32_e32 v196, v182, v183
	v_sub_f32_e32 v194, v183, v194
	;; [unrolled: 1-line block ×3, first 2 shown]
	s_delay_alu instid0(VALU_DEP_1) | instskip(NEXT) | instid1(VALU_DEP_3)
	v_sub_f32_e32 v182, v182, v183
	v_sub_f32_e32 v183, v194, v193
	s_delay_alu instid0(VALU_DEP_2) | instskip(SKIP_1) | instid1(VALU_DEP_2)
	v_add_f32_e32 v179, v179, v182
	v_add_f32_e32 v182, v195, v192
	;; [unrolled: 1-line block ×3, first 2 shown]
	s_delay_alu instid0(VALU_DEP_2) | instskip(NEXT) | instid1(VALU_DEP_2)
	v_sub_f32_e32 v183, v182, v195
	v_add_f32_e32 v179, v196, v179
	s_delay_alu instid0(VALU_DEP_2) | instskip(NEXT) | instid1(VALU_DEP_2)
	v_sub_f32_e32 v183, v192, v183
	v_mul_f32_e32 v179, v181, v179
	s_delay_alu instid0(VALU_DEP_1) | instskip(NEXT) | instid1(VALU_DEP_1)
	v_add_f32_e32 v179, v183, v179
	v_add_f32_e32 v181, v182, v179
	s_delay_alu instid0(VALU_DEP_1) | instskip(NEXT) | instid1(VALU_DEP_1)
	v_mul_f32_e32 v183, v181, v181
	v_fmaak_f32 v192, s26, v183, 0x3ecc95a3
	v_mul_f32_e32 v193, v181, v183
	s_delay_alu instid0(VALU_DEP_2) | instskip(SKIP_2) | instid1(VALU_DEP_3)
	v_fmaak_f32 v183, v183, v192, 0x3f2aaada
	v_ldexp_f32 v192, v181, 1
	v_sub_f32_e32 v181, v181, v182
	v_mul_f32_e32 v183, v193, v183
	v_mul_f32_e32 v193, 0x3f317218, v178
	s_delay_alu instid0(VALU_DEP_2) | instskip(NEXT) | instid1(VALU_DEP_1)
	v_dual_sub_f32 v179, v179, v181 :: v_dual_add_f32 v182, v192, v183
	v_ldexp_f32 v179, v179, 1
	s_delay_alu instid0(VALU_DEP_2) | instskip(NEXT) | instid1(VALU_DEP_4)
	v_sub_f32_e32 v181, v182, v192
	v_fma_f32 v192, 0x3f317218, v178, -v193
	s_delay_alu instid0(VALU_DEP_1) | instskip(NEXT) | instid1(VALU_DEP_1)
	v_dual_sub_f32 v181, v183, v181 :: v_dual_fmac_f32 v192, 0xb102e308, v178
	v_dual_add_f32 v178, v179, v181 :: v_dual_add_f32 v179, v193, v192
	s_delay_alu instid0(VALU_DEP_1) | instskip(NEXT) | instid1(VALU_DEP_2)
	v_add_f32_e32 v181, v182, v178
	v_sub_f32_e32 v193, v179, v193
	s_delay_alu instid0(VALU_DEP_2) | instskip(NEXT) | instid1(VALU_DEP_2)
	v_dual_add_f32 v183, v179, v181 :: v_dual_sub_f32 v182, v181, v182
	v_sub_f32_e32 v192, v192, v193
	s_delay_alu instid0(VALU_DEP_2) | instskip(NEXT) | instid1(VALU_DEP_3)
	v_sub_f32_e32 v194, v183, v179
	v_sub_f32_e32 v178, v178, v182
	s_delay_alu instid0(VALU_DEP_2) | instskip(SKIP_1) | instid1(VALU_DEP_2)
	v_sub_f32_e32 v195, v183, v194
	v_sub_f32_e32 v181, v181, v194
	v_dual_add_f32 v182, v192, v178 :: v_dual_sub_f32 v179, v179, v195
	s_delay_alu instid0(VALU_DEP_1) | instskip(NEXT) | instid1(VALU_DEP_2)
	v_add_f32_e32 v179, v181, v179
	v_sub_f32_e32 v181, v182, v192
	s_delay_alu instid0(VALU_DEP_2) | instskip(NEXT) | instid1(VALU_DEP_2)
	v_add_f32_e32 v179, v182, v179
	v_sub_f32_e32 v182, v182, v181
	s_delay_alu instid0(VALU_DEP_2) | instskip(NEXT) | instid1(VALU_DEP_1)
	v_dual_sub_f32 v178, v178, v181 :: v_dual_add_f32 v193, v183, v179
	v_dual_sub_f32 v182, v192, v182 :: v_dual_sub_f32 v181, v193, v183
	s_delay_alu instid0(VALU_DEP_1) | instskip(NEXT) | instid1(VALU_DEP_1)
	v_dual_add_f32 v178, v178, v182 :: v_dual_sub_f32 v179, v179, v181
	v_add_f32_e32 v178, v178, v179
	s_delay_alu instid0(VALU_DEP_1) | instskip(NEXT) | instid1(VALU_DEP_1)
	v_add_f32_e32 v178, v193, v178
	v_cndmask_b32_e32 v178, v178, v180, vcc_lo
	s_delay_alu instid0(VALU_DEP_1)
	v_add_f32_e32 v178, v23, v178
.LBB521_164:                            ;   in Loop: Header=BB521_152 Depth=1
	s_or_b32 exec_lo, exec_lo, vcc_hi
	s_delay_alu instid0(VALU_DEP_1) | instskip(SKIP_1) | instid1(VALU_DEP_2)
	v_bfe_u32 v23, v178, 16, 1
	v_cmp_o_f32_e32 vcc_lo, v178, v178
	v_add3_u32 v23, v178, v23, 0x7fff
	s_delay_alu instid0(VALU_DEP_1) | instskip(NEXT) | instid1(VALU_DEP_1)
	v_lshrrev_b32_e32 v23, 16, v23
	v_cndmask_b32_e32 v178, 0x7fc0, v23, vcc_lo
	s_delay_alu instid0(VALU_DEP_1)
	v_and_b32_e32 v23, 0xffff, v178
.LBB521_165:                            ;   in Loop: Header=BB521_152 Depth=1
	s_or_b32 exec_lo, exec_lo, s27
	s_waitcnt lgkmcnt(0)
	ds_bpermute_b32 v179, v163, v23
	s_mov_b32 s27, exec_lo
	v_cmpx_le_u32_e64 v164, v22
	s_cbranch_execz .LBB521_169
; %bb.166:                              ;   in Loop: Header=BB521_152 Depth=1
	s_waitcnt lgkmcnt(0)
	v_lshlrev_b32_e32 v178, 16, v179
	s_delay_alu instid0(VALU_DEP_1) | instskip(SKIP_1) | instid1(VALU_DEP_2)
	v_dual_max_f32 v180, v178, v178 :: v_dual_lshlrev_b32 v23, 16, v23
	v_cmp_u_f32_e32 vcc_lo, v178, v178
	v_max_f32_e32 v179, v23, v23
	s_delay_alu instid0(VALU_DEP_1) | instskip(NEXT) | instid1(VALU_DEP_1)
	v_min_f32_e32 v181, v180, v179
	v_dual_max_f32 v179, v180, v179 :: v_dual_cndmask_b32 v180, v181, v178
	s_delay_alu instid0(VALU_DEP_1) | instskip(SKIP_1) | instid1(VALU_DEP_3)
	v_cndmask_b32_e32 v181, v179, v178, vcc_lo
	v_cmp_u_f32_e32 vcc_lo, v23, v23
	v_cndmask_b32_e32 v179, v180, v23, vcc_lo
	s_delay_alu instid0(VALU_DEP_3) | instskip(NEXT) | instid1(VALU_DEP_1)
	v_cndmask_b32_e32 v23, v181, v23, vcc_lo
	v_cmp_neq_f32_e32 vcc_lo, v179, v23
	v_cmp_class_f32_e64 vcc_hi, v179, 0x1f8
	s_delay_alu instid0(VALU_DEP_1) | instskip(NEXT) | instid1(SALU_CYCLE_1)
	s_or_b32 vcc_lo, vcc_lo, vcc_hi
	s_and_saveexec_b32 vcc_hi, vcc_lo
	s_cbranch_execz .LBB521_168
; %bb.167:                              ;   in Loop: Header=BB521_152 Depth=1
	v_sub_f32_e32 v178, v179, v23
	s_delay_alu instid0(VALU_DEP_1) | instskip(SKIP_1) | instid1(VALU_DEP_2)
	v_mul_f32_e32 v179, 0x3fb8aa3b, v178
	v_cmp_ngt_f32_e32 vcc_lo, 0xc2ce8ed0, v178
	v_fma_f32 v180, 0x3fb8aa3b, v178, -v179
	v_rndne_f32_e32 v181, v179
	s_delay_alu instid0(VALU_DEP_1) | instskip(NEXT) | instid1(VALU_DEP_1)
	v_dual_fmac_f32 v180, 0x32a5705f, v178 :: v_dual_sub_f32 v179, v179, v181
	v_add_f32_e32 v179, v179, v180
	v_cvt_i32_f32_e32 v180, v181
	s_delay_alu instid0(VALU_DEP_2) | instskip(SKIP_2) | instid1(VALU_DEP_1)
	v_exp_f32_e32 v179, v179
	s_waitcnt_depctr 0xfff
	v_ldexp_f32 v179, v179, v180
	v_cndmask_b32_e32 v179, 0, v179, vcc_lo
	v_cmp_nlt_f32_e32 vcc_lo, 0x42b17218, v178
	s_delay_alu instid0(VALU_DEP_2) | instskip(NEXT) | instid1(VALU_DEP_1)
	v_cndmask_b32_e32 v180, 0x7f800000, v179, vcc_lo
	v_add_f32_e32 v181, 1.0, v180
	s_delay_alu instid0(VALU_DEP_1) | instskip(NEXT) | instid1(VALU_DEP_1)
	v_cvt_f64_f32_e32 v[178:179], v181
	v_frexp_exp_i32_f64_e32 v178, v[178:179]
	v_frexp_mant_f32_e32 v179, v181
	s_delay_alu instid0(VALU_DEP_1) | instskip(SKIP_2) | instid1(VALU_DEP_2)
	v_cmp_gt_f32_e32 vcc_lo, 0x3f2aaaab, v179
	v_add_f32_e32 v179, -1.0, v181
	v_cmp_gt_f32_e64 s30, 0x33800000, |v180|
	v_sub_f32_e32 v183, v179, v181
	v_sub_f32_e32 v179, v180, v179
	s_delay_alu instid0(VALU_DEP_2) | instskip(NEXT) | instid1(VALU_DEP_1)
	v_add_f32_e32 v183, 1.0, v183
	v_add_f32_e32 v179, v179, v183
	v_subrev_co_ci_u32_e32 v178, vcc_lo, 0, v178, vcc_lo
	v_cmp_eq_f32_e32 vcc_lo, 0x7f800000, v180
	s_delay_alu instid0(VALU_DEP_2) | instskip(SKIP_2) | instid1(VALU_DEP_2)
	v_sub_nc_u32_e32 v182, 0, v178
	v_cvt_f32_i32_e32 v178, v178
	s_or_b32 vcc_lo, vcc_lo, s30
	v_ldexp_f32 v181, v181, v182
	v_ldexp_f32 v179, v179, v182
	s_delay_alu instid0(VALU_DEP_2) | instskip(NEXT) | instid1(VALU_DEP_1)
	v_add_f32_e32 v192, 1.0, v181
	v_dual_add_f32 v182, -1.0, v181 :: v_dual_add_f32 v183, -1.0, v192
	s_delay_alu instid0(VALU_DEP_1) | instskip(NEXT) | instid1(VALU_DEP_2)
	v_add_f32_e32 v193, 1.0, v182
	v_sub_f32_e32 v183, v181, v183
	s_delay_alu instid0(VALU_DEP_2) | instskip(NEXT) | instid1(VALU_DEP_2)
	v_sub_f32_e32 v181, v181, v193
	v_add_f32_e32 v183, v179, v183
	s_delay_alu instid0(VALU_DEP_1) | instskip(NEXT) | instid1(VALU_DEP_3)
	v_add_f32_e32 v193, v192, v183
	v_add_f32_e32 v179, v179, v181
	s_delay_alu instid0(VALU_DEP_2) | instskip(NEXT) | instid1(VALU_DEP_1)
	v_rcp_f32_e32 v181, v193
	v_add_f32_e32 v194, v182, v179
	v_sub_f32_e32 v192, v192, v193
	s_delay_alu instid0(VALU_DEP_1) | instskip(SKIP_2) | instid1(VALU_DEP_1)
	v_dual_sub_f32 v182, v182, v194 :: v_dual_add_f32 v183, v183, v192
	s_waitcnt_depctr 0xfff
	v_mul_f32_e32 v195, v194, v181
	v_dual_add_f32 v179, v179, v182 :: v_dual_mul_f32 v196, v193, v195
	s_delay_alu instid0(VALU_DEP_1) | instskip(NEXT) | instid1(VALU_DEP_1)
	v_fma_f32 v192, v195, v193, -v196
	v_fmac_f32_e32 v192, v195, v183
	s_delay_alu instid0(VALU_DEP_1) | instskip(NEXT) | instid1(VALU_DEP_1)
	v_add_f32_e32 v197, v196, v192
	v_sub_f32_e32 v198, v194, v197
	v_sub_f32_e32 v182, v197, v196
	s_delay_alu instid0(VALU_DEP_2) | instskip(NEXT) | instid1(VALU_DEP_2)
	v_sub_f32_e32 v194, v194, v198
	v_sub_f32_e32 v182, v182, v192
	s_delay_alu instid0(VALU_DEP_2) | instskip(NEXT) | instid1(VALU_DEP_1)
	v_sub_f32_e32 v194, v194, v197
	v_add_f32_e32 v179, v179, v194
	s_delay_alu instid0(VALU_DEP_1) | instskip(NEXT) | instid1(VALU_DEP_1)
	v_add_f32_e32 v179, v182, v179
	v_add_f32_e32 v182, v198, v179
	s_delay_alu instid0(VALU_DEP_1) | instskip(NEXT) | instid1(VALU_DEP_1)
	v_mul_f32_e32 v192, v181, v182
	v_dual_sub_f32 v197, v198, v182 :: v_dual_mul_f32 v194, v193, v192
	s_delay_alu instid0(VALU_DEP_1) | instskip(NEXT) | instid1(VALU_DEP_2)
	v_add_f32_e32 v179, v179, v197
	v_fma_f32 v193, v192, v193, -v194
	s_delay_alu instid0(VALU_DEP_1) | instskip(NEXT) | instid1(VALU_DEP_1)
	v_fmac_f32_e32 v193, v192, v183
	v_add_f32_e32 v183, v194, v193
	s_delay_alu instid0(VALU_DEP_1) | instskip(SKIP_1) | instid1(VALU_DEP_2)
	v_sub_f32_e32 v196, v182, v183
	v_sub_f32_e32 v194, v183, v194
	;; [unrolled: 1-line block ×3, first 2 shown]
	s_delay_alu instid0(VALU_DEP_1) | instskip(NEXT) | instid1(VALU_DEP_3)
	v_sub_f32_e32 v182, v182, v183
	v_sub_f32_e32 v183, v194, v193
	s_delay_alu instid0(VALU_DEP_2) | instskip(SKIP_1) | instid1(VALU_DEP_2)
	v_add_f32_e32 v179, v179, v182
	v_add_f32_e32 v182, v195, v192
	v_add_f32_e32 v179, v183, v179
	s_delay_alu instid0(VALU_DEP_2) | instskip(NEXT) | instid1(VALU_DEP_2)
	v_sub_f32_e32 v183, v182, v195
	v_add_f32_e32 v179, v196, v179
	s_delay_alu instid0(VALU_DEP_2) | instskip(NEXT) | instid1(VALU_DEP_2)
	v_sub_f32_e32 v183, v192, v183
	v_mul_f32_e32 v179, v181, v179
	s_delay_alu instid0(VALU_DEP_1) | instskip(NEXT) | instid1(VALU_DEP_1)
	v_add_f32_e32 v179, v183, v179
	v_add_f32_e32 v181, v182, v179
	s_delay_alu instid0(VALU_DEP_1) | instskip(NEXT) | instid1(VALU_DEP_1)
	v_mul_f32_e32 v183, v181, v181
	v_fmaak_f32 v192, s26, v183, 0x3ecc95a3
	v_mul_f32_e32 v193, v181, v183
	s_delay_alu instid0(VALU_DEP_2) | instskip(SKIP_2) | instid1(VALU_DEP_3)
	v_fmaak_f32 v183, v183, v192, 0x3f2aaada
	v_ldexp_f32 v192, v181, 1
	v_sub_f32_e32 v181, v181, v182
	v_mul_f32_e32 v183, v193, v183
	v_mul_f32_e32 v193, 0x3f317218, v178
	s_delay_alu instid0(VALU_DEP_2) | instskip(NEXT) | instid1(VALU_DEP_1)
	v_dual_sub_f32 v179, v179, v181 :: v_dual_add_f32 v182, v192, v183
	v_ldexp_f32 v179, v179, 1
	s_delay_alu instid0(VALU_DEP_2) | instskip(NEXT) | instid1(VALU_DEP_4)
	v_sub_f32_e32 v181, v182, v192
	v_fma_f32 v192, 0x3f317218, v178, -v193
	s_delay_alu instid0(VALU_DEP_1) | instskip(NEXT) | instid1(VALU_DEP_1)
	v_dual_sub_f32 v181, v183, v181 :: v_dual_fmac_f32 v192, 0xb102e308, v178
	v_dual_add_f32 v178, v179, v181 :: v_dual_add_f32 v179, v193, v192
	s_delay_alu instid0(VALU_DEP_1) | instskip(NEXT) | instid1(VALU_DEP_2)
	v_add_f32_e32 v181, v182, v178
	v_sub_f32_e32 v193, v179, v193
	s_delay_alu instid0(VALU_DEP_2) | instskip(NEXT) | instid1(VALU_DEP_2)
	v_dual_add_f32 v183, v179, v181 :: v_dual_sub_f32 v182, v181, v182
	v_sub_f32_e32 v192, v192, v193
	s_delay_alu instid0(VALU_DEP_2) | instskip(NEXT) | instid1(VALU_DEP_3)
	v_sub_f32_e32 v194, v183, v179
	v_sub_f32_e32 v178, v178, v182
	s_delay_alu instid0(VALU_DEP_2) | instskip(SKIP_1) | instid1(VALU_DEP_2)
	v_sub_f32_e32 v195, v183, v194
	v_sub_f32_e32 v181, v181, v194
	v_dual_add_f32 v182, v192, v178 :: v_dual_sub_f32 v179, v179, v195
	s_delay_alu instid0(VALU_DEP_1) | instskip(NEXT) | instid1(VALU_DEP_2)
	v_add_f32_e32 v179, v181, v179
	v_sub_f32_e32 v181, v182, v192
	s_delay_alu instid0(VALU_DEP_2) | instskip(NEXT) | instid1(VALU_DEP_2)
	v_add_f32_e32 v179, v182, v179
	v_sub_f32_e32 v182, v182, v181
	s_delay_alu instid0(VALU_DEP_2) | instskip(NEXT) | instid1(VALU_DEP_1)
	v_dual_sub_f32 v178, v178, v181 :: v_dual_add_f32 v193, v183, v179
	v_dual_sub_f32 v182, v192, v182 :: v_dual_sub_f32 v181, v193, v183
	s_delay_alu instid0(VALU_DEP_1) | instskip(NEXT) | instid1(VALU_DEP_1)
	v_dual_add_f32 v178, v178, v182 :: v_dual_sub_f32 v179, v179, v181
	v_add_f32_e32 v178, v178, v179
	s_delay_alu instid0(VALU_DEP_1) | instskip(NEXT) | instid1(VALU_DEP_1)
	v_add_f32_e32 v178, v193, v178
	v_cndmask_b32_e32 v178, v178, v180, vcc_lo
	s_delay_alu instid0(VALU_DEP_1)
	v_add_f32_e32 v178, v23, v178
.LBB521_168:                            ;   in Loop: Header=BB521_152 Depth=1
	s_or_b32 exec_lo, exec_lo, vcc_hi
	s_delay_alu instid0(VALU_DEP_1) | instskip(SKIP_1) | instid1(VALU_DEP_2)
	v_bfe_u32 v23, v178, 16, 1
	v_cmp_o_f32_e32 vcc_lo, v178, v178
	v_add3_u32 v23, v178, v23, 0x7fff
	s_delay_alu instid0(VALU_DEP_1) | instskip(NEXT) | instid1(VALU_DEP_1)
	v_lshrrev_b32_e32 v23, 16, v23
	v_cndmask_b32_e32 v178, 0x7fc0, v23, vcc_lo
	s_delay_alu instid0(VALU_DEP_1)
	v_and_b32_e32 v23, 0xffff, v178
.LBB521_169:                            ;   in Loop: Header=BB521_152 Depth=1
	s_or_b32 exec_lo, exec_lo, s27
	s_waitcnt lgkmcnt(0)
	ds_bpermute_b32 v179, v165, v23
	s_mov_b32 s27, exec_lo
	v_cmpx_le_u32_e64 v166, v22
	s_cbranch_execz .LBB521_173
; %bb.170:                              ;   in Loop: Header=BB521_152 Depth=1
	s_waitcnt lgkmcnt(0)
	v_lshlrev_b32_e32 v178, 16, v179
	s_delay_alu instid0(VALU_DEP_1) | instskip(SKIP_1) | instid1(VALU_DEP_2)
	v_dual_max_f32 v180, v178, v178 :: v_dual_lshlrev_b32 v23, 16, v23
	v_cmp_u_f32_e32 vcc_lo, v178, v178
	v_max_f32_e32 v179, v23, v23
	s_delay_alu instid0(VALU_DEP_1) | instskip(NEXT) | instid1(VALU_DEP_1)
	v_min_f32_e32 v181, v180, v179
	v_dual_max_f32 v179, v180, v179 :: v_dual_cndmask_b32 v180, v181, v178
	s_delay_alu instid0(VALU_DEP_1) | instskip(SKIP_1) | instid1(VALU_DEP_3)
	v_cndmask_b32_e32 v181, v179, v178, vcc_lo
	v_cmp_u_f32_e32 vcc_lo, v23, v23
	v_cndmask_b32_e32 v179, v180, v23, vcc_lo
	s_delay_alu instid0(VALU_DEP_3) | instskip(NEXT) | instid1(VALU_DEP_1)
	v_cndmask_b32_e32 v23, v181, v23, vcc_lo
	v_cmp_neq_f32_e32 vcc_lo, v179, v23
	v_cmp_class_f32_e64 vcc_hi, v179, 0x1f8
	s_delay_alu instid0(VALU_DEP_1) | instskip(NEXT) | instid1(SALU_CYCLE_1)
	s_or_b32 vcc_lo, vcc_lo, vcc_hi
	s_and_saveexec_b32 vcc_hi, vcc_lo
	s_cbranch_execz .LBB521_172
; %bb.171:                              ;   in Loop: Header=BB521_152 Depth=1
	v_sub_f32_e32 v178, v179, v23
	s_delay_alu instid0(VALU_DEP_1) | instskip(SKIP_1) | instid1(VALU_DEP_2)
	v_mul_f32_e32 v179, 0x3fb8aa3b, v178
	v_cmp_ngt_f32_e32 vcc_lo, 0xc2ce8ed0, v178
	v_fma_f32 v180, 0x3fb8aa3b, v178, -v179
	v_rndne_f32_e32 v181, v179
	s_delay_alu instid0(VALU_DEP_1) | instskip(NEXT) | instid1(VALU_DEP_1)
	v_dual_fmac_f32 v180, 0x32a5705f, v178 :: v_dual_sub_f32 v179, v179, v181
	v_add_f32_e32 v179, v179, v180
	v_cvt_i32_f32_e32 v180, v181
	s_delay_alu instid0(VALU_DEP_2) | instskip(SKIP_2) | instid1(VALU_DEP_1)
	v_exp_f32_e32 v179, v179
	s_waitcnt_depctr 0xfff
	v_ldexp_f32 v179, v179, v180
	v_cndmask_b32_e32 v179, 0, v179, vcc_lo
	v_cmp_nlt_f32_e32 vcc_lo, 0x42b17218, v178
	s_delay_alu instid0(VALU_DEP_2) | instskip(NEXT) | instid1(VALU_DEP_1)
	v_cndmask_b32_e32 v180, 0x7f800000, v179, vcc_lo
	v_add_f32_e32 v181, 1.0, v180
	s_delay_alu instid0(VALU_DEP_1) | instskip(NEXT) | instid1(VALU_DEP_1)
	v_cvt_f64_f32_e32 v[178:179], v181
	v_frexp_exp_i32_f64_e32 v178, v[178:179]
	v_frexp_mant_f32_e32 v179, v181
	s_delay_alu instid0(VALU_DEP_1) | instskip(SKIP_2) | instid1(VALU_DEP_2)
	v_cmp_gt_f32_e32 vcc_lo, 0x3f2aaaab, v179
	v_add_f32_e32 v179, -1.0, v181
	v_cmp_gt_f32_e64 s30, 0x33800000, |v180|
	v_sub_f32_e32 v183, v179, v181
	v_sub_f32_e32 v179, v180, v179
	s_delay_alu instid0(VALU_DEP_2) | instskip(NEXT) | instid1(VALU_DEP_1)
	v_add_f32_e32 v183, 1.0, v183
	v_add_f32_e32 v179, v179, v183
	v_subrev_co_ci_u32_e32 v178, vcc_lo, 0, v178, vcc_lo
	v_cmp_eq_f32_e32 vcc_lo, 0x7f800000, v180
	s_delay_alu instid0(VALU_DEP_2) | instskip(SKIP_2) | instid1(VALU_DEP_2)
	v_sub_nc_u32_e32 v182, 0, v178
	v_cvt_f32_i32_e32 v178, v178
	s_or_b32 vcc_lo, vcc_lo, s30
	v_ldexp_f32 v181, v181, v182
	v_ldexp_f32 v179, v179, v182
	s_delay_alu instid0(VALU_DEP_2) | instskip(NEXT) | instid1(VALU_DEP_1)
	v_add_f32_e32 v192, 1.0, v181
	v_dual_add_f32 v182, -1.0, v181 :: v_dual_add_f32 v183, -1.0, v192
	s_delay_alu instid0(VALU_DEP_1) | instskip(NEXT) | instid1(VALU_DEP_2)
	v_add_f32_e32 v193, 1.0, v182
	v_sub_f32_e32 v183, v181, v183
	s_delay_alu instid0(VALU_DEP_2) | instskip(NEXT) | instid1(VALU_DEP_2)
	v_sub_f32_e32 v181, v181, v193
	v_add_f32_e32 v183, v179, v183
	s_delay_alu instid0(VALU_DEP_1) | instskip(NEXT) | instid1(VALU_DEP_3)
	v_add_f32_e32 v193, v192, v183
	v_add_f32_e32 v179, v179, v181
	s_delay_alu instid0(VALU_DEP_2) | instskip(NEXT) | instid1(VALU_DEP_1)
	v_rcp_f32_e32 v181, v193
	v_add_f32_e32 v194, v182, v179
	v_sub_f32_e32 v192, v192, v193
	s_delay_alu instid0(VALU_DEP_1) | instskip(SKIP_2) | instid1(VALU_DEP_1)
	v_dual_sub_f32 v182, v182, v194 :: v_dual_add_f32 v183, v183, v192
	s_waitcnt_depctr 0xfff
	v_mul_f32_e32 v195, v194, v181
	v_dual_add_f32 v179, v179, v182 :: v_dual_mul_f32 v196, v193, v195
	s_delay_alu instid0(VALU_DEP_1) | instskip(NEXT) | instid1(VALU_DEP_1)
	v_fma_f32 v192, v195, v193, -v196
	v_fmac_f32_e32 v192, v195, v183
	s_delay_alu instid0(VALU_DEP_1) | instskip(NEXT) | instid1(VALU_DEP_1)
	v_add_f32_e32 v197, v196, v192
	v_sub_f32_e32 v198, v194, v197
	v_sub_f32_e32 v182, v197, v196
	s_delay_alu instid0(VALU_DEP_2) | instskip(NEXT) | instid1(VALU_DEP_2)
	v_sub_f32_e32 v194, v194, v198
	v_sub_f32_e32 v182, v182, v192
	s_delay_alu instid0(VALU_DEP_2) | instskip(NEXT) | instid1(VALU_DEP_1)
	v_sub_f32_e32 v194, v194, v197
	v_add_f32_e32 v179, v179, v194
	s_delay_alu instid0(VALU_DEP_1) | instskip(NEXT) | instid1(VALU_DEP_1)
	v_add_f32_e32 v179, v182, v179
	v_add_f32_e32 v182, v198, v179
	s_delay_alu instid0(VALU_DEP_1) | instskip(NEXT) | instid1(VALU_DEP_1)
	v_mul_f32_e32 v192, v181, v182
	v_dual_sub_f32 v197, v198, v182 :: v_dual_mul_f32 v194, v193, v192
	s_delay_alu instid0(VALU_DEP_1) | instskip(NEXT) | instid1(VALU_DEP_2)
	v_add_f32_e32 v179, v179, v197
	v_fma_f32 v193, v192, v193, -v194
	s_delay_alu instid0(VALU_DEP_1) | instskip(NEXT) | instid1(VALU_DEP_1)
	v_fmac_f32_e32 v193, v192, v183
	v_add_f32_e32 v183, v194, v193
	s_delay_alu instid0(VALU_DEP_1) | instskip(SKIP_1) | instid1(VALU_DEP_2)
	v_sub_f32_e32 v196, v182, v183
	v_sub_f32_e32 v194, v183, v194
	;; [unrolled: 1-line block ×3, first 2 shown]
	s_delay_alu instid0(VALU_DEP_1) | instskip(NEXT) | instid1(VALU_DEP_3)
	v_sub_f32_e32 v182, v182, v183
	v_sub_f32_e32 v183, v194, v193
	s_delay_alu instid0(VALU_DEP_2) | instskip(SKIP_1) | instid1(VALU_DEP_2)
	v_add_f32_e32 v179, v179, v182
	v_add_f32_e32 v182, v195, v192
	;; [unrolled: 1-line block ×3, first 2 shown]
	s_delay_alu instid0(VALU_DEP_2) | instskip(NEXT) | instid1(VALU_DEP_2)
	v_sub_f32_e32 v183, v182, v195
	v_add_f32_e32 v179, v196, v179
	s_delay_alu instid0(VALU_DEP_2) | instskip(NEXT) | instid1(VALU_DEP_2)
	v_sub_f32_e32 v183, v192, v183
	v_mul_f32_e32 v179, v181, v179
	s_delay_alu instid0(VALU_DEP_1) | instskip(NEXT) | instid1(VALU_DEP_1)
	v_add_f32_e32 v179, v183, v179
	v_add_f32_e32 v181, v182, v179
	s_delay_alu instid0(VALU_DEP_1) | instskip(NEXT) | instid1(VALU_DEP_1)
	v_mul_f32_e32 v183, v181, v181
	v_fmaak_f32 v192, s26, v183, 0x3ecc95a3
	v_mul_f32_e32 v193, v181, v183
	s_delay_alu instid0(VALU_DEP_2) | instskip(SKIP_2) | instid1(VALU_DEP_3)
	v_fmaak_f32 v183, v183, v192, 0x3f2aaada
	v_ldexp_f32 v192, v181, 1
	v_sub_f32_e32 v181, v181, v182
	v_mul_f32_e32 v183, v193, v183
	v_mul_f32_e32 v193, 0x3f317218, v178
	s_delay_alu instid0(VALU_DEP_2) | instskip(NEXT) | instid1(VALU_DEP_1)
	v_dual_sub_f32 v179, v179, v181 :: v_dual_add_f32 v182, v192, v183
	v_ldexp_f32 v179, v179, 1
	s_delay_alu instid0(VALU_DEP_2) | instskip(NEXT) | instid1(VALU_DEP_4)
	v_sub_f32_e32 v181, v182, v192
	v_fma_f32 v192, 0x3f317218, v178, -v193
	s_delay_alu instid0(VALU_DEP_1) | instskip(NEXT) | instid1(VALU_DEP_1)
	v_dual_sub_f32 v181, v183, v181 :: v_dual_fmac_f32 v192, 0xb102e308, v178
	v_dual_add_f32 v178, v179, v181 :: v_dual_add_f32 v179, v193, v192
	s_delay_alu instid0(VALU_DEP_1) | instskip(NEXT) | instid1(VALU_DEP_2)
	v_add_f32_e32 v181, v182, v178
	v_sub_f32_e32 v193, v179, v193
	s_delay_alu instid0(VALU_DEP_2) | instskip(NEXT) | instid1(VALU_DEP_2)
	v_dual_add_f32 v183, v179, v181 :: v_dual_sub_f32 v182, v181, v182
	v_sub_f32_e32 v192, v192, v193
	s_delay_alu instid0(VALU_DEP_2) | instskip(NEXT) | instid1(VALU_DEP_3)
	v_sub_f32_e32 v194, v183, v179
	v_sub_f32_e32 v178, v178, v182
	s_delay_alu instid0(VALU_DEP_2) | instskip(SKIP_1) | instid1(VALU_DEP_2)
	v_sub_f32_e32 v195, v183, v194
	v_sub_f32_e32 v181, v181, v194
	v_dual_add_f32 v182, v192, v178 :: v_dual_sub_f32 v179, v179, v195
	s_delay_alu instid0(VALU_DEP_1) | instskip(NEXT) | instid1(VALU_DEP_2)
	v_add_f32_e32 v179, v181, v179
	v_sub_f32_e32 v181, v182, v192
	s_delay_alu instid0(VALU_DEP_2) | instskip(NEXT) | instid1(VALU_DEP_2)
	v_add_f32_e32 v179, v182, v179
	v_sub_f32_e32 v182, v182, v181
	s_delay_alu instid0(VALU_DEP_2) | instskip(NEXT) | instid1(VALU_DEP_1)
	v_dual_sub_f32 v178, v178, v181 :: v_dual_add_f32 v193, v183, v179
	v_dual_sub_f32 v182, v192, v182 :: v_dual_sub_f32 v181, v193, v183
	s_delay_alu instid0(VALU_DEP_1) | instskip(NEXT) | instid1(VALU_DEP_1)
	v_dual_add_f32 v178, v178, v182 :: v_dual_sub_f32 v179, v179, v181
	v_add_f32_e32 v178, v178, v179
	s_delay_alu instid0(VALU_DEP_1) | instskip(NEXT) | instid1(VALU_DEP_1)
	v_add_f32_e32 v178, v193, v178
	v_cndmask_b32_e32 v178, v178, v180, vcc_lo
	s_delay_alu instid0(VALU_DEP_1)
	v_add_f32_e32 v178, v23, v178
.LBB521_172:                            ;   in Loop: Header=BB521_152 Depth=1
	s_or_b32 exec_lo, exec_lo, vcc_hi
	s_delay_alu instid0(VALU_DEP_1) | instskip(SKIP_1) | instid1(VALU_DEP_2)
	v_bfe_u32 v23, v178, 16, 1
	v_cmp_o_f32_e32 vcc_lo, v178, v178
	v_add3_u32 v23, v178, v23, 0x7fff
	s_delay_alu instid0(VALU_DEP_1) | instskip(NEXT) | instid1(VALU_DEP_1)
	v_lshrrev_b32_e32 v23, 16, v23
	v_cndmask_b32_e32 v178, 0x7fc0, v23, vcc_lo
	s_delay_alu instid0(VALU_DEP_1)
	v_and_b32_e32 v23, 0xffff, v178
.LBB521_173:                            ;   in Loop: Header=BB521_152 Depth=1
	s_or_b32 exec_lo, exec_lo, s27
	s_waitcnt lgkmcnt(0)
	ds_bpermute_b32 v179, v167, v23
	s_mov_b32 s27, exec_lo
	v_cmpx_le_u32_e64 v177, v22
	s_cbranch_execz .LBB521_177
; %bb.174:                              ;   in Loop: Header=BB521_152 Depth=1
	v_lshlrev_b32_e32 v22, 16, v23
	s_waitcnt lgkmcnt(0)
	s_delay_alu instid0(VALU_DEP_1) | instskip(NEXT) | instid1(VALU_DEP_1)
	v_dual_max_f32 v178, v22, v22 :: v_dual_lshlrev_b32 v23, 16, v179
	v_max_f32_e32 v179, v23, v23
	v_cmp_u_f32_e32 vcc_lo, v23, v23
	s_delay_alu instid0(VALU_DEP_2) | instskip(NEXT) | instid1(VALU_DEP_1)
	v_min_f32_e32 v180, v179, v178
	v_dual_max_f32 v178, v179, v178 :: v_dual_cndmask_b32 v179, v180, v23
	s_delay_alu instid0(VALU_DEP_1) | instskip(SKIP_1) | instid1(VALU_DEP_3)
	v_cndmask_b32_e32 v180, v178, v23, vcc_lo
	v_cmp_u_f32_e32 vcc_lo, v22, v22
	v_cndmask_b32_e32 v178, v179, v22, vcc_lo
	s_delay_alu instid0(VALU_DEP_3) | instskip(NEXT) | instid1(VALU_DEP_1)
	v_cndmask_b32_e32 v22, v180, v22, vcc_lo
	v_cmp_neq_f32_e32 vcc_lo, v178, v22
	v_cmp_class_f32_e64 vcc_hi, v178, 0x1f8
	s_delay_alu instid0(VALU_DEP_1) | instskip(NEXT) | instid1(SALU_CYCLE_1)
	s_or_b32 vcc_lo, vcc_lo, vcc_hi
	s_and_saveexec_b32 vcc_hi, vcc_lo
	s_cbranch_execz .LBB521_176
; %bb.175:                              ;   in Loop: Header=BB521_152 Depth=1
	v_sub_f32_e32 v23, v178, v22
	s_delay_alu instid0(VALU_DEP_1) | instskip(SKIP_1) | instid1(VALU_DEP_2)
	v_mul_f32_e32 v178, 0x3fb8aa3b, v23
	v_cmp_ngt_f32_e32 vcc_lo, 0xc2ce8ed0, v23
	v_fma_f32 v179, 0x3fb8aa3b, v23, -v178
	v_rndne_f32_e32 v180, v178
	s_delay_alu instid0(VALU_DEP_1) | instskip(NEXT) | instid1(VALU_DEP_1)
	v_dual_fmac_f32 v179, 0x32a5705f, v23 :: v_dual_sub_f32 v178, v178, v180
	v_add_f32_e32 v178, v178, v179
	v_cvt_i32_f32_e32 v179, v180
	s_delay_alu instid0(VALU_DEP_2) | instskip(SKIP_2) | instid1(VALU_DEP_1)
	v_exp_f32_e32 v178, v178
	s_waitcnt_depctr 0xfff
	v_ldexp_f32 v178, v178, v179
	v_cndmask_b32_e32 v178, 0, v178, vcc_lo
	v_cmp_nlt_f32_e32 vcc_lo, 0x42b17218, v23
	s_delay_alu instid0(VALU_DEP_2) | instskip(NEXT) | instid1(VALU_DEP_1)
	v_cndmask_b32_e32 v23, 0x7f800000, v178, vcc_lo
	v_add_f32_e32 v180, 1.0, v23
	s_delay_alu instid0(VALU_DEP_1) | instskip(NEXT) | instid1(VALU_DEP_1)
	v_cvt_f64_f32_e32 v[178:179], v180
	v_frexp_exp_i32_f64_e32 v178, v[178:179]
	v_frexp_mant_f32_e32 v179, v180
	s_delay_alu instid0(VALU_DEP_1) | instskip(SKIP_1) | instid1(VALU_DEP_1)
	v_cmp_gt_f32_e32 vcc_lo, 0x3f2aaaab, v179
	v_add_f32_e32 v179, -1.0, v180
	v_sub_f32_e32 v182, v179, v180
	s_delay_alu instid0(VALU_DEP_1) | instskip(NEXT) | instid1(VALU_DEP_1)
	v_dual_sub_f32 v179, v23, v179 :: v_dual_add_f32 v182, 1.0, v182
	v_add_f32_e32 v179, v179, v182
	v_subrev_co_ci_u32_e32 v178, vcc_lo, 0, v178, vcc_lo
	s_delay_alu instid0(VALU_DEP_1) | instskip(SKIP_1) | instid1(VALU_DEP_2)
	v_sub_nc_u32_e32 v181, 0, v178
	v_cvt_f32_i32_e32 v178, v178
	v_ldexp_f32 v180, v180, v181
	v_ldexp_f32 v179, v179, v181
	s_delay_alu instid0(VALU_DEP_2) | instskip(NEXT) | instid1(VALU_DEP_1)
	v_add_f32_e32 v181, -1.0, v180
	v_dual_add_f32 v183, 1.0, v180 :: v_dual_add_f32 v192, 1.0, v181
	s_delay_alu instid0(VALU_DEP_1) | instskip(SKIP_2) | instid1(VALU_DEP_3)
	v_add_f32_e32 v182, -1.0, v183
	v_cmp_eq_f32_e32 vcc_lo, 0x7f800000, v23
	v_cmp_gt_f32_e64 s30, 0x33800000, |v23|
	v_sub_f32_e32 v182, v180, v182
	v_sub_f32_e32 v180, v180, v192
	s_delay_alu instid0(VALU_DEP_3) | instskip(NEXT) | instid1(VALU_DEP_2)
	s_or_b32 vcc_lo, vcc_lo, s30
	v_add_f32_e32 v182, v179, v182
	s_delay_alu instid0(VALU_DEP_2) | instskip(NEXT) | instid1(VALU_DEP_1)
	v_add_f32_e32 v179, v179, v180
	v_dual_add_f32 v193, v181, v179 :: v_dual_add_f32 v192, v183, v182
	s_delay_alu instid0(VALU_DEP_1) | instskip(NEXT) | instid1(VALU_DEP_2)
	v_sub_f32_e32 v181, v181, v193
	v_rcp_f32_e32 v180, v192
	v_sub_f32_e32 v183, v183, v192
	s_delay_alu instid0(VALU_DEP_1) | instskip(SKIP_2) | instid1(VALU_DEP_1)
	v_dual_add_f32 v179, v179, v181 :: v_dual_add_f32 v182, v182, v183
	s_waitcnt_depctr 0xfff
	v_mul_f32_e32 v194, v193, v180
	v_mul_f32_e32 v195, v192, v194
	s_delay_alu instid0(VALU_DEP_1) | instskip(NEXT) | instid1(VALU_DEP_1)
	v_fma_f32 v183, v194, v192, -v195
	v_fmac_f32_e32 v183, v194, v182
	s_delay_alu instid0(VALU_DEP_1) | instskip(NEXT) | instid1(VALU_DEP_1)
	v_add_f32_e32 v196, v195, v183
	v_sub_f32_e32 v197, v193, v196
	s_delay_alu instid0(VALU_DEP_1) | instskip(SKIP_1) | instid1(VALU_DEP_2)
	v_sub_f32_e32 v193, v193, v197
	v_sub_f32_e32 v181, v196, v195
	;; [unrolled: 1-line block ×3, first 2 shown]
	s_delay_alu instid0(VALU_DEP_2) | instskip(NEXT) | instid1(VALU_DEP_2)
	v_sub_f32_e32 v181, v181, v183
	v_add_f32_e32 v179, v179, v193
	s_delay_alu instid0(VALU_DEP_1) | instskip(NEXT) | instid1(VALU_DEP_1)
	v_add_f32_e32 v179, v181, v179
	v_add_f32_e32 v181, v197, v179
	s_delay_alu instid0(VALU_DEP_1) | instskip(NEXT) | instid1(VALU_DEP_1)
	v_mul_f32_e32 v183, v180, v181
	v_dual_sub_f32 v196, v197, v181 :: v_dual_mul_f32 v193, v192, v183
	s_delay_alu instid0(VALU_DEP_1) | instskip(NEXT) | instid1(VALU_DEP_2)
	v_add_f32_e32 v179, v179, v196
	v_fma_f32 v192, v183, v192, -v193
	s_delay_alu instid0(VALU_DEP_1) | instskip(NEXT) | instid1(VALU_DEP_1)
	v_fmac_f32_e32 v192, v183, v182
	v_add_f32_e32 v182, v193, v192
	s_delay_alu instid0(VALU_DEP_1) | instskip(SKIP_1) | instid1(VALU_DEP_2)
	v_sub_f32_e32 v195, v181, v182
	v_sub_f32_e32 v193, v182, v193
	;; [unrolled: 1-line block ×3, first 2 shown]
	s_delay_alu instid0(VALU_DEP_1) | instskip(NEXT) | instid1(VALU_DEP_1)
	v_sub_f32_e32 v181, v181, v182
	v_dual_sub_f32 v182, v193, v192 :: v_dual_add_f32 v179, v179, v181
	v_add_f32_e32 v181, v194, v183
	s_delay_alu instid0(VALU_DEP_1) | instskip(NEXT) | instid1(VALU_DEP_1)
	v_dual_add_f32 v179, v182, v179 :: v_dual_sub_f32 v182, v181, v194
	v_add_f32_e32 v179, v195, v179
	s_delay_alu instid0(VALU_DEP_1) | instskip(NEXT) | instid1(VALU_DEP_1)
	v_dual_sub_f32 v182, v183, v182 :: v_dual_mul_f32 v179, v180, v179
	v_add_f32_e32 v179, v182, v179
	s_delay_alu instid0(VALU_DEP_1) | instskip(NEXT) | instid1(VALU_DEP_1)
	v_add_f32_e32 v180, v181, v179
	v_mul_f32_e32 v182, v180, v180
	s_delay_alu instid0(VALU_DEP_1) | instskip(SKIP_1) | instid1(VALU_DEP_2)
	v_fmaak_f32 v183, s26, v182, 0x3ecc95a3
	v_mul_f32_e32 v192, v180, v182
	v_fmaak_f32 v182, v182, v183, 0x3f2aaada
	v_ldexp_f32 v183, v180, 1
	v_sub_f32_e32 v180, v180, v181
	s_delay_alu instid0(VALU_DEP_3) | instskip(NEXT) | instid1(VALU_DEP_2)
	v_mul_f32_e32 v182, v192, v182
	v_dual_mul_f32 v192, 0x3f317218, v178 :: v_dual_sub_f32 v179, v179, v180
	s_delay_alu instid0(VALU_DEP_2) | instskip(NEXT) | instid1(VALU_DEP_2)
	v_add_f32_e32 v181, v183, v182
	v_ldexp_f32 v179, v179, 1
	s_delay_alu instid0(VALU_DEP_2) | instskip(NEXT) | instid1(VALU_DEP_4)
	v_sub_f32_e32 v180, v181, v183
	v_fma_f32 v183, 0x3f317218, v178, -v192
	s_delay_alu instid0(VALU_DEP_1) | instskip(NEXT) | instid1(VALU_DEP_1)
	v_dual_sub_f32 v180, v182, v180 :: v_dual_fmac_f32 v183, 0xb102e308, v178
	v_add_f32_e32 v178, v179, v180
	s_delay_alu instid0(VALU_DEP_1) | instskip(NEXT) | instid1(VALU_DEP_1)
	v_add_f32_e32 v180, v181, v178
	v_sub_f32_e32 v181, v180, v181
	s_delay_alu instid0(VALU_DEP_1) | instskip(NEXT) | instid1(VALU_DEP_1)
	v_dual_sub_f32 v178, v178, v181 :: v_dual_add_f32 v179, v192, v183
	v_add_f32_e32 v182, v179, v180
	s_delay_alu instid0(VALU_DEP_1) | instskip(NEXT) | instid1(VALU_DEP_1)
	v_dual_sub_f32 v192, v179, v192 :: v_dual_sub_f32 v193, v182, v179
	v_dual_sub_f32 v183, v183, v192 :: v_dual_sub_f32 v194, v182, v193
	s_delay_alu instid0(VALU_DEP_1) | instskip(NEXT) | instid1(VALU_DEP_2)
	v_dual_sub_f32 v180, v180, v193 :: v_dual_add_f32 v181, v183, v178
	v_sub_f32_e32 v179, v179, v194
	s_delay_alu instid0(VALU_DEP_1) | instskip(NEXT) | instid1(VALU_DEP_3)
	v_add_f32_e32 v179, v180, v179
	v_sub_f32_e32 v180, v181, v183
	s_delay_alu instid0(VALU_DEP_2) | instskip(NEXT) | instid1(VALU_DEP_2)
	v_add_f32_e32 v179, v181, v179
	v_sub_f32_e32 v181, v181, v180
	v_sub_f32_e32 v178, v178, v180
	s_delay_alu instid0(VALU_DEP_2) | instskip(NEXT) | instid1(VALU_DEP_1)
	v_dual_add_f32 v192, v182, v179 :: v_dual_sub_f32 v181, v183, v181
	v_sub_f32_e32 v180, v192, v182
	s_delay_alu instid0(VALU_DEP_1) | instskip(NEXT) | instid1(VALU_DEP_1)
	v_dual_add_f32 v178, v178, v181 :: v_dual_sub_f32 v179, v179, v180
	v_add_f32_e32 v178, v178, v179
	s_delay_alu instid0(VALU_DEP_1) | instskip(NEXT) | instid1(VALU_DEP_1)
	v_add_f32_e32 v178, v192, v178
	v_cndmask_b32_e32 v23, v178, v23, vcc_lo
	s_delay_alu instid0(VALU_DEP_1)
	v_add_f32_e32 v23, v22, v23
.LBB521_176:                            ;   in Loop: Header=BB521_152 Depth=1
	s_or_b32 exec_lo, exec_lo, vcc_hi
	s_delay_alu instid0(VALU_DEP_1) | instskip(SKIP_1) | instid1(VALU_DEP_2)
	v_bfe_u32 v22, v23, 16, 1
	v_cmp_o_f32_e32 vcc_lo, v23, v23
	v_add3_u32 v22, v23, v22, 0x7fff
	s_delay_alu instid0(VALU_DEP_1) | instskip(NEXT) | instid1(VALU_DEP_1)
	v_lshrrev_b32_e32 v22, 16, v22
	v_cndmask_b32_e32 v178, 0x7fc0, v22, vcc_lo
.LBB521_177:                            ;   in Loop: Header=BB521_152 Depth=1
	s_or_b32 exec_lo, exec_lo, s27
	s_delay_alu instid0(VALU_DEP_1) | instskip(SKIP_1) | instid1(VALU_DEP_1)
	v_lshlrev_b32_e32 v23, 16, v178
	s_waitcnt lgkmcnt(0)
	v_dual_max_f32 v179, v23, v23 :: v_dual_lshlrev_b32 v22, 16, v176
	v_cmp_u_f32_e32 vcc_lo, v23, v23
	s_delay_alu instid0(VALU_DEP_2) | instskip(NEXT) | instid1(VALU_DEP_1)
	v_max_f32_e32 v178, v22, v22
	v_min_f32_e32 v180, v179, v178
	s_delay_alu instid0(VALU_DEP_1) | instskip(NEXT) | instid1(VALU_DEP_1)
	v_dual_max_f32 v178, v179, v178 :: v_dual_cndmask_b32 v179, v180, v23
	v_cndmask_b32_e32 v180, v178, v23, vcc_lo
	v_cmp_u_f32_e32 vcc_lo, v22, v22
	s_delay_alu instid0(VALU_DEP_3) | instskip(NEXT) | instid1(VALU_DEP_3)
	v_cndmask_b32_e32 v178, v179, v22, vcc_lo
	v_cndmask_b32_e32 v22, v180, v22, vcc_lo
	s_delay_alu instid0(VALU_DEP_2) | instskip(NEXT) | instid1(VALU_DEP_2)
	v_cmp_class_f32_e64 s27, v178, 0x1f8
	v_cmp_neq_f32_e32 vcc_lo, v178, v22
	s_delay_alu instid0(VALU_DEP_2) | instskip(NEXT) | instid1(SALU_CYCLE_1)
	s_or_b32 vcc_lo, vcc_lo, s27
	s_and_saveexec_b32 s27, vcc_lo
	s_cbranch_execz .LBB521_179
; %bb.178:                              ;   in Loop: Header=BB521_152 Depth=1
	v_sub_f32_e32 v23, v178, v22
	s_delay_alu instid0(VALU_DEP_1) | instskip(SKIP_1) | instid1(VALU_DEP_2)
	v_mul_f32_e32 v178, 0x3fb8aa3b, v23
	v_cmp_ngt_f32_e32 vcc_lo, 0xc2ce8ed0, v23
	v_fma_f32 v179, 0x3fb8aa3b, v23, -v178
	v_rndne_f32_e32 v180, v178
	s_delay_alu instid0(VALU_DEP_1) | instskip(NEXT) | instid1(VALU_DEP_1)
	v_dual_fmac_f32 v179, 0x32a5705f, v23 :: v_dual_sub_f32 v178, v178, v180
	v_add_f32_e32 v178, v178, v179
	v_cvt_i32_f32_e32 v179, v180
	s_delay_alu instid0(VALU_DEP_2) | instskip(SKIP_2) | instid1(VALU_DEP_1)
	v_exp_f32_e32 v178, v178
	s_waitcnt_depctr 0xfff
	v_ldexp_f32 v178, v178, v179
	v_cndmask_b32_e32 v178, 0, v178, vcc_lo
	v_cmp_nlt_f32_e32 vcc_lo, 0x42b17218, v23
	s_delay_alu instid0(VALU_DEP_2) | instskip(NEXT) | instid1(VALU_DEP_1)
	v_cndmask_b32_e32 v23, 0x7f800000, v178, vcc_lo
	v_add_f32_e32 v180, 1.0, v23
	s_delay_alu instid0(VALU_DEP_1) | instskip(NEXT) | instid1(VALU_DEP_1)
	v_cvt_f64_f32_e32 v[178:179], v180
	v_frexp_exp_i32_f64_e32 v178, v[178:179]
	v_frexp_mant_f32_e32 v179, v180
	s_delay_alu instid0(VALU_DEP_1) | instskip(SKIP_1) | instid1(VALU_DEP_1)
	v_cmp_gt_f32_e32 vcc_lo, 0x3f2aaaab, v179
	v_add_f32_e32 v179, -1.0, v180
	v_sub_f32_e32 v182, v179, v180
	s_delay_alu instid0(VALU_DEP_1) | instskip(NEXT) | instid1(VALU_DEP_1)
	v_dual_sub_f32 v179, v23, v179 :: v_dual_add_f32 v182, 1.0, v182
	v_add_f32_e32 v179, v179, v182
	v_subrev_co_ci_u32_e32 v178, vcc_lo, 0, v178, vcc_lo
	s_delay_alu instid0(VALU_DEP_1) | instskip(SKIP_1) | instid1(VALU_DEP_2)
	v_sub_nc_u32_e32 v181, 0, v178
	v_cvt_f32_i32_e32 v178, v178
	v_ldexp_f32 v180, v180, v181
	v_ldexp_f32 v179, v179, v181
	s_delay_alu instid0(VALU_DEP_2) | instskip(NEXT) | instid1(VALU_DEP_1)
	v_add_f32_e32 v181, -1.0, v180
	v_dual_add_f32 v183, 1.0, v180 :: v_dual_add_f32 v192, 1.0, v181
	s_delay_alu instid0(VALU_DEP_1) | instskip(SKIP_2) | instid1(VALU_DEP_3)
	v_add_f32_e32 v182, -1.0, v183
	v_cmp_eq_f32_e32 vcc_lo, 0x7f800000, v23
	v_cmp_gt_f32_e64 vcc_hi, 0x33800000, |v23|
	v_sub_f32_e32 v182, v180, v182
	v_sub_f32_e32 v180, v180, v192
	s_delay_alu instid0(VALU_DEP_3) | instskip(NEXT) | instid1(VALU_DEP_2)
	s_or_b32 vcc_lo, vcc_lo, vcc_hi
	v_add_f32_e32 v182, v179, v182
	s_delay_alu instid0(VALU_DEP_2) | instskip(NEXT) | instid1(VALU_DEP_1)
	v_add_f32_e32 v179, v179, v180
	v_dual_add_f32 v193, v181, v179 :: v_dual_add_f32 v192, v183, v182
	s_delay_alu instid0(VALU_DEP_1) | instskip(NEXT) | instid1(VALU_DEP_2)
	v_sub_f32_e32 v181, v181, v193
	v_rcp_f32_e32 v180, v192
	v_sub_f32_e32 v183, v183, v192
	s_delay_alu instid0(VALU_DEP_1) | instskip(SKIP_2) | instid1(VALU_DEP_1)
	v_dual_add_f32 v179, v179, v181 :: v_dual_add_f32 v182, v182, v183
	s_waitcnt_depctr 0xfff
	v_mul_f32_e32 v194, v193, v180
	v_mul_f32_e32 v195, v192, v194
	s_delay_alu instid0(VALU_DEP_1) | instskip(NEXT) | instid1(VALU_DEP_1)
	v_fma_f32 v183, v194, v192, -v195
	v_fmac_f32_e32 v183, v194, v182
	s_delay_alu instid0(VALU_DEP_1) | instskip(NEXT) | instid1(VALU_DEP_1)
	v_add_f32_e32 v196, v195, v183
	v_sub_f32_e32 v197, v193, v196
	s_delay_alu instid0(VALU_DEP_1) | instskip(SKIP_1) | instid1(VALU_DEP_2)
	v_sub_f32_e32 v193, v193, v197
	v_sub_f32_e32 v181, v196, v195
	;; [unrolled: 1-line block ×3, first 2 shown]
	s_delay_alu instid0(VALU_DEP_2) | instskip(NEXT) | instid1(VALU_DEP_2)
	v_sub_f32_e32 v181, v181, v183
	v_add_f32_e32 v179, v179, v193
	s_delay_alu instid0(VALU_DEP_1) | instskip(NEXT) | instid1(VALU_DEP_1)
	v_add_f32_e32 v179, v181, v179
	v_add_f32_e32 v181, v197, v179
	s_delay_alu instid0(VALU_DEP_1) | instskip(NEXT) | instid1(VALU_DEP_1)
	v_mul_f32_e32 v183, v180, v181
	v_dual_sub_f32 v196, v197, v181 :: v_dual_mul_f32 v193, v192, v183
	s_delay_alu instid0(VALU_DEP_1) | instskip(NEXT) | instid1(VALU_DEP_2)
	v_add_f32_e32 v179, v179, v196
	v_fma_f32 v192, v183, v192, -v193
	s_delay_alu instid0(VALU_DEP_1) | instskip(NEXT) | instid1(VALU_DEP_1)
	v_fmac_f32_e32 v192, v183, v182
	v_add_f32_e32 v182, v193, v192
	s_delay_alu instid0(VALU_DEP_1) | instskip(SKIP_1) | instid1(VALU_DEP_2)
	v_sub_f32_e32 v195, v181, v182
	v_sub_f32_e32 v193, v182, v193
	;; [unrolled: 1-line block ×3, first 2 shown]
	s_delay_alu instid0(VALU_DEP_1) | instskip(NEXT) | instid1(VALU_DEP_1)
	v_sub_f32_e32 v181, v181, v182
	v_dual_sub_f32 v182, v193, v192 :: v_dual_add_f32 v179, v179, v181
	v_add_f32_e32 v181, v194, v183
	s_delay_alu instid0(VALU_DEP_1) | instskip(NEXT) | instid1(VALU_DEP_1)
	v_dual_add_f32 v179, v182, v179 :: v_dual_sub_f32 v182, v181, v194
	v_add_f32_e32 v179, v195, v179
	s_delay_alu instid0(VALU_DEP_1) | instskip(NEXT) | instid1(VALU_DEP_1)
	v_dual_sub_f32 v182, v183, v182 :: v_dual_mul_f32 v179, v180, v179
	v_add_f32_e32 v179, v182, v179
	s_delay_alu instid0(VALU_DEP_1) | instskip(NEXT) | instid1(VALU_DEP_1)
	v_add_f32_e32 v180, v181, v179
	v_mul_f32_e32 v182, v180, v180
	s_delay_alu instid0(VALU_DEP_1) | instskip(SKIP_1) | instid1(VALU_DEP_2)
	v_fmaak_f32 v183, s26, v182, 0x3ecc95a3
	v_mul_f32_e32 v192, v180, v182
	v_fmaak_f32 v182, v182, v183, 0x3f2aaada
	v_ldexp_f32 v183, v180, 1
	v_sub_f32_e32 v180, v180, v181
	s_delay_alu instid0(VALU_DEP_3) | instskip(NEXT) | instid1(VALU_DEP_2)
	v_mul_f32_e32 v182, v192, v182
	v_dual_mul_f32 v192, 0x3f317218, v178 :: v_dual_sub_f32 v179, v179, v180
	s_delay_alu instid0(VALU_DEP_2) | instskip(NEXT) | instid1(VALU_DEP_2)
	v_add_f32_e32 v181, v183, v182
	v_ldexp_f32 v179, v179, 1
	s_delay_alu instid0(VALU_DEP_2) | instskip(NEXT) | instid1(VALU_DEP_4)
	v_sub_f32_e32 v180, v181, v183
	v_fma_f32 v183, 0x3f317218, v178, -v192
	s_delay_alu instid0(VALU_DEP_1) | instskip(NEXT) | instid1(VALU_DEP_1)
	v_dual_sub_f32 v180, v182, v180 :: v_dual_fmac_f32 v183, 0xb102e308, v178
	v_add_f32_e32 v178, v179, v180
	s_delay_alu instid0(VALU_DEP_1) | instskip(NEXT) | instid1(VALU_DEP_1)
	v_add_f32_e32 v180, v181, v178
	v_sub_f32_e32 v181, v180, v181
	s_delay_alu instid0(VALU_DEP_1) | instskip(NEXT) | instid1(VALU_DEP_1)
	v_dual_sub_f32 v178, v178, v181 :: v_dual_add_f32 v179, v192, v183
	v_add_f32_e32 v182, v179, v180
	s_delay_alu instid0(VALU_DEP_1) | instskip(NEXT) | instid1(VALU_DEP_1)
	v_dual_sub_f32 v192, v179, v192 :: v_dual_sub_f32 v193, v182, v179
	v_dual_sub_f32 v183, v183, v192 :: v_dual_sub_f32 v194, v182, v193
	s_delay_alu instid0(VALU_DEP_1) | instskip(NEXT) | instid1(VALU_DEP_2)
	v_dual_sub_f32 v180, v180, v193 :: v_dual_add_f32 v181, v183, v178
	v_sub_f32_e32 v179, v179, v194
	s_delay_alu instid0(VALU_DEP_1) | instskip(NEXT) | instid1(VALU_DEP_3)
	v_add_f32_e32 v179, v180, v179
	v_sub_f32_e32 v180, v181, v183
	s_delay_alu instid0(VALU_DEP_2) | instskip(NEXT) | instid1(VALU_DEP_2)
	v_add_f32_e32 v179, v181, v179
	v_sub_f32_e32 v181, v181, v180
	v_sub_f32_e32 v178, v178, v180
	s_delay_alu instid0(VALU_DEP_2) | instskip(NEXT) | instid1(VALU_DEP_1)
	v_dual_add_f32 v192, v182, v179 :: v_dual_sub_f32 v181, v183, v181
	v_sub_f32_e32 v180, v192, v182
	s_delay_alu instid0(VALU_DEP_1) | instskip(NEXT) | instid1(VALU_DEP_1)
	v_dual_add_f32 v178, v178, v181 :: v_dual_sub_f32 v179, v179, v180
	v_add_f32_e32 v178, v178, v179
	s_delay_alu instid0(VALU_DEP_1) | instskip(NEXT) | instid1(VALU_DEP_1)
	v_add_f32_e32 v178, v192, v178
	v_cndmask_b32_e32 v23, v178, v23, vcc_lo
	s_delay_alu instid0(VALU_DEP_1)
	v_add_f32_e32 v23, v22, v23
.LBB521_179:                            ;   in Loop: Header=BB521_152 Depth=1
	s_or_b32 exec_lo, exec_lo, s27
	s_delay_alu instid0(VALU_DEP_1) | instskip(SKIP_2) | instid1(VALU_DEP_3)
	v_bfe_u32 v22, v23, 16, 1
	v_cmp_o_f32_e32 vcc_lo, v23, v23
	v_subrev_nc_u32_e32 v16, 32, v16
	v_add3_u32 v22, v23, v22, 0x7fff
	s_delay_alu instid0(VALU_DEP_1) | instskip(NEXT) | instid1(VALU_DEP_1)
	v_lshrrev_b32_e32 v22, 16, v22
	v_cndmask_b32_e32 v178, 0x7fc0, v22, vcc_lo
	s_branch .LBB521_152
.LBB521_180:
	s_and_saveexec_b32 s26, s25
	s_cbranch_execz .LBB521_184
; %bb.181:
	v_lshlrev_b32_e32 v17, 16, v176
	s_waitcnt lgkmcnt(0)
	s_delay_alu instid0(VALU_DEP_1) | instskip(NEXT) | instid1(VALU_DEP_1)
	v_dual_max_f32 v23, v17, v17 :: v_dual_lshlrev_b32 v16, 16, v148
	v_max_f32_e32 v22, v16, v16
	s_delay_alu instid0(VALU_DEP_1) | instskip(SKIP_1) | instid1(VALU_DEP_2)
	v_min_f32_e32 v148, v23, v22
	v_cmp_u_f32_e32 vcc_lo, v17, v17
	v_dual_max_f32 v22, v23, v22 :: v_dual_cndmask_b32 v23, v148, v17
	s_delay_alu instid0(VALU_DEP_1) | instskip(SKIP_1) | instid1(VALU_DEP_3)
	v_cndmask_b32_e32 v148, v22, v17, vcc_lo
	v_cmp_u_f32_e32 vcc_lo, v16, v16
	v_cndmask_b32_e32 v22, v23, v16, vcc_lo
	s_delay_alu instid0(VALU_DEP_3) | instskip(NEXT) | instid1(VALU_DEP_2)
	v_cndmask_b32_e32 v16, v148, v16, vcc_lo
	v_cmp_class_f32_e64 s25, v22, 0x1f8
	s_delay_alu instid0(VALU_DEP_2) | instskip(NEXT) | instid1(VALU_DEP_2)
	v_cmp_neq_f32_e32 vcc_lo, v22, v16
	s_or_b32 s27, vcc_lo, s25
	s_delay_alu instid0(SALU_CYCLE_1)
	s_and_saveexec_b32 s25, s27
	s_cbranch_execz .LBB521_183
; %bb.182:
	v_sub_f32_e32 v17, v22, v16
	s_mov_b32 s27, 0x3e9b6dac
	s_delay_alu instid0(VALU_DEP_1) | instskip(SKIP_1) | instid1(VALU_DEP_2)
	v_mul_f32_e32 v22, 0x3fb8aa3b, v17
	v_cmp_ngt_f32_e32 vcc_lo, 0xc2ce8ed0, v17
	v_fma_f32 v23, 0x3fb8aa3b, v17, -v22
	v_rndne_f32_e32 v148, v22
	s_delay_alu instid0(VALU_DEP_1) | instskip(NEXT) | instid1(VALU_DEP_1)
	v_dual_fmamk_f32 v23, v17, 0x32a5705f, v23 :: v_dual_sub_f32 v22, v22, v148
	v_add_f32_e32 v22, v22, v23
	v_cvt_i32_f32_e32 v23, v148
	s_delay_alu instid0(VALU_DEP_2) | instskip(SKIP_2) | instid1(VALU_DEP_1)
	v_exp_f32_e32 v22, v22
	s_waitcnt_depctr 0xfff
	v_ldexp_f32 v22, v22, v23
	v_cndmask_b32_e32 v22, 0, v22, vcc_lo
	v_cmp_nlt_f32_e32 vcc_lo, 0x42b17218, v17
	s_delay_alu instid0(VALU_DEP_2) | instskip(NEXT) | instid1(VALU_DEP_1)
	v_cndmask_b32_e32 v17, 0x7f800000, v22, vcc_lo
	v_add_f32_e32 v148, 1.0, v17
	s_delay_alu instid0(VALU_DEP_1) | instskip(NEXT) | instid1(VALU_DEP_1)
	v_cvt_f64_f32_e32 v[22:23], v148
	v_frexp_exp_i32_f64_e32 v22, v[22:23]
	v_frexp_mant_f32_e32 v23, v148
	s_delay_alu instid0(VALU_DEP_1) | instskip(SKIP_1) | instid1(VALU_DEP_1)
	v_cmp_gt_f32_e32 vcc_lo, 0x3f2aaaab, v23
	v_add_f32_e32 v23, -1.0, v148
	v_dual_sub_f32 v150, v23, v148 :: v_dual_sub_f32 v23, v17, v23
	v_subrev_co_ci_u32_e32 v22, vcc_lo, 0, v22, vcc_lo
	v_cmp_eq_f32_e32 vcc_lo, 0x7f800000, v17
	s_delay_alu instid0(VALU_DEP_2) | instskip(SKIP_1) | instid1(VALU_DEP_2)
	v_sub_nc_u32_e32 v149, 0, v22
	v_cvt_f32_i32_e32 v22, v22
	v_ldexp_f32 v148, v148, v149
	s_delay_alu instid0(VALU_DEP_1) | instskip(NEXT) | instid1(VALU_DEP_1)
	v_dual_add_f32 v150, 1.0, v150 :: v_dual_add_f32 v151, 1.0, v148
	v_dual_add_f32 v23, v23, v150 :: v_dual_add_f32 v150, -1.0, v151
	s_delay_alu instid0(VALU_DEP_1) | instskip(NEXT) | instid1(VALU_DEP_2)
	v_ldexp_f32 v23, v23, v149
	v_dual_add_f32 v149, -1.0, v148 :: v_dual_sub_f32 v150, v148, v150
	s_delay_alu instid0(VALU_DEP_1) | instskip(NEXT) | instid1(VALU_DEP_2)
	v_add_f32_e32 v160, 1.0, v149
	v_add_f32_e32 v150, v23, v150
	s_delay_alu instid0(VALU_DEP_2) | instskip(NEXT) | instid1(VALU_DEP_1)
	v_sub_f32_e32 v148, v148, v160
	v_add_f32_e32 v23, v23, v148
	s_delay_alu instid0(VALU_DEP_1) | instskip(NEXT) | instid1(VALU_DEP_1)
	v_dual_add_f32 v161, v149, v23 :: v_dual_add_f32 v160, v151, v150
	v_sub_f32_e32 v149, v149, v161
	s_delay_alu instid0(VALU_DEP_2) | instskip(SKIP_1) | instid1(VALU_DEP_1)
	v_rcp_f32_e32 v148, v160
	v_sub_f32_e32 v151, v151, v160
	v_dual_add_f32 v23, v23, v149 :: v_dual_add_f32 v150, v150, v151
	s_waitcnt_depctr 0xfff
	v_mul_f32_e32 v162, v161, v148
	s_delay_alu instid0(VALU_DEP_1) | instskip(NEXT) | instid1(VALU_DEP_1)
	v_mul_f32_e32 v163, v160, v162
	v_fma_f32 v151, v162, v160, -v163
	s_delay_alu instid0(VALU_DEP_1) | instskip(NEXT) | instid1(VALU_DEP_1)
	v_fmac_f32_e32 v151, v162, v150
	v_add_f32_e32 v164, v163, v151
	s_delay_alu instid0(VALU_DEP_1) | instskip(NEXT) | instid1(VALU_DEP_1)
	v_sub_f32_e32 v165, v161, v164
	v_sub_f32_e32 v161, v161, v165
	;; [unrolled: 1-line block ×3, first 2 shown]
	s_delay_alu instid0(VALU_DEP_2) | instskip(NEXT) | instid1(VALU_DEP_2)
	v_sub_f32_e32 v161, v161, v164
	v_sub_f32_e32 v149, v149, v151
	s_delay_alu instid0(VALU_DEP_2) | instskip(NEXT) | instid1(VALU_DEP_1)
	v_add_f32_e32 v23, v23, v161
	v_add_f32_e32 v23, v149, v23
	s_delay_alu instid0(VALU_DEP_1) | instskip(NEXT) | instid1(VALU_DEP_1)
	v_add_f32_e32 v149, v165, v23
	v_mul_f32_e32 v151, v148, v149
	s_delay_alu instid0(VALU_DEP_1) | instskip(NEXT) | instid1(VALU_DEP_1)
	v_dual_sub_f32 v164, v165, v149 :: v_dual_mul_f32 v161, v160, v151
	v_add_f32_e32 v23, v23, v164
	s_delay_alu instid0(VALU_DEP_2) | instskip(NEXT) | instid1(VALU_DEP_1)
	v_fma_f32 v160, v151, v160, -v161
	v_fmac_f32_e32 v160, v151, v150
	s_delay_alu instid0(VALU_DEP_1) | instskip(NEXT) | instid1(VALU_DEP_1)
	v_add_f32_e32 v150, v161, v160
	v_sub_f32_e32 v163, v149, v150
	v_sub_f32_e32 v161, v150, v161
	s_delay_alu instid0(VALU_DEP_2) | instskip(NEXT) | instid1(VALU_DEP_1)
	v_sub_f32_e32 v149, v149, v163
	v_sub_f32_e32 v149, v149, v150
	s_delay_alu instid0(VALU_DEP_1) | instskip(SKIP_1) | instid1(VALU_DEP_1)
	v_dual_sub_f32 v150, v161, v160 :: v_dual_add_f32 v23, v23, v149
	v_add_f32_e32 v149, v162, v151
	v_dual_add_f32 v23, v150, v23 :: v_dual_sub_f32 v150, v149, v162
	s_delay_alu instid0(VALU_DEP_1) | instskip(NEXT) | instid1(VALU_DEP_1)
	v_add_f32_e32 v23, v163, v23
	v_dual_sub_f32 v150, v151, v150 :: v_dual_mul_f32 v23, v148, v23
	s_delay_alu instid0(VALU_DEP_1) | instskip(NEXT) | instid1(VALU_DEP_1)
	v_add_f32_e32 v23, v150, v23
	v_add_f32_e32 v148, v149, v23
	s_delay_alu instid0(VALU_DEP_1) | instskip(NEXT) | instid1(VALU_DEP_1)
	v_mul_f32_e32 v150, v148, v148
	v_fmaak_f32 v151, s27, v150, 0x3ecc95a3
	v_mul_f32_e32 v160, v148, v150
	v_cmp_gt_f32_e64 s27, 0x33800000, |v17|
	s_delay_alu instid0(VALU_DEP_3) | instskip(SKIP_2) | instid1(VALU_DEP_4)
	v_fmaak_f32 v150, v150, v151, 0x3f2aaada
	v_ldexp_f32 v151, v148, 1
	v_sub_f32_e32 v148, v148, v149
	s_or_b32 vcc_lo, vcc_lo, s27
	s_delay_alu instid0(VALU_DEP_3) | instskip(NEXT) | instid1(VALU_DEP_2)
	v_mul_f32_e32 v150, v160, v150
	v_dual_mul_f32 v160, 0x3f317218, v22 :: v_dual_sub_f32 v23, v23, v148
	s_delay_alu instid0(VALU_DEP_2) | instskip(NEXT) | instid1(VALU_DEP_2)
	v_add_f32_e32 v149, v151, v150
	v_ldexp_f32 v23, v23, 1
	s_delay_alu instid0(VALU_DEP_2) | instskip(NEXT) | instid1(VALU_DEP_4)
	v_sub_f32_e32 v148, v149, v151
	v_fma_f32 v151, 0x3f317218, v22, -v160
	s_delay_alu instid0(VALU_DEP_2) | instskip(NEXT) | instid1(VALU_DEP_1)
	v_sub_f32_e32 v148, v150, v148
	v_dual_fmamk_f32 v22, v22, 0xb102e308, v151 :: v_dual_add_f32 v23, v23, v148
	s_delay_alu instid0(VALU_DEP_1) | instskip(NEXT) | instid1(VALU_DEP_1)
	v_add_f32_e32 v148, v160, v22
	v_sub_f32_e32 v160, v148, v160
	s_delay_alu instid0(VALU_DEP_1) | instskip(NEXT) | instid1(VALU_DEP_4)
	v_sub_f32_e32 v22, v22, v160
	v_add_f32_e32 v150, v149, v23
	s_delay_alu instid0(VALU_DEP_1) | instskip(NEXT) | instid1(VALU_DEP_1)
	v_sub_f32_e32 v149, v150, v149
	v_sub_f32_e32 v23, v23, v149
	v_add_f32_e32 v151, v148, v150
	s_delay_alu instid0(VALU_DEP_1) | instskip(NEXT) | instid1(VALU_DEP_1)
	v_sub_f32_e32 v161, v151, v148
	v_sub_f32_e32 v149, v150, v161
	s_delay_alu instid0(VALU_DEP_4) | instskip(SKIP_1) | instid1(VALU_DEP_1)
	v_add_f32_e32 v150, v22, v23
	v_sub_f32_e32 v162, v151, v161
	v_sub_f32_e32 v148, v148, v162
	s_delay_alu instid0(VALU_DEP_1) | instskip(NEXT) | instid1(VALU_DEP_1)
	v_dual_add_f32 v148, v149, v148 :: v_dual_sub_f32 v149, v150, v22
	v_dual_add_f32 v148, v150, v148 :: v_dual_sub_f32 v23, v23, v149
	v_sub_f32_e32 v150, v150, v149
	s_delay_alu instid0(VALU_DEP_2) | instskip(NEXT) | instid1(VALU_DEP_1)
	v_add_f32_e32 v160, v151, v148
	v_dual_sub_f32 v22, v22, v150 :: v_dual_sub_f32 v149, v160, v151
	s_delay_alu instid0(VALU_DEP_1) | instskip(NEXT) | instid1(VALU_DEP_1)
	v_dual_add_f32 v22, v23, v22 :: v_dual_sub_f32 v23, v148, v149
	v_add_f32_e32 v22, v22, v23
	s_delay_alu instid0(VALU_DEP_1) | instskip(NEXT) | instid1(VALU_DEP_1)
	v_add_f32_e32 v22, v160, v22
	v_cndmask_b32_e32 v17, v22, v17, vcc_lo
	s_delay_alu instid0(VALU_DEP_1)
	v_add_f32_e32 v17, v16, v17
.LBB521_183:
	s_or_b32 exec_lo, exec_lo, s25
	s_delay_alu instid0(VALU_DEP_1) | instskip(SKIP_2) | instid1(SALU_CYCLE_1)
	v_bfe_u32 v16, v17, 16, 1
	s_add_i32 vcc_lo, s28, 32
	s_mov_b32 vcc_hi, 0
	s_lshl_b64 vcc, vcc, 2
	s_delay_alu instid0(VALU_DEP_1) | instskip(SKIP_2) | instid1(VALU_DEP_3)
	v_add3_u32 v16, v17, v16, 0x7fff
	v_add_co_u32 v22, vcc_lo, v18, vcc_lo
	v_add_co_ci_u32_e32 v23, vcc_lo, vcc_hi, v19, vcc_lo
	v_lshrrev_b32_e32 v16, 16, v16
	v_cmp_o_f32_e32 vcc_lo, v17, v17
	s_delay_alu instid0(VALU_DEP_2) | instskip(NEXT) | instid1(VALU_DEP_1)
	v_or_b32_e32 v16, 0x20000, v16
	v_cndmask_b32_e32 v16, 0x27fc0, v16, vcc_lo
	flat_store_b32 v[22:23], v16
.LBB521_184:
	s_or_b32 exec_lo, exec_lo, s26
	s_delay_alu instid0(SALU_CYCLE_1)
	s_and_b32 exec_lo, exec_lo, s2
	s_cbranch_execz .LBB521_186
; %bb.185:
	v_mov_b32_e32 v16, 0
	ds_store_b16 v16, v176
.LBB521_186:
	s_or_b32 exec_lo, exec_lo, s29
	v_mov_b32_e32 v16, 0
	s_waitcnt lgkmcnt(0)
	s_waitcnt_vscnt null, 0x0
	s_barrier
	buffer_gl0_inv
	ds_load_u16 v16, v16
	s_and_saveexec_b32 s25, s1
	s_cbranch_execz .LBB521_190
; %bb.187:
	v_lshlrev_b32_e32 v22, 16, v147
	s_delay_alu instid0(VALU_DEP_1) | instskip(NEXT) | instid1(VALU_DEP_1)
	v_max_f32_e32 v17, v22, v22
	v_min_f32_e32 v23, v17, v146
	v_max_f32_e32 v17, v17, v146
	v_cmp_u_f32_e32 vcc_lo, v22, v22
	s_delay_alu instid0(VALU_DEP_3) | instskip(NEXT) | instid1(VALU_DEP_3)
	v_cndmask_b32_e32 v23, v23, v22, vcc_lo
	v_cndmask_b32_e32 v17, v17, v22, vcc_lo
	s_delay_alu instid0(VALU_DEP_2) | instskip(NEXT) | instid1(VALU_DEP_2)
	v_cndmask_b32_e64 v23, v23, v145, s24
	v_cndmask_b32_e64 v17, v17, v145, s24
	s_delay_alu instid0(VALU_DEP_2) | instskip(NEXT) | instid1(VALU_DEP_2)
	v_cmp_class_f32_e64 s24, v23, 0x1f8
	v_cmp_neq_f32_e32 vcc_lo, v23, v17
	s_delay_alu instid0(VALU_DEP_2) | instskip(NEXT) | instid1(SALU_CYCLE_1)
	s_or_b32 s26, vcc_lo, s24
	s_and_saveexec_b32 s24, s26
	s_cbranch_execz .LBB521_189
; %bb.188:
	v_sub_f32_e32 v22, v23, v17
	s_mov_b32 s26, 0x3e9b6dac
	s_delay_alu instid0(VALU_DEP_1) | instskip(SKIP_1) | instid1(VALU_DEP_2)
	v_mul_f32_e32 v23, 0x3fb8aa3b, v22
	v_cmp_ngt_f32_e32 vcc_lo, 0xc2ce8ed0, v22
	v_fma_f32 v145, 0x3fb8aa3b, v22, -v23
	v_rndne_f32_e32 v146, v23
	s_delay_alu instid0(VALU_DEP_2) | instskip(NEXT) | instid1(VALU_DEP_2)
	v_fmamk_f32 v145, v22, 0x32a5705f, v145
	v_sub_f32_e32 v23, v23, v146
	s_delay_alu instid0(VALU_DEP_1) | instskip(SKIP_1) | instid1(VALU_DEP_2)
	v_add_f32_e32 v23, v23, v145
	v_cvt_i32_f32_e32 v145, v146
	v_exp_f32_e32 v23, v23
	s_waitcnt_depctr 0xfff
	v_ldexp_f32 v23, v23, v145
	s_delay_alu instid0(VALU_DEP_1) | instskip(SKIP_1) | instid1(VALU_DEP_2)
	v_cndmask_b32_e32 v23, 0, v23, vcc_lo
	v_cmp_nlt_f32_e32 vcc_lo, 0x42b17218, v22
	v_cndmask_b32_e32 v145, 0x7f800000, v23, vcc_lo
	s_delay_alu instid0(VALU_DEP_1) | instskip(NEXT) | instid1(VALU_DEP_1)
	v_add_f32_e32 v146, 1.0, v145
	v_cvt_f64_f32_e32 v[22:23], v146
	s_delay_alu instid0(VALU_DEP_1) | instskip(SKIP_1) | instid1(VALU_DEP_1)
	v_frexp_exp_i32_f64_e32 v22, v[22:23]
	v_frexp_mant_f32_e32 v23, v146
	v_cmp_gt_f32_e32 vcc_lo, 0x3f2aaaab, v23
	v_add_f32_e32 v23, -1.0, v146
	s_delay_alu instid0(VALU_DEP_1) | instskip(NEXT) | instid1(VALU_DEP_1)
	v_sub_f32_e32 v148, v23, v146
	v_add_f32_e32 v148, 1.0, v148
	v_subrev_co_ci_u32_e32 v22, vcc_lo, 0, v22, vcc_lo
	s_delay_alu instid0(VALU_DEP_1) | instskip(SKIP_1) | instid1(VALU_DEP_2)
	v_sub_nc_u32_e32 v147, 0, v22
	v_cvt_f32_i32_e32 v22, v22
	v_ldexp_f32 v146, v146, v147
	v_sub_f32_e32 v23, v145, v23
	s_delay_alu instid0(VALU_DEP_1) | instskip(NEXT) | instid1(VALU_DEP_1)
	v_add_f32_e32 v23, v23, v148
	v_ldexp_f32 v23, v23, v147
	s_delay_alu instid0(VALU_DEP_4) | instskip(NEXT) | instid1(VALU_DEP_1)
	v_add_f32_e32 v149, 1.0, v146
	v_add_f32_e32 v148, -1.0, v149
	v_cmp_eq_f32_e32 vcc_lo, 0x7f800000, v145
	s_delay_alu instid0(VALU_DEP_2) | instskip(NEXT) | instid1(VALU_DEP_1)
	v_sub_f32_e32 v148, v146, v148
	v_dual_add_f32 v148, v23, v148 :: v_dual_add_f32 v147, -1.0, v146
	s_delay_alu instid0(VALU_DEP_1) | instskip(NEXT) | instid1(VALU_DEP_1)
	v_add_f32_e32 v150, 1.0, v147
	v_sub_f32_e32 v146, v146, v150
	s_delay_alu instid0(VALU_DEP_1) | instskip(NEXT) | instid1(VALU_DEP_1)
	v_dual_add_f32 v150, v149, v148 :: v_dual_add_f32 v23, v23, v146
	v_rcp_f32_e32 v146, v150
	v_sub_f32_e32 v149, v149, v150
	s_delay_alu instid0(VALU_DEP_1) | instskip(SKIP_3) | instid1(VALU_DEP_2)
	v_dual_add_f32 v148, v148, v149 :: v_dual_add_f32 v151, v147, v23
	s_waitcnt_depctr 0xfff
	v_mul_f32_e32 v160, v151, v146
	v_sub_f32_e32 v147, v147, v151
	v_mul_f32_e32 v161, v150, v160
	s_delay_alu instid0(VALU_DEP_1) | instskip(NEXT) | instid1(VALU_DEP_1)
	v_fma_f32 v149, v160, v150, -v161
	v_fmac_f32_e32 v149, v160, v148
	s_delay_alu instid0(VALU_DEP_1) | instskip(NEXT) | instid1(VALU_DEP_1)
	v_dual_add_f32 v162, v161, v149 :: v_dual_add_f32 v23, v23, v147
	v_sub_f32_e32 v163, v151, v162
	v_sub_f32_e32 v147, v162, v161
	s_delay_alu instid0(VALU_DEP_2) | instskip(NEXT) | instid1(VALU_DEP_2)
	v_sub_f32_e32 v151, v151, v163
	v_sub_f32_e32 v147, v147, v149
	s_delay_alu instid0(VALU_DEP_2) | instskip(NEXT) | instid1(VALU_DEP_1)
	v_sub_f32_e32 v151, v151, v162
	v_add_f32_e32 v23, v23, v151
	s_delay_alu instid0(VALU_DEP_1) | instskip(NEXT) | instid1(VALU_DEP_1)
	v_add_f32_e32 v23, v147, v23
	v_add_f32_e32 v147, v163, v23
	s_delay_alu instid0(VALU_DEP_1) | instskip(NEXT) | instid1(VALU_DEP_1)
	v_mul_f32_e32 v149, v146, v147
	v_dual_sub_f32 v162, v163, v147 :: v_dual_mul_f32 v151, v150, v149
	s_delay_alu instid0(VALU_DEP_1) | instskip(NEXT) | instid1(VALU_DEP_2)
	v_add_f32_e32 v23, v23, v162
	v_fma_f32 v150, v149, v150, -v151
	s_delay_alu instid0(VALU_DEP_1) | instskip(NEXT) | instid1(VALU_DEP_1)
	v_fmac_f32_e32 v150, v149, v148
	v_add_f32_e32 v148, v151, v150
	s_delay_alu instid0(VALU_DEP_1) | instskip(SKIP_1) | instid1(VALU_DEP_2)
	v_sub_f32_e32 v161, v147, v148
	v_sub_f32_e32 v151, v148, v151
	;; [unrolled: 1-line block ×3, first 2 shown]
	s_delay_alu instid0(VALU_DEP_1) | instskip(NEXT) | instid1(VALU_DEP_3)
	v_sub_f32_e32 v147, v147, v148
	v_sub_f32_e32 v148, v151, v150
	s_delay_alu instid0(VALU_DEP_2) | instskip(SKIP_1) | instid1(VALU_DEP_1)
	v_add_f32_e32 v23, v23, v147
	v_add_f32_e32 v147, v160, v149
	v_dual_add_f32 v23, v148, v23 :: v_dual_sub_f32 v148, v147, v160
	s_delay_alu instid0(VALU_DEP_1) | instskip(NEXT) | instid1(VALU_DEP_1)
	v_add_f32_e32 v23, v161, v23
	v_dual_sub_f32 v148, v149, v148 :: v_dual_mul_f32 v23, v146, v23
	s_delay_alu instid0(VALU_DEP_1) | instskip(NEXT) | instid1(VALU_DEP_1)
	v_add_f32_e32 v23, v148, v23
	v_add_f32_e32 v146, v147, v23
	s_delay_alu instid0(VALU_DEP_1) | instskip(NEXT) | instid1(VALU_DEP_1)
	v_mul_f32_e32 v148, v146, v146
	v_fmaak_f32 v149, s26, v148, 0x3ecc95a3
	v_mul_f32_e32 v150, v146, v148
	v_cmp_gt_f32_e64 s26, 0x33800000, |v145|
	s_delay_alu instid0(VALU_DEP_3) | instskip(SKIP_2) | instid1(VALU_DEP_4)
	v_fmaak_f32 v148, v148, v149, 0x3f2aaada
	v_ldexp_f32 v149, v146, 1
	v_sub_f32_e32 v146, v146, v147
	s_or_b32 vcc_lo, vcc_lo, s26
	s_delay_alu instid0(VALU_DEP_3) | instskip(SKIP_1) | instid1(VALU_DEP_3)
	v_mul_f32_e32 v148, v150, v148
	v_mul_f32_e32 v150, 0x3f317218, v22
	v_sub_f32_e32 v23, v23, v146
	s_delay_alu instid0(VALU_DEP_3) | instskip(NEXT) | instid1(VALU_DEP_2)
	v_add_f32_e32 v147, v149, v148
	v_ldexp_f32 v23, v23, 1
	s_delay_alu instid0(VALU_DEP_2) | instskip(SKIP_1) | instid1(VALU_DEP_2)
	v_sub_f32_e32 v146, v147, v149
	v_fma_f32 v149, 0x3f317218, v22, -v150
	v_sub_f32_e32 v146, v148, v146
	s_delay_alu instid0(VALU_DEP_1) | instskip(NEXT) | instid1(VALU_DEP_1)
	v_dual_fmamk_f32 v22, v22, 0xb102e308, v149 :: v_dual_add_f32 v23, v23, v146
	v_add_f32_e32 v146, v150, v22
	s_delay_alu instid0(VALU_DEP_2) | instskip(NEXT) | instid1(VALU_DEP_2)
	v_add_f32_e32 v148, v147, v23
	v_sub_f32_e32 v150, v146, v150
	s_delay_alu instid0(VALU_DEP_2) | instskip(NEXT) | instid1(VALU_DEP_2)
	v_add_f32_e32 v149, v146, v148
	v_dual_sub_f32 v147, v148, v147 :: v_dual_sub_f32 v22, v22, v150
	s_delay_alu instid0(VALU_DEP_2) | instskip(NEXT) | instid1(VALU_DEP_2)
	v_sub_f32_e32 v151, v149, v146
	v_sub_f32_e32 v23, v23, v147
	s_delay_alu instid0(VALU_DEP_2) | instskip(SKIP_1) | instid1(VALU_DEP_3)
	v_sub_f32_e32 v160, v149, v151
	v_sub_f32_e32 v147, v148, v151
	v_add_f32_e32 v148, v22, v23
	s_delay_alu instid0(VALU_DEP_3) | instskip(NEXT) | instid1(VALU_DEP_1)
	v_sub_f32_e32 v146, v146, v160
	v_add_f32_e32 v146, v147, v146
	s_delay_alu instid0(VALU_DEP_3) | instskip(NEXT) | instid1(VALU_DEP_2)
	v_sub_f32_e32 v147, v148, v22
	v_add_f32_e32 v146, v148, v146
	s_delay_alu instid0(VALU_DEP_2) | instskip(NEXT) | instid1(VALU_DEP_2)
	v_sub_f32_e32 v148, v148, v147
	v_dual_sub_f32 v23, v23, v147 :: v_dual_add_f32 v150, v149, v146
	s_delay_alu instid0(VALU_DEP_2) | instskip(NEXT) | instid1(VALU_DEP_1)
	v_sub_f32_e32 v22, v22, v148
	v_dual_sub_f32 v147, v150, v149 :: v_dual_add_f32 v22, v23, v22
	s_delay_alu instid0(VALU_DEP_1) | instskip(NEXT) | instid1(VALU_DEP_1)
	v_sub_f32_e32 v23, v146, v147
	v_add_f32_e32 v22, v22, v23
	s_delay_alu instid0(VALU_DEP_1) | instskip(NEXT) | instid1(VALU_DEP_1)
	v_add_f32_e32 v22, v150, v22
	v_cndmask_b32_e32 v22, v22, v145, vcc_lo
	s_delay_alu instid0(VALU_DEP_1)
	v_add_f32_e32 v22, v17, v22
.LBB521_189:
	s_or_b32 exec_lo, exec_lo, s24
	s_delay_alu instid0(VALU_DEP_1) | instskip(SKIP_1) | instid1(VALU_DEP_2)
	v_bfe_u32 v17, v22, 16, 1
	v_cmp_o_f32_e32 vcc_lo, v22, v22
	v_add3_u32 v17, v22, v17, 0x7fff
	s_delay_alu instid0(VALU_DEP_1) | instskip(NEXT) | instid1(VALU_DEP_1)
	v_and_b32_e32 v17, 0xffff0000, v17
	v_cndmask_b32_e32 v145, 0x7fc00000, v17, vcc_lo
.LBB521_190:
	s_or_b32 exec_lo, exec_lo, s25
	s_waitcnt lgkmcnt(0)
	s_delay_alu instid0(VALU_DEP_1) | instskip(NEXT) | instid1(VALU_DEP_1)
	v_dual_max_f32 v16, v145, v145 :: v_dual_lshlrev_b32 v17, 16, v16
	v_max_f32_e32 v22, v17, v17
	v_cmp_u_f32_e32 vcc_lo, v17, v17
	s_delay_alu instid0(VALU_DEP_2) | instskip(SKIP_1) | instid1(VALU_DEP_1)
	v_min_f32_e32 v23, v22, v16
	v_max_f32_e32 v16, v22, v16
	v_cndmask_b32_e32 v16, v16, v17, vcc_lo
	s_delay_alu instid0(VALU_DEP_3) | instskip(SKIP_1) | instid1(VALU_DEP_2)
	v_cndmask_b32_e32 v22, v23, v17, vcc_lo
	v_cmp_u_f32_e32 vcc_lo, v145, v145
	v_cndmask_b32_e32 v22, v22, v145, vcc_lo
	s_delay_alu instid0(VALU_DEP_4) | instskip(NEXT) | instid1(VALU_DEP_2)
	v_cndmask_b32_e32 v16, v16, v145, vcc_lo
	v_cmp_class_f32_e64 s24, v22, 0x1f8
	s_delay_alu instid0(VALU_DEP_2) | instskip(NEXT) | instid1(VALU_DEP_2)
	v_cmp_neq_f32_e32 vcc_lo, v22, v16
	s_or_b32 s25, vcc_lo, s24
	s_delay_alu instid0(SALU_CYCLE_1)
	s_and_saveexec_b32 s24, s25
	s_cbranch_execz .LBB521_192
; %bb.191:
	v_sub_f32_e32 v17, v22, v16
	s_mov_b32 s25, 0x3e9b6dac
	s_delay_alu instid0(VALU_DEP_1) | instskip(SKIP_1) | instid1(VALU_DEP_2)
	v_mul_f32_e32 v22, 0x3fb8aa3b, v17
	v_cmp_ngt_f32_e32 vcc_lo, 0xc2ce8ed0, v17
	v_fma_f32 v23, 0x3fb8aa3b, v17, -v22
	v_rndne_f32_e32 v145, v22
	s_delay_alu instid0(VALU_DEP_1) | instskip(NEXT) | instid1(VALU_DEP_1)
	v_dual_fmamk_f32 v23, v17, 0x32a5705f, v23 :: v_dual_sub_f32 v22, v22, v145
	v_add_f32_e32 v22, v22, v23
	v_cvt_i32_f32_e32 v23, v145
	s_delay_alu instid0(VALU_DEP_2) | instskip(SKIP_2) | instid1(VALU_DEP_1)
	v_exp_f32_e32 v22, v22
	s_waitcnt_depctr 0xfff
	v_ldexp_f32 v22, v22, v23
	v_cndmask_b32_e32 v22, 0, v22, vcc_lo
	v_cmp_nlt_f32_e32 vcc_lo, 0x42b17218, v17
	s_delay_alu instid0(VALU_DEP_2) | instskip(NEXT) | instid1(VALU_DEP_1)
	v_cndmask_b32_e32 v17, 0x7f800000, v22, vcc_lo
	v_add_f32_e32 v145, 1.0, v17
	s_delay_alu instid0(VALU_DEP_1) | instskip(NEXT) | instid1(VALU_DEP_1)
	v_cvt_f64_f32_e32 v[22:23], v145
	v_frexp_exp_i32_f64_e32 v22, v[22:23]
	v_frexp_mant_f32_e32 v23, v145
	s_delay_alu instid0(VALU_DEP_1) | instskip(SKIP_1) | instid1(VALU_DEP_1)
	v_cmp_gt_f32_e32 vcc_lo, 0x3f2aaaab, v23
	v_add_f32_e32 v23, -1.0, v145
	v_sub_f32_e32 v147, v23, v145
	v_subrev_co_ci_u32_e32 v22, vcc_lo, 0, v22, vcc_lo
	s_delay_alu instid0(VALU_DEP_1) | instskip(SKIP_1) | instid1(VALU_DEP_2)
	v_sub_nc_u32_e32 v146, 0, v22
	v_cvt_f32_i32_e32 v22, v22
	v_ldexp_f32 v145, v145, v146
	s_delay_alu instid0(VALU_DEP_1) | instskip(SKIP_2) | instid1(VALU_DEP_2)
	v_dual_add_f32 v147, 1.0, v147 :: v_dual_add_f32 v148, 1.0, v145
	v_sub_f32_e32 v23, v17, v23
	v_cmp_eq_f32_e32 vcc_lo, 0x7f800000, v17
	v_add_f32_e32 v23, v23, v147
	s_delay_alu instid0(VALU_DEP_4) | instskip(NEXT) | instid1(VALU_DEP_2)
	v_add_f32_e32 v147, -1.0, v148
	v_ldexp_f32 v23, v23, v146
	s_delay_alu instid0(VALU_DEP_2) | instskip(NEXT) | instid1(VALU_DEP_1)
	v_dual_add_f32 v146, -1.0, v145 :: v_dual_sub_f32 v147, v145, v147
	v_add_f32_e32 v149, 1.0, v146
	s_delay_alu instid0(VALU_DEP_2) | instskip(NEXT) | instid1(VALU_DEP_2)
	v_add_f32_e32 v147, v23, v147
	v_sub_f32_e32 v145, v145, v149
	s_delay_alu instid0(VALU_DEP_2) | instskip(NEXT) | instid1(VALU_DEP_2)
	v_add_f32_e32 v149, v148, v147
	v_add_f32_e32 v23, v23, v145
	s_delay_alu instid0(VALU_DEP_2) | instskip(SKIP_1) | instid1(VALU_DEP_1)
	v_rcp_f32_e32 v145, v149
	v_sub_f32_e32 v148, v148, v149
	v_dual_add_f32 v150, v146, v23 :: v_dual_add_f32 v147, v147, v148
	s_delay_alu instid0(VALU_DEP_1) | instskip(SKIP_2) | instid1(VALU_DEP_1)
	v_sub_f32_e32 v146, v146, v150
	s_waitcnt_depctr 0xfff
	v_mul_f32_e32 v151, v150, v145
	v_dual_add_f32 v23, v23, v146 :: v_dual_mul_f32 v160, v149, v151
	s_delay_alu instid0(VALU_DEP_1) | instskip(NEXT) | instid1(VALU_DEP_1)
	v_fma_f32 v148, v151, v149, -v160
	v_fmac_f32_e32 v148, v151, v147
	s_delay_alu instid0(VALU_DEP_1) | instskip(NEXT) | instid1(VALU_DEP_1)
	v_add_f32_e32 v161, v160, v148
	v_sub_f32_e32 v162, v150, v161
	v_sub_f32_e32 v146, v161, v160
	s_delay_alu instid0(VALU_DEP_2) | instskip(NEXT) | instid1(VALU_DEP_2)
	v_sub_f32_e32 v150, v150, v162
	v_sub_f32_e32 v146, v146, v148
	s_delay_alu instid0(VALU_DEP_2) | instskip(NEXT) | instid1(VALU_DEP_1)
	v_sub_f32_e32 v150, v150, v161
	v_add_f32_e32 v23, v23, v150
	s_delay_alu instid0(VALU_DEP_1) | instskip(NEXT) | instid1(VALU_DEP_1)
	v_add_f32_e32 v23, v146, v23
	v_add_f32_e32 v146, v162, v23
	s_delay_alu instid0(VALU_DEP_1) | instskip(NEXT) | instid1(VALU_DEP_1)
	v_mul_f32_e32 v148, v145, v146
	v_dual_sub_f32 v161, v162, v146 :: v_dual_mul_f32 v150, v149, v148
	s_delay_alu instid0(VALU_DEP_1) | instskip(NEXT) | instid1(VALU_DEP_1)
	v_fma_f32 v149, v148, v149, -v150
	v_fmac_f32_e32 v149, v148, v147
	s_delay_alu instid0(VALU_DEP_1) | instskip(NEXT) | instid1(VALU_DEP_1)
	v_add_f32_e32 v147, v150, v149
	v_sub_f32_e32 v160, v146, v147
	v_sub_f32_e32 v150, v147, v150
	s_delay_alu instid0(VALU_DEP_2) | instskip(NEXT) | instid1(VALU_DEP_1)
	v_dual_sub_f32 v146, v146, v160 :: v_dual_add_f32 v23, v23, v161
	v_sub_f32_e32 v146, v146, v147
	s_delay_alu instid0(VALU_DEP_1) | instskip(NEXT) | instid1(VALU_DEP_4)
	v_add_f32_e32 v23, v23, v146
	v_dual_add_f32 v146, v151, v148 :: v_dual_sub_f32 v147, v150, v149
	s_delay_alu instid0(VALU_DEP_1) | instskip(NEXT) | instid1(VALU_DEP_2)
	v_add_f32_e32 v23, v147, v23
	v_sub_f32_e32 v147, v146, v151
	s_delay_alu instid0(VALU_DEP_2) | instskip(NEXT) | instid1(VALU_DEP_2)
	v_add_f32_e32 v23, v160, v23
	v_sub_f32_e32 v147, v148, v147
	s_delay_alu instid0(VALU_DEP_2) | instskip(NEXT) | instid1(VALU_DEP_1)
	v_mul_f32_e32 v23, v145, v23
	v_add_f32_e32 v23, v147, v23
	s_delay_alu instid0(VALU_DEP_1) | instskip(NEXT) | instid1(VALU_DEP_1)
	v_add_f32_e32 v145, v146, v23
	v_mul_f32_e32 v147, v145, v145
	s_delay_alu instid0(VALU_DEP_1) | instskip(SKIP_2) | instid1(VALU_DEP_3)
	v_fmaak_f32 v148, s25, v147, 0x3ecc95a3
	v_mul_f32_e32 v149, v145, v147
	v_cmp_gt_f32_e64 s25, 0x33800000, |v17|
	v_fmaak_f32 v147, v147, v148, 0x3f2aaada
	v_ldexp_f32 v148, v145, 1
	v_sub_f32_e32 v145, v145, v146
	s_delay_alu instid0(VALU_DEP_4) | instskip(NEXT) | instid1(VALU_DEP_3)
	s_or_b32 vcc_lo, vcc_lo, s25
	v_mul_f32_e32 v147, v149, v147
	s_delay_alu instid0(VALU_DEP_1) | instskip(NEXT) | instid1(VALU_DEP_1)
	v_dual_sub_f32 v23, v23, v145 :: v_dual_add_f32 v146, v148, v147
	v_ldexp_f32 v23, v23, 1
	s_delay_alu instid0(VALU_DEP_2) | instskip(NEXT) | instid1(VALU_DEP_1)
	v_sub_f32_e32 v145, v146, v148
	v_sub_f32_e32 v145, v147, v145
	s_delay_alu instid0(VALU_DEP_1) | instskip(NEXT) | instid1(VALU_DEP_1)
	v_add_f32_e32 v23, v23, v145
	v_add_f32_e32 v147, v146, v23
	v_mul_f32_e32 v149, 0x3f317218, v22
	s_delay_alu instid0(VALU_DEP_2) | instskip(NEXT) | instid1(VALU_DEP_2)
	v_sub_f32_e32 v146, v147, v146
	v_fma_f32 v148, 0x3f317218, v22, -v149
	s_delay_alu instid0(VALU_DEP_1) | instskip(NEXT) | instid1(VALU_DEP_1)
	v_dual_sub_f32 v23, v23, v146 :: v_dual_fmamk_f32 v22, v22, 0xb102e308, v148
	v_add_f32_e32 v145, v149, v22
	s_delay_alu instid0(VALU_DEP_1) | instskip(SKIP_1) | instid1(VALU_DEP_2)
	v_add_f32_e32 v148, v145, v147
	v_sub_f32_e32 v149, v145, v149
	v_sub_f32_e32 v150, v148, v145
	s_delay_alu instid0(VALU_DEP_1) | instskip(NEXT) | instid1(VALU_DEP_1)
	v_dual_sub_f32 v22, v22, v149 :: v_dual_sub_f32 v151, v148, v150
	v_dual_sub_f32 v146, v147, v150 :: v_dual_add_f32 v147, v22, v23
	s_delay_alu instid0(VALU_DEP_2) | instskip(NEXT) | instid1(VALU_DEP_1)
	v_sub_f32_e32 v145, v145, v151
	v_dual_add_f32 v145, v146, v145 :: v_dual_sub_f32 v146, v147, v22
	s_delay_alu instid0(VALU_DEP_1) | instskip(NEXT) | instid1(VALU_DEP_2)
	v_add_f32_e32 v145, v147, v145
	v_sub_f32_e32 v147, v147, v146
	v_sub_f32_e32 v23, v23, v146
	s_delay_alu instid0(VALU_DEP_2) | instskip(NEXT) | instid1(VALU_DEP_1)
	v_dual_add_f32 v149, v148, v145 :: v_dual_sub_f32 v22, v22, v147
	v_sub_f32_e32 v146, v149, v148
	s_delay_alu instid0(VALU_DEP_2) | instskip(NEXT) | instid1(VALU_DEP_2)
	v_add_f32_e32 v22, v23, v22
	v_sub_f32_e32 v23, v145, v146
	s_delay_alu instid0(VALU_DEP_1) | instskip(NEXT) | instid1(VALU_DEP_1)
	v_add_f32_e32 v22, v22, v23
	v_add_f32_e32 v22, v149, v22
	s_delay_alu instid0(VALU_DEP_1) | instskip(NEXT) | instid1(VALU_DEP_1)
	v_cndmask_b32_e32 v17, v22, v17, vcc_lo
	v_add_f32_e32 v17, v16, v17
.LBB521_192:
	s_or_b32 exec_lo, exec_lo, s24
	s_delay_alu instid0(VALU_DEP_1) | instskip(SKIP_1) | instid1(VALU_DEP_2)
	v_bfe_u32 v16, v17, 16, 1
	v_cmp_o_f32_e32 vcc_lo, v17, v17
	v_add3_u32 v16, v17, v16, 0x7fff
	s_delay_alu instid0(VALU_DEP_1) | instskip(NEXT) | instid1(VALU_DEP_1)
	v_lshrrev_b32_e32 v16, 16, v16
	v_cndmask_b32_e32 v16, 0x7fc0, v16, vcc_lo
	s_delay_alu instid0(VALU_DEP_1) | instskip(NEXT) | instid1(VALU_DEP_1)
	v_lshlrev_b32_e32 v22, 16, v16
	v_max_f32_e32 v17, v22, v22
	s_delay_alu instid0(VALU_DEP_1) | instskip(SKIP_2) | instid1(VALU_DEP_3)
	v_min_f32_e32 v23, v17, v65
	v_max_f32_e32 v17, v17, v65
	v_cmp_u_f32_e32 vcc_lo, v22, v22
	v_cndmask_b32_e32 v23, v23, v22, vcc_lo
	s_delay_alu instid0(VALU_DEP_3) | instskip(NEXT) | instid1(VALU_DEP_2)
	v_cndmask_b32_e32 v17, v17, v22, vcc_lo
	v_cndmask_b32_e64 v23, v23, v13, s3
	s_delay_alu instid0(VALU_DEP_2) | instskip(NEXT) | instid1(VALU_DEP_2)
	v_cndmask_b32_e64 v17, v17, v13, s3
	v_cmp_class_f32_e64 s3, v23, 0x1f8
	s_delay_alu instid0(VALU_DEP_2) | instskip(NEXT) | instid1(VALU_DEP_2)
	v_cmp_neq_f32_e32 vcc_lo, v23, v17
	s_or_b32 s24, vcc_lo, s3
	s_delay_alu instid0(SALU_CYCLE_1)
	s_and_saveexec_b32 s3, s24
	s_cbranch_execz .LBB521_194
; %bb.193:
	v_sub_f32_e32 v22, v23, v17
	s_mov_b32 s24, 0x3e9b6dac
	s_delay_alu instid0(VALU_DEP_1) | instskip(SKIP_1) | instid1(VALU_DEP_2)
	v_mul_f32_e32 v23, 0x3fb8aa3b, v22
	v_cmp_ngt_f32_e32 vcc_lo, 0xc2ce8ed0, v22
	v_fma_f32 v65, 0x3fb8aa3b, v22, -v23
	v_rndne_f32_e32 v145, v23
	s_delay_alu instid0(VALU_DEP_2) | instskip(NEXT) | instid1(VALU_DEP_2)
	v_fmamk_f32 v65, v22, 0x32a5705f, v65
	v_sub_f32_e32 v23, v23, v145
	s_delay_alu instid0(VALU_DEP_1) | instskip(SKIP_1) | instid1(VALU_DEP_2)
	v_add_f32_e32 v23, v23, v65
	v_cvt_i32_f32_e32 v65, v145
	v_exp_f32_e32 v23, v23
	s_waitcnt_depctr 0xfff
	v_ldexp_f32 v23, v23, v65
	s_delay_alu instid0(VALU_DEP_1) | instskip(SKIP_1) | instid1(VALU_DEP_2)
	v_cndmask_b32_e32 v23, 0, v23, vcc_lo
	v_cmp_nlt_f32_e32 vcc_lo, 0x42b17218, v22
	v_cndmask_b32_e32 v65, 0x7f800000, v23, vcc_lo
	s_delay_alu instid0(VALU_DEP_1) | instskip(NEXT) | instid1(VALU_DEP_1)
	v_add_f32_e32 v145, 1.0, v65
	v_cvt_f64_f32_e32 v[22:23], v145
	s_delay_alu instid0(VALU_DEP_1) | instskip(SKIP_1) | instid1(VALU_DEP_1)
	v_frexp_exp_i32_f64_e32 v22, v[22:23]
	v_frexp_mant_f32_e32 v23, v145
	v_cmp_gt_f32_e32 vcc_lo, 0x3f2aaaab, v23
	v_add_f32_e32 v23, -1.0, v145
	s_delay_alu instid0(VALU_DEP_1) | instskip(SKIP_1) | instid1(VALU_DEP_2)
	v_sub_f32_e32 v147, v23, v145
	v_sub_f32_e32 v23, v65, v23
	v_add_f32_e32 v147, 1.0, v147
	s_delay_alu instid0(VALU_DEP_1) | instskip(SKIP_1) | instid1(VALU_DEP_1)
	v_add_f32_e32 v23, v23, v147
	v_subrev_co_ci_u32_e32 v22, vcc_lo, 0, v22, vcc_lo
	v_sub_nc_u32_e32 v146, 0, v22
	v_cvt_f32_i32_e32 v22, v22
	s_delay_alu instid0(VALU_DEP_2) | instskip(SKIP_1) | instid1(VALU_DEP_2)
	v_ldexp_f32 v145, v145, v146
	v_ldexp_f32 v23, v23, v146
	v_add_f32_e32 v148, 1.0, v145
	s_delay_alu instid0(VALU_DEP_1) | instskip(NEXT) | instid1(VALU_DEP_1)
	v_dual_add_f32 v146, -1.0, v145 :: v_dual_add_f32 v147, -1.0, v148
	v_add_f32_e32 v149, 1.0, v146
	s_delay_alu instid0(VALU_DEP_2) | instskip(NEXT) | instid1(VALU_DEP_2)
	v_sub_f32_e32 v147, v145, v147
	v_sub_f32_e32 v145, v145, v149
	s_delay_alu instid0(VALU_DEP_2) | instskip(NEXT) | instid1(VALU_DEP_1)
	v_add_f32_e32 v147, v23, v147
	v_add_f32_e32 v149, v148, v147
	s_delay_alu instid0(VALU_DEP_3) | instskip(NEXT) | instid1(VALU_DEP_2)
	v_add_f32_e32 v23, v23, v145
	v_rcp_f32_e32 v145, v149
	s_delay_alu instid0(VALU_DEP_1) | instskip(SKIP_2) | instid1(VALU_DEP_2)
	v_add_f32_e32 v150, v146, v23
	v_sub_f32_e32 v148, v148, v149
	v_cmp_eq_f32_e32 vcc_lo, 0x7f800000, v65
	v_dual_sub_f32 v146, v146, v150 :: v_dual_add_f32 v147, v147, v148
	s_waitcnt_depctr 0xfff
	v_mul_f32_e32 v151, v150, v145
	s_delay_alu instid0(VALU_DEP_1) | instskip(NEXT) | instid1(VALU_DEP_1)
	v_dual_add_f32 v23, v23, v146 :: v_dual_mul_f32 v160, v149, v151
	v_fma_f32 v148, v151, v149, -v160
	s_delay_alu instid0(VALU_DEP_1) | instskip(NEXT) | instid1(VALU_DEP_1)
	v_fmac_f32_e32 v148, v151, v147
	v_add_f32_e32 v161, v160, v148
	s_delay_alu instid0(VALU_DEP_1) | instskip(SKIP_1) | instid1(VALU_DEP_2)
	v_sub_f32_e32 v162, v150, v161
	v_sub_f32_e32 v146, v161, v160
	;; [unrolled: 1-line block ×3, first 2 shown]
	s_delay_alu instid0(VALU_DEP_2) | instskip(NEXT) | instid1(VALU_DEP_2)
	v_sub_f32_e32 v146, v146, v148
	v_sub_f32_e32 v150, v150, v161
	s_delay_alu instid0(VALU_DEP_1) | instskip(NEXT) | instid1(VALU_DEP_1)
	v_add_f32_e32 v23, v23, v150
	v_add_f32_e32 v23, v146, v23
	s_delay_alu instid0(VALU_DEP_1) | instskip(NEXT) | instid1(VALU_DEP_1)
	v_add_f32_e32 v146, v162, v23
	v_mul_f32_e32 v148, v145, v146
	s_delay_alu instid0(VALU_DEP_1) | instskip(NEXT) | instid1(VALU_DEP_1)
	v_dual_sub_f32 v161, v162, v146 :: v_dual_mul_f32 v150, v149, v148
	v_add_f32_e32 v23, v23, v161
	s_delay_alu instid0(VALU_DEP_2) | instskip(NEXT) | instid1(VALU_DEP_1)
	v_fma_f32 v149, v148, v149, -v150
	v_fmac_f32_e32 v149, v148, v147
	s_delay_alu instid0(VALU_DEP_1) | instskip(NEXT) | instid1(VALU_DEP_1)
	v_add_f32_e32 v147, v150, v149
	v_sub_f32_e32 v160, v146, v147
	v_sub_f32_e32 v150, v147, v150
	s_delay_alu instid0(VALU_DEP_2) | instskip(NEXT) | instid1(VALU_DEP_1)
	v_sub_f32_e32 v146, v146, v160
	v_sub_f32_e32 v146, v146, v147
	s_delay_alu instid0(VALU_DEP_3) | instskip(NEXT) | instid1(VALU_DEP_2)
	v_sub_f32_e32 v147, v150, v149
	v_add_f32_e32 v23, v23, v146
	v_add_f32_e32 v146, v151, v148
	s_delay_alu instid0(VALU_DEP_2) | instskip(NEXT) | instid1(VALU_DEP_2)
	v_add_f32_e32 v23, v147, v23
	v_sub_f32_e32 v147, v146, v151
	s_delay_alu instid0(VALU_DEP_2) | instskip(NEXT) | instid1(VALU_DEP_2)
	v_add_f32_e32 v23, v160, v23
	v_sub_f32_e32 v147, v148, v147
	s_delay_alu instid0(VALU_DEP_2) | instskip(NEXT) | instid1(VALU_DEP_1)
	v_mul_f32_e32 v23, v145, v23
	v_add_f32_e32 v23, v147, v23
	s_delay_alu instid0(VALU_DEP_1) | instskip(NEXT) | instid1(VALU_DEP_1)
	v_add_f32_e32 v145, v146, v23
	v_mul_f32_e32 v147, v145, v145
	s_delay_alu instid0(VALU_DEP_1) | instskip(SKIP_2) | instid1(VALU_DEP_3)
	v_fmaak_f32 v148, s24, v147, 0x3ecc95a3
	v_mul_f32_e32 v149, v145, v147
	v_cmp_gt_f32_e64 s24, 0x33800000, |v65|
	v_fmaak_f32 v147, v147, v148, 0x3f2aaada
	v_ldexp_f32 v148, v145, 1
	v_sub_f32_e32 v145, v145, v146
	s_delay_alu instid0(VALU_DEP_4) | instskip(NEXT) | instid1(VALU_DEP_3)
	s_or_b32 vcc_lo, vcc_lo, s24
	v_mul_f32_e32 v147, v149, v147
	v_mul_f32_e32 v149, 0x3f317218, v22
	s_delay_alu instid0(VALU_DEP_2) | instskip(NEXT) | instid1(VALU_DEP_1)
	v_dual_sub_f32 v23, v23, v145 :: v_dual_add_f32 v146, v148, v147
	v_ldexp_f32 v23, v23, 1
	s_delay_alu instid0(VALU_DEP_2) | instskip(NEXT) | instid1(VALU_DEP_4)
	v_sub_f32_e32 v145, v146, v148
	v_fma_f32 v148, 0x3f317218, v22, -v149
	s_delay_alu instid0(VALU_DEP_1) | instskip(NEXT) | instid1(VALU_DEP_1)
	v_dual_sub_f32 v145, v147, v145 :: v_dual_fmamk_f32 v22, v22, 0xb102e308, v148
	v_add_f32_e32 v23, v23, v145
	s_delay_alu instid0(VALU_DEP_2) | instskip(NEXT) | instid1(VALU_DEP_2)
	v_add_f32_e32 v145, v149, v22
	v_add_f32_e32 v147, v146, v23
	s_delay_alu instid0(VALU_DEP_2) | instskip(NEXT) | instid1(VALU_DEP_2)
	v_sub_f32_e32 v149, v145, v149
	v_add_f32_e32 v148, v145, v147
	v_sub_f32_e32 v146, v147, v146
	s_delay_alu instid0(VALU_DEP_3) | instskip(NEXT) | instid1(VALU_DEP_2)
	v_sub_f32_e32 v22, v22, v149
	v_dual_sub_f32 v150, v148, v145 :: v_dual_sub_f32 v23, v23, v146
	s_delay_alu instid0(VALU_DEP_1) | instskip(NEXT) | instid1(VALU_DEP_2)
	v_sub_f32_e32 v151, v148, v150
	v_dual_sub_f32 v146, v147, v150 :: v_dual_add_f32 v147, v22, v23
	s_delay_alu instid0(VALU_DEP_2) | instskip(NEXT) | instid1(VALU_DEP_1)
	v_sub_f32_e32 v145, v145, v151
	v_dual_add_f32 v145, v146, v145 :: v_dual_sub_f32 v146, v147, v22
	s_delay_alu instid0(VALU_DEP_1) | instskip(NEXT) | instid1(VALU_DEP_2)
	v_add_f32_e32 v145, v147, v145
	v_sub_f32_e32 v147, v147, v146
	v_sub_f32_e32 v23, v23, v146
	s_delay_alu instid0(VALU_DEP_2) | instskip(NEXT) | instid1(VALU_DEP_1)
	v_dual_add_f32 v149, v148, v145 :: v_dual_sub_f32 v22, v22, v147
	v_sub_f32_e32 v146, v149, v148
	s_delay_alu instid0(VALU_DEP_2) | instskip(NEXT) | instid1(VALU_DEP_2)
	v_add_f32_e32 v22, v23, v22
	v_sub_f32_e32 v23, v145, v146
	s_delay_alu instid0(VALU_DEP_1) | instskip(NEXT) | instid1(VALU_DEP_1)
	v_add_f32_e32 v22, v22, v23
	v_add_f32_e32 v22, v149, v22
	s_delay_alu instid0(VALU_DEP_1) | instskip(NEXT) | instid1(VALU_DEP_1)
	v_cndmask_b32_e32 v22, v22, v65, vcc_lo
	v_add_f32_e32 v22, v17, v22
.LBB521_194:
	s_or_b32 exec_lo, exec_lo, s3
	s_delay_alu instid0(VALU_DEP_1) | instskip(SKIP_1) | instid1(VALU_DEP_2)
	v_bfe_u32 v17, v22, 16, 1
	v_cmp_o_f32_e32 vcc_lo, v22, v22
	v_add3_u32 v17, v22, v17, 0x7fff
	s_delay_alu instid0(VALU_DEP_1) | instskip(NEXT) | instid1(VALU_DEP_1)
	v_lshrrev_b32_e32 v17, 16, v17
	v_cndmask_b32_e32 v17, 0x7fc0, v17, vcc_lo
	s_delay_alu instid0(VALU_DEP_1) | instskip(NEXT) | instid1(VALU_DEP_1)
	v_lshlrev_b32_e32 v23, 16, v17
	v_max_f32_e32 v22, v23, v23
	s_delay_alu instid0(VALU_DEP_1) | instskip(SKIP_2) | instid1(VALU_DEP_3)
	v_min_f32_e32 v65, v22, v68
	v_max_f32_e32 v22, v22, v68
	v_cmp_u_f32_e32 vcc_lo, v23, v23
	v_cndmask_b32_e32 v65, v65, v23, vcc_lo
	s_delay_alu instid0(VALU_DEP_3) | instskip(NEXT) | instid1(VALU_DEP_2)
	v_cndmask_b32_e32 v22, v22, v23, vcc_lo
	v_cndmask_b32_e64 v65, v65, v64, s4
	s_delay_alu instid0(VALU_DEP_2) | instskip(NEXT) | instid1(VALU_DEP_2)
	v_cndmask_b32_e64 v22, v22, v64, s4
	v_cmp_class_f32_e64 s3, v65, 0x1f8
	s_delay_alu instid0(VALU_DEP_2) | instskip(NEXT) | instid1(VALU_DEP_2)
	v_cmp_neq_f32_e32 vcc_lo, v65, v22
	s_or_b32 s4, vcc_lo, s3
	s_delay_alu instid0(SALU_CYCLE_1)
	s_and_saveexec_b32 s3, s4
	s_cbranch_execz .LBB521_196
; %bb.195:
	v_sub_f32_e32 v23, v65, v22
	s_mov_b32 s4, 0x3e9b6dac
	s_delay_alu instid0(VALU_DEP_1) | instskip(NEXT) | instid1(VALU_DEP_1)
	v_mul_f32_e32 v64, 0x3fb8aa3b, v23
	v_fma_f32 v65, 0x3fb8aa3b, v23, -v64
	v_rndne_f32_e32 v68, v64
	s_delay_alu instid0(VALU_DEP_1) | instskip(SKIP_1) | instid1(VALU_DEP_4)
	v_sub_f32_e32 v64, v64, v68
	v_cmp_ngt_f32_e32 vcc_lo, 0xc2ce8ed0, v23
	v_fmamk_f32 v65, v23, 0x32a5705f, v65
	s_delay_alu instid0(VALU_DEP_1) | instskip(SKIP_1) | instid1(VALU_DEP_2)
	v_add_f32_e32 v64, v64, v65
	v_cvt_i32_f32_e32 v65, v68
	v_exp_f32_e32 v64, v64
	s_waitcnt_depctr 0xfff
	v_ldexp_f32 v64, v64, v65
	s_delay_alu instid0(VALU_DEP_1) | instskip(SKIP_1) | instid1(VALU_DEP_2)
	v_cndmask_b32_e32 v64, 0, v64, vcc_lo
	v_cmp_nlt_f32_e32 vcc_lo, 0x42b17218, v23
	v_cndmask_b32_e32 v23, 0x7f800000, v64, vcc_lo
	s_delay_alu instid0(VALU_DEP_1) | instskip(NEXT) | instid1(VALU_DEP_1)
	v_add_f32_e32 v68, 1.0, v23
	v_cvt_f64_f32_e32 v[64:65], v68
	s_delay_alu instid0(VALU_DEP_1) | instskip(SKIP_1) | instid1(VALU_DEP_1)
	v_frexp_exp_i32_f64_e32 v64, v[64:65]
	v_frexp_mant_f32_e32 v65, v68
	v_cmp_gt_f32_e32 vcc_lo, 0x3f2aaaab, v65
	v_add_f32_e32 v65, -1.0, v68
	s_delay_alu instid0(VALU_DEP_1) | instskip(NEXT) | instid1(VALU_DEP_1)
	v_sub_f32_e32 v146, v65, v68
	v_dual_add_f32 v146, 1.0, v146 :: v_dual_sub_f32 v65, v23, v65
	v_subrev_co_ci_u32_e32 v64, vcc_lo, 0, v64, vcc_lo
	v_cmp_eq_f32_e32 vcc_lo, 0x7f800000, v23
	s_delay_alu instid0(VALU_DEP_2) | instskip(SKIP_1) | instid1(VALU_DEP_2)
	v_sub_nc_u32_e32 v145, 0, v64
	v_cvt_f32_i32_e32 v64, v64
	v_ldexp_f32 v68, v68, v145
	s_delay_alu instid0(VALU_DEP_1) | instskip(NEXT) | instid1(VALU_DEP_1)
	v_add_f32_e32 v147, 1.0, v68
	v_dual_add_f32 v65, v65, v146 :: v_dual_add_f32 v146, -1.0, v147
	s_delay_alu instid0(VALU_DEP_1) | instskip(NEXT) | instid1(VALU_DEP_2)
	v_ldexp_f32 v65, v65, v145
	v_dual_add_f32 v145, -1.0, v68 :: v_dual_sub_f32 v146, v68, v146
	s_delay_alu instid0(VALU_DEP_1) | instskip(NEXT) | instid1(VALU_DEP_2)
	v_add_f32_e32 v148, 1.0, v145
	v_add_f32_e32 v146, v65, v146
	s_delay_alu instid0(VALU_DEP_2) | instskip(NEXT) | instid1(VALU_DEP_1)
	v_sub_f32_e32 v68, v68, v148
	v_add_f32_e32 v65, v65, v68
	s_delay_alu instid0(VALU_DEP_1) | instskip(NEXT) | instid1(VALU_DEP_1)
	v_dual_add_f32 v149, v145, v65 :: v_dual_add_f32 v148, v147, v146
	v_sub_f32_e32 v145, v145, v149
	s_delay_alu instid0(VALU_DEP_2) | instskip(SKIP_1) | instid1(VALU_DEP_1)
	v_rcp_f32_e32 v68, v148
	v_sub_f32_e32 v147, v147, v148
	v_dual_add_f32 v146, v146, v147 :: v_dual_add_f32 v65, v65, v145
	s_waitcnt_depctr 0xfff
	v_mul_f32_e32 v150, v149, v68
	s_delay_alu instid0(VALU_DEP_1) | instskip(NEXT) | instid1(VALU_DEP_1)
	v_mul_f32_e32 v151, v148, v150
	v_fma_f32 v147, v150, v148, -v151
	s_delay_alu instid0(VALU_DEP_1) | instskip(NEXT) | instid1(VALU_DEP_1)
	v_fmac_f32_e32 v147, v150, v146
	v_add_f32_e32 v160, v151, v147
	s_delay_alu instid0(VALU_DEP_1) | instskip(NEXT) | instid1(VALU_DEP_1)
	v_sub_f32_e32 v161, v149, v160
	v_sub_f32_e32 v149, v149, v161
	;; [unrolled: 1-line block ×3, first 2 shown]
	s_delay_alu instid0(VALU_DEP_2) | instskip(NEXT) | instid1(VALU_DEP_2)
	v_sub_f32_e32 v149, v149, v160
	v_sub_f32_e32 v145, v145, v147
	s_delay_alu instid0(VALU_DEP_2) | instskip(NEXT) | instid1(VALU_DEP_1)
	v_add_f32_e32 v65, v65, v149
	v_add_f32_e32 v65, v145, v65
	s_delay_alu instid0(VALU_DEP_1) | instskip(NEXT) | instid1(VALU_DEP_1)
	v_add_f32_e32 v145, v161, v65
	v_mul_f32_e32 v147, v68, v145
	s_delay_alu instid0(VALU_DEP_1) | instskip(NEXT) | instid1(VALU_DEP_1)
	v_dual_sub_f32 v160, v161, v145 :: v_dual_mul_f32 v149, v148, v147
	v_add_f32_e32 v65, v65, v160
	s_delay_alu instid0(VALU_DEP_2) | instskip(NEXT) | instid1(VALU_DEP_1)
	v_fma_f32 v148, v147, v148, -v149
	v_fmac_f32_e32 v148, v147, v146
	s_delay_alu instid0(VALU_DEP_1) | instskip(NEXT) | instid1(VALU_DEP_1)
	v_add_f32_e32 v146, v149, v148
	v_sub_f32_e32 v151, v145, v146
	v_sub_f32_e32 v149, v146, v149
	s_delay_alu instid0(VALU_DEP_2) | instskip(NEXT) | instid1(VALU_DEP_1)
	v_sub_f32_e32 v145, v145, v151
	v_sub_f32_e32 v145, v145, v146
	s_delay_alu instid0(VALU_DEP_3) | instskip(NEXT) | instid1(VALU_DEP_2)
	v_sub_f32_e32 v146, v149, v148
	v_add_f32_e32 v65, v65, v145
	v_add_f32_e32 v145, v150, v147
	s_delay_alu instid0(VALU_DEP_1) | instskip(NEXT) | instid1(VALU_DEP_1)
	v_dual_add_f32 v65, v146, v65 :: v_dual_sub_f32 v146, v145, v150
	v_add_f32_e32 v65, v151, v65
	s_delay_alu instid0(VALU_DEP_1) | instskip(NEXT) | instid1(VALU_DEP_1)
	v_dual_sub_f32 v146, v147, v146 :: v_dual_mul_f32 v65, v68, v65
	v_add_f32_e32 v65, v146, v65
	s_delay_alu instid0(VALU_DEP_1) | instskip(NEXT) | instid1(VALU_DEP_1)
	v_add_f32_e32 v68, v145, v65
	v_mul_f32_e32 v146, v68, v68
	s_delay_alu instid0(VALU_DEP_1) | instskip(SKIP_2) | instid1(VALU_DEP_3)
	v_fmaak_f32 v147, s4, v146, 0x3ecc95a3
	v_mul_f32_e32 v148, v68, v146
	v_cmp_gt_f32_e64 s4, 0x33800000, |v23|
	v_fmaak_f32 v146, v146, v147, 0x3f2aaada
	v_ldexp_f32 v147, v68, 1
	v_sub_f32_e32 v68, v68, v145
	s_delay_alu instid0(VALU_DEP_4) | instskip(NEXT) | instid1(VALU_DEP_3)
	s_or_b32 vcc_lo, vcc_lo, s4
	v_mul_f32_e32 v146, v148, v146
	v_mul_f32_e32 v148, 0x3f317218, v64
	s_delay_alu instid0(VALU_DEP_3) | instskip(NEXT) | instid1(VALU_DEP_3)
	v_sub_f32_e32 v65, v65, v68
	v_add_f32_e32 v145, v147, v146
	s_delay_alu instid0(VALU_DEP_2) | instskip(NEXT) | instid1(VALU_DEP_2)
	v_ldexp_f32 v65, v65, 1
	v_sub_f32_e32 v68, v145, v147
	v_fma_f32 v147, 0x3f317218, v64, -v148
	s_delay_alu instid0(VALU_DEP_2) | instskip(NEXT) | instid1(VALU_DEP_1)
	v_sub_f32_e32 v68, v146, v68
	v_dual_fmamk_f32 v64, v64, 0xb102e308, v147 :: v_dual_add_f32 v65, v65, v68
	s_delay_alu instid0(VALU_DEP_1) | instskip(NEXT) | instid1(VALU_DEP_2)
	v_add_f32_e32 v68, v148, v64
	v_add_f32_e32 v146, v145, v65
	s_delay_alu instid0(VALU_DEP_2) | instskip(NEXT) | instid1(VALU_DEP_2)
	v_sub_f32_e32 v148, v68, v148
	v_add_f32_e32 v147, v68, v146
	s_delay_alu instid0(VALU_DEP_2) | instskip(NEXT) | instid1(VALU_DEP_2)
	v_sub_f32_e32 v64, v64, v148
	v_sub_f32_e32 v149, v147, v68
	;; [unrolled: 1-line block ×3, first 2 shown]
	s_delay_alu instid0(VALU_DEP_2) | instskip(NEXT) | instid1(VALU_DEP_2)
	v_sub_f32_e32 v150, v147, v149
	v_sub_f32_e32 v65, v65, v145
	s_delay_alu instid0(VALU_DEP_2) | instskip(NEXT) | instid1(VALU_DEP_2)
	v_dual_sub_f32 v145, v146, v149 :: v_dual_sub_f32 v68, v68, v150
	v_add_f32_e32 v146, v64, v65
	s_delay_alu instid0(VALU_DEP_2) | instskip(NEXT) | instid1(VALU_DEP_2)
	v_add_f32_e32 v68, v145, v68
	v_sub_f32_e32 v145, v146, v64
	s_delay_alu instid0(VALU_DEP_2) | instskip(NEXT) | instid1(VALU_DEP_2)
	v_add_f32_e32 v68, v146, v68
	v_sub_f32_e32 v146, v146, v145
	s_delay_alu instid0(VALU_DEP_2) | instskip(NEXT) | instid1(VALU_DEP_2)
	v_add_f32_e32 v148, v147, v68
	v_dual_sub_f32 v64, v64, v146 :: v_dual_sub_f32 v65, v65, v145
	s_delay_alu instid0(VALU_DEP_1) | instskip(NEXT) | instid1(VALU_DEP_1)
	v_dual_sub_f32 v145, v148, v147 :: v_dual_add_f32 v64, v65, v64
	v_sub_f32_e32 v65, v68, v145
	s_delay_alu instid0(VALU_DEP_1) | instskip(NEXT) | instid1(VALU_DEP_1)
	v_add_f32_e32 v64, v64, v65
	v_add_f32_e32 v64, v148, v64
	s_delay_alu instid0(VALU_DEP_1) | instskip(NEXT) | instid1(VALU_DEP_1)
	v_cndmask_b32_e32 v23, v64, v23, vcc_lo
	v_add_f32_e32 v23, v22, v23
.LBB521_196:
	s_or_b32 exec_lo, exec_lo, s3
	s_delay_alu instid0(VALU_DEP_1) | instskip(SKIP_1) | instid1(VALU_DEP_2)
	v_bfe_u32 v22, v23, 16, 1
	v_cmp_o_f32_e32 vcc_lo, v23, v23
	v_add3_u32 v22, v23, v22, 0x7fff
	s_delay_alu instid0(VALU_DEP_1) | instskip(NEXT) | instid1(VALU_DEP_1)
	v_lshrrev_b32_e32 v22, 16, v22
	v_cndmask_b32_e32 v22, 0x7fc0, v22, vcc_lo
	s_delay_alu instid0(VALU_DEP_1) | instskip(NEXT) | instid1(VALU_DEP_1)
	v_lshlrev_b32_e32 v64, 16, v22
	v_max_f32_e32 v23, v64, v64
	v_cmp_u_f32_e32 vcc_lo, v64, v64
	s_delay_alu instid0(VALU_DEP_2) | instskip(SKIP_1) | instid1(VALU_DEP_2)
	v_min_f32_e32 v65, v23, v70
	v_max_f32_e32 v23, v23, v70
	v_cndmask_b32_e32 v65, v65, v64, vcc_lo
	s_delay_alu instid0(VALU_DEP_2) | instskip(NEXT) | instid1(VALU_DEP_2)
	v_cndmask_b32_e32 v23, v23, v64, vcc_lo
	v_cndmask_b32_e64 v65, v65, v66, s5
	s_delay_alu instid0(VALU_DEP_2) | instskip(NEXT) | instid1(VALU_DEP_2)
	v_cndmask_b32_e64 v23, v23, v66, s5
	v_cmp_class_f32_e64 s3, v65, 0x1f8
	s_delay_alu instid0(VALU_DEP_2) | instskip(NEXT) | instid1(VALU_DEP_2)
	v_cmp_neq_f32_e32 vcc_lo, v65, v23
	s_or_b32 s4, vcc_lo, s3
	s_delay_alu instid0(SALU_CYCLE_1)
	s_and_saveexec_b32 s3, s4
	s_cbranch_execz .LBB521_198
; %bb.197:
	v_sub_f32_e32 v64, v65, v23
	s_mov_b32 s4, 0x3e9b6dac
	s_delay_alu instid0(VALU_DEP_1) | instskip(SKIP_1) | instid1(VALU_DEP_2)
	v_mul_f32_e32 v65, 0x3fb8aa3b, v64
	v_cmp_ngt_f32_e32 vcc_lo, 0xc2ce8ed0, v64
	v_fma_f32 v66, 0x3fb8aa3b, v64, -v65
	v_rndne_f32_e32 v68, v65
	s_delay_alu instid0(VALU_DEP_1) | instskip(NEXT) | instid1(VALU_DEP_1)
	v_dual_fmamk_f32 v66, v64, 0x32a5705f, v66 :: v_dual_sub_f32 v65, v65, v68
	v_add_f32_e32 v65, v65, v66
	v_cvt_i32_f32_e32 v66, v68
	s_delay_alu instid0(VALU_DEP_2) | instskip(SKIP_2) | instid1(VALU_DEP_1)
	v_exp_f32_e32 v65, v65
	s_waitcnt_depctr 0xfff
	v_ldexp_f32 v65, v65, v66
	v_cndmask_b32_e32 v65, 0, v65, vcc_lo
	v_cmp_nlt_f32_e32 vcc_lo, 0x42b17218, v64
	s_delay_alu instid0(VALU_DEP_2) | instskip(NEXT) | instid1(VALU_DEP_1)
	v_cndmask_b32_e32 v66, 0x7f800000, v65, vcc_lo
	v_add_f32_e32 v68, 1.0, v66
	s_delay_alu instid0(VALU_DEP_1) | instskip(NEXT) | instid1(VALU_DEP_1)
	v_cvt_f64_f32_e32 v[64:65], v68
	v_frexp_exp_i32_f64_e32 v64, v[64:65]
	v_frexp_mant_f32_e32 v65, v68
	s_delay_alu instid0(VALU_DEP_1) | instskip(SKIP_1) | instid1(VALU_DEP_1)
	v_cmp_gt_f32_e32 vcc_lo, 0x3f2aaaab, v65
	v_add_f32_e32 v65, -1.0, v68
	v_sub_f32_e32 v145, v65, v68
	v_subrev_co_ci_u32_e32 v64, vcc_lo, 0, v64, vcc_lo
	v_cmp_eq_f32_e32 vcc_lo, 0x7f800000, v66
	s_delay_alu instid0(VALU_DEP_2) | instskip(SKIP_1) | instid1(VALU_DEP_2)
	v_sub_nc_u32_e32 v70, 0, v64
	v_cvt_f32_i32_e32 v64, v64
	v_ldexp_f32 v68, v68, v70
	s_delay_alu instid0(VALU_DEP_1) | instskip(SKIP_1) | instid1(VALU_DEP_1)
	v_dual_sub_f32 v65, v66, v65 :: v_dual_add_f32 v146, 1.0, v68
	v_add_f32_e32 v145, 1.0, v145
	v_add_f32_e32 v65, v65, v145
	s_delay_alu instid0(VALU_DEP_1) | instskip(NEXT) | instid1(VALU_DEP_4)
	v_ldexp_f32 v65, v65, v70
	v_dual_add_f32 v70, -1.0, v68 :: v_dual_add_f32 v145, -1.0, v146
	s_delay_alu instid0(VALU_DEP_1) | instskip(NEXT) | instid1(VALU_DEP_2)
	v_add_f32_e32 v147, 1.0, v70
	v_sub_f32_e32 v145, v68, v145
	s_delay_alu instid0(VALU_DEP_1) | instskip(NEXT) | instid1(VALU_DEP_1)
	v_dual_sub_f32 v68, v68, v147 :: v_dual_add_f32 v145, v65, v145
	v_add_f32_e32 v147, v146, v145
	s_delay_alu instid0(VALU_DEP_2) | instskip(NEXT) | instid1(VALU_DEP_2)
	v_add_f32_e32 v65, v65, v68
	v_rcp_f32_e32 v68, v147
	s_delay_alu instid0(VALU_DEP_1) | instskip(SKIP_1) | instid1(VALU_DEP_1)
	v_add_f32_e32 v148, v70, v65
	v_sub_f32_e32 v146, v146, v147
	v_dual_sub_f32 v70, v70, v148 :: v_dual_add_f32 v145, v145, v146
	s_waitcnt_depctr 0xfff
	v_mul_f32_e32 v149, v148, v68
	s_delay_alu instid0(VALU_DEP_1) | instskip(NEXT) | instid1(VALU_DEP_1)
	v_dual_mul_f32 v150, v147, v149 :: v_dual_add_f32 v65, v65, v70
	v_fma_f32 v146, v149, v147, -v150
	s_delay_alu instid0(VALU_DEP_1) | instskip(NEXT) | instid1(VALU_DEP_1)
	v_fmac_f32_e32 v146, v149, v145
	v_add_f32_e32 v151, v150, v146
	s_delay_alu instid0(VALU_DEP_1) | instskip(SKIP_1) | instid1(VALU_DEP_2)
	v_sub_f32_e32 v160, v148, v151
	v_sub_f32_e32 v70, v151, v150
	;; [unrolled: 1-line block ×3, first 2 shown]
	s_delay_alu instid0(VALU_DEP_2) | instskip(NEXT) | instid1(VALU_DEP_2)
	v_sub_f32_e32 v70, v70, v146
	v_sub_f32_e32 v148, v148, v151
	s_delay_alu instid0(VALU_DEP_1) | instskip(NEXT) | instid1(VALU_DEP_1)
	v_add_f32_e32 v65, v65, v148
	v_add_f32_e32 v65, v70, v65
	s_delay_alu instid0(VALU_DEP_1) | instskip(NEXT) | instid1(VALU_DEP_1)
	v_add_f32_e32 v70, v160, v65
	v_mul_f32_e32 v146, v68, v70
	s_delay_alu instid0(VALU_DEP_1) | instskip(NEXT) | instid1(VALU_DEP_1)
	v_mul_f32_e32 v148, v147, v146
	v_fma_f32 v147, v146, v147, -v148
	s_delay_alu instid0(VALU_DEP_1) | instskip(NEXT) | instid1(VALU_DEP_1)
	v_fmac_f32_e32 v147, v146, v145
	v_add_f32_e32 v145, v148, v147
	s_delay_alu instid0(VALU_DEP_1) | instskip(NEXT) | instid1(VALU_DEP_1)
	v_dual_sub_f32 v151, v160, v70 :: v_dual_sub_f32 v150, v70, v145
	v_sub_f32_e32 v70, v70, v150
	v_sub_f32_e32 v148, v145, v148
	s_delay_alu instid0(VALU_DEP_2) | instskip(NEXT) | instid1(VALU_DEP_2)
	v_dual_sub_f32 v70, v70, v145 :: v_dual_add_f32 v65, v65, v151
	v_sub_f32_e32 v145, v148, v147
	s_delay_alu instid0(VALU_DEP_2) | instskip(SKIP_1) | instid1(VALU_DEP_2)
	v_add_f32_e32 v65, v65, v70
	v_add_f32_e32 v70, v149, v146
	;; [unrolled: 1-line block ×3, first 2 shown]
	s_delay_alu instid0(VALU_DEP_2) | instskip(NEXT) | instid1(VALU_DEP_2)
	v_sub_f32_e32 v145, v70, v149
	v_add_f32_e32 v65, v150, v65
	s_delay_alu instid0(VALU_DEP_2) | instskip(NEXT) | instid1(VALU_DEP_2)
	v_sub_f32_e32 v145, v146, v145
	v_mul_f32_e32 v65, v68, v65
	s_delay_alu instid0(VALU_DEP_1) | instskip(NEXT) | instid1(VALU_DEP_1)
	v_add_f32_e32 v65, v145, v65
	v_add_f32_e32 v68, v70, v65
	s_delay_alu instid0(VALU_DEP_1) | instskip(NEXT) | instid1(VALU_DEP_1)
	v_mul_f32_e32 v145, v68, v68
	v_fmaak_f32 v146, s4, v145, 0x3ecc95a3
	v_mul_f32_e32 v147, v68, v145
	v_cmp_gt_f32_e64 s4, 0x33800000, |v66|
	s_delay_alu instid0(VALU_DEP_3) | instskip(SKIP_2) | instid1(VALU_DEP_4)
	v_fmaak_f32 v145, v145, v146, 0x3f2aaada
	v_ldexp_f32 v146, v68, 1
	v_sub_f32_e32 v68, v68, v70
	s_or_b32 vcc_lo, vcc_lo, s4
	s_delay_alu instid0(VALU_DEP_3) | instskip(NEXT) | instid1(VALU_DEP_1)
	v_mul_f32_e32 v145, v147, v145
	v_dual_sub_f32 v65, v65, v68 :: v_dual_add_f32 v70, v146, v145
	s_delay_alu instid0(VALU_DEP_1) | instskip(NEXT) | instid1(VALU_DEP_2)
	v_ldexp_f32 v65, v65, 1
	v_sub_f32_e32 v68, v70, v146
	s_delay_alu instid0(VALU_DEP_1) | instskip(NEXT) | instid1(VALU_DEP_1)
	v_sub_f32_e32 v68, v145, v68
	v_add_f32_e32 v65, v65, v68
	s_delay_alu instid0(VALU_DEP_1) | instskip(NEXT) | instid1(VALU_DEP_1)
	v_add_f32_e32 v145, v70, v65
	v_dual_mul_f32 v147, 0x3f317218, v64 :: v_dual_sub_f32 v70, v145, v70
	s_delay_alu instid0(VALU_DEP_1) | instskip(NEXT) | instid1(VALU_DEP_1)
	v_fma_f32 v146, 0x3f317218, v64, -v147
	v_fmamk_f32 v64, v64, 0xb102e308, v146
	s_delay_alu instid0(VALU_DEP_1) | instskip(NEXT) | instid1(VALU_DEP_1)
	v_add_f32_e32 v68, v147, v64
	v_add_f32_e32 v146, v68, v145
	s_delay_alu instid0(VALU_DEP_1) | instskip(NEXT) | instid1(VALU_DEP_1)
	v_dual_sub_f32 v148, v146, v68 :: v_dual_sub_f32 v147, v68, v147
	v_sub_f32_e32 v149, v146, v148
	s_delay_alu instid0(VALU_DEP_1) | instskip(SKIP_1) | instid1(VALU_DEP_4)
	v_dual_sub_f32 v68, v68, v149 :: v_dual_sub_f32 v65, v65, v70
	v_sub_f32_e32 v70, v145, v148
	v_sub_f32_e32 v64, v64, v147
	s_delay_alu instid0(VALU_DEP_1) | instskip(NEXT) | instid1(VALU_DEP_1)
	v_dual_add_f32 v68, v70, v68 :: v_dual_add_f32 v145, v64, v65
	v_sub_f32_e32 v70, v145, v64
	s_delay_alu instid0(VALU_DEP_2) | instskip(NEXT) | instid1(VALU_DEP_2)
	v_add_f32_e32 v68, v145, v68
	v_sub_f32_e32 v145, v145, v70
	s_delay_alu instid0(VALU_DEP_2) | instskip(NEXT) | instid1(VALU_DEP_2)
	v_add_f32_e32 v147, v146, v68
	v_dual_sub_f32 v65, v65, v70 :: v_dual_sub_f32 v64, v64, v145
	s_delay_alu instid0(VALU_DEP_2) | instskip(NEXT) | instid1(VALU_DEP_1)
	v_sub_f32_e32 v70, v147, v146
	v_dual_add_f32 v64, v65, v64 :: v_dual_sub_f32 v65, v68, v70
	s_delay_alu instid0(VALU_DEP_1) | instskip(NEXT) | instid1(VALU_DEP_1)
	v_add_f32_e32 v64, v64, v65
	v_add_f32_e32 v64, v147, v64
	s_delay_alu instid0(VALU_DEP_1) | instskip(NEXT) | instid1(VALU_DEP_1)
	v_cndmask_b32_e32 v64, v64, v66, vcc_lo
	v_add_f32_e32 v64, v23, v64
.LBB521_198:
	s_or_b32 exec_lo, exec_lo, s3
	s_delay_alu instid0(VALU_DEP_1) | instskip(SKIP_1) | instid1(VALU_DEP_2)
	v_bfe_u32 v23, v64, 16, 1
	v_cmp_o_f32_e32 vcc_lo, v64, v64
	v_add3_u32 v23, v64, v23, 0x7fff
	s_delay_alu instid0(VALU_DEP_1) | instskip(NEXT) | instid1(VALU_DEP_1)
	v_lshrrev_b32_e32 v23, 16, v23
	v_cndmask_b32_e32 v23, 0x7fc0, v23, vcc_lo
	s_delay_alu instid0(VALU_DEP_1) | instskip(NEXT) | instid1(VALU_DEP_1)
	v_lshlrev_b32_e32 v65, 16, v23
	v_max_f32_e32 v64, v65, v65
	s_delay_alu instid0(VALU_DEP_1) | instskip(SKIP_2) | instid1(VALU_DEP_3)
	v_min_f32_e32 v66, v64, v80
	v_max_f32_e32 v64, v64, v80
	v_cmp_u_f32_e32 vcc_lo, v65, v65
	v_cndmask_b32_e32 v66, v66, v65, vcc_lo
	s_delay_alu instid0(VALU_DEP_3) | instskip(NEXT) | instid1(VALU_DEP_2)
	v_cndmask_b32_e32 v64, v64, v65, vcc_lo
	v_cndmask_b32_e64 v66, v66, v67, s6
	s_delay_alu instid0(VALU_DEP_2) | instskip(NEXT) | instid1(VALU_DEP_2)
	v_cndmask_b32_e64 v64, v64, v67, s6
	v_cmp_class_f32_e64 s3, v66, 0x1f8
	s_delay_alu instid0(VALU_DEP_2) | instskip(NEXT) | instid1(VALU_DEP_2)
	v_cmp_neq_f32_e32 vcc_lo, v66, v64
	s_or_b32 s4, vcc_lo, s3
	s_delay_alu instid0(SALU_CYCLE_1)
	s_and_saveexec_b32 s3, s4
	s_cbranch_execz .LBB521_200
; %bb.199:
	v_sub_f32_e32 v65, v66, v64
	s_mov_b32 s4, 0x3e9b6dac
	s_delay_alu instid0(VALU_DEP_1) | instskip(SKIP_1) | instid1(VALU_DEP_2)
	v_mul_f32_e32 v66, 0x3fb8aa3b, v65
	v_cmp_ngt_f32_e32 vcc_lo, 0xc2ce8ed0, v65
	v_fma_f32 v67, 0x3fb8aa3b, v65, -v66
	v_rndne_f32_e32 v68, v66
	s_delay_alu instid0(VALU_DEP_1) | instskip(NEXT) | instid1(VALU_DEP_1)
	v_dual_fmamk_f32 v67, v65, 0x32a5705f, v67 :: v_dual_sub_f32 v66, v66, v68
	v_add_f32_e32 v66, v66, v67
	v_cvt_i32_f32_e32 v67, v68
	s_delay_alu instid0(VALU_DEP_2) | instskip(SKIP_2) | instid1(VALU_DEP_1)
	v_exp_f32_e32 v66, v66
	s_waitcnt_depctr 0xfff
	v_ldexp_f32 v66, v66, v67
	v_cndmask_b32_e32 v66, 0, v66, vcc_lo
	v_cmp_nlt_f32_e32 vcc_lo, 0x42b17218, v65
	s_delay_alu instid0(VALU_DEP_2) | instskip(NEXT) | instid1(VALU_DEP_1)
	v_cndmask_b32_e32 v67, 0x7f800000, v66, vcc_lo
	v_add_f32_e32 v68, 1.0, v67
	s_delay_alu instid0(VALU_DEP_1) | instskip(NEXT) | instid1(VALU_DEP_1)
	v_cvt_f64_f32_e32 v[65:66], v68
	v_frexp_exp_i32_f64_e32 v65, v[65:66]
	v_frexp_mant_f32_e32 v66, v68
	s_delay_alu instid0(VALU_DEP_1) | instskip(SKIP_1) | instid1(VALU_DEP_1)
	v_cmp_gt_f32_e32 vcc_lo, 0x3f2aaaab, v66
	v_add_f32_e32 v66, -1.0, v68
	v_sub_f32_e32 v80, v66, v68
	v_sub_f32_e32 v66, v67, v66
	s_delay_alu instid0(VALU_DEP_2) | instskip(NEXT) | instid1(VALU_DEP_1)
	v_add_f32_e32 v80, 1.0, v80
	v_add_f32_e32 v66, v66, v80
	v_subrev_co_ci_u32_e32 v65, vcc_lo, 0, v65, vcc_lo
	v_cmp_eq_f32_e32 vcc_lo, 0x7f800000, v67
	s_delay_alu instid0(VALU_DEP_2) | instskip(SKIP_1) | instid1(VALU_DEP_2)
	v_sub_nc_u32_e32 v70, 0, v65
	v_cvt_f32_i32_e32 v65, v65
	v_ldexp_f32 v68, v68, v70
	v_ldexp_f32 v66, v66, v70
	s_delay_alu instid0(VALU_DEP_2) | instskip(SKIP_1) | instid1(VALU_DEP_2)
	v_add_f32_e32 v145, 1.0, v68
	v_add_f32_e32 v70, -1.0, v68
	v_add_f32_e32 v80, -1.0, v145
	s_delay_alu instid0(VALU_DEP_2) | instskip(NEXT) | instid1(VALU_DEP_2)
	v_add_f32_e32 v146, 1.0, v70
	v_sub_f32_e32 v80, v68, v80
	s_delay_alu instid0(VALU_DEP_2) | instskip(NEXT) | instid1(VALU_DEP_2)
	v_sub_f32_e32 v68, v68, v146
	v_add_f32_e32 v80, v66, v80
	s_delay_alu instid0(VALU_DEP_2) | instskip(NEXT) | instid1(VALU_DEP_1)
	v_add_f32_e32 v66, v66, v68
	v_dual_add_f32 v146, v145, v80 :: v_dual_add_f32 v147, v70, v66
	s_delay_alu instid0(VALU_DEP_1) | instskip(NEXT) | instid1(VALU_DEP_1)
	v_rcp_f32_e32 v68, v146
	v_dual_sub_f32 v145, v145, v146 :: v_dual_sub_f32 v70, v70, v147
	s_delay_alu instid0(VALU_DEP_1) | instskip(NEXT) | instid1(VALU_DEP_2)
	v_add_f32_e32 v80, v80, v145
	v_add_f32_e32 v66, v66, v70
	s_waitcnt_depctr 0xfff
	v_mul_f32_e32 v148, v147, v68
	s_delay_alu instid0(VALU_DEP_1) | instskip(NEXT) | instid1(VALU_DEP_1)
	v_mul_f32_e32 v149, v146, v148
	v_fma_f32 v145, v148, v146, -v149
	s_delay_alu instid0(VALU_DEP_1) | instskip(NEXT) | instid1(VALU_DEP_1)
	v_fmac_f32_e32 v145, v148, v80
	v_add_f32_e32 v150, v149, v145
	s_delay_alu instid0(VALU_DEP_1) | instskip(NEXT) | instid1(VALU_DEP_1)
	v_dual_sub_f32 v151, v147, v150 :: v_dual_sub_f32 v70, v150, v149
	v_dual_sub_f32 v147, v147, v151 :: v_dual_sub_f32 v70, v70, v145
	s_delay_alu instid0(VALU_DEP_1) | instskip(NEXT) | instid1(VALU_DEP_1)
	v_sub_f32_e32 v147, v147, v150
	v_add_f32_e32 v66, v66, v147
	s_delay_alu instid0(VALU_DEP_1) | instskip(NEXT) | instid1(VALU_DEP_1)
	v_add_f32_e32 v66, v70, v66
	v_add_f32_e32 v70, v151, v66
	s_delay_alu instid0(VALU_DEP_1) | instskip(NEXT) | instid1(VALU_DEP_1)
	v_mul_f32_e32 v145, v68, v70
	v_dual_sub_f32 v150, v151, v70 :: v_dual_mul_f32 v147, v146, v145
	s_delay_alu instid0(VALU_DEP_1) | instskip(NEXT) | instid1(VALU_DEP_2)
	v_add_f32_e32 v66, v66, v150
	v_fma_f32 v146, v145, v146, -v147
	s_delay_alu instid0(VALU_DEP_1) | instskip(NEXT) | instid1(VALU_DEP_1)
	v_fmac_f32_e32 v146, v145, v80
	v_add_f32_e32 v80, v147, v146
	s_delay_alu instid0(VALU_DEP_1) | instskip(NEXT) | instid1(VALU_DEP_1)
	v_sub_f32_e32 v149, v70, v80
	v_dual_sub_f32 v147, v80, v147 :: v_dual_sub_f32 v70, v70, v149
	s_delay_alu instid0(VALU_DEP_1) | instskip(NEXT) | instid1(VALU_DEP_2)
	v_sub_f32_e32 v70, v70, v80
	v_sub_f32_e32 v80, v147, v146
	s_delay_alu instid0(VALU_DEP_2) | instskip(SKIP_1) | instid1(VALU_DEP_2)
	v_add_f32_e32 v66, v66, v70
	v_add_f32_e32 v70, v148, v145
	;; [unrolled: 1-line block ×3, first 2 shown]
	s_delay_alu instid0(VALU_DEP_2) | instskip(NEXT) | instid1(VALU_DEP_2)
	v_sub_f32_e32 v80, v70, v148
	v_add_f32_e32 v66, v149, v66
	s_delay_alu instid0(VALU_DEP_2) | instskip(NEXT) | instid1(VALU_DEP_2)
	v_sub_f32_e32 v80, v145, v80
	v_mul_f32_e32 v66, v68, v66
	s_delay_alu instid0(VALU_DEP_1) | instskip(NEXT) | instid1(VALU_DEP_1)
	v_add_f32_e32 v66, v80, v66
	v_add_f32_e32 v68, v70, v66
	s_delay_alu instid0(VALU_DEP_1) | instskip(NEXT) | instid1(VALU_DEP_1)
	v_mul_f32_e32 v80, v68, v68
	v_fmaak_f32 v145, s4, v80, 0x3ecc95a3
	v_mul_f32_e32 v146, v68, v80
	v_cmp_gt_f32_e64 s4, 0x33800000, |v67|
	s_delay_alu instid0(VALU_DEP_3) | instskip(SKIP_2) | instid1(VALU_DEP_4)
	v_fmaak_f32 v80, v80, v145, 0x3f2aaada
	v_ldexp_f32 v145, v68, 1
	v_sub_f32_e32 v68, v68, v70
	s_or_b32 vcc_lo, vcc_lo, s4
	s_delay_alu instid0(VALU_DEP_3) | instskip(SKIP_1) | instid1(VALU_DEP_3)
	v_mul_f32_e32 v80, v146, v80
	v_mul_f32_e32 v146, 0x3f317218, v65
	v_sub_f32_e32 v66, v66, v68
	s_delay_alu instid0(VALU_DEP_3) | instskip(NEXT) | instid1(VALU_DEP_2)
	v_add_f32_e32 v70, v145, v80
	v_ldexp_f32 v66, v66, 1
	s_delay_alu instid0(VALU_DEP_2) | instskip(SKIP_1) | instid1(VALU_DEP_1)
	v_sub_f32_e32 v68, v70, v145
	v_fma_f32 v145, 0x3f317218, v65, -v146
	v_dual_sub_f32 v68, v80, v68 :: v_dual_fmamk_f32 v65, v65, 0xb102e308, v145
	s_delay_alu instid0(VALU_DEP_1) | instskip(NEXT) | instid1(VALU_DEP_2)
	v_add_f32_e32 v66, v66, v68
	v_add_f32_e32 v68, v146, v65
	s_delay_alu instid0(VALU_DEP_2) | instskip(NEXT) | instid1(VALU_DEP_2)
	v_add_f32_e32 v80, v70, v66
	v_sub_f32_e32 v146, v68, v146
	s_delay_alu instid0(VALU_DEP_2) | instskip(SKIP_1) | instid1(VALU_DEP_3)
	v_add_f32_e32 v145, v68, v80
	v_sub_f32_e32 v70, v80, v70
	v_sub_f32_e32 v65, v65, v146
	s_delay_alu instid0(VALU_DEP_2) | instskip(NEXT) | instid1(VALU_DEP_1)
	v_dual_sub_f32 v147, v145, v68 :: v_dual_sub_f32 v66, v66, v70
	v_sub_f32_e32 v148, v145, v147
	v_sub_f32_e32 v70, v80, v147
	s_delay_alu instid0(VALU_DEP_3) | instskip(NEXT) | instid1(VALU_DEP_3)
	v_add_f32_e32 v80, v65, v66
	v_sub_f32_e32 v68, v68, v148
	s_delay_alu instid0(VALU_DEP_1) | instskip(NEXT) | instid1(VALU_DEP_3)
	v_add_f32_e32 v68, v70, v68
	v_sub_f32_e32 v70, v80, v65
	s_delay_alu instid0(VALU_DEP_2) | instskip(NEXT) | instid1(VALU_DEP_2)
	v_add_f32_e32 v68, v80, v68
	v_sub_f32_e32 v80, v80, v70
	v_sub_f32_e32 v66, v66, v70
	s_delay_alu instid0(VALU_DEP_3) | instskip(NEXT) | instid1(VALU_DEP_1)
	v_add_f32_e32 v146, v145, v68
	v_dual_sub_f32 v65, v65, v80 :: v_dual_sub_f32 v70, v146, v145
	s_delay_alu instid0(VALU_DEP_1) | instskip(NEXT) | instid1(VALU_DEP_1)
	v_dual_add_f32 v65, v66, v65 :: v_dual_sub_f32 v66, v68, v70
	v_add_f32_e32 v65, v65, v66
	s_delay_alu instid0(VALU_DEP_1) | instskip(NEXT) | instid1(VALU_DEP_1)
	v_add_f32_e32 v65, v146, v65
	v_cndmask_b32_e32 v65, v65, v67, vcc_lo
	s_delay_alu instid0(VALU_DEP_1)
	v_add_f32_e32 v65, v64, v65
.LBB521_200:
	s_or_b32 exec_lo, exec_lo, s3
	s_delay_alu instid0(VALU_DEP_1) | instskip(SKIP_1) | instid1(VALU_DEP_2)
	v_bfe_u32 v64, v65, 16, 1
	v_cmp_o_f32_e32 vcc_lo, v65, v65
	v_add3_u32 v64, v65, v64, 0x7fff
	s_delay_alu instid0(VALU_DEP_1) | instskip(NEXT) | instid1(VALU_DEP_1)
	v_lshrrev_b32_e32 v64, 16, v64
	v_cndmask_b32_e32 v64, 0x7fc0, v64, vcc_lo
	s_delay_alu instid0(VALU_DEP_1) | instskip(NEXT) | instid1(VALU_DEP_1)
	v_lshlrev_b32_e32 v66, 16, v64
	v_max_f32_e32 v65, v66, v66
	s_delay_alu instid0(VALU_DEP_1) | instskip(SKIP_2) | instid1(VALU_DEP_3)
	v_min_f32_e32 v67, v65, v82
	v_max_f32_e32 v65, v65, v82
	v_cmp_u_f32_e32 vcc_lo, v66, v66
	v_cndmask_b32_e32 v67, v67, v66, vcc_lo
	s_delay_alu instid0(VALU_DEP_3) | instskip(NEXT) | instid1(VALU_DEP_2)
	v_cndmask_b32_e32 v65, v65, v66, vcc_lo
	v_cndmask_b32_e64 v67, v67, v69, s7
	s_delay_alu instid0(VALU_DEP_2) | instskip(NEXT) | instid1(VALU_DEP_2)
	v_cndmask_b32_e64 v65, v65, v69, s7
	v_cmp_class_f32_e64 s3, v67, 0x1f8
	s_delay_alu instid0(VALU_DEP_2) | instskip(NEXT) | instid1(VALU_DEP_2)
	v_cmp_neq_f32_e32 vcc_lo, v67, v65
	s_or_b32 s4, vcc_lo, s3
	s_delay_alu instid0(SALU_CYCLE_1)
	s_and_saveexec_b32 s3, s4
	s_cbranch_execz .LBB521_202
; %bb.201:
	v_sub_f32_e32 v66, v67, v65
	s_mov_b32 s4, 0x3e9b6dac
	s_delay_alu instid0(VALU_DEP_1) | instskip(SKIP_1) | instid1(VALU_DEP_2)
	v_mul_f32_e32 v67, 0x3fb8aa3b, v66
	v_cmp_ngt_f32_e32 vcc_lo, 0xc2ce8ed0, v66
	v_fma_f32 v68, 0x3fb8aa3b, v66, -v67
	v_rndne_f32_e32 v69, v67
	s_delay_alu instid0(VALU_DEP_1) | instskip(NEXT) | instid1(VALU_DEP_1)
	v_dual_fmamk_f32 v68, v66, 0x32a5705f, v68 :: v_dual_sub_f32 v67, v67, v69
	v_add_f32_e32 v67, v67, v68
	v_cvt_i32_f32_e32 v68, v69
	s_delay_alu instid0(VALU_DEP_2) | instskip(SKIP_2) | instid1(VALU_DEP_1)
	v_exp_f32_e32 v67, v67
	s_waitcnt_depctr 0xfff
	v_ldexp_f32 v67, v67, v68
	v_cndmask_b32_e32 v67, 0, v67, vcc_lo
	v_cmp_nlt_f32_e32 vcc_lo, 0x42b17218, v66
	s_delay_alu instid0(VALU_DEP_2) | instskip(NEXT) | instid1(VALU_DEP_1)
	v_cndmask_b32_e32 v68, 0x7f800000, v67, vcc_lo
	v_add_f32_e32 v69, 1.0, v68
	s_delay_alu instid0(VALU_DEP_1) | instskip(NEXT) | instid1(VALU_DEP_1)
	v_cvt_f64_f32_e32 v[66:67], v69
	v_frexp_exp_i32_f64_e32 v66, v[66:67]
	v_frexp_mant_f32_e32 v67, v69
	s_delay_alu instid0(VALU_DEP_1) | instskip(SKIP_1) | instid1(VALU_DEP_1)
	v_cmp_gt_f32_e32 vcc_lo, 0x3f2aaaab, v67
	v_add_f32_e32 v67, -1.0, v69
	v_dual_sub_f32 v80, v67, v69 :: v_dual_sub_f32 v67, v68, v67
	s_delay_alu instid0(VALU_DEP_1) | instskip(SKIP_2) | instid1(VALU_DEP_2)
	v_add_f32_e32 v80, 1.0, v80
	v_subrev_co_ci_u32_e32 v66, vcc_lo, 0, v66, vcc_lo
	v_cmp_eq_f32_e32 vcc_lo, 0x7f800000, v68
	v_sub_nc_u32_e32 v70, 0, v66
	v_cvt_f32_i32_e32 v66, v66
	s_delay_alu instid0(VALU_DEP_2) | instskip(NEXT) | instid1(VALU_DEP_1)
	v_ldexp_f32 v69, v69, v70
	v_dual_add_f32 v67, v67, v80 :: v_dual_add_f32 v82, 1.0, v69
	s_delay_alu instid0(VALU_DEP_1) | instskip(SKIP_1) | instid1(VALU_DEP_3)
	v_ldexp_f32 v67, v67, v70
	v_add_f32_e32 v70, -1.0, v69
	v_add_f32_e32 v80, -1.0, v82
	s_delay_alu instid0(VALU_DEP_1) | instskip(NEXT) | instid1(VALU_DEP_1)
	v_dual_add_f32 v145, 1.0, v70 :: v_dual_sub_f32 v80, v69, v80
	v_dual_sub_f32 v69, v69, v145 :: v_dual_add_f32 v80, v67, v80
	s_delay_alu instid0(VALU_DEP_1) | instskip(NEXT) | instid1(VALU_DEP_1)
	v_add_f32_e32 v145, v82, v80
	v_sub_f32_e32 v82, v82, v145
	s_delay_alu instid0(VALU_DEP_1) | instskip(SKIP_1) | instid1(VALU_DEP_1)
	v_dual_add_f32 v80, v80, v82 :: v_dual_add_f32 v67, v67, v69
	v_rcp_f32_e32 v69, v145
	v_add_f32_e32 v146, v70, v67
	s_waitcnt_depctr 0xfff
	v_mul_f32_e32 v147, v146, v69
	s_delay_alu instid0(VALU_DEP_1) | instskip(NEXT) | instid1(VALU_DEP_1)
	v_mul_f32_e32 v148, v145, v147
	v_fma_f32 v82, v147, v145, -v148
	s_delay_alu instid0(VALU_DEP_1) | instskip(NEXT) | instid1(VALU_DEP_1)
	v_fmac_f32_e32 v82, v147, v80
	v_add_f32_e32 v149, v148, v82
	v_sub_f32_e32 v70, v70, v146
	s_delay_alu instid0(VALU_DEP_1) | instskip(SKIP_1) | instid1(VALU_DEP_2)
	v_dual_add_f32 v67, v67, v70 :: v_dual_sub_f32 v150, v146, v149
	v_sub_f32_e32 v70, v149, v148
	v_sub_f32_e32 v146, v146, v150
	s_delay_alu instid0(VALU_DEP_2) | instskip(NEXT) | instid1(VALU_DEP_2)
	v_sub_f32_e32 v70, v70, v82
	v_sub_f32_e32 v146, v146, v149
	s_delay_alu instid0(VALU_DEP_1) | instskip(NEXT) | instid1(VALU_DEP_1)
	v_add_f32_e32 v67, v67, v146
	v_add_f32_e32 v67, v70, v67
	s_delay_alu instid0(VALU_DEP_1) | instskip(NEXT) | instid1(VALU_DEP_1)
	v_add_f32_e32 v70, v150, v67
	v_mul_f32_e32 v82, v69, v70
	v_sub_f32_e32 v149, v150, v70
	s_delay_alu instid0(VALU_DEP_1) | instskip(NEXT) | instid1(VALU_DEP_1)
	v_dual_mul_f32 v146, v145, v82 :: v_dual_add_f32 v67, v67, v149
	v_fma_f32 v145, v82, v145, -v146
	s_delay_alu instid0(VALU_DEP_1) | instskip(NEXT) | instid1(VALU_DEP_1)
	v_fmac_f32_e32 v145, v82, v80
	v_add_f32_e32 v80, v146, v145
	s_delay_alu instid0(VALU_DEP_1) | instskip(NEXT) | instid1(VALU_DEP_1)
	v_sub_f32_e32 v148, v70, v80
	v_sub_f32_e32 v70, v70, v148
	s_delay_alu instid0(VALU_DEP_1) | instskip(NEXT) | instid1(VALU_DEP_1)
	v_sub_f32_e32 v70, v70, v80
	v_add_f32_e32 v67, v67, v70
	v_add_f32_e32 v70, v147, v82
	v_sub_f32_e32 v146, v80, v146
	s_delay_alu instid0(VALU_DEP_1) | instskip(NEXT) | instid1(VALU_DEP_1)
	v_sub_f32_e32 v80, v146, v145
	v_add_f32_e32 v67, v80, v67
	s_delay_alu instid0(VALU_DEP_4) | instskip(NEXT) | instid1(VALU_DEP_1)
	v_sub_f32_e32 v80, v70, v147
	v_dual_add_f32 v67, v148, v67 :: v_dual_sub_f32 v80, v82, v80
	s_delay_alu instid0(VALU_DEP_1) | instskip(NEXT) | instid1(VALU_DEP_1)
	v_mul_f32_e32 v67, v69, v67
	v_add_f32_e32 v67, v80, v67
	s_delay_alu instid0(VALU_DEP_1) | instskip(NEXT) | instid1(VALU_DEP_1)
	v_add_f32_e32 v69, v70, v67
	v_mul_f32_e32 v80, v69, v69
	s_delay_alu instid0(VALU_DEP_1) | instskip(SKIP_2) | instid1(VALU_DEP_3)
	v_fmaak_f32 v82, s4, v80, 0x3ecc95a3
	v_mul_f32_e32 v145, v69, v80
	v_cmp_gt_f32_e64 s4, 0x33800000, |v68|
	v_fmaak_f32 v80, v80, v82, 0x3f2aaada
	v_ldexp_f32 v82, v69, 1
	v_sub_f32_e32 v69, v69, v70
	s_delay_alu instid0(VALU_DEP_4) | instskip(NEXT) | instid1(VALU_DEP_3)
	s_or_b32 vcc_lo, vcc_lo, s4
	v_dual_mul_f32 v80, v145, v80 :: v_dual_mul_f32 v145, 0x3f317218, v66
	s_delay_alu instid0(VALU_DEP_1) | instskip(NEXT) | instid1(VALU_DEP_1)
	v_dual_sub_f32 v67, v67, v69 :: v_dual_add_f32 v70, v82, v80
	v_ldexp_f32 v67, v67, 1
	s_delay_alu instid0(VALU_DEP_2) | instskip(NEXT) | instid1(VALU_DEP_4)
	v_sub_f32_e32 v69, v70, v82
	v_fma_f32 v82, 0x3f317218, v66, -v145
	s_delay_alu instid0(VALU_DEP_2) | instskip(NEXT) | instid1(VALU_DEP_1)
	v_sub_f32_e32 v69, v80, v69
	v_add_f32_e32 v67, v67, v69
	s_delay_alu instid0(VALU_DEP_1) | instskip(NEXT) | instid1(VALU_DEP_1)
	v_add_f32_e32 v80, v70, v67
	v_sub_f32_e32 v70, v80, v70
	s_delay_alu instid0(VALU_DEP_1) | instskip(NEXT) | instid1(VALU_DEP_1)
	v_dual_sub_f32 v67, v67, v70 :: v_dual_fmamk_f32 v66, v66, 0xb102e308, v82
	v_add_f32_e32 v69, v145, v66
	s_delay_alu instid0(VALU_DEP_1) | instskip(SKIP_1) | instid1(VALU_DEP_2)
	v_add_f32_e32 v82, v69, v80
	v_sub_f32_e32 v145, v69, v145
	v_sub_f32_e32 v146, v82, v69
	s_delay_alu instid0(VALU_DEP_2) | instskip(NEXT) | instid1(VALU_DEP_2)
	v_sub_f32_e32 v66, v66, v145
	v_sub_f32_e32 v147, v82, v146
	;; [unrolled: 1-line block ×3, first 2 shown]
	s_delay_alu instid0(VALU_DEP_3) | instskip(NEXT) | instid1(VALU_DEP_3)
	v_add_f32_e32 v80, v66, v67
	v_sub_f32_e32 v69, v69, v147
	s_delay_alu instid0(VALU_DEP_1) | instskip(NEXT) | instid1(VALU_DEP_1)
	v_dual_add_f32 v69, v70, v69 :: v_dual_sub_f32 v70, v80, v66
	v_add_f32_e32 v69, v80, v69
	s_delay_alu instid0(VALU_DEP_2) | instskip(SKIP_1) | instid1(VALU_DEP_3)
	v_sub_f32_e32 v80, v80, v70
	v_sub_f32_e32 v67, v67, v70
	v_add_f32_e32 v145, v82, v69
	s_delay_alu instid0(VALU_DEP_3) | instskip(NEXT) | instid1(VALU_DEP_2)
	v_sub_f32_e32 v66, v66, v80
	v_sub_f32_e32 v70, v145, v82
	s_delay_alu instid0(VALU_DEP_2) | instskip(NEXT) | instid1(VALU_DEP_2)
	v_add_f32_e32 v66, v67, v66
	v_sub_f32_e32 v67, v69, v70
	s_delay_alu instid0(VALU_DEP_1) | instskip(NEXT) | instid1(VALU_DEP_1)
	v_add_f32_e32 v66, v66, v67
	v_add_f32_e32 v66, v145, v66
	s_delay_alu instid0(VALU_DEP_1) | instskip(NEXT) | instid1(VALU_DEP_1)
	v_cndmask_b32_e32 v66, v66, v68, vcc_lo
	v_add_f32_e32 v66, v65, v66
.LBB521_202:
	s_or_b32 exec_lo, exec_lo, s3
	s_delay_alu instid0(VALU_DEP_1) | instskip(SKIP_1) | instid1(VALU_DEP_2)
	v_bfe_u32 v65, v66, 16, 1
	v_cmp_o_f32_e32 vcc_lo, v66, v66
	v_add3_u32 v65, v66, v65, 0x7fff
	s_delay_alu instid0(VALU_DEP_1) | instskip(NEXT) | instid1(VALU_DEP_1)
	v_lshrrev_b32_e32 v65, 16, v65
	v_cndmask_b32_e32 v65, 0x7fc0, v65, vcc_lo
	s_delay_alu instid0(VALU_DEP_1) | instskip(NEXT) | instid1(VALU_DEP_1)
	v_lshlrev_b32_e32 v67, 16, v65
	v_max_f32_e32 v66, v67, v67
	s_delay_alu instid0(VALU_DEP_1) | instskip(SKIP_2) | instid1(VALU_DEP_3)
	v_min_f32_e32 v68, v66, v84
	v_max_f32_e32 v66, v66, v84
	v_cmp_u_f32_e32 vcc_lo, v67, v67
	v_cndmask_b32_e32 v68, v68, v67, vcc_lo
	s_delay_alu instid0(VALU_DEP_3) | instskip(NEXT) | instid1(VALU_DEP_2)
	v_cndmask_b32_e32 v66, v66, v67, vcc_lo
	v_cndmask_b32_e64 v68, v68, v71, s8
	s_delay_alu instid0(VALU_DEP_2) | instskip(NEXT) | instid1(VALU_DEP_2)
	v_cndmask_b32_e64 v66, v66, v71, s8
	v_cmp_class_f32_e64 s3, v68, 0x1f8
	s_delay_alu instid0(VALU_DEP_2) | instskip(NEXT) | instid1(VALU_DEP_2)
	v_cmp_neq_f32_e32 vcc_lo, v68, v66
	s_or_b32 s4, vcc_lo, s3
	s_delay_alu instid0(SALU_CYCLE_1)
	s_and_saveexec_b32 s3, s4
	s_cbranch_execz .LBB521_204
; %bb.203:
	v_sub_f32_e32 v67, v68, v66
	s_mov_b32 s4, 0x3e9b6dac
	s_delay_alu instid0(VALU_DEP_1) | instskip(SKIP_1) | instid1(VALU_DEP_2)
	v_mul_f32_e32 v68, 0x3fb8aa3b, v67
	v_cmp_ngt_f32_e32 vcc_lo, 0xc2ce8ed0, v67
	v_fma_f32 v69, 0x3fb8aa3b, v67, -v68
	v_rndne_f32_e32 v70, v68
	s_delay_alu instid0(VALU_DEP_1) | instskip(NEXT) | instid1(VALU_DEP_1)
	v_dual_fmamk_f32 v69, v67, 0x32a5705f, v69 :: v_dual_sub_f32 v68, v68, v70
	v_add_f32_e32 v68, v68, v69
	v_cvt_i32_f32_e32 v69, v70
	s_delay_alu instid0(VALU_DEP_2) | instskip(SKIP_2) | instid1(VALU_DEP_1)
	v_exp_f32_e32 v68, v68
	s_waitcnt_depctr 0xfff
	v_ldexp_f32 v68, v68, v69
	v_cndmask_b32_e32 v68, 0, v68, vcc_lo
	v_cmp_nlt_f32_e32 vcc_lo, 0x42b17218, v67
	s_delay_alu instid0(VALU_DEP_2) | instskip(NEXT) | instid1(VALU_DEP_1)
	v_cndmask_b32_e32 v69, 0x7f800000, v68, vcc_lo
	v_add_f32_e32 v70, 1.0, v69
	s_delay_alu instid0(VALU_DEP_1) | instskip(NEXT) | instid1(VALU_DEP_1)
	v_cvt_f64_f32_e32 v[67:68], v70
	v_frexp_exp_i32_f64_e32 v67, v[67:68]
	v_frexp_mant_f32_e32 v68, v70
	s_delay_alu instid0(VALU_DEP_1) | instskip(SKIP_1) | instid1(VALU_DEP_1)
	v_cmp_gt_f32_e32 vcc_lo, 0x3f2aaaab, v68
	v_add_f32_e32 v68, -1.0, v70
	v_sub_f32_e32 v80, v68, v70
	v_sub_f32_e32 v68, v69, v68
	s_delay_alu instid0(VALU_DEP_2) | instskip(NEXT) | instid1(VALU_DEP_1)
	v_add_f32_e32 v80, 1.0, v80
	v_add_f32_e32 v68, v68, v80
	v_subrev_co_ci_u32_e32 v67, vcc_lo, 0, v67, vcc_lo
	v_cmp_eq_f32_e32 vcc_lo, 0x7f800000, v69
	s_delay_alu instid0(VALU_DEP_2) | instskip(SKIP_1) | instid1(VALU_DEP_2)
	v_sub_nc_u32_e32 v71, 0, v67
	v_cvt_f32_i32_e32 v67, v67
	v_ldexp_f32 v70, v70, v71
	v_ldexp_f32 v68, v68, v71
	s_delay_alu instid0(VALU_DEP_2) | instskip(SKIP_1) | instid1(VALU_DEP_2)
	v_add_f32_e32 v82, 1.0, v70
	v_add_f32_e32 v71, -1.0, v70
	v_add_f32_e32 v80, -1.0, v82
	s_delay_alu instid0(VALU_DEP_2) | instskip(NEXT) | instid1(VALU_DEP_2)
	v_add_f32_e32 v84, 1.0, v71
	v_sub_f32_e32 v80, v70, v80
	s_delay_alu instid0(VALU_DEP_2) | instskip(NEXT) | instid1(VALU_DEP_2)
	v_sub_f32_e32 v70, v70, v84
	v_add_f32_e32 v80, v68, v80
	s_delay_alu instid0(VALU_DEP_2) | instskip(NEXT) | instid1(VALU_DEP_2)
	v_add_f32_e32 v68, v68, v70
	v_add_f32_e32 v84, v82, v80
	s_delay_alu instid0(VALU_DEP_2) | instskip(NEXT) | instid1(VALU_DEP_2)
	v_add_f32_e32 v145, v71, v68
	v_rcp_f32_e32 v70, v84
	s_delay_alu instid0(VALU_DEP_1) | instskip(NEXT) | instid1(VALU_DEP_1)
	v_dual_sub_f32 v82, v82, v84 :: v_dual_sub_f32 v71, v71, v145
	v_add_f32_e32 v80, v80, v82
	s_waitcnt_depctr 0xfff
	v_mul_f32_e32 v146, v145, v70
	v_add_f32_e32 v68, v68, v71
	s_delay_alu instid0(VALU_DEP_2) | instskip(NEXT) | instid1(VALU_DEP_1)
	v_mul_f32_e32 v147, v84, v146
	v_fma_f32 v82, v146, v84, -v147
	s_delay_alu instid0(VALU_DEP_1) | instskip(NEXT) | instid1(VALU_DEP_1)
	v_fmac_f32_e32 v82, v146, v80
	v_add_f32_e32 v148, v147, v82
	s_delay_alu instid0(VALU_DEP_1) | instskip(SKIP_1) | instid1(VALU_DEP_2)
	v_sub_f32_e32 v149, v145, v148
	v_sub_f32_e32 v71, v148, v147
	;; [unrolled: 1-line block ×3, first 2 shown]
	s_delay_alu instid0(VALU_DEP_2) | instskip(NEXT) | instid1(VALU_DEP_2)
	v_sub_f32_e32 v71, v71, v82
	v_sub_f32_e32 v145, v145, v148
	s_delay_alu instid0(VALU_DEP_1) | instskip(NEXT) | instid1(VALU_DEP_1)
	v_add_f32_e32 v68, v68, v145
	v_add_f32_e32 v68, v71, v68
	s_delay_alu instid0(VALU_DEP_1) | instskip(NEXT) | instid1(VALU_DEP_1)
	v_add_f32_e32 v71, v149, v68
	v_mul_f32_e32 v82, v70, v71
	s_delay_alu instid0(VALU_DEP_1) | instskip(NEXT) | instid1(VALU_DEP_1)
	v_dual_sub_f32 v148, v149, v71 :: v_dual_mul_f32 v145, v84, v82
	v_add_f32_e32 v68, v68, v148
	s_delay_alu instid0(VALU_DEP_2) | instskip(NEXT) | instid1(VALU_DEP_1)
	v_fma_f32 v84, v82, v84, -v145
	v_fmac_f32_e32 v84, v82, v80
	s_delay_alu instid0(VALU_DEP_1) | instskip(NEXT) | instid1(VALU_DEP_1)
	v_add_f32_e32 v80, v145, v84
	v_sub_f32_e32 v147, v71, v80
	v_sub_f32_e32 v145, v80, v145
	s_delay_alu instid0(VALU_DEP_2) | instskip(NEXT) | instid1(VALU_DEP_1)
	v_sub_f32_e32 v71, v71, v147
	v_sub_f32_e32 v71, v71, v80
	s_delay_alu instid0(VALU_DEP_3) | instskip(NEXT) | instid1(VALU_DEP_2)
	v_sub_f32_e32 v80, v145, v84
	v_dual_add_f32 v68, v68, v71 :: v_dual_add_f32 v71, v146, v82
	s_delay_alu instid0(VALU_DEP_1) | instskip(NEXT) | instid1(VALU_DEP_2)
	v_add_f32_e32 v68, v80, v68
	v_sub_f32_e32 v80, v71, v146
	s_delay_alu instid0(VALU_DEP_2) | instskip(NEXT) | instid1(VALU_DEP_2)
	v_add_f32_e32 v68, v147, v68
	v_sub_f32_e32 v80, v82, v80
	s_delay_alu instid0(VALU_DEP_2) | instskip(NEXT) | instid1(VALU_DEP_1)
	v_mul_f32_e32 v68, v70, v68
	v_add_f32_e32 v68, v80, v68
	s_delay_alu instid0(VALU_DEP_1) | instskip(NEXT) | instid1(VALU_DEP_1)
	v_add_f32_e32 v70, v71, v68
	v_mul_f32_e32 v80, v70, v70
	s_delay_alu instid0(VALU_DEP_1) | instskip(SKIP_2) | instid1(VALU_DEP_3)
	v_fmaak_f32 v82, s4, v80, 0x3ecc95a3
	v_mul_f32_e32 v84, v70, v80
	v_cmp_gt_f32_e64 s4, 0x33800000, |v69|
	v_fmaak_f32 v80, v80, v82, 0x3f2aaada
	v_ldexp_f32 v82, v70, 1
	v_sub_f32_e32 v70, v70, v71
	s_delay_alu instid0(VALU_DEP_4) | instskip(NEXT) | instid1(VALU_DEP_3)
	s_or_b32 vcc_lo, vcc_lo, s4
	v_mul_f32_e32 v80, v84, v80
	v_mul_f32_e32 v84, 0x3f317218, v67
	s_delay_alu instid0(VALU_DEP_2) | instskip(NEXT) | instid1(VALU_DEP_1)
	v_dual_sub_f32 v68, v68, v70 :: v_dual_add_f32 v71, v82, v80
	v_ldexp_f32 v68, v68, 1
	s_delay_alu instid0(VALU_DEP_2) | instskip(NEXT) | instid1(VALU_DEP_4)
	v_sub_f32_e32 v70, v71, v82
	v_fma_f32 v82, 0x3f317218, v67, -v84
	s_delay_alu instid0(VALU_DEP_1) | instskip(NEXT) | instid1(VALU_DEP_1)
	v_dual_sub_f32 v70, v80, v70 :: v_dual_fmamk_f32 v67, v67, 0xb102e308, v82
	v_add_f32_e32 v68, v68, v70
	s_delay_alu instid0(VALU_DEP_2) | instskip(NEXT) | instid1(VALU_DEP_2)
	v_add_f32_e32 v70, v84, v67
	v_add_f32_e32 v80, v71, v68
	s_delay_alu instid0(VALU_DEP_2) | instskip(NEXT) | instid1(VALU_DEP_2)
	v_sub_f32_e32 v84, v70, v84
	v_dual_add_f32 v82, v70, v80 :: v_dual_sub_f32 v71, v80, v71
	s_delay_alu instid0(VALU_DEP_2) | instskip(NEXT) | instid1(VALU_DEP_2)
	v_sub_f32_e32 v67, v67, v84
	v_dual_sub_f32 v145, v82, v70 :: v_dual_sub_f32 v68, v68, v71
	s_delay_alu instid0(VALU_DEP_1) | instskip(NEXT) | instid1(VALU_DEP_2)
	v_sub_f32_e32 v146, v82, v145
	v_dual_sub_f32 v71, v80, v145 :: v_dual_add_f32 v80, v67, v68
	s_delay_alu instid0(VALU_DEP_2) | instskip(NEXT) | instid1(VALU_DEP_1)
	v_sub_f32_e32 v70, v70, v146
	v_dual_add_f32 v70, v71, v70 :: v_dual_sub_f32 v71, v80, v67
	s_delay_alu instid0(VALU_DEP_1) | instskip(NEXT) | instid1(VALU_DEP_2)
	v_add_f32_e32 v70, v80, v70
	v_sub_f32_e32 v80, v80, v71
	v_sub_f32_e32 v68, v68, v71
	s_delay_alu instid0(VALU_DEP_2) | instskip(NEXT) | instid1(VALU_DEP_1)
	v_dual_add_f32 v84, v82, v70 :: v_dual_sub_f32 v67, v67, v80
	v_sub_f32_e32 v71, v84, v82
	s_delay_alu instid0(VALU_DEP_2) | instskip(NEXT) | instid1(VALU_DEP_2)
	v_add_f32_e32 v67, v68, v67
	v_sub_f32_e32 v68, v70, v71
	s_delay_alu instid0(VALU_DEP_1) | instskip(NEXT) | instid1(VALU_DEP_1)
	v_add_f32_e32 v67, v67, v68
	v_add_f32_e32 v67, v84, v67
	s_delay_alu instid0(VALU_DEP_1) | instskip(NEXT) | instid1(VALU_DEP_1)
	v_cndmask_b32_e32 v67, v67, v69, vcc_lo
	v_add_f32_e32 v67, v66, v67
.LBB521_204:
	s_or_b32 exec_lo, exec_lo, s3
	s_delay_alu instid0(VALU_DEP_1) | instskip(SKIP_1) | instid1(VALU_DEP_2)
	v_bfe_u32 v66, v67, 16, 1
	v_cmp_o_f32_e32 vcc_lo, v67, v67
	v_add3_u32 v66, v67, v66, 0x7fff
	s_delay_alu instid0(VALU_DEP_1) | instskip(NEXT) | instid1(VALU_DEP_1)
	v_lshrrev_b32_e32 v66, 16, v66
	v_cndmask_b32_e32 v145, 0x7fc0, v66, vcc_lo
	s_delay_alu instid0(VALU_DEP_1) | instskip(NEXT) | instid1(VALU_DEP_1)
	v_lshlrev_b32_e32 v67, 16, v145
	v_max_f32_e32 v66, v67, v67
	s_delay_alu instid0(VALU_DEP_1) | instskip(SKIP_2) | instid1(VALU_DEP_3)
	v_min_f32_e32 v68, v66, v86
	v_max_f32_e32 v66, v66, v86
	v_cmp_u_f32_e32 vcc_lo, v67, v67
	v_cndmask_b32_e32 v68, v68, v67, vcc_lo
	s_delay_alu instid0(VALU_DEP_3) | instskip(NEXT) | instid1(VALU_DEP_2)
	v_cndmask_b32_e32 v66, v66, v67, vcc_lo
	v_cndmask_b32_e64 v68, v68, v81, s9
	s_delay_alu instid0(VALU_DEP_2) | instskip(NEXT) | instid1(VALU_DEP_2)
	v_cndmask_b32_e64 v66, v66, v81, s9
	v_cmp_class_f32_e64 s3, v68, 0x1f8
	s_delay_alu instid0(VALU_DEP_2) | instskip(NEXT) | instid1(VALU_DEP_2)
	v_cmp_neq_f32_e32 vcc_lo, v68, v66
	s_or_b32 s4, vcc_lo, s3
	s_delay_alu instid0(SALU_CYCLE_1)
	s_and_saveexec_b32 s3, s4
	s_cbranch_execz .LBB521_206
; %bb.205:
	v_sub_f32_e32 v67, v68, v66
	s_mov_b32 s4, 0x3e9b6dac
	s_delay_alu instid0(VALU_DEP_1) | instskip(SKIP_1) | instid1(VALU_DEP_2)
	v_mul_f32_e32 v68, 0x3fb8aa3b, v67
	v_cmp_ngt_f32_e32 vcc_lo, 0xc2ce8ed0, v67
	v_fma_f32 v69, 0x3fb8aa3b, v67, -v68
	v_rndne_f32_e32 v70, v68
	s_delay_alu instid0(VALU_DEP_1) | instskip(NEXT) | instid1(VALU_DEP_1)
	v_dual_fmamk_f32 v69, v67, 0x32a5705f, v69 :: v_dual_sub_f32 v68, v68, v70
	v_add_f32_e32 v68, v68, v69
	v_cvt_i32_f32_e32 v69, v70
	s_delay_alu instid0(VALU_DEP_2) | instskip(SKIP_2) | instid1(VALU_DEP_1)
	v_exp_f32_e32 v68, v68
	s_waitcnt_depctr 0xfff
	v_ldexp_f32 v68, v68, v69
	v_cndmask_b32_e32 v68, 0, v68, vcc_lo
	v_cmp_nlt_f32_e32 vcc_lo, 0x42b17218, v67
	s_delay_alu instid0(VALU_DEP_2) | instskip(NEXT) | instid1(VALU_DEP_1)
	v_cndmask_b32_e32 v69, 0x7f800000, v68, vcc_lo
	v_add_f32_e32 v70, 1.0, v69
	s_delay_alu instid0(VALU_DEP_1) | instskip(NEXT) | instid1(VALU_DEP_1)
	v_cvt_f64_f32_e32 v[67:68], v70
	v_frexp_exp_i32_f64_e32 v67, v[67:68]
	v_frexp_mant_f32_e32 v68, v70
	s_delay_alu instid0(VALU_DEP_1) | instskip(SKIP_1) | instid1(VALU_DEP_1)
	v_cmp_gt_f32_e32 vcc_lo, 0x3f2aaaab, v68
	v_add_f32_e32 v68, -1.0, v70
	v_sub_f32_e32 v80, v68, v70
	v_sub_f32_e32 v68, v69, v68
	s_delay_alu instid0(VALU_DEP_2) | instskip(NEXT) | instid1(VALU_DEP_1)
	v_add_f32_e32 v80, 1.0, v80
	v_add_f32_e32 v68, v68, v80
	v_subrev_co_ci_u32_e32 v67, vcc_lo, 0, v67, vcc_lo
	v_cmp_eq_f32_e32 vcc_lo, 0x7f800000, v69
	s_delay_alu instid0(VALU_DEP_2) | instskip(SKIP_1) | instid1(VALU_DEP_2)
	v_sub_nc_u32_e32 v71, 0, v67
	v_cvt_f32_i32_e32 v67, v67
	v_ldexp_f32 v70, v70, v71
	v_ldexp_f32 v68, v68, v71
	s_delay_alu instid0(VALU_DEP_2) | instskip(NEXT) | instid1(VALU_DEP_1)
	v_add_f32_e32 v81, 1.0, v70
	v_dual_add_f32 v71, -1.0, v70 :: v_dual_add_f32 v80, -1.0, v81
	s_delay_alu instid0(VALU_DEP_1) | instskip(NEXT) | instid1(VALU_DEP_2)
	v_add_f32_e32 v82, 1.0, v71
	v_sub_f32_e32 v80, v70, v80
	s_delay_alu instid0(VALU_DEP_2) | instskip(NEXT) | instid1(VALU_DEP_2)
	v_sub_f32_e32 v70, v70, v82
	v_add_f32_e32 v80, v68, v80
	s_delay_alu instid0(VALU_DEP_2) | instskip(NEXT) | instid1(VALU_DEP_2)
	v_add_f32_e32 v68, v68, v70
	v_add_f32_e32 v82, v81, v80
	s_delay_alu instid0(VALU_DEP_2) | instskip(NEXT) | instid1(VALU_DEP_2)
	v_add_f32_e32 v84, v71, v68
	v_rcp_f32_e32 v70, v82
	v_sub_f32_e32 v81, v81, v82
	s_delay_alu instid0(VALU_DEP_1) | instskip(NEXT) | instid1(VALU_DEP_1)
	v_dual_sub_f32 v71, v71, v84 :: v_dual_add_f32 v80, v80, v81
	v_add_f32_e32 v68, v68, v71
	s_waitcnt_depctr 0xfff
	v_mul_f32_e32 v86, v84, v70
	s_delay_alu instid0(VALU_DEP_1) | instskip(NEXT) | instid1(VALU_DEP_1)
	v_mul_f32_e32 v146, v82, v86
	v_fma_f32 v81, v86, v82, -v146
	s_delay_alu instid0(VALU_DEP_1) | instskip(NEXT) | instid1(VALU_DEP_1)
	v_fmac_f32_e32 v81, v86, v80
	v_add_f32_e32 v147, v146, v81
	s_delay_alu instid0(VALU_DEP_1) | instskip(NEXT) | instid1(VALU_DEP_1)
	v_dual_sub_f32 v148, v84, v147 :: v_dual_sub_f32 v71, v147, v146
	v_dual_sub_f32 v84, v84, v148 :: v_dual_sub_f32 v71, v71, v81
	s_delay_alu instid0(VALU_DEP_1) | instskip(NEXT) | instid1(VALU_DEP_1)
	v_sub_f32_e32 v84, v84, v147
	v_add_f32_e32 v68, v68, v84
	s_delay_alu instid0(VALU_DEP_1) | instskip(NEXT) | instid1(VALU_DEP_1)
	v_add_f32_e32 v68, v71, v68
	v_add_f32_e32 v71, v148, v68
	s_delay_alu instid0(VALU_DEP_1) | instskip(NEXT) | instid1(VALU_DEP_1)
	v_mul_f32_e32 v81, v70, v71
	v_dual_sub_f32 v147, v148, v71 :: v_dual_mul_f32 v84, v82, v81
	s_delay_alu instid0(VALU_DEP_1) | instskip(NEXT) | instid1(VALU_DEP_2)
	v_add_f32_e32 v68, v68, v147
	v_fma_f32 v82, v81, v82, -v84
	s_delay_alu instid0(VALU_DEP_1) | instskip(NEXT) | instid1(VALU_DEP_1)
	v_fmac_f32_e32 v82, v81, v80
	v_add_f32_e32 v80, v84, v82
	s_delay_alu instid0(VALU_DEP_1) | instskip(NEXT) | instid1(VALU_DEP_1)
	v_sub_f32_e32 v146, v71, v80
	v_dual_sub_f32 v84, v80, v84 :: v_dual_sub_f32 v71, v71, v146
	s_delay_alu instid0(VALU_DEP_1) | instskip(NEXT) | instid1(VALU_DEP_1)
	v_dual_sub_f32 v71, v71, v80 :: v_dual_sub_f32 v80, v84, v82
	v_dual_add_f32 v68, v68, v71 :: v_dual_add_f32 v71, v86, v81
	s_delay_alu instid0(VALU_DEP_1) | instskip(NEXT) | instid1(VALU_DEP_2)
	v_add_f32_e32 v68, v80, v68
	v_sub_f32_e32 v80, v71, v86
	s_delay_alu instid0(VALU_DEP_2) | instskip(NEXT) | instid1(VALU_DEP_2)
	v_add_f32_e32 v68, v146, v68
	v_sub_f32_e32 v80, v81, v80
	s_delay_alu instid0(VALU_DEP_2) | instskip(NEXT) | instid1(VALU_DEP_1)
	v_mul_f32_e32 v68, v70, v68
	v_add_f32_e32 v68, v80, v68
	s_delay_alu instid0(VALU_DEP_1) | instskip(NEXT) | instid1(VALU_DEP_1)
	v_add_f32_e32 v70, v71, v68
	v_mul_f32_e32 v80, v70, v70
	s_delay_alu instid0(VALU_DEP_1) | instskip(SKIP_2) | instid1(VALU_DEP_3)
	v_fmaak_f32 v81, s4, v80, 0x3ecc95a3
	v_mul_f32_e32 v82, v70, v80
	v_cmp_gt_f32_e64 s4, 0x33800000, |v69|
	v_fmaak_f32 v80, v80, v81, 0x3f2aaada
	v_ldexp_f32 v81, v70, 1
	v_sub_f32_e32 v70, v70, v71
	s_delay_alu instid0(VALU_DEP_4) | instskip(NEXT) | instid1(VALU_DEP_3)
	s_or_b32 vcc_lo, vcc_lo, s4
	v_mul_f32_e32 v80, v82, v80
	v_mul_f32_e32 v82, 0x3f317218, v67
	s_delay_alu instid0(VALU_DEP_2) | instskip(NEXT) | instid1(VALU_DEP_1)
	v_dual_sub_f32 v68, v68, v70 :: v_dual_add_f32 v71, v81, v80
	v_ldexp_f32 v68, v68, 1
	s_delay_alu instid0(VALU_DEP_2) | instskip(NEXT) | instid1(VALU_DEP_4)
	v_sub_f32_e32 v70, v71, v81
	v_fma_f32 v81, 0x3f317218, v67, -v82
	s_delay_alu instid0(VALU_DEP_1) | instskip(NEXT) | instid1(VALU_DEP_1)
	v_dual_sub_f32 v70, v80, v70 :: v_dual_fmamk_f32 v67, v67, 0xb102e308, v81
	v_add_f32_e32 v68, v68, v70
	s_delay_alu instid0(VALU_DEP_2) | instskip(NEXT) | instid1(VALU_DEP_2)
	v_add_f32_e32 v70, v82, v67
	v_add_f32_e32 v80, v71, v68
	s_delay_alu instid0(VALU_DEP_2) | instskip(NEXT) | instid1(VALU_DEP_2)
	v_sub_f32_e32 v82, v70, v82
	v_add_f32_e32 v81, v70, v80
	v_sub_f32_e32 v71, v80, v71
	s_delay_alu instid0(VALU_DEP_3) | instskip(NEXT) | instid1(VALU_DEP_3)
	v_sub_f32_e32 v67, v67, v82
	v_sub_f32_e32 v84, v81, v70
	s_delay_alu instid0(VALU_DEP_3) | instskip(NEXT) | instid1(VALU_DEP_2)
	v_sub_f32_e32 v68, v68, v71
	v_sub_f32_e32 v71, v80, v84
	;; [unrolled: 1-line block ×3, first 2 shown]
	s_delay_alu instid0(VALU_DEP_3) | instskip(NEXT) | instid1(VALU_DEP_2)
	v_add_f32_e32 v80, v67, v68
	v_sub_f32_e32 v70, v70, v86
	s_delay_alu instid0(VALU_DEP_1) | instskip(NEXT) | instid1(VALU_DEP_1)
	v_dual_add_f32 v70, v71, v70 :: v_dual_sub_f32 v71, v80, v67
	v_add_f32_e32 v70, v80, v70
	s_delay_alu instid0(VALU_DEP_2) | instskip(SKIP_1) | instid1(VALU_DEP_2)
	v_sub_f32_e32 v80, v80, v71
	v_sub_f32_e32 v68, v68, v71
	v_dual_add_f32 v82, v81, v70 :: v_dual_sub_f32 v67, v67, v80
	s_delay_alu instid0(VALU_DEP_1) | instskip(NEXT) | instid1(VALU_DEP_2)
	v_sub_f32_e32 v71, v82, v81
	v_add_f32_e32 v67, v68, v67
	s_delay_alu instid0(VALU_DEP_2) | instskip(NEXT) | instid1(VALU_DEP_1)
	v_sub_f32_e32 v68, v70, v71
	v_add_f32_e32 v67, v67, v68
	s_delay_alu instid0(VALU_DEP_1) | instskip(NEXT) | instid1(VALU_DEP_1)
	v_add_f32_e32 v67, v82, v67
	v_cndmask_b32_e32 v67, v67, v69, vcc_lo
	s_delay_alu instid0(VALU_DEP_1)
	v_add_f32_e32 v67, v66, v67
.LBB521_206:
	s_or_b32 exec_lo, exec_lo, s3
	s_delay_alu instid0(VALU_DEP_1) | instskip(SKIP_1) | instid1(VALU_DEP_2)
	v_bfe_u32 v66, v67, 16, 1
	v_cmp_o_f32_e32 vcc_lo, v67, v67
	v_add3_u32 v66, v67, v66, 0x7fff
	s_delay_alu instid0(VALU_DEP_1) | instskip(NEXT) | instid1(VALU_DEP_1)
	v_lshrrev_b32_e32 v66, 16, v66
	v_cndmask_b32_e32 v146, 0x7fc0, v66, vcc_lo
	s_delay_alu instid0(VALU_DEP_1) | instskip(NEXT) | instid1(VALU_DEP_1)
	v_lshlrev_b32_e32 v67, 16, v146
	v_max_f32_e32 v66, v67, v67
	s_delay_alu instid0(VALU_DEP_1) | instskip(SKIP_2) | instid1(VALU_DEP_3)
	v_min_f32_e32 v68, v66, v96
	v_max_f32_e32 v66, v66, v96
	v_cmp_u_f32_e32 vcc_lo, v67, v67
	v_cndmask_b32_e32 v68, v68, v67, vcc_lo
	s_delay_alu instid0(VALU_DEP_3) | instskip(NEXT) | instid1(VALU_DEP_2)
	v_cndmask_b32_e32 v66, v66, v67, vcc_lo
	v_cndmask_b32_e64 v68, v68, v83, s10
	s_delay_alu instid0(VALU_DEP_2) | instskip(NEXT) | instid1(VALU_DEP_2)
	v_cndmask_b32_e64 v66, v66, v83, s10
	v_cmp_class_f32_e64 s3, v68, 0x1f8
	s_delay_alu instid0(VALU_DEP_2) | instskip(NEXT) | instid1(VALU_DEP_2)
	v_cmp_neq_f32_e32 vcc_lo, v68, v66
	s_or_b32 s4, vcc_lo, s3
	s_delay_alu instid0(SALU_CYCLE_1)
	s_and_saveexec_b32 s3, s4
	s_cbranch_execz .LBB521_208
; %bb.207:
	v_sub_f32_e32 v67, v68, v66
	s_mov_b32 s4, 0x3e9b6dac
	s_delay_alu instid0(VALU_DEP_1) | instskip(SKIP_1) | instid1(VALU_DEP_2)
	v_mul_f32_e32 v68, 0x3fb8aa3b, v67
	v_cmp_ngt_f32_e32 vcc_lo, 0xc2ce8ed0, v67
	v_fma_f32 v69, 0x3fb8aa3b, v67, -v68
	v_rndne_f32_e32 v70, v68
	s_delay_alu instid0(VALU_DEP_1) | instskip(NEXT) | instid1(VALU_DEP_1)
	v_dual_fmamk_f32 v69, v67, 0x32a5705f, v69 :: v_dual_sub_f32 v68, v68, v70
	v_add_f32_e32 v68, v68, v69
	v_cvt_i32_f32_e32 v69, v70
	s_delay_alu instid0(VALU_DEP_2) | instskip(SKIP_2) | instid1(VALU_DEP_1)
	v_exp_f32_e32 v68, v68
	s_waitcnt_depctr 0xfff
	v_ldexp_f32 v68, v68, v69
	v_cndmask_b32_e32 v68, 0, v68, vcc_lo
	v_cmp_nlt_f32_e32 vcc_lo, 0x42b17218, v67
	s_delay_alu instid0(VALU_DEP_2) | instskip(NEXT) | instid1(VALU_DEP_1)
	v_cndmask_b32_e32 v69, 0x7f800000, v68, vcc_lo
	v_add_f32_e32 v70, 1.0, v69
	s_delay_alu instid0(VALU_DEP_1) | instskip(NEXT) | instid1(VALU_DEP_1)
	v_cvt_f64_f32_e32 v[67:68], v70
	v_frexp_exp_i32_f64_e32 v67, v[67:68]
	v_frexp_mant_f32_e32 v68, v70
	s_delay_alu instid0(VALU_DEP_1) | instskip(SKIP_1) | instid1(VALU_DEP_1)
	v_cmp_gt_f32_e32 vcc_lo, 0x3f2aaaab, v68
	v_add_f32_e32 v68, -1.0, v70
	v_sub_f32_e32 v80, v68, v70
	v_sub_f32_e32 v68, v69, v68
	v_subrev_co_ci_u32_e32 v67, vcc_lo, 0, v67, vcc_lo
	v_cmp_eq_f32_e32 vcc_lo, 0x7f800000, v69
	s_delay_alu instid0(VALU_DEP_2) | instskip(SKIP_1) | instid1(VALU_DEP_2)
	v_sub_nc_u32_e32 v71, 0, v67
	v_cvt_f32_i32_e32 v67, v67
	v_ldexp_f32 v70, v70, v71
	s_delay_alu instid0(VALU_DEP_1) | instskip(NEXT) | instid1(VALU_DEP_1)
	v_dual_add_f32 v81, 1.0, v70 :: v_dual_add_f32 v80, 1.0, v80
	v_add_f32_e32 v68, v68, v80
	s_delay_alu instid0(VALU_DEP_2) | instskip(NEXT) | instid1(VALU_DEP_2)
	v_add_f32_e32 v80, -1.0, v81
	v_ldexp_f32 v68, v68, v71
	s_delay_alu instid0(VALU_DEP_2) | instskip(NEXT) | instid1(VALU_DEP_1)
	v_dual_add_f32 v71, -1.0, v70 :: v_dual_sub_f32 v80, v70, v80
	v_add_f32_e32 v82, 1.0, v71
	s_delay_alu instid0(VALU_DEP_2) | instskip(NEXT) | instid1(VALU_DEP_2)
	v_add_f32_e32 v80, v68, v80
	v_sub_f32_e32 v70, v70, v82
	s_delay_alu instid0(VALU_DEP_2) | instskip(NEXT) | instid1(VALU_DEP_2)
	v_add_f32_e32 v82, v81, v80
	v_add_f32_e32 v68, v68, v70
	s_delay_alu instid0(VALU_DEP_2) | instskip(SKIP_1) | instid1(VALU_DEP_1)
	v_rcp_f32_e32 v70, v82
	v_sub_f32_e32 v81, v81, v82
	v_dual_add_f32 v83, v71, v68 :: v_dual_add_f32 v80, v80, v81
	s_delay_alu instid0(VALU_DEP_1) | instskip(SKIP_3) | instid1(VALU_DEP_2)
	v_sub_f32_e32 v71, v71, v83
	s_waitcnt_depctr 0xfff
	v_mul_f32_e32 v84, v83, v70
	v_add_f32_e32 v68, v68, v71
	v_mul_f32_e32 v86, v82, v84
	s_delay_alu instid0(VALU_DEP_1) | instskip(NEXT) | instid1(VALU_DEP_1)
	v_fma_f32 v81, v84, v82, -v86
	v_fmac_f32_e32 v81, v84, v80
	s_delay_alu instid0(VALU_DEP_1) | instskip(NEXT) | instid1(VALU_DEP_1)
	v_add_f32_e32 v96, v86, v81
	v_sub_f32_e32 v147, v83, v96
	v_sub_f32_e32 v71, v96, v86
	s_delay_alu instid0(VALU_DEP_2) | instskip(NEXT) | instid1(VALU_DEP_2)
	v_sub_f32_e32 v83, v83, v147
	v_sub_f32_e32 v71, v71, v81
	s_delay_alu instid0(VALU_DEP_2) | instskip(NEXT) | instid1(VALU_DEP_1)
	v_sub_f32_e32 v83, v83, v96
	v_add_f32_e32 v68, v68, v83
	s_delay_alu instid0(VALU_DEP_1) | instskip(NEXT) | instid1(VALU_DEP_1)
	v_add_f32_e32 v68, v71, v68
	v_add_f32_e32 v71, v147, v68
	s_delay_alu instid0(VALU_DEP_1) | instskip(NEXT) | instid1(VALU_DEP_1)
	v_mul_f32_e32 v81, v70, v71
	v_dual_sub_f32 v96, v147, v71 :: v_dual_mul_f32 v83, v82, v81
	s_delay_alu instid0(VALU_DEP_1) | instskip(NEXT) | instid1(VALU_DEP_2)
	v_add_f32_e32 v68, v68, v96
	v_fma_f32 v82, v81, v82, -v83
	s_delay_alu instid0(VALU_DEP_1) | instskip(NEXT) | instid1(VALU_DEP_1)
	v_fmac_f32_e32 v82, v81, v80
	v_add_f32_e32 v80, v83, v82
	s_delay_alu instid0(VALU_DEP_1) | instskip(NEXT) | instid1(VALU_DEP_1)
	v_dual_sub_f32 v86, v71, v80 :: v_dual_sub_f32 v83, v80, v83
	v_sub_f32_e32 v71, v71, v86
	s_delay_alu instid0(VALU_DEP_1) | instskip(NEXT) | instid1(VALU_DEP_3)
	v_sub_f32_e32 v71, v71, v80
	v_sub_f32_e32 v80, v83, v82
	s_delay_alu instid0(VALU_DEP_2) | instskip(SKIP_1) | instid1(VALU_DEP_2)
	v_add_f32_e32 v68, v68, v71
	v_add_f32_e32 v71, v84, v81
	;; [unrolled: 1-line block ×3, first 2 shown]
	s_delay_alu instid0(VALU_DEP_2) | instskip(NEXT) | instid1(VALU_DEP_2)
	v_sub_f32_e32 v80, v71, v84
	v_add_f32_e32 v68, v86, v68
	s_delay_alu instid0(VALU_DEP_2) | instskip(NEXT) | instid1(VALU_DEP_2)
	v_sub_f32_e32 v80, v81, v80
	v_mul_f32_e32 v68, v70, v68
	s_delay_alu instid0(VALU_DEP_1) | instskip(NEXT) | instid1(VALU_DEP_1)
	v_add_f32_e32 v68, v80, v68
	v_add_f32_e32 v70, v71, v68
	s_delay_alu instid0(VALU_DEP_1) | instskip(NEXT) | instid1(VALU_DEP_1)
	v_mul_f32_e32 v80, v70, v70
	v_fmaak_f32 v81, s4, v80, 0x3ecc95a3
	v_mul_f32_e32 v82, v70, v80
	v_cmp_gt_f32_e64 s4, 0x33800000, |v69|
	s_delay_alu instid0(VALU_DEP_3) | instskip(SKIP_2) | instid1(VALU_DEP_4)
	v_fmaak_f32 v80, v80, v81, 0x3f2aaada
	v_ldexp_f32 v81, v70, 1
	v_sub_f32_e32 v70, v70, v71
	s_or_b32 vcc_lo, vcc_lo, s4
	s_delay_alu instid0(VALU_DEP_3) | instskip(SKIP_1) | instid1(VALU_DEP_2)
	v_mul_f32_e32 v80, v82, v80
	v_mul_f32_e32 v82, 0x3f317218, v67
	v_dual_sub_f32 v68, v68, v70 :: v_dual_add_f32 v71, v81, v80
	s_delay_alu instid0(VALU_DEP_1) | instskip(NEXT) | instid1(VALU_DEP_2)
	v_ldexp_f32 v68, v68, 1
	v_sub_f32_e32 v70, v71, v81
	s_delay_alu instid0(VALU_DEP_4) | instskip(NEXT) | instid1(VALU_DEP_1)
	v_fma_f32 v81, 0x3f317218, v67, -v82
	v_dual_sub_f32 v70, v80, v70 :: v_dual_fmamk_f32 v67, v67, 0xb102e308, v81
	s_delay_alu instid0(VALU_DEP_1) | instskip(NEXT) | instid1(VALU_DEP_2)
	v_add_f32_e32 v68, v68, v70
	v_add_f32_e32 v70, v82, v67
	s_delay_alu instid0(VALU_DEP_2) | instskip(NEXT) | instid1(VALU_DEP_2)
	v_add_f32_e32 v80, v71, v68
	v_sub_f32_e32 v82, v70, v82
	s_delay_alu instid0(VALU_DEP_2) | instskip(SKIP_1) | instid1(VALU_DEP_3)
	v_add_f32_e32 v81, v70, v80
	v_sub_f32_e32 v71, v80, v71
	v_sub_f32_e32 v67, v67, v82
	s_delay_alu instid0(VALU_DEP_2) | instskip(NEXT) | instid1(VALU_DEP_1)
	v_dual_sub_f32 v83, v81, v70 :: v_dual_sub_f32 v68, v68, v71
	v_sub_f32_e32 v84, v81, v83
	s_delay_alu instid0(VALU_DEP_2) | instskip(NEXT) | instid1(VALU_DEP_2)
	v_dual_sub_f32 v71, v80, v83 :: v_dual_add_f32 v80, v67, v68
	v_sub_f32_e32 v70, v70, v84
	s_delay_alu instid0(VALU_DEP_1) | instskip(NEXT) | instid1(VALU_DEP_1)
	v_dual_add_f32 v70, v71, v70 :: v_dual_sub_f32 v71, v80, v67
	v_add_f32_e32 v70, v80, v70
	s_delay_alu instid0(VALU_DEP_2) | instskip(SKIP_1) | instid1(VALU_DEP_2)
	v_sub_f32_e32 v80, v80, v71
	v_sub_f32_e32 v68, v68, v71
	v_dual_add_f32 v82, v81, v70 :: v_dual_sub_f32 v67, v67, v80
	s_delay_alu instid0(VALU_DEP_1) | instskip(NEXT) | instid1(VALU_DEP_2)
	v_sub_f32_e32 v71, v82, v81
	v_add_f32_e32 v67, v68, v67
	s_delay_alu instid0(VALU_DEP_2) | instskip(NEXT) | instid1(VALU_DEP_1)
	v_sub_f32_e32 v68, v70, v71
	v_add_f32_e32 v67, v67, v68
	s_delay_alu instid0(VALU_DEP_1) | instskip(NEXT) | instid1(VALU_DEP_1)
	v_add_f32_e32 v67, v82, v67
	v_cndmask_b32_e32 v67, v67, v69, vcc_lo
	s_delay_alu instid0(VALU_DEP_1)
	v_add_f32_e32 v67, v66, v67
.LBB521_208:
	s_or_b32 exec_lo, exec_lo, s3
	s_delay_alu instid0(VALU_DEP_1) | instskip(SKIP_1) | instid1(VALU_DEP_2)
	v_bfe_u32 v66, v67, 16, 1
	v_cmp_o_f32_e32 vcc_lo, v67, v67
	v_add3_u32 v66, v67, v66, 0x7fff
	s_delay_alu instid0(VALU_DEP_1) | instskip(NEXT) | instid1(VALU_DEP_1)
	v_lshrrev_b32_e32 v66, 16, v66
	v_cndmask_b32_e32 v66, 0x7fc0, v66, vcc_lo
	s_delay_alu instid0(VALU_DEP_1) | instskip(NEXT) | instid1(VALU_DEP_1)
	v_lshlrev_b32_e32 v68, 16, v66
	v_max_f32_e32 v67, v68, v68
	v_cmp_u_f32_e32 vcc_lo, v68, v68
	s_delay_alu instid0(VALU_DEP_2) | instskip(SKIP_1) | instid1(VALU_DEP_2)
	v_min_f32_e32 v69, v67, v98
	v_max_f32_e32 v67, v67, v98
	v_cndmask_b32_e32 v69, v69, v68, vcc_lo
	s_delay_alu instid0(VALU_DEP_2) | instskip(NEXT) | instid1(VALU_DEP_2)
	v_cndmask_b32_e32 v67, v67, v68, vcc_lo
	v_cndmask_b32_e64 v69, v69, v85, s11
	s_delay_alu instid0(VALU_DEP_2) | instskip(NEXT) | instid1(VALU_DEP_2)
	v_cndmask_b32_e64 v67, v67, v85, s11
	v_cmp_class_f32_e64 s3, v69, 0x1f8
	s_delay_alu instid0(VALU_DEP_2) | instskip(NEXT) | instid1(VALU_DEP_2)
	v_cmp_neq_f32_e32 vcc_lo, v69, v67
	s_or_b32 s4, vcc_lo, s3
	s_delay_alu instid0(SALU_CYCLE_1)
	s_and_saveexec_b32 s3, s4
	s_cbranch_execz .LBB521_210
; %bb.209:
	v_sub_f32_e32 v68, v69, v67
	s_mov_b32 s4, 0x3e9b6dac
	s_delay_alu instid0(VALU_DEP_1) | instskip(SKIP_1) | instid1(VALU_DEP_2)
	v_mul_f32_e32 v69, 0x3fb8aa3b, v68
	v_cmp_ngt_f32_e32 vcc_lo, 0xc2ce8ed0, v68
	v_fma_f32 v70, 0x3fb8aa3b, v68, -v69
	v_rndne_f32_e32 v71, v69
	s_delay_alu instid0(VALU_DEP_1) | instskip(NEXT) | instid1(VALU_DEP_1)
	v_dual_fmamk_f32 v70, v68, 0x32a5705f, v70 :: v_dual_sub_f32 v69, v69, v71
	v_add_f32_e32 v69, v69, v70
	v_cvt_i32_f32_e32 v70, v71
	s_delay_alu instid0(VALU_DEP_2) | instskip(SKIP_2) | instid1(VALU_DEP_1)
	v_exp_f32_e32 v69, v69
	s_waitcnt_depctr 0xfff
	v_ldexp_f32 v69, v69, v70
	v_cndmask_b32_e32 v69, 0, v69, vcc_lo
	v_cmp_nlt_f32_e32 vcc_lo, 0x42b17218, v68
	s_delay_alu instid0(VALU_DEP_2) | instskip(NEXT) | instid1(VALU_DEP_1)
	v_cndmask_b32_e32 v70, 0x7f800000, v69, vcc_lo
	v_add_f32_e32 v71, 1.0, v70
	s_delay_alu instid0(VALU_DEP_1) | instskip(NEXT) | instid1(VALU_DEP_1)
	v_cvt_f64_f32_e32 v[68:69], v71
	v_frexp_exp_i32_f64_e32 v68, v[68:69]
	v_frexp_mant_f32_e32 v69, v71
	s_delay_alu instid0(VALU_DEP_1) | instskip(SKIP_1) | instid1(VALU_DEP_1)
	v_cmp_gt_f32_e32 vcc_lo, 0x3f2aaaab, v69
	v_add_f32_e32 v69, -1.0, v71
	v_sub_f32_e32 v81, v69, v71
	v_sub_f32_e32 v69, v70, v69
	v_subrev_co_ci_u32_e32 v68, vcc_lo, 0, v68, vcc_lo
	v_cmp_eq_f32_e32 vcc_lo, 0x7f800000, v70
	s_delay_alu instid0(VALU_DEP_2) | instskip(SKIP_1) | instid1(VALU_DEP_2)
	v_sub_nc_u32_e32 v80, 0, v68
	v_cvt_f32_i32_e32 v68, v68
	v_ldexp_f32 v71, v71, v80
	s_delay_alu instid0(VALU_DEP_1) | instskip(NEXT) | instid1(VALU_DEP_1)
	v_dual_add_f32 v82, 1.0, v71 :: v_dual_add_f32 v81, 1.0, v81
	v_add_f32_e32 v69, v69, v81
	s_delay_alu instid0(VALU_DEP_1) | instskip(NEXT) | instid1(VALU_DEP_3)
	v_ldexp_f32 v69, v69, v80
	v_dual_add_f32 v80, -1.0, v71 :: v_dual_add_f32 v81, -1.0, v82
	s_delay_alu instid0(VALU_DEP_1) | instskip(NEXT) | instid1(VALU_DEP_2)
	v_add_f32_e32 v83, 1.0, v80
	v_sub_f32_e32 v81, v71, v81
	s_delay_alu instid0(VALU_DEP_2) | instskip(NEXT) | instid1(VALU_DEP_2)
	v_sub_f32_e32 v71, v71, v83
	v_add_f32_e32 v81, v69, v81
	s_delay_alu instid0(VALU_DEP_2) | instskip(NEXT) | instid1(VALU_DEP_2)
	v_add_f32_e32 v69, v69, v71
	v_add_f32_e32 v83, v82, v81
	s_delay_alu instid0(VALU_DEP_2) | instskip(NEXT) | instid1(VALU_DEP_2)
	v_add_f32_e32 v84, v80, v69
	v_rcp_f32_e32 v71, v83
	v_sub_f32_e32 v82, v82, v83
	s_delay_alu instid0(VALU_DEP_1) | instskip(NEXT) | instid1(VALU_DEP_1)
	v_dual_sub_f32 v80, v80, v84 :: v_dual_add_f32 v81, v81, v82
	v_add_f32_e32 v69, v69, v80
	s_waitcnt_depctr 0xfff
	v_mul_f32_e32 v85, v84, v71
	s_delay_alu instid0(VALU_DEP_1) | instskip(NEXT) | instid1(VALU_DEP_1)
	v_mul_f32_e32 v86, v83, v85
	v_fma_f32 v82, v85, v83, -v86
	s_delay_alu instid0(VALU_DEP_1) | instskip(NEXT) | instid1(VALU_DEP_1)
	v_fmac_f32_e32 v82, v85, v81
	v_add_f32_e32 v96, v86, v82
	s_delay_alu instid0(VALU_DEP_1) | instskip(SKIP_1) | instid1(VALU_DEP_2)
	v_sub_f32_e32 v98, v84, v96
	v_sub_f32_e32 v80, v96, v86
	;; [unrolled: 1-line block ×3, first 2 shown]
	s_delay_alu instid0(VALU_DEP_2) | instskip(NEXT) | instid1(VALU_DEP_2)
	v_sub_f32_e32 v80, v80, v82
	v_sub_f32_e32 v84, v84, v96
	s_delay_alu instid0(VALU_DEP_1) | instskip(NEXT) | instid1(VALU_DEP_1)
	v_add_f32_e32 v69, v69, v84
	v_add_f32_e32 v69, v80, v69
	s_delay_alu instid0(VALU_DEP_1) | instskip(NEXT) | instid1(VALU_DEP_1)
	v_add_f32_e32 v80, v98, v69
	v_mul_f32_e32 v82, v71, v80
	v_sub_f32_e32 v96, v98, v80
	s_delay_alu instid0(VALU_DEP_2) | instskip(NEXT) | instid1(VALU_DEP_1)
	v_mul_f32_e32 v84, v83, v82
	v_fma_f32 v83, v82, v83, -v84
	s_delay_alu instid0(VALU_DEP_1) | instskip(NEXT) | instid1(VALU_DEP_1)
	v_fmac_f32_e32 v83, v82, v81
	v_add_f32_e32 v81, v84, v83
	s_delay_alu instid0(VALU_DEP_1) | instskip(SKIP_1) | instid1(VALU_DEP_2)
	v_sub_f32_e32 v86, v80, v81
	v_sub_f32_e32 v84, v81, v84
	v_dual_sub_f32 v80, v80, v86 :: v_dual_add_f32 v69, v69, v96
	s_delay_alu instid0(VALU_DEP_1) | instskip(NEXT) | instid1(VALU_DEP_3)
	v_sub_f32_e32 v80, v80, v81
	v_sub_f32_e32 v81, v84, v83
	s_delay_alu instid0(VALU_DEP_2) | instskip(SKIP_1) | instid1(VALU_DEP_2)
	v_add_f32_e32 v69, v69, v80
	v_add_f32_e32 v80, v85, v82
	;; [unrolled: 1-line block ×3, first 2 shown]
	s_delay_alu instid0(VALU_DEP_2) | instskip(NEXT) | instid1(VALU_DEP_2)
	v_sub_f32_e32 v81, v80, v85
	v_add_f32_e32 v69, v86, v69
	s_delay_alu instid0(VALU_DEP_2) | instskip(NEXT) | instid1(VALU_DEP_2)
	v_sub_f32_e32 v81, v82, v81
	v_mul_f32_e32 v69, v71, v69
	s_delay_alu instid0(VALU_DEP_1) | instskip(NEXT) | instid1(VALU_DEP_1)
	v_add_f32_e32 v69, v81, v69
	v_add_f32_e32 v71, v80, v69
	s_delay_alu instid0(VALU_DEP_1) | instskip(NEXT) | instid1(VALU_DEP_1)
	v_mul_f32_e32 v81, v71, v71
	v_fmaak_f32 v82, s4, v81, 0x3ecc95a3
	v_cmp_gt_f32_e64 s4, 0x33800000, |v70|
	s_delay_alu instid0(VALU_DEP_1) | instskip(SKIP_1) | instid1(VALU_DEP_3)
	s_or_b32 vcc_lo, vcc_lo, s4
	v_mul_f32_e32 v83, v71, v81
	v_fmaak_f32 v81, v81, v82, 0x3f2aaada
	v_ldexp_f32 v82, v71, 1
	s_delay_alu instid0(VALU_DEP_2) | instskip(NEXT) | instid1(VALU_DEP_1)
	v_mul_f32_e32 v81, v83, v81
	v_dual_sub_f32 v71, v71, v80 :: v_dual_add_f32 v80, v82, v81
	s_delay_alu instid0(VALU_DEP_1) | instskip(NEXT) | instid1(VALU_DEP_2)
	v_sub_f32_e32 v69, v69, v71
	v_sub_f32_e32 v71, v80, v82
	s_delay_alu instid0(VALU_DEP_2) | instskip(NEXT) | instid1(VALU_DEP_2)
	v_ldexp_f32 v69, v69, 1
	v_sub_f32_e32 v71, v81, v71
	s_delay_alu instid0(VALU_DEP_1) | instskip(NEXT) | instid1(VALU_DEP_1)
	v_add_f32_e32 v69, v69, v71
	v_add_f32_e32 v81, v80, v69
	v_mul_f32_e32 v83, 0x3f317218, v68
	s_delay_alu instid0(VALU_DEP_2) | instskip(NEXT) | instid1(VALU_DEP_2)
	v_sub_f32_e32 v80, v81, v80
	v_fma_f32 v82, 0x3f317218, v68, -v83
	s_delay_alu instid0(VALU_DEP_1) | instskip(NEXT) | instid1(VALU_DEP_1)
	v_dual_sub_f32 v69, v69, v80 :: v_dual_fmamk_f32 v68, v68, 0xb102e308, v82
	v_add_f32_e32 v71, v83, v68
	s_delay_alu instid0(VALU_DEP_1) | instskip(SKIP_1) | instid1(VALU_DEP_2)
	v_add_f32_e32 v82, v71, v81
	v_sub_f32_e32 v83, v71, v83
	v_sub_f32_e32 v84, v82, v71
	s_delay_alu instid0(VALU_DEP_1) | instskip(NEXT) | instid1(VALU_DEP_1)
	v_dual_sub_f32 v68, v68, v83 :: v_dual_sub_f32 v85, v82, v84
	v_dual_sub_f32 v80, v81, v84 :: v_dual_add_f32 v81, v68, v69
	s_delay_alu instid0(VALU_DEP_2) | instskip(NEXT) | instid1(VALU_DEP_1)
	v_sub_f32_e32 v71, v71, v85
	v_dual_add_f32 v71, v80, v71 :: v_dual_sub_f32 v80, v81, v68
	s_delay_alu instid0(VALU_DEP_1) | instskip(NEXT) | instid1(VALU_DEP_2)
	v_add_f32_e32 v71, v81, v71
	v_sub_f32_e32 v81, v81, v80
	v_sub_f32_e32 v69, v69, v80
	s_delay_alu instid0(VALU_DEP_2) | instskip(NEXT) | instid1(VALU_DEP_1)
	v_dual_add_f32 v83, v82, v71 :: v_dual_sub_f32 v68, v68, v81
	v_sub_f32_e32 v80, v83, v82
	s_delay_alu instid0(VALU_DEP_2) | instskip(NEXT) | instid1(VALU_DEP_2)
	v_add_f32_e32 v68, v69, v68
	v_sub_f32_e32 v69, v71, v80
	s_delay_alu instid0(VALU_DEP_1) | instskip(NEXT) | instid1(VALU_DEP_1)
	v_add_f32_e32 v68, v68, v69
	v_add_f32_e32 v68, v83, v68
	s_delay_alu instid0(VALU_DEP_1) | instskip(NEXT) | instid1(VALU_DEP_1)
	v_cndmask_b32_e32 v68, v68, v70, vcc_lo
	v_add_f32_e32 v68, v67, v68
.LBB521_210:
	s_or_b32 exec_lo, exec_lo, s3
	s_delay_alu instid0(VALU_DEP_1) | instskip(SKIP_1) | instid1(VALU_DEP_2)
	v_bfe_u32 v67, v68, 16, 1
	v_cmp_o_f32_e32 vcc_lo, v68, v68
	v_add3_u32 v67, v68, v67, 0x7fff
	s_delay_alu instid0(VALU_DEP_1) | instskip(NEXT) | instid1(VALU_DEP_1)
	v_lshrrev_b32_e32 v67, 16, v67
	v_cndmask_b32_e32 v67, 0x7fc0, v67, vcc_lo
	s_delay_alu instid0(VALU_DEP_1) | instskip(NEXT) | instid1(VALU_DEP_1)
	v_lshlrev_b32_e32 v69, 16, v67
	v_max_f32_e32 v68, v69, v69
	s_delay_alu instid0(VALU_DEP_1) | instskip(SKIP_2) | instid1(VALU_DEP_3)
	v_min_f32_e32 v70, v68, v100
	v_max_f32_e32 v68, v68, v100
	v_cmp_u_f32_e32 vcc_lo, v69, v69
	v_cndmask_b32_e32 v70, v70, v69, vcc_lo
	s_delay_alu instid0(VALU_DEP_3) | instskip(NEXT) | instid1(VALU_DEP_2)
	v_cndmask_b32_e32 v68, v68, v69, vcc_lo
	v_cndmask_b32_e64 v70, v70, v87, s12
	s_delay_alu instid0(VALU_DEP_2) | instskip(NEXT) | instid1(VALU_DEP_2)
	v_cndmask_b32_e64 v68, v68, v87, s12
	v_cmp_class_f32_e64 s3, v70, 0x1f8
	s_delay_alu instid0(VALU_DEP_2) | instskip(NEXT) | instid1(VALU_DEP_2)
	v_cmp_neq_f32_e32 vcc_lo, v70, v68
	s_or_b32 s4, vcc_lo, s3
	s_delay_alu instid0(SALU_CYCLE_1)
	s_and_saveexec_b32 s3, s4
	s_cbranch_execz .LBB521_212
; %bb.211:
	v_sub_f32_e32 v69, v70, v68
	s_mov_b32 s4, 0x3e9b6dac
	s_delay_alu instid0(VALU_DEP_1) | instskip(SKIP_1) | instid1(VALU_DEP_2)
	v_mul_f32_e32 v70, 0x3fb8aa3b, v69
	v_cmp_ngt_f32_e32 vcc_lo, 0xc2ce8ed0, v69
	v_fma_f32 v71, 0x3fb8aa3b, v69, -v70
	v_rndne_f32_e32 v80, v70
	s_delay_alu instid0(VALU_DEP_1) | instskip(NEXT) | instid1(VALU_DEP_1)
	v_dual_fmamk_f32 v71, v69, 0x32a5705f, v71 :: v_dual_sub_f32 v70, v70, v80
	v_add_f32_e32 v70, v70, v71
	v_cvt_i32_f32_e32 v71, v80
	s_delay_alu instid0(VALU_DEP_2) | instskip(SKIP_2) | instid1(VALU_DEP_1)
	v_exp_f32_e32 v70, v70
	s_waitcnt_depctr 0xfff
	v_ldexp_f32 v70, v70, v71
	v_cndmask_b32_e32 v70, 0, v70, vcc_lo
	v_cmp_nlt_f32_e32 vcc_lo, 0x42b17218, v69
	s_delay_alu instid0(VALU_DEP_2) | instskip(NEXT) | instid1(VALU_DEP_1)
	v_cndmask_b32_e32 v71, 0x7f800000, v70, vcc_lo
	v_add_f32_e32 v80, 1.0, v71
	s_delay_alu instid0(VALU_DEP_1) | instskip(NEXT) | instid1(VALU_DEP_1)
	v_cvt_f64_f32_e32 v[69:70], v80
	v_frexp_exp_i32_f64_e32 v69, v[69:70]
	v_frexp_mant_f32_e32 v70, v80
	s_delay_alu instid0(VALU_DEP_1) | instskip(SKIP_1) | instid1(VALU_DEP_1)
	v_cmp_gt_f32_e32 vcc_lo, 0x3f2aaaab, v70
	v_add_f32_e32 v70, -1.0, v80
	v_sub_f32_e32 v82, v70, v80
	v_sub_f32_e32 v70, v71, v70
	v_subrev_co_ci_u32_e32 v69, vcc_lo, 0, v69, vcc_lo
	v_cmp_eq_f32_e32 vcc_lo, 0x7f800000, v71
	s_delay_alu instid0(VALU_DEP_2) | instskip(SKIP_1) | instid1(VALU_DEP_2)
	v_sub_nc_u32_e32 v81, 0, v69
	v_cvt_f32_i32_e32 v69, v69
	v_ldexp_f32 v80, v80, v81
	s_delay_alu instid0(VALU_DEP_1) | instskip(NEXT) | instid1(VALU_DEP_1)
	v_dual_add_f32 v83, 1.0, v80 :: v_dual_add_f32 v82, 1.0, v82
	v_add_f32_e32 v70, v70, v82
	s_delay_alu instid0(VALU_DEP_2) | instskip(NEXT) | instid1(VALU_DEP_2)
	v_add_f32_e32 v82, -1.0, v83
	v_ldexp_f32 v70, v70, v81
	s_delay_alu instid0(VALU_DEP_2) | instskip(NEXT) | instid1(VALU_DEP_1)
	v_dual_add_f32 v81, -1.0, v80 :: v_dual_sub_f32 v82, v80, v82
	v_add_f32_e32 v84, 1.0, v81
	s_delay_alu instid0(VALU_DEP_2) | instskip(NEXT) | instid1(VALU_DEP_2)
	v_add_f32_e32 v82, v70, v82
	v_sub_f32_e32 v80, v80, v84
	s_delay_alu instid0(VALU_DEP_2) | instskip(NEXT) | instid1(VALU_DEP_2)
	v_add_f32_e32 v84, v83, v82
	v_add_f32_e32 v70, v70, v80
	s_delay_alu instid0(VALU_DEP_2) | instskip(SKIP_1) | instid1(VALU_DEP_1)
	v_rcp_f32_e32 v80, v84
	v_sub_f32_e32 v83, v83, v84
	v_dual_add_f32 v85, v81, v70 :: v_dual_add_f32 v82, v82, v83
	s_delay_alu instid0(VALU_DEP_1) | instskip(SKIP_2) | instid1(VALU_DEP_1)
	v_sub_f32_e32 v81, v81, v85
	s_waitcnt_depctr 0xfff
	v_mul_f32_e32 v86, v85, v80
	v_dual_add_f32 v70, v70, v81 :: v_dual_mul_f32 v87, v84, v86
	s_delay_alu instid0(VALU_DEP_1) | instskip(NEXT) | instid1(VALU_DEP_1)
	v_fma_f32 v83, v86, v84, -v87
	v_fmac_f32_e32 v83, v86, v82
	s_delay_alu instid0(VALU_DEP_1) | instskip(NEXT) | instid1(VALU_DEP_1)
	v_add_f32_e32 v96, v87, v83
	v_dual_sub_f32 v98, v85, v96 :: v_dual_sub_f32 v81, v96, v87
	s_delay_alu instid0(VALU_DEP_1) | instskip(NEXT) | instid1(VALU_DEP_2)
	v_sub_f32_e32 v85, v85, v98
	v_sub_f32_e32 v81, v81, v83
	s_delay_alu instid0(VALU_DEP_2) | instskip(NEXT) | instid1(VALU_DEP_1)
	v_sub_f32_e32 v85, v85, v96
	v_add_f32_e32 v70, v70, v85
	s_delay_alu instid0(VALU_DEP_1) | instskip(NEXT) | instid1(VALU_DEP_1)
	v_add_f32_e32 v70, v81, v70
	v_add_f32_e32 v81, v98, v70
	s_delay_alu instid0(VALU_DEP_1) | instskip(NEXT) | instid1(VALU_DEP_1)
	v_mul_f32_e32 v83, v80, v81
	v_dual_sub_f32 v96, v98, v81 :: v_dual_mul_f32 v85, v84, v83
	s_delay_alu instid0(VALU_DEP_1) | instskip(NEXT) | instid1(VALU_DEP_2)
	v_add_f32_e32 v70, v70, v96
	v_fma_f32 v84, v83, v84, -v85
	s_delay_alu instid0(VALU_DEP_1) | instskip(NEXT) | instid1(VALU_DEP_1)
	v_fmac_f32_e32 v84, v83, v82
	v_add_f32_e32 v82, v85, v84
	s_delay_alu instid0(VALU_DEP_1) | instskip(SKIP_1) | instid1(VALU_DEP_2)
	v_sub_f32_e32 v87, v81, v82
	v_sub_f32_e32 v85, v82, v85
	;; [unrolled: 1-line block ×3, first 2 shown]
	s_delay_alu instid0(VALU_DEP_1) | instskip(NEXT) | instid1(VALU_DEP_3)
	v_sub_f32_e32 v81, v81, v82
	v_sub_f32_e32 v82, v85, v84
	s_delay_alu instid0(VALU_DEP_2) | instskip(SKIP_1) | instid1(VALU_DEP_2)
	v_add_f32_e32 v70, v70, v81
	v_add_f32_e32 v81, v86, v83
	;; [unrolled: 1-line block ×3, first 2 shown]
	s_delay_alu instid0(VALU_DEP_2) | instskip(NEXT) | instid1(VALU_DEP_2)
	v_sub_f32_e32 v82, v81, v86
	v_add_f32_e32 v70, v87, v70
	s_delay_alu instid0(VALU_DEP_2) | instskip(NEXT) | instid1(VALU_DEP_2)
	v_sub_f32_e32 v82, v83, v82
	v_mul_f32_e32 v70, v80, v70
	s_delay_alu instid0(VALU_DEP_1) | instskip(NEXT) | instid1(VALU_DEP_1)
	v_add_f32_e32 v70, v82, v70
	v_add_f32_e32 v80, v81, v70
	s_delay_alu instid0(VALU_DEP_1) | instskip(NEXT) | instid1(VALU_DEP_1)
	v_mul_f32_e32 v82, v80, v80
	v_fmaak_f32 v83, s4, v82, 0x3ecc95a3
	v_mul_f32_e32 v84, v80, v82
	v_cmp_gt_f32_e64 s4, 0x33800000, |v71|
	s_delay_alu instid0(VALU_DEP_3) | instskip(SKIP_2) | instid1(VALU_DEP_4)
	v_fmaak_f32 v82, v82, v83, 0x3f2aaada
	v_ldexp_f32 v83, v80, 1
	v_sub_f32_e32 v80, v80, v81
	s_or_b32 vcc_lo, vcc_lo, s4
	s_delay_alu instid0(VALU_DEP_3) | instskip(SKIP_1) | instid1(VALU_DEP_2)
	v_mul_f32_e32 v82, v84, v82
	v_mul_f32_e32 v84, 0x3f317218, v69
	v_dual_sub_f32 v70, v70, v80 :: v_dual_add_f32 v81, v83, v82
	s_delay_alu instid0(VALU_DEP_1) | instskip(NEXT) | instid1(VALU_DEP_2)
	v_ldexp_f32 v70, v70, 1
	v_sub_f32_e32 v80, v81, v83
	s_delay_alu instid0(VALU_DEP_4) | instskip(NEXT) | instid1(VALU_DEP_1)
	v_fma_f32 v83, 0x3f317218, v69, -v84
	v_dual_sub_f32 v80, v82, v80 :: v_dual_fmamk_f32 v69, v69, 0xb102e308, v83
	s_delay_alu instid0(VALU_DEP_1) | instskip(NEXT) | instid1(VALU_DEP_2)
	v_add_f32_e32 v70, v70, v80
	v_add_f32_e32 v80, v84, v69
	s_delay_alu instid0(VALU_DEP_2) | instskip(NEXT) | instid1(VALU_DEP_2)
	v_add_f32_e32 v82, v81, v70
	v_sub_f32_e32 v84, v80, v84
	s_delay_alu instid0(VALU_DEP_2) | instskip(SKIP_1) | instid1(VALU_DEP_3)
	v_add_f32_e32 v83, v80, v82
	v_sub_f32_e32 v81, v82, v81
	v_sub_f32_e32 v69, v69, v84
	s_delay_alu instid0(VALU_DEP_2) | instskip(NEXT) | instid1(VALU_DEP_1)
	v_dual_sub_f32 v85, v83, v80 :: v_dual_sub_f32 v70, v70, v81
	v_sub_f32_e32 v86, v83, v85
	s_delay_alu instid0(VALU_DEP_2) | instskip(NEXT) | instid1(VALU_DEP_2)
	v_dual_sub_f32 v81, v82, v85 :: v_dual_add_f32 v82, v69, v70
	v_sub_f32_e32 v80, v80, v86
	s_delay_alu instid0(VALU_DEP_1) | instskip(NEXT) | instid1(VALU_DEP_1)
	v_dual_add_f32 v80, v81, v80 :: v_dual_sub_f32 v81, v82, v69
	v_add_f32_e32 v80, v82, v80
	s_delay_alu instid0(VALU_DEP_2) | instskip(SKIP_1) | instid1(VALU_DEP_2)
	v_sub_f32_e32 v82, v82, v81
	v_sub_f32_e32 v70, v70, v81
	v_dual_add_f32 v84, v83, v80 :: v_dual_sub_f32 v69, v69, v82
	s_delay_alu instid0(VALU_DEP_1) | instskip(NEXT) | instid1(VALU_DEP_2)
	v_sub_f32_e32 v81, v84, v83
	v_add_f32_e32 v69, v70, v69
	s_delay_alu instid0(VALU_DEP_2) | instskip(NEXT) | instid1(VALU_DEP_1)
	v_sub_f32_e32 v70, v80, v81
	v_add_f32_e32 v69, v69, v70
	s_delay_alu instid0(VALU_DEP_1) | instskip(NEXT) | instid1(VALU_DEP_1)
	v_add_f32_e32 v69, v84, v69
	v_cndmask_b32_e32 v69, v69, v71, vcc_lo
	s_delay_alu instid0(VALU_DEP_1)
	v_add_f32_e32 v69, v68, v69
.LBB521_212:
	s_or_b32 exec_lo, exec_lo, s3
	s_delay_alu instid0(VALU_DEP_1) | instskip(SKIP_1) | instid1(VALU_DEP_2)
	v_bfe_u32 v68, v69, 16, 1
	v_cmp_o_f32_e32 vcc_lo, v69, v69
	v_add3_u32 v68, v69, v68, 0x7fff
	s_delay_alu instid0(VALU_DEP_1) | instskip(NEXT) | instid1(VALU_DEP_1)
	v_lshrrev_b32_e32 v68, 16, v68
	v_cndmask_b32_e32 v68, 0x7fc0, v68, vcc_lo
	s_delay_alu instid0(VALU_DEP_1) | instskip(NEXT) | instid1(VALU_DEP_1)
	v_lshlrev_b32_e32 v70, 16, v68
	v_max_f32_e32 v69, v70, v70
	s_delay_alu instid0(VALU_DEP_1) | instskip(SKIP_2) | instid1(VALU_DEP_3)
	v_min_f32_e32 v71, v69, v102
	v_max_f32_e32 v69, v69, v102
	v_cmp_u_f32_e32 vcc_lo, v70, v70
	v_cndmask_b32_e32 v71, v71, v70, vcc_lo
	s_delay_alu instid0(VALU_DEP_3) | instskip(NEXT) | instid1(VALU_DEP_2)
	v_cndmask_b32_e32 v69, v69, v70, vcc_lo
	v_cndmask_b32_e64 v71, v71, v97, s13
	s_delay_alu instid0(VALU_DEP_2) | instskip(NEXT) | instid1(VALU_DEP_2)
	v_cndmask_b32_e64 v69, v69, v97, s13
	v_cmp_class_f32_e64 s3, v71, 0x1f8
	s_delay_alu instid0(VALU_DEP_2) | instskip(NEXT) | instid1(VALU_DEP_2)
	v_cmp_neq_f32_e32 vcc_lo, v71, v69
	s_or_b32 s4, vcc_lo, s3
	s_delay_alu instid0(SALU_CYCLE_1)
	s_and_saveexec_b32 s3, s4
	s_cbranch_execz .LBB521_214
; %bb.213:
	v_sub_f32_e32 v70, v71, v69
	s_mov_b32 s4, 0x3e9b6dac
	s_delay_alu instid0(VALU_DEP_1) | instskip(SKIP_1) | instid1(VALU_DEP_2)
	v_mul_f32_e32 v71, 0x3fb8aa3b, v70
	v_cmp_ngt_f32_e32 vcc_lo, 0xc2ce8ed0, v70
	v_fma_f32 v80, 0x3fb8aa3b, v70, -v71
	v_rndne_f32_e32 v81, v71
	s_delay_alu instid0(VALU_DEP_1) | instskip(NEXT) | instid1(VALU_DEP_1)
	v_dual_fmamk_f32 v80, v70, 0x32a5705f, v80 :: v_dual_sub_f32 v71, v71, v81
	v_add_f32_e32 v71, v71, v80
	v_cvt_i32_f32_e32 v80, v81
	s_delay_alu instid0(VALU_DEP_2) | instskip(SKIP_2) | instid1(VALU_DEP_1)
	v_exp_f32_e32 v71, v71
	s_waitcnt_depctr 0xfff
	v_ldexp_f32 v71, v71, v80
	v_cndmask_b32_e32 v71, 0, v71, vcc_lo
	v_cmp_nlt_f32_e32 vcc_lo, 0x42b17218, v70
	s_delay_alu instid0(VALU_DEP_2) | instskip(NEXT) | instid1(VALU_DEP_1)
	v_cndmask_b32_e32 v80, 0x7f800000, v71, vcc_lo
	v_add_f32_e32 v81, 1.0, v80
	s_delay_alu instid0(VALU_DEP_1) | instskip(NEXT) | instid1(VALU_DEP_1)
	v_cvt_f64_f32_e32 v[70:71], v81
	v_frexp_exp_i32_f64_e32 v70, v[70:71]
	v_frexp_mant_f32_e32 v71, v81
	s_delay_alu instid0(VALU_DEP_1) | instskip(SKIP_1) | instid1(VALU_DEP_1)
	v_cmp_gt_f32_e32 vcc_lo, 0x3f2aaaab, v71
	v_add_f32_e32 v71, -1.0, v81
	v_sub_f32_e32 v83, v71, v81
	v_sub_f32_e32 v71, v80, v71
	v_subrev_co_ci_u32_e32 v70, vcc_lo, 0, v70, vcc_lo
	v_cmp_eq_f32_e32 vcc_lo, 0x7f800000, v80
	s_delay_alu instid0(VALU_DEP_2) | instskip(SKIP_1) | instid1(VALU_DEP_2)
	v_sub_nc_u32_e32 v82, 0, v70
	v_cvt_f32_i32_e32 v70, v70
	v_ldexp_f32 v81, v81, v82
	s_delay_alu instid0(VALU_DEP_1) | instskip(NEXT) | instid1(VALU_DEP_1)
	v_dual_add_f32 v84, 1.0, v81 :: v_dual_add_f32 v83, 1.0, v83
	v_add_f32_e32 v71, v71, v83
	s_delay_alu instid0(VALU_DEP_2) | instskip(NEXT) | instid1(VALU_DEP_2)
	v_add_f32_e32 v83, -1.0, v84
	v_ldexp_f32 v71, v71, v82
	s_delay_alu instid0(VALU_DEP_2) | instskip(NEXT) | instid1(VALU_DEP_1)
	v_dual_add_f32 v82, -1.0, v81 :: v_dual_sub_f32 v83, v81, v83
	v_add_f32_e32 v85, 1.0, v82
	s_delay_alu instid0(VALU_DEP_2) | instskip(NEXT) | instid1(VALU_DEP_2)
	v_add_f32_e32 v83, v71, v83
	v_sub_f32_e32 v81, v81, v85
	s_delay_alu instid0(VALU_DEP_2) | instskip(NEXT) | instid1(VALU_DEP_2)
	v_add_f32_e32 v85, v84, v83
	v_add_f32_e32 v71, v71, v81
	s_delay_alu instid0(VALU_DEP_2) | instskip(SKIP_1) | instid1(VALU_DEP_1)
	v_rcp_f32_e32 v81, v85
	v_sub_f32_e32 v84, v84, v85
	v_dual_add_f32 v86, v82, v71 :: v_dual_add_f32 v83, v83, v84
	s_delay_alu instid0(VALU_DEP_1) | instskip(SKIP_2) | instid1(VALU_DEP_1)
	v_sub_f32_e32 v82, v82, v86
	s_waitcnt_depctr 0xfff
	v_mul_f32_e32 v87, v86, v81
	v_dual_add_f32 v71, v71, v82 :: v_dual_mul_f32 v96, v85, v87
	s_delay_alu instid0(VALU_DEP_1) | instskip(NEXT) | instid1(VALU_DEP_1)
	v_fma_f32 v84, v87, v85, -v96
	v_fmac_f32_e32 v84, v87, v83
	s_delay_alu instid0(VALU_DEP_1) | instskip(NEXT) | instid1(VALU_DEP_1)
	v_add_f32_e32 v97, v96, v84
	v_sub_f32_e32 v98, v86, v97
	v_sub_f32_e32 v82, v97, v96
	s_delay_alu instid0(VALU_DEP_2) | instskip(NEXT) | instid1(VALU_DEP_2)
	v_sub_f32_e32 v86, v86, v98
	v_sub_f32_e32 v82, v82, v84
	s_delay_alu instid0(VALU_DEP_2) | instskip(NEXT) | instid1(VALU_DEP_1)
	v_sub_f32_e32 v86, v86, v97
	v_add_f32_e32 v71, v71, v86
	s_delay_alu instid0(VALU_DEP_1) | instskip(NEXT) | instid1(VALU_DEP_1)
	v_add_f32_e32 v71, v82, v71
	v_add_f32_e32 v82, v98, v71
	s_delay_alu instid0(VALU_DEP_1) | instskip(NEXT) | instid1(VALU_DEP_1)
	v_mul_f32_e32 v84, v81, v82
	v_dual_sub_f32 v97, v98, v82 :: v_dual_mul_f32 v86, v85, v84
	s_delay_alu instid0(VALU_DEP_1) | instskip(NEXT) | instid1(VALU_DEP_2)
	v_add_f32_e32 v71, v71, v97
	v_fma_f32 v85, v84, v85, -v86
	s_delay_alu instid0(VALU_DEP_1) | instskip(NEXT) | instid1(VALU_DEP_1)
	v_fmac_f32_e32 v85, v84, v83
	v_add_f32_e32 v83, v86, v85
	s_delay_alu instid0(VALU_DEP_1) | instskip(SKIP_1) | instid1(VALU_DEP_2)
	v_sub_f32_e32 v96, v82, v83
	v_sub_f32_e32 v86, v83, v86
	;; [unrolled: 1-line block ×3, first 2 shown]
	s_delay_alu instid0(VALU_DEP_1) | instskip(NEXT) | instid1(VALU_DEP_3)
	v_sub_f32_e32 v82, v82, v83
	v_sub_f32_e32 v83, v86, v85
	s_delay_alu instid0(VALU_DEP_2) | instskip(SKIP_1) | instid1(VALU_DEP_2)
	v_add_f32_e32 v71, v71, v82
	v_add_f32_e32 v82, v87, v84
	;; [unrolled: 1-line block ×3, first 2 shown]
	s_delay_alu instid0(VALU_DEP_2) | instskip(NEXT) | instid1(VALU_DEP_2)
	v_sub_f32_e32 v83, v82, v87
	v_add_f32_e32 v71, v96, v71
	s_delay_alu instid0(VALU_DEP_2) | instskip(NEXT) | instid1(VALU_DEP_2)
	v_sub_f32_e32 v83, v84, v83
	v_mul_f32_e32 v71, v81, v71
	s_delay_alu instid0(VALU_DEP_1) | instskip(NEXT) | instid1(VALU_DEP_1)
	v_add_f32_e32 v71, v83, v71
	v_add_f32_e32 v81, v82, v71
	s_delay_alu instid0(VALU_DEP_1) | instskip(NEXT) | instid1(VALU_DEP_1)
	v_mul_f32_e32 v83, v81, v81
	v_fmaak_f32 v84, s4, v83, 0x3ecc95a3
	v_mul_f32_e32 v85, v81, v83
	v_cmp_gt_f32_e64 s4, 0x33800000, |v80|
	s_delay_alu instid0(VALU_DEP_3) | instskip(SKIP_2) | instid1(VALU_DEP_4)
	v_fmaak_f32 v83, v83, v84, 0x3f2aaada
	v_ldexp_f32 v84, v81, 1
	v_sub_f32_e32 v81, v81, v82
	s_or_b32 vcc_lo, vcc_lo, s4
	s_delay_alu instid0(VALU_DEP_3) | instskip(SKIP_1) | instid1(VALU_DEP_2)
	v_mul_f32_e32 v83, v85, v83
	v_mul_f32_e32 v85, 0x3f317218, v70
	v_dual_sub_f32 v71, v71, v81 :: v_dual_add_f32 v82, v84, v83
	s_delay_alu instid0(VALU_DEP_1) | instskip(NEXT) | instid1(VALU_DEP_2)
	v_ldexp_f32 v71, v71, 1
	v_sub_f32_e32 v81, v82, v84
	s_delay_alu instid0(VALU_DEP_4) | instskip(NEXT) | instid1(VALU_DEP_1)
	v_fma_f32 v84, 0x3f317218, v70, -v85
	v_dual_sub_f32 v81, v83, v81 :: v_dual_fmamk_f32 v70, v70, 0xb102e308, v84
	s_delay_alu instid0(VALU_DEP_1) | instskip(NEXT) | instid1(VALU_DEP_2)
	v_add_f32_e32 v71, v71, v81
	v_add_f32_e32 v81, v85, v70
	s_delay_alu instid0(VALU_DEP_2) | instskip(NEXT) | instid1(VALU_DEP_2)
	v_add_f32_e32 v83, v82, v71
	v_sub_f32_e32 v85, v81, v85
	s_delay_alu instid0(VALU_DEP_2) | instskip(SKIP_1) | instid1(VALU_DEP_3)
	v_add_f32_e32 v84, v81, v83
	v_sub_f32_e32 v82, v83, v82
	v_sub_f32_e32 v70, v70, v85
	s_delay_alu instid0(VALU_DEP_2) | instskip(NEXT) | instid1(VALU_DEP_1)
	v_dual_sub_f32 v86, v84, v81 :: v_dual_sub_f32 v71, v71, v82
	v_sub_f32_e32 v87, v84, v86
	s_delay_alu instid0(VALU_DEP_2) | instskip(NEXT) | instid1(VALU_DEP_2)
	v_dual_sub_f32 v82, v83, v86 :: v_dual_add_f32 v83, v70, v71
	v_sub_f32_e32 v81, v81, v87
	s_delay_alu instid0(VALU_DEP_1) | instskip(NEXT) | instid1(VALU_DEP_1)
	v_dual_add_f32 v81, v82, v81 :: v_dual_sub_f32 v82, v83, v70
	v_add_f32_e32 v81, v83, v81
	s_delay_alu instid0(VALU_DEP_2) | instskip(SKIP_1) | instid1(VALU_DEP_2)
	v_sub_f32_e32 v83, v83, v82
	v_sub_f32_e32 v71, v71, v82
	v_dual_add_f32 v85, v84, v81 :: v_dual_sub_f32 v70, v70, v83
	s_delay_alu instid0(VALU_DEP_1) | instskip(NEXT) | instid1(VALU_DEP_2)
	v_sub_f32_e32 v82, v85, v84
	v_add_f32_e32 v70, v71, v70
	s_delay_alu instid0(VALU_DEP_2) | instskip(NEXT) | instid1(VALU_DEP_1)
	v_sub_f32_e32 v71, v81, v82
	v_add_f32_e32 v70, v70, v71
	s_delay_alu instid0(VALU_DEP_1) | instskip(NEXT) | instid1(VALU_DEP_1)
	v_add_f32_e32 v70, v85, v70
	v_cndmask_b32_e32 v70, v70, v80, vcc_lo
	s_delay_alu instid0(VALU_DEP_1)
	v_add_f32_e32 v70, v69, v70
.LBB521_214:
	s_or_b32 exec_lo, exec_lo, s3
	s_delay_alu instid0(VALU_DEP_1) | instskip(SKIP_1) | instid1(VALU_DEP_2)
	v_bfe_u32 v69, v70, 16, 1
	v_cmp_o_f32_e32 vcc_lo, v70, v70
	v_add3_u32 v69, v70, v69, 0x7fff
	s_delay_alu instid0(VALU_DEP_1) | instskip(NEXT) | instid1(VALU_DEP_1)
	v_lshrrev_b32_e32 v69, 16, v69
	v_cndmask_b32_e32 v69, 0x7fc0, v69, vcc_lo
	s_delay_alu instid0(VALU_DEP_1) | instskip(NEXT) | instid1(VALU_DEP_1)
	v_lshlrev_b32_e32 v71, 16, v69
	v_max_f32_e32 v70, v71, v71
	s_delay_alu instid0(VALU_DEP_1) | instskip(SKIP_2) | instid1(VALU_DEP_3)
	v_min_f32_e32 v80, v70, v112
	v_max_f32_e32 v70, v70, v112
	v_cmp_u_f32_e32 vcc_lo, v71, v71
	v_cndmask_b32_e32 v80, v80, v71, vcc_lo
	s_delay_alu instid0(VALU_DEP_3) | instskip(NEXT) | instid1(VALU_DEP_2)
	v_cndmask_b32_e32 v70, v70, v71, vcc_lo
	v_cndmask_b32_e64 v80, v80, v99, s14
	s_delay_alu instid0(VALU_DEP_2) | instskip(NEXT) | instid1(VALU_DEP_2)
	v_cndmask_b32_e64 v70, v70, v99, s14
	v_cmp_class_f32_e64 s3, v80, 0x1f8
	s_delay_alu instid0(VALU_DEP_2) | instskip(NEXT) | instid1(VALU_DEP_2)
	v_cmp_neq_f32_e32 vcc_lo, v80, v70
	s_or_b32 s4, vcc_lo, s3
	s_delay_alu instid0(SALU_CYCLE_1)
	s_and_saveexec_b32 s3, s4
	s_cbranch_execz .LBB521_216
; %bb.215:
	v_sub_f32_e32 v71, v80, v70
	s_mov_b32 s4, 0x3e9b6dac
	s_delay_alu instid0(VALU_DEP_1) | instskip(SKIP_1) | instid1(VALU_DEP_2)
	v_mul_f32_e32 v80, 0x3fb8aa3b, v71
	v_cmp_ngt_f32_e32 vcc_lo, 0xc2ce8ed0, v71
	v_fma_f32 v81, 0x3fb8aa3b, v71, -v80
	v_rndne_f32_e32 v82, v80
	s_delay_alu instid0(VALU_DEP_1) | instskip(NEXT) | instid1(VALU_DEP_1)
	v_dual_fmamk_f32 v81, v71, 0x32a5705f, v81 :: v_dual_sub_f32 v80, v80, v82
	v_add_f32_e32 v80, v80, v81
	v_cvt_i32_f32_e32 v81, v82
	s_delay_alu instid0(VALU_DEP_2) | instskip(SKIP_2) | instid1(VALU_DEP_1)
	v_exp_f32_e32 v80, v80
	s_waitcnt_depctr 0xfff
	v_ldexp_f32 v80, v80, v81
	v_cndmask_b32_e32 v80, 0, v80, vcc_lo
	v_cmp_nlt_f32_e32 vcc_lo, 0x42b17218, v71
	s_delay_alu instid0(VALU_DEP_2) | instskip(NEXT) | instid1(VALU_DEP_1)
	v_cndmask_b32_e32 v71, 0x7f800000, v80, vcc_lo
	v_add_f32_e32 v82, 1.0, v71
	s_delay_alu instid0(VALU_DEP_1) | instskip(NEXT) | instid1(VALU_DEP_1)
	v_cvt_f64_f32_e32 v[80:81], v82
	v_frexp_exp_i32_f64_e32 v80, v[80:81]
	v_frexp_mant_f32_e32 v81, v82
	s_delay_alu instid0(VALU_DEP_1) | instskip(SKIP_1) | instid1(VALU_DEP_1)
	v_cmp_gt_f32_e32 vcc_lo, 0x3f2aaaab, v81
	v_add_f32_e32 v81, -1.0, v82
	v_dual_sub_f32 v84, v81, v82 :: v_dual_sub_f32 v81, v71, v81
	v_subrev_co_ci_u32_e32 v80, vcc_lo, 0, v80, vcc_lo
	v_cmp_eq_f32_e32 vcc_lo, 0x7f800000, v71
	s_delay_alu instid0(VALU_DEP_2) | instskip(SKIP_1) | instid1(VALU_DEP_2)
	v_sub_nc_u32_e32 v83, 0, v80
	v_cvt_f32_i32_e32 v80, v80
	v_ldexp_f32 v82, v82, v83
	s_delay_alu instid0(VALU_DEP_1) | instskip(NEXT) | instid1(VALU_DEP_1)
	v_dual_add_f32 v84, 1.0, v84 :: v_dual_add_f32 v85, 1.0, v82
	v_dual_add_f32 v81, v81, v84 :: v_dual_add_f32 v84, -1.0, v85
	s_delay_alu instid0(VALU_DEP_1) | instskip(NEXT) | instid1(VALU_DEP_2)
	v_ldexp_f32 v81, v81, v83
	v_dual_add_f32 v83, -1.0, v82 :: v_dual_sub_f32 v84, v82, v84
	s_delay_alu instid0(VALU_DEP_1) | instskip(NEXT) | instid1(VALU_DEP_2)
	v_add_f32_e32 v86, 1.0, v83
	v_add_f32_e32 v84, v81, v84
	s_delay_alu instid0(VALU_DEP_2) | instskip(NEXT) | instid1(VALU_DEP_1)
	v_sub_f32_e32 v82, v82, v86
	v_add_f32_e32 v81, v81, v82
	s_delay_alu instid0(VALU_DEP_1) | instskip(NEXT) | instid1(VALU_DEP_1)
	v_dual_add_f32 v87, v83, v81 :: v_dual_add_f32 v86, v85, v84
	v_sub_f32_e32 v83, v83, v87
	s_delay_alu instid0(VALU_DEP_2) | instskip(SKIP_1) | instid1(VALU_DEP_1)
	v_rcp_f32_e32 v82, v86
	v_sub_f32_e32 v85, v85, v86
	v_dual_add_f32 v81, v81, v83 :: v_dual_add_f32 v84, v84, v85
	s_waitcnt_depctr 0xfff
	v_mul_f32_e32 v96, v87, v82
	s_delay_alu instid0(VALU_DEP_1) | instskip(NEXT) | instid1(VALU_DEP_1)
	v_mul_f32_e32 v97, v86, v96
	v_fma_f32 v85, v96, v86, -v97
	s_delay_alu instid0(VALU_DEP_1) | instskip(NEXT) | instid1(VALU_DEP_1)
	v_fmac_f32_e32 v85, v96, v84
	v_add_f32_e32 v98, v97, v85
	s_delay_alu instid0(VALU_DEP_1) | instskip(NEXT) | instid1(VALU_DEP_1)
	v_sub_f32_e32 v99, v87, v98
	v_sub_f32_e32 v87, v87, v99
	;; [unrolled: 1-line block ×3, first 2 shown]
	s_delay_alu instid0(VALU_DEP_2) | instskip(NEXT) | instid1(VALU_DEP_2)
	v_sub_f32_e32 v87, v87, v98
	v_sub_f32_e32 v83, v83, v85
	s_delay_alu instid0(VALU_DEP_2) | instskip(NEXT) | instid1(VALU_DEP_1)
	v_add_f32_e32 v81, v81, v87
	v_add_f32_e32 v81, v83, v81
	s_delay_alu instid0(VALU_DEP_1) | instskip(NEXT) | instid1(VALU_DEP_1)
	v_add_f32_e32 v83, v99, v81
	v_mul_f32_e32 v85, v82, v83
	s_delay_alu instid0(VALU_DEP_1) | instskip(NEXT) | instid1(VALU_DEP_1)
	v_dual_sub_f32 v98, v99, v83 :: v_dual_mul_f32 v87, v86, v85
	v_add_f32_e32 v81, v81, v98
	s_delay_alu instid0(VALU_DEP_2) | instskip(NEXT) | instid1(VALU_DEP_1)
	v_fma_f32 v86, v85, v86, -v87
	v_fmac_f32_e32 v86, v85, v84
	s_delay_alu instid0(VALU_DEP_1) | instskip(NEXT) | instid1(VALU_DEP_1)
	v_add_f32_e32 v84, v87, v86
	v_sub_f32_e32 v97, v83, v84
	v_sub_f32_e32 v87, v84, v87
	s_delay_alu instid0(VALU_DEP_2) | instskip(NEXT) | instid1(VALU_DEP_1)
	v_sub_f32_e32 v83, v83, v97
	v_sub_f32_e32 v83, v83, v84
	s_delay_alu instid0(VALU_DEP_1) | instskip(SKIP_1) | instid1(VALU_DEP_1)
	v_dual_sub_f32 v84, v87, v86 :: v_dual_add_f32 v81, v81, v83
	v_add_f32_e32 v83, v96, v85
	v_dual_add_f32 v81, v84, v81 :: v_dual_sub_f32 v84, v83, v96
	s_delay_alu instid0(VALU_DEP_1) | instskip(NEXT) | instid1(VALU_DEP_1)
	v_add_f32_e32 v81, v97, v81
	v_dual_sub_f32 v84, v85, v84 :: v_dual_mul_f32 v81, v82, v81
	s_delay_alu instid0(VALU_DEP_1) | instskip(NEXT) | instid1(VALU_DEP_1)
	v_add_f32_e32 v81, v84, v81
	v_add_f32_e32 v82, v83, v81
	s_delay_alu instid0(VALU_DEP_1) | instskip(NEXT) | instid1(VALU_DEP_1)
	v_mul_f32_e32 v84, v82, v82
	v_fmaak_f32 v85, s4, v84, 0x3ecc95a3
	v_mul_f32_e32 v86, v82, v84
	v_cmp_gt_f32_e64 s4, 0x33800000, |v71|
	s_delay_alu instid0(VALU_DEP_3) | instskip(SKIP_2) | instid1(VALU_DEP_4)
	v_fmaak_f32 v84, v84, v85, 0x3f2aaada
	v_ldexp_f32 v85, v82, 1
	v_sub_f32_e32 v82, v82, v83
	s_or_b32 vcc_lo, vcc_lo, s4
	s_delay_alu instid0(VALU_DEP_3) | instskip(NEXT) | instid1(VALU_DEP_2)
	v_mul_f32_e32 v84, v86, v84
	v_dual_mul_f32 v86, 0x3f317218, v80 :: v_dual_sub_f32 v81, v81, v82
	s_delay_alu instid0(VALU_DEP_2) | instskip(NEXT) | instid1(VALU_DEP_2)
	v_add_f32_e32 v83, v85, v84
	v_ldexp_f32 v81, v81, 1
	s_delay_alu instid0(VALU_DEP_2) | instskip(NEXT) | instid1(VALU_DEP_4)
	v_sub_f32_e32 v82, v83, v85
	v_fma_f32 v85, 0x3f317218, v80, -v86
	s_delay_alu instid0(VALU_DEP_2) | instskip(NEXT) | instid1(VALU_DEP_1)
	v_sub_f32_e32 v82, v84, v82
	v_dual_fmamk_f32 v80, v80, 0xb102e308, v85 :: v_dual_add_f32 v81, v81, v82
	s_delay_alu instid0(VALU_DEP_1) | instskip(NEXT) | instid1(VALU_DEP_1)
	v_add_f32_e32 v82, v86, v80
	v_sub_f32_e32 v86, v82, v86
	s_delay_alu instid0(VALU_DEP_1) | instskip(NEXT) | instid1(VALU_DEP_4)
	v_sub_f32_e32 v80, v80, v86
	v_add_f32_e32 v84, v83, v81
	s_delay_alu instid0(VALU_DEP_1) | instskip(NEXT) | instid1(VALU_DEP_1)
	v_sub_f32_e32 v83, v84, v83
	v_sub_f32_e32 v81, v81, v83
	v_add_f32_e32 v85, v82, v84
	s_delay_alu instid0(VALU_DEP_1) | instskip(NEXT) | instid1(VALU_DEP_1)
	v_sub_f32_e32 v87, v85, v82
	v_sub_f32_e32 v83, v84, v87
	s_delay_alu instid0(VALU_DEP_4) | instskip(SKIP_1) | instid1(VALU_DEP_1)
	v_add_f32_e32 v84, v80, v81
	v_sub_f32_e32 v96, v85, v87
	v_sub_f32_e32 v82, v82, v96
	s_delay_alu instid0(VALU_DEP_1) | instskip(NEXT) | instid1(VALU_DEP_1)
	v_dual_add_f32 v82, v83, v82 :: v_dual_sub_f32 v83, v84, v80
	v_dual_add_f32 v82, v84, v82 :: v_dual_sub_f32 v81, v81, v83
	v_sub_f32_e32 v84, v84, v83
	s_delay_alu instid0(VALU_DEP_2) | instskip(NEXT) | instid1(VALU_DEP_1)
	v_add_f32_e32 v86, v85, v82
	v_dual_sub_f32 v80, v80, v84 :: v_dual_sub_f32 v83, v86, v85
	s_delay_alu instid0(VALU_DEP_1) | instskip(NEXT) | instid1(VALU_DEP_1)
	v_dual_add_f32 v80, v81, v80 :: v_dual_sub_f32 v81, v82, v83
	v_add_f32_e32 v80, v80, v81
	s_delay_alu instid0(VALU_DEP_1) | instskip(NEXT) | instid1(VALU_DEP_1)
	v_add_f32_e32 v80, v86, v80
	v_cndmask_b32_e32 v71, v80, v71, vcc_lo
	s_delay_alu instid0(VALU_DEP_1)
	v_add_f32_e32 v71, v70, v71
.LBB521_216:
	s_or_b32 exec_lo, exec_lo, s3
	s_delay_alu instid0(VALU_DEP_1) | instskip(SKIP_1) | instid1(VALU_DEP_2)
	v_bfe_u32 v70, v71, 16, 1
	v_cmp_o_f32_e32 vcc_lo, v71, v71
	v_add3_u32 v70, v71, v70, 0x7fff
	s_delay_alu instid0(VALU_DEP_1) | instskip(NEXT) | instid1(VALU_DEP_1)
	v_lshrrev_b32_e32 v70, 16, v70
	v_cndmask_b32_e32 v70, 0x7fc0, v70, vcc_lo
	s_delay_alu instid0(VALU_DEP_1) | instskip(NEXT) | instid1(VALU_DEP_1)
	v_lshlrev_b32_e32 v80, 16, v70
	v_max_f32_e32 v71, v80, v80
	v_cmp_u_f32_e32 vcc_lo, v80, v80
	s_delay_alu instid0(VALU_DEP_2) | instskip(SKIP_1) | instid1(VALU_DEP_2)
	v_min_f32_e32 v81, v71, v114
	v_max_f32_e32 v71, v71, v114
	v_cndmask_b32_e32 v81, v81, v80, vcc_lo
	s_delay_alu instid0(VALU_DEP_2) | instskip(NEXT) | instid1(VALU_DEP_2)
	v_cndmask_b32_e32 v71, v71, v80, vcc_lo
	v_cndmask_b32_e64 v81, v81, v101, s15
	s_delay_alu instid0(VALU_DEP_2) | instskip(NEXT) | instid1(VALU_DEP_2)
	v_cndmask_b32_e64 v71, v71, v101, s15
	v_cmp_class_f32_e64 s3, v81, 0x1f8
	s_delay_alu instid0(VALU_DEP_2) | instskip(NEXT) | instid1(VALU_DEP_2)
	v_cmp_neq_f32_e32 vcc_lo, v81, v71
	s_or_b32 s4, vcc_lo, s3
	s_delay_alu instid0(SALU_CYCLE_1)
	s_and_saveexec_b32 s3, s4
	s_cbranch_execz .LBB521_218
; %bb.217:
	v_sub_f32_e32 v80, v81, v71
	s_mov_b32 s4, 0x3e9b6dac
	s_delay_alu instid0(VALU_DEP_1) | instskip(SKIP_1) | instid1(VALU_DEP_2)
	v_mul_f32_e32 v81, 0x3fb8aa3b, v80
	v_cmp_ngt_f32_e32 vcc_lo, 0xc2ce8ed0, v80
	v_fma_f32 v82, 0x3fb8aa3b, v80, -v81
	v_rndne_f32_e32 v83, v81
	s_delay_alu instid0(VALU_DEP_1) | instskip(NEXT) | instid1(VALU_DEP_1)
	v_dual_fmamk_f32 v82, v80, 0x32a5705f, v82 :: v_dual_sub_f32 v81, v81, v83
	v_add_f32_e32 v81, v81, v82
	v_cvt_i32_f32_e32 v82, v83
	s_delay_alu instid0(VALU_DEP_2) | instskip(SKIP_2) | instid1(VALU_DEP_1)
	v_exp_f32_e32 v81, v81
	s_waitcnt_depctr 0xfff
	v_ldexp_f32 v81, v81, v82
	v_cndmask_b32_e32 v81, 0, v81, vcc_lo
	v_cmp_nlt_f32_e32 vcc_lo, 0x42b17218, v80
	s_delay_alu instid0(VALU_DEP_2) | instskip(NEXT) | instid1(VALU_DEP_1)
	v_cndmask_b32_e32 v82, 0x7f800000, v81, vcc_lo
	v_add_f32_e32 v83, 1.0, v82
	s_delay_alu instid0(VALU_DEP_1) | instskip(NEXT) | instid1(VALU_DEP_1)
	v_cvt_f64_f32_e32 v[80:81], v83
	v_frexp_exp_i32_f64_e32 v80, v[80:81]
	v_frexp_mant_f32_e32 v81, v83
	s_delay_alu instid0(VALU_DEP_1) | instskip(SKIP_1) | instid1(VALU_DEP_1)
	v_cmp_gt_f32_e32 vcc_lo, 0x3f2aaaab, v81
	v_add_f32_e32 v81, -1.0, v83
	v_sub_f32_e32 v85, v81, v83
	v_sub_f32_e32 v81, v82, v81
	v_subrev_co_ci_u32_e32 v80, vcc_lo, 0, v80, vcc_lo
	v_cmp_eq_f32_e32 vcc_lo, 0x7f800000, v82
	s_delay_alu instid0(VALU_DEP_2) | instskip(SKIP_1) | instid1(VALU_DEP_2)
	v_sub_nc_u32_e32 v84, 0, v80
	v_cvt_f32_i32_e32 v80, v80
	v_ldexp_f32 v83, v83, v84
	s_delay_alu instid0(VALU_DEP_1) | instskip(NEXT) | instid1(VALU_DEP_1)
	v_dual_add_f32 v86, 1.0, v83 :: v_dual_add_f32 v85, 1.0, v85
	v_add_f32_e32 v81, v81, v85
	s_delay_alu instid0(VALU_DEP_2) | instskip(NEXT) | instid1(VALU_DEP_2)
	v_add_f32_e32 v85, -1.0, v86
	v_ldexp_f32 v81, v81, v84
	s_delay_alu instid0(VALU_DEP_2) | instskip(NEXT) | instid1(VALU_DEP_1)
	v_dual_add_f32 v84, -1.0, v83 :: v_dual_sub_f32 v85, v83, v85
	v_add_f32_e32 v87, 1.0, v84
	s_delay_alu instid0(VALU_DEP_2) | instskip(NEXT) | instid1(VALU_DEP_2)
	v_add_f32_e32 v85, v81, v85
	v_sub_f32_e32 v83, v83, v87
	s_delay_alu instid0(VALU_DEP_2) | instskip(NEXT) | instid1(VALU_DEP_2)
	v_add_f32_e32 v87, v86, v85
	v_add_f32_e32 v81, v81, v83
	s_delay_alu instid0(VALU_DEP_2) | instskip(SKIP_1) | instid1(VALU_DEP_1)
	v_rcp_f32_e32 v83, v87
	v_sub_f32_e32 v86, v86, v87
	v_dual_add_f32 v96, v84, v81 :: v_dual_add_f32 v85, v85, v86
	s_delay_alu instid0(VALU_DEP_1) | instskip(SKIP_2) | instid1(VALU_DEP_1)
	v_sub_f32_e32 v84, v84, v96
	s_waitcnt_depctr 0xfff
	v_mul_f32_e32 v97, v96, v83
	v_dual_add_f32 v81, v81, v84 :: v_dual_mul_f32 v98, v87, v97
	s_delay_alu instid0(VALU_DEP_1) | instskip(NEXT) | instid1(VALU_DEP_1)
	v_fma_f32 v86, v97, v87, -v98
	v_fmac_f32_e32 v86, v97, v85
	s_delay_alu instid0(VALU_DEP_1) | instskip(NEXT) | instid1(VALU_DEP_1)
	v_add_f32_e32 v99, v98, v86
	v_sub_f32_e32 v100, v96, v99
	v_sub_f32_e32 v84, v99, v98
	s_delay_alu instid0(VALU_DEP_2) | instskip(NEXT) | instid1(VALU_DEP_2)
	v_sub_f32_e32 v96, v96, v100
	v_sub_f32_e32 v84, v84, v86
	s_delay_alu instid0(VALU_DEP_2) | instskip(NEXT) | instid1(VALU_DEP_1)
	v_sub_f32_e32 v96, v96, v99
	v_add_f32_e32 v81, v81, v96
	s_delay_alu instid0(VALU_DEP_1) | instskip(NEXT) | instid1(VALU_DEP_1)
	v_add_f32_e32 v81, v84, v81
	v_add_f32_e32 v84, v100, v81
	s_delay_alu instid0(VALU_DEP_1) | instskip(NEXT) | instid1(VALU_DEP_1)
	v_mul_f32_e32 v86, v83, v84
	v_dual_sub_f32 v99, v100, v84 :: v_dual_mul_f32 v96, v87, v86
	s_delay_alu instid0(VALU_DEP_1) | instskip(NEXT) | instid1(VALU_DEP_2)
	v_add_f32_e32 v81, v81, v99
	v_fma_f32 v87, v86, v87, -v96
	s_delay_alu instid0(VALU_DEP_1) | instskip(NEXT) | instid1(VALU_DEP_1)
	v_fmac_f32_e32 v87, v86, v85
	v_add_f32_e32 v85, v96, v87
	s_delay_alu instid0(VALU_DEP_1) | instskip(SKIP_1) | instid1(VALU_DEP_2)
	v_sub_f32_e32 v98, v84, v85
	v_sub_f32_e32 v96, v85, v96
	;; [unrolled: 1-line block ×3, first 2 shown]
	s_delay_alu instid0(VALU_DEP_1) | instskip(NEXT) | instid1(VALU_DEP_3)
	v_sub_f32_e32 v84, v84, v85
	v_sub_f32_e32 v85, v96, v87
	s_delay_alu instid0(VALU_DEP_2) | instskip(SKIP_1) | instid1(VALU_DEP_2)
	v_add_f32_e32 v81, v81, v84
	v_add_f32_e32 v84, v97, v86
	;; [unrolled: 1-line block ×3, first 2 shown]
	s_delay_alu instid0(VALU_DEP_2) | instskip(NEXT) | instid1(VALU_DEP_2)
	v_sub_f32_e32 v85, v84, v97
	v_add_f32_e32 v81, v98, v81
	s_delay_alu instid0(VALU_DEP_2) | instskip(NEXT) | instid1(VALU_DEP_2)
	v_sub_f32_e32 v85, v86, v85
	v_mul_f32_e32 v81, v83, v81
	s_delay_alu instid0(VALU_DEP_1) | instskip(NEXT) | instid1(VALU_DEP_1)
	v_add_f32_e32 v81, v85, v81
	v_add_f32_e32 v83, v84, v81
	s_delay_alu instid0(VALU_DEP_1) | instskip(NEXT) | instid1(VALU_DEP_1)
	v_mul_f32_e32 v85, v83, v83
	v_fmaak_f32 v86, s4, v85, 0x3ecc95a3
	v_mul_f32_e32 v87, v83, v85
	v_cmp_gt_f32_e64 s4, 0x33800000, |v82|
	s_delay_alu instid0(VALU_DEP_3) | instskip(SKIP_2) | instid1(VALU_DEP_4)
	v_fmaak_f32 v85, v85, v86, 0x3f2aaada
	v_ldexp_f32 v86, v83, 1
	v_sub_f32_e32 v83, v83, v84
	s_or_b32 vcc_lo, vcc_lo, s4
	s_delay_alu instid0(VALU_DEP_3) | instskip(SKIP_1) | instid1(VALU_DEP_2)
	v_mul_f32_e32 v85, v87, v85
	v_mul_f32_e32 v87, 0x3f317218, v80
	v_dual_sub_f32 v81, v81, v83 :: v_dual_add_f32 v84, v86, v85
	s_delay_alu instid0(VALU_DEP_1) | instskip(NEXT) | instid1(VALU_DEP_2)
	v_ldexp_f32 v81, v81, 1
	v_sub_f32_e32 v83, v84, v86
	s_delay_alu instid0(VALU_DEP_4) | instskip(NEXT) | instid1(VALU_DEP_1)
	v_fma_f32 v86, 0x3f317218, v80, -v87
	v_dual_sub_f32 v83, v85, v83 :: v_dual_fmamk_f32 v80, v80, 0xb102e308, v86
	s_delay_alu instid0(VALU_DEP_1) | instskip(NEXT) | instid1(VALU_DEP_2)
	v_add_f32_e32 v81, v81, v83
	v_add_f32_e32 v83, v87, v80
	s_delay_alu instid0(VALU_DEP_2) | instskip(NEXT) | instid1(VALU_DEP_2)
	v_add_f32_e32 v85, v84, v81
	v_sub_f32_e32 v87, v83, v87
	s_delay_alu instid0(VALU_DEP_2) | instskip(SKIP_1) | instid1(VALU_DEP_3)
	v_add_f32_e32 v86, v83, v85
	v_sub_f32_e32 v84, v85, v84
	v_sub_f32_e32 v80, v80, v87
	s_delay_alu instid0(VALU_DEP_2) | instskip(NEXT) | instid1(VALU_DEP_1)
	v_dual_sub_f32 v96, v86, v83 :: v_dual_sub_f32 v81, v81, v84
	v_sub_f32_e32 v97, v86, v96
	s_delay_alu instid0(VALU_DEP_2) | instskip(NEXT) | instid1(VALU_DEP_2)
	v_dual_sub_f32 v84, v85, v96 :: v_dual_add_f32 v85, v80, v81
	v_sub_f32_e32 v83, v83, v97
	s_delay_alu instid0(VALU_DEP_1) | instskip(NEXT) | instid1(VALU_DEP_1)
	v_dual_add_f32 v83, v84, v83 :: v_dual_sub_f32 v84, v85, v80
	v_add_f32_e32 v83, v85, v83
	s_delay_alu instid0(VALU_DEP_2) | instskip(SKIP_1) | instid1(VALU_DEP_2)
	v_sub_f32_e32 v85, v85, v84
	v_sub_f32_e32 v81, v81, v84
	v_dual_add_f32 v87, v86, v83 :: v_dual_sub_f32 v80, v80, v85
	s_delay_alu instid0(VALU_DEP_1) | instskip(NEXT) | instid1(VALU_DEP_2)
	v_sub_f32_e32 v84, v87, v86
	v_add_f32_e32 v80, v81, v80
	s_delay_alu instid0(VALU_DEP_2) | instskip(NEXT) | instid1(VALU_DEP_1)
	v_sub_f32_e32 v81, v83, v84
	v_add_f32_e32 v80, v80, v81
	s_delay_alu instid0(VALU_DEP_1) | instskip(NEXT) | instid1(VALU_DEP_1)
	v_add_f32_e32 v80, v87, v80
	v_cndmask_b32_e32 v80, v80, v82, vcc_lo
	s_delay_alu instid0(VALU_DEP_1)
	v_add_f32_e32 v80, v71, v80
.LBB521_218:
	s_or_b32 exec_lo, exec_lo, s3
	s_delay_alu instid0(VALU_DEP_1) | instskip(SKIP_1) | instid1(VALU_DEP_2)
	v_bfe_u32 v71, v80, 16, 1
	v_cmp_o_f32_e32 vcc_lo, v80, v80
	v_add3_u32 v71, v80, v71, 0x7fff
	s_delay_alu instid0(VALU_DEP_1) | instskip(NEXT) | instid1(VALU_DEP_1)
	v_lshrrev_b32_e32 v71, 16, v71
	v_cndmask_b32_e32 v71, 0x7fc0, v71, vcc_lo
	s_delay_alu instid0(VALU_DEP_1) | instskip(NEXT) | instid1(VALU_DEP_1)
	v_lshlrev_b32_e32 v81, 16, v71
	v_max_f32_e32 v80, v81, v81
	s_delay_alu instid0(VALU_DEP_1) | instskip(SKIP_2) | instid1(VALU_DEP_3)
	v_min_f32_e32 v82, v80, v116
	v_max_f32_e32 v80, v80, v116
	v_cmp_u_f32_e32 vcc_lo, v81, v81
	v_cndmask_b32_e32 v82, v82, v81, vcc_lo
	s_delay_alu instid0(VALU_DEP_3) | instskip(NEXT) | instid1(VALU_DEP_2)
	v_cndmask_b32_e32 v80, v80, v81, vcc_lo
	v_cndmask_b32_e64 v82, v82, v103, s16
	s_delay_alu instid0(VALU_DEP_2) | instskip(NEXT) | instid1(VALU_DEP_2)
	v_cndmask_b32_e64 v80, v80, v103, s16
	v_cmp_class_f32_e64 s3, v82, 0x1f8
	s_delay_alu instid0(VALU_DEP_2) | instskip(NEXT) | instid1(VALU_DEP_2)
	v_cmp_neq_f32_e32 vcc_lo, v82, v80
	s_or_b32 s4, vcc_lo, s3
	s_delay_alu instid0(SALU_CYCLE_1)
	s_and_saveexec_b32 s3, s4
	s_cbranch_execz .LBB521_220
; %bb.219:
	v_sub_f32_e32 v81, v82, v80
	s_mov_b32 s4, 0x3e9b6dac
	s_delay_alu instid0(VALU_DEP_1) | instskip(SKIP_1) | instid1(VALU_DEP_2)
	v_mul_f32_e32 v82, 0x3fb8aa3b, v81
	v_cmp_ngt_f32_e32 vcc_lo, 0xc2ce8ed0, v81
	v_fma_f32 v83, 0x3fb8aa3b, v81, -v82
	v_rndne_f32_e32 v84, v82
	s_delay_alu instid0(VALU_DEP_1) | instskip(NEXT) | instid1(VALU_DEP_1)
	v_dual_fmamk_f32 v83, v81, 0x32a5705f, v83 :: v_dual_sub_f32 v82, v82, v84
	v_add_f32_e32 v82, v82, v83
	v_cvt_i32_f32_e32 v83, v84
	s_delay_alu instid0(VALU_DEP_2) | instskip(SKIP_2) | instid1(VALU_DEP_1)
	v_exp_f32_e32 v82, v82
	s_waitcnt_depctr 0xfff
	v_ldexp_f32 v82, v82, v83
	v_cndmask_b32_e32 v82, 0, v82, vcc_lo
	v_cmp_nlt_f32_e32 vcc_lo, 0x42b17218, v81
	s_delay_alu instid0(VALU_DEP_2) | instskip(NEXT) | instid1(VALU_DEP_1)
	v_cndmask_b32_e32 v83, 0x7f800000, v82, vcc_lo
	v_add_f32_e32 v84, 1.0, v83
	s_delay_alu instid0(VALU_DEP_1) | instskip(NEXT) | instid1(VALU_DEP_1)
	v_cvt_f64_f32_e32 v[81:82], v84
	v_frexp_exp_i32_f64_e32 v81, v[81:82]
	v_frexp_mant_f32_e32 v82, v84
	s_delay_alu instid0(VALU_DEP_1) | instskip(SKIP_1) | instid1(VALU_DEP_1)
	v_cmp_gt_f32_e32 vcc_lo, 0x3f2aaaab, v82
	v_add_f32_e32 v82, -1.0, v84
	v_sub_f32_e32 v86, v82, v84
	v_sub_f32_e32 v82, v83, v82
	v_subrev_co_ci_u32_e32 v81, vcc_lo, 0, v81, vcc_lo
	v_cmp_eq_f32_e32 vcc_lo, 0x7f800000, v83
	s_delay_alu instid0(VALU_DEP_2) | instskip(SKIP_1) | instid1(VALU_DEP_2)
	v_sub_nc_u32_e32 v85, 0, v81
	v_cvt_f32_i32_e32 v81, v81
	v_ldexp_f32 v84, v84, v85
	s_delay_alu instid0(VALU_DEP_1) | instskip(NEXT) | instid1(VALU_DEP_1)
	v_dual_add_f32 v87, 1.0, v84 :: v_dual_add_f32 v86, 1.0, v86
	v_add_f32_e32 v82, v82, v86
	s_delay_alu instid0(VALU_DEP_2) | instskip(NEXT) | instid1(VALU_DEP_2)
	v_add_f32_e32 v86, -1.0, v87
	v_ldexp_f32 v82, v82, v85
	s_delay_alu instid0(VALU_DEP_2) | instskip(NEXT) | instid1(VALU_DEP_1)
	v_dual_add_f32 v85, -1.0, v84 :: v_dual_sub_f32 v86, v84, v86
	v_add_f32_e32 v96, 1.0, v85
	s_delay_alu instid0(VALU_DEP_2) | instskip(NEXT) | instid1(VALU_DEP_2)
	v_add_f32_e32 v86, v82, v86
	v_sub_f32_e32 v84, v84, v96
	s_delay_alu instid0(VALU_DEP_2) | instskip(NEXT) | instid1(VALU_DEP_2)
	v_add_f32_e32 v96, v87, v86
	v_add_f32_e32 v82, v82, v84
	s_delay_alu instid0(VALU_DEP_2) | instskip(SKIP_1) | instid1(VALU_DEP_1)
	v_rcp_f32_e32 v84, v96
	v_sub_f32_e32 v87, v87, v96
	v_dual_add_f32 v97, v85, v82 :: v_dual_add_f32 v86, v86, v87
	s_delay_alu instid0(VALU_DEP_1) | instskip(SKIP_2) | instid1(VALU_DEP_1)
	v_sub_f32_e32 v85, v85, v97
	s_waitcnt_depctr 0xfff
	v_mul_f32_e32 v98, v97, v84
	v_dual_add_f32 v82, v82, v85 :: v_dual_mul_f32 v99, v96, v98
	s_delay_alu instid0(VALU_DEP_1) | instskip(NEXT) | instid1(VALU_DEP_1)
	v_fma_f32 v87, v98, v96, -v99
	v_fmac_f32_e32 v87, v98, v86
	s_delay_alu instid0(VALU_DEP_1) | instskip(NEXT) | instid1(VALU_DEP_1)
	v_add_f32_e32 v100, v99, v87
	v_sub_f32_e32 v101, v97, v100
	v_sub_f32_e32 v85, v100, v99
	s_delay_alu instid0(VALU_DEP_2) | instskip(NEXT) | instid1(VALU_DEP_2)
	v_sub_f32_e32 v97, v97, v101
	v_sub_f32_e32 v85, v85, v87
	s_delay_alu instid0(VALU_DEP_2) | instskip(NEXT) | instid1(VALU_DEP_1)
	v_sub_f32_e32 v97, v97, v100
	v_add_f32_e32 v82, v82, v97
	s_delay_alu instid0(VALU_DEP_1) | instskip(NEXT) | instid1(VALU_DEP_1)
	v_add_f32_e32 v82, v85, v82
	v_add_f32_e32 v85, v101, v82
	s_delay_alu instid0(VALU_DEP_1) | instskip(NEXT) | instid1(VALU_DEP_1)
	v_mul_f32_e32 v87, v84, v85
	v_dual_sub_f32 v100, v101, v85 :: v_dual_mul_f32 v97, v96, v87
	s_delay_alu instid0(VALU_DEP_1) | instskip(NEXT) | instid1(VALU_DEP_2)
	v_add_f32_e32 v82, v82, v100
	v_fma_f32 v96, v87, v96, -v97
	s_delay_alu instid0(VALU_DEP_1) | instskip(NEXT) | instid1(VALU_DEP_1)
	v_fmac_f32_e32 v96, v87, v86
	v_add_f32_e32 v86, v97, v96
	s_delay_alu instid0(VALU_DEP_1) | instskip(SKIP_1) | instid1(VALU_DEP_2)
	v_sub_f32_e32 v99, v85, v86
	v_sub_f32_e32 v97, v86, v97
	;; [unrolled: 1-line block ×3, first 2 shown]
	s_delay_alu instid0(VALU_DEP_1) | instskip(NEXT) | instid1(VALU_DEP_3)
	v_sub_f32_e32 v85, v85, v86
	v_sub_f32_e32 v86, v97, v96
	s_delay_alu instid0(VALU_DEP_2) | instskip(SKIP_1) | instid1(VALU_DEP_2)
	v_add_f32_e32 v82, v82, v85
	v_add_f32_e32 v85, v98, v87
	;; [unrolled: 1-line block ×3, first 2 shown]
	s_delay_alu instid0(VALU_DEP_2) | instskip(NEXT) | instid1(VALU_DEP_2)
	v_sub_f32_e32 v86, v85, v98
	v_add_f32_e32 v82, v99, v82
	s_delay_alu instid0(VALU_DEP_2) | instskip(NEXT) | instid1(VALU_DEP_2)
	v_sub_f32_e32 v86, v87, v86
	v_mul_f32_e32 v82, v84, v82
	s_delay_alu instid0(VALU_DEP_1) | instskip(NEXT) | instid1(VALU_DEP_1)
	v_add_f32_e32 v82, v86, v82
	v_add_f32_e32 v84, v85, v82
	s_delay_alu instid0(VALU_DEP_1) | instskip(NEXT) | instid1(VALU_DEP_1)
	v_mul_f32_e32 v86, v84, v84
	v_fmaak_f32 v87, s4, v86, 0x3ecc95a3
	v_mul_f32_e32 v96, v84, v86
	v_cmp_gt_f32_e64 s4, 0x33800000, |v83|
	s_delay_alu instid0(VALU_DEP_3) | instskip(SKIP_2) | instid1(VALU_DEP_4)
	v_fmaak_f32 v86, v86, v87, 0x3f2aaada
	v_ldexp_f32 v87, v84, 1
	v_sub_f32_e32 v84, v84, v85
	s_or_b32 vcc_lo, vcc_lo, s4
	s_delay_alu instid0(VALU_DEP_3) | instskip(SKIP_1) | instid1(VALU_DEP_2)
	v_mul_f32_e32 v86, v96, v86
	v_mul_f32_e32 v96, 0x3f317218, v81
	v_dual_sub_f32 v82, v82, v84 :: v_dual_add_f32 v85, v87, v86
	s_delay_alu instid0(VALU_DEP_1) | instskip(NEXT) | instid1(VALU_DEP_2)
	v_ldexp_f32 v82, v82, 1
	v_sub_f32_e32 v84, v85, v87
	s_delay_alu instid0(VALU_DEP_4) | instskip(NEXT) | instid1(VALU_DEP_1)
	v_fma_f32 v87, 0x3f317218, v81, -v96
	v_dual_sub_f32 v84, v86, v84 :: v_dual_fmamk_f32 v81, v81, 0xb102e308, v87
	s_delay_alu instid0(VALU_DEP_1) | instskip(NEXT) | instid1(VALU_DEP_2)
	v_add_f32_e32 v82, v82, v84
	v_add_f32_e32 v84, v96, v81
	s_delay_alu instid0(VALU_DEP_2) | instskip(NEXT) | instid1(VALU_DEP_2)
	v_add_f32_e32 v86, v85, v82
	v_sub_f32_e32 v96, v84, v96
	s_delay_alu instid0(VALU_DEP_2) | instskip(SKIP_1) | instid1(VALU_DEP_3)
	v_add_f32_e32 v87, v84, v86
	v_sub_f32_e32 v85, v86, v85
	v_sub_f32_e32 v81, v81, v96
	s_delay_alu instid0(VALU_DEP_2) | instskip(NEXT) | instid1(VALU_DEP_1)
	v_dual_sub_f32 v97, v87, v84 :: v_dual_sub_f32 v82, v82, v85
	v_sub_f32_e32 v98, v87, v97
	s_delay_alu instid0(VALU_DEP_2) | instskip(NEXT) | instid1(VALU_DEP_2)
	v_dual_sub_f32 v85, v86, v97 :: v_dual_add_f32 v86, v81, v82
	v_sub_f32_e32 v84, v84, v98
	s_delay_alu instid0(VALU_DEP_1) | instskip(NEXT) | instid1(VALU_DEP_1)
	v_dual_add_f32 v84, v85, v84 :: v_dual_sub_f32 v85, v86, v81
	v_add_f32_e32 v84, v86, v84
	s_delay_alu instid0(VALU_DEP_2) | instskip(SKIP_1) | instid1(VALU_DEP_2)
	v_sub_f32_e32 v86, v86, v85
	v_sub_f32_e32 v82, v82, v85
	v_dual_add_f32 v96, v87, v84 :: v_dual_sub_f32 v81, v81, v86
	s_delay_alu instid0(VALU_DEP_1) | instskip(NEXT) | instid1(VALU_DEP_2)
	v_sub_f32_e32 v85, v96, v87
	v_add_f32_e32 v81, v82, v81
	s_delay_alu instid0(VALU_DEP_2) | instskip(NEXT) | instid1(VALU_DEP_1)
	v_sub_f32_e32 v82, v84, v85
	v_add_f32_e32 v81, v81, v82
	s_delay_alu instid0(VALU_DEP_1) | instskip(NEXT) | instid1(VALU_DEP_1)
	v_add_f32_e32 v81, v96, v81
	v_cndmask_b32_e32 v81, v81, v83, vcc_lo
	s_delay_alu instid0(VALU_DEP_1)
	v_add_f32_e32 v81, v80, v81
.LBB521_220:
	s_or_b32 exec_lo, exec_lo, s3
	s_delay_alu instid0(VALU_DEP_1) | instskip(SKIP_1) | instid1(VALU_DEP_2)
	v_bfe_u32 v80, v81, 16, 1
	v_cmp_o_f32_e32 vcc_lo, v81, v81
	v_add3_u32 v80, v81, v80, 0x7fff
	s_delay_alu instid0(VALU_DEP_1) | instskip(NEXT) | instid1(VALU_DEP_1)
	v_lshrrev_b32_e32 v80, 16, v80
	v_cndmask_b32_e32 v80, 0x7fc0, v80, vcc_lo
	s_delay_alu instid0(VALU_DEP_1) | instskip(NEXT) | instid1(VALU_DEP_1)
	v_lshlrev_b32_e32 v82, 16, v80
	v_max_f32_e32 v81, v82, v82
	s_delay_alu instid0(VALU_DEP_1) | instskip(SKIP_2) | instid1(VALU_DEP_3)
	v_min_f32_e32 v83, v81, v118
	v_max_f32_e32 v81, v81, v118
	v_cmp_u_f32_e32 vcc_lo, v82, v82
	v_cndmask_b32_e32 v83, v83, v82, vcc_lo
	s_delay_alu instid0(VALU_DEP_3) | instskip(NEXT) | instid1(VALU_DEP_2)
	v_cndmask_b32_e32 v81, v81, v82, vcc_lo
	v_cndmask_b32_e64 v83, v83, v113, s17
	s_delay_alu instid0(VALU_DEP_2) | instskip(NEXT) | instid1(VALU_DEP_2)
	v_cndmask_b32_e64 v81, v81, v113, s17
	v_cmp_class_f32_e64 s3, v83, 0x1f8
	s_delay_alu instid0(VALU_DEP_2) | instskip(NEXT) | instid1(VALU_DEP_2)
	v_cmp_neq_f32_e32 vcc_lo, v83, v81
	s_or_b32 s4, vcc_lo, s3
	s_delay_alu instid0(SALU_CYCLE_1)
	s_and_saveexec_b32 s3, s4
	s_cbranch_execz .LBB521_222
; %bb.221:
	v_sub_f32_e32 v82, v83, v81
	s_mov_b32 s4, 0x3e9b6dac
	s_delay_alu instid0(VALU_DEP_1) | instskip(SKIP_1) | instid1(VALU_DEP_2)
	v_mul_f32_e32 v83, 0x3fb8aa3b, v82
	v_cmp_ngt_f32_e32 vcc_lo, 0xc2ce8ed0, v82
	v_fma_f32 v84, 0x3fb8aa3b, v82, -v83
	v_rndne_f32_e32 v85, v83
	s_delay_alu instid0(VALU_DEP_1) | instskip(NEXT) | instid1(VALU_DEP_1)
	v_dual_fmamk_f32 v84, v82, 0x32a5705f, v84 :: v_dual_sub_f32 v83, v83, v85
	v_add_f32_e32 v83, v83, v84
	v_cvt_i32_f32_e32 v84, v85
	s_delay_alu instid0(VALU_DEP_2) | instskip(SKIP_2) | instid1(VALU_DEP_1)
	v_exp_f32_e32 v83, v83
	s_waitcnt_depctr 0xfff
	v_ldexp_f32 v83, v83, v84
	v_cndmask_b32_e32 v83, 0, v83, vcc_lo
	v_cmp_nlt_f32_e32 vcc_lo, 0x42b17218, v82
	s_delay_alu instid0(VALU_DEP_2) | instskip(NEXT) | instid1(VALU_DEP_1)
	v_cndmask_b32_e32 v84, 0x7f800000, v83, vcc_lo
	v_add_f32_e32 v85, 1.0, v84
	s_delay_alu instid0(VALU_DEP_1) | instskip(NEXT) | instid1(VALU_DEP_1)
	v_cvt_f64_f32_e32 v[82:83], v85
	v_frexp_exp_i32_f64_e32 v82, v[82:83]
	v_frexp_mant_f32_e32 v83, v85
	s_delay_alu instid0(VALU_DEP_1) | instskip(SKIP_1) | instid1(VALU_DEP_1)
	v_cmp_gt_f32_e32 vcc_lo, 0x3f2aaaab, v83
	v_add_f32_e32 v83, -1.0, v85
	v_sub_f32_e32 v87, v83, v85
	v_sub_f32_e32 v83, v84, v83
	v_subrev_co_ci_u32_e32 v82, vcc_lo, 0, v82, vcc_lo
	v_cmp_eq_f32_e32 vcc_lo, 0x7f800000, v84
	s_delay_alu instid0(VALU_DEP_2) | instskip(SKIP_1) | instid1(VALU_DEP_2)
	v_sub_nc_u32_e32 v86, 0, v82
	v_cvt_f32_i32_e32 v82, v82
	v_ldexp_f32 v85, v85, v86
	s_delay_alu instid0(VALU_DEP_1) | instskip(NEXT) | instid1(VALU_DEP_1)
	v_dual_add_f32 v96, 1.0, v85 :: v_dual_add_f32 v87, 1.0, v87
	v_add_f32_e32 v83, v83, v87
	s_delay_alu instid0(VALU_DEP_2) | instskip(NEXT) | instid1(VALU_DEP_2)
	v_add_f32_e32 v87, -1.0, v96
	v_ldexp_f32 v83, v83, v86
	s_delay_alu instid0(VALU_DEP_2) | instskip(NEXT) | instid1(VALU_DEP_1)
	v_dual_add_f32 v86, -1.0, v85 :: v_dual_sub_f32 v87, v85, v87
	v_add_f32_e32 v97, 1.0, v86
	s_delay_alu instid0(VALU_DEP_2) | instskip(NEXT) | instid1(VALU_DEP_2)
	v_add_f32_e32 v87, v83, v87
	v_sub_f32_e32 v85, v85, v97
	s_delay_alu instid0(VALU_DEP_2) | instskip(NEXT) | instid1(VALU_DEP_2)
	v_add_f32_e32 v97, v96, v87
	v_add_f32_e32 v83, v83, v85
	s_delay_alu instid0(VALU_DEP_2) | instskip(SKIP_1) | instid1(VALU_DEP_1)
	v_rcp_f32_e32 v85, v97
	v_sub_f32_e32 v96, v96, v97
	v_dual_add_f32 v98, v86, v83 :: v_dual_add_f32 v87, v87, v96
	s_delay_alu instid0(VALU_DEP_1) | instskip(SKIP_2) | instid1(VALU_DEP_1)
	v_sub_f32_e32 v86, v86, v98
	s_waitcnt_depctr 0xfff
	v_mul_f32_e32 v99, v98, v85
	v_dual_add_f32 v83, v83, v86 :: v_dual_mul_f32 v100, v97, v99
	s_delay_alu instid0(VALU_DEP_1) | instskip(NEXT) | instid1(VALU_DEP_1)
	v_fma_f32 v96, v99, v97, -v100
	v_fmac_f32_e32 v96, v99, v87
	s_delay_alu instid0(VALU_DEP_1) | instskip(NEXT) | instid1(VALU_DEP_1)
	v_add_f32_e32 v101, v100, v96
	v_sub_f32_e32 v102, v98, v101
	v_sub_f32_e32 v86, v101, v100
	s_delay_alu instid0(VALU_DEP_2) | instskip(NEXT) | instid1(VALU_DEP_2)
	v_sub_f32_e32 v98, v98, v102
	v_sub_f32_e32 v86, v86, v96
	s_delay_alu instid0(VALU_DEP_2) | instskip(NEXT) | instid1(VALU_DEP_1)
	v_sub_f32_e32 v98, v98, v101
	v_add_f32_e32 v83, v83, v98
	s_delay_alu instid0(VALU_DEP_1) | instskip(NEXT) | instid1(VALU_DEP_1)
	v_add_f32_e32 v83, v86, v83
	v_add_f32_e32 v86, v102, v83
	s_delay_alu instid0(VALU_DEP_1) | instskip(NEXT) | instid1(VALU_DEP_1)
	v_mul_f32_e32 v96, v85, v86
	v_dual_sub_f32 v101, v102, v86 :: v_dual_mul_f32 v98, v97, v96
	s_delay_alu instid0(VALU_DEP_1) | instskip(NEXT) | instid1(VALU_DEP_2)
	v_add_f32_e32 v83, v83, v101
	v_fma_f32 v97, v96, v97, -v98
	s_delay_alu instid0(VALU_DEP_1) | instskip(NEXT) | instid1(VALU_DEP_1)
	v_fmac_f32_e32 v97, v96, v87
	v_add_f32_e32 v87, v98, v97
	s_delay_alu instid0(VALU_DEP_1) | instskip(SKIP_1) | instid1(VALU_DEP_2)
	v_sub_f32_e32 v100, v86, v87
	v_sub_f32_e32 v98, v87, v98
	v_sub_f32_e32 v86, v86, v100
	s_delay_alu instid0(VALU_DEP_1) | instskip(NEXT) | instid1(VALU_DEP_3)
	v_sub_f32_e32 v86, v86, v87
	v_sub_f32_e32 v87, v98, v97
	s_delay_alu instid0(VALU_DEP_2) | instskip(SKIP_1) | instid1(VALU_DEP_2)
	v_add_f32_e32 v83, v83, v86
	v_add_f32_e32 v86, v99, v96
	;; [unrolled: 1-line block ×3, first 2 shown]
	s_delay_alu instid0(VALU_DEP_2) | instskip(NEXT) | instid1(VALU_DEP_2)
	v_sub_f32_e32 v87, v86, v99
	v_add_f32_e32 v83, v100, v83
	s_delay_alu instid0(VALU_DEP_2) | instskip(NEXT) | instid1(VALU_DEP_2)
	v_sub_f32_e32 v87, v96, v87
	v_mul_f32_e32 v83, v85, v83
	s_delay_alu instid0(VALU_DEP_1) | instskip(NEXT) | instid1(VALU_DEP_1)
	v_add_f32_e32 v83, v87, v83
	v_add_f32_e32 v85, v86, v83
	s_delay_alu instid0(VALU_DEP_1) | instskip(NEXT) | instid1(VALU_DEP_1)
	v_mul_f32_e32 v87, v85, v85
	v_fmaak_f32 v96, s4, v87, 0x3ecc95a3
	v_mul_f32_e32 v97, v85, v87
	v_cmp_gt_f32_e64 s4, 0x33800000, |v84|
	s_delay_alu instid0(VALU_DEP_3) | instskip(SKIP_2) | instid1(VALU_DEP_4)
	v_fmaak_f32 v87, v87, v96, 0x3f2aaada
	v_ldexp_f32 v96, v85, 1
	v_sub_f32_e32 v85, v85, v86
	s_or_b32 vcc_lo, vcc_lo, s4
	s_delay_alu instid0(VALU_DEP_3) | instskip(SKIP_1) | instid1(VALU_DEP_2)
	v_mul_f32_e32 v87, v97, v87
	v_mul_f32_e32 v97, 0x3f317218, v82
	v_dual_sub_f32 v83, v83, v85 :: v_dual_add_f32 v86, v96, v87
	s_delay_alu instid0(VALU_DEP_1) | instskip(NEXT) | instid1(VALU_DEP_2)
	v_ldexp_f32 v83, v83, 1
	v_sub_f32_e32 v85, v86, v96
	s_delay_alu instid0(VALU_DEP_4) | instskip(NEXT) | instid1(VALU_DEP_1)
	v_fma_f32 v96, 0x3f317218, v82, -v97
	v_dual_sub_f32 v85, v87, v85 :: v_dual_fmamk_f32 v82, v82, 0xb102e308, v96
	s_delay_alu instid0(VALU_DEP_1) | instskip(NEXT) | instid1(VALU_DEP_2)
	v_add_f32_e32 v83, v83, v85
	v_add_f32_e32 v85, v97, v82
	s_delay_alu instid0(VALU_DEP_2) | instskip(NEXT) | instid1(VALU_DEP_2)
	v_add_f32_e32 v87, v86, v83
	v_sub_f32_e32 v97, v85, v97
	s_delay_alu instid0(VALU_DEP_2) | instskip(SKIP_1) | instid1(VALU_DEP_3)
	v_add_f32_e32 v96, v85, v87
	v_sub_f32_e32 v86, v87, v86
	v_sub_f32_e32 v82, v82, v97
	s_delay_alu instid0(VALU_DEP_2) | instskip(NEXT) | instid1(VALU_DEP_1)
	v_dual_sub_f32 v98, v96, v85 :: v_dual_sub_f32 v83, v83, v86
	v_sub_f32_e32 v99, v96, v98
	s_delay_alu instid0(VALU_DEP_2) | instskip(NEXT) | instid1(VALU_DEP_2)
	v_dual_sub_f32 v86, v87, v98 :: v_dual_add_f32 v87, v82, v83
	v_sub_f32_e32 v85, v85, v99
	s_delay_alu instid0(VALU_DEP_1) | instskip(NEXT) | instid1(VALU_DEP_1)
	v_dual_add_f32 v85, v86, v85 :: v_dual_sub_f32 v86, v87, v82
	v_add_f32_e32 v85, v87, v85
	s_delay_alu instid0(VALU_DEP_2) | instskip(SKIP_1) | instid1(VALU_DEP_2)
	v_sub_f32_e32 v87, v87, v86
	v_sub_f32_e32 v83, v83, v86
	v_dual_add_f32 v97, v96, v85 :: v_dual_sub_f32 v82, v82, v87
	s_delay_alu instid0(VALU_DEP_1) | instskip(NEXT) | instid1(VALU_DEP_2)
	v_sub_f32_e32 v86, v97, v96
	v_add_f32_e32 v82, v83, v82
	s_delay_alu instid0(VALU_DEP_2) | instskip(NEXT) | instid1(VALU_DEP_1)
	v_sub_f32_e32 v83, v85, v86
	v_add_f32_e32 v82, v82, v83
	s_delay_alu instid0(VALU_DEP_1) | instskip(NEXT) | instid1(VALU_DEP_1)
	v_add_f32_e32 v82, v97, v82
	v_cndmask_b32_e32 v82, v82, v84, vcc_lo
	s_delay_alu instid0(VALU_DEP_1)
	v_add_f32_e32 v82, v81, v82
.LBB521_222:
	s_or_b32 exec_lo, exec_lo, s3
	s_delay_alu instid0(VALU_DEP_1) | instskip(SKIP_1) | instid1(VALU_DEP_2)
	v_bfe_u32 v81, v82, 16, 1
	v_cmp_o_f32_e32 vcc_lo, v82, v82
	v_add3_u32 v81, v82, v81, 0x7fff
	s_delay_alu instid0(VALU_DEP_1) | instskip(NEXT) | instid1(VALU_DEP_1)
	v_lshrrev_b32_e32 v81, 16, v81
	v_cndmask_b32_e32 v81, 0x7fc0, v81, vcc_lo
	s_delay_alu instid0(VALU_DEP_1) | instskip(NEXT) | instid1(VALU_DEP_1)
	v_lshlrev_b32_e32 v83, 16, v81
	v_max_f32_e32 v82, v83, v83
	s_delay_alu instid0(VALU_DEP_1) | instskip(SKIP_2) | instid1(VALU_DEP_3)
	v_min_f32_e32 v84, v82, v128
	v_max_f32_e32 v82, v82, v128
	v_cmp_u_f32_e32 vcc_lo, v83, v83
	v_cndmask_b32_e32 v84, v84, v83, vcc_lo
	s_delay_alu instid0(VALU_DEP_3) | instskip(NEXT) | instid1(VALU_DEP_2)
	v_cndmask_b32_e32 v82, v82, v83, vcc_lo
	v_cndmask_b32_e64 v84, v84, v115, s18
	s_delay_alu instid0(VALU_DEP_2) | instskip(NEXT) | instid1(VALU_DEP_2)
	v_cndmask_b32_e64 v82, v82, v115, s18
	v_cmp_class_f32_e64 s3, v84, 0x1f8
	s_delay_alu instid0(VALU_DEP_2) | instskip(NEXT) | instid1(VALU_DEP_2)
	v_cmp_neq_f32_e32 vcc_lo, v84, v82
	s_or_b32 s4, vcc_lo, s3
	s_delay_alu instid0(SALU_CYCLE_1)
	s_and_saveexec_b32 s3, s4
	s_cbranch_execz .LBB521_224
; %bb.223:
	v_sub_f32_e32 v83, v84, v82
	s_mov_b32 s4, 0x3e9b6dac
	s_delay_alu instid0(VALU_DEP_1) | instskip(SKIP_1) | instid1(VALU_DEP_2)
	v_mul_f32_e32 v84, 0x3fb8aa3b, v83
	v_cmp_ngt_f32_e32 vcc_lo, 0xc2ce8ed0, v83
	v_fma_f32 v85, 0x3fb8aa3b, v83, -v84
	v_rndne_f32_e32 v86, v84
	s_delay_alu instid0(VALU_DEP_1) | instskip(NEXT) | instid1(VALU_DEP_1)
	v_dual_fmamk_f32 v85, v83, 0x32a5705f, v85 :: v_dual_sub_f32 v84, v84, v86
	v_add_f32_e32 v84, v84, v85
	v_cvt_i32_f32_e32 v85, v86
	s_delay_alu instid0(VALU_DEP_2) | instskip(SKIP_2) | instid1(VALU_DEP_1)
	v_exp_f32_e32 v84, v84
	s_waitcnt_depctr 0xfff
	v_ldexp_f32 v84, v84, v85
	v_cndmask_b32_e32 v84, 0, v84, vcc_lo
	v_cmp_nlt_f32_e32 vcc_lo, 0x42b17218, v83
	s_delay_alu instid0(VALU_DEP_2) | instskip(NEXT) | instid1(VALU_DEP_1)
	v_cndmask_b32_e32 v85, 0x7f800000, v84, vcc_lo
	v_add_f32_e32 v86, 1.0, v85
	s_delay_alu instid0(VALU_DEP_1) | instskip(NEXT) | instid1(VALU_DEP_1)
	v_cvt_f64_f32_e32 v[83:84], v86
	v_frexp_exp_i32_f64_e32 v83, v[83:84]
	v_frexp_mant_f32_e32 v84, v86
	s_delay_alu instid0(VALU_DEP_1) | instskip(SKIP_1) | instid1(VALU_DEP_1)
	v_cmp_gt_f32_e32 vcc_lo, 0x3f2aaaab, v84
	v_add_f32_e32 v84, -1.0, v86
	v_sub_f32_e32 v96, v84, v86
	v_sub_f32_e32 v84, v85, v84
	v_subrev_co_ci_u32_e32 v83, vcc_lo, 0, v83, vcc_lo
	v_cmp_eq_f32_e32 vcc_lo, 0x7f800000, v85
	s_delay_alu instid0(VALU_DEP_2) | instskip(SKIP_1) | instid1(VALU_DEP_2)
	v_sub_nc_u32_e32 v87, 0, v83
	v_cvt_f32_i32_e32 v83, v83
	v_ldexp_f32 v86, v86, v87
	s_delay_alu instid0(VALU_DEP_1) | instskip(NEXT) | instid1(VALU_DEP_1)
	v_dual_add_f32 v97, 1.0, v86 :: v_dual_add_f32 v96, 1.0, v96
	v_add_f32_e32 v84, v84, v96
	s_delay_alu instid0(VALU_DEP_2) | instskip(NEXT) | instid1(VALU_DEP_2)
	v_add_f32_e32 v96, -1.0, v97
	v_ldexp_f32 v84, v84, v87
	s_delay_alu instid0(VALU_DEP_2) | instskip(NEXT) | instid1(VALU_DEP_1)
	v_dual_add_f32 v87, -1.0, v86 :: v_dual_sub_f32 v96, v86, v96
	v_add_f32_e32 v98, 1.0, v87
	s_delay_alu instid0(VALU_DEP_2) | instskip(NEXT) | instid1(VALU_DEP_2)
	v_add_f32_e32 v96, v84, v96
	v_sub_f32_e32 v86, v86, v98
	s_delay_alu instid0(VALU_DEP_2) | instskip(NEXT) | instid1(VALU_DEP_2)
	v_add_f32_e32 v98, v97, v96
	v_add_f32_e32 v84, v84, v86
	s_delay_alu instid0(VALU_DEP_2) | instskip(SKIP_1) | instid1(VALU_DEP_1)
	v_rcp_f32_e32 v86, v98
	v_sub_f32_e32 v97, v97, v98
	v_dual_add_f32 v99, v87, v84 :: v_dual_add_f32 v96, v96, v97
	s_delay_alu instid0(VALU_DEP_1) | instskip(SKIP_2) | instid1(VALU_DEP_1)
	v_sub_f32_e32 v87, v87, v99
	s_waitcnt_depctr 0xfff
	v_mul_f32_e32 v100, v99, v86
	v_dual_add_f32 v84, v84, v87 :: v_dual_mul_f32 v101, v98, v100
	s_delay_alu instid0(VALU_DEP_1) | instskip(NEXT) | instid1(VALU_DEP_1)
	v_fma_f32 v97, v100, v98, -v101
	v_fmac_f32_e32 v97, v100, v96
	s_delay_alu instid0(VALU_DEP_1) | instskip(NEXT) | instid1(VALU_DEP_1)
	v_add_f32_e32 v102, v101, v97
	v_sub_f32_e32 v103, v99, v102
	v_sub_f32_e32 v87, v102, v101
	s_delay_alu instid0(VALU_DEP_2) | instskip(NEXT) | instid1(VALU_DEP_2)
	v_sub_f32_e32 v99, v99, v103
	v_sub_f32_e32 v87, v87, v97
	s_delay_alu instid0(VALU_DEP_2) | instskip(NEXT) | instid1(VALU_DEP_1)
	v_sub_f32_e32 v99, v99, v102
	v_add_f32_e32 v84, v84, v99
	s_delay_alu instid0(VALU_DEP_1) | instskip(NEXT) | instid1(VALU_DEP_1)
	v_add_f32_e32 v84, v87, v84
	v_add_f32_e32 v87, v103, v84
	s_delay_alu instid0(VALU_DEP_1) | instskip(NEXT) | instid1(VALU_DEP_1)
	v_mul_f32_e32 v97, v86, v87
	v_dual_sub_f32 v102, v103, v87 :: v_dual_mul_f32 v99, v98, v97
	s_delay_alu instid0(VALU_DEP_1) | instskip(NEXT) | instid1(VALU_DEP_2)
	v_add_f32_e32 v84, v84, v102
	v_fma_f32 v98, v97, v98, -v99
	s_delay_alu instid0(VALU_DEP_1) | instskip(NEXT) | instid1(VALU_DEP_1)
	v_fmac_f32_e32 v98, v97, v96
	v_add_f32_e32 v96, v99, v98
	s_delay_alu instid0(VALU_DEP_1) | instskip(SKIP_1) | instid1(VALU_DEP_2)
	v_sub_f32_e32 v101, v87, v96
	v_sub_f32_e32 v99, v96, v99
	;; [unrolled: 1-line block ×3, first 2 shown]
	s_delay_alu instid0(VALU_DEP_1) | instskip(NEXT) | instid1(VALU_DEP_3)
	v_sub_f32_e32 v87, v87, v96
	v_sub_f32_e32 v96, v99, v98
	s_delay_alu instid0(VALU_DEP_2) | instskip(SKIP_1) | instid1(VALU_DEP_2)
	v_add_f32_e32 v84, v84, v87
	v_add_f32_e32 v87, v100, v97
	;; [unrolled: 1-line block ×3, first 2 shown]
	s_delay_alu instid0(VALU_DEP_2) | instskip(NEXT) | instid1(VALU_DEP_2)
	v_sub_f32_e32 v96, v87, v100
	v_add_f32_e32 v84, v101, v84
	s_delay_alu instid0(VALU_DEP_2) | instskip(NEXT) | instid1(VALU_DEP_2)
	v_sub_f32_e32 v96, v97, v96
	v_mul_f32_e32 v84, v86, v84
	s_delay_alu instid0(VALU_DEP_1) | instskip(NEXT) | instid1(VALU_DEP_1)
	v_add_f32_e32 v84, v96, v84
	v_add_f32_e32 v86, v87, v84
	s_delay_alu instid0(VALU_DEP_1) | instskip(NEXT) | instid1(VALU_DEP_1)
	v_mul_f32_e32 v96, v86, v86
	v_fmaak_f32 v97, s4, v96, 0x3ecc95a3
	v_mul_f32_e32 v98, v86, v96
	v_cmp_gt_f32_e64 s4, 0x33800000, |v85|
	s_delay_alu instid0(VALU_DEP_3) | instskip(SKIP_2) | instid1(VALU_DEP_4)
	v_fmaak_f32 v96, v96, v97, 0x3f2aaada
	v_ldexp_f32 v97, v86, 1
	v_sub_f32_e32 v86, v86, v87
	s_or_b32 vcc_lo, vcc_lo, s4
	s_delay_alu instid0(VALU_DEP_3) | instskip(SKIP_1) | instid1(VALU_DEP_2)
	v_mul_f32_e32 v96, v98, v96
	v_mul_f32_e32 v98, 0x3f317218, v83
	v_dual_sub_f32 v84, v84, v86 :: v_dual_add_f32 v87, v97, v96
	s_delay_alu instid0(VALU_DEP_1) | instskip(NEXT) | instid1(VALU_DEP_2)
	v_ldexp_f32 v84, v84, 1
	v_sub_f32_e32 v86, v87, v97
	s_delay_alu instid0(VALU_DEP_4) | instskip(NEXT) | instid1(VALU_DEP_1)
	v_fma_f32 v97, 0x3f317218, v83, -v98
	v_dual_sub_f32 v86, v96, v86 :: v_dual_fmamk_f32 v83, v83, 0xb102e308, v97
	s_delay_alu instid0(VALU_DEP_1) | instskip(NEXT) | instid1(VALU_DEP_2)
	v_add_f32_e32 v84, v84, v86
	v_add_f32_e32 v86, v98, v83
	s_delay_alu instid0(VALU_DEP_2) | instskip(NEXT) | instid1(VALU_DEP_2)
	v_add_f32_e32 v96, v87, v84
	v_sub_f32_e32 v98, v86, v98
	s_delay_alu instid0(VALU_DEP_2) | instskip(SKIP_1) | instid1(VALU_DEP_3)
	v_add_f32_e32 v97, v86, v96
	v_sub_f32_e32 v87, v96, v87
	v_sub_f32_e32 v83, v83, v98
	s_delay_alu instid0(VALU_DEP_2) | instskip(NEXT) | instid1(VALU_DEP_1)
	v_dual_sub_f32 v99, v97, v86 :: v_dual_sub_f32 v84, v84, v87
	v_sub_f32_e32 v100, v97, v99
	s_delay_alu instid0(VALU_DEP_2) | instskip(NEXT) | instid1(VALU_DEP_2)
	v_dual_sub_f32 v87, v96, v99 :: v_dual_add_f32 v96, v83, v84
	v_sub_f32_e32 v86, v86, v100
	s_delay_alu instid0(VALU_DEP_1) | instskip(NEXT) | instid1(VALU_DEP_1)
	v_dual_add_f32 v86, v87, v86 :: v_dual_sub_f32 v87, v96, v83
	v_add_f32_e32 v86, v96, v86
	s_delay_alu instid0(VALU_DEP_2) | instskip(SKIP_1) | instid1(VALU_DEP_2)
	v_sub_f32_e32 v96, v96, v87
	v_sub_f32_e32 v84, v84, v87
	v_dual_add_f32 v98, v97, v86 :: v_dual_sub_f32 v83, v83, v96
	s_delay_alu instid0(VALU_DEP_1) | instskip(NEXT) | instid1(VALU_DEP_2)
	v_sub_f32_e32 v87, v98, v97
	v_add_f32_e32 v83, v84, v83
	s_delay_alu instid0(VALU_DEP_2) | instskip(NEXT) | instid1(VALU_DEP_1)
	v_sub_f32_e32 v84, v86, v87
	v_add_f32_e32 v83, v83, v84
	s_delay_alu instid0(VALU_DEP_1) | instskip(NEXT) | instid1(VALU_DEP_1)
	v_add_f32_e32 v83, v98, v83
	v_cndmask_b32_e32 v83, v83, v85, vcc_lo
	s_delay_alu instid0(VALU_DEP_1)
	v_add_f32_e32 v83, v82, v83
.LBB521_224:
	s_or_b32 exec_lo, exec_lo, s3
	s_delay_alu instid0(VALU_DEP_1) | instskip(SKIP_1) | instid1(VALU_DEP_2)
	v_bfe_u32 v82, v83, 16, 1
	v_cmp_o_f32_e32 vcc_lo, v83, v83
	v_add3_u32 v82, v83, v82, 0x7fff
	s_delay_alu instid0(VALU_DEP_1) | instskip(NEXT) | instid1(VALU_DEP_1)
	v_lshrrev_b32_e32 v82, 16, v82
	v_cndmask_b32_e32 v82, 0x7fc0, v82, vcc_lo
	s_delay_alu instid0(VALU_DEP_1) | instskip(NEXT) | instid1(VALU_DEP_1)
	v_lshlrev_b32_e32 v84, 16, v82
	v_max_f32_e32 v83, v84, v84
	v_cmp_u_f32_e32 vcc_lo, v84, v84
	s_delay_alu instid0(VALU_DEP_2) | instskip(SKIP_1) | instid1(VALU_DEP_2)
	v_min_f32_e32 v85, v83, v130
	v_max_f32_e32 v83, v83, v130
	v_cndmask_b32_e32 v85, v85, v84, vcc_lo
	s_delay_alu instid0(VALU_DEP_2) | instskip(NEXT) | instid1(VALU_DEP_2)
	v_cndmask_b32_e32 v83, v83, v84, vcc_lo
	v_cndmask_b32_e64 v85, v85, v117, s19
	s_delay_alu instid0(VALU_DEP_2) | instskip(NEXT) | instid1(VALU_DEP_2)
	v_cndmask_b32_e64 v83, v83, v117, s19
	v_cmp_class_f32_e64 s3, v85, 0x1f8
	s_delay_alu instid0(VALU_DEP_2) | instskip(NEXT) | instid1(VALU_DEP_2)
	v_cmp_neq_f32_e32 vcc_lo, v85, v83
	s_or_b32 s4, vcc_lo, s3
	s_delay_alu instid0(SALU_CYCLE_1)
	s_and_saveexec_b32 s3, s4
	s_cbranch_execz .LBB521_226
; %bb.225:
	v_sub_f32_e32 v84, v85, v83
	s_mov_b32 s4, 0x3e9b6dac
	s_delay_alu instid0(VALU_DEP_1) | instskip(SKIP_1) | instid1(VALU_DEP_2)
	v_mul_f32_e32 v85, 0x3fb8aa3b, v84
	v_cmp_ngt_f32_e32 vcc_lo, 0xc2ce8ed0, v84
	v_fma_f32 v86, 0x3fb8aa3b, v84, -v85
	v_rndne_f32_e32 v87, v85
	s_delay_alu instid0(VALU_DEP_1) | instskip(NEXT) | instid1(VALU_DEP_1)
	v_dual_fmamk_f32 v86, v84, 0x32a5705f, v86 :: v_dual_sub_f32 v85, v85, v87
	v_add_f32_e32 v85, v85, v86
	v_cvt_i32_f32_e32 v86, v87
	s_delay_alu instid0(VALU_DEP_2) | instskip(SKIP_2) | instid1(VALU_DEP_1)
	v_exp_f32_e32 v85, v85
	s_waitcnt_depctr 0xfff
	v_ldexp_f32 v85, v85, v86
	v_cndmask_b32_e32 v85, 0, v85, vcc_lo
	v_cmp_nlt_f32_e32 vcc_lo, 0x42b17218, v84
	s_delay_alu instid0(VALU_DEP_2) | instskip(NEXT) | instid1(VALU_DEP_1)
	v_cndmask_b32_e32 v86, 0x7f800000, v85, vcc_lo
	v_add_f32_e32 v87, 1.0, v86
	s_delay_alu instid0(VALU_DEP_1) | instskip(NEXT) | instid1(VALU_DEP_1)
	v_cvt_f64_f32_e32 v[84:85], v87
	v_frexp_exp_i32_f64_e32 v84, v[84:85]
	v_frexp_mant_f32_e32 v85, v87
	s_delay_alu instid0(VALU_DEP_1) | instskip(SKIP_1) | instid1(VALU_DEP_1)
	v_cmp_gt_f32_e32 vcc_lo, 0x3f2aaaab, v85
	v_add_f32_e32 v85, -1.0, v87
	v_sub_f32_e32 v97, v85, v87
	v_sub_f32_e32 v85, v86, v85
	v_subrev_co_ci_u32_e32 v84, vcc_lo, 0, v84, vcc_lo
	v_cmp_eq_f32_e32 vcc_lo, 0x7f800000, v86
	s_delay_alu instid0(VALU_DEP_2) | instskip(SKIP_1) | instid1(VALU_DEP_2)
	v_sub_nc_u32_e32 v96, 0, v84
	v_cvt_f32_i32_e32 v84, v84
	v_ldexp_f32 v87, v87, v96
	s_delay_alu instid0(VALU_DEP_1) | instskip(NEXT) | instid1(VALU_DEP_1)
	v_dual_add_f32 v98, 1.0, v87 :: v_dual_add_f32 v97, 1.0, v97
	v_add_f32_e32 v85, v85, v97
	s_delay_alu instid0(VALU_DEP_2) | instskip(NEXT) | instid1(VALU_DEP_2)
	v_add_f32_e32 v97, -1.0, v98
	v_ldexp_f32 v85, v85, v96
	s_delay_alu instid0(VALU_DEP_2) | instskip(NEXT) | instid1(VALU_DEP_1)
	v_dual_add_f32 v96, -1.0, v87 :: v_dual_sub_f32 v97, v87, v97
	v_add_f32_e32 v99, 1.0, v96
	s_delay_alu instid0(VALU_DEP_2) | instskip(NEXT) | instid1(VALU_DEP_2)
	v_add_f32_e32 v97, v85, v97
	v_sub_f32_e32 v87, v87, v99
	s_delay_alu instid0(VALU_DEP_2) | instskip(NEXT) | instid1(VALU_DEP_2)
	v_add_f32_e32 v99, v98, v97
	v_add_f32_e32 v85, v85, v87
	s_delay_alu instid0(VALU_DEP_2) | instskip(SKIP_1) | instid1(VALU_DEP_1)
	v_rcp_f32_e32 v87, v99
	v_sub_f32_e32 v98, v98, v99
	v_dual_add_f32 v100, v96, v85 :: v_dual_add_f32 v97, v97, v98
	s_delay_alu instid0(VALU_DEP_1) | instskip(SKIP_2) | instid1(VALU_DEP_1)
	v_sub_f32_e32 v96, v96, v100
	s_waitcnt_depctr 0xfff
	v_mul_f32_e32 v101, v100, v87
	v_dual_add_f32 v85, v85, v96 :: v_dual_mul_f32 v102, v99, v101
	s_delay_alu instid0(VALU_DEP_1) | instskip(NEXT) | instid1(VALU_DEP_1)
	v_fma_f32 v98, v101, v99, -v102
	v_fmac_f32_e32 v98, v101, v97
	s_delay_alu instid0(VALU_DEP_1) | instskip(NEXT) | instid1(VALU_DEP_1)
	v_add_f32_e32 v103, v102, v98
	v_sub_f32_e32 v112, v100, v103
	v_sub_f32_e32 v96, v103, v102
	s_delay_alu instid0(VALU_DEP_2) | instskip(NEXT) | instid1(VALU_DEP_2)
	v_sub_f32_e32 v100, v100, v112
	v_sub_f32_e32 v96, v96, v98
	s_delay_alu instid0(VALU_DEP_2) | instskip(NEXT) | instid1(VALU_DEP_1)
	v_sub_f32_e32 v100, v100, v103
	v_add_f32_e32 v85, v85, v100
	s_delay_alu instid0(VALU_DEP_1) | instskip(NEXT) | instid1(VALU_DEP_1)
	v_add_f32_e32 v85, v96, v85
	v_add_f32_e32 v96, v112, v85
	s_delay_alu instid0(VALU_DEP_1) | instskip(NEXT) | instid1(VALU_DEP_1)
	v_mul_f32_e32 v98, v87, v96
	v_dual_sub_f32 v103, v112, v96 :: v_dual_mul_f32 v100, v99, v98
	s_delay_alu instid0(VALU_DEP_1) | instskip(NEXT) | instid1(VALU_DEP_2)
	v_add_f32_e32 v85, v85, v103
	v_fma_f32 v99, v98, v99, -v100
	s_delay_alu instid0(VALU_DEP_1) | instskip(NEXT) | instid1(VALU_DEP_1)
	v_fmac_f32_e32 v99, v98, v97
	v_add_f32_e32 v97, v100, v99
	s_delay_alu instid0(VALU_DEP_1) | instskip(SKIP_1) | instid1(VALU_DEP_2)
	v_sub_f32_e32 v102, v96, v97
	v_sub_f32_e32 v100, v97, v100
	;; [unrolled: 1-line block ×3, first 2 shown]
	s_delay_alu instid0(VALU_DEP_1) | instskip(NEXT) | instid1(VALU_DEP_3)
	v_sub_f32_e32 v96, v96, v97
	v_sub_f32_e32 v97, v100, v99
	s_delay_alu instid0(VALU_DEP_2) | instskip(SKIP_1) | instid1(VALU_DEP_2)
	v_add_f32_e32 v85, v85, v96
	v_add_f32_e32 v96, v101, v98
	;; [unrolled: 1-line block ×3, first 2 shown]
	s_delay_alu instid0(VALU_DEP_2) | instskip(NEXT) | instid1(VALU_DEP_2)
	v_sub_f32_e32 v97, v96, v101
	v_add_f32_e32 v85, v102, v85
	s_delay_alu instid0(VALU_DEP_2) | instskip(NEXT) | instid1(VALU_DEP_2)
	v_sub_f32_e32 v97, v98, v97
	v_mul_f32_e32 v85, v87, v85
	s_delay_alu instid0(VALU_DEP_1) | instskip(NEXT) | instid1(VALU_DEP_1)
	v_add_f32_e32 v85, v97, v85
	v_add_f32_e32 v87, v96, v85
	s_delay_alu instid0(VALU_DEP_1) | instskip(NEXT) | instid1(VALU_DEP_1)
	v_mul_f32_e32 v97, v87, v87
	v_fmaak_f32 v98, s4, v97, 0x3ecc95a3
	v_mul_f32_e32 v99, v87, v97
	v_cmp_gt_f32_e64 s4, 0x33800000, |v86|
	s_delay_alu instid0(VALU_DEP_3) | instskip(SKIP_2) | instid1(VALU_DEP_4)
	v_fmaak_f32 v97, v97, v98, 0x3f2aaada
	v_ldexp_f32 v98, v87, 1
	v_sub_f32_e32 v87, v87, v96
	s_or_b32 vcc_lo, vcc_lo, s4
	s_delay_alu instid0(VALU_DEP_3) | instskip(SKIP_1) | instid1(VALU_DEP_2)
	v_mul_f32_e32 v97, v99, v97
	v_mul_f32_e32 v99, 0x3f317218, v84
	v_dual_sub_f32 v85, v85, v87 :: v_dual_add_f32 v96, v98, v97
	s_delay_alu instid0(VALU_DEP_1) | instskip(NEXT) | instid1(VALU_DEP_2)
	v_ldexp_f32 v85, v85, 1
	v_sub_f32_e32 v87, v96, v98
	s_delay_alu instid0(VALU_DEP_4) | instskip(NEXT) | instid1(VALU_DEP_1)
	v_fma_f32 v98, 0x3f317218, v84, -v99
	v_dual_sub_f32 v87, v97, v87 :: v_dual_fmamk_f32 v84, v84, 0xb102e308, v98
	s_delay_alu instid0(VALU_DEP_1) | instskip(NEXT) | instid1(VALU_DEP_2)
	v_add_f32_e32 v85, v85, v87
	v_add_f32_e32 v87, v99, v84
	s_delay_alu instid0(VALU_DEP_2) | instskip(NEXT) | instid1(VALU_DEP_2)
	v_add_f32_e32 v97, v96, v85
	v_sub_f32_e32 v99, v87, v99
	s_delay_alu instid0(VALU_DEP_2) | instskip(SKIP_1) | instid1(VALU_DEP_3)
	v_add_f32_e32 v98, v87, v97
	v_sub_f32_e32 v96, v97, v96
	v_sub_f32_e32 v84, v84, v99
	s_delay_alu instid0(VALU_DEP_2) | instskip(NEXT) | instid1(VALU_DEP_1)
	v_dual_sub_f32 v100, v98, v87 :: v_dual_sub_f32 v85, v85, v96
	v_sub_f32_e32 v101, v98, v100
	s_delay_alu instid0(VALU_DEP_2) | instskip(NEXT) | instid1(VALU_DEP_2)
	v_dual_sub_f32 v96, v97, v100 :: v_dual_add_f32 v97, v84, v85
	v_sub_f32_e32 v87, v87, v101
	s_delay_alu instid0(VALU_DEP_1) | instskip(NEXT) | instid1(VALU_DEP_1)
	v_dual_add_f32 v87, v96, v87 :: v_dual_sub_f32 v96, v97, v84
	v_add_f32_e32 v87, v97, v87
	s_delay_alu instid0(VALU_DEP_2) | instskip(SKIP_1) | instid1(VALU_DEP_2)
	v_sub_f32_e32 v97, v97, v96
	v_sub_f32_e32 v85, v85, v96
	v_dual_add_f32 v99, v98, v87 :: v_dual_sub_f32 v84, v84, v97
	s_delay_alu instid0(VALU_DEP_1) | instskip(NEXT) | instid1(VALU_DEP_2)
	v_sub_f32_e32 v96, v99, v98
	v_add_f32_e32 v84, v85, v84
	s_delay_alu instid0(VALU_DEP_2) | instskip(NEXT) | instid1(VALU_DEP_1)
	v_sub_f32_e32 v85, v87, v96
	v_add_f32_e32 v84, v84, v85
	s_delay_alu instid0(VALU_DEP_1) | instskip(NEXT) | instid1(VALU_DEP_1)
	v_add_f32_e32 v84, v99, v84
	v_cndmask_b32_e32 v84, v84, v86, vcc_lo
	s_delay_alu instid0(VALU_DEP_1)
	v_add_f32_e32 v84, v83, v84
.LBB521_226:
	s_or_b32 exec_lo, exec_lo, s3
	s_delay_alu instid0(VALU_DEP_1) | instskip(SKIP_1) | instid1(VALU_DEP_2)
	v_bfe_u32 v83, v84, 16, 1
	v_cmp_o_f32_e32 vcc_lo, v84, v84
	v_add3_u32 v83, v84, v83, 0x7fff
	s_delay_alu instid0(VALU_DEP_1) | instskip(NEXT) | instid1(VALU_DEP_1)
	v_lshrrev_b32_e32 v83, 16, v83
	v_cndmask_b32_e32 v83, 0x7fc0, v83, vcc_lo
	s_delay_alu instid0(VALU_DEP_1) | instskip(NEXT) | instid1(VALU_DEP_1)
	v_lshlrev_b32_e32 v85, 16, v83
	v_max_f32_e32 v84, v85, v85
	s_delay_alu instid0(VALU_DEP_1) | instskip(SKIP_2) | instid1(VALU_DEP_3)
	v_min_f32_e32 v86, v84, v132
	v_max_f32_e32 v84, v84, v132
	v_cmp_u_f32_e32 vcc_lo, v85, v85
	v_cndmask_b32_e32 v86, v86, v85, vcc_lo
	s_delay_alu instid0(VALU_DEP_3) | instskip(NEXT) | instid1(VALU_DEP_2)
	v_cndmask_b32_e32 v84, v84, v85, vcc_lo
	v_cndmask_b32_e64 v86, v86, v119, s20
	s_delay_alu instid0(VALU_DEP_2) | instskip(NEXT) | instid1(VALU_DEP_2)
	v_cndmask_b32_e64 v84, v84, v119, s20
	v_cmp_class_f32_e64 s3, v86, 0x1f8
	s_delay_alu instid0(VALU_DEP_2) | instskip(NEXT) | instid1(VALU_DEP_2)
	v_cmp_neq_f32_e32 vcc_lo, v86, v84
	s_or_b32 s4, vcc_lo, s3
	s_delay_alu instid0(SALU_CYCLE_1)
	s_and_saveexec_b32 s3, s4
	s_cbranch_execz .LBB521_228
; %bb.227:
	v_sub_f32_e32 v85, v86, v84
	s_mov_b32 s4, 0x3e9b6dac
	s_delay_alu instid0(VALU_DEP_1) | instskip(SKIP_1) | instid1(VALU_DEP_2)
	v_mul_f32_e32 v86, 0x3fb8aa3b, v85
	v_cmp_ngt_f32_e32 vcc_lo, 0xc2ce8ed0, v85
	v_fma_f32 v87, 0x3fb8aa3b, v85, -v86
	v_rndne_f32_e32 v96, v86
	s_delay_alu instid0(VALU_DEP_1) | instskip(NEXT) | instid1(VALU_DEP_1)
	v_dual_fmamk_f32 v87, v85, 0x32a5705f, v87 :: v_dual_sub_f32 v86, v86, v96
	v_add_f32_e32 v86, v86, v87
	v_cvt_i32_f32_e32 v87, v96
	s_delay_alu instid0(VALU_DEP_2) | instskip(SKIP_2) | instid1(VALU_DEP_1)
	v_exp_f32_e32 v86, v86
	s_waitcnt_depctr 0xfff
	v_ldexp_f32 v86, v86, v87
	v_cndmask_b32_e32 v86, 0, v86, vcc_lo
	v_cmp_nlt_f32_e32 vcc_lo, 0x42b17218, v85
	s_delay_alu instid0(VALU_DEP_2) | instskip(NEXT) | instid1(VALU_DEP_1)
	v_cndmask_b32_e32 v87, 0x7f800000, v86, vcc_lo
	v_add_f32_e32 v96, 1.0, v87
	s_delay_alu instid0(VALU_DEP_1) | instskip(NEXT) | instid1(VALU_DEP_1)
	v_cvt_f64_f32_e32 v[85:86], v96
	v_frexp_exp_i32_f64_e32 v85, v[85:86]
	v_frexp_mant_f32_e32 v86, v96
	s_delay_alu instid0(VALU_DEP_1) | instskip(SKIP_1) | instid1(VALU_DEP_1)
	v_cmp_gt_f32_e32 vcc_lo, 0x3f2aaaab, v86
	v_add_f32_e32 v86, -1.0, v96
	v_sub_f32_e32 v98, v86, v96
	v_sub_f32_e32 v86, v87, v86
	v_subrev_co_ci_u32_e32 v85, vcc_lo, 0, v85, vcc_lo
	v_cmp_eq_f32_e32 vcc_lo, 0x7f800000, v87
	s_delay_alu instid0(VALU_DEP_2) | instskip(SKIP_1) | instid1(VALU_DEP_2)
	v_sub_nc_u32_e32 v97, 0, v85
	v_cvt_f32_i32_e32 v85, v85
	v_ldexp_f32 v96, v96, v97
	s_delay_alu instid0(VALU_DEP_1) | instskip(NEXT) | instid1(VALU_DEP_1)
	v_dual_add_f32 v99, 1.0, v96 :: v_dual_add_f32 v98, 1.0, v98
	v_add_f32_e32 v86, v86, v98
	s_delay_alu instid0(VALU_DEP_2) | instskip(NEXT) | instid1(VALU_DEP_2)
	v_add_f32_e32 v98, -1.0, v99
	v_ldexp_f32 v86, v86, v97
	s_delay_alu instid0(VALU_DEP_2) | instskip(NEXT) | instid1(VALU_DEP_1)
	v_dual_add_f32 v97, -1.0, v96 :: v_dual_sub_f32 v98, v96, v98
	v_add_f32_e32 v100, 1.0, v97
	s_delay_alu instid0(VALU_DEP_2) | instskip(NEXT) | instid1(VALU_DEP_2)
	v_add_f32_e32 v98, v86, v98
	v_sub_f32_e32 v96, v96, v100
	s_delay_alu instid0(VALU_DEP_2) | instskip(NEXT) | instid1(VALU_DEP_2)
	v_add_f32_e32 v100, v99, v98
	v_add_f32_e32 v86, v86, v96
	s_delay_alu instid0(VALU_DEP_2) | instskip(SKIP_1) | instid1(VALU_DEP_1)
	v_rcp_f32_e32 v96, v100
	v_sub_f32_e32 v99, v99, v100
	v_dual_add_f32 v101, v97, v86 :: v_dual_add_f32 v98, v98, v99
	s_delay_alu instid0(VALU_DEP_1) | instskip(SKIP_2) | instid1(VALU_DEP_1)
	v_sub_f32_e32 v97, v97, v101
	s_waitcnt_depctr 0xfff
	v_mul_f32_e32 v102, v101, v96
	v_dual_add_f32 v86, v86, v97 :: v_dual_mul_f32 v103, v100, v102
	s_delay_alu instid0(VALU_DEP_1) | instskip(NEXT) | instid1(VALU_DEP_1)
	v_fma_f32 v99, v102, v100, -v103
	v_fmac_f32_e32 v99, v102, v98
	s_delay_alu instid0(VALU_DEP_1) | instskip(NEXT) | instid1(VALU_DEP_1)
	v_add_f32_e32 v112, v103, v99
	v_sub_f32_e32 v113, v101, v112
	v_sub_f32_e32 v97, v112, v103
	s_delay_alu instid0(VALU_DEP_2) | instskip(NEXT) | instid1(VALU_DEP_2)
	v_sub_f32_e32 v101, v101, v113
	v_sub_f32_e32 v97, v97, v99
	s_delay_alu instid0(VALU_DEP_2) | instskip(NEXT) | instid1(VALU_DEP_1)
	v_sub_f32_e32 v101, v101, v112
	v_add_f32_e32 v86, v86, v101
	s_delay_alu instid0(VALU_DEP_1) | instskip(NEXT) | instid1(VALU_DEP_1)
	v_add_f32_e32 v86, v97, v86
	v_add_f32_e32 v97, v113, v86
	s_delay_alu instid0(VALU_DEP_1) | instskip(NEXT) | instid1(VALU_DEP_1)
	v_mul_f32_e32 v99, v96, v97
	v_dual_sub_f32 v112, v113, v97 :: v_dual_mul_f32 v101, v100, v99
	s_delay_alu instid0(VALU_DEP_1) | instskip(NEXT) | instid1(VALU_DEP_2)
	v_add_f32_e32 v86, v86, v112
	v_fma_f32 v100, v99, v100, -v101
	s_delay_alu instid0(VALU_DEP_1) | instskip(NEXT) | instid1(VALU_DEP_1)
	v_fmac_f32_e32 v100, v99, v98
	v_add_f32_e32 v98, v101, v100
	s_delay_alu instid0(VALU_DEP_1) | instskip(SKIP_1) | instid1(VALU_DEP_2)
	v_sub_f32_e32 v103, v97, v98
	v_sub_f32_e32 v101, v98, v101
	;; [unrolled: 1-line block ×3, first 2 shown]
	s_delay_alu instid0(VALU_DEP_1) | instskip(NEXT) | instid1(VALU_DEP_3)
	v_sub_f32_e32 v97, v97, v98
	v_sub_f32_e32 v98, v101, v100
	s_delay_alu instid0(VALU_DEP_2) | instskip(SKIP_1) | instid1(VALU_DEP_2)
	v_add_f32_e32 v86, v86, v97
	v_add_f32_e32 v97, v102, v99
	;; [unrolled: 1-line block ×3, first 2 shown]
	s_delay_alu instid0(VALU_DEP_2) | instskip(NEXT) | instid1(VALU_DEP_2)
	v_sub_f32_e32 v98, v97, v102
	v_add_f32_e32 v86, v103, v86
	s_delay_alu instid0(VALU_DEP_2) | instskip(NEXT) | instid1(VALU_DEP_2)
	v_sub_f32_e32 v98, v99, v98
	v_mul_f32_e32 v86, v96, v86
	s_delay_alu instid0(VALU_DEP_1) | instskip(NEXT) | instid1(VALU_DEP_1)
	v_add_f32_e32 v86, v98, v86
	v_add_f32_e32 v96, v97, v86
	s_delay_alu instid0(VALU_DEP_1) | instskip(NEXT) | instid1(VALU_DEP_1)
	v_mul_f32_e32 v98, v96, v96
	v_fmaak_f32 v99, s4, v98, 0x3ecc95a3
	v_mul_f32_e32 v100, v96, v98
	v_cmp_gt_f32_e64 s4, 0x33800000, |v87|
	s_delay_alu instid0(VALU_DEP_3) | instskip(SKIP_2) | instid1(VALU_DEP_4)
	v_fmaak_f32 v98, v98, v99, 0x3f2aaada
	v_ldexp_f32 v99, v96, 1
	v_sub_f32_e32 v96, v96, v97
	s_or_b32 vcc_lo, vcc_lo, s4
	s_delay_alu instid0(VALU_DEP_3) | instskip(SKIP_1) | instid1(VALU_DEP_2)
	v_mul_f32_e32 v98, v100, v98
	v_mul_f32_e32 v100, 0x3f317218, v85
	v_dual_sub_f32 v86, v86, v96 :: v_dual_add_f32 v97, v99, v98
	s_delay_alu instid0(VALU_DEP_1) | instskip(NEXT) | instid1(VALU_DEP_2)
	v_ldexp_f32 v86, v86, 1
	v_sub_f32_e32 v96, v97, v99
	s_delay_alu instid0(VALU_DEP_4) | instskip(NEXT) | instid1(VALU_DEP_1)
	v_fma_f32 v99, 0x3f317218, v85, -v100
	v_dual_sub_f32 v96, v98, v96 :: v_dual_fmamk_f32 v85, v85, 0xb102e308, v99
	s_delay_alu instid0(VALU_DEP_1) | instskip(NEXT) | instid1(VALU_DEP_2)
	v_add_f32_e32 v86, v86, v96
	v_add_f32_e32 v96, v100, v85
	s_delay_alu instid0(VALU_DEP_2) | instskip(NEXT) | instid1(VALU_DEP_2)
	v_add_f32_e32 v98, v97, v86
	v_sub_f32_e32 v100, v96, v100
	s_delay_alu instid0(VALU_DEP_2) | instskip(SKIP_1) | instid1(VALU_DEP_3)
	v_add_f32_e32 v99, v96, v98
	v_sub_f32_e32 v97, v98, v97
	v_sub_f32_e32 v85, v85, v100
	s_delay_alu instid0(VALU_DEP_2) | instskip(NEXT) | instid1(VALU_DEP_1)
	v_dual_sub_f32 v101, v99, v96 :: v_dual_sub_f32 v86, v86, v97
	v_sub_f32_e32 v102, v99, v101
	s_delay_alu instid0(VALU_DEP_2) | instskip(NEXT) | instid1(VALU_DEP_2)
	v_dual_sub_f32 v97, v98, v101 :: v_dual_add_f32 v98, v85, v86
	v_sub_f32_e32 v96, v96, v102
	s_delay_alu instid0(VALU_DEP_1) | instskip(NEXT) | instid1(VALU_DEP_1)
	v_dual_add_f32 v96, v97, v96 :: v_dual_sub_f32 v97, v98, v85
	v_add_f32_e32 v96, v98, v96
	s_delay_alu instid0(VALU_DEP_2) | instskip(SKIP_1) | instid1(VALU_DEP_2)
	v_sub_f32_e32 v98, v98, v97
	v_sub_f32_e32 v86, v86, v97
	v_dual_add_f32 v100, v99, v96 :: v_dual_sub_f32 v85, v85, v98
	s_delay_alu instid0(VALU_DEP_1) | instskip(NEXT) | instid1(VALU_DEP_2)
	v_sub_f32_e32 v97, v100, v99
	v_add_f32_e32 v85, v86, v85
	s_delay_alu instid0(VALU_DEP_2) | instskip(NEXT) | instid1(VALU_DEP_1)
	v_sub_f32_e32 v86, v96, v97
	v_add_f32_e32 v85, v85, v86
	s_delay_alu instid0(VALU_DEP_1) | instskip(NEXT) | instid1(VALU_DEP_1)
	v_add_f32_e32 v85, v100, v85
	v_cndmask_b32_e32 v85, v85, v87, vcc_lo
	s_delay_alu instid0(VALU_DEP_1)
	v_add_f32_e32 v85, v84, v85
.LBB521_228:
	s_or_b32 exec_lo, exec_lo, s3
	s_delay_alu instid0(VALU_DEP_1) | instskip(SKIP_1) | instid1(VALU_DEP_2)
	v_bfe_u32 v84, v85, 16, 1
	v_cmp_o_f32_e32 vcc_lo, v85, v85
	v_add3_u32 v84, v85, v84, 0x7fff
	s_delay_alu instid0(VALU_DEP_1) | instskip(NEXT) | instid1(VALU_DEP_1)
	v_lshrrev_b32_e32 v84, 16, v84
	v_cndmask_b32_e32 v84, 0x7fc0, v84, vcc_lo
	s_delay_alu instid0(VALU_DEP_1) | instskip(NEXT) | instid1(VALU_DEP_1)
	v_lshlrev_b32_e32 v86, 16, v84
	v_max_f32_e32 v85, v86, v86
	s_delay_alu instid0(VALU_DEP_1) | instskip(SKIP_2) | instid1(VALU_DEP_3)
	v_min_f32_e32 v87, v85, v134
	v_max_f32_e32 v85, v85, v134
	v_cmp_u_f32_e32 vcc_lo, v86, v86
	v_cndmask_b32_e32 v87, v87, v86, vcc_lo
	s_delay_alu instid0(VALU_DEP_3) | instskip(NEXT) | instid1(VALU_DEP_2)
	v_cndmask_b32_e32 v85, v85, v86, vcc_lo
	v_cndmask_b32_e64 v87, v87, v129, s21
	s_delay_alu instid0(VALU_DEP_2) | instskip(NEXT) | instid1(VALU_DEP_2)
	v_cndmask_b32_e64 v85, v85, v129, s21
	v_cmp_class_f32_e64 s3, v87, 0x1f8
	s_delay_alu instid0(VALU_DEP_2) | instskip(NEXT) | instid1(VALU_DEP_2)
	v_cmp_neq_f32_e32 vcc_lo, v87, v85
	s_or_b32 s4, vcc_lo, s3
	s_delay_alu instid0(SALU_CYCLE_1)
	s_and_saveexec_b32 s3, s4
	s_cbranch_execz .LBB521_230
; %bb.229:
	v_sub_f32_e32 v86, v87, v85
	s_mov_b32 s4, 0x3e9b6dac
	s_delay_alu instid0(VALU_DEP_1) | instskip(SKIP_1) | instid1(VALU_DEP_2)
	v_mul_f32_e32 v87, 0x3fb8aa3b, v86
	v_cmp_ngt_f32_e32 vcc_lo, 0xc2ce8ed0, v86
	v_fma_f32 v96, 0x3fb8aa3b, v86, -v87
	v_rndne_f32_e32 v97, v87
	s_delay_alu instid0(VALU_DEP_1) | instskip(NEXT) | instid1(VALU_DEP_1)
	v_dual_fmamk_f32 v96, v86, 0x32a5705f, v96 :: v_dual_sub_f32 v87, v87, v97
	v_add_f32_e32 v87, v87, v96
	v_cvt_i32_f32_e32 v96, v97
	s_delay_alu instid0(VALU_DEP_2) | instskip(SKIP_2) | instid1(VALU_DEP_1)
	v_exp_f32_e32 v87, v87
	s_waitcnt_depctr 0xfff
	v_ldexp_f32 v87, v87, v96
	v_cndmask_b32_e32 v87, 0, v87, vcc_lo
	v_cmp_nlt_f32_e32 vcc_lo, 0x42b17218, v86
	s_delay_alu instid0(VALU_DEP_2) | instskip(NEXT) | instid1(VALU_DEP_1)
	v_cndmask_b32_e32 v96, 0x7f800000, v87, vcc_lo
	v_add_f32_e32 v97, 1.0, v96
	s_delay_alu instid0(VALU_DEP_1) | instskip(NEXT) | instid1(VALU_DEP_1)
	v_cvt_f64_f32_e32 v[86:87], v97
	v_frexp_exp_i32_f64_e32 v86, v[86:87]
	v_frexp_mant_f32_e32 v87, v97
	s_delay_alu instid0(VALU_DEP_1) | instskip(SKIP_1) | instid1(VALU_DEP_1)
	v_cmp_gt_f32_e32 vcc_lo, 0x3f2aaaab, v87
	v_add_f32_e32 v87, -1.0, v97
	v_sub_f32_e32 v99, v87, v97
	v_sub_f32_e32 v87, v96, v87
	v_subrev_co_ci_u32_e32 v86, vcc_lo, 0, v86, vcc_lo
	v_cmp_eq_f32_e32 vcc_lo, 0x7f800000, v96
	s_delay_alu instid0(VALU_DEP_2) | instskip(SKIP_1) | instid1(VALU_DEP_2)
	v_sub_nc_u32_e32 v98, 0, v86
	v_cvt_f32_i32_e32 v86, v86
	v_ldexp_f32 v97, v97, v98
	s_delay_alu instid0(VALU_DEP_1) | instskip(NEXT) | instid1(VALU_DEP_1)
	v_dual_add_f32 v100, 1.0, v97 :: v_dual_add_f32 v99, 1.0, v99
	v_add_f32_e32 v87, v87, v99
	s_delay_alu instid0(VALU_DEP_2) | instskip(NEXT) | instid1(VALU_DEP_2)
	v_add_f32_e32 v99, -1.0, v100
	v_ldexp_f32 v87, v87, v98
	s_delay_alu instid0(VALU_DEP_2) | instskip(NEXT) | instid1(VALU_DEP_1)
	v_dual_add_f32 v98, -1.0, v97 :: v_dual_sub_f32 v99, v97, v99
	v_add_f32_e32 v101, 1.0, v98
	s_delay_alu instid0(VALU_DEP_2) | instskip(NEXT) | instid1(VALU_DEP_2)
	v_add_f32_e32 v99, v87, v99
	v_sub_f32_e32 v97, v97, v101
	s_delay_alu instid0(VALU_DEP_2) | instskip(NEXT) | instid1(VALU_DEP_2)
	v_add_f32_e32 v101, v100, v99
	v_add_f32_e32 v87, v87, v97
	s_delay_alu instid0(VALU_DEP_2) | instskip(SKIP_1) | instid1(VALU_DEP_1)
	v_rcp_f32_e32 v97, v101
	v_sub_f32_e32 v100, v100, v101
	v_dual_add_f32 v102, v98, v87 :: v_dual_add_f32 v99, v99, v100
	s_delay_alu instid0(VALU_DEP_1) | instskip(SKIP_2) | instid1(VALU_DEP_1)
	v_sub_f32_e32 v98, v98, v102
	s_waitcnt_depctr 0xfff
	v_mul_f32_e32 v103, v102, v97
	v_dual_add_f32 v87, v87, v98 :: v_dual_mul_f32 v112, v101, v103
	s_delay_alu instid0(VALU_DEP_1) | instskip(NEXT) | instid1(VALU_DEP_1)
	v_fma_f32 v100, v103, v101, -v112
	v_fmac_f32_e32 v100, v103, v99
	s_delay_alu instid0(VALU_DEP_1) | instskip(NEXT) | instid1(VALU_DEP_1)
	v_add_f32_e32 v113, v112, v100
	v_sub_f32_e32 v114, v102, v113
	v_sub_f32_e32 v98, v113, v112
	s_delay_alu instid0(VALU_DEP_2) | instskip(NEXT) | instid1(VALU_DEP_2)
	v_sub_f32_e32 v102, v102, v114
	v_sub_f32_e32 v98, v98, v100
	s_delay_alu instid0(VALU_DEP_2) | instskip(NEXT) | instid1(VALU_DEP_1)
	v_sub_f32_e32 v102, v102, v113
	v_add_f32_e32 v87, v87, v102
	s_delay_alu instid0(VALU_DEP_1) | instskip(NEXT) | instid1(VALU_DEP_1)
	v_add_f32_e32 v87, v98, v87
	v_add_f32_e32 v98, v114, v87
	s_delay_alu instid0(VALU_DEP_1) | instskip(NEXT) | instid1(VALU_DEP_1)
	v_mul_f32_e32 v100, v97, v98
	v_dual_sub_f32 v113, v114, v98 :: v_dual_mul_f32 v102, v101, v100
	s_delay_alu instid0(VALU_DEP_1) | instskip(NEXT) | instid1(VALU_DEP_2)
	v_add_f32_e32 v87, v87, v113
	v_fma_f32 v101, v100, v101, -v102
	s_delay_alu instid0(VALU_DEP_1) | instskip(NEXT) | instid1(VALU_DEP_1)
	v_fmac_f32_e32 v101, v100, v99
	v_add_f32_e32 v99, v102, v101
	s_delay_alu instid0(VALU_DEP_1) | instskip(SKIP_1) | instid1(VALU_DEP_2)
	v_sub_f32_e32 v112, v98, v99
	v_sub_f32_e32 v102, v99, v102
	;; [unrolled: 1-line block ×3, first 2 shown]
	s_delay_alu instid0(VALU_DEP_1) | instskip(NEXT) | instid1(VALU_DEP_3)
	v_sub_f32_e32 v98, v98, v99
	v_sub_f32_e32 v99, v102, v101
	s_delay_alu instid0(VALU_DEP_2) | instskip(SKIP_1) | instid1(VALU_DEP_2)
	v_add_f32_e32 v87, v87, v98
	v_add_f32_e32 v98, v103, v100
	;; [unrolled: 1-line block ×3, first 2 shown]
	s_delay_alu instid0(VALU_DEP_2) | instskip(NEXT) | instid1(VALU_DEP_2)
	v_sub_f32_e32 v99, v98, v103
	v_add_f32_e32 v87, v112, v87
	s_delay_alu instid0(VALU_DEP_2) | instskip(NEXT) | instid1(VALU_DEP_2)
	v_sub_f32_e32 v99, v100, v99
	v_mul_f32_e32 v87, v97, v87
	s_delay_alu instid0(VALU_DEP_1) | instskip(NEXT) | instid1(VALU_DEP_1)
	v_add_f32_e32 v87, v99, v87
	v_add_f32_e32 v97, v98, v87
	s_delay_alu instid0(VALU_DEP_1) | instskip(NEXT) | instid1(VALU_DEP_1)
	v_mul_f32_e32 v99, v97, v97
	v_fmaak_f32 v100, s4, v99, 0x3ecc95a3
	v_mul_f32_e32 v101, v97, v99
	v_cmp_gt_f32_e64 s4, 0x33800000, |v96|
	s_delay_alu instid0(VALU_DEP_3) | instskip(SKIP_2) | instid1(VALU_DEP_4)
	v_fmaak_f32 v99, v99, v100, 0x3f2aaada
	v_ldexp_f32 v100, v97, 1
	v_sub_f32_e32 v97, v97, v98
	s_or_b32 vcc_lo, vcc_lo, s4
	s_delay_alu instid0(VALU_DEP_3) | instskip(SKIP_1) | instid1(VALU_DEP_2)
	v_mul_f32_e32 v99, v101, v99
	v_mul_f32_e32 v101, 0x3f317218, v86
	v_dual_sub_f32 v87, v87, v97 :: v_dual_add_f32 v98, v100, v99
	s_delay_alu instid0(VALU_DEP_1) | instskip(NEXT) | instid1(VALU_DEP_2)
	v_ldexp_f32 v87, v87, 1
	v_sub_f32_e32 v97, v98, v100
	s_delay_alu instid0(VALU_DEP_4) | instskip(NEXT) | instid1(VALU_DEP_1)
	v_fma_f32 v100, 0x3f317218, v86, -v101
	v_dual_sub_f32 v97, v99, v97 :: v_dual_fmamk_f32 v86, v86, 0xb102e308, v100
	s_delay_alu instid0(VALU_DEP_1) | instskip(NEXT) | instid1(VALU_DEP_2)
	v_add_f32_e32 v87, v87, v97
	v_add_f32_e32 v97, v101, v86
	s_delay_alu instid0(VALU_DEP_2) | instskip(NEXT) | instid1(VALU_DEP_2)
	v_add_f32_e32 v99, v98, v87
	v_sub_f32_e32 v101, v97, v101
	s_delay_alu instid0(VALU_DEP_2) | instskip(SKIP_1) | instid1(VALU_DEP_3)
	v_add_f32_e32 v100, v97, v99
	v_sub_f32_e32 v98, v99, v98
	v_sub_f32_e32 v86, v86, v101
	s_delay_alu instid0(VALU_DEP_2) | instskip(NEXT) | instid1(VALU_DEP_1)
	v_dual_sub_f32 v102, v100, v97 :: v_dual_sub_f32 v87, v87, v98
	v_sub_f32_e32 v103, v100, v102
	s_delay_alu instid0(VALU_DEP_2) | instskip(NEXT) | instid1(VALU_DEP_2)
	v_dual_sub_f32 v98, v99, v102 :: v_dual_add_f32 v99, v86, v87
	v_sub_f32_e32 v97, v97, v103
	s_delay_alu instid0(VALU_DEP_1) | instskip(NEXT) | instid1(VALU_DEP_1)
	v_dual_add_f32 v97, v98, v97 :: v_dual_sub_f32 v98, v99, v86
	v_add_f32_e32 v97, v99, v97
	s_delay_alu instid0(VALU_DEP_2) | instskip(SKIP_1) | instid1(VALU_DEP_2)
	v_sub_f32_e32 v99, v99, v98
	v_sub_f32_e32 v87, v87, v98
	v_dual_add_f32 v101, v100, v97 :: v_dual_sub_f32 v86, v86, v99
	s_delay_alu instid0(VALU_DEP_1) | instskip(NEXT) | instid1(VALU_DEP_2)
	v_sub_f32_e32 v98, v101, v100
	v_add_f32_e32 v86, v87, v86
	s_delay_alu instid0(VALU_DEP_2) | instskip(NEXT) | instid1(VALU_DEP_1)
	v_sub_f32_e32 v87, v97, v98
	v_add_f32_e32 v86, v86, v87
	s_delay_alu instid0(VALU_DEP_1) | instskip(NEXT) | instid1(VALU_DEP_1)
	v_add_f32_e32 v86, v101, v86
	v_cndmask_b32_e32 v86, v86, v96, vcc_lo
	s_delay_alu instid0(VALU_DEP_1)
	v_add_f32_e32 v86, v85, v86
.LBB521_230:
	s_or_b32 exec_lo, exec_lo, s3
	s_delay_alu instid0(VALU_DEP_1) | instskip(SKIP_1) | instid1(VALU_DEP_2)
	v_bfe_u32 v85, v86, 16, 1
	v_cmp_o_f32_e32 vcc_lo, v86, v86
	v_add3_u32 v85, v86, v85, 0x7fff
	s_delay_alu instid0(VALU_DEP_1) | instskip(NEXT) | instid1(VALU_DEP_1)
	v_lshrrev_b32_e32 v85, 16, v85
	v_cndmask_b32_e32 v85, 0x7fc0, v85, vcc_lo
	s_delay_alu instid0(VALU_DEP_1) | instskip(NEXT) | instid1(VALU_DEP_1)
	v_lshlrev_b32_e32 v87, 16, v85
	v_max_f32_e32 v86, v87, v87
	s_delay_alu instid0(VALU_DEP_1) | instskip(SKIP_2) | instid1(VALU_DEP_3)
	v_min_f32_e32 v96, v86, v135
	v_max_f32_e32 v86, v86, v135
	v_cmp_u_f32_e32 vcc_lo, v87, v87
	v_cndmask_b32_e32 v96, v96, v87, vcc_lo
	s_delay_alu instid0(VALU_DEP_3) | instskip(NEXT) | instid1(VALU_DEP_2)
	v_cndmask_b32_e32 v86, v86, v87, vcc_lo
	v_cndmask_b32_e64 v96, v96, v131, s22
	s_delay_alu instid0(VALU_DEP_2) | instskip(NEXT) | instid1(VALU_DEP_2)
	v_cndmask_b32_e64 v86, v86, v131, s22
	v_cmp_class_f32_e64 s3, v96, 0x1f8
	s_delay_alu instid0(VALU_DEP_2) | instskip(NEXT) | instid1(VALU_DEP_2)
	v_cmp_neq_f32_e32 vcc_lo, v96, v86
	s_or_b32 s4, vcc_lo, s3
	s_delay_alu instid0(SALU_CYCLE_1)
	s_and_saveexec_b32 s3, s4
	s_cbranch_execz .LBB521_232
; %bb.231:
	v_sub_f32_e32 v87, v96, v86
	s_mov_b32 s4, 0x3e9b6dac
	s_delay_alu instid0(VALU_DEP_1) | instskip(SKIP_1) | instid1(VALU_DEP_2)
	v_mul_f32_e32 v96, 0x3fb8aa3b, v87
	v_cmp_ngt_f32_e32 vcc_lo, 0xc2ce8ed0, v87
	v_fma_f32 v97, 0x3fb8aa3b, v87, -v96
	v_rndne_f32_e32 v98, v96
	s_delay_alu instid0(VALU_DEP_1) | instskip(NEXT) | instid1(VALU_DEP_1)
	v_dual_fmamk_f32 v97, v87, 0x32a5705f, v97 :: v_dual_sub_f32 v96, v96, v98
	v_add_f32_e32 v96, v96, v97
	v_cvt_i32_f32_e32 v97, v98
	s_delay_alu instid0(VALU_DEP_2) | instskip(SKIP_2) | instid1(VALU_DEP_1)
	v_exp_f32_e32 v96, v96
	s_waitcnt_depctr 0xfff
	v_ldexp_f32 v96, v96, v97
	v_cndmask_b32_e32 v96, 0, v96, vcc_lo
	v_cmp_nlt_f32_e32 vcc_lo, 0x42b17218, v87
	s_delay_alu instid0(VALU_DEP_2) | instskip(NEXT) | instid1(VALU_DEP_1)
	v_cndmask_b32_e32 v87, 0x7f800000, v96, vcc_lo
	v_add_f32_e32 v98, 1.0, v87
	s_delay_alu instid0(VALU_DEP_1) | instskip(NEXT) | instid1(VALU_DEP_1)
	v_cvt_f64_f32_e32 v[96:97], v98
	v_frexp_exp_i32_f64_e32 v96, v[96:97]
	v_frexp_mant_f32_e32 v97, v98
	s_delay_alu instid0(VALU_DEP_1) | instskip(SKIP_1) | instid1(VALU_DEP_1)
	v_cmp_gt_f32_e32 vcc_lo, 0x3f2aaaab, v97
	v_add_f32_e32 v97, -1.0, v98
	v_dual_sub_f32 v100, v97, v98 :: v_dual_sub_f32 v97, v87, v97
	v_subrev_co_ci_u32_e32 v96, vcc_lo, 0, v96, vcc_lo
	v_cmp_eq_f32_e32 vcc_lo, 0x7f800000, v87
	s_delay_alu instid0(VALU_DEP_2) | instskip(SKIP_1) | instid1(VALU_DEP_2)
	v_sub_nc_u32_e32 v99, 0, v96
	v_cvt_f32_i32_e32 v96, v96
	v_ldexp_f32 v98, v98, v99
	s_delay_alu instid0(VALU_DEP_1) | instskip(NEXT) | instid1(VALU_DEP_1)
	v_dual_add_f32 v100, 1.0, v100 :: v_dual_add_f32 v101, 1.0, v98
	v_dual_add_f32 v97, v97, v100 :: v_dual_add_f32 v100, -1.0, v101
	s_delay_alu instid0(VALU_DEP_1) | instskip(NEXT) | instid1(VALU_DEP_2)
	v_ldexp_f32 v97, v97, v99
	v_dual_add_f32 v99, -1.0, v98 :: v_dual_sub_f32 v100, v98, v100
	s_delay_alu instid0(VALU_DEP_1) | instskip(NEXT) | instid1(VALU_DEP_2)
	v_add_f32_e32 v102, 1.0, v99
	v_add_f32_e32 v100, v97, v100
	s_delay_alu instid0(VALU_DEP_2) | instskip(NEXT) | instid1(VALU_DEP_1)
	v_sub_f32_e32 v98, v98, v102
	v_add_f32_e32 v97, v97, v98
	s_delay_alu instid0(VALU_DEP_1) | instskip(NEXT) | instid1(VALU_DEP_1)
	v_dual_add_f32 v103, v99, v97 :: v_dual_add_f32 v102, v101, v100
	v_sub_f32_e32 v99, v99, v103
	s_delay_alu instid0(VALU_DEP_2) | instskip(SKIP_1) | instid1(VALU_DEP_1)
	v_rcp_f32_e32 v98, v102
	v_sub_f32_e32 v101, v101, v102
	v_dual_add_f32 v97, v97, v99 :: v_dual_add_f32 v100, v100, v101
	s_waitcnt_depctr 0xfff
	v_mul_f32_e32 v112, v103, v98
	s_delay_alu instid0(VALU_DEP_1) | instskip(NEXT) | instid1(VALU_DEP_1)
	v_mul_f32_e32 v113, v102, v112
	v_fma_f32 v101, v112, v102, -v113
	s_delay_alu instid0(VALU_DEP_1) | instskip(NEXT) | instid1(VALU_DEP_1)
	v_fmac_f32_e32 v101, v112, v100
	v_add_f32_e32 v114, v113, v101
	s_delay_alu instid0(VALU_DEP_1) | instskip(NEXT) | instid1(VALU_DEP_1)
	v_sub_f32_e32 v115, v103, v114
	v_sub_f32_e32 v103, v103, v115
	;; [unrolled: 1-line block ×3, first 2 shown]
	s_delay_alu instid0(VALU_DEP_2) | instskip(NEXT) | instid1(VALU_DEP_2)
	v_sub_f32_e32 v103, v103, v114
	v_sub_f32_e32 v99, v99, v101
	s_delay_alu instid0(VALU_DEP_2) | instskip(NEXT) | instid1(VALU_DEP_1)
	v_add_f32_e32 v97, v97, v103
	v_add_f32_e32 v97, v99, v97
	s_delay_alu instid0(VALU_DEP_1) | instskip(NEXT) | instid1(VALU_DEP_1)
	v_add_f32_e32 v99, v115, v97
	v_mul_f32_e32 v101, v98, v99
	s_delay_alu instid0(VALU_DEP_1) | instskip(NEXT) | instid1(VALU_DEP_1)
	v_dual_sub_f32 v114, v115, v99 :: v_dual_mul_f32 v103, v102, v101
	v_add_f32_e32 v97, v97, v114
	s_delay_alu instid0(VALU_DEP_2) | instskip(NEXT) | instid1(VALU_DEP_1)
	v_fma_f32 v102, v101, v102, -v103
	v_fmac_f32_e32 v102, v101, v100
	s_delay_alu instid0(VALU_DEP_1) | instskip(NEXT) | instid1(VALU_DEP_1)
	v_add_f32_e32 v100, v103, v102
	v_sub_f32_e32 v113, v99, v100
	v_sub_f32_e32 v103, v100, v103
	s_delay_alu instid0(VALU_DEP_2) | instskip(NEXT) | instid1(VALU_DEP_1)
	v_sub_f32_e32 v99, v99, v113
	v_sub_f32_e32 v99, v99, v100
	s_delay_alu instid0(VALU_DEP_1) | instskip(SKIP_1) | instid1(VALU_DEP_1)
	v_dual_sub_f32 v100, v103, v102 :: v_dual_add_f32 v97, v97, v99
	v_add_f32_e32 v99, v112, v101
	v_dual_add_f32 v97, v100, v97 :: v_dual_sub_f32 v100, v99, v112
	s_delay_alu instid0(VALU_DEP_1) | instskip(NEXT) | instid1(VALU_DEP_1)
	v_add_f32_e32 v97, v113, v97
	v_dual_sub_f32 v100, v101, v100 :: v_dual_mul_f32 v97, v98, v97
	s_delay_alu instid0(VALU_DEP_1) | instskip(NEXT) | instid1(VALU_DEP_1)
	v_add_f32_e32 v97, v100, v97
	v_add_f32_e32 v98, v99, v97
	s_delay_alu instid0(VALU_DEP_1) | instskip(NEXT) | instid1(VALU_DEP_1)
	v_mul_f32_e32 v100, v98, v98
	v_fmaak_f32 v101, s4, v100, 0x3ecc95a3
	v_mul_f32_e32 v102, v98, v100
	v_cmp_gt_f32_e64 s4, 0x33800000, |v87|
	s_delay_alu instid0(VALU_DEP_3) | instskip(SKIP_2) | instid1(VALU_DEP_4)
	v_fmaak_f32 v100, v100, v101, 0x3f2aaada
	v_ldexp_f32 v101, v98, 1
	v_sub_f32_e32 v98, v98, v99
	s_or_b32 vcc_lo, vcc_lo, s4
	s_delay_alu instid0(VALU_DEP_3) | instskip(NEXT) | instid1(VALU_DEP_2)
	v_mul_f32_e32 v100, v102, v100
	v_dual_mul_f32 v102, 0x3f317218, v96 :: v_dual_sub_f32 v97, v97, v98
	s_delay_alu instid0(VALU_DEP_2) | instskip(NEXT) | instid1(VALU_DEP_2)
	v_add_f32_e32 v99, v101, v100
	v_ldexp_f32 v97, v97, 1
	s_delay_alu instid0(VALU_DEP_2) | instskip(NEXT) | instid1(VALU_DEP_4)
	v_sub_f32_e32 v98, v99, v101
	v_fma_f32 v101, 0x3f317218, v96, -v102
	s_delay_alu instid0(VALU_DEP_2) | instskip(NEXT) | instid1(VALU_DEP_1)
	v_sub_f32_e32 v98, v100, v98
	v_dual_fmamk_f32 v96, v96, 0xb102e308, v101 :: v_dual_add_f32 v97, v97, v98
	s_delay_alu instid0(VALU_DEP_1) | instskip(NEXT) | instid1(VALU_DEP_1)
	v_add_f32_e32 v98, v102, v96
	v_sub_f32_e32 v102, v98, v102
	s_delay_alu instid0(VALU_DEP_1) | instskip(NEXT) | instid1(VALU_DEP_4)
	v_sub_f32_e32 v96, v96, v102
	v_add_f32_e32 v100, v99, v97
	s_delay_alu instid0(VALU_DEP_1) | instskip(NEXT) | instid1(VALU_DEP_1)
	v_sub_f32_e32 v99, v100, v99
	v_sub_f32_e32 v97, v97, v99
	v_add_f32_e32 v101, v98, v100
	s_delay_alu instid0(VALU_DEP_1) | instskip(NEXT) | instid1(VALU_DEP_1)
	v_sub_f32_e32 v103, v101, v98
	v_sub_f32_e32 v99, v100, v103
	s_delay_alu instid0(VALU_DEP_4) | instskip(SKIP_1) | instid1(VALU_DEP_1)
	v_add_f32_e32 v100, v96, v97
	v_sub_f32_e32 v112, v101, v103
	v_sub_f32_e32 v98, v98, v112
	s_delay_alu instid0(VALU_DEP_1) | instskip(NEXT) | instid1(VALU_DEP_1)
	v_dual_add_f32 v98, v99, v98 :: v_dual_sub_f32 v99, v100, v96
	v_dual_add_f32 v98, v100, v98 :: v_dual_sub_f32 v97, v97, v99
	v_sub_f32_e32 v100, v100, v99
	s_delay_alu instid0(VALU_DEP_2) | instskip(NEXT) | instid1(VALU_DEP_1)
	v_add_f32_e32 v102, v101, v98
	v_dual_sub_f32 v96, v96, v100 :: v_dual_sub_f32 v99, v102, v101
	s_delay_alu instid0(VALU_DEP_1) | instskip(NEXT) | instid1(VALU_DEP_1)
	v_dual_add_f32 v96, v97, v96 :: v_dual_sub_f32 v97, v98, v99
	v_add_f32_e32 v96, v96, v97
	s_delay_alu instid0(VALU_DEP_1) | instskip(NEXT) | instid1(VALU_DEP_1)
	v_add_f32_e32 v96, v102, v96
	v_cndmask_b32_e32 v87, v96, v87, vcc_lo
	s_delay_alu instid0(VALU_DEP_1)
	v_add_f32_e32 v87, v86, v87
.LBB521_232:
	s_or_b32 exec_lo, exec_lo, s3
	s_delay_alu instid0(VALU_DEP_1) | instskip(SKIP_1) | instid1(VALU_DEP_2)
	v_bfe_u32 v86, v87, 16, 1
	v_cmp_o_f32_e32 vcc_lo, v87, v87
	v_add3_u32 v86, v87, v86, 0x7fff
	s_delay_alu instid0(VALU_DEP_1) | instskip(NEXT) | instid1(VALU_DEP_1)
	v_lshrrev_b32_e32 v86, 16, v86
	v_cndmask_b32_e32 v86, 0x7fc0, v86, vcc_lo
	s_delay_alu instid0(VALU_DEP_1) | instskip(NEXT) | instid1(VALU_DEP_1)
	v_lshlrev_b32_e32 v96, 16, v86
	v_max_f32_e32 v87, v96, v96
	s_delay_alu instid0(VALU_DEP_1) | instskip(SKIP_2) | instid1(VALU_DEP_3)
	v_min_f32_e32 v97, v87, v144
	v_max_f32_e32 v87, v87, v144
	v_cmp_u_f32_e32 vcc_lo, v96, v96
	v_cndmask_b32_e32 v97, v97, v96, vcc_lo
	s_delay_alu instid0(VALU_DEP_3) | instskip(NEXT) | instid1(VALU_DEP_2)
	v_cndmask_b32_e32 v87, v87, v96, vcc_lo
	v_cndmask_b32_e64 v97, v97, v133, s23
	s_delay_alu instid0(VALU_DEP_2) | instskip(NEXT) | instid1(VALU_DEP_2)
	v_cndmask_b32_e64 v87, v87, v133, s23
	v_cmp_class_f32_e64 s3, v97, 0x1f8
	s_delay_alu instid0(VALU_DEP_2) | instskip(NEXT) | instid1(VALU_DEP_2)
	v_cmp_neq_f32_e32 vcc_lo, v97, v87
	s_or_b32 s4, vcc_lo, s3
	s_delay_alu instid0(SALU_CYCLE_1)
	s_and_saveexec_b32 s3, s4
	s_cbranch_execz .LBB521_234
; %bb.233:
	v_sub_f32_e32 v96, v97, v87
	s_mov_b32 s4, 0x3e9b6dac
	s_delay_alu instid0(VALU_DEP_1) | instskip(SKIP_1) | instid1(VALU_DEP_2)
	v_mul_f32_e32 v97, 0x3fb8aa3b, v96
	v_cmp_ngt_f32_e32 vcc_lo, 0xc2ce8ed0, v96
	v_fma_f32 v98, 0x3fb8aa3b, v96, -v97
	v_rndne_f32_e32 v99, v97
	s_delay_alu instid0(VALU_DEP_1) | instskip(NEXT) | instid1(VALU_DEP_1)
	v_dual_fmamk_f32 v98, v96, 0x32a5705f, v98 :: v_dual_sub_f32 v97, v97, v99
	v_add_f32_e32 v97, v97, v98
	v_cvt_i32_f32_e32 v98, v99
	s_delay_alu instid0(VALU_DEP_2) | instskip(SKIP_2) | instid1(VALU_DEP_1)
	v_exp_f32_e32 v97, v97
	s_waitcnt_depctr 0xfff
	v_ldexp_f32 v97, v97, v98
	v_cndmask_b32_e32 v97, 0, v97, vcc_lo
	v_cmp_nlt_f32_e32 vcc_lo, 0x42b17218, v96
	s_delay_alu instid0(VALU_DEP_2) | instskip(NEXT) | instid1(VALU_DEP_1)
	v_cndmask_b32_e32 v98, 0x7f800000, v97, vcc_lo
	v_add_f32_e32 v99, 1.0, v98
	s_delay_alu instid0(VALU_DEP_1) | instskip(NEXT) | instid1(VALU_DEP_1)
	v_cvt_f64_f32_e32 v[96:97], v99
	v_frexp_exp_i32_f64_e32 v96, v[96:97]
	v_frexp_mant_f32_e32 v97, v99
	s_delay_alu instid0(VALU_DEP_1) | instskip(SKIP_1) | instid1(VALU_DEP_1)
	v_cmp_gt_f32_e32 vcc_lo, 0x3f2aaaab, v97
	v_add_f32_e32 v97, -1.0, v99
	v_sub_f32_e32 v101, v97, v99
	v_sub_f32_e32 v97, v98, v97
	v_subrev_co_ci_u32_e32 v96, vcc_lo, 0, v96, vcc_lo
	v_cmp_eq_f32_e32 vcc_lo, 0x7f800000, v98
	s_delay_alu instid0(VALU_DEP_2) | instskip(SKIP_1) | instid1(VALU_DEP_2)
	v_sub_nc_u32_e32 v100, 0, v96
	v_cvt_f32_i32_e32 v96, v96
	v_ldexp_f32 v99, v99, v100
	s_delay_alu instid0(VALU_DEP_1) | instskip(NEXT) | instid1(VALU_DEP_1)
	v_dual_add_f32 v102, 1.0, v99 :: v_dual_add_f32 v101, 1.0, v101
	v_add_f32_e32 v97, v97, v101
	s_delay_alu instid0(VALU_DEP_2) | instskip(NEXT) | instid1(VALU_DEP_2)
	v_add_f32_e32 v101, -1.0, v102
	v_ldexp_f32 v97, v97, v100
	s_delay_alu instid0(VALU_DEP_2) | instskip(NEXT) | instid1(VALU_DEP_1)
	v_dual_add_f32 v100, -1.0, v99 :: v_dual_sub_f32 v101, v99, v101
	v_add_f32_e32 v103, 1.0, v100
	s_delay_alu instid0(VALU_DEP_2) | instskip(NEXT) | instid1(VALU_DEP_2)
	v_add_f32_e32 v101, v97, v101
	v_sub_f32_e32 v99, v99, v103
	s_delay_alu instid0(VALU_DEP_2) | instskip(NEXT) | instid1(VALU_DEP_2)
	v_add_f32_e32 v103, v102, v101
	v_add_f32_e32 v97, v97, v99
	s_delay_alu instid0(VALU_DEP_2) | instskip(SKIP_1) | instid1(VALU_DEP_1)
	v_rcp_f32_e32 v99, v103
	v_sub_f32_e32 v102, v102, v103
	v_dual_add_f32 v112, v100, v97 :: v_dual_add_f32 v101, v101, v102
	s_delay_alu instid0(VALU_DEP_1) | instskip(SKIP_2) | instid1(VALU_DEP_1)
	v_sub_f32_e32 v100, v100, v112
	s_waitcnt_depctr 0xfff
	v_mul_f32_e32 v113, v112, v99
	v_dual_add_f32 v97, v97, v100 :: v_dual_mul_f32 v114, v103, v113
	s_delay_alu instid0(VALU_DEP_1) | instskip(NEXT) | instid1(VALU_DEP_1)
	v_fma_f32 v102, v113, v103, -v114
	v_fmac_f32_e32 v102, v113, v101
	s_delay_alu instid0(VALU_DEP_1) | instskip(NEXT) | instid1(VALU_DEP_1)
	v_add_f32_e32 v115, v114, v102
	v_sub_f32_e32 v116, v112, v115
	v_sub_f32_e32 v100, v115, v114
	s_delay_alu instid0(VALU_DEP_2) | instskip(NEXT) | instid1(VALU_DEP_2)
	v_sub_f32_e32 v112, v112, v116
	v_sub_f32_e32 v100, v100, v102
	s_delay_alu instid0(VALU_DEP_2) | instskip(NEXT) | instid1(VALU_DEP_1)
	v_sub_f32_e32 v112, v112, v115
	v_add_f32_e32 v97, v97, v112
	s_delay_alu instid0(VALU_DEP_1) | instskip(NEXT) | instid1(VALU_DEP_1)
	v_add_f32_e32 v97, v100, v97
	v_add_f32_e32 v100, v116, v97
	s_delay_alu instid0(VALU_DEP_1) | instskip(NEXT) | instid1(VALU_DEP_1)
	v_mul_f32_e32 v102, v99, v100
	v_dual_sub_f32 v115, v116, v100 :: v_dual_mul_f32 v112, v103, v102
	s_delay_alu instid0(VALU_DEP_1) | instskip(NEXT) | instid1(VALU_DEP_2)
	v_add_f32_e32 v97, v97, v115
	v_fma_f32 v103, v102, v103, -v112
	s_delay_alu instid0(VALU_DEP_1) | instskip(NEXT) | instid1(VALU_DEP_1)
	v_fmac_f32_e32 v103, v102, v101
	v_add_f32_e32 v101, v112, v103
	s_delay_alu instid0(VALU_DEP_1) | instskip(SKIP_1) | instid1(VALU_DEP_2)
	v_sub_f32_e32 v114, v100, v101
	v_sub_f32_e32 v112, v101, v112
	;; [unrolled: 1-line block ×3, first 2 shown]
	s_delay_alu instid0(VALU_DEP_1) | instskip(NEXT) | instid1(VALU_DEP_3)
	v_sub_f32_e32 v100, v100, v101
	v_sub_f32_e32 v101, v112, v103
	s_delay_alu instid0(VALU_DEP_2) | instskip(SKIP_1) | instid1(VALU_DEP_2)
	v_add_f32_e32 v97, v97, v100
	v_add_f32_e32 v100, v113, v102
	;; [unrolled: 1-line block ×3, first 2 shown]
	s_delay_alu instid0(VALU_DEP_2) | instskip(NEXT) | instid1(VALU_DEP_2)
	v_sub_f32_e32 v101, v100, v113
	v_add_f32_e32 v97, v114, v97
	s_delay_alu instid0(VALU_DEP_2) | instskip(NEXT) | instid1(VALU_DEP_2)
	v_sub_f32_e32 v101, v102, v101
	v_mul_f32_e32 v97, v99, v97
	s_delay_alu instid0(VALU_DEP_1) | instskip(NEXT) | instid1(VALU_DEP_1)
	v_add_f32_e32 v97, v101, v97
	v_add_f32_e32 v99, v100, v97
	s_delay_alu instid0(VALU_DEP_1) | instskip(NEXT) | instid1(VALU_DEP_1)
	v_mul_f32_e32 v101, v99, v99
	v_fmaak_f32 v102, s4, v101, 0x3ecc95a3
	v_mul_f32_e32 v103, v99, v101
	v_cmp_gt_f32_e64 s4, 0x33800000, |v98|
	s_delay_alu instid0(VALU_DEP_3) | instskip(SKIP_2) | instid1(VALU_DEP_4)
	v_fmaak_f32 v101, v101, v102, 0x3f2aaada
	v_ldexp_f32 v102, v99, 1
	v_sub_f32_e32 v99, v99, v100
	s_or_b32 vcc_lo, vcc_lo, s4
	s_delay_alu instid0(VALU_DEP_3) | instskip(SKIP_1) | instid1(VALU_DEP_2)
	v_mul_f32_e32 v101, v103, v101
	v_mul_f32_e32 v103, 0x3f317218, v96
	v_dual_sub_f32 v97, v97, v99 :: v_dual_add_f32 v100, v102, v101
	s_delay_alu instid0(VALU_DEP_1) | instskip(NEXT) | instid1(VALU_DEP_2)
	v_ldexp_f32 v97, v97, 1
	v_sub_f32_e32 v99, v100, v102
	s_delay_alu instid0(VALU_DEP_4) | instskip(NEXT) | instid1(VALU_DEP_1)
	v_fma_f32 v102, 0x3f317218, v96, -v103
	v_dual_sub_f32 v99, v101, v99 :: v_dual_fmamk_f32 v96, v96, 0xb102e308, v102
	s_delay_alu instid0(VALU_DEP_1) | instskip(NEXT) | instid1(VALU_DEP_2)
	v_add_f32_e32 v97, v97, v99
	v_add_f32_e32 v99, v103, v96
	s_delay_alu instid0(VALU_DEP_2) | instskip(NEXT) | instid1(VALU_DEP_2)
	v_add_f32_e32 v101, v100, v97
	v_sub_f32_e32 v103, v99, v103
	s_delay_alu instid0(VALU_DEP_2) | instskip(SKIP_1) | instid1(VALU_DEP_3)
	v_add_f32_e32 v102, v99, v101
	v_sub_f32_e32 v100, v101, v100
	v_sub_f32_e32 v96, v96, v103
	s_delay_alu instid0(VALU_DEP_2) | instskip(NEXT) | instid1(VALU_DEP_1)
	v_dual_sub_f32 v112, v102, v99 :: v_dual_sub_f32 v97, v97, v100
	v_sub_f32_e32 v113, v102, v112
	s_delay_alu instid0(VALU_DEP_2) | instskip(NEXT) | instid1(VALU_DEP_2)
	v_dual_sub_f32 v100, v101, v112 :: v_dual_add_f32 v101, v96, v97
	v_sub_f32_e32 v99, v99, v113
	s_delay_alu instid0(VALU_DEP_1) | instskip(NEXT) | instid1(VALU_DEP_1)
	v_dual_add_f32 v99, v100, v99 :: v_dual_sub_f32 v100, v101, v96
	v_add_f32_e32 v99, v101, v99
	s_delay_alu instid0(VALU_DEP_2) | instskip(SKIP_1) | instid1(VALU_DEP_2)
	v_sub_f32_e32 v101, v101, v100
	v_sub_f32_e32 v97, v97, v100
	v_dual_add_f32 v103, v102, v99 :: v_dual_sub_f32 v96, v96, v101
	s_delay_alu instid0(VALU_DEP_1) | instskip(NEXT) | instid1(VALU_DEP_2)
	v_sub_f32_e32 v100, v103, v102
	v_add_f32_e32 v96, v97, v96
	s_delay_alu instid0(VALU_DEP_2) | instskip(NEXT) | instid1(VALU_DEP_1)
	v_sub_f32_e32 v97, v99, v100
	v_add_f32_e32 v96, v96, v97
	s_delay_alu instid0(VALU_DEP_1) | instskip(NEXT) | instid1(VALU_DEP_1)
	v_add_f32_e32 v96, v103, v96
	v_cndmask_b32_e32 v96, v96, v98, vcc_lo
	s_delay_alu instid0(VALU_DEP_1)
	v_add_f32_e32 v96, v87, v96
.LBB521_234:
	s_or_b32 exec_lo, exec_lo, s3
	s_delay_alu instid0(VALU_DEP_1) | instskip(SKIP_1) | instid1(VALU_DEP_2)
	v_bfe_u32 v87, v96, 16, 1
	v_cmp_o_f32_e32 vcc_lo, v96, v96
	v_add3_u32 v87, v96, v87, 0x7fff
	s_delay_alu instid0(VALU_DEP_1) | instskip(NEXT) | instid1(VALU_DEP_1)
	v_lshrrev_b32_e32 v87, 16, v87
	v_cndmask_b32_e32 v87, 0x7fc0, v87, vcc_lo
	s_branch .LBB521_361
.LBB521_235:
                                        ; implicit-def: $vgpr16
                                        ; implicit-def: $vgpr17
                                        ; implicit-def: $vgpr22
                                        ; implicit-def: $vgpr23
                                        ; implicit-def: $vgpr64
                                        ; implicit-def: $vgpr65
                                        ; implicit-def: $vgpr145
                                        ; implicit-def: $vgpr146
                                        ; implicit-def: $vgpr66
                                        ; implicit-def: $vgpr67
                                        ; implicit-def: $vgpr68
                                        ; implicit-def: $vgpr69
                                        ; implicit-def: $vgpr70
                                        ; implicit-def: $vgpr71
                                        ; implicit-def: $vgpr80
                                        ; implicit-def: $vgpr81
                                        ; implicit-def: $vgpr82
                                        ; implicit-def: $vgpr83
                                        ; implicit-def: $vgpr84
                                        ; implicit-def: $vgpr85
                                        ; implicit-def: $vgpr86
                                        ; implicit-def: $vgpr87
	s_cbranch_execz .LBB521_361
; %bb.236:
	v_cmp_ne_u64_e32 vcc_lo, 0, v[6:7]
	v_mov_b32_e32 v16, v12
	s_and_b32 s4, s2, vcc_lo
	s_delay_alu instid0(SALU_CYCLE_1)
	s_and_saveexec_b32 s3, s4
	s_cbranch_execz .LBB521_240
; %bb.237:
	flat_load_u16 v2, v[2:3]
	s_waitcnt vmcnt(0) lgkmcnt(0)
	v_lshlrev_b32_e32 v3, 16, v2
	s_delay_alu instid0(VALU_DEP_1) | instskip(NEXT) | instid1(VALU_DEP_1)
	v_dual_max_f32 v6, v3, v3 :: v_dual_lshlrev_b32 v7, 16, v12
	v_max_f32_e32 v2, v7, v7
	v_cmp_u_f32_e32 vcc_lo, v3, v3
	s_delay_alu instid0(VALU_DEP_2) | instskip(SKIP_1) | instid1(VALU_DEP_2)
	v_min_f32_e32 v12, v6, v2
	v_max_f32_e32 v2, v6, v2
	v_cndmask_b32_e32 v6, v12, v3, vcc_lo
	s_delay_alu instid0(VALU_DEP_2) | instskip(SKIP_1) | instid1(VALU_DEP_3)
	v_cndmask_b32_e32 v2, v2, v3, vcc_lo
	v_cmp_u_f32_e32 vcc_lo, v7, v7
	v_cndmask_b32_e32 v6, v6, v7, vcc_lo
	s_delay_alu instid0(VALU_DEP_3) | instskip(NEXT) | instid1(VALU_DEP_2)
	v_cndmask_b32_e32 v2, v2, v7, vcc_lo
	v_cmp_class_f32_e64 s4, v6, 0x1f8
	s_delay_alu instid0(VALU_DEP_2) | instskip(NEXT) | instid1(VALU_DEP_2)
	v_cmp_neq_f32_e32 vcc_lo, v6, v2
	s_or_b32 s5, vcc_lo, s4
	s_delay_alu instid0(SALU_CYCLE_1)
	s_and_saveexec_b32 s4, s5
	s_cbranch_execz .LBB521_239
; %bb.238:
	v_sub_f32_e32 v3, v6, v2
	s_mov_b32 s5, 0x3e9b6dac
	s_delay_alu instid0(VALU_DEP_1) | instskip(SKIP_1) | instid1(VALU_DEP_2)
	v_mul_f32_e32 v6, 0x3fb8aa3b, v3
	v_cmp_ngt_f32_e32 vcc_lo, 0xc2ce8ed0, v3
	v_fma_f32 v7, 0x3fb8aa3b, v3, -v6
	v_rndne_f32_e32 v12, v6
	s_delay_alu instid0(VALU_DEP_1) | instskip(NEXT) | instid1(VALU_DEP_1)
	v_dual_fmamk_f32 v7, v3, 0x32a5705f, v7 :: v_dual_sub_f32 v6, v6, v12
	v_add_f32_e32 v6, v6, v7
	v_cvt_i32_f32_e32 v7, v12
	s_delay_alu instid0(VALU_DEP_2) | instskip(SKIP_2) | instid1(VALU_DEP_1)
	v_exp_f32_e32 v6, v6
	s_waitcnt_depctr 0xfff
	v_ldexp_f32 v6, v6, v7
	v_cndmask_b32_e32 v6, 0, v6, vcc_lo
	v_cmp_nlt_f32_e32 vcc_lo, 0x42b17218, v3
	s_delay_alu instid0(VALU_DEP_2) | instskip(NEXT) | instid1(VALU_DEP_1)
	v_cndmask_b32_e32 v3, 0x7f800000, v6, vcc_lo
	v_add_f32_e32 v12, 1.0, v3
	s_delay_alu instid0(VALU_DEP_1) | instskip(NEXT) | instid1(VALU_DEP_1)
	v_cvt_f64_f32_e32 v[6:7], v12
	v_frexp_exp_i32_f64_e32 v6, v[6:7]
	v_frexp_mant_f32_e32 v7, v12
	s_delay_alu instid0(VALU_DEP_1) | instskip(SKIP_1) | instid1(VALU_DEP_1)
	v_cmp_gt_f32_e32 vcc_lo, 0x3f2aaaab, v7
	v_add_f32_e32 v7, -1.0, v12
	v_sub_f32_e32 v17, v7, v12
	v_sub_f32_e32 v7, v3, v7
	s_delay_alu instid0(VALU_DEP_2) | instskip(SKIP_1) | instid1(VALU_DEP_1)
	v_add_f32_e32 v17, 1.0, v17
	v_subrev_co_ci_u32_e32 v6, vcc_lo, 0, v6, vcc_lo
	v_sub_nc_u32_e32 v16, 0, v6
	v_cvt_f32_i32_e32 v6, v6
	s_delay_alu instid0(VALU_DEP_2) | instskip(NEXT) | instid1(VALU_DEP_1)
	v_ldexp_f32 v12, v12, v16
	v_dual_add_f32 v7, v7, v17 :: v_dual_add_f32 v22, 1.0, v12
	s_delay_alu instid0(VALU_DEP_1) | instskip(SKIP_2) | instid1(VALU_DEP_4)
	v_ldexp_f32 v7, v7, v16
	v_add_f32_e32 v16, -1.0, v12
	v_cmp_eq_f32_e32 vcc_lo, 0x7f800000, v3
	v_add_f32_e32 v17, -1.0, v22
	s_delay_alu instid0(VALU_DEP_3) | instskip(NEXT) | instid1(VALU_DEP_2)
	v_add_f32_e32 v23, 1.0, v16
	v_sub_f32_e32 v17, v12, v17
	s_delay_alu instid0(VALU_DEP_1) | instskip(NEXT) | instid1(VALU_DEP_1)
	v_dual_sub_f32 v12, v12, v23 :: v_dual_add_f32 v17, v7, v17
	v_add_f32_e32 v7, v7, v12
	s_delay_alu instid0(VALU_DEP_1) | instskip(NEXT) | instid1(VALU_DEP_1)
	v_dual_add_f32 v64, v16, v7 :: v_dual_add_f32 v23, v22, v17
	v_sub_f32_e32 v16, v16, v64
	s_delay_alu instid0(VALU_DEP_2) | instskip(SKIP_1) | instid1(VALU_DEP_1)
	v_rcp_f32_e32 v12, v23
	v_sub_f32_e32 v22, v22, v23
	v_add_f32_e32 v17, v17, v22
	s_waitcnt_depctr 0xfff
	v_mul_f32_e32 v65, v64, v12
	s_delay_alu instid0(VALU_DEP_1) | instskip(NEXT) | instid1(VALU_DEP_1)
	v_mul_f32_e32 v66, v23, v65
	v_fma_f32 v22, v65, v23, -v66
	s_delay_alu instid0(VALU_DEP_1) | instskip(NEXT) | instid1(VALU_DEP_1)
	v_fmac_f32_e32 v22, v65, v17
	v_add_f32_e32 v67, v66, v22
	s_delay_alu instid0(VALU_DEP_1) | instskip(NEXT) | instid1(VALU_DEP_1)
	v_sub_f32_e32 v68, v64, v67
	v_sub_f32_e32 v64, v64, v68
	s_delay_alu instid0(VALU_DEP_1) | instskip(SKIP_1) | instid1(VALU_DEP_1)
	v_dual_sub_f32 v64, v64, v67 :: v_dual_add_f32 v7, v7, v16
	v_sub_f32_e32 v16, v67, v66
	v_dual_sub_f32 v16, v16, v22 :: v_dual_add_f32 v7, v7, v64
	s_delay_alu instid0(VALU_DEP_1) | instskip(NEXT) | instid1(VALU_DEP_1)
	v_add_f32_e32 v7, v16, v7
	v_add_f32_e32 v16, v68, v7
	s_delay_alu instid0(VALU_DEP_1) | instskip(NEXT) | instid1(VALU_DEP_1)
	v_mul_f32_e32 v22, v12, v16
	v_mul_f32_e32 v64, v23, v22
	s_delay_alu instid0(VALU_DEP_1) | instskip(NEXT) | instid1(VALU_DEP_1)
	v_fma_f32 v23, v22, v23, -v64
	v_fmac_f32_e32 v23, v22, v17
	v_sub_f32_e32 v67, v68, v16
	s_delay_alu instid0(VALU_DEP_1) | instskip(NEXT) | instid1(VALU_DEP_3)
	v_add_f32_e32 v7, v7, v67
	v_add_f32_e32 v17, v64, v23
	s_delay_alu instid0(VALU_DEP_1) | instskip(NEXT) | instid1(VALU_DEP_1)
	v_sub_f32_e32 v66, v16, v17
	v_sub_f32_e32 v16, v16, v66
	s_delay_alu instid0(VALU_DEP_1) | instskip(NEXT) | instid1(VALU_DEP_1)
	v_sub_f32_e32 v16, v16, v17
	v_dual_add_f32 v7, v7, v16 :: v_dual_add_f32 v16, v65, v22
	v_sub_f32_e32 v64, v17, v64
	s_delay_alu instid0(VALU_DEP_1) | instskip(NEXT) | instid1(VALU_DEP_1)
	v_sub_f32_e32 v17, v64, v23
	v_add_f32_e32 v7, v17, v7
	s_delay_alu instid0(VALU_DEP_4) | instskip(NEXT) | instid1(VALU_DEP_2)
	v_sub_f32_e32 v17, v16, v65
	v_add_f32_e32 v7, v66, v7
	s_delay_alu instid0(VALU_DEP_2) | instskip(NEXT) | instid1(VALU_DEP_2)
	v_sub_f32_e32 v17, v22, v17
	v_mul_f32_e32 v7, v12, v7
	s_delay_alu instid0(VALU_DEP_1) | instskip(NEXT) | instid1(VALU_DEP_1)
	v_add_f32_e32 v7, v17, v7
	v_add_f32_e32 v12, v16, v7
	s_delay_alu instid0(VALU_DEP_1) | instskip(NEXT) | instid1(VALU_DEP_1)
	v_mul_f32_e32 v17, v12, v12
	v_fmaak_f32 v22, s5, v17, 0x3ecc95a3
	v_mul_f32_e32 v23, v12, v17
	v_cmp_gt_f32_e64 s5, 0x33800000, |v3|
	s_delay_alu instid0(VALU_DEP_3) | instskip(SKIP_2) | instid1(VALU_DEP_4)
	v_fmaak_f32 v17, v17, v22, 0x3f2aaada
	v_ldexp_f32 v22, v12, 1
	v_sub_f32_e32 v12, v12, v16
	s_or_b32 vcc_lo, vcc_lo, s5
	s_delay_alu instid0(VALU_DEP_3) | instskip(NEXT) | instid1(VALU_DEP_1)
	v_mul_f32_e32 v17, v23, v17
	v_dual_sub_f32 v7, v7, v12 :: v_dual_add_f32 v16, v22, v17
	s_delay_alu instid0(VALU_DEP_1) | instskip(NEXT) | instid1(VALU_DEP_2)
	v_ldexp_f32 v7, v7, 1
	v_sub_f32_e32 v12, v16, v22
	s_delay_alu instid0(VALU_DEP_1) | instskip(NEXT) | instid1(VALU_DEP_1)
	v_sub_f32_e32 v12, v17, v12
	v_add_f32_e32 v7, v7, v12
	s_delay_alu instid0(VALU_DEP_1) | instskip(NEXT) | instid1(VALU_DEP_1)
	v_add_f32_e32 v17, v16, v7
	v_dual_mul_f32 v23, 0x3f317218, v6 :: v_dual_sub_f32 v16, v17, v16
	s_delay_alu instid0(VALU_DEP_1) | instskip(NEXT) | instid1(VALU_DEP_1)
	v_fma_f32 v22, 0x3f317218, v6, -v23
	v_fmamk_f32 v6, v6, 0xb102e308, v22
	s_delay_alu instid0(VALU_DEP_1) | instskip(NEXT) | instid1(VALU_DEP_1)
	v_add_f32_e32 v12, v23, v6
	v_add_f32_e32 v22, v12, v17
	s_delay_alu instid0(VALU_DEP_1) | instskip(NEXT) | instid1(VALU_DEP_1)
	v_dual_sub_f32 v23, v12, v23 :: v_dual_sub_f32 v64, v22, v12
	v_dual_sub_f32 v6, v6, v23 :: v_dual_sub_f32 v7, v7, v16
	s_delay_alu instid0(VALU_DEP_2) | instskip(NEXT) | instid1(VALU_DEP_2)
	v_sub_f32_e32 v65, v22, v64
	v_dual_sub_f32 v16, v17, v64 :: v_dual_add_f32 v17, v6, v7
	s_delay_alu instid0(VALU_DEP_2) | instskip(NEXT) | instid1(VALU_DEP_1)
	v_sub_f32_e32 v12, v12, v65
	v_add_f32_e32 v12, v16, v12
	s_delay_alu instid0(VALU_DEP_3) | instskip(NEXT) | instid1(VALU_DEP_2)
	v_sub_f32_e32 v16, v17, v6
	v_add_f32_e32 v12, v17, v12
	s_delay_alu instid0(VALU_DEP_2) | instskip(NEXT) | instid1(VALU_DEP_2)
	v_sub_f32_e32 v17, v17, v16
	v_add_f32_e32 v23, v22, v12
	s_delay_alu instid0(VALU_DEP_2) | instskip(NEXT) | instid1(VALU_DEP_2)
	v_dual_sub_f32 v6, v6, v17 :: v_dual_sub_f32 v7, v7, v16
	v_sub_f32_e32 v16, v23, v22
	s_delay_alu instid0(VALU_DEP_1) | instskip(NEXT) | instid1(VALU_DEP_1)
	v_dual_add_f32 v6, v7, v6 :: v_dual_sub_f32 v7, v12, v16
	v_add_f32_e32 v6, v6, v7
	s_delay_alu instid0(VALU_DEP_1) | instskip(NEXT) | instid1(VALU_DEP_1)
	v_add_f32_e32 v6, v23, v6
	v_cndmask_b32_e32 v3, v6, v3, vcc_lo
	s_delay_alu instid0(VALU_DEP_1)
	v_add_f32_e32 v3, v2, v3
.LBB521_239:
	s_or_b32 exec_lo, exec_lo, s4
	s_delay_alu instid0(VALU_DEP_1) | instskip(SKIP_1) | instid1(VALU_DEP_2)
	v_bfe_u32 v2, v3, 16, 1
	v_cmp_o_f32_e32 vcc_lo, v3, v3
	v_add3_u32 v2, v3, v2, 0x7fff
	s_delay_alu instid0(VALU_DEP_1) | instskip(NEXT) | instid1(VALU_DEP_1)
	v_lshrrev_b32_e32 v2, 16, v2
	v_cndmask_b32_e32 v16, 0x7fc0, v2, vcc_lo
.LBB521_240:
	s_or_b32 exec_lo, exec_lo, s3
	s_delay_alu instid0(VALU_DEP_1) | instskip(SKIP_1) | instid1(VALU_DEP_2)
	v_dual_max_f32 v17, v13, v13 :: v_dual_lshlrev_b32 v22, 16, v16
	v_cmp_u_f32_e32 vcc_lo, v13, v13
	v_max_f32_e32 v96, v22, v22
	v_cmp_u_f32_e64 s23, v22, v22
	s_delay_alu instid0(VALU_DEP_2) | instskip(SKIP_1) | instid1(VALU_DEP_2)
	v_min_f32_e32 v64, v96, v17
	v_max_f32_e32 v65, v96, v17
	v_cndmask_b32_e64 v2, v64, v22, s23
	s_delay_alu instid0(VALU_DEP_2) | instskip(NEXT) | instid1(VALU_DEP_2)
	v_cndmask_b32_e64 v3, v65, v22, s23
	v_cndmask_b32_e32 v6, v2, v13, vcc_lo
	s_delay_alu instid0(VALU_DEP_2) | instskip(NEXT) | instid1(VALU_DEP_2)
	v_dual_cndmask_b32 v2, v3, v13 :: v_dual_mov_b32 v3, v22
	v_cmp_class_f32_e64 s4, v6, 0x1f8
	s_delay_alu instid0(VALU_DEP_2) | instskip(NEXT) | instid1(VALU_DEP_1)
	v_cmp_neq_f32_e64 s3, v6, v2
	s_or_b32 s3, s3, s4
	s_delay_alu instid0(SALU_CYCLE_1)
	s_and_saveexec_b32 s4, s3
	s_cbranch_execz .LBB521_242
; %bb.241:
	v_sub_f32_e32 v3, v6, v2
	s_delay_alu instid0(VALU_DEP_1) | instskip(SKIP_1) | instid1(VALU_DEP_2)
	v_mul_f32_e32 v6, 0x3fb8aa3b, v3
	v_cmp_ngt_f32_e64 s3, 0xc2ce8ed0, v3
	v_fma_f32 v7, 0x3fb8aa3b, v3, -v6
	v_rndne_f32_e32 v12, v6
	s_delay_alu instid0(VALU_DEP_1) | instskip(NEXT) | instid1(VALU_DEP_1)
	v_dual_fmamk_f32 v7, v3, 0x32a5705f, v7 :: v_dual_sub_f32 v6, v6, v12
	v_add_f32_e32 v6, v6, v7
	v_cvt_i32_f32_e32 v7, v12
	s_delay_alu instid0(VALU_DEP_2) | instskip(SKIP_2) | instid1(VALU_DEP_1)
	v_exp_f32_e32 v6, v6
	s_waitcnt_depctr 0xfff
	v_ldexp_f32 v6, v6, v7
	v_cndmask_b32_e64 v6, 0, v6, s3
	v_cmp_nlt_f32_e64 s3, 0x42b17218, v3
	s_delay_alu instid0(VALU_DEP_1) | instskip(NEXT) | instid1(VALU_DEP_1)
	v_cndmask_b32_e64 v3, 0x7f800000, v6, s3
	v_add_f32_e32 v12, 1.0, v3
	v_cmp_gt_f32_e64 s5, 0x33800000, |v3|
	s_delay_alu instid0(VALU_DEP_2) | instskip(NEXT) | instid1(VALU_DEP_1)
	v_cvt_f64_f32_e32 v[6:7], v12
	v_frexp_exp_i32_f64_e32 v6, v[6:7]
	v_frexp_mant_f32_e32 v7, v12
	s_delay_alu instid0(VALU_DEP_1) | instskip(SKIP_1) | instid1(VALU_DEP_1)
	v_cmp_gt_f32_e64 s3, 0x3f2aaaab, v7
	v_add_f32_e32 v7, -1.0, v12
	v_sub_f32_e32 v66, v7, v12
	s_delay_alu instid0(VALU_DEP_1) | instskip(NEXT) | instid1(VALU_DEP_1)
	v_dual_sub_f32 v7, v3, v7 :: v_dual_add_f32 v66, 1.0, v66
	v_add_f32_e32 v7, v7, v66
	v_subrev_co_ci_u32_e64 v6, s3, 0, v6, s3
	s_mov_b32 s3, 0x3e9b6dac
	s_delay_alu instid0(VALU_DEP_1) | instskip(SKIP_1) | instid1(VALU_DEP_2)
	v_sub_nc_u32_e32 v23, 0, v6
	v_cvt_f32_i32_e32 v6, v6
	v_ldexp_f32 v12, v12, v23
	v_ldexp_f32 v7, v7, v23
	s_delay_alu instid0(VALU_DEP_2) | instskip(NEXT) | instid1(VALU_DEP_1)
	v_add_f32_e32 v67, 1.0, v12
	v_dual_add_f32 v23, -1.0, v12 :: v_dual_add_f32 v66, -1.0, v67
	s_delay_alu instid0(VALU_DEP_1) | instskip(NEXT) | instid1(VALU_DEP_2)
	v_add_f32_e32 v68, 1.0, v23
	v_sub_f32_e32 v66, v12, v66
	s_delay_alu instid0(VALU_DEP_2) | instskip(NEXT) | instid1(VALU_DEP_2)
	v_sub_f32_e32 v12, v12, v68
	v_add_f32_e32 v66, v7, v66
	s_delay_alu instid0(VALU_DEP_2) | instskip(NEXT) | instid1(VALU_DEP_1)
	v_add_f32_e32 v7, v7, v12
	v_add_f32_e32 v69, v23, v7
	s_delay_alu instid0(VALU_DEP_3) | instskip(NEXT) | instid1(VALU_DEP_2)
	v_add_f32_e32 v68, v67, v66
	v_sub_f32_e32 v23, v23, v69
	s_delay_alu instid0(VALU_DEP_2) | instskip(SKIP_1) | instid1(VALU_DEP_2)
	v_rcp_f32_e32 v12, v68
	v_sub_f32_e32 v67, v67, v68
	v_add_f32_e32 v7, v7, v23
	s_delay_alu instid0(VALU_DEP_2) | instskip(SKIP_2) | instid1(VALU_DEP_1)
	v_add_f32_e32 v66, v66, v67
	s_waitcnt_depctr 0xfff
	v_mul_f32_e32 v70, v69, v12
	v_mul_f32_e32 v71, v68, v70
	s_delay_alu instid0(VALU_DEP_1) | instskip(NEXT) | instid1(VALU_DEP_1)
	v_fma_f32 v67, v70, v68, -v71
	v_fmac_f32_e32 v67, v70, v66
	s_delay_alu instid0(VALU_DEP_1) | instskip(NEXT) | instid1(VALU_DEP_1)
	v_add_f32_e32 v80, v71, v67
	v_sub_f32_e32 v81, v69, v80
	v_sub_f32_e32 v23, v80, v71
	s_delay_alu instid0(VALU_DEP_2) | instskip(NEXT) | instid1(VALU_DEP_2)
	v_sub_f32_e32 v69, v69, v81
	v_sub_f32_e32 v23, v23, v67
	s_delay_alu instid0(VALU_DEP_2) | instskip(NEXT) | instid1(VALU_DEP_1)
	v_sub_f32_e32 v69, v69, v80
	v_add_f32_e32 v7, v7, v69
	s_delay_alu instid0(VALU_DEP_1) | instskip(NEXT) | instid1(VALU_DEP_1)
	v_add_f32_e32 v7, v23, v7
	v_add_f32_e32 v23, v81, v7
	s_delay_alu instid0(VALU_DEP_1) | instskip(SKIP_1) | instid1(VALU_DEP_2)
	v_mul_f32_e32 v67, v12, v23
	v_sub_f32_e32 v80, v81, v23
	v_mul_f32_e32 v69, v68, v67
	s_delay_alu instid0(VALU_DEP_2) | instskip(NEXT) | instid1(VALU_DEP_2)
	v_add_f32_e32 v7, v7, v80
	v_fma_f32 v68, v67, v68, -v69
	s_delay_alu instid0(VALU_DEP_1) | instskip(NEXT) | instid1(VALU_DEP_1)
	v_fmac_f32_e32 v68, v67, v66
	v_add_f32_e32 v66, v69, v68
	s_delay_alu instid0(VALU_DEP_1) | instskip(SKIP_1) | instid1(VALU_DEP_2)
	v_sub_f32_e32 v71, v23, v66
	v_sub_f32_e32 v69, v66, v69
	;; [unrolled: 1-line block ×3, first 2 shown]
	s_delay_alu instid0(VALU_DEP_1) | instskip(NEXT) | instid1(VALU_DEP_1)
	v_dual_sub_f32 v23, v23, v66 :: v_dual_sub_f32 v66, v69, v68
	v_add_f32_e32 v7, v7, v23
	v_add_f32_e32 v23, v70, v67
	s_delay_alu instid0(VALU_DEP_1) | instskip(NEXT) | instid1(VALU_DEP_1)
	v_dual_add_f32 v7, v66, v7 :: v_dual_sub_f32 v66, v23, v70
	v_add_f32_e32 v7, v71, v7
	s_delay_alu instid0(VALU_DEP_1) | instskip(NEXT) | instid1(VALU_DEP_1)
	v_dual_sub_f32 v66, v67, v66 :: v_dual_mul_f32 v7, v12, v7
	v_add_f32_e32 v7, v66, v7
	s_delay_alu instid0(VALU_DEP_1) | instskip(NEXT) | instid1(VALU_DEP_1)
	v_add_f32_e32 v12, v23, v7
	v_mul_f32_e32 v66, v12, v12
	s_delay_alu instid0(VALU_DEP_1) | instskip(SKIP_2) | instid1(VALU_DEP_3)
	v_fmaak_f32 v67, s3, v66, 0x3ecc95a3
	v_mul_f32_e32 v68, v12, v66
	v_cmp_eq_f32_e64 s3, 0x7f800000, v3
	v_fmaak_f32 v66, v66, v67, 0x3f2aaada
	v_ldexp_f32 v67, v12, 1
	v_sub_f32_e32 v12, v12, v23
	s_delay_alu instid0(VALU_DEP_4) | instskip(NEXT) | instid1(VALU_DEP_3)
	s_or_b32 s3, s3, s5
	v_mul_f32_e32 v66, v68, v66
	s_delay_alu instid0(VALU_DEP_2) | instskip(NEXT) | instid1(VALU_DEP_2)
	v_dual_mul_f32 v68, 0x3f317218, v6 :: v_dual_sub_f32 v7, v7, v12
	v_add_f32_e32 v23, v67, v66
	s_delay_alu instid0(VALU_DEP_2) | instskip(NEXT) | instid1(VALU_DEP_2)
	v_ldexp_f32 v7, v7, 1
	v_sub_f32_e32 v12, v23, v67
	s_delay_alu instid0(VALU_DEP_4) | instskip(NEXT) | instid1(VALU_DEP_2)
	v_fma_f32 v67, 0x3f317218, v6, -v68
	v_sub_f32_e32 v12, v66, v12
	s_delay_alu instid0(VALU_DEP_1) | instskip(NEXT) | instid1(VALU_DEP_1)
	v_dual_fmamk_f32 v6, v6, 0xb102e308, v67 :: v_dual_add_f32 v7, v7, v12
	v_add_f32_e32 v12, v68, v6
	s_delay_alu instid0(VALU_DEP_2) | instskip(NEXT) | instid1(VALU_DEP_2)
	v_add_f32_e32 v66, v23, v7
	v_sub_f32_e32 v68, v12, v68
	s_delay_alu instid0(VALU_DEP_2) | instskip(SKIP_1) | instid1(VALU_DEP_3)
	v_add_f32_e32 v67, v12, v66
	v_sub_f32_e32 v23, v66, v23
	v_sub_f32_e32 v6, v6, v68
	s_delay_alu instid0(VALU_DEP_3) | instskip(NEXT) | instid1(VALU_DEP_3)
	v_sub_f32_e32 v69, v67, v12
	v_sub_f32_e32 v7, v7, v23
	s_delay_alu instid0(VALU_DEP_2) | instskip(SKIP_1) | instid1(VALU_DEP_3)
	v_sub_f32_e32 v70, v67, v69
	v_sub_f32_e32 v23, v66, v69
	v_add_f32_e32 v66, v6, v7
	s_delay_alu instid0(VALU_DEP_3) | instskip(NEXT) | instid1(VALU_DEP_1)
	v_sub_f32_e32 v12, v12, v70
	v_dual_add_f32 v12, v23, v12 :: v_dual_sub_f32 v23, v66, v6
	s_delay_alu instid0(VALU_DEP_1) | instskip(NEXT) | instid1(VALU_DEP_2)
	v_add_f32_e32 v12, v66, v12
	v_sub_f32_e32 v66, v66, v23
	v_sub_f32_e32 v7, v7, v23
	s_delay_alu instid0(VALU_DEP_3) | instskip(NEXT) | instid1(VALU_DEP_1)
	v_add_f32_e32 v68, v67, v12
	v_dual_sub_f32 v6, v6, v66 :: v_dual_sub_f32 v23, v68, v67
	s_delay_alu instid0(VALU_DEP_1) | instskip(NEXT) | instid1(VALU_DEP_1)
	v_dual_add_f32 v6, v7, v6 :: v_dual_sub_f32 v7, v12, v23
	v_add_f32_e32 v6, v6, v7
	s_delay_alu instid0(VALU_DEP_1) | instskip(NEXT) | instid1(VALU_DEP_1)
	v_add_f32_e32 v6, v68, v6
	v_cndmask_b32_e64 v3, v6, v3, s3
	s_delay_alu instid0(VALU_DEP_1)
	v_add_f32_e32 v3, v2, v3
.LBB521_242:
	s_or_b32 exec_lo, exec_lo, s4
	s_delay_alu instid0(VALU_DEP_1) | instskip(SKIP_1) | instid1(VALU_DEP_2)
	v_bfe_u32 v2, v3, 16, 1
	v_cmp_o_f32_e64 s3, v3, v3
	v_add3_u32 v2, v3, v2, 0x7fff
	s_delay_alu instid0(VALU_DEP_1) | instskip(NEXT) | instid1(VALU_DEP_1)
	v_and_b32_e32 v6, 0xffff0000, v2
	v_cndmask_b32_e64 v6, 0x7fc00000, v6, s3
	s_delay_alu instid0(VALU_DEP_1) | instskip(NEXT) | instid1(VALU_DEP_1)
	v_dual_max_f32 v3, v6, v6 :: v_dual_lshlrev_b32 v2, 16, v55
	v_max_f32_e32 v7, v2, v2
	v_cmp_u_f32_e64 s3, v6, v6
	s_delay_alu instid0(VALU_DEP_2) | instskip(SKIP_1) | instid1(VALU_DEP_2)
	v_min_f32_e32 v12, v3, v7
	v_max_f32_e32 v3, v3, v7
	v_cndmask_b32_e64 v12, v12, v6, s3
	s_delay_alu instid0(VALU_DEP_2) | instskip(SKIP_1) | instid1(VALU_DEP_1)
	v_cndmask_b32_e64 v3, v3, v6, s3
	v_cmp_u_f32_e64 s3, v2, v2
	v_cndmask_b32_e64 v12, v12, v2, s3
	s_delay_alu instid0(VALU_DEP_3) | instskip(NEXT) | instid1(VALU_DEP_2)
	v_cndmask_b32_e64 v3, v3, v2, s3
	v_cmp_class_f32_e64 s5, v12, 0x1f8
	s_delay_alu instid0(VALU_DEP_2) | instskip(NEXT) | instid1(VALU_DEP_1)
	v_cmp_neq_f32_e64 s4, v12, v3
	s_or_b32 s4, s4, s5
	s_delay_alu instid0(SALU_CYCLE_1)
	s_and_saveexec_b32 s5, s4
	s_cbranch_execz .LBB521_244
; %bb.243:
	v_sub_f32_e32 v6, v12, v3
	s_delay_alu instid0(VALU_DEP_1) | instskip(SKIP_1) | instid1(VALU_DEP_2)
	v_mul_f32_e32 v12, 0x3fb8aa3b, v6
	v_cmp_ngt_f32_e64 s4, 0xc2ce8ed0, v6
	v_fma_f32 v23, 0x3fb8aa3b, v6, -v12
	v_rndne_f32_e32 v55, v12
	s_delay_alu instid0(VALU_DEP_1) | instskip(NEXT) | instid1(VALU_DEP_1)
	v_dual_fmamk_f32 v23, v6, 0x32a5705f, v23 :: v_dual_sub_f32 v12, v12, v55
	v_add_f32_e32 v12, v12, v23
	v_cvt_i32_f32_e32 v23, v55
	s_delay_alu instid0(VALU_DEP_2) | instskip(SKIP_2) | instid1(VALU_DEP_1)
	v_exp_f32_e32 v12, v12
	s_waitcnt_depctr 0xfff
	v_ldexp_f32 v12, v12, v23
	v_cndmask_b32_e64 v12, 0, v12, s4
	v_cmp_nlt_f32_e64 s4, 0x42b17218, v6
	s_delay_alu instid0(VALU_DEP_1) | instskip(NEXT) | instid1(VALU_DEP_1)
	v_cndmask_b32_e64 v6, 0x7f800000, v12, s4
	v_add_f32_e32 v12, 1.0, v6
	v_cmp_gt_f32_e64 s6, 0x33800000, |v6|
	s_delay_alu instid0(VALU_DEP_2) | instskip(SKIP_1) | instid1(VALU_DEP_1)
	v_cvt_f64_f32_e32 v[66:67], v12
	v_frexp_mant_f32_e32 v55, v12
	v_cmp_gt_f32_e64 s4, 0x3f2aaaab, v55
	v_add_f32_e32 v55, -1.0, v12
	s_delay_alu instid0(VALU_DEP_4) | instskip(NEXT) | instid1(VALU_DEP_2)
	v_frexp_exp_i32_f64_e32 v23, v[66:67]
	v_sub_f32_e32 v67, v55, v12
	v_sub_f32_e32 v55, v6, v55
	s_delay_alu instid0(VALU_DEP_2) | instskip(NEXT) | instid1(VALU_DEP_1)
	v_add_f32_e32 v67, 1.0, v67
	v_add_f32_e32 v55, v55, v67
	v_subrev_co_ci_u32_e64 v23, s4, 0, v23, s4
	s_mov_b32 s4, 0x3e9b6dac
	s_delay_alu instid0(VALU_DEP_1) | instskip(SKIP_1) | instid1(VALU_DEP_2)
	v_sub_nc_u32_e32 v66, 0, v23
	v_cvt_f32_i32_e32 v23, v23
	v_ldexp_f32 v12, v12, v66
	v_ldexp_f32 v55, v55, v66
	s_delay_alu instid0(VALU_DEP_2) | instskip(NEXT) | instid1(VALU_DEP_1)
	v_add_f32_e32 v68, 1.0, v12
	v_add_f32_e32 v67, -1.0, v68
	s_delay_alu instid0(VALU_DEP_1) | instskip(NEXT) | instid1(VALU_DEP_1)
	v_dual_add_f32 v66, -1.0, v12 :: v_dual_sub_f32 v67, v12, v67
	v_add_f32_e32 v69, 1.0, v66
	s_delay_alu instid0(VALU_DEP_1) | instskip(NEXT) | instid1(VALU_DEP_1)
	v_sub_f32_e32 v12, v12, v69
	v_add_f32_e32 v12, v55, v12
	s_delay_alu instid0(VALU_DEP_1) | instskip(NEXT) | instid1(VALU_DEP_1)
	v_dual_add_f32 v67, v55, v67 :: v_dual_add_f32 v70, v66, v12
	v_dual_add_f32 v69, v68, v67 :: v_dual_sub_f32 v66, v66, v70
	s_delay_alu instid0(VALU_DEP_1) | instskip(SKIP_1) | instid1(VALU_DEP_1)
	v_rcp_f32_e32 v55, v69
	v_sub_f32_e32 v68, v68, v69
	v_dual_add_f32 v12, v12, v66 :: v_dual_add_f32 v67, v67, v68
	s_waitcnt_depctr 0xfff
	v_mul_f32_e32 v71, v70, v55
	s_delay_alu instid0(VALU_DEP_1) | instskip(NEXT) | instid1(VALU_DEP_1)
	v_mul_f32_e32 v80, v69, v71
	v_fma_f32 v68, v71, v69, -v80
	s_delay_alu instid0(VALU_DEP_1) | instskip(NEXT) | instid1(VALU_DEP_1)
	v_fmac_f32_e32 v68, v71, v67
	v_add_f32_e32 v81, v80, v68
	s_delay_alu instid0(VALU_DEP_1) | instskip(SKIP_1) | instid1(VALU_DEP_2)
	v_sub_f32_e32 v82, v70, v81
	v_sub_f32_e32 v66, v81, v80
	;; [unrolled: 1-line block ×3, first 2 shown]
	s_delay_alu instid0(VALU_DEP_2) | instskip(NEXT) | instid1(VALU_DEP_2)
	v_sub_f32_e32 v66, v66, v68
	v_sub_f32_e32 v70, v70, v81
	s_delay_alu instid0(VALU_DEP_1) | instskip(NEXT) | instid1(VALU_DEP_1)
	v_add_f32_e32 v12, v12, v70
	v_add_f32_e32 v12, v66, v12
	s_delay_alu instid0(VALU_DEP_1) | instskip(NEXT) | instid1(VALU_DEP_1)
	v_add_f32_e32 v66, v82, v12
	v_mul_f32_e32 v68, v55, v66
	s_delay_alu instid0(VALU_DEP_1) | instskip(NEXT) | instid1(VALU_DEP_1)
	v_dual_sub_f32 v81, v82, v66 :: v_dual_mul_f32 v70, v69, v68
	v_add_f32_e32 v12, v12, v81
	s_delay_alu instid0(VALU_DEP_2) | instskip(NEXT) | instid1(VALU_DEP_1)
	v_fma_f32 v69, v68, v69, -v70
	v_fmac_f32_e32 v69, v68, v67
	s_delay_alu instid0(VALU_DEP_1) | instskip(NEXT) | instid1(VALU_DEP_1)
	v_add_f32_e32 v67, v70, v69
	v_sub_f32_e32 v80, v66, v67
	v_sub_f32_e32 v70, v67, v70
	s_delay_alu instid0(VALU_DEP_2) | instskip(NEXT) | instid1(VALU_DEP_1)
	v_sub_f32_e32 v66, v66, v80
	v_sub_f32_e32 v66, v66, v67
	s_delay_alu instid0(VALU_DEP_1) | instskip(SKIP_1) | instid1(VALU_DEP_1)
	v_dual_sub_f32 v67, v70, v69 :: v_dual_add_f32 v12, v12, v66
	v_add_f32_e32 v66, v71, v68
	v_dual_add_f32 v12, v67, v12 :: v_dual_sub_f32 v67, v66, v71
	s_delay_alu instid0(VALU_DEP_1) | instskip(NEXT) | instid1(VALU_DEP_1)
	v_add_f32_e32 v12, v80, v12
	v_dual_sub_f32 v67, v68, v67 :: v_dual_mul_f32 v12, v55, v12
	s_delay_alu instid0(VALU_DEP_1) | instskip(NEXT) | instid1(VALU_DEP_1)
	v_add_f32_e32 v12, v67, v12
	v_add_f32_e32 v55, v66, v12
	s_delay_alu instid0(VALU_DEP_1) | instskip(NEXT) | instid1(VALU_DEP_1)
	v_mul_f32_e32 v67, v55, v55
	v_fmaak_f32 v68, s4, v67, 0x3ecc95a3
	v_mul_f32_e32 v69, v55, v67
	v_cmp_eq_f32_e64 s4, 0x7f800000, v6
	s_delay_alu instid0(VALU_DEP_3) | instskip(SKIP_2) | instid1(VALU_DEP_4)
	v_fmaak_f32 v67, v67, v68, 0x3f2aaada
	v_ldexp_f32 v68, v55, 1
	v_sub_f32_e32 v55, v55, v66
	s_or_b32 s4, s4, s6
	s_delay_alu instid0(VALU_DEP_3) | instskip(SKIP_1) | instid1(VALU_DEP_3)
	v_mul_f32_e32 v67, v69, v67
	v_mul_f32_e32 v69, 0x3f317218, v23
	v_sub_f32_e32 v12, v12, v55
	s_delay_alu instid0(VALU_DEP_3) | instskip(NEXT) | instid1(VALU_DEP_2)
	v_add_f32_e32 v66, v68, v67
	v_ldexp_f32 v12, v12, 1
	s_delay_alu instid0(VALU_DEP_2) | instskip(SKIP_1) | instid1(VALU_DEP_2)
	v_sub_f32_e32 v55, v66, v68
	v_fma_f32 v68, 0x3f317218, v23, -v69
	v_sub_f32_e32 v55, v67, v55
	s_delay_alu instid0(VALU_DEP_1) | instskip(NEXT) | instid1(VALU_DEP_1)
	v_dual_fmamk_f32 v23, v23, 0xb102e308, v68 :: v_dual_add_f32 v12, v12, v55
	v_add_f32_e32 v55, v69, v23
	s_delay_alu instid0(VALU_DEP_1) | instskip(NEXT) | instid1(VALU_DEP_1)
	v_sub_f32_e32 v69, v55, v69
	v_sub_f32_e32 v23, v23, v69
	s_delay_alu instid0(VALU_DEP_4) | instskip(NEXT) | instid1(VALU_DEP_1)
	v_add_f32_e32 v67, v66, v12
	v_add_f32_e32 v68, v55, v67
	v_sub_f32_e32 v66, v67, v66
	s_delay_alu instid0(VALU_DEP_1) | instskip(NEXT) | instid1(VALU_DEP_3)
	v_sub_f32_e32 v12, v12, v66
	v_sub_f32_e32 v70, v68, v55
	s_delay_alu instid0(VALU_DEP_1) | instskip(NEXT) | instid1(VALU_DEP_3)
	v_sub_f32_e32 v66, v67, v70
	v_add_f32_e32 v67, v23, v12
	v_sub_f32_e32 v71, v68, v70
	s_delay_alu instid0(VALU_DEP_1) | instskip(NEXT) | instid1(VALU_DEP_1)
	v_sub_f32_e32 v55, v55, v71
	v_add_f32_e32 v55, v66, v55
	s_delay_alu instid0(VALU_DEP_4) | instskip(NEXT) | instid1(VALU_DEP_1)
	v_sub_f32_e32 v66, v67, v23
	v_dual_add_f32 v55, v67, v55 :: v_dual_sub_f32 v12, v12, v66
	v_sub_f32_e32 v67, v67, v66
	s_delay_alu instid0(VALU_DEP_2) | instskip(NEXT) | instid1(VALU_DEP_1)
	v_add_f32_e32 v69, v68, v55
	v_dual_sub_f32 v23, v23, v67 :: v_dual_sub_f32 v66, v69, v68
	s_delay_alu instid0(VALU_DEP_1) | instskip(NEXT) | instid1(VALU_DEP_1)
	v_dual_add_f32 v12, v12, v23 :: v_dual_sub_f32 v23, v55, v66
	v_add_f32_e32 v12, v12, v23
	s_delay_alu instid0(VALU_DEP_1) | instskip(NEXT) | instid1(VALU_DEP_1)
	v_add_f32_e32 v12, v69, v12
	v_cndmask_b32_e64 v6, v12, v6, s4
	s_delay_alu instid0(VALU_DEP_1)
	v_add_f32_e32 v6, v3, v6
.LBB521_244:
	s_or_b32 exec_lo, exec_lo, s5
	s_delay_alu instid0(VALU_DEP_1) | instskip(SKIP_1) | instid1(VALU_DEP_2)
	v_bfe_u32 v3, v6, 16, 1
	v_cmp_o_f32_e64 s4, v6, v6
	v_add3_u32 v3, v6, v3, 0x7fff
	s_delay_alu instid0(VALU_DEP_1) | instskip(NEXT) | instid1(VALU_DEP_1)
	v_and_b32_e32 v12, 0xffff0000, v3
	v_cndmask_b32_e64 v12, 0x7fc00000, v12, s4
	s_delay_alu instid0(VALU_DEP_1) | instskip(NEXT) | instid1(VALU_DEP_1)
	v_dual_max_f32 v6, v12, v12 :: v_dual_lshlrev_b32 v3, 16, v54
	v_max_f32_e32 v23, v3, v3
	v_cmp_u_f32_e64 s4, v12, v12
	s_delay_alu instid0(VALU_DEP_2) | instskip(SKIP_1) | instid1(VALU_DEP_2)
	v_min_f32_e32 v54, v6, v23
	v_max_f32_e32 v6, v6, v23
	v_cndmask_b32_e64 v54, v54, v12, s4
	s_delay_alu instid0(VALU_DEP_2) | instskip(SKIP_1) | instid1(VALU_DEP_1)
	v_cndmask_b32_e64 v6, v6, v12, s4
	v_cmp_u_f32_e64 s4, v3, v3
	v_cndmask_b32_e64 v54, v54, v3, s4
	s_delay_alu instid0(VALU_DEP_3) | instskip(NEXT) | instid1(VALU_DEP_2)
	v_cndmask_b32_e64 v6, v6, v3, s4
	v_cmp_class_f32_e64 s6, v54, 0x1f8
	s_delay_alu instid0(VALU_DEP_2) | instskip(NEXT) | instid1(VALU_DEP_1)
	v_cmp_neq_f32_e64 s5, v54, v6
	s_or_b32 s5, s5, s6
	s_delay_alu instid0(SALU_CYCLE_1)
	s_and_saveexec_b32 s6, s5
	s_cbranch_execz .LBB521_246
; %bb.245:
	v_sub_f32_e32 v12, v54, v6
	s_delay_alu instid0(VALU_DEP_1) | instskip(SKIP_1) | instid1(VALU_DEP_2)
	v_mul_f32_e32 v54, 0x3fb8aa3b, v12
	v_cmp_ngt_f32_e64 s5, 0xc2ce8ed0, v12
	v_fma_f32 v55, 0x3fb8aa3b, v12, -v54
	v_rndne_f32_e32 v66, v54
	s_delay_alu instid0(VALU_DEP_1) | instskip(NEXT) | instid1(VALU_DEP_1)
	v_dual_fmamk_f32 v55, v12, 0x32a5705f, v55 :: v_dual_sub_f32 v54, v54, v66
	v_add_f32_e32 v54, v54, v55
	v_cvt_i32_f32_e32 v55, v66
	s_delay_alu instid0(VALU_DEP_2) | instskip(SKIP_2) | instid1(VALU_DEP_1)
	v_exp_f32_e32 v54, v54
	s_waitcnt_depctr 0xfff
	v_ldexp_f32 v54, v54, v55
	v_cndmask_b32_e64 v54, 0, v54, s5
	v_cmp_nlt_f32_e64 s5, 0x42b17218, v12
	s_delay_alu instid0(VALU_DEP_1) | instskip(NEXT) | instid1(VALU_DEP_1)
	v_cndmask_b32_e64 v12, 0x7f800000, v54, s5
	v_add_f32_e32 v66, 1.0, v12
	v_cmp_gt_f32_e64 s7, 0x33800000, |v12|
	s_delay_alu instid0(VALU_DEP_2) | instskip(NEXT) | instid1(VALU_DEP_1)
	v_cvt_f64_f32_e32 v[54:55], v66
	v_frexp_exp_i32_f64_e32 v54, v[54:55]
	v_frexp_mant_f32_e32 v55, v66
	s_delay_alu instid0(VALU_DEP_1) | instskip(SKIP_1) | instid1(VALU_DEP_1)
	v_cmp_gt_f32_e64 s5, 0x3f2aaaab, v55
	v_add_f32_e32 v55, -1.0, v66
	v_dual_sub_f32 v68, v55, v66 :: v_dual_sub_f32 v55, v12, v55
	s_delay_alu instid0(VALU_DEP_3) | instskip(SKIP_1) | instid1(VALU_DEP_1)
	v_subrev_co_ci_u32_e64 v54, s5, 0, v54, s5
	s_mov_b32 s5, 0x3e9b6dac
	v_sub_nc_u32_e32 v67, 0, v54
	v_cvt_f32_i32_e32 v54, v54
	s_delay_alu instid0(VALU_DEP_2) | instskip(NEXT) | instid1(VALU_DEP_1)
	v_ldexp_f32 v66, v66, v67
	v_dual_add_f32 v68, 1.0, v68 :: v_dual_add_f32 v69, 1.0, v66
	s_delay_alu instid0(VALU_DEP_1) | instskip(NEXT) | instid1(VALU_DEP_1)
	v_add_f32_e32 v55, v55, v68
	v_ldexp_f32 v55, v55, v67
	s_delay_alu instid0(VALU_DEP_3) | instskip(NEXT) | instid1(VALU_DEP_1)
	v_dual_add_f32 v67, -1.0, v66 :: v_dual_add_f32 v68, -1.0, v69
	v_add_f32_e32 v70, 1.0, v67
	s_delay_alu instid0(VALU_DEP_2) | instskip(NEXT) | instid1(VALU_DEP_2)
	v_sub_f32_e32 v68, v66, v68
	v_sub_f32_e32 v66, v66, v70
	s_delay_alu instid0(VALU_DEP_2) | instskip(NEXT) | instid1(VALU_DEP_2)
	v_add_f32_e32 v68, v55, v68
	v_add_f32_e32 v55, v55, v66
	s_delay_alu instid0(VALU_DEP_1) | instskip(NEXT) | instid1(VALU_DEP_1)
	v_dual_add_f32 v71, v67, v55 :: v_dual_add_f32 v70, v69, v68
	v_sub_f32_e32 v67, v67, v71
	s_delay_alu instid0(VALU_DEP_2) | instskip(SKIP_1) | instid1(VALU_DEP_1)
	v_rcp_f32_e32 v66, v70
	v_sub_f32_e32 v69, v69, v70
	v_dual_add_f32 v55, v55, v67 :: v_dual_add_f32 v68, v68, v69
	s_waitcnt_depctr 0xfff
	v_mul_f32_e32 v80, v71, v66
	s_delay_alu instid0(VALU_DEP_1) | instskip(NEXT) | instid1(VALU_DEP_1)
	v_mul_f32_e32 v81, v70, v80
	v_fma_f32 v69, v80, v70, -v81
	s_delay_alu instid0(VALU_DEP_1) | instskip(NEXT) | instid1(VALU_DEP_1)
	v_fmac_f32_e32 v69, v80, v68
	v_add_f32_e32 v82, v81, v69
	s_delay_alu instid0(VALU_DEP_1) | instskip(SKIP_1) | instid1(VALU_DEP_2)
	v_sub_f32_e32 v83, v71, v82
	v_sub_f32_e32 v67, v82, v81
	;; [unrolled: 1-line block ×3, first 2 shown]
	s_delay_alu instid0(VALU_DEP_2) | instskip(NEXT) | instid1(VALU_DEP_2)
	v_sub_f32_e32 v67, v67, v69
	v_sub_f32_e32 v71, v71, v82
	s_delay_alu instid0(VALU_DEP_1) | instskip(NEXT) | instid1(VALU_DEP_1)
	v_add_f32_e32 v55, v55, v71
	v_add_f32_e32 v55, v67, v55
	s_delay_alu instid0(VALU_DEP_1) | instskip(NEXT) | instid1(VALU_DEP_1)
	v_add_f32_e32 v67, v83, v55
	v_mul_f32_e32 v69, v66, v67
	s_delay_alu instid0(VALU_DEP_1) | instskip(NEXT) | instid1(VALU_DEP_1)
	v_dual_sub_f32 v82, v83, v67 :: v_dual_mul_f32 v71, v70, v69
	v_add_f32_e32 v55, v55, v82
	s_delay_alu instid0(VALU_DEP_2) | instskip(NEXT) | instid1(VALU_DEP_1)
	v_fma_f32 v70, v69, v70, -v71
	v_fmac_f32_e32 v70, v69, v68
	s_delay_alu instid0(VALU_DEP_1) | instskip(NEXT) | instid1(VALU_DEP_1)
	v_add_f32_e32 v68, v71, v70
	v_sub_f32_e32 v81, v67, v68
	s_delay_alu instid0(VALU_DEP_1) | instskip(NEXT) | instid1(VALU_DEP_1)
	v_sub_f32_e32 v67, v67, v81
	v_sub_f32_e32 v67, v67, v68
	s_delay_alu instid0(VALU_DEP_1) | instskip(SKIP_2) | instid1(VALU_DEP_1)
	v_add_f32_e32 v55, v55, v67
	v_add_f32_e32 v67, v80, v69
	v_sub_f32_e32 v71, v68, v71
	v_sub_f32_e32 v68, v71, v70
	s_delay_alu instid0(VALU_DEP_1) | instskip(NEXT) | instid1(VALU_DEP_1)
	v_dual_add_f32 v55, v68, v55 :: v_dual_sub_f32 v68, v67, v80
	v_add_f32_e32 v55, v81, v55
	s_delay_alu instid0(VALU_DEP_1) | instskip(NEXT) | instid1(VALU_DEP_1)
	v_dual_sub_f32 v68, v69, v68 :: v_dual_mul_f32 v55, v66, v55
	v_add_f32_e32 v55, v68, v55
	s_delay_alu instid0(VALU_DEP_1) | instskip(NEXT) | instid1(VALU_DEP_1)
	v_add_f32_e32 v66, v67, v55
	v_mul_f32_e32 v68, v66, v66
	s_delay_alu instid0(VALU_DEP_1) | instskip(SKIP_2) | instid1(VALU_DEP_3)
	v_fmaak_f32 v69, s5, v68, 0x3ecc95a3
	v_mul_f32_e32 v70, v66, v68
	v_cmp_eq_f32_e64 s5, 0x7f800000, v12
	v_fmaak_f32 v68, v68, v69, 0x3f2aaada
	v_ldexp_f32 v69, v66, 1
	v_sub_f32_e32 v66, v66, v67
	s_delay_alu instid0(VALU_DEP_4) | instskip(NEXT) | instid1(VALU_DEP_3)
	s_or_b32 s5, s5, s7
	v_mul_f32_e32 v68, v70, v68
	v_mul_f32_e32 v70, 0x3f317218, v54
	s_delay_alu instid0(VALU_DEP_3) | instskip(NEXT) | instid1(VALU_DEP_3)
	v_sub_f32_e32 v55, v55, v66
	v_add_f32_e32 v67, v69, v68
	s_delay_alu instid0(VALU_DEP_2) | instskip(NEXT) | instid1(VALU_DEP_2)
	v_ldexp_f32 v55, v55, 1
	v_sub_f32_e32 v66, v67, v69
	v_fma_f32 v69, 0x3f317218, v54, -v70
	s_delay_alu instid0(VALU_DEP_2) | instskip(NEXT) | instid1(VALU_DEP_1)
	v_sub_f32_e32 v66, v68, v66
	v_dual_fmamk_f32 v54, v54, 0xb102e308, v69 :: v_dual_add_f32 v55, v55, v66
	s_delay_alu instid0(VALU_DEP_1) | instskip(NEXT) | instid1(VALU_DEP_1)
	v_add_f32_e32 v66, v70, v54
	v_sub_f32_e32 v70, v66, v70
	s_delay_alu instid0(VALU_DEP_1) | instskip(NEXT) | instid1(VALU_DEP_4)
	v_sub_f32_e32 v54, v54, v70
	v_add_f32_e32 v68, v67, v55
	s_delay_alu instid0(VALU_DEP_1) | instskip(NEXT) | instid1(VALU_DEP_1)
	v_add_f32_e32 v69, v66, v68
	v_sub_f32_e32 v71, v69, v66
	v_sub_f32_e32 v67, v68, v67
	s_delay_alu instid0(VALU_DEP_2) | instskip(NEXT) | instid1(VALU_DEP_1)
	v_sub_f32_e32 v80, v69, v71
	v_dual_sub_f32 v66, v66, v80 :: v_dual_sub_f32 v55, v55, v67
	v_sub_f32_e32 v67, v68, v71
	s_delay_alu instid0(VALU_DEP_2) | instskip(NEXT) | instid1(VALU_DEP_2)
	v_add_f32_e32 v68, v54, v55
	v_add_f32_e32 v66, v67, v66
	s_delay_alu instid0(VALU_DEP_2) | instskip(NEXT) | instid1(VALU_DEP_2)
	v_sub_f32_e32 v67, v68, v54
	v_add_f32_e32 v66, v68, v66
	s_delay_alu instid0(VALU_DEP_1) | instskip(NEXT) | instid1(VALU_DEP_3)
	v_add_f32_e32 v70, v69, v66
	v_sub_f32_e32 v68, v68, v67
	s_delay_alu instid0(VALU_DEP_1) | instskip(NEXT) | instid1(VALU_DEP_1)
	v_dual_sub_f32 v54, v54, v68 :: v_dual_sub_f32 v55, v55, v67
	v_dual_sub_f32 v67, v70, v69 :: v_dual_add_f32 v54, v55, v54
	s_delay_alu instid0(VALU_DEP_1) | instskip(NEXT) | instid1(VALU_DEP_1)
	v_sub_f32_e32 v55, v66, v67
	v_add_f32_e32 v54, v54, v55
	s_delay_alu instid0(VALU_DEP_1) | instskip(NEXT) | instid1(VALU_DEP_1)
	v_add_f32_e32 v54, v70, v54
	v_cndmask_b32_e64 v12, v54, v12, s5
	s_delay_alu instid0(VALU_DEP_1)
	v_add_f32_e32 v12, v6, v12
.LBB521_246:
	s_or_b32 exec_lo, exec_lo, s6
	s_delay_alu instid0(VALU_DEP_1) | instskip(SKIP_1) | instid1(VALU_DEP_2)
	v_bfe_u32 v6, v12, 16, 1
	v_cmp_o_f32_e64 s5, v12, v12
	v_add3_u32 v6, v12, v6, 0x7fff
	s_delay_alu instid0(VALU_DEP_1) | instskip(SKIP_1) | instid1(VALU_DEP_2)
	v_and_b32_e32 v54, 0xffff0000, v6
	v_lshlrev_b32_e32 v6, 16, v53
	v_cndmask_b32_e64 v54, 0x7fc00000, v54, s5
	s_delay_alu instid0(VALU_DEP_2) | instskip(NEXT) | instid1(VALU_DEP_2)
	v_max_f32_e32 v53, v6, v6
	v_max_f32_e32 v12, v54, v54
	v_cmp_u_f32_e64 s5, v54, v54
	s_delay_alu instid0(VALU_DEP_2) | instskip(SKIP_1) | instid1(VALU_DEP_2)
	v_min_f32_e32 v55, v12, v53
	v_max_f32_e32 v12, v12, v53
	v_cndmask_b32_e64 v55, v55, v54, s5
	s_delay_alu instid0(VALU_DEP_2) | instskip(SKIP_1) | instid1(VALU_DEP_1)
	v_cndmask_b32_e64 v12, v12, v54, s5
	v_cmp_u_f32_e64 s5, v6, v6
	v_cndmask_b32_e64 v55, v55, v6, s5
	s_delay_alu instid0(VALU_DEP_3) | instskip(NEXT) | instid1(VALU_DEP_2)
	v_cndmask_b32_e64 v12, v12, v6, s5
	v_cmp_class_f32_e64 s7, v55, 0x1f8
	s_delay_alu instid0(VALU_DEP_2) | instskip(NEXT) | instid1(VALU_DEP_1)
	v_cmp_neq_f32_e64 s6, v55, v12
	s_or_b32 s6, s6, s7
	s_delay_alu instid0(SALU_CYCLE_1)
	s_and_saveexec_b32 s7, s6
	s_cbranch_execz .LBB521_248
; %bb.247:
	v_sub_f32_e32 v54, v55, v12
	s_delay_alu instid0(VALU_DEP_1) | instskip(SKIP_1) | instid1(VALU_DEP_2)
	v_mul_f32_e32 v55, 0x3fb8aa3b, v54
	v_cmp_ngt_f32_e64 s6, 0xc2ce8ed0, v54
	v_fma_f32 v66, 0x3fb8aa3b, v54, -v55
	v_rndne_f32_e32 v67, v55
	s_delay_alu instid0(VALU_DEP_1) | instskip(NEXT) | instid1(VALU_DEP_1)
	v_dual_fmamk_f32 v66, v54, 0x32a5705f, v66 :: v_dual_sub_f32 v55, v55, v67
	v_add_f32_e32 v55, v55, v66
	v_cvt_i32_f32_e32 v66, v67
	s_delay_alu instid0(VALU_DEP_2) | instskip(SKIP_2) | instid1(VALU_DEP_1)
	v_exp_f32_e32 v55, v55
	s_waitcnt_depctr 0xfff
	v_ldexp_f32 v55, v55, v66
	v_cndmask_b32_e64 v55, 0, v55, s6
	v_cmp_nlt_f32_e64 s6, 0x42b17218, v54
	s_delay_alu instid0(VALU_DEP_1) | instskip(NEXT) | instid1(VALU_DEP_1)
	v_cndmask_b32_e64 v66, 0x7f800000, v55, s6
	v_add_f32_e32 v67, 1.0, v66
	v_cmp_gt_f32_e64 s8, 0x33800000, |v66|
	s_delay_alu instid0(VALU_DEP_2) | instskip(NEXT) | instid1(VALU_DEP_1)
	v_cvt_f64_f32_e32 v[54:55], v67
	v_frexp_exp_i32_f64_e32 v54, v[54:55]
	v_frexp_mant_f32_e32 v55, v67
	s_delay_alu instid0(VALU_DEP_1) | instskip(SKIP_1) | instid1(VALU_DEP_1)
	v_cmp_gt_f32_e64 s6, 0x3f2aaaab, v55
	v_add_f32_e32 v55, -1.0, v67
	v_sub_f32_e32 v69, v55, v67
	v_sub_f32_e32 v55, v66, v55
	s_delay_alu instid0(VALU_DEP_2) | instskip(SKIP_2) | instid1(VALU_DEP_1)
	v_add_f32_e32 v69, 1.0, v69
	v_subrev_co_ci_u32_e64 v54, s6, 0, v54, s6
	s_mov_b32 s6, 0x3e9b6dac
	v_sub_nc_u32_e32 v68, 0, v54
	v_cvt_f32_i32_e32 v54, v54
	s_delay_alu instid0(VALU_DEP_2) | instskip(NEXT) | instid1(VALU_DEP_1)
	v_ldexp_f32 v67, v67, v68
	v_dual_add_f32 v70, 1.0, v67 :: v_dual_add_f32 v55, v55, v69
	s_delay_alu instid0(VALU_DEP_1) | instskip(NEXT) | instid1(VALU_DEP_2)
	v_add_f32_e32 v69, -1.0, v70
	v_ldexp_f32 v55, v55, v68
	s_delay_alu instid0(VALU_DEP_2) | instskip(NEXT) | instid1(VALU_DEP_1)
	v_dual_add_f32 v68, -1.0, v67 :: v_dual_sub_f32 v69, v67, v69
	v_add_f32_e32 v71, 1.0, v68
	s_delay_alu instid0(VALU_DEP_2) | instskip(NEXT) | instid1(VALU_DEP_2)
	v_add_f32_e32 v69, v55, v69
	v_sub_f32_e32 v67, v67, v71
	s_delay_alu instid0(VALU_DEP_2) | instskip(NEXT) | instid1(VALU_DEP_2)
	v_add_f32_e32 v71, v70, v69
	v_add_f32_e32 v55, v55, v67
	s_delay_alu instid0(VALU_DEP_2) | instskip(SKIP_1) | instid1(VALU_DEP_1)
	v_rcp_f32_e32 v67, v71
	v_sub_f32_e32 v70, v70, v71
	v_dual_add_f32 v80, v68, v55 :: v_dual_add_f32 v69, v69, v70
	s_delay_alu instid0(VALU_DEP_1) | instskip(SKIP_3) | instid1(VALU_DEP_2)
	v_sub_f32_e32 v68, v68, v80
	s_waitcnt_depctr 0xfff
	v_mul_f32_e32 v81, v80, v67
	v_add_f32_e32 v55, v55, v68
	v_mul_f32_e32 v82, v71, v81
	s_delay_alu instid0(VALU_DEP_1) | instskip(NEXT) | instid1(VALU_DEP_1)
	v_fma_f32 v70, v81, v71, -v82
	v_fmac_f32_e32 v70, v81, v69
	s_delay_alu instid0(VALU_DEP_1) | instskip(NEXT) | instid1(VALU_DEP_1)
	v_add_f32_e32 v83, v82, v70
	v_sub_f32_e32 v84, v80, v83
	v_sub_f32_e32 v68, v83, v82
	s_delay_alu instid0(VALU_DEP_2) | instskip(NEXT) | instid1(VALU_DEP_2)
	v_sub_f32_e32 v80, v80, v84
	v_sub_f32_e32 v68, v68, v70
	s_delay_alu instid0(VALU_DEP_2) | instskip(NEXT) | instid1(VALU_DEP_1)
	v_sub_f32_e32 v80, v80, v83
	v_add_f32_e32 v55, v55, v80
	s_delay_alu instid0(VALU_DEP_1) | instskip(NEXT) | instid1(VALU_DEP_1)
	v_add_f32_e32 v55, v68, v55
	v_add_f32_e32 v68, v84, v55
	s_delay_alu instid0(VALU_DEP_1) | instskip(NEXT) | instid1(VALU_DEP_1)
	v_mul_f32_e32 v70, v67, v68
	v_dual_sub_f32 v83, v84, v68 :: v_dual_mul_f32 v80, v71, v70
	s_delay_alu instid0(VALU_DEP_1) | instskip(NEXT) | instid1(VALU_DEP_2)
	v_add_f32_e32 v55, v55, v83
	v_fma_f32 v71, v70, v71, -v80
	s_delay_alu instid0(VALU_DEP_1) | instskip(NEXT) | instid1(VALU_DEP_1)
	v_fmac_f32_e32 v71, v70, v69
	v_add_f32_e32 v69, v80, v71
	s_delay_alu instid0(VALU_DEP_1) | instskip(SKIP_1) | instid1(VALU_DEP_2)
	v_sub_f32_e32 v82, v68, v69
	v_sub_f32_e32 v80, v69, v80
	;; [unrolled: 1-line block ×3, first 2 shown]
	s_delay_alu instid0(VALU_DEP_1) | instskip(NEXT) | instid1(VALU_DEP_1)
	v_sub_f32_e32 v68, v68, v69
	v_dual_add_f32 v55, v55, v68 :: v_dual_add_f32 v68, v81, v70
	s_delay_alu instid0(VALU_DEP_4) | instskip(NEXT) | instid1(VALU_DEP_1)
	v_sub_f32_e32 v69, v80, v71
	v_add_f32_e32 v55, v69, v55
	s_delay_alu instid0(VALU_DEP_3) | instskip(NEXT) | instid1(VALU_DEP_2)
	v_sub_f32_e32 v69, v68, v81
	v_add_f32_e32 v55, v82, v55
	s_delay_alu instid0(VALU_DEP_2) | instskip(NEXT) | instid1(VALU_DEP_2)
	v_sub_f32_e32 v69, v70, v69
	v_mul_f32_e32 v55, v67, v55
	s_delay_alu instid0(VALU_DEP_1) | instskip(NEXT) | instid1(VALU_DEP_1)
	v_add_f32_e32 v55, v69, v55
	v_add_f32_e32 v67, v68, v55
	s_delay_alu instid0(VALU_DEP_1) | instskip(NEXT) | instid1(VALU_DEP_1)
	v_mul_f32_e32 v69, v67, v67
	v_fmaak_f32 v70, s6, v69, 0x3ecc95a3
	v_mul_f32_e32 v71, v67, v69
	v_cmp_eq_f32_e64 s6, 0x7f800000, v66
	s_delay_alu instid0(VALU_DEP_3) | instskip(SKIP_2) | instid1(VALU_DEP_4)
	v_fmaak_f32 v69, v69, v70, 0x3f2aaada
	v_ldexp_f32 v70, v67, 1
	v_sub_f32_e32 v67, v67, v68
	s_or_b32 s6, s6, s8
	s_delay_alu instid0(VALU_DEP_3) | instskip(SKIP_1) | instid1(VALU_DEP_2)
	v_mul_f32_e32 v69, v71, v69
	v_mul_f32_e32 v71, 0x3f317218, v54
	v_dual_sub_f32 v55, v55, v67 :: v_dual_add_f32 v68, v70, v69
	s_delay_alu instid0(VALU_DEP_1) | instskip(NEXT) | instid1(VALU_DEP_2)
	v_ldexp_f32 v55, v55, 1
	v_sub_f32_e32 v67, v68, v70
	s_delay_alu instid0(VALU_DEP_4) | instskip(NEXT) | instid1(VALU_DEP_1)
	v_fma_f32 v70, 0x3f317218, v54, -v71
	v_dual_sub_f32 v67, v69, v67 :: v_dual_fmamk_f32 v54, v54, 0xb102e308, v70
	s_delay_alu instid0(VALU_DEP_1) | instskip(NEXT) | instid1(VALU_DEP_2)
	v_add_f32_e32 v55, v55, v67
	v_add_f32_e32 v67, v71, v54
	s_delay_alu instid0(VALU_DEP_2) | instskip(NEXT) | instid1(VALU_DEP_2)
	v_add_f32_e32 v69, v68, v55
	v_sub_f32_e32 v71, v67, v71
	s_delay_alu instid0(VALU_DEP_2) | instskip(SKIP_1) | instid1(VALU_DEP_3)
	v_add_f32_e32 v70, v67, v69
	v_sub_f32_e32 v68, v69, v68
	v_sub_f32_e32 v54, v54, v71
	s_delay_alu instid0(VALU_DEP_2) | instskip(NEXT) | instid1(VALU_DEP_1)
	v_dual_sub_f32 v80, v70, v67 :: v_dual_sub_f32 v55, v55, v68
	v_sub_f32_e32 v81, v70, v80
	s_delay_alu instid0(VALU_DEP_2) | instskip(NEXT) | instid1(VALU_DEP_2)
	v_dual_sub_f32 v68, v69, v80 :: v_dual_add_f32 v69, v54, v55
	v_sub_f32_e32 v67, v67, v81
	s_delay_alu instid0(VALU_DEP_1) | instskip(NEXT) | instid1(VALU_DEP_1)
	v_dual_add_f32 v67, v68, v67 :: v_dual_sub_f32 v68, v69, v54
	v_add_f32_e32 v67, v69, v67
	s_delay_alu instid0(VALU_DEP_2) | instskip(SKIP_1) | instid1(VALU_DEP_3)
	v_sub_f32_e32 v69, v69, v68
	v_sub_f32_e32 v55, v55, v68
	v_add_f32_e32 v71, v70, v67
	s_delay_alu instid0(VALU_DEP_3) | instskip(NEXT) | instid1(VALU_DEP_2)
	v_sub_f32_e32 v54, v54, v69
	v_sub_f32_e32 v68, v71, v70
	s_delay_alu instid0(VALU_DEP_2) | instskip(NEXT) | instid1(VALU_DEP_2)
	v_add_f32_e32 v54, v55, v54
	v_sub_f32_e32 v55, v67, v68
	s_delay_alu instid0(VALU_DEP_1) | instskip(NEXT) | instid1(VALU_DEP_1)
	v_add_f32_e32 v54, v54, v55
	v_add_f32_e32 v54, v71, v54
	s_delay_alu instid0(VALU_DEP_1) | instskip(NEXT) | instid1(VALU_DEP_1)
	v_cndmask_b32_e64 v54, v54, v66, s6
	v_add_f32_e32 v54, v12, v54
.LBB521_248:
	s_or_b32 exec_lo, exec_lo, s7
	s_delay_alu instid0(VALU_DEP_1) | instskip(SKIP_1) | instid1(VALU_DEP_2)
	v_bfe_u32 v12, v54, 16, 1
	v_cmp_o_f32_e64 s6, v54, v54
	v_add3_u32 v12, v54, v12, 0x7fff
	s_delay_alu instid0(VALU_DEP_1) | instskip(SKIP_1) | instid1(VALU_DEP_2)
	v_and_b32_e32 v55, 0xffff0000, v12
	v_lshlrev_b32_e32 v12, 16, v52
	v_cndmask_b32_e64 v55, 0x7fc00000, v55, s6
	s_delay_alu instid0(VALU_DEP_2) | instskip(NEXT) | instid1(VALU_DEP_2)
	v_max_f32_e32 v52, v12, v12
	v_max_f32_e32 v54, v55, v55
	v_cmp_u_f32_e64 s6, v55, v55
	s_delay_alu instid0(VALU_DEP_2) | instskip(SKIP_1) | instid1(VALU_DEP_2)
	v_min_f32_e32 v66, v54, v52
	v_max_f32_e32 v54, v54, v52
	v_cndmask_b32_e64 v66, v66, v55, s6
	s_delay_alu instid0(VALU_DEP_2) | instskip(SKIP_1) | instid1(VALU_DEP_1)
	v_cndmask_b32_e64 v54, v54, v55, s6
	v_cmp_u_f32_e64 s6, v12, v12
	v_cndmask_b32_e64 v66, v66, v12, s6
	s_delay_alu instid0(VALU_DEP_3) | instskip(NEXT) | instid1(VALU_DEP_2)
	v_cndmask_b32_e64 v54, v54, v12, s6
	v_cmp_class_f32_e64 s8, v66, 0x1f8
	s_delay_alu instid0(VALU_DEP_2) | instskip(NEXT) | instid1(VALU_DEP_1)
	v_cmp_neq_f32_e64 s7, v66, v54
	s_or_b32 s7, s7, s8
	s_delay_alu instid0(SALU_CYCLE_1)
	s_and_saveexec_b32 s8, s7
	s_cbranch_execz .LBB521_250
; %bb.249:
	v_sub_f32_e32 v55, v66, v54
	s_delay_alu instid0(VALU_DEP_1) | instskip(SKIP_1) | instid1(VALU_DEP_2)
	v_mul_f32_e32 v66, 0x3fb8aa3b, v55
	v_cmp_ngt_f32_e64 s7, 0xc2ce8ed0, v55
	v_fma_f32 v67, 0x3fb8aa3b, v55, -v66
	v_rndne_f32_e32 v68, v66
	s_delay_alu instid0(VALU_DEP_1) | instskip(NEXT) | instid1(VALU_DEP_1)
	v_dual_fmamk_f32 v67, v55, 0x32a5705f, v67 :: v_dual_sub_f32 v66, v66, v68
	v_add_f32_e32 v66, v66, v67
	v_cvt_i32_f32_e32 v67, v68
	s_delay_alu instid0(VALU_DEP_2) | instskip(SKIP_2) | instid1(VALU_DEP_1)
	v_exp_f32_e32 v66, v66
	s_waitcnt_depctr 0xfff
	v_ldexp_f32 v66, v66, v67
	v_cndmask_b32_e64 v66, 0, v66, s7
	v_cmp_nlt_f32_e64 s7, 0x42b17218, v55
	s_delay_alu instid0(VALU_DEP_1) | instskip(NEXT) | instid1(VALU_DEP_1)
	v_cndmask_b32_e64 v55, 0x7f800000, v66, s7
	v_add_f32_e32 v68, 1.0, v55
	v_cmp_gt_f32_e64 s9, 0x33800000, |v55|
	s_delay_alu instid0(VALU_DEP_2) | instskip(NEXT) | instid1(VALU_DEP_1)
	v_cvt_f64_f32_e32 v[66:67], v68
	v_frexp_exp_i32_f64_e32 v66, v[66:67]
	v_frexp_mant_f32_e32 v67, v68
	s_delay_alu instid0(VALU_DEP_1) | instskip(SKIP_1) | instid1(VALU_DEP_1)
	v_cmp_gt_f32_e64 s7, 0x3f2aaaab, v67
	v_add_f32_e32 v67, -1.0, v68
	v_sub_f32_e32 v70, v67, v68
	s_delay_alu instid0(VALU_DEP_1) | instskip(NEXT) | instid1(VALU_DEP_1)
	v_dual_sub_f32 v67, v55, v67 :: v_dual_add_f32 v70, 1.0, v70
	v_add_f32_e32 v67, v67, v70
	v_subrev_co_ci_u32_e64 v66, s7, 0, v66, s7
	s_mov_b32 s7, 0x3e9b6dac
	s_delay_alu instid0(VALU_DEP_1) | instskip(SKIP_1) | instid1(VALU_DEP_2)
	v_sub_nc_u32_e32 v69, 0, v66
	v_cvt_f32_i32_e32 v66, v66
	v_ldexp_f32 v68, v68, v69
	v_ldexp_f32 v67, v67, v69
	s_delay_alu instid0(VALU_DEP_2) | instskip(NEXT) | instid1(VALU_DEP_1)
	v_add_f32_e32 v71, 1.0, v68
	v_dual_add_f32 v69, -1.0, v68 :: v_dual_add_f32 v70, -1.0, v71
	s_delay_alu instid0(VALU_DEP_1) | instskip(NEXT) | instid1(VALU_DEP_2)
	v_add_f32_e32 v80, 1.0, v69
	v_sub_f32_e32 v70, v68, v70
	s_delay_alu instid0(VALU_DEP_2) | instskip(NEXT) | instid1(VALU_DEP_2)
	v_sub_f32_e32 v68, v68, v80
	v_add_f32_e32 v70, v67, v70
	s_delay_alu instid0(VALU_DEP_2) | instskip(NEXT) | instid1(VALU_DEP_1)
	v_add_f32_e32 v67, v67, v68
	v_dual_add_f32 v81, v69, v67 :: v_dual_add_f32 v80, v71, v70
	s_delay_alu instid0(VALU_DEP_1) | instskip(NEXT) | instid1(VALU_DEP_2)
	v_sub_f32_e32 v69, v69, v81
	v_rcp_f32_e32 v68, v80
	v_sub_f32_e32 v71, v71, v80
	s_delay_alu instid0(VALU_DEP_1) | instskip(SKIP_2) | instid1(VALU_DEP_1)
	v_dual_add_f32 v67, v67, v69 :: v_dual_add_f32 v70, v70, v71
	s_waitcnt_depctr 0xfff
	v_mul_f32_e32 v82, v81, v68
	v_mul_f32_e32 v83, v80, v82
	s_delay_alu instid0(VALU_DEP_1) | instskip(NEXT) | instid1(VALU_DEP_1)
	v_fma_f32 v71, v82, v80, -v83
	v_fmac_f32_e32 v71, v82, v70
	s_delay_alu instid0(VALU_DEP_1) | instskip(NEXT) | instid1(VALU_DEP_1)
	v_add_f32_e32 v84, v83, v71
	v_sub_f32_e32 v85, v81, v84
	s_delay_alu instid0(VALU_DEP_1) | instskip(SKIP_1) | instid1(VALU_DEP_2)
	v_sub_f32_e32 v81, v81, v85
	v_sub_f32_e32 v69, v84, v83
	;; [unrolled: 1-line block ×3, first 2 shown]
	s_delay_alu instid0(VALU_DEP_2) | instskip(NEXT) | instid1(VALU_DEP_2)
	v_sub_f32_e32 v69, v69, v71
	v_add_f32_e32 v67, v67, v81
	s_delay_alu instid0(VALU_DEP_1) | instskip(NEXT) | instid1(VALU_DEP_1)
	v_add_f32_e32 v67, v69, v67
	v_add_f32_e32 v69, v85, v67
	s_delay_alu instid0(VALU_DEP_1) | instskip(NEXT) | instid1(VALU_DEP_1)
	v_mul_f32_e32 v71, v68, v69
	v_dual_sub_f32 v84, v85, v69 :: v_dual_mul_f32 v81, v80, v71
	s_delay_alu instid0(VALU_DEP_1) | instskip(NEXT) | instid1(VALU_DEP_2)
	v_add_f32_e32 v67, v67, v84
	v_fma_f32 v80, v71, v80, -v81
	s_delay_alu instid0(VALU_DEP_1) | instskip(NEXT) | instid1(VALU_DEP_1)
	v_fmac_f32_e32 v80, v71, v70
	v_add_f32_e32 v70, v81, v80
	s_delay_alu instid0(VALU_DEP_1) | instskip(SKIP_1) | instid1(VALU_DEP_2)
	v_sub_f32_e32 v83, v69, v70
	v_sub_f32_e32 v81, v70, v81
	;; [unrolled: 1-line block ×3, first 2 shown]
	s_delay_alu instid0(VALU_DEP_1) | instskip(NEXT) | instid1(VALU_DEP_1)
	v_sub_f32_e32 v69, v69, v70
	v_dual_sub_f32 v70, v81, v80 :: v_dual_add_f32 v67, v67, v69
	v_add_f32_e32 v69, v82, v71
	s_delay_alu instid0(VALU_DEP_1) | instskip(NEXT) | instid1(VALU_DEP_1)
	v_dual_add_f32 v67, v70, v67 :: v_dual_sub_f32 v70, v69, v82
	v_add_f32_e32 v67, v83, v67
	s_delay_alu instid0(VALU_DEP_1) | instskip(NEXT) | instid1(VALU_DEP_1)
	v_dual_sub_f32 v70, v71, v70 :: v_dual_mul_f32 v67, v68, v67
	v_add_f32_e32 v67, v70, v67
	s_delay_alu instid0(VALU_DEP_1) | instskip(NEXT) | instid1(VALU_DEP_1)
	v_add_f32_e32 v68, v69, v67
	v_mul_f32_e32 v70, v68, v68
	s_delay_alu instid0(VALU_DEP_1) | instskip(SKIP_2) | instid1(VALU_DEP_3)
	v_fmaak_f32 v71, s7, v70, 0x3ecc95a3
	v_mul_f32_e32 v80, v68, v70
	v_cmp_eq_f32_e64 s7, 0x7f800000, v55
	v_fmaak_f32 v70, v70, v71, 0x3f2aaada
	v_ldexp_f32 v71, v68, 1
	v_sub_f32_e32 v68, v68, v69
	s_delay_alu instid0(VALU_DEP_4) | instskip(NEXT) | instid1(VALU_DEP_3)
	s_or_b32 s7, s7, s9
	v_mul_f32_e32 v70, v80, v70
	s_delay_alu instid0(VALU_DEP_2) | instskip(NEXT) | instid1(VALU_DEP_2)
	v_dual_mul_f32 v80, 0x3f317218, v66 :: v_dual_sub_f32 v67, v67, v68
	v_add_f32_e32 v69, v71, v70
	s_delay_alu instid0(VALU_DEP_2) | instskip(NEXT) | instid1(VALU_DEP_2)
	v_ldexp_f32 v67, v67, 1
	v_sub_f32_e32 v68, v69, v71
	s_delay_alu instid0(VALU_DEP_4) | instskip(NEXT) | instid1(VALU_DEP_2)
	v_fma_f32 v71, 0x3f317218, v66, -v80
	v_sub_f32_e32 v68, v70, v68
	s_delay_alu instid0(VALU_DEP_1) | instskip(NEXT) | instid1(VALU_DEP_1)
	v_dual_fmamk_f32 v66, v66, 0xb102e308, v71 :: v_dual_add_f32 v67, v67, v68
	v_add_f32_e32 v68, v80, v66
	s_delay_alu instid0(VALU_DEP_1) | instskip(NEXT) | instid1(VALU_DEP_1)
	v_sub_f32_e32 v80, v68, v80
	v_sub_f32_e32 v66, v66, v80
	s_delay_alu instid0(VALU_DEP_4) | instskip(NEXT) | instid1(VALU_DEP_1)
	v_add_f32_e32 v70, v69, v67
	v_sub_f32_e32 v69, v70, v69
	s_delay_alu instid0(VALU_DEP_1) | instskip(SKIP_1) | instid1(VALU_DEP_1)
	v_sub_f32_e32 v67, v67, v69
	v_add_f32_e32 v71, v68, v70
	v_sub_f32_e32 v81, v71, v68
	s_delay_alu instid0(VALU_DEP_1) | instskip(NEXT) | instid1(VALU_DEP_4)
	v_sub_f32_e32 v69, v70, v81
	v_add_f32_e32 v70, v66, v67
	v_sub_f32_e32 v82, v71, v81
	s_delay_alu instid0(VALU_DEP_1) | instskip(NEXT) | instid1(VALU_DEP_1)
	v_sub_f32_e32 v68, v68, v82
	v_dual_add_f32 v68, v69, v68 :: v_dual_sub_f32 v69, v70, v66
	s_delay_alu instid0(VALU_DEP_1) | instskip(SKIP_1) | instid1(VALU_DEP_2)
	v_dual_add_f32 v68, v70, v68 :: v_dual_sub_f32 v67, v67, v69
	v_sub_f32_e32 v70, v70, v69
	v_add_f32_e32 v80, v71, v68
	s_delay_alu instid0(VALU_DEP_1) | instskip(NEXT) | instid1(VALU_DEP_1)
	v_dual_sub_f32 v66, v66, v70 :: v_dual_sub_f32 v69, v80, v71
	v_dual_add_f32 v66, v67, v66 :: v_dual_sub_f32 v67, v68, v69
	s_delay_alu instid0(VALU_DEP_1) | instskip(NEXT) | instid1(VALU_DEP_1)
	v_add_f32_e32 v66, v66, v67
	v_add_f32_e32 v66, v80, v66
	s_delay_alu instid0(VALU_DEP_1) | instskip(NEXT) | instid1(VALU_DEP_1)
	v_cndmask_b32_e64 v55, v66, v55, s7
	v_add_f32_e32 v55, v54, v55
.LBB521_250:
	s_or_b32 exec_lo, exec_lo, s8
	s_delay_alu instid0(VALU_DEP_1) | instskip(SKIP_2) | instid1(VALU_DEP_3)
	v_bfe_u32 v54, v55, 16, 1
	v_cmp_o_f32_e64 s7, v55, v55
	v_lshlrev_b32_e32 v51, 16, v51
	v_add3_u32 v54, v55, v54, 0x7fff
	s_delay_alu instid0(VALU_DEP_1) | instskip(NEXT) | instid1(VALU_DEP_1)
	v_and_b32_e32 v54, 0xffff0000, v54
	v_cndmask_b32_e64 v66, 0x7fc00000, v54, s7
	s_delay_alu instid0(VALU_DEP_1) | instskip(SKIP_1) | instid1(VALU_DEP_2)
	v_dual_max_f32 v54, v51, v51 :: v_dual_max_f32 v55, v66, v66
	v_cmp_u_f32_e64 s7, v66, v66
	v_min_f32_e32 v67, v55, v54
	v_max_f32_e32 v55, v55, v54
	s_delay_alu instid0(VALU_DEP_2) | instskip(NEXT) | instid1(VALU_DEP_2)
	v_cndmask_b32_e64 v67, v67, v66, s7
	v_cndmask_b32_e64 v55, v55, v66, s7
	v_cmp_u_f32_e64 s7, v51, v51
	s_delay_alu instid0(VALU_DEP_1) | instskip(NEXT) | instid1(VALU_DEP_3)
	v_cndmask_b32_e64 v67, v67, v51, s7
	v_cndmask_b32_e64 v55, v55, v51, s7
	s_delay_alu instid0(VALU_DEP_2) | instskip(NEXT) | instid1(VALU_DEP_2)
	v_cmp_class_f32_e64 s9, v67, 0x1f8
	v_cmp_neq_f32_e64 s8, v67, v55
	s_delay_alu instid0(VALU_DEP_1) | instskip(NEXT) | instid1(SALU_CYCLE_1)
	s_or_b32 s8, s8, s9
	s_and_saveexec_b32 s9, s8
	s_cbranch_execz .LBB521_252
; %bb.251:
	v_sub_f32_e32 v66, v67, v55
	s_delay_alu instid0(VALU_DEP_1) | instskip(SKIP_1) | instid1(VALU_DEP_2)
	v_mul_f32_e32 v67, 0x3fb8aa3b, v66
	v_cmp_ngt_f32_e64 s8, 0xc2ce8ed0, v66
	v_fma_f32 v68, 0x3fb8aa3b, v66, -v67
	v_rndne_f32_e32 v69, v67
	s_delay_alu instid0(VALU_DEP_1) | instskip(NEXT) | instid1(VALU_DEP_1)
	v_dual_fmamk_f32 v68, v66, 0x32a5705f, v68 :: v_dual_sub_f32 v67, v67, v69
	v_add_f32_e32 v67, v67, v68
	v_cvt_i32_f32_e32 v68, v69
	s_delay_alu instid0(VALU_DEP_2) | instskip(SKIP_2) | instid1(VALU_DEP_1)
	v_exp_f32_e32 v67, v67
	s_waitcnt_depctr 0xfff
	v_ldexp_f32 v67, v67, v68
	v_cndmask_b32_e64 v67, 0, v67, s8
	v_cmp_nlt_f32_e64 s8, 0x42b17218, v66
	s_delay_alu instid0(VALU_DEP_1) | instskip(NEXT) | instid1(VALU_DEP_1)
	v_cndmask_b32_e64 v68, 0x7f800000, v67, s8
	v_add_f32_e32 v69, 1.0, v68
	v_cmp_gt_f32_e64 s10, 0x33800000, |v68|
	s_delay_alu instid0(VALU_DEP_2) | instskip(NEXT) | instid1(VALU_DEP_1)
	v_cvt_f64_f32_e32 v[66:67], v69
	v_frexp_exp_i32_f64_e32 v66, v[66:67]
	v_frexp_mant_f32_e32 v67, v69
	s_delay_alu instid0(VALU_DEP_1) | instskip(SKIP_1) | instid1(VALU_DEP_1)
	v_cmp_gt_f32_e64 s8, 0x3f2aaaab, v67
	v_add_f32_e32 v67, -1.0, v69
	v_sub_f32_e32 v71, v67, v69
	v_sub_f32_e32 v67, v68, v67
	s_delay_alu instid0(VALU_DEP_4) | instskip(SKIP_1) | instid1(VALU_DEP_1)
	v_subrev_co_ci_u32_e64 v66, s8, 0, v66, s8
	s_mov_b32 s8, 0x3e9b6dac
	v_sub_nc_u32_e32 v70, 0, v66
	v_cvt_f32_i32_e32 v66, v66
	s_delay_alu instid0(VALU_DEP_2) | instskip(NEXT) | instid1(VALU_DEP_1)
	v_ldexp_f32 v69, v69, v70
	v_dual_add_f32 v80, 1.0, v69 :: v_dual_add_f32 v71, 1.0, v71
	s_delay_alu instid0(VALU_DEP_1) | instskip(NEXT) | instid1(VALU_DEP_2)
	v_add_f32_e32 v67, v67, v71
	v_add_f32_e32 v71, -1.0, v80
	s_delay_alu instid0(VALU_DEP_2) | instskip(NEXT) | instid1(VALU_DEP_2)
	v_ldexp_f32 v67, v67, v70
	v_dual_add_f32 v70, -1.0, v69 :: v_dual_sub_f32 v71, v69, v71
	s_delay_alu instid0(VALU_DEP_1) | instskip(NEXT) | instid1(VALU_DEP_2)
	v_add_f32_e32 v81, 1.0, v70
	v_add_f32_e32 v71, v67, v71
	s_delay_alu instid0(VALU_DEP_2) | instskip(NEXT) | instid1(VALU_DEP_2)
	v_sub_f32_e32 v69, v69, v81
	v_add_f32_e32 v81, v80, v71
	s_delay_alu instid0(VALU_DEP_2) | instskip(NEXT) | instid1(VALU_DEP_2)
	v_add_f32_e32 v67, v67, v69
	v_rcp_f32_e32 v69, v81
	v_sub_f32_e32 v80, v80, v81
	s_delay_alu instid0(VALU_DEP_1) | instskip(NEXT) | instid1(VALU_DEP_1)
	v_dual_add_f32 v82, v70, v67 :: v_dual_add_f32 v71, v71, v80
	v_sub_f32_e32 v70, v70, v82
	s_waitcnt_depctr 0xfff
	v_mul_f32_e32 v83, v82, v69
	s_delay_alu instid0(VALU_DEP_1) | instskip(NEXT) | instid1(VALU_DEP_1)
	v_dual_add_f32 v67, v67, v70 :: v_dual_mul_f32 v84, v81, v83
	v_fma_f32 v80, v83, v81, -v84
	s_delay_alu instid0(VALU_DEP_1) | instskip(NEXT) | instid1(VALU_DEP_1)
	v_fmac_f32_e32 v80, v83, v71
	v_add_f32_e32 v85, v84, v80
	s_delay_alu instid0(VALU_DEP_1) | instskip(SKIP_1) | instid1(VALU_DEP_2)
	v_sub_f32_e32 v86, v82, v85
	v_sub_f32_e32 v70, v85, v84
	;; [unrolled: 1-line block ×3, first 2 shown]
	s_delay_alu instid0(VALU_DEP_2) | instskip(NEXT) | instid1(VALU_DEP_2)
	v_sub_f32_e32 v70, v70, v80
	v_sub_f32_e32 v82, v82, v85
	s_delay_alu instid0(VALU_DEP_1) | instskip(NEXT) | instid1(VALU_DEP_1)
	v_add_f32_e32 v67, v67, v82
	v_add_f32_e32 v67, v70, v67
	s_delay_alu instid0(VALU_DEP_1) | instskip(NEXT) | instid1(VALU_DEP_1)
	v_add_f32_e32 v70, v86, v67
	v_mul_f32_e32 v80, v69, v70
	s_delay_alu instid0(VALU_DEP_1) | instskip(NEXT) | instid1(VALU_DEP_1)
	v_dual_sub_f32 v85, v86, v70 :: v_dual_mul_f32 v82, v81, v80
	v_add_f32_e32 v67, v67, v85
	s_delay_alu instid0(VALU_DEP_2) | instskip(NEXT) | instid1(VALU_DEP_1)
	v_fma_f32 v81, v80, v81, -v82
	v_fmac_f32_e32 v81, v80, v71
	s_delay_alu instid0(VALU_DEP_1) | instskip(NEXT) | instid1(VALU_DEP_1)
	v_add_f32_e32 v71, v82, v81
	v_sub_f32_e32 v84, v70, v71
	v_sub_f32_e32 v82, v71, v82
	s_delay_alu instid0(VALU_DEP_2) | instskip(NEXT) | instid1(VALU_DEP_1)
	v_sub_f32_e32 v70, v70, v84
	v_sub_f32_e32 v70, v70, v71
	s_delay_alu instid0(VALU_DEP_3) | instskip(NEXT) | instid1(VALU_DEP_2)
	v_sub_f32_e32 v71, v82, v81
	v_add_f32_e32 v67, v67, v70
	v_add_f32_e32 v70, v83, v80
	s_delay_alu instid0(VALU_DEP_2) | instskip(NEXT) | instid1(VALU_DEP_2)
	v_add_f32_e32 v67, v71, v67
	v_sub_f32_e32 v71, v70, v83
	s_delay_alu instid0(VALU_DEP_2) | instskip(NEXT) | instid1(VALU_DEP_2)
	v_add_f32_e32 v67, v84, v67
	v_sub_f32_e32 v71, v80, v71
	s_delay_alu instid0(VALU_DEP_2) | instskip(NEXT) | instid1(VALU_DEP_1)
	v_mul_f32_e32 v67, v69, v67
	v_add_f32_e32 v67, v71, v67
	s_delay_alu instid0(VALU_DEP_1) | instskip(NEXT) | instid1(VALU_DEP_1)
	v_add_f32_e32 v69, v70, v67
	v_mul_f32_e32 v71, v69, v69
	s_delay_alu instid0(VALU_DEP_1) | instskip(SKIP_2) | instid1(VALU_DEP_3)
	v_fmaak_f32 v80, s8, v71, 0x3ecc95a3
	v_mul_f32_e32 v81, v69, v71
	v_cmp_eq_f32_e64 s8, 0x7f800000, v68
	v_fmaak_f32 v71, v71, v80, 0x3f2aaada
	v_ldexp_f32 v80, v69, 1
	v_sub_f32_e32 v69, v69, v70
	s_delay_alu instid0(VALU_DEP_4) | instskip(NEXT) | instid1(VALU_DEP_3)
	s_or_b32 s8, s8, s10
	v_mul_f32_e32 v71, v81, v71
	v_mul_f32_e32 v81, 0x3f317218, v66
	s_delay_alu instid0(VALU_DEP_2) | instskip(NEXT) | instid1(VALU_DEP_1)
	v_dual_sub_f32 v67, v67, v69 :: v_dual_add_f32 v70, v80, v71
	v_ldexp_f32 v67, v67, 1
	s_delay_alu instid0(VALU_DEP_2) | instskip(NEXT) | instid1(VALU_DEP_4)
	v_sub_f32_e32 v69, v70, v80
	v_fma_f32 v80, 0x3f317218, v66, -v81
	s_delay_alu instid0(VALU_DEP_1) | instskip(NEXT) | instid1(VALU_DEP_1)
	v_dual_sub_f32 v69, v71, v69 :: v_dual_fmamk_f32 v66, v66, 0xb102e308, v80
	v_add_f32_e32 v67, v67, v69
	s_delay_alu instid0(VALU_DEP_2) | instskip(NEXT) | instid1(VALU_DEP_2)
	v_add_f32_e32 v69, v81, v66
	v_add_f32_e32 v71, v70, v67
	s_delay_alu instid0(VALU_DEP_2) | instskip(NEXT) | instid1(VALU_DEP_2)
	v_sub_f32_e32 v81, v69, v81
	v_add_f32_e32 v80, v69, v71
	v_sub_f32_e32 v70, v71, v70
	s_delay_alu instid0(VALU_DEP_3) | instskip(NEXT) | instid1(VALU_DEP_2)
	v_sub_f32_e32 v66, v66, v81
	v_dual_sub_f32 v82, v80, v69 :: v_dual_sub_f32 v67, v67, v70
	s_delay_alu instid0(VALU_DEP_1) | instskip(NEXT) | instid1(VALU_DEP_2)
	v_sub_f32_e32 v83, v80, v82
	v_dual_sub_f32 v70, v71, v82 :: v_dual_add_f32 v71, v66, v67
	s_delay_alu instid0(VALU_DEP_2) | instskip(NEXT) | instid1(VALU_DEP_1)
	v_sub_f32_e32 v69, v69, v83
	v_dual_add_f32 v69, v70, v69 :: v_dual_sub_f32 v70, v71, v66
	s_delay_alu instid0(VALU_DEP_1) | instskip(NEXT) | instid1(VALU_DEP_2)
	v_add_f32_e32 v69, v71, v69
	v_sub_f32_e32 v71, v71, v70
	v_sub_f32_e32 v67, v67, v70
	s_delay_alu instid0(VALU_DEP_2) | instskip(NEXT) | instid1(VALU_DEP_1)
	v_dual_add_f32 v81, v80, v69 :: v_dual_sub_f32 v66, v66, v71
	v_sub_f32_e32 v70, v81, v80
	s_delay_alu instid0(VALU_DEP_2) | instskip(NEXT) | instid1(VALU_DEP_2)
	v_add_f32_e32 v66, v67, v66
	v_sub_f32_e32 v67, v69, v70
	s_delay_alu instid0(VALU_DEP_1) | instskip(NEXT) | instid1(VALU_DEP_1)
	v_add_f32_e32 v66, v66, v67
	v_add_f32_e32 v66, v81, v66
	s_delay_alu instid0(VALU_DEP_1) | instskip(NEXT) | instid1(VALU_DEP_1)
	v_cndmask_b32_e64 v66, v66, v68, s8
	v_add_f32_e32 v66, v55, v66
.LBB521_252:
	s_or_b32 exec_lo, exec_lo, s9
	s_delay_alu instid0(VALU_DEP_1) | instskip(SKIP_2) | instid1(VALU_DEP_3)
	v_bfe_u32 v55, v66, 16, 1
	v_cmp_o_f32_e64 s8, v66, v66
	v_lshlrev_b32_e32 v50, 16, v50
	v_add3_u32 v55, v66, v55, 0x7fff
	s_delay_alu instid0(VALU_DEP_1) | instskip(NEXT) | instid1(VALU_DEP_1)
	v_and_b32_e32 v55, 0xffff0000, v55
	v_cndmask_b32_e64 v67, 0x7fc00000, v55, s8
	s_delay_alu instid0(VALU_DEP_1) | instskip(SKIP_1) | instid1(VALU_DEP_2)
	v_dual_max_f32 v55, v50, v50 :: v_dual_max_f32 v66, v67, v67
	v_cmp_u_f32_e64 s8, v67, v67
	v_min_f32_e32 v68, v66, v55
	v_max_f32_e32 v66, v66, v55
	s_delay_alu instid0(VALU_DEP_2) | instskip(NEXT) | instid1(VALU_DEP_2)
	v_cndmask_b32_e64 v68, v68, v67, s8
	v_cndmask_b32_e64 v66, v66, v67, s8
	v_cmp_u_f32_e64 s8, v50, v50
	s_delay_alu instid0(VALU_DEP_1) | instskip(NEXT) | instid1(VALU_DEP_3)
	v_cndmask_b32_e64 v68, v68, v50, s8
	v_cndmask_b32_e64 v66, v66, v50, s8
	s_delay_alu instid0(VALU_DEP_2) | instskip(NEXT) | instid1(VALU_DEP_2)
	v_cmp_class_f32_e64 s10, v68, 0x1f8
	v_cmp_neq_f32_e64 s9, v68, v66
	s_delay_alu instid0(VALU_DEP_1) | instskip(NEXT) | instid1(SALU_CYCLE_1)
	s_or_b32 s9, s9, s10
	s_and_saveexec_b32 s10, s9
	s_cbranch_execz .LBB521_254
; %bb.253:
	v_sub_f32_e32 v67, v68, v66
	s_delay_alu instid0(VALU_DEP_1) | instskip(SKIP_1) | instid1(VALU_DEP_2)
	v_mul_f32_e32 v68, 0x3fb8aa3b, v67
	v_cmp_ngt_f32_e64 s9, 0xc2ce8ed0, v67
	v_fma_f32 v69, 0x3fb8aa3b, v67, -v68
	v_rndne_f32_e32 v70, v68
	s_delay_alu instid0(VALU_DEP_1) | instskip(NEXT) | instid1(VALU_DEP_1)
	v_dual_fmamk_f32 v69, v67, 0x32a5705f, v69 :: v_dual_sub_f32 v68, v68, v70
	v_add_f32_e32 v68, v68, v69
	v_cvt_i32_f32_e32 v69, v70
	s_delay_alu instid0(VALU_DEP_2) | instskip(SKIP_2) | instid1(VALU_DEP_1)
	v_exp_f32_e32 v68, v68
	s_waitcnt_depctr 0xfff
	v_ldexp_f32 v68, v68, v69
	v_cndmask_b32_e64 v68, 0, v68, s9
	v_cmp_nlt_f32_e64 s9, 0x42b17218, v67
	s_delay_alu instid0(VALU_DEP_1) | instskip(NEXT) | instid1(VALU_DEP_1)
	v_cndmask_b32_e64 v69, 0x7f800000, v68, s9
	v_add_f32_e32 v70, 1.0, v69
	v_cmp_gt_f32_e64 s11, 0x33800000, |v69|
	s_delay_alu instid0(VALU_DEP_2) | instskip(NEXT) | instid1(VALU_DEP_1)
	v_cvt_f64_f32_e32 v[67:68], v70
	v_frexp_exp_i32_f64_e32 v67, v[67:68]
	v_frexp_mant_f32_e32 v68, v70
	s_delay_alu instid0(VALU_DEP_1) | instskip(SKIP_1) | instid1(VALU_DEP_1)
	v_cmp_gt_f32_e64 s9, 0x3f2aaaab, v68
	v_add_f32_e32 v68, -1.0, v70
	v_sub_f32_e32 v80, v68, v70
	v_sub_f32_e32 v68, v69, v68
	s_delay_alu instid0(VALU_DEP_4) | instskip(SKIP_1) | instid1(VALU_DEP_1)
	v_subrev_co_ci_u32_e64 v67, s9, 0, v67, s9
	s_mov_b32 s9, 0x3e9b6dac
	v_sub_nc_u32_e32 v71, 0, v67
	v_cvt_f32_i32_e32 v67, v67
	s_delay_alu instid0(VALU_DEP_2) | instskip(NEXT) | instid1(VALU_DEP_1)
	v_ldexp_f32 v70, v70, v71
	v_dual_add_f32 v81, 1.0, v70 :: v_dual_add_f32 v80, 1.0, v80
	s_delay_alu instid0(VALU_DEP_1) | instskip(NEXT) | instid1(VALU_DEP_2)
	v_add_f32_e32 v68, v68, v80
	v_add_f32_e32 v80, -1.0, v81
	s_delay_alu instid0(VALU_DEP_2) | instskip(NEXT) | instid1(VALU_DEP_2)
	v_ldexp_f32 v68, v68, v71
	v_dual_add_f32 v71, -1.0, v70 :: v_dual_sub_f32 v80, v70, v80
	s_delay_alu instid0(VALU_DEP_1) | instskip(NEXT) | instid1(VALU_DEP_2)
	v_add_f32_e32 v82, 1.0, v71
	v_add_f32_e32 v80, v68, v80
	s_delay_alu instid0(VALU_DEP_2) | instskip(NEXT) | instid1(VALU_DEP_2)
	v_sub_f32_e32 v70, v70, v82
	v_add_f32_e32 v82, v81, v80
	s_delay_alu instid0(VALU_DEP_2) | instskip(NEXT) | instid1(VALU_DEP_2)
	v_add_f32_e32 v68, v68, v70
	v_rcp_f32_e32 v70, v82
	v_sub_f32_e32 v81, v81, v82
	s_delay_alu instid0(VALU_DEP_1) | instskip(NEXT) | instid1(VALU_DEP_1)
	v_dual_add_f32 v83, v71, v68 :: v_dual_add_f32 v80, v80, v81
	v_sub_f32_e32 v71, v71, v83
	s_waitcnt_depctr 0xfff
	v_mul_f32_e32 v84, v83, v70
	s_delay_alu instid0(VALU_DEP_1) | instskip(NEXT) | instid1(VALU_DEP_1)
	v_dual_add_f32 v68, v68, v71 :: v_dual_mul_f32 v85, v82, v84
	v_fma_f32 v81, v84, v82, -v85
	s_delay_alu instid0(VALU_DEP_1) | instskip(NEXT) | instid1(VALU_DEP_1)
	v_fmac_f32_e32 v81, v84, v80
	v_add_f32_e32 v86, v85, v81
	s_delay_alu instid0(VALU_DEP_1) | instskip(SKIP_1) | instid1(VALU_DEP_2)
	v_sub_f32_e32 v87, v83, v86
	v_sub_f32_e32 v71, v86, v85
	;; [unrolled: 1-line block ×3, first 2 shown]
	s_delay_alu instid0(VALU_DEP_2) | instskip(NEXT) | instid1(VALU_DEP_2)
	v_sub_f32_e32 v71, v71, v81
	v_sub_f32_e32 v83, v83, v86
	s_delay_alu instid0(VALU_DEP_1) | instskip(NEXT) | instid1(VALU_DEP_1)
	v_add_f32_e32 v68, v68, v83
	v_add_f32_e32 v68, v71, v68
	s_delay_alu instid0(VALU_DEP_1) | instskip(NEXT) | instid1(VALU_DEP_1)
	v_add_f32_e32 v71, v87, v68
	v_mul_f32_e32 v81, v70, v71
	s_delay_alu instid0(VALU_DEP_1) | instskip(NEXT) | instid1(VALU_DEP_1)
	v_dual_sub_f32 v86, v87, v71 :: v_dual_mul_f32 v83, v82, v81
	v_add_f32_e32 v68, v68, v86
	s_delay_alu instid0(VALU_DEP_2) | instskip(NEXT) | instid1(VALU_DEP_1)
	v_fma_f32 v82, v81, v82, -v83
	v_fmac_f32_e32 v82, v81, v80
	s_delay_alu instid0(VALU_DEP_1) | instskip(NEXT) | instid1(VALU_DEP_1)
	v_add_f32_e32 v80, v83, v82
	v_sub_f32_e32 v85, v71, v80
	v_sub_f32_e32 v83, v80, v83
	s_delay_alu instid0(VALU_DEP_2) | instskip(NEXT) | instid1(VALU_DEP_1)
	v_sub_f32_e32 v71, v71, v85
	v_sub_f32_e32 v71, v71, v80
	s_delay_alu instid0(VALU_DEP_3) | instskip(NEXT) | instid1(VALU_DEP_2)
	v_sub_f32_e32 v80, v83, v82
	v_add_f32_e32 v68, v68, v71
	v_add_f32_e32 v71, v84, v81
	s_delay_alu instid0(VALU_DEP_2) | instskip(NEXT) | instid1(VALU_DEP_2)
	v_add_f32_e32 v68, v80, v68
	v_sub_f32_e32 v80, v71, v84
	s_delay_alu instid0(VALU_DEP_2) | instskip(NEXT) | instid1(VALU_DEP_2)
	v_add_f32_e32 v68, v85, v68
	v_sub_f32_e32 v80, v81, v80
	s_delay_alu instid0(VALU_DEP_2) | instskip(NEXT) | instid1(VALU_DEP_1)
	v_mul_f32_e32 v68, v70, v68
	v_add_f32_e32 v68, v80, v68
	s_delay_alu instid0(VALU_DEP_1) | instskip(NEXT) | instid1(VALU_DEP_1)
	v_add_f32_e32 v70, v71, v68
	v_mul_f32_e32 v80, v70, v70
	s_delay_alu instid0(VALU_DEP_1) | instskip(SKIP_2) | instid1(VALU_DEP_3)
	v_fmaak_f32 v81, s9, v80, 0x3ecc95a3
	v_mul_f32_e32 v82, v70, v80
	v_cmp_eq_f32_e64 s9, 0x7f800000, v69
	v_fmaak_f32 v80, v80, v81, 0x3f2aaada
	v_ldexp_f32 v81, v70, 1
	v_sub_f32_e32 v70, v70, v71
	s_delay_alu instid0(VALU_DEP_4) | instskip(NEXT) | instid1(VALU_DEP_3)
	s_or_b32 s9, s9, s11
	v_mul_f32_e32 v80, v82, v80
	v_mul_f32_e32 v82, 0x3f317218, v67
	s_delay_alu instid0(VALU_DEP_2) | instskip(NEXT) | instid1(VALU_DEP_1)
	v_dual_sub_f32 v68, v68, v70 :: v_dual_add_f32 v71, v81, v80
	v_ldexp_f32 v68, v68, 1
	s_delay_alu instid0(VALU_DEP_2) | instskip(NEXT) | instid1(VALU_DEP_4)
	v_sub_f32_e32 v70, v71, v81
	v_fma_f32 v81, 0x3f317218, v67, -v82
	s_delay_alu instid0(VALU_DEP_1) | instskip(NEXT) | instid1(VALU_DEP_1)
	v_dual_sub_f32 v70, v80, v70 :: v_dual_fmamk_f32 v67, v67, 0xb102e308, v81
	v_add_f32_e32 v68, v68, v70
	s_delay_alu instid0(VALU_DEP_2) | instskip(NEXT) | instid1(VALU_DEP_2)
	v_add_f32_e32 v70, v82, v67
	v_add_f32_e32 v80, v71, v68
	s_delay_alu instid0(VALU_DEP_2) | instskip(NEXT) | instid1(VALU_DEP_2)
	v_sub_f32_e32 v82, v70, v82
	v_add_f32_e32 v81, v70, v80
	v_sub_f32_e32 v71, v80, v71
	s_delay_alu instid0(VALU_DEP_3) | instskip(NEXT) | instid1(VALU_DEP_2)
	v_sub_f32_e32 v67, v67, v82
	v_dual_sub_f32 v83, v81, v70 :: v_dual_sub_f32 v68, v68, v71
	s_delay_alu instid0(VALU_DEP_1) | instskip(NEXT) | instid1(VALU_DEP_2)
	v_sub_f32_e32 v84, v81, v83
	v_dual_sub_f32 v71, v80, v83 :: v_dual_add_f32 v80, v67, v68
	s_delay_alu instid0(VALU_DEP_2) | instskip(NEXT) | instid1(VALU_DEP_1)
	v_sub_f32_e32 v70, v70, v84
	v_dual_add_f32 v70, v71, v70 :: v_dual_sub_f32 v71, v80, v67
	s_delay_alu instid0(VALU_DEP_1) | instskip(NEXT) | instid1(VALU_DEP_2)
	v_add_f32_e32 v70, v80, v70
	v_sub_f32_e32 v80, v80, v71
	v_sub_f32_e32 v68, v68, v71
	s_delay_alu instid0(VALU_DEP_2) | instskip(NEXT) | instid1(VALU_DEP_1)
	v_dual_add_f32 v82, v81, v70 :: v_dual_sub_f32 v67, v67, v80
	v_sub_f32_e32 v71, v82, v81
	s_delay_alu instid0(VALU_DEP_2) | instskip(NEXT) | instid1(VALU_DEP_2)
	v_add_f32_e32 v67, v68, v67
	v_sub_f32_e32 v68, v70, v71
	s_delay_alu instid0(VALU_DEP_1) | instskip(NEXT) | instid1(VALU_DEP_1)
	v_add_f32_e32 v67, v67, v68
	v_add_f32_e32 v67, v82, v67
	s_delay_alu instid0(VALU_DEP_1) | instskip(NEXT) | instid1(VALU_DEP_1)
	v_cndmask_b32_e64 v67, v67, v69, s9
	v_add_f32_e32 v67, v66, v67
.LBB521_254:
	s_or_b32 exec_lo, exec_lo, s10
	s_delay_alu instid0(VALU_DEP_1) | instskip(SKIP_2) | instid1(VALU_DEP_3)
	v_bfe_u32 v66, v67, 16, 1
	v_cmp_o_f32_e64 s9, v67, v67
	v_lshlrev_b32_e32 v49, 16, v49
	v_add3_u32 v66, v67, v66, 0x7fff
	s_delay_alu instid0(VALU_DEP_1) | instskip(NEXT) | instid1(VALU_DEP_1)
	v_and_b32_e32 v66, 0xffff0000, v66
	v_cndmask_b32_e64 v68, 0x7fc00000, v66, s9
	s_delay_alu instid0(VALU_DEP_1) | instskip(SKIP_1) | instid1(VALU_DEP_2)
	v_dual_max_f32 v66, v49, v49 :: v_dual_max_f32 v67, v68, v68
	v_cmp_u_f32_e64 s9, v68, v68
	v_min_f32_e32 v69, v67, v66
	v_max_f32_e32 v67, v67, v66
	s_delay_alu instid0(VALU_DEP_2) | instskip(NEXT) | instid1(VALU_DEP_2)
	v_cndmask_b32_e64 v69, v69, v68, s9
	v_cndmask_b32_e64 v67, v67, v68, s9
	v_cmp_u_f32_e64 s9, v49, v49
	s_delay_alu instid0(VALU_DEP_1) | instskip(NEXT) | instid1(VALU_DEP_3)
	v_cndmask_b32_e64 v69, v69, v49, s9
	v_cndmask_b32_e64 v67, v67, v49, s9
	s_delay_alu instid0(VALU_DEP_2) | instskip(NEXT) | instid1(VALU_DEP_2)
	v_cmp_class_f32_e64 s11, v69, 0x1f8
	v_cmp_neq_f32_e64 s10, v69, v67
	s_delay_alu instid0(VALU_DEP_1) | instskip(NEXT) | instid1(SALU_CYCLE_1)
	s_or_b32 s10, s10, s11
	s_and_saveexec_b32 s11, s10
	s_cbranch_execz .LBB521_256
; %bb.255:
	v_sub_f32_e32 v68, v69, v67
	s_delay_alu instid0(VALU_DEP_1) | instskip(SKIP_1) | instid1(VALU_DEP_2)
	v_mul_f32_e32 v69, 0x3fb8aa3b, v68
	v_cmp_ngt_f32_e64 s10, 0xc2ce8ed0, v68
	v_fma_f32 v70, 0x3fb8aa3b, v68, -v69
	v_rndne_f32_e32 v71, v69
	s_delay_alu instid0(VALU_DEP_1) | instskip(NEXT) | instid1(VALU_DEP_1)
	v_dual_fmamk_f32 v70, v68, 0x32a5705f, v70 :: v_dual_sub_f32 v69, v69, v71
	v_add_f32_e32 v69, v69, v70
	v_cvt_i32_f32_e32 v70, v71
	s_delay_alu instid0(VALU_DEP_2) | instskip(SKIP_2) | instid1(VALU_DEP_1)
	v_exp_f32_e32 v69, v69
	s_waitcnt_depctr 0xfff
	v_ldexp_f32 v69, v69, v70
	v_cndmask_b32_e64 v69, 0, v69, s10
	v_cmp_nlt_f32_e64 s10, 0x42b17218, v68
	s_delay_alu instid0(VALU_DEP_1) | instskip(NEXT) | instid1(VALU_DEP_1)
	v_cndmask_b32_e64 v70, 0x7f800000, v69, s10
	v_add_f32_e32 v71, 1.0, v70
	v_cmp_gt_f32_e64 s12, 0x33800000, |v70|
	s_delay_alu instid0(VALU_DEP_2) | instskip(NEXT) | instid1(VALU_DEP_1)
	v_cvt_f64_f32_e32 v[68:69], v71
	v_frexp_exp_i32_f64_e32 v68, v[68:69]
	v_frexp_mant_f32_e32 v69, v71
	s_delay_alu instid0(VALU_DEP_1) | instskip(SKIP_1) | instid1(VALU_DEP_1)
	v_cmp_gt_f32_e64 s10, 0x3f2aaaab, v69
	v_add_f32_e32 v69, -1.0, v71
	v_sub_f32_e32 v81, v69, v71
	v_sub_f32_e32 v69, v70, v69
	s_delay_alu instid0(VALU_DEP_4) | instskip(SKIP_1) | instid1(VALU_DEP_1)
	v_subrev_co_ci_u32_e64 v68, s10, 0, v68, s10
	s_mov_b32 s10, 0x3e9b6dac
	v_sub_nc_u32_e32 v80, 0, v68
	v_cvt_f32_i32_e32 v68, v68
	s_delay_alu instid0(VALU_DEP_2) | instskip(NEXT) | instid1(VALU_DEP_1)
	v_ldexp_f32 v71, v71, v80
	v_dual_add_f32 v82, 1.0, v71 :: v_dual_add_f32 v81, 1.0, v81
	s_delay_alu instid0(VALU_DEP_1) | instskip(NEXT) | instid1(VALU_DEP_2)
	v_add_f32_e32 v69, v69, v81
	v_add_f32_e32 v81, -1.0, v82
	s_delay_alu instid0(VALU_DEP_2) | instskip(NEXT) | instid1(VALU_DEP_2)
	v_ldexp_f32 v69, v69, v80
	v_dual_add_f32 v80, -1.0, v71 :: v_dual_sub_f32 v81, v71, v81
	s_delay_alu instid0(VALU_DEP_1) | instskip(NEXT) | instid1(VALU_DEP_2)
	v_add_f32_e32 v83, 1.0, v80
	v_add_f32_e32 v81, v69, v81
	s_delay_alu instid0(VALU_DEP_2) | instskip(NEXT) | instid1(VALU_DEP_2)
	v_sub_f32_e32 v71, v71, v83
	v_add_f32_e32 v83, v82, v81
	s_delay_alu instid0(VALU_DEP_2) | instskip(NEXT) | instid1(VALU_DEP_2)
	v_add_f32_e32 v69, v69, v71
	v_rcp_f32_e32 v71, v83
	v_sub_f32_e32 v82, v82, v83
	s_delay_alu instid0(VALU_DEP_1) | instskip(NEXT) | instid1(VALU_DEP_1)
	v_dual_add_f32 v84, v80, v69 :: v_dual_add_f32 v81, v81, v82
	v_sub_f32_e32 v80, v80, v84
	s_waitcnt_depctr 0xfff
	v_mul_f32_e32 v85, v84, v71
	s_delay_alu instid0(VALU_DEP_1) | instskip(NEXT) | instid1(VALU_DEP_1)
	v_dual_add_f32 v69, v69, v80 :: v_dual_mul_f32 v86, v83, v85
	v_fma_f32 v82, v85, v83, -v86
	s_delay_alu instid0(VALU_DEP_1) | instskip(NEXT) | instid1(VALU_DEP_1)
	v_fmac_f32_e32 v82, v85, v81
	v_add_f32_e32 v87, v86, v82
	s_delay_alu instid0(VALU_DEP_1) | instskip(NEXT) | instid1(VALU_DEP_1)
	v_dual_sub_f32 v97, v84, v87 :: v_dual_sub_f32 v80, v87, v86
	v_sub_f32_e32 v84, v84, v97
	s_delay_alu instid0(VALU_DEP_2) | instskip(NEXT) | instid1(VALU_DEP_2)
	v_sub_f32_e32 v80, v80, v82
	v_sub_f32_e32 v84, v84, v87
	s_delay_alu instid0(VALU_DEP_1) | instskip(NEXT) | instid1(VALU_DEP_1)
	v_add_f32_e32 v69, v69, v84
	v_add_f32_e32 v69, v80, v69
	s_delay_alu instid0(VALU_DEP_1) | instskip(NEXT) | instid1(VALU_DEP_1)
	v_add_f32_e32 v80, v97, v69
	v_mul_f32_e32 v82, v71, v80
	s_delay_alu instid0(VALU_DEP_1) | instskip(NEXT) | instid1(VALU_DEP_1)
	v_dual_sub_f32 v87, v97, v80 :: v_dual_mul_f32 v84, v83, v82
	v_add_f32_e32 v69, v69, v87
	s_delay_alu instid0(VALU_DEP_2) | instskip(NEXT) | instid1(VALU_DEP_1)
	v_fma_f32 v83, v82, v83, -v84
	v_fmac_f32_e32 v83, v82, v81
	s_delay_alu instid0(VALU_DEP_1) | instskip(NEXT) | instid1(VALU_DEP_1)
	v_add_f32_e32 v81, v84, v83
	v_sub_f32_e32 v86, v80, v81
	v_sub_f32_e32 v84, v81, v84
	s_delay_alu instid0(VALU_DEP_2) | instskip(NEXT) | instid1(VALU_DEP_1)
	v_sub_f32_e32 v80, v80, v86
	v_sub_f32_e32 v80, v80, v81
	s_delay_alu instid0(VALU_DEP_3) | instskip(NEXT) | instid1(VALU_DEP_2)
	v_sub_f32_e32 v81, v84, v83
	v_add_f32_e32 v69, v69, v80
	v_add_f32_e32 v80, v85, v82
	s_delay_alu instid0(VALU_DEP_2) | instskip(NEXT) | instid1(VALU_DEP_2)
	v_add_f32_e32 v69, v81, v69
	v_sub_f32_e32 v81, v80, v85
	s_delay_alu instid0(VALU_DEP_2) | instskip(NEXT) | instid1(VALU_DEP_2)
	v_add_f32_e32 v69, v86, v69
	v_sub_f32_e32 v81, v82, v81
	s_delay_alu instid0(VALU_DEP_2) | instskip(NEXT) | instid1(VALU_DEP_1)
	v_mul_f32_e32 v69, v71, v69
	v_add_f32_e32 v69, v81, v69
	s_delay_alu instid0(VALU_DEP_1) | instskip(NEXT) | instid1(VALU_DEP_1)
	v_add_f32_e32 v71, v80, v69
	v_mul_f32_e32 v81, v71, v71
	s_delay_alu instid0(VALU_DEP_1) | instskip(SKIP_2) | instid1(VALU_DEP_3)
	v_fmaak_f32 v82, s10, v81, 0x3ecc95a3
	v_mul_f32_e32 v83, v71, v81
	v_cmp_eq_f32_e64 s10, 0x7f800000, v70
	v_fmaak_f32 v81, v81, v82, 0x3f2aaada
	v_ldexp_f32 v82, v71, 1
	v_sub_f32_e32 v71, v71, v80
	s_delay_alu instid0(VALU_DEP_4) | instskip(NEXT) | instid1(VALU_DEP_3)
	s_or_b32 s10, s10, s12
	v_mul_f32_e32 v81, v83, v81
	v_mul_f32_e32 v83, 0x3f317218, v68
	s_delay_alu instid0(VALU_DEP_2) | instskip(NEXT) | instid1(VALU_DEP_1)
	v_dual_sub_f32 v69, v69, v71 :: v_dual_add_f32 v80, v82, v81
	v_ldexp_f32 v69, v69, 1
	s_delay_alu instid0(VALU_DEP_2) | instskip(NEXT) | instid1(VALU_DEP_4)
	v_sub_f32_e32 v71, v80, v82
	v_fma_f32 v82, 0x3f317218, v68, -v83
	s_delay_alu instid0(VALU_DEP_1) | instskip(NEXT) | instid1(VALU_DEP_1)
	v_dual_sub_f32 v71, v81, v71 :: v_dual_fmamk_f32 v68, v68, 0xb102e308, v82
	v_add_f32_e32 v69, v69, v71
	s_delay_alu instid0(VALU_DEP_2) | instskip(NEXT) | instid1(VALU_DEP_2)
	v_add_f32_e32 v71, v83, v68
	v_add_f32_e32 v81, v80, v69
	s_delay_alu instid0(VALU_DEP_2) | instskip(NEXT) | instid1(VALU_DEP_2)
	v_sub_f32_e32 v83, v71, v83
	v_add_f32_e32 v82, v71, v81
	v_sub_f32_e32 v80, v81, v80
	s_delay_alu instid0(VALU_DEP_3) | instskip(NEXT) | instid1(VALU_DEP_2)
	v_sub_f32_e32 v68, v68, v83
	v_dual_sub_f32 v84, v82, v71 :: v_dual_sub_f32 v69, v69, v80
	s_delay_alu instid0(VALU_DEP_1) | instskip(NEXT) | instid1(VALU_DEP_2)
	v_sub_f32_e32 v85, v82, v84
	v_dual_sub_f32 v80, v81, v84 :: v_dual_add_f32 v81, v68, v69
	s_delay_alu instid0(VALU_DEP_2) | instskip(NEXT) | instid1(VALU_DEP_1)
	v_sub_f32_e32 v71, v71, v85
	v_dual_add_f32 v71, v80, v71 :: v_dual_sub_f32 v80, v81, v68
	s_delay_alu instid0(VALU_DEP_1) | instskip(NEXT) | instid1(VALU_DEP_2)
	v_add_f32_e32 v71, v81, v71
	v_sub_f32_e32 v81, v81, v80
	v_sub_f32_e32 v69, v69, v80
	s_delay_alu instid0(VALU_DEP_2) | instskip(NEXT) | instid1(VALU_DEP_1)
	v_dual_add_f32 v83, v82, v71 :: v_dual_sub_f32 v68, v68, v81
	v_sub_f32_e32 v80, v83, v82
	s_delay_alu instid0(VALU_DEP_2) | instskip(NEXT) | instid1(VALU_DEP_2)
	v_add_f32_e32 v68, v69, v68
	v_sub_f32_e32 v69, v71, v80
	s_delay_alu instid0(VALU_DEP_1) | instskip(NEXT) | instid1(VALU_DEP_1)
	v_add_f32_e32 v68, v68, v69
	v_add_f32_e32 v68, v83, v68
	s_delay_alu instid0(VALU_DEP_1) | instskip(NEXT) | instid1(VALU_DEP_1)
	v_cndmask_b32_e64 v68, v68, v70, s10
	v_add_f32_e32 v68, v67, v68
.LBB521_256:
	s_or_b32 exec_lo, exec_lo, s11
	s_delay_alu instid0(VALU_DEP_1) | instskip(SKIP_2) | instid1(VALU_DEP_3)
	v_bfe_u32 v67, v68, 16, 1
	v_cmp_o_f32_e64 s10, v68, v68
	v_lshlrev_b32_e32 v48, 16, v48
	v_add3_u32 v67, v68, v67, 0x7fff
	s_delay_alu instid0(VALU_DEP_1) | instskip(NEXT) | instid1(VALU_DEP_1)
	v_and_b32_e32 v67, 0xffff0000, v67
	v_cndmask_b32_e64 v69, 0x7fc00000, v67, s10
	s_delay_alu instid0(VALU_DEP_1) | instskip(SKIP_1) | instid1(VALU_DEP_2)
	v_dual_max_f32 v67, v48, v48 :: v_dual_max_f32 v68, v69, v69
	v_cmp_u_f32_e64 s10, v69, v69
	v_min_f32_e32 v70, v68, v67
	v_max_f32_e32 v68, v68, v67
	s_delay_alu instid0(VALU_DEP_2) | instskip(NEXT) | instid1(VALU_DEP_2)
	v_cndmask_b32_e64 v70, v70, v69, s10
	v_cndmask_b32_e64 v68, v68, v69, s10
	v_cmp_u_f32_e64 s10, v48, v48
	s_delay_alu instid0(VALU_DEP_1) | instskip(NEXT) | instid1(VALU_DEP_3)
	v_cndmask_b32_e64 v70, v70, v48, s10
	v_cndmask_b32_e64 v68, v68, v48, s10
	s_delay_alu instid0(VALU_DEP_2) | instskip(NEXT) | instid1(VALU_DEP_2)
	v_cmp_class_f32_e64 s12, v70, 0x1f8
	v_cmp_neq_f32_e64 s11, v70, v68
	s_delay_alu instid0(VALU_DEP_1) | instskip(NEXT) | instid1(SALU_CYCLE_1)
	s_or_b32 s11, s11, s12
	s_and_saveexec_b32 s12, s11
	s_cbranch_execz .LBB521_258
; %bb.257:
	v_sub_f32_e32 v69, v70, v68
	s_delay_alu instid0(VALU_DEP_1) | instskip(SKIP_1) | instid1(VALU_DEP_2)
	v_mul_f32_e32 v70, 0x3fb8aa3b, v69
	v_cmp_ngt_f32_e64 s11, 0xc2ce8ed0, v69
	v_fma_f32 v71, 0x3fb8aa3b, v69, -v70
	v_rndne_f32_e32 v80, v70
	s_delay_alu instid0(VALU_DEP_1) | instskip(NEXT) | instid1(VALU_DEP_1)
	v_dual_fmamk_f32 v71, v69, 0x32a5705f, v71 :: v_dual_sub_f32 v70, v70, v80
	v_add_f32_e32 v70, v70, v71
	v_cvt_i32_f32_e32 v71, v80
	s_delay_alu instid0(VALU_DEP_2) | instskip(SKIP_2) | instid1(VALU_DEP_1)
	v_exp_f32_e32 v70, v70
	s_waitcnt_depctr 0xfff
	v_ldexp_f32 v70, v70, v71
	v_cndmask_b32_e64 v70, 0, v70, s11
	v_cmp_nlt_f32_e64 s11, 0x42b17218, v69
	s_delay_alu instid0(VALU_DEP_1) | instskip(NEXT) | instid1(VALU_DEP_1)
	v_cndmask_b32_e64 v71, 0x7f800000, v70, s11
	v_add_f32_e32 v80, 1.0, v71
	v_cmp_gt_f32_e64 s13, 0x33800000, |v71|
	s_delay_alu instid0(VALU_DEP_2) | instskip(NEXT) | instid1(VALU_DEP_1)
	v_cvt_f64_f32_e32 v[69:70], v80
	v_frexp_exp_i32_f64_e32 v69, v[69:70]
	v_frexp_mant_f32_e32 v70, v80
	s_delay_alu instid0(VALU_DEP_1) | instskip(SKIP_1) | instid1(VALU_DEP_1)
	v_cmp_gt_f32_e64 s11, 0x3f2aaaab, v70
	v_add_f32_e32 v70, -1.0, v80
	v_sub_f32_e32 v82, v70, v80
	v_sub_f32_e32 v70, v71, v70
	s_delay_alu instid0(VALU_DEP_4) | instskip(SKIP_1) | instid1(VALU_DEP_1)
	v_subrev_co_ci_u32_e64 v69, s11, 0, v69, s11
	s_mov_b32 s11, 0x3e9b6dac
	v_sub_nc_u32_e32 v81, 0, v69
	v_cvt_f32_i32_e32 v69, v69
	s_delay_alu instid0(VALU_DEP_2) | instskip(NEXT) | instid1(VALU_DEP_1)
	v_ldexp_f32 v80, v80, v81
	v_dual_add_f32 v83, 1.0, v80 :: v_dual_add_f32 v82, 1.0, v82
	s_delay_alu instid0(VALU_DEP_1) | instskip(NEXT) | instid1(VALU_DEP_2)
	v_add_f32_e32 v70, v70, v82
	v_add_f32_e32 v82, -1.0, v83
	s_delay_alu instid0(VALU_DEP_2) | instskip(NEXT) | instid1(VALU_DEP_2)
	v_ldexp_f32 v70, v70, v81
	v_dual_add_f32 v81, -1.0, v80 :: v_dual_sub_f32 v82, v80, v82
	s_delay_alu instid0(VALU_DEP_1) | instskip(NEXT) | instid1(VALU_DEP_2)
	v_add_f32_e32 v84, 1.0, v81
	v_add_f32_e32 v82, v70, v82
	s_delay_alu instid0(VALU_DEP_2) | instskip(NEXT) | instid1(VALU_DEP_2)
	v_sub_f32_e32 v80, v80, v84
	v_add_f32_e32 v84, v83, v82
	s_delay_alu instid0(VALU_DEP_2) | instskip(NEXT) | instid1(VALU_DEP_2)
	v_add_f32_e32 v70, v70, v80
	v_rcp_f32_e32 v80, v84
	v_sub_f32_e32 v83, v83, v84
	s_delay_alu instid0(VALU_DEP_1) | instskip(NEXT) | instid1(VALU_DEP_1)
	v_dual_add_f32 v85, v81, v70 :: v_dual_add_f32 v82, v82, v83
	v_sub_f32_e32 v81, v81, v85
	s_waitcnt_depctr 0xfff
	v_mul_f32_e32 v86, v85, v80
	s_delay_alu instid0(VALU_DEP_1) | instskip(NEXT) | instid1(VALU_DEP_1)
	v_dual_add_f32 v70, v70, v81 :: v_dual_mul_f32 v87, v84, v86
	v_fma_f32 v83, v86, v84, -v87
	s_delay_alu instid0(VALU_DEP_1) | instskip(NEXT) | instid1(VALU_DEP_1)
	v_fmac_f32_e32 v83, v86, v82
	v_add_f32_e32 v97, v87, v83
	s_delay_alu instid0(VALU_DEP_1) | instskip(SKIP_1) | instid1(VALU_DEP_2)
	v_sub_f32_e32 v98, v85, v97
	v_sub_f32_e32 v81, v97, v87
	;; [unrolled: 1-line block ×3, first 2 shown]
	s_delay_alu instid0(VALU_DEP_2) | instskip(NEXT) | instid1(VALU_DEP_2)
	v_sub_f32_e32 v81, v81, v83
	v_sub_f32_e32 v85, v85, v97
	s_delay_alu instid0(VALU_DEP_1) | instskip(NEXT) | instid1(VALU_DEP_1)
	v_add_f32_e32 v70, v70, v85
	v_add_f32_e32 v70, v81, v70
	s_delay_alu instid0(VALU_DEP_1) | instskip(NEXT) | instid1(VALU_DEP_1)
	v_add_f32_e32 v81, v98, v70
	v_sub_f32_e32 v97, v98, v81
	v_mul_f32_e32 v83, v80, v81
	s_delay_alu instid0(VALU_DEP_1) | instskip(NEXT) | instid1(VALU_DEP_1)
	v_mul_f32_e32 v85, v84, v83
	v_fma_f32 v84, v83, v84, -v85
	s_delay_alu instid0(VALU_DEP_1) | instskip(NEXT) | instid1(VALU_DEP_1)
	v_fmac_f32_e32 v84, v83, v82
	v_add_f32_e32 v82, v85, v84
	s_delay_alu instid0(VALU_DEP_1) | instskip(SKIP_1) | instid1(VALU_DEP_2)
	v_sub_f32_e32 v87, v81, v82
	v_sub_f32_e32 v85, v82, v85
	v_dual_sub_f32 v81, v81, v87 :: v_dual_add_f32 v70, v70, v97
	s_delay_alu instid0(VALU_DEP_1) | instskip(NEXT) | instid1(VALU_DEP_3)
	v_sub_f32_e32 v81, v81, v82
	v_sub_f32_e32 v82, v85, v84
	s_delay_alu instid0(VALU_DEP_2) | instskip(SKIP_1) | instid1(VALU_DEP_2)
	v_add_f32_e32 v70, v70, v81
	v_add_f32_e32 v81, v86, v83
	;; [unrolled: 1-line block ×3, first 2 shown]
	s_delay_alu instid0(VALU_DEP_2) | instskip(NEXT) | instid1(VALU_DEP_2)
	v_sub_f32_e32 v82, v81, v86
	v_add_f32_e32 v70, v87, v70
	s_delay_alu instid0(VALU_DEP_2) | instskip(NEXT) | instid1(VALU_DEP_2)
	v_sub_f32_e32 v82, v83, v82
	v_mul_f32_e32 v70, v80, v70
	s_delay_alu instid0(VALU_DEP_1) | instskip(NEXT) | instid1(VALU_DEP_1)
	v_add_f32_e32 v70, v82, v70
	v_add_f32_e32 v80, v81, v70
	s_delay_alu instid0(VALU_DEP_1) | instskip(NEXT) | instid1(VALU_DEP_1)
	v_mul_f32_e32 v82, v80, v80
	v_fmaak_f32 v83, s11, v82, 0x3ecc95a3
	v_mul_f32_e32 v84, v80, v82
	v_cmp_eq_f32_e64 s11, 0x7f800000, v71
	s_delay_alu instid0(VALU_DEP_3) | instskip(SKIP_1) | instid1(VALU_DEP_3)
	v_fmaak_f32 v82, v82, v83, 0x3f2aaada
	v_ldexp_f32 v83, v80, 1
	s_or_b32 s11, s11, s13
	s_delay_alu instid0(VALU_DEP_2) | instskip(NEXT) | instid1(VALU_DEP_1)
	v_mul_f32_e32 v82, v84, v82
	v_dual_sub_f32 v80, v80, v81 :: v_dual_add_f32 v81, v83, v82
	s_delay_alu instid0(VALU_DEP_1) | instskip(NEXT) | instid1(VALU_DEP_2)
	v_sub_f32_e32 v70, v70, v80
	v_sub_f32_e32 v80, v81, v83
	s_delay_alu instid0(VALU_DEP_2) | instskip(NEXT) | instid1(VALU_DEP_2)
	v_ldexp_f32 v70, v70, 1
	v_sub_f32_e32 v80, v82, v80
	s_delay_alu instid0(VALU_DEP_1) | instskip(NEXT) | instid1(VALU_DEP_1)
	v_add_f32_e32 v70, v70, v80
	v_add_f32_e32 v82, v81, v70
	v_mul_f32_e32 v84, 0x3f317218, v69
	s_delay_alu instid0(VALU_DEP_2) | instskip(NEXT) | instid1(VALU_DEP_2)
	v_sub_f32_e32 v81, v82, v81
	v_fma_f32 v83, 0x3f317218, v69, -v84
	s_delay_alu instid0(VALU_DEP_1) | instskip(NEXT) | instid1(VALU_DEP_1)
	v_dual_sub_f32 v70, v70, v81 :: v_dual_fmamk_f32 v69, v69, 0xb102e308, v83
	v_add_f32_e32 v80, v84, v69
	s_delay_alu instid0(VALU_DEP_1) | instskip(SKIP_1) | instid1(VALU_DEP_2)
	v_add_f32_e32 v83, v80, v82
	v_sub_f32_e32 v84, v80, v84
	v_sub_f32_e32 v85, v83, v80
	s_delay_alu instid0(VALU_DEP_1) | instskip(NEXT) | instid1(VALU_DEP_1)
	v_dual_sub_f32 v69, v69, v84 :: v_dual_sub_f32 v86, v83, v85
	v_dual_sub_f32 v81, v82, v85 :: v_dual_add_f32 v82, v69, v70
	s_delay_alu instid0(VALU_DEP_2) | instskip(NEXT) | instid1(VALU_DEP_1)
	v_sub_f32_e32 v80, v80, v86
	v_dual_add_f32 v80, v81, v80 :: v_dual_sub_f32 v81, v82, v69
	s_delay_alu instid0(VALU_DEP_1) | instskip(NEXT) | instid1(VALU_DEP_2)
	v_add_f32_e32 v80, v82, v80
	v_sub_f32_e32 v82, v82, v81
	v_sub_f32_e32 v70, v70, v81
	s_delay_alu instid0(VALU_DEP_2) | instskip(NEXT) | instid1(VALU_DEP_1)
	v_dual_add_f32 v84, v83, v80 :: v_dual_sub_f32 v69, v69, v82
	v_sub_f32_e32 v81, v84, v83
	s_delay_alu instid0(VALU_DEP_2) | instskip(NEXT) | instid1(VALU_DEP_2)
	v_add_f32_e32 v69, v70, v69
	v_sub_f32_e32 v70, v80, v81
	s_delay_alu instid0(VALU_DEP_1) | instskip(NEXT) | instid1(VALU_DEP_1)
	v_add_f32_e32 v69, v69, v70
	v_add_f32_e32 v69, v84, v69
	s_delay_alu instid0(VALU_DEP_1) | instskip(NEXT) | instid1(VALU_DEP_1)
	v_cndmask_b32_e64 v69, v69, v71, s11
	v_add_f32_e32 v69, v68, v69
.LBB521_258:
	s_or_b32 exec_lo, exec_lo, s12
	s_delay_alu instid0(VALU_DEP_1) | instskip(SKIP_2) | instid1(VALU_DEP_3)
	v_bfe_u32 v68, v69, 16, 1
	v_cmp_o_f32_e64 s11, v69, v69
	v_lshlrev_b32_e32 v39, 16, v39
	v_add3_u32 v68, v69, v68, 0x7fff
	s_delay_alu instid0(VALU_DEP_1) | instskip(NEXT) | instid1(VALU_DEP_1)
	v_and_b32_e32 v68, 0xffff0000, v68
	v_cndmask_b32_e64 v70, 0x7fc00000, v68, s11
	s_delay_alu instid0(VALU_DEP_1) | instskip(SKIP_1) | instid1(VALU_DEP_2)
	v_dual_max_f32 v68, v39, v39 :: v_dual_max_f32 v69, v70, v70
	v_cmp_u_f32_e64 s11, v70, v70
	v_min_f32_e32 v71, v69, v68
	v_max_f32_e32 v69, v69, v68
	s_delay_alu instid0(VALU_DEP_2) | instskip(NEXT) | instid1(VALU_DEP_2)
	v_cndmask_b32_e64 v71, v71, v70, s11
	v_cndmask_b32_e64 v69, v69, v70, s11
	v_cmp_u_f32_e64 s11, v39, v39
	s_delay_alu instid0(VALU_DEP_1) | instskip(NEXT) | instid1(VALU_DEP_3)
	v_cndmask_b32_e64 v71, v71, v39, s11
	v_cndmask_b32_e64 v69, v69, v39, s11
	s_delay_alu instid0(VALU_DEP_2) | instskip(NEXT) | instid1(VALU_DEP_2)
	v_cmp_class_f32_e64 s13, v71, 0x1f8
	v_cmp_neq_f32_e64 s12, v71, v69
	s_delay_alu instid0(VALU_DEP_1) | instskip(NEXT) | instid1(SALU_CYCLE_1)
	s_or_b32 s12, s12, s13
	s_and_saveexec_b32 s13, s12
	s_cbranch_execz .LBB521_260
; %bb.259:
	v_sub_f32_e32 v70, v71, v69
	s_delay_alu instid0(VALU_DEP_1) | instskip(SKIP_1) | instid1(VALU_DEP_2)
	v_mul_f32_e32 v71, 0x3fb8aa3b, v70
	v_cmp_ngt_f32_e64 s12, 0xc2ce8ed0, v70
	v_fma_f32 v80, 0x3fb8aa3b, v70, -v71
	v_rndne_f32_e32 v81, v71
	s_delay_alu instid0(VALU_DEP_1) | instskip(NEXT) | instid1(VALU_DEP_1)
	v_dual_fmamk_f32 v80, v70, 0x32a5705f, v80 :: v_dual_sub_f32 v71, v71, v81
	v_add_f32_e32 v71, v71, v80
	v_cvt_i32_f32_e32 v80, v81
	s_delay_alu instid0(VALU_DEP_2) | instskip(SKIP_2) | instid1(VALU_DEP_1)
	v_exp_f32_e32 v71, v71
	s_waitcnt_depctr 0xfff
	v_ldexp_f32 v71, v71, v80
	v_cndmask_b32_e64 v71, 0, v71, s12
	v_cmp_nlt_f32_e64 s12, 0x42b17218, v70
	s_delay_alu instid0(VALU_DEP_1) | instskip(NEXT) | instid1(VALU_DEP_1)
	v_cndmask_b32_e64 v80, 0x7f800000, v71, s12
	v_add_f32_e32 v81, 1.0, v80
	v_cmp_gt_f32_e64 s14, 0x33800000, |v80|
	s_delay_alu instid0(VALU_DEP_2) | instskip(NEXT) | instid1(VALU_DEP_1)
	v_cvt_f64_f32_e32 v[70:71], v81
	v_frexp_exp_i32_f64_e32 v70, v[70:71]
	v_frexp_mant_f32_e32 v71, v81
	s_delay_alu instid0(VALU_DEP_1) | instskip(SKIP_1) | instid1(VALU_DEP_1)
	v_cmp_gt_f32_e64 s12, 0x3f2aaaab, v71
	v_add_f32_e32 v71, -1.0, v81
	v_sub_f32_e32 v83, v71, v81
	v_sub_f32_e32 v71, v80, v71
	s_delay_alu instid0(VALU_DEP_4) | instskip(SKIP_1) | instid1(VALU_DEP_1)
	v_subrev_co_ci_u32_e64 v70, s12, 0, v70, s12
	s_mov_b32 s12, 0x3e9b6dac
	v_sub_nc_u32_e32 v82, 0, v70
	v_cvt_f32_i32_e32 v70, v70
	s_delay_alu instid0(VALU_DEP_2) | instskip(NEXT) | instid1(VALU_DEP_1)
	v_ldexp_f32 v81, v81, v82
	v_dual_add_f32 v84, 1.0, v81 :: v_dual_add_f32 v83, 1.0, v83
	s_delay_alu instid0(VALU_DEP_1) | instskip(NEXT) | instid1(VALU_DEP_2)
	v_add_f32_e32 v71, v71, v83
	v_add_f32_e32 v83, -1.0, v84
	s_delay_alu instid0(VALU_DEP_2) | instskip(NEXT) | instid1(VALU_DEP_2)
	v_ldexp_f32 v71, v71, v82
	v_dual_add_f32 v82, -1.0, v81 :: v_dual_sub_f32 v83, v81, v83
	s_delay_alu instid0(VALU_DEP_1) | instskip(NEXT) | instid1(VALU_DEP_2)
	v_add_f32_e32 v85, 1.0, v82
	v_add_f32_e32 v83, v71, v83
	s_delay_alu instid0(VALU_DEP_2) | instskip(NEXT) | instid1(VALU_DEP_2)
	v_sub_f32_e32 v81, v81, v85
	v_add_f32_e32 v85, v84, v83
	s_delay_alu instid0(VALU_DEP_2) | instskip(NEXT) | instid1(VALU_DEP_2)
	v_add_f32_e32 v71, v71, v81
	v_rcp_f32_e32 v81, v85
	v_sub_f32_e32 v84, v84, v85
	s_delay_alu instid0(VALU_DEP_1) | instskip(NEXT) | instid1(VALU_DEP_1)
	v_dual_add_f32 v86, v82, v71 :: v_dual_add_f32 v83, v83, v84
	v_sub_f32_e32 v82, v82, v86
	s_waitcnt_depctr 0xfff
	v_mul_f32_e32 v87, v86, v81
	v_add_f32_e32 v71, v71, v82
	s_delay_alu instid0(VALU_DEP_2) | instskip(NEXT) | instid1(VALU_DEP_1)
	v_mul_f32_e32 v97, v85, v87
	v_fma_f32 v84, v87, v85, -v97
	s_delay_alu instid0(VALU_DEP_1) | instskip(NEXT) | instid1(VALU_DEP_1)
	v_fmac_f32_e32 v84, v87, v83
	v_add_f32_e32 v98, v97, v84
	s_delay_alu instid0(VALU_DEP_1) | instskip(SKIP_1) | instid1(VALU_DEP_2)
	v_sub_f32_e32 v99, v86, v98
	v_sub_f32_e32 v82, v98, v97
	;; [unrolled: 1-line block ×3, first 2 shown]
	s_delay_alu instid0(VALU_DEP_2) | instskip(NEXT) | instid1(VALU_DEP_2)
	v_sub_f32_e32 v82, v82, v84
	v_sub_f32_e32 v86, v86, v98
	s_delay_alu instid0(VALU_DEP_1) | instskip(NEXT) | instid1(VALU_DEP_1)
	v_add_f32_e32 v71, v71, v86
	v_add_f32_e32 v71, v82, v71
	s_delay_alu instid0(VALU_DEP_1) | instskip(NEXT) | instid1(VALU_DEP_1)
	v_add_f32_e32 v82, v99, v71
	v_mul_f32_e32 v84, v81, v82
	v_sub_f32_e32 v98, v99, v82
	s_delay_alu instid0(VALU_DEP_1) | instskip(NEXT) | instid1(VALU_DEP_1)
	v_dual_mul_f32 v86, v85, v84 :: v_dual_add_f32 v71, v71, v98
	v_fma_f32 v85, v84, v85, -v86
	s_delay_alu instid0(VALU_DEP_1) | instskip(NEXT) | instid1(VALU_DEP_1)
	v_fmac_f32_e32 v85, v84, v83
	v_add_f32_e32 v83, v86, v85
	s_delay_alu instid0(VALU_DEP_1) | instskip(NEXT) | instid1(VALU_DEP_1)
	v_dual_sub_f32 v97, v82, v83 :: v_dual_sub_f32 v86, v83, v86
	v_sub_f32_e32 v82, v82, v97
	s_delay_alu instid0(VALU_DEP_1) | instskip(NEXT) | instid1(VALU_DEP_3)
	v_sub_f32_e32 v82, v82, v83
	v_sub_f32_e32 v83, v86, v85
	s_delay_alu instid0(VALU_DEP_2) | instskip(SKIP_1) | instid1(VALU_DEP_2)
	v_add_f32_e32 v71, v71, v82
	v_add_f32_e32 v82, v87, v84
	;; [unrolled: 1-line block ×3, first 2 shown]
	s_delay_alu instid0(VALU_DEP_2) | instskip(NEXT) | instid1(VALU_DEP_2)
	v_sub_f32_e32 v83, v82, v87
	v_add_f32_e32 v71, v97, v71
	s_delay_alu instid0(VALU_DEP_2) | instskip(NEXT) | instid1(VALU_DEP_2)
	v_sub_f32_e32 v83, v84, v83
	v_mul_f32_e32 v71, v81, v71
	s_delay_alu instid0(VALU_DEP_1) | instskip(NEXT) | instid1(VALU_DEP_1)
	v_add_f32_e32 v71, v83, v71
	v_add_f32_e32 v81, v82, v71
	s_delay_alu instid0(VALU_DEP_1) | instskip(NEXT) | instid1(VALU_DEP_1)
	v_mul_f32_e32 v83, v81, v81
	v_fmaak_f32 v84, s12, v83, 0x3ecc95a3
	v_mul_f32_e32 v85, v81, v83
	v_cmp_eq_f32_e64 s12, 0x7f800000, v80
	s_delay_alu instid0(VALU_DEP_3) | instskip(SKIP_2) | instid1(VALU_DEP_4)
	v_fmaak_f32 v83, v83, v84, 0x3f2aaada
	v_ldexp_f32 v84, v81, 1
	v_sub_f32_e32 v81, v81, v82
	s_or_b32 s12, s12, s14
	s_delay_alu instid0(VALU_DEP_3) | instskip(SKIP_1) | instid1(VALU_DEP_2)
	v_mul_f32_e32 v83, v85, v83
	v_mul_f32_e32 v85, 0x3f317218, v70
	v_dual_sub_f32 v71, v71, v81 :: v_dual_add_f32 v82, v84, v83
	s_delay_alu instid0(VALU_DEP_1) | instskip(NEXT) | instid1(VALU_DEP_2)
	v_ldexp_f32 v71, v71, 1
	v_sub_f32_e32 v81, v82, v84
	s_delay_alu instid0(VALU_DEP_4) | instskip(NEXT) | instid1(VALU_DEP_1)
	v_fma_f32 v84, 0x3f317218, v70, -v85
	v_dual_sub_f32 v81, v83, v81 :: v_dual_fmamk_f32 v70, v70, 0xb102e308, v84
	s_delay_alu instid0(VALU_DEP_1) | instskip(NEXT) | instid1(VALU_DEP_2)
	v_add_f32_e32 v71, v71, v81
	v_add_f32_e32 v81, v85, v70
	s_delay_alu instid0(VALU_DEP_2) | instskip(NEXT) | instid1(VALU_DEP_2)
	v_add_f32_e32 v83, v82, v71
	v_sub_f32_e32 v85, v81, v85
	s_delay_alu instid0(VALU_DEP_2) | instskip(SKIP_1) | instid1(VALU_DEP_3)
	v_add_f32_e32 v84, v81, v83
	v_sub_f32_e32 v82, v83, v82
	v_sub_f32_e32 v70, v70, v85
	s_delay_alu instid0(VALU_DEP_2) | instskip(NEXT) | instid1(VALU_DEP_1)
	v_dual_sub_f32 v86, v84, v81 :: v_dual_sub_f32 v71, v71, v82
	v_sub_f32_e32 v87, v84, v86
	s_delay_alu instid0(VALU_DEP_2) | instskip(NEXT) | instid1(VALU_DEP_2)
	v_dual_sub_f32 v82, v83, v86 :: v_dual_add_f32 v83, v70, v71
	v_sub_f32_e32 v81, v81, v87
	s_delay_alu instid0(VALU_DEP_1) | instskip(NEXT) | instid1(VALU_DEP_1)
	v_dual_add_f32 v81, v82, v81 :: v_dual_sub_f32 v82, v83, v70
	v_add_f32_e32 v81, v83, v81
	s_delay_alu instid0(VALU_DEP_2) | instskip(SKIP_1) | instid1(VALU_DEP_2)
	v_sub_f32_e32 v83, v83, v82
	v_sub_f32_e32 v71, v71, v82
	v_dual_add_f32 v85, v84, v81 :: v_dual_sub_f32 v70, v70, v83
	s_delay_alu instid0(VALU_DEP_1) | instskip(NEXT) | instid1(VALU_DEP_2)
	v_sub_f32_e32 v82, v85, v84
	v_add_f32_e32 v70, v71, v70
	s_delay_alu instid0(VALU_DEP_2) | instskip(NEXT) | instid1(VALU_DEP_1)
	v_sub_f32_e32 v71, v81, v82
	v_add_f32_e32 v70, v70, v71
	s_delay_alu instid0(VALU_DEP_1) | instskip(NEXT) | instid1(VALU_DEP_1)
	v_add_f32_e32 v70, v85, v70
	v_cndmask_b32_e64 v70, v70, v80, s12
	s_delay_alu instid0(VALU_DEP_1)
	v_add_f32_e32 v70, v69, v70
.LBB521_260:
	s_or_b32 exec_lo, exec_lo, s13
	s_delay_alu instid0(VALU_DEP_1) | instskip(SKIP_2) | instid1(VALU_DEP_3)
	v_bfe_u32 v69, v70, 16, 1
	v_cmp_o_f32_e64 s12, v70, v70
	v_lshlrev_b32_e32 v38, 16, v38
	v_add3_u32 v69, v70, v69, 0x7fff
	s_delay_alu instid0(VALU_DEP_1) | instskip(NEXT) | instid1(VALU_DEP_1)
	v_and_b32_e32 v69, 0xffff0000, v69
	v_cndmask_b32_e64 v71, 0x7fc00000, v69, s12
	s_delay_alu instid0(VALU_DEP_1) | instskip(SKIP_1) | instid1(VALU_DEP_2)
	v_dual_max_f32 v69, v38, v38 :: v_dual_max_f32 v70, v71, v71
	v_cmp_u_f32_e64 s12, v71, v71
	v_min_f32_e32 v80, v70, v69
	v_max_f32_e32 v70, v70, v69
	s_delay_alu instid0(VALU_DEP_2) | instskip(NEXT) | instid1(VALU_DEP_2)
	v_cndmask_b32_e64 v80, v80, v71, s12
	v_cndmask_b32_e64 v70, v70, v71, s12
	v_cmp_u_f32_e64 s12, v38, v38
	s_delay_alu instid0(VALU_DEP_1) | instskip(NEXT) | instid1(VALU_DEP_3)
	v_cndmask_b32_e64 v80, v80, v38, s12
	v_cndmask_b32_e64 v70, v70, v38, s12
	s_delay_alu instid0(VALU_DEP_2) | instskip(NEXT) | instid1(VALU_DEP_2)
	v_cmp_class_f32_e64 s14, v80, 0x1f8
	v_cmp_neq_f32_e64 s13, v80, v70
	s_delay_alu instid0(VALU_DEP_1) | instskip(NEXT) | instid1(SALU_CYCLE_1)
	s_or_b32 s13, s13, s14
	s_and_saveexec_b32 s14, s13
	s_cbranch_execz .LBB521_262
; %bb.261:
	v_sub_f32_e32 v71, v80, v70
	s_delay_alu instid0(VALU_DEP_1) | instskip(SKIP_1) | instid1(VALU_DEP_2)
	v_mul_f32_e32 v80, 0x3fb8aa3b, v71
	v_cmp_ngt_f32_e64 s13, 0xc2ce8ed0, v71
	v_fma_f32 v81, 0x3fb8aa3b, v71, -v80
	v_rndne_f32_e32 v82, v80
	s_delay_alu instid0(VALU_DEP_1) | instskip(NEXT) | instid1(VALU_DEP_1)
	v_dual_fmamk_f32 v81, v71, 0x32a5705f, v81 :: v_dual_sub_f32 v80, v80, v82
	v_add_f32_e32 v80, v80, v81
	v_cvt_i32_f32_e32 v81, v82
	s_delay_alu instid0(VALU_DEP_2) | instskip(SKIP_2) | instid1(VALU_DEP_1)
	v_exp_f32_e32 v80, v80
	s_waitcnt_depctr 0xfff
	v_ldexp_f32 v80, v80, v81
	v_cndmask_b32_e64 v80, 0, v80, s13
	v_cmp_nlt_f32_e64 s13, 0x42b17218, v71
	s_delay_alu instid0(VALU_DEP_1) | instskip(NEXT) | instid1(VALU_DEP_1)
	v_cndmask_b32_e64 v71, 0x7f800000, v80, s13
	v_add_f32_e32 v82, 1.0, v71
	v_cmp_gt_f32_e64 s15, 0x33800000, |v71|
	s_delay_alu instid0(VALU_DEP_2) | instskip(NEXT) | instid1(VALU_DEP_1)
	v_cvt_f64_f32_e32 v[80:81], v82
	v_frexp_exp_i32_f64_e32 v80, v[80:81]
	v_frexp_mant_f32_e32 v81, v82
	s_delay_alu instid0(VALU_DEP_1) | instskip(SKIP_1) | instid1(VALU_DEP_1)
	v_cmp_gt_f32_e64 s13, 0x3f2aaaab, v81
	v_add_f32_e32 v81, -1.0, v82
	v_dual_sub_f32 v84, v81, v82 :: v_dual_sub_f32 v81, v71, v81
	s_delay_alu instid0(VALU_DEP_1) | instskip(NEXT) | instid1(VALU_DEP_4)
	v_add_f32_e32 v84, 1.0, v84
	v_subrev_co_ci_u32_e64 v80, s13, 0, v80, s13
	s_mov_b32 s13, 0x3e9b6dac
	s_delay_alu instid0(VALU_DEP_1) | instskip(SKIP_1) | instid1(VALU_DEP_2)
	v_sub_nc_u32_e32 v83, 0, v80
	v_cvt_f32_i32_e32 v80, v80
	v_ldexp_f32 v82, v82, v83
	s_delay_alu instid0(VALU_DEP_1) | instskip(NEXT) | instid1(VALU_DEP_1)
	v_add_f32_e32 v85, 1.0, v82
	v_dual_add_f32 v81, v81, v84 :: v_dual_add_f32 v84, -1.0, v85
	s_delay_alu instid0(VALU_DEP_1) | instskip(NEXT) | instid1(VALU_DEP_2)
	v_ldexp_f32 v81, v81, v83
	v_dual_add_f32 v83, -1.0, v82 :: v_dual_sub_f32 v84, v82, v84
	s_delay_alu instid0(VALU_DEP_1) | instskip(NEXT) | instid1(VALU_DEP_2)
	v_add_f32_e32 v86, 1.0, v83
	v_add_f32_e32 v84, v81, v84
	s_delay_alu instid0(VALU_DEP_2) | instskip(NEXT) | instid1(VALU_DEP_2)
	v_sub_f32_e32 v82, v82, v86
	v_add_f32_e32 v86, v85, v84
	s_delay_alu instid0(VALU_DEP_2) | instskip(NEXT) | instid1(VALU_DEP_2)
	v_add_f32_e32 v81, v81, v82
	v_rcp_f32_e32 v82, v86
	s_delay_alu instid0(VALU_DEP_1) | instskip(NEXT) | instid1(VALU_DEP_1)
	v_add_f32_e32 v87, v83, v81
	v_sub_f32_e32 v83, v83, v87
	s_waitcnt_depctr 0xfff
	v_mul_f32_e32 v97, v87, v82
	v_sub_f32_e32 v85, v85, v86
	s_delay_alu instid0(VALU_DEP_2) | instskip(NEXT) | instid1(VALU_DEP_2)
	v_dual_add_f32 v81, v81, v83 :: v_dual_mul_f32 v98, v86, v97
	v_add_f32_e32 v84, v84, v85
	s_delay_alu instid0(VALU_DEP_2) | instskip(NEXT) | instid1(VALU_DEP_1)
	v_fma_f32 v85, v97, v86, -v98
	v_fmac_f32_e32 v85, v97, v84
	s_delay_alu instid0(VALU_DEP_1) | instskip(NEXT) | instid1(VALU_DEP_1)
	v_add_f32_e32 v99, v98, v85
	v_sub_f32_e32 v100, v87, v99
	v_sub_f32_e32 v83, v99, v98
	s_delay_alu instid0(VALU_DEP_2) | instskip(NEXT) | instid1(VALU_DEP_2)
	v_sub_f32_e32 v87, v87, v100
	v_sub_f32_e32 v83, v83, v85
	s_delay_alu instid0(VALU_DEP_2) | instskip(NEXT) | instid1(VALU_DEP_1)
	v_sub_f32_e32 v87, v87, v99
	v_add_f32_e32 v81, v81, v87
	s_delay_alu instid0(VALU_DEP_1) | instskip(NEXT) | instid1(VALU_DEP_1)
	v_add_f32_e32 v81, v83, v81
	v_add_f32_e32 v83, v100, v81
	s_delay_alu instid0(VALU_DEP_1) | instskip(NEXT) | instid1(VALU_DEP_1)
	v_mul_f32_e32 v85, v82, v83
	v_mul_f32_e32 v87, v86, v85
	v_sub_f32_e32 v99, v100, v83
	s_delay_alu instid0(VALU_DEP_2) | instskip(NEXT) | instid1(VALU_DEP_2)
	v_fma_f32 v86, v85, v86, -v87
	v_add_f32_e32 v81, v81, v99
	s_delay_alu instid0(VALU_DEP_2) | instskip(NEXT) | instid1(VALU_DEP_1)
	v_fmac_f32_e32 v86, v85, v84
	v_add_f32_e32 v84, v87, v86
	s_delay_alu instid0(VALU_DEP_1) | instskip(NEXT) | instid1(VALU_DEP_1)
	v_dual_sub_f32 v98, v83, v84 :: v_dual_sub_f32 v87, v84, v87
	v_sub_f32_e32 v83, v83, v98
	s_delay_alu instid0(VALU_DEP_1) | instskip(NEXT) | instid1(VALU_DEP_1)
	v_sub_f32_e32 v83, v83, v84
	v_dual_sub_f32 v84, v87, v86 :: v_dual_add_f32 v81, v81, v83
	v_add_f32_e32 v83, v97, v85
	s_delay_alu instid0(VALU_DEP_2) | instskip(NEXT) | instid1(VALU_DEP_2)
	v_add_f32_e32 v81, v84, v81
	v_sub_f32_e32 v84, v83, v97
	s_delay_alu instid0(VALU_DEP_1) | instskip(NEXT) | instid1(VALU_DEP_1)
	v_dual_add_f32 v81, v98, v81 :: v_dual_sub_f32 v84, v85, v84
	v_mul_f32_e32 v81, v82, v81
	s_delay_alu instid0(VALU_DEP_1) | instskip(NEXT) | instid1(VALU_DEP_1)
	v_add_f32_e32 v81, v84, v81
	v_add_f32_e32 v82, v83, v81
	s_delay_alu instid0(VALU_DEP_1) | instskip(NEXT) | instid1(VALU_DEP_1)
	v_mul_f32_e32 v84, v82, v82
	v_fmaak_f32 v85, s13, v84, 0x3ecc95a3
	v_mul_f32_e32 v86, v82, v84
	v_cmp_eq_f32_e64 s13, 0x7f800000, v71
	s_delay_alu instid0(VALU_DEP_3) | instskip(SKIP_2) | instid1(VALU_DEP_4)
	v_fmaak_f32 v84, v84, v85, 0x3f2aaada
	v_ldexp_f32 v85, v82, 1
	v_sub_f32_e32 v82, v82, v83
	s_or_b32 s13, s13, s15
	s_delay_alu instid0(VALU_DEP_3) | instskip(NEXT) | instid1(VALU_DEP_2)
	v_mul_f32_e32 v84, v86, v84
	v_dual_mul_f32 v86, 0x3f317218, v80 :: v_dual_sub_f32 v81, v81, v82
	s_delay_alu instid0(VALU_DEP_2) | instskip(NEXT) | instid1(VALU_DEP_2)
	v_add_f32_e32 v83, v85, v84
	v_ldexp_f32 v81, v81, 1
	s_delay_alu instid0(VALU_DEP_2) | instskip(NEXT) | instid1(VALU_DEP_4)
	v_sub_f32_e32 v82, v83, v85
	v_fma_f32 v85, 0x3f317218, v80, -v86
	s_delay_alu instid0(VALU_DEP_2) | instskip(NEXT) | instid1(VALU_DEP_1)
	v_sub_f32_e32 v82, v84, v82
	v_dual_fmamk_f32 v80, v80, 0xb102e308, v85 :: v_dual_add_f32 v81, v81, v82
	s_delay_alu instid0(VALU_DEP_1) | instskip(NEXT) | instid1(VALU_DEP_2)
	v_add_f32_e32 v82, v86, v80
	v_add_f32_e32 v84, v83, v81
	s_delay_alu instid0(VALU_DEP_2) | instskip(NEXT) | instid1(VALU_DEP_1)
	v_sub_f32_e32 v86, v82, v86
	v_dual_sub_f32 v80, v80, v86 :: v_dual_add_f32 v85, v82, v84
	s_delay_alu instid0(VALU_DEP_1) | instskip(NEXT) | instid1(VALU_DEP_1)
	v_sub_f32_e32 v87, v85, v82
	v_sub_f32_e32 v97, v85, v87
	s_delay_alu instid0(VALU_DEP_1) | instskip(NEXT) | instid1(VALU_DEP_1)
	v_dual_sub_f32 v82, v82, v97 :: v_dual_sub_f32 v83, v84, v83
	v_sub_f32_e32 v81, v81, v83
	v_sub_f32_e32 v83, v84, v87
	s_delay_alu instid0(VALU_DEP_2) | instskip(NEXT) | instid1(VALU_DEP_1)
	v_add_f32_e32 v84, v80, v81
	v_dual_add_f32 v82, v83, v82 :: v_dual_sub_f32 v83, v84, v80
	s_delay_alu instid0(VALU_DEP_1) | instskip(NEXT) | instid1(VALU_DEP_2)
	v_add_f32_e32 v82, v84, v82
	v_sub_f32_e32 v84, v84, v83
	s_delay_alu instid0(VALU_DEP_2) | instskip(NEXT) | instid1(VALU_DEP_2)
	v_add_f32_e32 v86, v85, v82
	v_dual_sub_f32 v81, v81, v83 :: v_dual_sub_f32 v80, v80, v84
	s_delay_alu instid0(VALU_DEP_1) | instskip(NEXT) | instid1(VALU_DEP_1)
	v_dual_sub_f32 v83, v86, v85 :: v_dual_add_f32 v80, v81, v80
	v_sub_f32_e32 v81, v82, v83
	s_delay_alu instid0(VALU_DEP_1) | instskip(NEXT) | instid1(VALU_DEP_1)
	v_add_f32_e32 v80, v80, v81
	v_add_f32_e32 v80, v86, v80
	s_delay_alu instid0(VALU_DEP_1) | instskip(NEXT) | instid1(VALU_DEP_1)
	v_cndmask_b32_e64 v71, v80, v71, s13
	v_add_f32_e32 v71, v70, v71
.LBB521_262:
	s_or_b32 exec_lo, exec_lo, s14
	s_delay_alu instid0(VALU_DEP_1) | instskip(SKIP_2) | instid1(VALU_DEP_3)
	v_bfe_u32 v70, v71, 16, 1
	v_cmp_o_f32_e64 s13, v71, v71
	v_lshlrev_b32_e32 v37, 16, v37
	v_add3_u32 v70, v71, v70, 0x7fff
	s_delay_alu instid0(VALU_DEP_1) | instskip(NEXT) | instid1(VALU_DEP_1)
	v_and_b32_e32 v70, 0xffff0000, v70
	v_cndmask_b32_e64 v80, 0x7fc00000, v70, s13
	s_delay_alu instid0(VALU_DEP_1) | instskip(SKIP_1) | instid1(VALU_DEP_2)
	v_dual_max_f32 v70, v37, v37 :: v_dual_max_f32 v71, v80, v80
	v_cmp_u_f32_e64 s13, v80, v80
	v_min_f32_e32 v81, v71, v70
	v_max_f32_e32 v71, v71, v70
	s_delay_alu instid0(VALU_DEP_2) | instskip(NEXT) | instid1(VALU_DEP_2)
	v_cndmask_b32_e64 v81, v81, v80, s13
	v_cndmask_b32_e64 v71, v71, v80, s13
	v_cmp_u_f32_e64 s13, v37, v37
	s_delay_alu instid0(VALU_DEP_1) | instskip(NEXT) | instid1(VALU_DEP_3)
	v_cndmask_b32_e64 v81, v81, v37, s13
	v_cndmask_b32_e64 v71, v71, v37, s13
	s_delay_alu instid0(VALU_DEP_2) | instskip(NEXT) | instid1(VALU_DEP_2)
	v_cmp_class_f32_e64 s15, v81, 0x1f8
	v_cmp_neq_f32_e64 s14, v81, v71
	s_delay_alu instid0(VALU_DEP_1) | instskip(NEXT) | instid1(SALU_CYCLE_1)
	s_or_b32 s14, s14, s15
	s_and_saveexec_b32 s15, s14
	s_cbranch_execz .LBB521_264
; %bb.263:
	v_sub_f32_e32 v80, v81, v71
	s_delay_alu instid0(VALU_DEP_1) | instskip(SKIP_1) | instid1(VALU_DEP_2)
	v_mul_f32_e32 v81, 0x3fb8aa3b, v80
	v_cmp_ngt_f32_e64 s14, 0xc2ce8ed0, v80
	v_fma_f32 v82, 0x3fb8aa3b, v80, -v81
	v_rndne_f32_e32 v83, v81
	s_delay_alu instid0(VALU_DEP_1) | instskip(NEXT) | instid1(VALU_DEP_1)
	v_dual_fmamk_f32 v82, v80, 0x32a5705f, v82 :: v_dual_sub_f32 v81, v81, v83
	v_add_f32_e32 v81, v81, v82
	v_cvt_i32_f32_e32 v82, v83
	s_delay_alu instid0(VALU_DEP_2) | instskip(SKIP_2) | instid1(VALU_DEP_1)
	v_exp_f32_e32 v81, v81
	s_waitcnt_depctr 0xfff
	v_ldexp_f32 v81, v81, v82
	v_cndmask_b32_e64 v81, 0, v81, s14
	v_cmp_nlt_f32_e64 s14, 0x42b17218, v80
	s_delay_alu instid0(VALU_DEP_1) | instskip(NEXT) | instid1(VALU_DEP_1)
	v_cndmask_b32_e64 v82, 0x7f800000, v81, s14
	v_add_f32_e32 v83, 1.0, v82
	v_cmp_gt_f32_e64 s16, 0x33800000, |v82|
	s_delay_alu instid0(VALU_DEP_2) | instskip(NEXT) | instid1(VALU_DEP_1)
	v_cvt_f64_f32_e32 v[80:81], v83
	v_frexp_exp_i32_f64_e32 v80, v[80:81]
	v_frexp_mant_f32_e32 v81, v83
	s_delay_alu instid0(VALU_DEP_1) | instskip(SKIP_1) | instid1(VALU_DEP_1)
	v_cmp_gt_f32_e64 s14, 0x3f2aaaab, v81
	v_add_f32_e32 v81, -1.0, v83
	v_sub_f32_e32 v85, v81, v83
	v_sub_f32_e32 v81, v82, v81
	s_delay_alu instid0(VALU_DEP_4) | instskip(SKIP_1) | instid1(VALU_DEP_1)
	v_subrev_co_ci_u32_e64 v80, s14, 0, v80, s14
	s_mov_b32 s14, 0x3e9b6dac
	v_sub_nc_u32_e32 v84, 0, v80
	v_cvt_f32_i32_e32 v80, v80
	s_delay_alu instid0(VALU_DEP_2) | instskip(NEXT) | instid1(VALU_DEP_1)
	v_ldexp_f32 v83, v83, v84
	v_dual_add_f32 v86, 1.0, v83 :: v_dual_add_f32 v85, 1.0, v85
	s_delay_alu instid0(VALU_DEP_1) | instskip(NEXT) | instid1(VALU_DEP_1)
	v_add_f32_e32 v81, v81, v85
	v_ldexp_f32 v81, v81, v84
	s_delay_alu instid0(VALU_DEP_3) | instskip(NEXT) | instid1(VALU_DEP_1)
	v_dual_add_f32 v84, -1.0, v83 :: v_dual_add_f32 v85, -1.0, v86
	v_add_f32_e32 v87, 1.0, v84
	s_delay_alu instid0(VALU_DEP_2) | instskip(NEXT) | instid1(VALU_DEP_2)
	v_sub_f32_e32 v85, v83, v85
	v_sub_f32_e32 v83, v83, v87
	s_delay_alu instid0(VALU_DEP_2) | instskip(NEXT) | instid1(VALU_DEP_2)
	v_add_f32_e32 v85, v81, v85
	v_add_f32_e32 v81, v81, v83
	s_delay_alu instid0(VALU_DEP_2) | instskip(NEXT) | instid1(VALU_DEP_2)
	v_add_f32_e32 v87, v86, v85
	v_add_f32_e32 v97, v84, v81
	s_delay_alu instid0(VALU_DEP_2) | instskip(SKIP_1) | instid1(VALU_DEP_1)
	v_rcp_f32_e32 v83, v87
	v_sub_f32_e32 v86, v86, v87
	v_dual_sub_f32 v84, v84, v97 :: v_dual_add_f32 v85, v85, v86
	s_delay_alu instid0(VALU_DEP_1) | instskip(SKIP_2) | instid1(VALU_DEP_1)
	v_add_f32_e32 v81, v81, v84
	s_waitcnt_depctr 0xfff
	v_mul_f32_e32 v98, v97, v83
	v_mul_f32_e32 v99, v87, v98
	s_delay_alu instid0(VALU_DEP_1) | instskip(NEXT) | instid1(VALU_DEP_1)
	v_fma_f32 v86, v98, v87, -v99
	v_fmac_f32_e32 v86, v98, v85
	s_delay_alu instid0(VALU_DEP_1) | instskip(NEXT) | instid1(VALU_DEP_1)
	v_add_f32_e32 v100, v99, v86
	v_dual_sub_f32 v101, v97, v100 :: v_dual_sub_f32 v84, v100, v99
	s_delay_alu instid0(VALU_DEP_1) | instskip(NEXT) | instid1(VALU_DEP_1)
	v_dual_sub_f32 v97, v97, v101 :: v_dual_sub_f32 v84, v84, v86
	v_sub_f32_e32 v97, v97, v100
	s_delay_alu instid0(VALU_DEP_1) | instskip(NEXT) | instid1(VALU_DEP_1)
	v_add_f32_e32 v81, v81, v97
	v_add_f32_e32 v81, v84, v81
	s_delay_alu instid0(VALU_DEP_1) | instskip(NEXT) | instid1(VALU_DEP_1)
	v_add_f32_e32 v84, v101, v81
	v_mul_f32_e32 v86, v83, v84
	s_delay_alu instid0(VALU_DEP_1) | instskip(NEXT) | instid1(VALU_DEP_1)
	v_dual_sub_f32 v100, v101, v84 :: v_dual_mul_f32 v97, v87, v86
	v_add_f32_e32 v81, v81, v100
	s_delay_alu instid0(VALU_DEP_2) | instskip(NEXT) | instid1(VALU_DEP_1)
	v_fma_f32 v87, v86, v87, -v97
	v_fmac_f32_e32 v87, v86, v85
	s_delay_alu instid0(VALU_DEP_1) | instskip(NEXT) | instid1(VALU_DEP_1)
	v_add_f32_e32 v85, v97, v87
	v_sub_f32_e32 v99, v84, v85
	s_delay_alu instid0(VALU_DEP_1) | instskip(NEXT) | instid1(VALU_DEP_1)
	v_dual_sub_f32 v97, v85, v97 :: v_dual_sub_f32 v84, v84, v99
	v_dual_sub_f32 v84, v84, v85 :: v_dual_sub_f32 v85, v97, v87
	s_delay_alu instid0(VALU_DEP_1) | instskip(NEXT) | instid1(VALU_DEP_1)
	v_dual_add_f32 v81, v81, v84 :: v_dual_add_f32 v84, v98, v86
	v_add_f32_e32 v81, v85, v81
	s_delay_alu instid0(VALU_DEP_2) | instskip(NEXT) | instid1(VALU_DEP_2)
	v_sub_f32_e32 v85, v84, v98
	v_add_f32_e32 v81, v99, v81
	s_delay_alu instid0(VALU_DEP_2) | instskip(NEXT) | instid1(VALU_DEP_2)
	v_sub_f32_e32 v85, v86, v85
	v_mul_f32_e32 v81, v83, v81
	s_delay_alu instid0(VALU_DEP_1) | instskip(NEXT) | instid1(VALU_DEP_1)
	v_add_f32_e32 v81, v85, v81
	v_add_f32_e32 v83, v84, v81
	s_delay_alu instid0(VALU_DEP_1) | instskip(NEXT) | instid1(VALU_DEP_1)
	v_mul_f32_e32 v85, v83, v83
	v_fmaak_f32 v86, s14, v85, 0x3ecc95a3
	v_mul_f32_e32 v87, v83, v85
	v_cmp_eq_f32_e64 s14, 0x7f800000, v82
	s_delay_alu instid0(VALU_DEP_3) | instskip(SKIP_2) | instid1(VALU_DEP_4)
	v_fmaak_f32 v85, v85, v86, 0x3f2aaada
	v_ldexp_f32 v86, v83, 1
	v_sub_f32_e32 v83, v83, v84
	s_or_b32 s14, s14, s16
	s_delay_alu instid0(VALU_DEP_3) | instskip(SKIP_1) | instid1(VALU_DEP_2)
	v_mul_f32_e32 v85, v87, v85
	v_mul_f32_e32 v87, 0x3f317218, v80
	v_dual_sub_f32 v81, v81, v83 :: v_dual_add_f32 v84, v86, v85
	s_delay_alu instid0(VALU_DEP_1) | instskip(NEXT) | instid1(VALU_DEP_2)
	v_ldexp_f32 v81, v81, 1
	v_sub_f32_e32 v83, v84, v86
	s_delay_alu instid0(VALU_DEP_4) | instskip(NEXT) | instid1(VALU_DEP_1)
	v_fma_f32 v86, 0x3f317218, v80, -v87
	v_dual_sub_f32 v83, v85, v83 :: v_dual_fmamk_f32 v80, v80, 0xb102e308, v86
	s_delay_alu instid0(VALU_DEP_1) | instskip(NEXT) | instid1(VALU_DEP_2)
	v_add_f32_e32 v81, v81, v83
	v_add_f32_e32 v83, v87, v80
	s_delay_alu instid0(VALU_DEP_2) | instskip(NEXT) | instid1(VALU_DEP_2)
	v_add_f32_e32 v85, v84, v81
	v_sub_f32_e32 v87, v83, v87
	s_delay_alu instid0(VALU_DEP_2) | instskip(SKIP_1) | instid1(VALU_DEP_3)
	v_add_f32_e32 v86, v83, v85
	v_sub_f32_e32 v84, v85, v84
	v_sub_f32_e32 v80, v80, v87
	s_delay_alu instid0(VALU_DEP_3) | instskip(NEXT) | instid1(VALU_DEP_3)
	v_sub_f32_e32 v97, v86, v83
	v_sub_f32_e32 v81, v81, v84
	s_delay_alu instid0(VALU_DEP_2) | instskip(SKIP_1) | instid1(VALU_DEP_3)
	v_sub_f32_e32 v84, v85, v97
	v_sub_f32_e32 v98, v86, v97
	v_add_f32_e32 v85, v80, v81
	s_delay_alu instid0(VALU_DEP_2) | instskip(NEXT) | instid1(VALU_DEP_1)
	v_sub_f32_e32 v83, v83, v98
	v_dual_add_f32 v83, v84, v83 :: v_dual_sub_f32 v84, v85, v80
	s_delay_alu instid0(VALU_DEP_1) | instskip(NEXT) | instid1(VALU_DEP_2)
	v_add_f32_e32 v83, v85, v83
	v_sub_f32_e32 v85, v85, v84
	v_sub_f32_e32 v81, v81, v84
	s_delay_alu instid0(VALU_DEP_2) | instskip(NEXT) | instid1(VALU_DEP_1)
	v_dual_add_f32 v87, v86, v83 :: v_dual_sub_f32 v80, v80, v85
	v_sub_f32_e32 v84, v87, v86
	s_delay_alu instid0(VALU_DEP_2) | instskip(NEXT) | instid1(VALU_DEP_2)
	v_add_f32_e32 v80, v81, v80
	v_sub_f32_e32 v81, v83, v84
	s_delay_alu instid0(VALU_DEP_1) | instskip(NEXT) | instid1(VALU_DEP_1)
	v_add_f32_e32 v80, v80, v81
	v_add_f32_e32 v80, v87, v80
	s_delay_alu instid0(VALU_DEP_1) | instskip(NEXT) | instid1(VALU_DEP_1)
	v_cndmask_b32_e64 v80, v80, v82, s14
	v_add_f32_e32 v80, v71, v80
.LBB521_264:
	s_or_b32 exec_lo, exec_lo, s15
	s_delay_alu instid0(VALU_DEP_1) | instskip(SKIP_2) | instid1(VALU_DEP_3)
	v_bfe_u32 v71, v80, 16, 1
	v_cmp_o_f32_e64 s14, v80, v80
	v_lshlrev_b32_e32 v36, 16, v36
	v_add3_u32 v71, v80, v71, 0x7fff
	s_delay_alu instid0(VALU_DEP_1) | instskip(NEXT) | instid1(VALU_DEP_1)
	v_and_b32_e32 v71, 0xffff0000, v71
	v_cndmask_b32_e64 v81, 0x7fc00000, v71, s14
	s_delay_alu instid0(VALU_DEP_1) | instskip(SKIP_1) | instid1(VALU_DEP_2)
	v_dual_max_f32 v71, v36, v36 :: v_dual_max_f32 v80, v81, v81
	v_cmp_u_f32_e64 s14, v81, v81
	v_min_f32_e32 v82, v80, v71
	v_max_f32_e32 v80, v80, v71
	s_delay_alu instid0(VALU_DEP_2) | instskip(NEXT) | instid1(VALU_DEP_2)
	v_cndmask_b32_e64 v82, v82, v81, s14
	v_cndmask_b32_e64 v80, v80, v81, s14
	v_cmp_u_f32_e64 s14, v36, v36
	s_delay_alu instid0(VALU_DEP_1) | instskip(NEXT) | instid1(VALU_DEP_3)
	v_cndmask_b32_e64 v82, v82, v36, s14
	v_cndmask_b32_e64 v80, v80, v36, s14
	s_delay_alu instid0(VALU_DEP_2) | instskip(NEXT) | instid1(VALU_DEP_2)
	v_cmp_class_f32_e64 s16, v82, 0x1f8
	v_cmp_neq_f32_e64 s15, v82, v80
	s_delay_alu instid0(VALU_DEP_1) | instskip(NEXT) | instid1(SALU_CYCLE_1)
	s_or_b32 s15, s15, s16
	s_and_saveexec_b32 s16, s15
	s_cbranch_execz .LBB521_266
; %bb.265:
	v_sub_f32_e32 v81, v82, v80
	s_delay_alu instid0(VALU_DEP_1) | instskip(SKIP_1) | instid1(VALU_DEP_2)
	v_mul_f32_e32 v82, 0x3fb8aa3b, v81
	v_cmp_ngt_f32_e64 s15, 0xc2ce8ed0, v81
	v_fma_f32 v83, 0x3fb8aa3b, v81, -v82
	v_rndne_f32_e32 v84, v82
	s_delay_alu instid0(VALU_DEP_1) | instskip(NEXT) | instid1(VALU_DEP_1)
	v_dual_fmamk_f32 v83, v81, 0x32a5705f, v83 :: v_dual_sub_f32 v82, v82, v84
	v_add_f32_e32 v82, v82, v83
	v_cvt_i32_f32_e32 v83, v84
	s_delay_alu instid0(VALU_DEP_2) | instskip(SKIP_2) | instid1(VALU_DEP_1)
	v_exp_f32_e32 v82, v82
	s_waitcnt_depctr 0xfff
	v_ldexp_f32 v82, v82, v83
	v_cndmask_b32_e64 v82, 0, v82, s15
	v_cmp_nlt_f32_e64 s15, 0x42b17218, v81
	s_delay_alu instid0(VALU_DEP_1) | instskip(NEXT) | instid1(VALU_DEP_1)
	v_cndmask_b32_e64 v83, 0x7f800000, v82, s15
	v_add_f32_e32 v84, 1.0, v83
	v_cmp_gt_f32_e64 s17, 0x33800000, |v83|
	s_delay_alu instid0(VALU_DEP_2) | instskip(NEXT) | instid1(VALU_DEP_1)
	v_cvt_f64_f32_e32 v[81:82], v84
	v_frexp_exp_i32_f64_e32 v81, v[81:82]
	v_frexp_mant_f32_e32 v82, v84
	s_delay_alu instid0(VALU_DEP_1) | instskip(SKIP_1) | instid1(VALU_DEP_1)
	v_cmp_gt_f32_e64 s15, 0x3f2aaaab, v82
	v_add_f32_e32 v82, -1.0, v84
	v_sub_f32_e32 v86, v82, v84
	v_sub_f32_e32 v82, v83, v82
	s_delay_alu instid0(VALU_DEP_2) | instskip(NEXT) | instid1(VALU_DEP_1)
	v_add_f32_e32 v86, 1.0, v86
	v_add_f32_e32 v82, v82, v86
	v_subrev_co_ci_u32_e64 v81, s15, 0, v81, s15
	s_mov_b32 s15, 0x3e9b6dac
	s_delay_alu instid0(VALU_DEP_1) | instskip(SKIP_1) | instid1(VALU_DEP_2)
	v_sub_nc_u32_e32 v85, 0, v81
	v_cvt_f32_i32_e32 v81, v81
	v_ldexp_f32 v84, v84, v85
	v_ldexp_f32 v82, v82, v85
	s_delay_alu instid0(VALU_DEP_2) | instskip(NEXT) | instid1(VALU_DEP_1)
	v_add_f32_e32 v87, 1.0, v84
	v_dual_add_f32 v85, -1.0, v84 :: v_dual_add_f32 v86, -1.0, v87
	s_delay_alu instid0(VALU_DEP_1) | instskip(NEXT) | instid1(VALU_DEP_1)
	v_dual_add_f32 v97, 1.0, v85 :: v_dual_sub_f32 v86, v84, v86
	v_add_f32_e32 v86, v82, v86
	s_delay_alu instid0(VALU_DEP_1) | instskip(NEXT) | instid1(VALU_DEP_1)
	v_dual_sub_f32 v84, v84, v97 :: v_dual_add_f32 v97, v87, v86
	v_sub_f32_e32 v87, v87, v97
	s_delay_alu instid0(VALU_DEP_1) | instskip(NEXT) | instid1(VALU_DEP_3)
	v_add_f32_e32 v86, v86, v87
	v_add_f32_e32 v82, v82, v84
	v_rcp_f32_e32 v84, v97
	s_delay_alu instid0(VALU_DEP_1) | instskip(NEXT) | instid1(VALU_DEP_1)
	v_add_f32_e32 v98, v85, v82
	v_sub_f32_e32 v85, v85, v98
	s_waitcnt_depctr 0xfff
	v_mul_f32_e32 v99, v98, v84
	s_delay_alu instid0(VALU_DEP_1) | instskip(NEXT) | instid1(VALU_DEP_1)
	v_mul_f32_e32 v100, v97, v99
	v_fma_f32 v87, v99, v97, -v100
	s_delay_alu instid0(VALU_DEP_1) | instskip(NEXT) | instid1(VALU_DEP_1)
	v_dual_fmac_f32 v87, v99, v86 :: v_dual_add_f32 v82, v82, v85
	v_add_f32_e32 v101, v100, v87
	s_delay_alu instid0(VALU_DEP_1) | instskip(NEXT) | instid1(VALU_DEP_1)
	v_dual_sub_f32 v102, v98, v101 :: v_dual_sub_f32 v85, v101, v100
	v_dual_sub_f32 v98, v98, v102 :: v_dual_sub_f32 v85, v85, v87
	s_delay_alu instid0(VALU_DEP_1) | instskip(NEXT) | instid1(VALU_DEP_1)
	v_sub_f32_e32 v98, v98, v101
	v_add_f32_e32 v82, v82, v98
	s_delay_alu instid0(VALU_DEP_1) | instskip(NEXT) | instid1(VALU_DEP_1)
	v_add_f32_e32 v82, v85, v82
	v_add_f32_e32 v85, v102, v82
	s_delay_alu instid0(VALU_DEP_1) | instskip(NEXT) | instid1(VALU_DEP_1)
	v_mul_f32_e32 v87, v84, v85
	v_mul_f32_e32 v98, v97, v87
	s_delay_alu instid0(VALU_DEP_1) | instskip(NEXT) | instid1(VALU_DEP_1)
	v_fma_f32 v97, v87, v97, -v98
	v_fmac_f32_e32 v97, v87, v86
	v_sub_f32_e32 v101, v102, v85
	s_delay_alu instid0(VALU_DEP_2) | instskip(NEXT) | instid1(VALU_DEP_2)
	v_add_f32_e32 v86, v98, v97
	v_add_f32_e32 v82, v82, v101
	s_delay_alu instid0(VALU_DEP_2) | instskip(NEXT) | instid1(VALU_DEP_1)
	v_sub_f32_e32 v100, v85, v86
	v_dual_sub_f32 v98, v86, v98 :: v_dual_sub_f32 v85, v85, v100
	s_delay_alu instid0(VALU_DEP_1) | instskip(NEXT) | instid1(VALU_DEP_1)
	v_dual_sub_f32 v85, v85, v86 :: v_dual_sub_f32 v86, v98, v97
	v_dual_add_f32 v82, v82, v85 :: v_dual_add_f32 v85, v99, v87
	s_delay_alu instid0(VALU_DEP_1) | instskip(NEXT) | instid1(VALU_DEP_2)
	v_add_f32_e32 v82, v86, v82
	v_sub_f32_e32 v86, v85, v99
	s_delay_alu instid0(VALU_DEP_2) | instskip(NEXT) | instid1(VALU_DEP_2)
	v_add_f32_e32 v82, v100, v82
	v_sub_f32_e32 v86, v87, v86
	s_delay_alu instid0(VALU_DEP_2) | instskip(NEXT) | instid1(VALU_DEP_1)
	v_mul_f32_e32 v82, v84, v82
	v_add_f32_e32 v82, v86, v82
	s_delay_alu instid0(VALU_DEP_1) | instskip(NEXT) | instid1(VALU_DEP_1)
	v_add_f32_e32 v84, v85, v82
	v_mul_f32_e32 v86, v84, v84
	s_delay_alu instid0(VALU_DEP_1) | instskip(SKIP_2) | instid1(VALU_DEP_3)
	v_fmaak_f32 v87, s15, v86, 0x3ecc95a3
	v_mul_f32_e32 v97, v84, v86
	v_cmp_eq_f32_e64 s15, 0x7f800000, v83
	v_fmaak_f32 v86, v86, v87, 0x3f2aaada
	v_ldexp_f32 v87, v84, 1
	v_sub_f32_e32 v84, v84, v85
	s_delay_alu instid0(VALU_DEP_4) | instskip(NEXT) | instid1(VALU_DEP_3)
	s_or_b32 s15, s15, s17
	v_dual_mul_f32 v86, v97, v86 :: v_dual_mul_f32 v97, 0x3f317218, v81
	s_delay_alu instid0(VALU_DEP_1) | instskip(NEXT) | instid1(VALU_DEP_1)
	v_dual_sub_f32 v82, v82, v84 :: v_dual_add_f32 v85, v87, v86
	v_ldexp_f32 v82, v82, 1
	s_delay_alu instid0(VALU_DEP_2) | instskip(NEXT) | instid1(VALU_DEP_4)
	v_sub_f32_e32 v84, v85, v87
	v_fma_f32 v87, 0x3f317218, v81, -v97
	s_delay_alu instid0(VALU_DEP_1) | instskip(NEXT) | instid1(VALU_DEP_1)
	v_dual_sub_f32 v84, v86, v84 :: v_dual_fmamk_f32 v81, v81, 0xb102e308, v87
	v_add_f32_e32 v82, v82, v84
	s_delay_alu instid0(VALU_DEP_2) | instskip(NEXT) | instid1(VALU_DEP_1)
	v_add_f32_e32 v84, v97, v81
	v_dual_add_f32 v86, v85, v82 :: v_dual_sub_f32 v97, v84, v97
	s_delay_alu instid0(VALU_DEP_1) | instskip(SKIP_1) | instid1(VALU_DEP_2)
	v_add_f32_e32 v87, v84, v86
	v_sub_f32_e32 v85, v86, v85
	v_dual_sub_f32 v81, v81, v97 :: v_dual_sub_f32 v98, v87, v84
	s_delay_alu instid0(VALU_DEP_1) | instskip(SKIP_1) | instid1(VALU_DEP_2)
	v_dual_sub_f32 v82, v82, v85 :: v_dual_sub_f32 v99, v87, v98
	v_sub_f32_e32 v85, v86, v98
	v_add_f32_e32 v86, v81, v82
	s_delay_alu instid0(VALU_DEP_3) | instskip(NEXT) | instid1(VALU_DEP_1)
	v_sub_f32_e32 v84, v84, v99
	v_dual_add_f32 v84, v85, v84 :: v_dual_sub_f32 v85, v86, v81
	s_delay_alu instid0(VALU_DEP_1) | instskip(NEXT) | instid1(VALU_DEP_2)
	v_add_f32_e32 v84, v86, v84
	v_sub_f32_e32 v86, v86, v85
	s_delay_alu instid0(VALU_DEP_2) | instskip(NEXT) | instid1(VALU_DEP_2)
	v_dual_sub_f32 v82, v82, v85 :: v_dual_add_f32 v97, v87, v84
	v_sub_f32_e32 v81, v81, v86
	s_delay_alu instid0(VALU_DEP_2) | instskip(NEXT) | instid1(VALU_DEP_2)
	v_sub_f32_e32 v85, v97, v87
	v_add_f32_e32 v81, v82, v81
	s_delay_alu instid0(VALU_DEP_2) | instskip(NEXT) | instid1(VALU_DEP_1)
	v_sub_f32_e32 v82, v84, v85
	v_add_f32_e32 v81, v81, v82
	s_delay_alu instid0(VALU_DEP_1) | instskip(NEXT) | instid1(VALU_DEP_1)
	v_add_f32_e32 v81, v97, v81
	v_cndmask_b32_e64 v81, v81, v83, s15
	s_delay_alu instid0(VALU_DEP_1)
	v_add_f32_e32 v81, v80, v81
.LBB521_266:
	s_or_b32 exec_lo, exec_lo, s16
	s_delay_alu instid0(VALU_DEP_1) | instskip(SKIP_2) | instid1(VALU_DEP_3)
	v_bfe_u32 v80, v81, 16, 1
	v_cmp_o_f32_e64 s15, v81, v81
	v_lshlrev_b32_e32 v35, 16, v35
	v_add3_u32 v80, v81, v80, 0x7fff
	s_delay_alu instid0(VALU_DEP_1) | instskip(NEXT) | instid1(VALU_DEP_1)
	v_and_b32_e32 v80, 0xffff0000, v80
	v_cndmask_b32_e64 v82, 0x7fc00000, v80, s15
	s_delay_alu instid0(VALU_DEP_1) | instskip(SKIP_1) | instid1(VALU_DEP_2)
	v_dual_max_f32 v80, v35, v35 :: v_dual_max_f32 v81, v82, v82
	v_cmp_u_f32_e64 s15, v82, v82
	v_min_f32_e32 v83, v81, v80
	v_max_f32_e32 v81, v81, v80
	s_delay_alu instid0(VALU_DEP_2) | instskip(NEXT) | instid1(VALU_DEP_2)
	v_cndmask_b32_e64 v83, v83, v82, s15
	v_cndmask_b32_e64 v81, v81, v82, s15
	v_cmp_u_f32_e64 s15, v35, v35
	s_delay_alu instid0(VALU_DEP_1) | instskip(NEXT) | instid1(VALU_DEP_3)
	v_cndmask_b32_e64 v83, v83, v35, s15
	v_cndmask_b32_e64 v81, v81, v35, s15
	s_delay_alu instid0(VALU_DEP_2) | instskip(NEXT) | instid1(VALU_DEP_2)
	v_cmp_class_f32_e64 s17, v83, 0x1f8
	v_cmp_neq_f32_e64 s16, v83, v81
	s_delay_alu instid0(VALU_DEP_1) | instskip(NEXT) | instid1(SALU_CYCLE_1)
	s_or_b32 s16, s16, s17
	s_and_saveexec_b32 s17, s16
	s_cbranch_execz .LBB521_268
; %bb.267:
	v_sub_f32_e32 v82, v83, v81
	s_delay_alu instid0(VALU_DEP_1) | instskip(SKIP_1) | instid1(VALU_DEP_2)
	v_mul_f32_e32 v83, 0x3fb8aa3b, v82
	v_cmp_ngt_f32_e64 s16, 0xc2ce8ed0, v82
	v_fma_f32 v84, 0x3fb8aa3b, v82, -v83
	v_rndne_f32_e32 v85, v83
	s_delay_alu instid0(VALU_DEP_1) | instskip(NEXT) | instid1(VALU_DEP_1)
	v_dual_fmamk_f32 v84, v82, 0x32a5705f, v84 :: v_dual_sub_f32 v83, v83, v85
	v_add_f32_e32 v83, v83, v84
	v_cvt_i32_f32_e32 v84, v85
	s_delay_alu instid0(VALU_DEP_2) | instskip(SKIP_2) | instid1(VALU_DEP_1)
	v_exp_f32_e32 v83, v83
	s_waitcnt_depctr 0xfff
	v_ldexp_f32 v83, v83, v84
	v_cndmask_b32_e64 v83, 0, v83, s16
	v_cmp_nlt_f32_e64 s16, 0x42b17218, v82
	s_delay_alu instid0(VALU_DEP_1) | instskip(NEXT) | instid1(VALU_DEP_1)
	v_cndmask_b32_e64 v84, 0x7f800000, v83, s16
	v_add_f32_e32 v85, 1.0, v84
	v_cmp_gt_f32_e64 s18, 0x33800000, |v84|
	s_delay_alu instid0(VALU_DEP_2) | instskip(NEXT) | instid1(VALU_DEP_1)
	v_cvt_f64_f32_e32 v[82:83], v85
	v_frexp_exp_i32_f64_e32 v82, v[82:83]
	v_frexp_mant_f32_e32 v83, v85
	s_delay_alu instid0(VALU_DEP_1) | instskip(SKIP_1) | instid1(VALU_DEP_1)
	v_cmp_gt_f32_e64 s16, 0x3f2aaaab, v83
	v_add_f32_e32 v83, -1.0, v85
	v_sub_f32_e32 v87, v83, v85
	v_sub_f32_e32 v83, v84, v83
	s_delay_alu instid0(VALU_DEP_2) | instskip(NEXT) | instid1(VALU_DEP_1)
	v_add_f32_e32 v87, 1.0, v87
	v_add_f32_e32 v83, v83, v87
	v_subrev_co_ci_u32_e64 v82, s16, 0, v82, s16
	s_mov_b32 s16, 0x3e9b6dac
	s_delay_alu instid0(VALU_DEP_1) | instskip(SKIP_1) | instid1(VALU_DEP_2)
	v_sub_nc_u32_e32 v86, 0, v82
	v_cvt_f32_i32_e32 v82, v82
	v_ldexp_f32 v85, v85, v86
	v_ldexp_f32 v83, v83, v86
	s_delay_alu instid0(VALU_DEP_2) | instskip(SKIP_1) | instid1(VALU_DEP_1)
	v_add_f32_e32 v97, 1.0, v85
	v_add_f32_e32 v86, -1.0, v85
	v_dual_add_f32 v87, -1.0, v97 :: v_dual_add_f32 v98, 1.0, v86
	s_delay_alu instid0(VALU_DEP_1) | instskip(NEXT) | instid1(VALU_DEP_2)
	v_sub_f32_e32 v87, v85, v87
	v_sub_f32_e32 v85, v85, v98
	s_delay_alu instid0(VALU_DEP_2) | instskip(NEXT) | instid1(VALU_DEP_1)
	v_add_f32_e32 v87, v83, v87
	v_add_f32_e32 v98, v97, v87
	s_delay_alu instid0(VALU_DEP_1) | instskip(NEXT) | instid1(VALU_DEP_1)
	v_sub_f32_e32 v97, v97, v98
	v_add_f32_e32 v87, v87, v97
	v_add_f32_e32 v83, v83, v85
	v_rcp_f32_e32 v85, v98
	s_delay_alu instid0(VALU_DEP_1) | instskip(NEXT) | instid1(VALU_DEP_1)
	v_add_f32_e32 v99, v86, v83
	v_sub_f32_e32 v86, v86, v99
	s_waitcnt_depctr 0xfff
	v_mul_f32_e32 v100, v99, v85
	v_add_f32_e32 v83, v83, v86
	s_delay_alu instid0(VALU_DEP_2) | instskip(NEXT) | instid1(VALU_DEP_1)
	v_mul_f32_e32 v101, v98, v100
	v_fma_f32 v97, v100, v98, -v101
	s_delay_alu instid0(VALU_DEP_1) | instskip(NEXT) | instid1(VALU_DEP_1)
	v_fmac_f32_e32 v97, v100, v87
	v_add_f32_e32 v102, v101, v97
	s_delay_alu instid0(VALU_DEP_1) | instskip(NEXT) | instid1(VALU_DEP_1)
	v_dual_sub_f32 v103, v99, v102 :: v_dual_sub_f32 v86, v102, v101
	v_dual_sub_f32 v99, v99, v103 :: v_dual_sub_f32 v86, v86, v97
	s_delay_alu instid0(VALU_DEP_1) | instskip(NEXT) | instid1(VALU_DEP_1)
	v_sub_f32_e32 v99, v99, v102
	v_add_f32_e32 v83, v83, v99
	s_delay_alu instid0(VALU_DEP_1) | instskip(NEXT) | instid1(VALU_DEP_1)
	v_add_f32_e32 v83, v86, v83
	v_add_f32_e32 v86, v103, v83
	s_delay_alu instid0(VALU_DEP_1) | instskip(NEXT) | instid1(VALU_DEP_1)
	v_mul_f32_e32 v97, v85, v86
	v_dual_sub_f32 v102, v103, v86 :: v_dual_mul_f32 v99, v98, v97
	s_delay_alu instid0(VALU_DEP_1) | instskip(NEXT) | instid1(VALU_DEP_2)
	v_add_f32_e32 v83, v83, v102
	v_fma_f32 v98, v97, v98, -v99
	s_delay_alu instid0(VALU_DEP_1) | instskip(NEXT) | instid1(VALU_DEP_1)
	v_fmac_f32_e32 v98, v97, v87
	v_add_f32_e32 v87, v99, v98
	s_delay_alu instid0(VALU_DEP_1) | instskip(NEXT) | instid1(VALU_DEP_1)
	v_sub_f32_e32 v101, v86, v87
	v_dual_sub_f32 v99, v87, v99 :: v_dual_sub_f32 v86, v86, v101
	s_delay_alu instid0(VALU_DEP_1) | instskip(NEXT) | instid1(VALU_DEP_1)
	v_dual_sub_f32 v86, v86, v87 :: v_dual_sub_f32 v87, v99, v98
	v_dual_add_f32 v83, v83, v86 :: v_dual_add_f32 v86, v100, v97
	s_delay_alu instid0(VALU_DEP_1) | instskip(NEXT) | instid1(VALU_DEP_2)
	v_add_f32_e32 v83, v87, v83
	v_sub_f32_e32 v87, v86, v100
	s_delay_alu instid0(VALU_DEP_2) | instskip(NEXT) | instid1(VALU_DEP_2)
	v_add_f32_e32 v83, v101, v83
	v_sub_f32_e32 v87, v97, v87
	s_delay_alu instid0(VALU_DEP_2) | instskip(NEXT) | instid1(VALU_DEP_1)
	v_mul_f32_e32 v83, v85, v83
	v_add_f32_e32 v83, v87, v83
	s_delay_alu instid0(VALU_DEP_1) | instskip(NEXT) | instid1(VALU_DEP_1)
	v_add_f32_e32 v85, v86, v83
	v_mul_f32_e32 v87, v85, v85
	s_delay_alu instid0(VALU_DEP_1) | instskip(SKIP_2) | instid1(VALU_DEP_3)
	v_fmaak_f32 v97, s16, v87, 0x3ecc95a3
	v_mul_f32_e32 v98, v85, v87
	v_cmp_eq_f32_e64 s16, 0x7f800000, v84
	v_fmaak_f32 v87, v87, v97, 0x3f2aaada
	v_ldexp_f32 v97, v85, 1
	v_sub_f32_e32 v85, v85, v86
	s_delay_alu instid0(VALU_DEP_4) | instskip(NEXT) | instid1(VALU_DEP_3)
	s_or_b32 s16, s16, s18
	v_dual_mul_f32 v87, v98, v87 :: v_dual_mul_f32 v98, 0x3f317218, v82
	s_delay_alu instid0(VALU_DEP_1) | instskip(NEXT) | instid1(VALU_DEP_1)
	v_dual_sub_f32 v83, v83, v85 :: v_dual_add_f32 v86, v97, v87
	v_ldexp_f32 v83, v83, 1
	s_delay_alu instid0(VALU_DEP_2) | instskip(NEXT) | instid1(VALU_DEP_4)
	v_sub_f32_e32 v85, v86, v97
	v_fma_f32 v97, 0x3f317218, v82, -v98
	s_delay_alu instid0(VALU_DEP_1) | instskip(NEXT) | instid1(VALU_DEP_1)
	v_dual_sub_f32 v85, v87, v85 :: v_dual_fmamk_f32 v82, v82, 0xb102e308, v97
	v_add_f32_e32 v83, v83, v85
	s_delay_alu instid0(VALU_DEP_2) | instskip(NEXT) | instid1(VALU_DEP_1)
	v_add_f32_e32 v85, v98, v82
	v_dual_add_f32 v87, v86, v83 :: v_dual_sub_f32 v98, v85, v98
	s_delay_alu instid0(VALU_DEP_1) | instskip(NEXT) | instid1(VALU_DEP_1)
	v_dual_add_f32 v97, v85, v87 :: v_dual_sub_f32 v86, v87, v86
	v_dual_sub_f32 v82, v82, v98 :: v_dual_sub_f32 v99, v97, v85
	s_delay_alu instid0(VALU_DEP_1) | instskip(SKIP_1) | instid1(VALU_DEP_2)
	v_dual_sub_f32 v83, v83, v86 :: v_dual_sub_f32 v100, v97, v99
	v_sub_f32_e32 v86, v87, v99
	v_add_f32_e32 v87, v82, v83
	s_delay_alu instid0(VALU_DEP_3) | instskip(NEXT) | instid1(VALU_DEP_1)
	v_sub_f32_e32 v85, v85, v100
	v_dual_add_f32 v85, v86, v85 :: v_dual_sub_f32 v86, v87, v82
	s_delay_alu instid0(VALU_DEP_1) | instskip(NEXT) | instid1(VALU_DEP_2)
	v_add_f32_e32 v85, v87, v85
	v_sub_f32_e32 v87, v87, v86
	s_delay_alu instid0(VALU_DEP_2) | instskip(NEXT) | instid1(VALU_DEP_2)
	v_dual_sub_f32 v83, v83, v86 :: v_dual_add_f32 v98, v97, v85
	v_sub_f32_e32 v82, v82, v87
	s_delay_alu instid0(VALU_DEP_2) | instskip(NEXT) | instid1(VALU_DEP_2)
	v_sub_f32_e32 v86, v98, v97
	v_add_f32_e32 v82, v83, v82
	s_delay_alu instid0(VALU_DEP_2) | instskip(NEXT) | instid1(VALU_DEP_1)
	v_sub_f32_e32 v83, v85, v86
	v_add_f32_e32 v82, v82, v83
	s_delay_alu instid0(VALU_DEP_1) | instskip(NEXT) | instid1(VALU_DEP_1)
	v_add_f32_e32 v82, v98, v82
	v_cndmask_b32_e64 v82, v82, v84, s16
	s_delay_alu instid0(VALU_DEP_1)
	v_add_f32_e32 v82, v81, v82
.LBB521_268:
	s_or_b32 exec_lo, exec_lo, s17
	s_delay_alu instid0(VALU_DEP_1) | instskip(SKIP_2) | instid1(VALU_DEP_3)
	v_bfe_u32 v81, v82, 16, 1
	v_cmp_o_f32_e64 s16, v82, v82
	v_lshlrev_b32_e32 v34, 16, v34
	v_add3_u32 v81, v82, v81, 0x7fff
	s_delay_alu instid0(VALU_DEP_1) | instskip(NEXT) | instid1(VALU_DEP_1)
	v_and_b32_e32 v81, 0xffff0000, v81
	v_cndmask_b32_e64 v83, 0x7fc00000, v81, s16
	s_delay_alu instid0(VALU_DEP_1) | instskip(SKIP_1) | instid1(VALU_DEP_2)
	v_dual_max_f32 v81, v34, v34 :: v_dual_max_f32 v82, v83, v83
	v_cmp_u_f32_e64 s16, v83, v83
	v_min_f32_e32 v84, v82, v81
	v_max_f32_e32 v82, v82, v81
	s_delay_alu instid0(VALU_DEP_2) | instskip(NEXT) | instid1(VALU_DEP_2)
	v_cndmask_b32_e64 v84, v84, v83, s16
	v_cndmask_b32_e64 v82, v82, v83, s16
	v_cmp_u_f32_e64 s16, v34, v34
	s_delay_alu instid0(VALU_DEP_1) | instskip(NEXT) | instid1(VALU_DEP_3)
	v_cndmask_b32_e64 v84, v84, v34, s16
	v_cndmask_b32_e64 v82, v82, v34, s16
	s_delay_alu instid0(VALU_DEP_2) | instskip(NEXT) | instid1(VALU_DEP_2)
	v_cmp_class_f32_e64 s18, v84, 0x1f8
	v_cmp_neq_f32_e64 s17, v84, v82
	s_delay_alu instid0(VALU_DEP_1) | instskip(NEXT) | instid1(SALU_CYCLE_1)
	s_or_b32 s17, s17, s18
	s_and_saveexec_b32 s18, s17
	s_cbranch_execz .LBB521_270
; %bb.269:
	v_sub_f32_e32 v83, v84, v82
	s_delay_alu instid0(VALU_DEP_1) | instskip(SKIP_1) | instid1(VALU_DEP_2)
	v_mul_f32_e32 v84, 0x3fb8aa3b, v83
	v_cmp_ngt_f32_e64 s17, 0xc2ce8ed0, v83
	v_fma_f32 v85, 0x3fb8aa3b, v83, -v84
	v_rndne_f32_e32 v86, v84
	s_delay_alu instid0(VALU_DEP_1) | instskip(NEXT) | instid1(VALU_DEP_1)
	v_dual_fmamk_f32 v85, v83, 0x32a5705f, v85 :: v_dual_sub_f32 v84, v84, v86
	v_add_f32_e32 v84, v84, v85
	v_cvt_i32_f32_e32 v85, v86
	s_delay_alu instid0(VALU_DEP_2) | instskip(SKIP_2) | instid1(VALU_DEP_1)
	v_exp_f32_e32 v84, v84
	s_waitcnt_depctr 0xfff
	v_ldexp_f32 v84, v84, v85
	v_cndmask_b32_e64 v84, 0, v84, s17
	v_cmp_nlt_f32_e64 s17, 0x42b17218, v83
	s_delay_alu instid0(VALU_DEP_1) | instskip(NEXT) | instid1(VALU_DEP_1)
	v_cndmask_b32_e64 v85, 0x7f800000, v84, s17
	v_add_f32_e32 v86, 1.0, v85
	v_cmp_gt_f32_e64 s19, 0x33800000, |v85|
	s_delay_alu instid0(VALU_DEP_2) | instskip(NEXT) | instid1(VALU_DEP_1)
	v_cvt_f64_f32_e32 v[83:84], v86
	v_frexp_exp_i32_f64_e32 v83, v[83:84]
	v_frexp_mant_f32_e32 v84, v86
	s_delay_alu instid0(VALU_DEP_1) | instskip(SKIP_1) | instid1(VALU_DEP_1)
	v_cmp_gt_f32_e64 s17, 0x3f2aaaab, v84
	v_add_f32_e32 v84, -1.0, v86
	v_dual_sub_f32 v97, v84, v86 :: v_dual_sub_f32 v84, v85, v84
	s_delay_alu instid0(VALU_DEP_1) | instskip(NEXT) | instid1(VALU_DEP_4)
	v_add_f32_e32 v97, 1.0, v97
	v_subrev_co_ci_u32_e64 v83, s17, 0, v83, s17
	s_mov_b32 s17, 0x3e9b6dac
	s_delay_alu instid0(VALU_DEP_1) | instskip(SKIP_1) | instid1(VALU_DEP_2)
	v_sub_nc_u32_e32 v87, 0, v83
	v_cvt_f32_i32_e32 v83, v83
	v_ldexp_f32 v86, v86, v87
	v_add_f32_e32 v84, v84, v97
	s_delay_alu instid0(VALU_DEP_1) | instskip(NEXT) | instid1(VALU_DEP_3)
	v_ldexp_f32 v84, v84, v87
	v_add_f32_e32 v87, -1.0, v86
	s_delay_alu instid0(VALU_DEP_1) | instskip(NEXT) | instid1(VALU_DEP_1)
	v_dual_add_f32 v98, 1.0, v86 :: v_dual_add_f32 v99, 1.0, v87
	v_add_f32_e32 v97, -1.0, v98
	s_delay_alu instid0(VALU_DEP_1) | instskip(NEXT) | instid1(VALU_DEP_1)
	v_sub_f32_e32 v97, v86, v97
	v_dual_sub_f32 v86, v86, v99 :: v_dual_add_f32 v97, v84, v97
	s_delay_alu instid0(VALU_DEP_1) | instskip(NEXT) | instid1(VALU_DEP_1)
	v_dual_add_f32 v84, v84, v86 :: v_dual_add_f32 v99, v98, v97
	v_rcp_f32_e32 v86, v99
	v_sub_f32_e32 v98, v98, v99
	s_delay_alu instid0(VALU_DEP_1) | instskip(NEXT) | instid1(VALU_DEP_1)
	v_dual_add_f32 v100, v87, v84 :: v_dual_add_f32 v97, v97, v98
	v_sub_f32_e32 v87, v87, v100
	s_waitcnt_depctr 0xfff
	v_mul_f32_e32 v101, v100, v86
	v_add_f32_e32 v84, v84, v87
	s_delay_alu instid0(VALU_DEP_2) | instskip(NEXT) | instid1(VALU_DEP_1)
	v_mul_f32_e32 v102, v99, v101
	v_fma_f32 v98, v101, v99, -v102
	s_delay_alu instid0(VALU_DEP_1) | instskip(NEXT) | instid1(VALU_DEP_1)
	v_fmac_f32_e32 v98, v101, v97
	v_add_f32_e32 v103, v102, v98
	s_delay_alu instid0(VALU_DEP_1) | instskip(NEXT) | instid1(VALU_DEP_1)
	v_sub_f32_e32 v112, v100, v103
	v_dual_sub_f32 v100, v100, v112 :: v_dual_sub_f32 v87, v103, v102
	s_delay_alu instid0(VALU_DEP_1) | instskip(NEXT) | instid1(VALU_DEP_1)
	v_dual_sub_f32 v100, v100, v103 :: v_dual_sub_f32 v87, v87, v98
	v_add_f32_e32 v84, v84, v100
	s_delay_alu instid0(VALU_DEP_1) | instskip(NEXT) | instid1(VALU_DEP_1)
	v_add_f32_e32 v84, v87, v84
	v_add_f32_e32 v87, v112, v84
	s_delay_alu instid0(VALU_DEP_1) | instskip(NEXT) | instid1(VALU_DEP_1)
	v_mul_f32_e32 v98, v86, v87
	v_dual_sub_f32 v103, v112, v87 :: v_dual_mul_f32 v100, v99, v98
	s_delay_alu instid0(VALU_DEP_1) | instskip(NEXT) | instid1(VALU_DEP_2)
	v_add_f32_e32 v84, v84, v103
	v_fma_f32 v99, v98, v99, -v100
	s_delay_alu instid0(VALU_DEP_1) | instskip(NEXT) | instid1(VALU_DEP_1)
	v_fmac_f32_e32 v99, v98, v97
	v_add_f32_e32 v97, v100, v99
	s_delay_alu instid0(VALU_DEP_1) | instskip(SKIP_1) | instid1(VALU_DEP_1)
	v_sub_f32_e32 v100, v97, v100
	v_sub_f32_e32 v102, v87, v97
	;; [unrolled: 1-line block ×3, first 2 shown]
	s_delay_alu instid0(VALU_DEP_1) | instskip(NEXT) | instid1(VALU_DEP_4)
	v_sub_f32_e32 v87, v87, v97
	v_sub_f32_e32 v97, v100, v99
	s_delay_alu instid0(VALU_DEP_2) | instskip(NEXT) | instid1(VALU_DEP_1)
	v_dual_add_f32 v84, v84, v87 :: v_dual_add_f32 v87, v101, v98
	v_dual_add_f32 v84, v97, v84 :: v_dual_sub_f32 v97, v87, v101
	s_delay_alu instid0(VALU_DEP_1) | instskip(NEXT) | instid1(VALU_DEP_2)
	v_add_f32_e32 v84, v102, v84
	v_sub_f32_e32 v97, v98, v97
	s_delay_alu instid0(VALU_DEP_2) | instskip(NEXT) | instid1(VALU_DEP_1)
	v_mul_f32_e32 v84, v86, v84
	v_add_f32_e32 v84, v97, v84
	s_delay_alu instid0(VALU_DEP_1) | instskip(NEXT) | instid1(VALU_DEP_1)
	v_add_f32_e32 v86, v87, v84
	v_mul_f32_e32 v97, v86, v86
	s_delay_alu instid0(VALU_DEP_1) | instskip(SKIP_2) | instid1(VALU_DEP_3)
	v_fmaak_f32 v98, s17, v97, 0x3ecc95a3
	v_mul_f32_e32 v99, v86, v97
	v_cmp_eq_f32_e64 s17, 0x7f800000, v85
	v_fmaak_f32 v97, v97, v98, 0x3f2aaada
	v_ldexp_f32 v98, v86, 1
	v_sub_f32_e32 v86, v86, v87
	s_delay_alu instid0(VALU_DEP_4) | instskip(NEXT) | instid1(VALU_DEP_3)
	s_or_b32 s17, s17, s19
	v_mul_f32_e32 v97, v99, v97
	s_delay_alu instid0(VALU_DEP_2) | instskip(NEXT) | instid1(VALU_DEP_2)
	v_dual_mul_f32 v99, 0x3f317218, v83 :: v_dual_sub_f32 v84, v84, v86
	v_add_f32_e32 v87, v98, v97
	s_delay_alu instid0(VALU_DEP_2) | instskip(NEXT) | instid1(VALU_DEP_2)
	v_ldexp_f32 v84, v84, 1
	v_sub_f32_e32 v86, v87, v98
	s_delay_alu instid0(VALU_DEP_4) | instskip(NEXT) | instid1(VALU_DEP_1)
	v_fma_f32 v98, 0x3f317218, v83, -v99
	v_dual_sub_f32 v86, v97, v86 :: v_dual_fmamk_f32 v83, v83, 0xb102e308, v98
	s_delay_alu instid0(VALU_DEP_1) | instskip(NEXT) | instid1(VALU_DEP_2)
	v_add_f32_e32 v84, v84, v86
	v_add_f32_e32 v86, v99, v83
	s_delay_alu instid0(VALU_DEP_1) | instskip(NEXT) | instid1(VALU_DEP_3)
	v_sub_f32_e32 v99, v86, v99
	v_add_f32_e32 v97, v87, v84
	s_delay_alu instid0(VALU_DEP_1) | instskip(SKIP_1) | instid1(VALU_DEP_1)
	v_dual_sub_f32 v83, v83, v99 :: v_dual_add_f32 v98, v86, v97
	v_sub_f32_e32 v87, v97, v87
	v_sub_f32_e32 v84, v84, v87
	s_delay_alu instid0(VALU_DEP_3) | instskip(NEXT) | instid1(VALU_DEP_1)
	v_sub_f32_e32 v100, v98, v86
	v_sub_f32_e32 v87, v97, v100
	s_delay_alu instid0(VALU_DEP_3) | instskip(SKIP_1) | instid1(VALU_DEP_1)
	v_add_f32_e32 v97, v83, v84
	v_sub_f32_e32 v101, v98, v100
	v_sub_f32_e32 v86, v86, v101
	s_delay_alu instid0(VALU_DEP_1) | instskip(NEXT) | instid1(VALU_DEP_1)
	v_dual_add_f32 v86, v87, v86 :: v_dual_sub_f32 v87, v97, v83
	v_add_f32_e32 v86, v97, v86
	s_delay_alu instid0(VALU_DEP_2) | instskip(NEXT) | instid1(VALU_DEP_1)
	v_sub_f32_e32 v97, v97, v87
	v_sub_f32_e32 v83, v83, v97
	s_delay_alu instid0(VALU_DEP_3) | instskip(NEXT) | instid1(VALU_DEP_1)
	v_dual_add_f32 v99, v98, v86 :: v_dual_sub_f32 v84, v84, v87
	v_sub_f32_e32 v87, v99, v98
	s_delay_alu instid0(VALU_DEP_2) | instskip(NEXT) | instid1(VALU_DEP_2)
	v_add_f32_e32 v83, v84, v83
	v_sub_f32_e32 v84, v86, v87
	s_delay_alu instid0(VALU_DEP_1) | instskip(NEXT) | instid1(VALU_DEP_1)
	v_add_f32_e32 v83, v83, v84
	v_add_f32_e32 v83, v99, v83
	s_delay_alu instid0(VALU_DEP_1) | instskip(NEXT) | instid1(VALU_DEP_1)
	v_cndmask_b32_e64 v83, v83, v85, s17
	v_add_f32_e32 v83, v82, v83
.LBB521_270:
	s_or_b32 exec_lo, exec_lo, s18
	s_delay_alu instid0(VALU_DEP_1) | instskip(SKIP_2) | instid1(VALU_DEP_3)
	v_bfe_u32 v82, v83, 16, 1
	v_cmp_o_f32_e64 s17, v83, v83
	v_lshlrev_b32_e32 v33, 16, v33
	v_add3_u32 v82, v83, v82, 0x7fff
	s_delay_alu instid0(VALU_DEP_1) | instskip(NEXT) | instid1(VALU_DEP_1)
	v_and_b32_e32 v82, 0xffff0000, v82
	v_cndmask_b32_e64 v84, 0x7fc00000, v82, s17
	s_delay_alu instid0(VALU_DEP_1) | instskip(SKIP_1) | instid1(VALU_DEP_2)
	v_dual_max_f32 v82, v33, v33 :: v_dual_max_f32 v83, v84, v84
	v_cmp_u_f32_e64 s17, v84, v84
	v_min_f32_e32 v85, v83, v82
	v_max_f32_e32 v83, v83, v82
	s_delay_alu instid0(VALU_DEP_2) | instskip(NEXT) | instid1(VALU_DEP_2)
	v_cndmask_b32_e64 v85, v85, v84, s17
	v_cndmask_b32_e64 v83, v83, v84, s17
	v_cmp_u_f32_e64 s17, v33, v33
	s_delay_alu instid0(VALU_DEP_1) | instskip(NEXT) | instid1(VALU_DEP_3)
	v_cndmask_b32_e64 v85, v85, v33, s17
	v_cndmask_b32_e64 v83, v83, v33, s17
	s_delay_alu instid0(VALU_DEP_2) | instskip(NEXT) | instid1(VALU_DEP_2)
	v_cmp_class_f32_e64 s19, v85, 0x1f8
	v_cmp_neq_f32_e64 s18, v85, v83
	s_delay_alu instid0(VALU_DEP_1) | instskip(NEXT) | instid1(SALU_CYCLE_1)
	s_or_b32 s18, s18, s19
	s_and_saveexec_b32 s19, s18
	s_cbranch_execz .LBB521_272
; %bb.271:
	v_sub_f32_e32 v84, v85, v83
	s_delay_alu instid0(VALU_DEP_1) | instskip(SKIP_1) | instid1(VALU_DEP_2)
	v_mul_f32_e32 v85, 0x3fb8aa3b, v84
	v_cmp_ngt_f32_e64 s18, 0xc2ce8ed0, v84
	v_fma_f32 v86, 0x3fb8aa3b, v84, -v85
	v_rndne_f32_e32 v87, v85
	s_delay_alu instid0(VALU_DEP_1) | instskip(NEXT) | instid1(VALU_DEP_1)
	v_dual_fmamk_f32 v86, v84, 0x32a5705f, v86 :: v_dual_sub_f32 v85, v85, v87
	v_add_f32_e32 v85, v85, v86
	v_cvt_i32_f32_e32 v86, v87
	s_delay_alu instid0(VALU_DEP_2) | instskip(SKIP_2) | instid1(VALU_DEP_1)
	v_exp_f32_e32 v85, v85
	s_waitcnt_depctr 0xfff
	v_ldexp_f32 v85, v85, v86
	v_cndmask_b32_e64 v85, 0, v85, s18
	v_cmp_nlt_f32_e64 s18, 0x42b17218, v84
	s_delay_alu instid0(VALU_DEP_1) | instskip(NEXT) | instid1(VALU_DEP_1)
	v_cndmask_b32_e64 v86, 0x7f800000, v85, s18
	v_add_f32_e32 v87, 1.0, v86
	v_cmp_gt_f32_e64 s20, 0x33800000, |v86|
	s_delay_alu instid0(VALU_DEP_2) | instskip(NEXT) | instid1(VALU_DEP_1)
	v_cvt_f64_f32_e32 v[84:85], v87
	v_frexp_exp_i32_f64_e32 v84, v[84:85]
	v_frexp_mant_f32_e32 v85, v87
	s_delay_alu instid0(VALU_DEP_1) | instskip(SKIP_1) | instid1(VALU_DEP_1)
	v_cmp_gt_f32_e64 s18, 0x3f2aaaab, v85
	v_add_f32_e32 v85, -1.0, v87
	v_dual_sub_f32 v98, v85, v87 :: v_dual_sub_f32 v85, v86, v85
	s_delay_alu instid0(VALU_DEP_1) | instskip(NEXT) | instid1(VALU_DEP_1)
	v_add_f32_e32 v98, 1.0, v98
	v_add_f32_e32 v85, v85, v98
	v_subrev_co_ci_u32_e64 v84, s18, 0, v84, s18
	s_mov_b32 s18, 0x3e9b6dac
	s_delay_alu instid0(VALU_DEP_1) | instskip(SKIP_1) | instid1(VALU_DEP_2)
	v_sub_nc_u32_e32 v97, 0, v84
	v_cvt_f32_i32_e32 v84, v84
	v_ldexp_f32 v87, v87, v97
	v_ldexp_f32 v85, v85, v97
	s_delay_alu instid0(VALU_DEP_2) | instskip(NEXT) | instid1(VALU_DEP_1)
	v_add_f32_e32 v97, -1.0, v87
	v_dual_add_f32 v99, 1.0, v87 :: v_dual_add_f32 v100, 1.0, v97
	s_delay_alu instid0(VALU_DEP_1) | instskip(NEXT) | instid1(VALU_DEP_1)
	v_add_f32_e32 v98, -1.0, v99
	v_sub_f32_e32 v98, v87, v98
	s_delay_alu instid0(VALU_DEP_1) | instskip(NEXT) | instid1(VALU_DEP_1)
	v_dual_sub_f32 v87, v87, v100 :: v_dual_add_f32 v98, v85, v98
	v_dual_add_f32 v85, v85, v87 :: v_dual_add_f32 v100, v99, v98
	s_delay_alu instid0(VALU_DEP_1) | instskip(NEXT) | instid1(VALU_DEP_2)
	v_add_f32_e32 v101, v97, v85
	v_rcp_f32_e32 v87, v100
	v_sub_f32_e32 v99, v99, v100
	s_delay_alu instid0(VALU_DEP_1) | instskip(SKIP_2) | instid1(VALU_DEP_1)
	v_add_f32_e32 v98, v98, v99
	s_waitcnt_depctr 0xfff
	v_mul_f32_e32 v102, v101, v87
	v_mul_f32_e32 v103, v100, v102
	s_delay_alu instid0(VALU_DEP_1) | instskip(NEXT) | instid1(VALU_DEP_1)
	v_fma_f32 v99, v102, v100, -v103
	v_fmac_f32_e32 v99, v102, v98
	s_delay_alu instid0(VALU_DEP_1) | instskip(NEXT) | instid1(VALU_DEP_1)
	v_dual_add_f32 v112, v103, v99 :: v_dual_sub_f32 v97, v97, v101
	v_sub_f32_e32 v113, v101, v112
	s_delay_alu instid0(VALU_DEP_2) | instskip(SKIP_1) | instid1(VALU_DEP_3)
	v_add_f32_e32 v85, v85, v97
	v_sub_f32_e32 v97, v112, v103
	v_sub_f32_e32 v101, v101, v113
	s_delay_alu instid0(VALU_DEP_2) | instskip(NEXT) | instid1(VALU_DEP_2)
	v_sub_f32_e32 v97, v97, v99
	v_sub_f32_e32 v101, v101, v112
	s_delay_alu instid0(VALU_DEP_1) | instskip(NEXT) | instid1(VALU_DEP_1)
	v_add_f32_e32 v85, v85, v101
	v_add_f32_e32 v85, v97, v85
	s_delay_alu instid0(VALU_DEP_1) | instskip(NEXT) | instid1(VALU_DEP_1)
	v_add_f32_e32 v97, v113, v85
	v_mul_f32_e32 v99, v87, v97
	s_delay_alu instid0(VALU_DEP_1) | instskip(NEXT) | instid1(VALU_DEP_1)
	v_mul_f32_e32 v101, v100, v99
	v_fma_f32 v100, v99, v100, -v101
	s_delay_alu instid0(VALU_DEP_1) | instskip(SKIP_1) | instid1(VALU_DEP_2)
	v_fmac_f32_e32 v100, v99, v98
	v_sub_f32_e32 v112, v113, v97
	v_add_f32_e32 v98, v101, v100
	s_delay_alu instid0(VALU_DEP_2) | instskip(NEXT) | instid1(VALU_DEP_2)
	v_add_f32_e32 v85, v85, v112
	v_sub_f32_e32 v103, v97, v98
	v_sub_f32_e32 v101, v98, v101
	s_delay_alu instid0(VALU_DEP_2) | instskip(NEXT) | instid1(VALU_DEP_1)
	v_sub_f32_e32 v97, v97, v103
	v_sub_f32_e32 v97, v97, v98
	s_delay_alu instid0(VALU_DEP_3) | instskip(NEXT) | instid1(VALU_DEP_2)
	v_sub_f32_e32 v98, v101, v100
	v_add_f32_e32 v85, v85, v97
	v_add_f32_e32 v97, v102, v99
	s_delay_alu instid0(VALU_DEP_1) | instskip(NEXT) | instid1(VALU_DEP_1)
	v_dual_add_f32 v85, v98, v85 :: v_dual_sub_f32 v98, v97, v102
	v_add_f32_e32 v85, v103, v85
	s_delay_alu instid0(VALU_DEP_2) | instskip(NEXT) | instid1(VALU_DEP_2)
	v_sub_f32_e32 v98, v99, v98
	v_mul_f32_e32 v85, v87, v85
	s_delay_alu instid0(VALU_DEP_1) | instskip(NEXT) | instid1(VALU_DEP_1)
	v_add_f32_e32 v85, v98, v85
	v_add_f32_e32 v87, v97, v85
	s_delay_alu instid0(VALU_DEP_1) | instskip(NEXT) | instid1(VALU_DEP_1)
	v_mul_f32_e32 v98, v87, v87
	v_fmaak_f32 v99, s18, v98, 0x3ecc95a3
	v_mul_f32_e32 v100, v87, v98
	v_cmp_eq_f32_e64 s18, 0x7f800000, v86
	s_delay_alu instid0(VALU_DEP_3) | instskip(SKIP_2) | instid1(VALU_DEP_4)
	v_fmaak_f32 v98, v98, v99, 0x3f2aaada
	v_ldexp_f32 v99, v87, 1
	v_sub_f32_e32 v87, v87, v97
	s_or_b32 s18, s18, s20
	s_delay_alu instid0(VALU_DEP_3) | instskip(NEXT) | instid1(VALU_DEP_2)
	v_mul_f32_e32 v98, v100, v98
	v_dual_mul_f32 v100, 0x3f317218, v84 :: v_dual_sub_f32 v85, v85, v87
	s_delay_alu instid0(VALU_DEP_2) | instskip(NEXT) | instid1(VALU_DEP_2)
	v_add_f32_e32 v97, v99, v98
	v_ldexp_f32 v85, v85, 1
	s_delay_alu instid0(VALU_DEP_2) | instskip(NEXT) | instid1(VALU_DEP_4)
	v_sub_f32_e32 v87, v97, v99
	v_fma_f32 v99, 0x3f317218, v84, -v100
	s_delay_alu instid0(VALU_DEP_1) | instskip(NEXT) | instid1(VALU_DEP_1)
	v_dual_sub_f32 v87, v98, v87 :: v_dual_fmamk_f32 v84, v84, 0xb102e308, v99
	v_add_f32_e32 v85, v85, v87
	s_delay_alu instid0(VALU_DEP_1) | instskip(NEXT) | instid1(VALU_DEP_1)
	v_dual_add_f32 v87, v100, v84 :: v_dual_add_f32 v98, v97, v85
	v_sub_f32_e32 v100, v87, v100
	s_delay_alu instid0(VALU_DEP_2) | instskip(NEXT) | instid1(VALU_DEP_2)
	v_add_f32_e32 v99, v87, v98
	v_dual_sub_f32 v97, v98, v97 :: v_dual_sub_f32 v84, v84, v100
	s_delay_alu instid0(VALU_DEP_2) | instskip(NEXT) | instid1(VALU_DEP_2)
	v_sub_f32_e32 v101, v99, v87
	v_sub_f32_e32 v85, v85, v97
	s_delay_alu instid0(VALU_DEP_2) | instskip(SKIP_1) | instid1(VALU_DEP_2)
	v_sub_f32_e32 v102, v99, v101
	v_sub_f32_e32 v97, v98, v101
	v_dual_add_f32 v98, v84, v85 :: v_dual_sub_f32 v87, v87, v102
	s_delay_alu instid0(VALU_DEP_1) | instskip(NEXT) | instid1(VALU_DEP_2)
	v_add_f32_e32 v87, v97, v87
	v_sub_f32_e32 v97, v98, v84
	s_delay_alu instid0(VALU_DEP_2) | instskip(NEXT) | instid1(VALU_DEP_2)
	v_add_f32_e32 v87, v98, v87
	v_sub_f32_e32 v98, v98, v97
	s_delay_alu instid0(VALU_DEP_2) | instskip(NEXT) | instid1(VALU_DEP_2)
	v_dual_sub_f32 v85, v85, v97 :: v_dual_add_f32 v100, v99, v87
	v_sub_f32_e32 v84, v84, v98
	s_delay_alu instid0(VALU_DEP_1) | instskip(NEXT) | instid1(VALU_DEP_1)
	v_dual_sub_f32 v97, v100, v99 :: v_dual_add_f32 v84, v85, v84
	v_sub_f32_e32 v85, v87, v97
	s_delay_alu instid0(VALU_DEP_1) | instskip(NEXT) | instid1(VALU_DEP_1)
	v_add_f32_e32 v84, v84, v85
	v_add_f32_e32 v84, v100, v84
	s_delay_alu instid0(VALU_DEP_1) | instskip(NEXT) | instid1(VALU_DEP_1)
	v_cndmask_b32_e64 v84, v84, v86, s18
	v_add_f32_e32 v84, v83, v84
.LBB521_272:
	s_or_b32 exec_lo, exec_lo, s19
	s_delay_alu instid0(VALU_DEP_1) | instskip(SKIP_2) | instid1(VALU_DEP_3)
	v_bfe_u32 v83, v84, 16, 1
	v_cmp_o_f32_e64 s18, v84, v84
	v_lshlrev_b32_e32 v32, 16, v32
	v_add3_u32 v83, v84, v83, 0x7fff
	s_delay_alu instid0(VALU_DEP_1) | instskip(NEXT) | instid1(VALU_DEP_1)
	v_and_b32_e32 v83, 0xffff0000, v83
	v_cndmask_b32_e64 v85, 0x7fc00000, v83, s18
	s_delay_alu instid0(VALU_DEP_1) | instskip(SKIP_1) | instid1(VALU_DEP_2)
	v_dual_max_f32 v83, v32, v32 :: v_dual_max_f32 v84, v85, v85
	v_cmp_u_f32_e64 s18, v85, v85
	v_min_f32_e32 v86, v84, v83
	v_max_f32_e32 v84, v84, v83
	s_delay_alu instid0(VALU_DEP_2) | instskip(NEXT) | instid1(VALU_DEP_2)
	v_cndmask_b32_e64 v86, v86, v85, s18
	v_cndmask_b32_e64 v84, v84, v85, s18
	v_cmp_u_f32_e64 s18, v32, v32
	s_delay_alu instid0(VALU_DEP_1) | instskip(NEXT) | instid1(VALU_DEP_3)
	v_cndmask_b32_e64 v86, v86, v32, s18
	v_cndmask_b32_e64 v84, v84, v32, s18
	s_delay_alu instid0(VALU_DEP_2) | instskip(NEXT) | instid1(VALU_DEP_2)
	v_cmp_class_f32_e64 s20, v86, 0x1f8
	v_cmp_neq_f32_e64 s19, v86, v84
	s_delay_alu instid0(VALU_DEP_1) | instskip(NEXT) | instid1(SALU_CYCLE_1)
	s_or_b32 s19, s19, s20
	s_and_saveexec_b32 s20, s19
	s_cbranch_execz .LBB521_274
; %bb.273:
	v_sub_f32_e32 v85, v86, v84
	s_delay_alu instid0(VALU_DEP_1) | instskip(SKIP_1) | instid1(VALU_DEP_2)
	v_mul_f32_e32 v86, 0x3fb8aa3b, v85
	v_cmp_ngt_f32_e64 s19, 0xc2ce8ed0, v85
	v_fma_f32 v87, 0x3fb8aa3b, v85, -v86
	v_rndne_f32_e32 v97, v86
	s_delay_alu instid0(VALU_DEP_1) | instskip(NEXT) | instid1(VALU_DEP_1)
	v_dual_fmamk_f32 v87, v85, 0x32a5705f, v87 :: v_dual_sub_f32 v86, v86, v97
	v_add_f32_e32 v86, v86, v87
	v_cvt_i32_f32_e32 v87, v97
	s_delay_alu instid0(VALU_DEP_2) | instskip(SKIP_2) | instid1(VALU_DEP_1)
	v_exp_f32_e32 v86, v86
	s_waitcnt_depctr 0xfff
	v_ldexp_f32 v86, v86, v87
	v_cndmask_b32_e64 v86, 0, v86, s19
	v_cmp_nlt_f32_e64 s19, 0x42b17218, v85
	s_delay_alu instid0(VALU_DEP_1) | instskip(NEXT) | instid1(VALU_DEP_1)
	v_cndmask_b32_e64 v87, 0x7f800000, v86, s19
	v_add_f32_e32 v97, 1.0, v87
	v_cmp_gt_f32_e64 s21, 0x33800000, |v87|
	s_delay_alu instid0(VALU_DEP_2) | instskip(NEXT) | instid1(VALU_DEP_1)
	v_cvt_f64_f32_e32 v[85:86], v97
	v_frexp_exp_i32_f64_e32 v85, v[85:86]
	v_frexp_mant_f32_e32 v86, v97
	s_delay_alu instid0(VALU_DEP_1) | instskip(SKIP_1) | instid1(VALU_DEP_1)
	v_cmp_gt_f32_e64 s19, 0x3f2aaaab, v86
	v_add_f32_e32 v86, -1.0, v97
	v_dual_sub_f32 v99, v86, v97 :: v_dual_sub_f32 v86, v87, v86
	s_delay_alu instid0(VALU_DEP_3) | instskip(SKIP_1) | instid1(VALU_DEP_1)
	v_subrev_co_ci_u32_e64 v85, s19, 0, v85, s19
	s_mov_b32 s19, 0x3e9b6dac
	v_sub_nc_u32_e32 v98, 0, v85
	v_cvt_f32_i32_e32 v85, v85
	s_delay_alu instid0(VALU_DEP_2) | instskip(NEXT) | instid1(VALU_DEP_1)
	v_ldexp_f32 v97, v97, v98
	v_dual_add_f32 v99, 1.0, v99 :: v_dual_add_f32 v100, 1.0, v97
	s_delay_alu instid0(VALU_DEP_1) | instskip(NEXT) | instid1(VALU_DEP_1)
	v_dual_add_f32 v86, v86, v99 :: v_dual_add_f32 v99, -1.0, v100
	v_ldexp_f32 v86, v86, v98
	s_delay_alu instid0(VALU_DEP_2) | instskip(NEXT) | instid1(VALU_DEP_1)
	v_dual_add_f32 v98, -1.0, v97 :: v_dual_sub_f32 v99, v97, v99
	v_add_f32_e32 v101, 1.0, v98
	s_delay_alu instid0(VALU_DEP_2) | instskip(NEXT) | instid1(VALU_DEP_2)
	v_add_f32_e32 v99, v86, v99
	v_sub_f32_e32 v97, v97, v101
	s_delay_alu instid0(VALU_DEP_1) | instskip(NEXT) | instid1(VALU_DEP_1)
	v_dual_add_f32 v101, v100, v99 :: v_dual_add_f32 v86, v86, v97
	v_rcp_f32_e32 v97, v101
	v_sub_f32_e32 v100, v100, v101
	s_delay_alu instid0(VALU_DEP_1) | instskip(NEXT) | instid1(VALU_DEP_1)
	v_dual_add_f32 v102, v98, v86 :: v_dual_add_f32 v99, v99, v100
	v_sub_f32_e32 v98, v98, v102
	s_waitcnt_depctr 0xfff
	v_mul_f32_e32 v103, v102, v97
	v_add_f32_e32 v86, v86, v98
	s_delay_alu instid0(VALU_DEP_2) | instskip(NEXT) | instid1(VALU_DEP_1)
	v_mul_f32_e32 v112, v101, v103
	v_fma_f32 v100, v103, v101, -v112
	s_delay_alu instid0(VALU_DEP_1) | instskip(NEXT) | instid1(VALU_DEP_1)
	v_fmac_f32_e32 v100, v103, v99
	v_add_f32_e32 v113, v112, v100
	s_delay_alu instid0(VALU_DEP_1) | instskip(SKIP_1) | instid1(VALU_DEP_2)
	v_sub_f32_e32 v114, v102, v113
	v_sub_f32_e32 v98, v113, v112
	;; [unrolled: 1-line block ×3, first 2 shown]
	s_delay_alu instid0(VALU_DEP_2) | instskip(NEXT) | instid1(VALU_DEP_2)
	v_sub_f32_e32 v98, v98, v100
	v_sub_f32_e32 v102, v102, v113
	s_delay_alu instid0(VALU_DEP_1) | instskip(NEXT) | instid1(VALU_DEP_1)
	v_add_f32_e32 v86, v86, v102
	v_add_f32_e32 v86, v98, v86
	s_delay_alu instid0(VALU_DEP_1) | instskip(NEXT) | instid1(VALU_DEP_1)
	v_add_f32_e32 v98, v114, v86
	v_mul_f32_e32 v100, v97, v98
	s_delay_alu instid0(VALU_DEP_1) | instskip(NEXT) | instid1(VALU_DEP_1)
	v_mul_f32_e32 v102, v101, v100
	v_fma_f32 v101, v100, v101, -v102
	s_delay_alu instid0(VALU_DEP_1) | instskip(SKIP_1) | instid1(VALU_DEP_2)
	v_fmac_f32_e32 v101, v100, v99
	v_sub_f32_e32 v113, v114, v98
	v_add_f32_e32 v99, v102, v101
	s_delay_alu instid0(VALU_DEP_2) | instskip(NEXT) | instid1(VALU_DEP_2)
	v_add_f32_e32 v86, v86, v113
	v_sub_f32_e32 v112, v98, v99
	v_sub_f32_e32 v102, v99, v102
	s_delay_alu instid0(VALU_DEP_2) | instskip(NEXT) | instid1(VALU_DEP_1)
	v_sub_f32_e32 v98, v98, v112
	v_sub_f32_e32 v98, v98, v99
	s_delay_alu instid0(VALU_DEP_3) | instskip(NEXT) | instid1(VALU_DEP_2)
	v_sub_f32_e32 v99, v102, v101
	v_add_f32_e32 v86, v86, v98
	v_add_f32_e32 v98, v103, v100
	s_delay_alu instid0(VALU_DEP_1) | instskip(NEXT) | instid1(VALU_DEP_1)
	v_dual_add_f32 v86, v99, v86 :: v_dual_sub_f32 v99, v98, v103
	v_add_f32_e32 v86, v112, v86
	s_delay_alu instid0(VALU_DEP_1) | instskip(NEXT) | instid1(VALU_DEP_1)
	v_dual_sub_f32 v99, v100, v99 :: v_dual_mul_f32 v86, v97, v86
	v_add_f32_e32 v86, v99, v86
	s_delay_alu instid0(VALU_DEP_1) | instskip(NEXT) | instid1(VALU_DEP_1)
	v_add_f32_e32 v97, v98, v86
	v_mul_f32_e32 v99, v97, v97
	s_delay_alu instid0(VALU_DEP_1) | instskip(SKIP_2) | instid1(VALU_DEP_3)
	v_fmaak_f32 v100, s19, v99, 0x3ecc95a3
	v_mul_f32_e32 v101, v97, v99
	v_cmp_eq_f32_e64 s19, 0x7f800000, v87
	v_fmaak_f32 v99, v99, v100, 0x3f2aaada
	v_ldexp_f32 v100, v97, 1
	v_sub_f32_e32 v97, v97, v98
	s_delay_alu instid0(VALU_DEP_4) | instskip(NEXT) | instid1(VALU_DEP_3)
	s_or_b32 s19, s19, s21
	v_mul_f32_e32 v99, v101, v99
	v_mul_f32_e32 v101, 0x3f317218, v85
	s_delay_alu instid0(VALU_DEP_3) | instskip(NEXT) | instid1(VALU_DEP_3)
	v_sub_f32_e32 v86, v86, v97
	v_add_f32_e32 v98, v100, v99
	s_delay_alu instid0(VALU_DEP_2) | instskip(NEXT) | instid1(VALU_DEP_2)
	v_ldexp_f32 v86, v86, 1
	v_sub_f32_e32 v97, v98, v100
	v_fma_f32 v100, 0x3f317218, v85, -v101
	s_delay_alu instid0(VALU_DEP_2) | instskip(NEXT) | instid1(VALU_DEP_1)
	v_sub_f32_e32 v97, v99, v97
	v_dual_fmamk_f32 v85, v85, 0xb102e308, v100 :: v_dual_add_f32 v86, v86, v97
	s_delay_alu instid0(VALU_DEP_1) | instskip(NEXT) | instid1(VALU_DEP_2)
	v_add_f32_e32 v97, v101, v85
	v_add_f32_e32 v99, v98, v86
	s_delay_alu instid0(VALU_DEP_2) | instskip(NEXT) | instid1(VALU_DEP_2)
	v_sub_f32_e32 v101, v97, v101
	v_add_f32_e32 v100, v97, v99
	s_delay_alu instid0(VALU_DEP_2) | instskip(NEXT) | instid1(VALU_DEP_2)
	v_sub_f32_e32 v85, v85, v101
	v_sub_f32_e32 v102, v100, v97
	;; [unrolled: 1-line block ×3, first 2 shown]
	s_delay_alu instid0(VALU_DEP_2) | instskip(NEXT) | instid1(VALU_DEP_2)
	v_sub_f32_e32 v103, v100, v102
	v_sub_f32_e32 v86, v86, v98
	s_delay_alu instid0(VALU_DEP_2) | instskip(NEXT) | instid1(VALU_DEP_2)
	v_dual_sub_f32 v98, v99, v102 :: v_dual_sub_f32 v97, v97, v103
	v_add_f32_e32 v99, v85, v86
	s_delay_alu instid0(VALU_DEP_2) | instskip(NEXT) | instid1(VALU_DEP_2)
	v_add_f32_e32 v97, v98, v97
	v_sub_f32_e32 v98, v99, v85
	s_delay_alu instid0(VALU_DEP_2) | instskip(NEXT) | instid1(VALU_DEP_2)
	v_add_f32_e32 v97, v99, v97
	v_sub_f32_e32 v99, v99, v98
	s_delay_alu instid0(VALU_DEP_2) | instskip(NEXT) | instid1(VALU_DEP_2)
	v_dual_sub_f32 v86, v86, v98 :: v_dual_add_f32 v101, v100, v97
	v_sub_f32_e32 v85, v85, v99
	s_delay_alu instid0(VALU_DEP_1) | instskip(NEXT) | instid1(VALU_DEP_1)
	v_dual_sub_f32 v98, v101, v100 :: v_dual_add_f32 v85, v86, v85
	v_sub_f32_e32 v86, v97, v98
	s_delay_alu instid0(VALU_DEP_1) | instskip(NEXT) | instid1(VALU_DEP_1)
	v_add_f32_e32 v85, v85, v86
	v_add_f32_e32 v85, v101, v85
	s_delay_alu instid0(VALU_DEP_1) | instskip(NEXT) | instid1(VALU_DEP_1)
	v_cndmask_b32_e64 v85, v85, v87, s19
	v_add_f32_e32 v85, v84, v85
.LBB521_274:
	s_or_b32 exec_lo, exec_lo, s20
	s_delay_alu instid0(VALU_DEP_1) | instskip(SKIP_2) | instid1(VALU_DEP_3)
	v_bfe_u32 v84, v85, 16, 1
	v_cmp_o_f32_e64 s19, v85, v85
	v_lshlrev_b32_e32 v31, 16, v31
	v_add3_u32 v84, v85, v84, 0x7fff
	s_delay_alu instid0(VALU_DEP_1) | instskip(NEXT) | instid1(VALU_DEP_1)
	v_and_b32_e32 v84, 0xffff0000, v84
	v_cndmask_b32_e64 v86, 0x7fc00000, v84, s19
	s_delay_alu instid0(VALU_DEP_1) | instskip(SKIP_1) | instid1(VALU_DEP_2)
	v_dual_max_f32 v84, v31, v31 :: v_dual_max_f32 v85, v86, v86
	v_cmp_u_f32_e64 s19, v86, v86
	v_min_f32_e32 v87, v85, v84
	v_max_f32_e32 v85, v85, v84
	s_delay_alu instid0(VALU_DEP_2) | instskip(NEXT) | instid1(VALU_DEP_2)
	v_cndmask_b32_e64 v87, v87, v86, s19
	v_cndmask_b32_e64 v85, v85, v86, s19
	v_cmp_u_f32_e64 s19, v31, v31
	s_delay_alu instid0(VALU_DEP_1) | instskip(NEXT) | instid1(VALU_DEP_3)
	v_cndmask_b32_e64 v87, v87, v31, s19
	v_cndmask_b32_e64 v85, v85, v31, s19
	s_delay_alu instid0(VALU_DEP_2) | instskip(NEXT) | instid1(VALU_DEP_2)
	v_cmp_class_f32_e64 s21, v87, 0x1f8
	v_cmp_neq_f32_e64 s20, v87, v85
	s_delay_alu instid0(VALU_DEP_1) | instskip(NEXT) | instid1(SALU_CYCLE_1)
	s_or_b32 s20, s20, s21
	s_and_saveexec_b32 s21, s20
	s_cbranch_execz .LBB521_276
; %bb.275:
	v_sub_f32_e32 v86, v87, v85
	s_delay_alu instid0(VALU_DEP_1) | instskip(SKIP_1) | instid1(VALU_DEP_2)
	v_mul_f32_e32 v87, 0x3fb8aa3b, v86
	v_cmp_ngt_f32_e64 s20, 0xc2ce8ed0, v86
	v_fma_f32 v97, 0x3fb8aa3b, v86, -v87
	v_rndne_f32_e32 v98, v87
	s_delay_alu instid0(VALU_DEP_2) | instskip(NEXT) | instid1(VALU_DEP_2)
	v_fmamk_f32 v97, v86, 0x32a5705f, v97
	v_sub_f32_e32 v87, v87, v98
	s_delay_alu instid0(VALU_DEP_1) | instskip(SKIP_1) | instid1(VALU_DEP_2)
	v_add_f32_e32 v87, v87, v97
	v_cvt_i32_f32_e32 v97, v98
	v_exp_f32_e32 v87, v87
	s_waitcnt_depctr 0xfff
	v_ldexp_f32 v87, v87, v97
	s_delay_alu instid0(VALU_DEP_1) | instskip(SKIP_1) | instid1(VALU_DEP_1)
	v_cndmask_b32_e64 v87, 0, v87, s20
	v_cmp_nlt_f32_e64 s20, 0x42b17218, v86
	v_cndmask_b32_e64 v97, 0x7f800000, v87, s20
	s_delay_alu instid0(VALU_DEP_1) | instskip(SKIP_1) | instid1(VALU_DEP_2)
	v_add_f32_e32 v98, 1.0, v97
	v_cmp_gt_f32_e64 s22, 0x33800000, |v97|
	v_cvt_f64_f32_e32 v[86:87], v98
	s_delay_alu instid0(VALU_DEP_1) | instskip(SKIP_1) | instid1(VALU_DEP_1)
	v_frexp_exp_i32_f64_e32 v86, v[86:87]
	v_frexp_mant_f32_e32 v87, v98
	v_cmp_gt_f32_e64 s20, 0x3f2aaaab, v87
	v_add_f32_e32 v87, -1.0, v98
	s_delay_alu instid0(VALU_DEP_1) | instskip(NEXT) | instid1(VALU_DEP_1)
	v_sub_f32_e32 v100, v87, v98
	v_add_f32_e32 v100, 1.0, v100
	s_delay_alu instid0(VALU_DEP_4) | instskip(SKIP_1) | instid1(VALU_DEP_1)
	v_subrev_co_ci_u32_e64 v86, s20, 0, v86, s20
	s_mov_b32 s20, 0x3e9b6dac
	v_sub_nc_u32_e32 v99, 0, v86
	v_cvt_f32_i32_e32 v86, v86
	s_delay_alu instid0(VALU_DEP_2) | instskip(NEXT) | instid1(VALU_DEP_1)
	v_ldexp_f32 v98, v98, v99
	v_add_f32_e32 v101, 1.0, v98
	v_sub_f32_e32 v87, v97, v87
	s_delay_alu instid0(VALU_DEP_1) | instskip(NEXT) | instid1(VALU_DEP_1)
	v_add_f32_e32 v87, v87, v100
	v_ldexp_f32 v87, v87, v99
	v_add_f32_e32 v99, -1.0, v98
	s_delay_alu instid0(VALU_DEP_1) | instskip(SKIP_1) | instid1(VALU_DEP_1)
	v_add_f32_e32 v102, 1.0, v99
	v_add_f32_e32 v100, -1.0, v101
	v_sub_f32_e32 v100, v98, v100
	s_delay_alu instid0(VALU_DEP_3) | instskip(NEXT) | instid1(VALU_DEP_2)
	v_sub_f32_e32 v98, v98, v102
	v_add_f32_e32 v100, v87, v100
	s_delay_alu instid0(VALU_DEP_1) | instskip(NEXT) | instid1(VALU_DEP_1)
	v_dual_add_f32 v87, v87, v98 :: v_dual_add_f32 v102, v101, v100
	v_rcp_f32_e32 v98, v102
	v_sub_f32_e32 v101, v101, v102
	s_delay_alu instid0(VALU_DEP_1) | instskip(NEXT) | instid1(VALU_DEP_1)
	v_dual_add_f32 v103, v99, v87 :: v_dual_add_f32 v100, v100, v101
	v_sub_f32_e32 v99, v99, v103
	s_waitcnt_depctr 0xfff
	v_mul_f32_e32 v112, v103, v98
	v_add_f32_e32 v87, v87, v99
	s_delay_alu instid0(VALU_DEP_2) | instskip(NEXT) | instid1(VALU_DEP_1)
	v_mul_f32_e32 v113, v102, v112
	v_fma_f32 v101, v112, v102, -v113
	s_delay_alu instid0(VALU_DEP_1) | instskip(NEXT) | instid1(VALU_DEP_1)
	v_fmac_f32_e32 v101, v112, v100
	v_add_f32_e32 v114, v113, v101
	s_delay_alu instid0(VALU_DEP_1) | instskip(SKIP_1) | instid1(VALU_DEP_2)
	v_sub_f32_e32 v115, v103, v114
	v_sub_f32_e32 v99, v114, v113
	;; [unrolled: 1-line block ×3, first 2 shown]
	s_delay_alu instid0(VALU_DEP_2) | instskip(NEXT) | instid1(VALU_DEP_2)
	v_sub_f32_e32 v99, v99, v101
	v_sub_f32_e32 v103, v103, v114
	s_delay_alu instid0(VALU_DEP_1) | instskip(NEXT) | instid1(VALU_DEP_1)
	v_add_f32_e32 v87, v87, v103
	v_add_f32_e32 v87, v99, v87
	s_delay_alu instid0(VALU_DEP_1) | instskip(NEXT) | instid1(VALU_DEP_1)
	v_add_f32_e32 v99, v115, v87
	v_mul_f32_e32 v101, v98, v99
	s_delay_alu instid0(VALU_DEP_1) | instskip(NEXT) | instid1(VALU_DEP_1)
	v_mul_f32_e32 v103, v102, v101
	v_fma_f32 v102, v101, v102, -v103
	s_delay_alu instid0(VALU_DEP_1) | instskip(SKIP_1) | instid1(VALU_DEP_2)
	v_fmac_f32_e32 v102, v101, v100
	v_sub_f32_e32 v114, v115, v99
	v_add_f32_e32 v100, v103, v102
	s_delay_alu instid0(VALU_DEP_2) | instskip(NEXT) | instid1(VALU_DEP_2)
	v_add_f32_e32 v87, v87, v114
	v_sub_f32_e32 v113, v99, v100
	v_sub_f32_e32 v103, v100, v103
	s_delay_alu instid0(VALU_DEP_2) | instskip(NEXT) | instid1(VALU_DEP_1)
	v_sub_f32_e32 v99, v99, v113
	v_sub_f32_e32 v99, v99, v100
	s_delay_alu instid0(VALU_DEP_3) | instskip(NEXT) | instid1(VALU_DEP_2)
	v_sub_f32_e32 v100, v103, v102
	v_add_f32_e32 v87, v87, v99
	v_add_f32_e32 v99, v112, v101
	s_delay_alu instid0(VALU_DEP_1) | instskip(NEXT) | instid1(VALU_DEP_1)
	v_dual_add_f32 v87, v100, v87 :: v_dual_sub_f32 v100, v99, v112
	v_add_f32_e32 v87, v113, v87
	s_delay_alu instid0(VALU_DEP_1) | instskip(NEXT) | instid1(VALU_DEP_1)
	v_dual_sub_f32 v100, v101, v100 :: v_dual_mul_f32 v87, v98, v87
	v_add_f32_e32 v87, v100, v87
	s_delay_alu instid0(VALU_DEP_1) | instskip(NEXT) | instid1(VALU_DEP_1)
	v_add_f32_e32 v98, v99, v87
	v_mul_f32_e32 v100, v98, v98
	s_delay_alu instid0(VALU_DEP_1) | instskip(SKIP_2) | instid1(VALU_DEP_3)
	v_fmaak_f32 v101, s20, v100, 0x3ecc95a3
	v_mul_f32_e32 v102, v98, v100
	v_cmp_eq_f32_e64 s20, 0x7f800000, v97
	v_fmaak_f32 v100, v100, v101, 0x3f2aaada
	v_ldexp_f32 v101, v98, 1
	v_sub_f32_e32 v98, v98, v99
	s_delay_alu instid0(VALU_DEP_4) | instskip(NEXT) | instid1(VALU_DEP_3)
	s_or_b32 s20, s20, s22
	v_mul_f32_e32 v100, v102, v100
	v_mul_f32_e32 v102, 0x3f317218, v86
	s_delay_alu instid0(VALU_DEP_3) | instskip(NEXT) | instid1(VALU_DEP_3)
	v_sub_f32_e32 v87, v87, v98
	v_add_f32_e32 v99, v101, v100
	s_delay_alu instid0(VALU_DEP_2) | instskip(NEXT) | instid1(VALU_DEP_2)
	v_ldexp_f32 v87, v87, 1
	v_sub_f32_e32 v98, v99, v101
	v_fma_f32 v101, 0x3f317218, v86, -v102
	s_delay_alu instid0(VALU_DEP_2) | instskip(NEXT) | instid1(VALU_DEP_1)
	v_sub_f32_e32 v98, v100, v98
	v_dual_fmamk_f32 v86, v86, 0xb102e308, v101 :: v_dual_add_f32 v87, v87, v98
	s_delay_alu instid0(VALU_DEP_1) | instskip(NEXT) | instid1(VALU_DEP_2)
	v_add_f32_e32 v98, v102, v86
	v_add_f32_e32 v100, v99, v87
	s_delay_alu instid0(VALU_DEP_2) | instskip(NEXT) | instid1(VALU_DEP_2)
	v_sub_f32_e32 v102, v98, v102
	v_add_f32_e32 v101, v98, v100
	s_delay_alu instid0(VALU_DEP_2) | instskip(NEXT) | instid1(VALU_DEP_2)
	v_dual_sub_f32 v99, v100, v99 :: v_dual_sub_f32 v86, v86, v102
	v_sub_f32_e32 v103, v101, v98
	s_delay_alu instid0(VALU_DEP_2) | instskip(NEXT) | instid1(VALU_DEP_2)
	v_sub_f32_e32 v87, v87, v99
	v_sub_f32_e32 v112, v101, v103
	;; [unrolled: 1-line block ×3, first 2 shown]
	s_delay_alu instid0(VALU_DEP_3) | instskip(NEXT) | instid1(VALU_DEP_3)
	v_add_f32_e32 v100, v86, v87
	v_sub_f32_e32 v98, v98, v112
	s_delay_alu instid0(VALU_DEP_1) | instskip(NEXT) | instid1(VALU_DEP_3)
	v_add_f32_e32 v98, v99, v98
	v_sub_f32_e32 v99, v100, v86
	s_delay_alu instid0(VALU_DEP_2) | instskip(NEXT) | instid1(VALU_DEP_2)
	v_add_f32_e32 v98, v100, v98
	v_sub_f32_e32 v100, v100, v99
	s_delay_alu instid0(VALU_DEP_1) | instskip(NEXT) | instid1(VALU_DEP_1)
	v_dual_sub_f32 v87, v87, v99 :: v_dual_sub_f32 v86, v86, v100
	v_add_f32_e32 v86, v87, v86
	s_delay_alu instid0(VALU_DEP_4) | instskip(NEXT) | instid1(VALU_DEP_1)
	v_add_f32_e32 v102, v101, v98
	v_sub_f32_e32 v99, v102, v101
	s_delay_alu instid0(VALU_DEP_1) | instskip(NEXT) | instid1(VALU_DEP_1)
	v_sub_f32_e32 v87, v98, v99
	v_add_f32_e32 v86, v86, v87
	s_delay_alu instid0(VALU_DEP_1) | instskip(NEXT) | instid1(VALU_DEP_1)
	v_add_f32_e32 v86, v102, v86
	v_cndmask_b32_e64 v86, v86, v97, s20
	s_delay_alu instid0(VALU_DEP_1)
	v_add_f32_e32 v86, v85, v86
.LBB521_276:
	s_or_b32 exec_lo, exec_lo, s21
	s_delay_alu instid0(VALU_DEP_1) | instskip(SKIP_1) | instid1(VALU_DEP_2)
	v_bfe_u32 v85, v86, 16, 1
	v_cmp_o_f32_e64 s20, v86, v86
	v_add3_u32 v85, v86, v85, 0x7fff
	s_delay_alu instid0(VALU_DEP_1) | instskip(NEXT) | instid1(VALU_DEP_1)
	v_and_b32_e32 v85, 0xffff0000, v85
	v_cndmask_b32_e64 v87, 0x7fc00000, v85, s20
	s_delay_alu instid0(VALU_DEP_1) | instskip(SKIP_2) | instid1(VALU_DEP_2)
	v_max_f32_e32 v86, v87, v87
	v_lshlrev_b32_e32 v30, 16, v30
	v_cmp_u_f32_e64 s20, v87, v87
	v_max_f32_e32 v85, v30, v30
	s_delay_alu instid0(VALU_DEP_1) | instskip(SKIP_1) | instid1(VALU_DEP_2)
	v_min_f32_e32 v97, v86, v85
	v_max_f32_e32 v86, v86, v85
	v_cndmask_b32_e64 v97, v97, v87, s20
	s_delay_alu instid0(VALU_DEP_2) | instskip(SKIP_1) | instid1(VALU_DEP_1)
	v_cndmask_b32_e64 v86, v86, v87, s20
	v_cmp_u_f32_e64 s20, v30, v30
	v_cndmask_b32_e64 v97, v97, v30, s20
	s_delay_alu instid0(VALU_DEP_3) | instskip(NEXT) | instid1(VALU_DEP_2)
	v_cndmask_b32_e64 v86, v86, v30, s20
	v_cmp_class_f32_e64 s22, v97, 0x1f8
	s_delay_alu instid0(VALU_DEP_2) | instskip(NEXT) | instid1(VALU_DEP_1)
	v_cmp_neq_f32_e64 s21, v97, v86
	s_or_b32 s21, s21, s22
	s_delay_alu instid0(SALU_CYCLE_1)
	s_and_saveexec_b32 s22, s21
	s_cbranch_execz .LBB521_278
; %bb.277:
	v_sub_f32_e32 v87, v97, v86
	s_delay_alu instid0(VALU_DEP_1) | instskip(SKIP_1) | instid1(VALU_DEP_2)
	v_mul_f32_e32 v97, 0x3fb8aa3b, v87
	v_cmp_ngt_f32_e64 s21, 0xc2ce8ed0, v87
	v_fma_f32 v98, 0x3fb8aa3b, v87, -v97
	v_rndne_f32_e32 v99, v97
	s_delay_alu instid0(VALU_DEP_1) | instskip(NEXT) | instid1(VALU_DEP_1)
	v_dual_fmamk_f32 v98, v87, 0x32a5705f, v98 :: v_dual_sub_f32 v97, v97, v99
	v_add_f32_e32 v97, v97, v98
	v_cvt_i32_f32_e32 v98, v99
	s_delay_alu instid0(VALU_DEP_2) | instskip(SKIP_2) | instid1(VALU_DEP_1)
	v_exp_f32_e32 v97, v97
	s_waitcnt_depctr 0xfff
	v_ldexp_f32 v97, v97, v98
	v_cndmask_b32_e64 v97, 0, v97, s21
	v_cmp_nlt_f32_e64 s21, 0x42b17218, v87
	s_delay_alu instid0(VALU_DEP_1) | instskip(NEXT) | instid1(VALU_DEP_1)
	v_cndmask_b32_e64 v87, 0x7f800000, v97, s21
	v_add_f32_e32 v99, 1.0, v87
	v_cmp_gt_f32_e64 s24, 0x33800000, |v87|
	s_delay_alu instid0(VALU_DEP_2) | instskip(NEXT) | instid1(VALU_DEP_1)
	v_cvt_f64_f32_e32 v[97:98], v99
	v_frexp_exp_i32_f64_e32 v97, v[97:98]
	v_frexp_mant_f32_e32 v98, v99
	s_delay_alu instid0(VALU_DEP_1) | instskip(SKIP_1) | instid1(VALU_DEP_1)
	v_cmp_gt_f32_e64 s21, 0x3f2aaaab, v98
	v_add_f32_e32 v98, -1.0, v99
	v_dual_sub_f32 v101, v98, v99 :: v_dual_sub_f32 v98, v87, v98
	s_delay_alu instid0(VALU_DEP_1) | instskip(NEXT) | instid1(VALU_DEP_1)
	v_add_f32_e32 v101, 1.0, v101
	v_add_f32_e32 v98, v98, v101
	v_subrev_co_ci_u32_e64 v97, s21, 0, v97, s21
	s_mov_b32 s21, 0x3e9b6dac
	s_delay_alu instid0(VALU_DEP_1) | instskip(SKIP_1) | instid1(VALU_DEP_2)
	v_sub_nc_u32_e32 v100, 0, v97
	v_cvt_f32_i32_e32 v97, v97
	v_ldexp_f32 v99, v99, v100
	v_ldexp_f32 v98, v98, v100
	s_delay_alu instid0(VALU_DEP_2) | instskip(NEXT) | instid1(VALU_DEP_1)
	v_add_f32_e32 v100, -1.0, v99
	v_dual_add_f32 v102, 1.0, v99 :: v_dual_add_f32 v103, 1.0, v100
	s_delay_alu instid0(VALU_DEP_1) | instskip(NEXT) | instid1(VALU_DEP_1)
	v_add_f32_e32 v101, -1.0, v102
	v_sub_f32_e32 v101, v99, v101
	s_delay_alu instid0(VALU_DEP_3) | instskip(NEXT) | instid1(VALU_DEP_2)
	v_sub_f32_e32 v99, v99, v103
	v_add_f32_e32 v101, v98, v101
	s_delay_alu instid0(VALU_DEP_2) | instskip(NEXT) | instid1(VALU_DEP_1)
	v_add_f32_e32 v98, v98, v99
	v_dual_add_f32 v112, v100, v98 :: v_dual_add_f32 v103, v102, v101
	s_delay_alu instid0(VALU_DEP_1) | instskip(NEXT) | instid1(VALU_DEP_2)
	v_sub_f32_e32 v100, v100, v112
	v_rcp_f32_e32 v99, v103
	v_sub_f32_e32 v102, v102, v103
	s_delay_alu instid0(VALU_DEP_1) | instskip(SKIP_2) | instid1(VALU_DEP_1)
	v_dual_add_f32 v98, v98, v100 :: v_dual_add_f32 v101, v101, v102
	s_waitcnt_depctr 0xfff
	v_mul_f32_e32 v113, v112, v99
	v_mul_f32_e32 v114, v103, v113
	s_delay_alu instid0(VALU_DEP_1) | instskip(NEXT) | instid1(VALU_DEP_1)
	v_fma_f32 v102, v113, v103, -v114
	v_fmac_f32_e32 v102, v113, v101
	s_delay_alu instid0(VALU_DEP_1) | instskip(NEXT) | instid1(VALU_DEP_1)
	v_add_f32_e32 v115, v114, v102
	v_sub_f32_e32 v116, v112, v115
	v_sub_f32_e32 v100, v115, v114
	s_delay_alu instid0(VALU_DEP_2) | instskip(NEXT) | instid1(VALU_DEP_2)
	v_sub_f32_e32 v112, v112, v116
	v_sub_f32_e32 v100, v100, v102
	s_delay_alu instid0(VALU_DEP_2) | instskip(NEXT) | instid1(VALU_DEP_1)
	v_sub_f32_e32 v112, v112, v115
	v_add_f32_e32 v98, v98, v112
	s_delay_alu instid0(VALU_DEP_1) | instskip(NEXT) | instid1(VALU_DEP_1)
	v_add_f32_e32 v98, v100, v98
	v_add_f32_e32 v100, v116, v98
	s_delay_alu instid0(VALU_DEP_1) | instskip(NEXT) | instid1(VALU_DEP_1)
	v_mul_f32_e32 v102, v99, v100
	v_dual_sub_f32 v115, v116, v100 :: v_dual_mul_f32 v112, v103, v102
	s_delay_alu instid0(VALU_DEP_1) | instskip(NEXT) | instid1(VALU_DEP_2)
	v_add_f32_e32 v98, v98, v115
	v_fma_f32 v103, v102, v103, -v112
	s_delay_alu instid0(VALU_DEP_1) | instskip(NEXT) | instid1(VALU_DEP_1)
	v_fmac_f32_e32 v103, v102, v101
	v_add_f32_e32 v101, v112, v103
	s_delay_alu instid0(VALU_DEP_1) | instskip(NEXT) | instid1(VALU_DEP_1)
	v_sub_f32_e32 v114, v100, v101
	v_sub_f32_e32 v100, v100, v114
	s_delay_alu instid0(VALU_DEP_1) | instskip(NEXT) | instid1(VALU_DEP_1)
	v_sub_f32_e32 v100, v100, v101
	v_add_f32_e32 v98, v98, v100
	v_add_f32_e32 v100, v113, v102
	v_sub_f32_e32 v112, v101, v112
	s_delay_alu instid0(VALU_DEP_1) | instskip(NEXT) | instid1(VALU_DEP_1)
	v_sub_f32_e32 v101, v112, v103
	v_dual_add_f32 v98, v101, v98 :: v_dual_sub_f32 v101, v100, v113
	s_delay_alu instid0(VALU_DEP_1) | instskip(NEXT) | instid1(VALU_DEP_1)
	v_add_f32_e32 v98, v114, v98
	v_dual_sub_f32 v101, v102, v101 :: v_dual_mul_f32 v98, v99, v98
	s_delay_alu instid0(VALU_DEP_1) | instskip(NEXT) | instid1(VALU_DEP_1)
	v_add_f32_e32 v98, v101, v98
	v_add_f32_e32 v99, v100, v98
	s_delay_alu instid0(VALU_DEP_1) | instskip(NEXT) | instid1(VALU_DEP_1)
	v_mul_f32_e32 v101, v99, v99
	v_fmaak_f32 v102, s21, v101, 0x3ecc95a3
	v_mul_f32_e32 v103, v99, v101
	v_cmp_eq_f32_e64 s21, 0x7f800000, v87
	s_delay_alu instid0(VALU_DEP_3) | instskip(SKIP_2) | instid1(VALU_DEP_4)
	v_fmaak_f32 v101, v101, v102, 0x3f2aaada
	v_ldexp_f32 v102, v99, 1
	v_sub_f32_e32 v99, v99, v100
	s_or_b32 s21, s21, s24
	s_delay_alu instid0(VALU_DEP_3) | instskip(NEXT) | instid1(VALU_DEP_2)
	v_mul_f32_e32 v101, v103, v101
	v_dual_mul_f32 v103, 0x3f317218, v97 :: v_dual_sub_f32 v98, v98, v99
	s_delay_alu instid0(VALU_DEP_2) | instskip(NEXT) | instid1(VALU_DEP_2)
	v_add_f32_e32 v100, v102, v101
	v_ldexp_f32 v98, v98, 1
	s_delay_alu instid0(VALU_DEP_2) | instskip(NEXT) | instid1(VALU_DEP_4)
	v_sub_f32_e32 v99, v100, v102
	v_fma_f32 v102, 0x3f317218, v97, -v103
	s_delay_alu instid0(VALU_DEP_2) | instskip(NEXT) | instid1(VALU_DEP_1)
	v_sub_f32_e32 v99, v101, v99
	v_dual_fmamk_f32 v97, v97, 0xb102e308, v102 :: v_dual_add_f32 v98, v98, v99
	s_delay_alu instid0(VALU_DEP_1) | instskip(NEXT) | instid1(VALU_DEP_1)
	v_add_f32_e32 v99, v103, v97
	v_sub_f32_e32 v103, v99, v103
	s_delay_alu instid0(VALU_DEP_1) | instskip(NEXT) | instid1(VALU_DEP_4)
	v_sub_f32_e32 v97, v97, v103
	v_add_f32_e32 v101, v100, v98
	s_delay_alu instid0(VALU_DEP_1) | instskip(NEXT) | instid1(VALU_DEP_1)
	v_sub_f32_e32 v100, v101, v100
	v_sub_f32_e32 v98, v98, v100
	v_add_f32_e32 v102, v99, v101
	s_delay_alu instid0(VALU_DEP_1) | instskip(NEXT) | instid1(VALU_DEP_1)
	v_sub_f32_e32 v112, v102, v99
	v_sub_f32_e32 v100, v101, v112
	s_delay_alu instid0(VALU_DEP_4) | instskip(SKIP_1) | instid1(VALU_DEP_1)
	v_add_f32_e32 v101, v97, v98
	v_sub_f32_e32 v113, v102, v112
	v_sub_f32_e32 v99, v99, v113
	s_delay_alu instid0(VALU_DEP_1) | instskip(NEXT) | instid1(VALU_DEP_1)
	v_dual_add_f32 v99, v100, v99 :: v_dual_sub_f32 v100, v101, v97
	v_dual_add_f32 v99, v101, v99 :: v_dual_sub_f32 v98, v98, v100
	v_sub_f32_e32 v101, v101, v100
	s_delay_alu instid0(VALU_DEP_2) | instskip(NEXT) | instid1(VALU_DEP_1)
	v_add_f32_e32 v103, v102, v99
	v_dual_sub_f32 v97, v97, v101 :: v_dual_sub_f32 v100, v103, v102
	s_delay_alu instid0(VALU_DEP_1) | instskip(NEXT) | instid1(VALU_DEP_1)
	v_dual_add_f32 v97, v98, v97 :: v_dual_sub_f32 v98, v99, v100
	v_add_f32_e32 v97, v97, v98
	s_delay_alu instid0(VALU_DEP_1) | instskip(NEXT) | instid1(VALU_DEP_1)
	v_add_f32_e32 v97, v103, v97
	v_cndmask_b32_e64 v87, v97, v87, s21
	s_delay_alu instid0(VALU_DEP_1)
	v_add_f32_e32 v87, v86, v87
.LBB521_278:
	s_or_b32 exec_lo, exec_lo, s22
	s_delay_alu instid0(VALU_DEP_1) | instskip(SKIP_1) | instid1(VALU_DEP_2)
	v_bfe_u32 v86, v87, 16, 1
	v_cmp_o_f32_e64 s21, v87, v87
	v_add3_u32 v86, v87, v86, 0x7fff
	s_delay_alu instid0(VALU_DEP_1) | instskip(NEXT) | instid1(VALU_DEP_1)
	v_and_b32_e32 v86, 0xffff0000, v86
	v_cndmask_b32_e64 v97, 0x7fc00000, v86, s21
	s_delay_alu instid0(VALU_DEP_1) | instskip(SKIP_2) | instid1(VALU_DEP_2)
	v_max_f32_e32 v87, v97, v97
	v_lshlrev_b32_e32 v29, 16, v29
	v_cmp_u_f32_e64 s21, v97, v97
	v_max_f32_e32 v86, v29, v29
	s_delay_alu instid0(VALU_DEP_1) | instskip(SKIP_1) | instid1(VALU_DEP_2)
	v_min_f32_e32 v98, v87, v86
	v_max_f32_e32 v87, v87, v86
	v_cndmask_b32_e64 v98, v98, v97, s21
	s_delay_alu instid0(VALU_DEP_2) | instskip(SKIP_1) | instid1(VALU_DEP_1)
	v_cndmask_b32_e64 v87, v87, v97, s21
	v_cmp_u_f32_e64 s21, v29, v29
	v_cndmask_b32_e64 v98, v98, v29, s21
	s_delay_alu instid0(VALU_DEP_3) | instskip(NEXT) | instid1(VALU_DEP_2)
	v_cndmask_b32_e64 v87, v87, v29, s21
	v_cmp_class_f32_e64 s24, v98, 0x1f8
	s_delay_alu instid0(VALU_DEP_2) | instskip(NEXT) | instid1(VALU_DEP_1)
	v_cmp_neq_f32_e64 s22, v98, v87
	s_or_b32 s22, s22, s24
	s_delay_alu instid0(SALU_CYCLE_1)
	s_and_saveexec_b32 s24, s22
	s_cbranch_execz .LBB521_280
; %bb.279:
	v_sub_f32_e32 v97, v98, v87
	s_delay_alu instid0(VALU_DEP_1) | instskip(SKIP_1) | instid1(VALU_DEP_2)
	v_mul_f32_e32 v98, 0x3fb8aa3b, v97
	v_cmp_ngt_f32_e64 s22, 0xc2ce8ed0, v97
	v_fma_f32 v99, 0x3fb8aa3b, v97, -v98
	v_rndne_f32_e32 v100, v98
	s_delay_alu instid0(VALU_DEP_1) | instskip(NEXT) | instid1(VALU_DEP_1)
	v_dual_fmamk_f32 v99, v97, 0x32a5705f, v99 :: v_dual_sub_f32 v98, v98, v100
	v_add_f32_e32 v98, v98, v99
	v_cvt_i32_f32_e32 v99, v100
	s_delay_alu instid0(VALU_DEP_2) | instskip(SKIP_2) | instid1(VALU_DEP_1)
	v_exp_f32_e32 v98, v98
	s_waitcnt_depctr 0xfff
	v_ldexp_f32 v98, v98, v99
	v_cndmask_b32_e64 v98, 0, v98, s22
	v_cmp_nlt_f32_e64 s22, 0x42b17218, v97
	s_delay_alu instid0(VALU_DEP_1) | instskip(NEXT) | instid1(VALU_DEP_1)
	v_cndmask_b32_e64 v99, 0x7f800000, v98, s22
	v_add_f32_e32 v100, 1.0, v99
	v_cmp_gt_f32_e64 s25, 0x33800000, |v99|
	s_delay_alu instid0(VALU_DEP_2) | instskip(NEXT) | instid1(VALU_DEP_1)
	v_cvt_f64_f32_e32 v[97:98], v100
	v_frexp_exp_i32_f64_e32 v97, v[97:98]
	v_frexp_mant_f32_e32 v98, v100
	s_delay_alu instid0(VALU_DEP_1) | instskip(SKIP_1) | instid1(VALU_DEP_1)
	v_cmp_gt_f32_e64 s22, 0x3f2aaaab, v98
	v_add_f32_e32 v98, -1.0, v100
	v_sub_f32_e32 v102, v98, v100
	v_sub_f32_e32 v98, v99, v98
	s_delay_alu instid0(VALU_DEP_4) | instskip(SKIP_1) | instid1(VALU_DEP_1)
	v_subrev_co_ci_u32_e64 v97, s22, 0, v97, s22
	s_mov_b32 s22, 0x3e9b6dac
	v_sub_nc_u32_e32 v101, 0, v97
	v_cvt_f32_i32_e32 v97, v97
	s_delay_alu instid0(VALU_DEP_2) | instskip(NEXT) | instid1(VALU_DEP_1)
	v_ldexp_f32 v100, v100, v101
	v_dual_add_f32 v103, 1.0, v100 :: v_dual_add_f32 v102, 1.0, v102
	s_delay_alu instid0(VALU_DEP_1) | instskip(NEXT) | instid1(VALU_DEP_2)
	v_add_f32_e32 v98, v98, v102
	v_add_f32_e32 v102, -1.0, v103
	s_delay_alu instid0(VALU_DEP_2) | instskip(NEXT) | instid1(VALU_DEP_2)
	v_ldexp_f32 v98, v98, v101
	v_dual_add_f32 v101, -1.0, v100 :: v_dual_sub_f32 v102, v100, v102
	s_delay_alu instid0(VALU_DEP_1) | instskip(NEXT) | instid1(VALU_DEP_2)
	v_add_f32_e32 v112, 1.0, v101
	v_add_f32_e32 v102, v98, v102
	s_delay_alu instid0(VALU_DEP_2) | instskip(NEXT) | instid1(VALU_DEP_2)
	v_sub_f32_e32 v100, v100, v112
	v_add_f32_e32 v112, v103, v102
	s_delay_alu instid0(VALU_DEP_2) | instskip(NEXT) | instid1(VALU_DEP_2)
	v_add_f32_e32 v98, v98, v100
	v_rcp_f32_e32 v100, v112
	v_sub_f32_e32 v103, v103, v112
	s_delay_alu instid0(VALU_DEP_1) | instskip(NEXT) | instid1(VALU_DEP_1)
	v_dual_add_f32 v113, v101, v98 :: v_dual_add_f32 v102, v102, v103
	v_sub_f32_e32 v101, v101, v113
	s_waitcnt_depctr 0xfff
	v_mul_f32_e32 v114, v113, v100
	s_delay_alu instid0(VALU_DEP_1) | instskip(NEXT) | instid1(VALU_DEP_1)
	v_dual_add_f32 v98, v98, v101 :: v_dual_mul_f32 v115, v112, v114
	v_fma_f32 v103, v114, v112, -v115
	s_delay_alu instid0(VALU_DEP_1) | instskip(NEXT) | instid1(VALU_DEP_1)
	v_fmac_f32_e32 v103, v114, v102
	v_add_f32_e32 v116, v115, v103
	s_delay_alu instid0(VALU_DEP_1) | instskip(SKIP_1) | instid1(VALU_DEP_2)
	v_sub_f32_e32 v117, v113, v116
	v_sub_f32_e32 v101, v116, v115
	;; [unrolled: 1-line block ×3, first 2 shown]
	s_delay_alu instid0(VALU_DEP_2) | instskip(NEXT) | instid1(VALU_DEP_2)
	v_sub_f32_e32 v101, v101, v103
	v_sub_f32_e32 v113, v113, v116
	s_delay_alu instid0(VALU_DEP_1) | instskip(NEXT) | instid1(VALU_DEP_1)
	v_add_f32_e32 v98, v98, v113
	v_add_f32_e32 v98, v101, v98
	s_delay_alu instid0(VALU_DEP_1) | instskip(NEXT) | instid1(VALU_DEP_1)
	v_add_f32_e32 v101, v117, v98
	v_mul_f32_e32 v103, v100, v101
	s_delay_alu instid0(VALU_DEP_1) | instskip(NEXT) | instid1(VALU_DEP_1)
	v_dual_sub_f32 v116, v117, v101 :: v_dual_mul_f32 v113, v112, v103
	v_add_f32_e32 v98, v98, v116
	s_delay_alu instid0(VALU_DEP_2) | instskip(NEXT) | instid1(VALU_DEP_1)
	v_fma_f32 v112, v103, v112, -v113
	v_fmac_f32_e32 v112, v103, v102
	s_delay_alu instid0(VALU_DEP_1) | instskip(NEXT) | instid1(VALU_DEP_1)
	v_add_f32_e32 v102, v113, v112
	v_sub_f32_e32 v115, v101, v102
	v_sub_f32_e32 v113, v102, v113
	s_delay_alu instid0(VALU_DEP_2) | instskip(NEXT) | instid1(VALU_DEP_1)
	v_sub_f32_e32 v101, v101, v115
	v_sub_f32_e32 v101, v101, v102
	s_delay_alu instid0(VALU_DEP_3) | instskip(NEXT) | instid1(VALU_DEP_2)
	v_sub_f32_e32 v102, v113, v112
	v_add_f32_e32 v98, v98, v101
	v_add_f32_e32 v101, v114, v103
	s_delay_alu instid0(VALU_DEP_2) | instskip(NEXT) | instid1(VALU_DEP_2)
	v_add_f32_e32 v98, v102, v98
	v_sub_f32_e32 v102, v101, v114
	s_delay_alu instid0(VALU_DEP_2) | instskip(NEXT) | instid1(VALU_DEP_2)
	v_add_f32_e32 v98, v115, v98
	v_sub_f32_e32 v102, v103, v102
	s_delay_alu instid0(VALU_DEP_2) | instskip(NEXT) | instid1(VALU_DEP_1)
	v_mul_f32_e32 v98, v100, v98
	v_add_f32_e32 v98, v102, v98
	s_delay_alu instid0(VALU_DEP_1) | instskip(NEXT) | instid1(VALU_DEP_1)
	v_add_f32_e32 v100, v101, v98
	v_mul_f32_e32 v102, v100, v100
	s_delay_alu instid0(VALU_DEP_1) | instskip(SKIP_2) | instid1(VALU_DEP_3)
	v_fmaak_f32 v103, s22, v102, 0x3ecc95a3
	v_mul_f32_e32 v112, v100, v102
	v_cmp_eq_f32_e64 s22, 0x7f800000, v99
	v_fmaak_f32 v102, v102, v103, 0x3f2aaada
	v_ldexp_f32 v103, v100, 1
	v_sub_f32_e32 v100, v100, v101
	s_delay_alu instid0(VALU_DEP_4) | instskip(NEXT) | instid1(VALU_DEP_3)
	s_or_b32 s22, s22, s25
	v_mul_f32_e32 v102, v112, v102
	v_mul_f32_e32 v112, 0x3f317218, v97
	s_delay_alu instid0(VALU_DEP_2) | instskip(NEXT) | instid1(VALU_DEP_1)
	v_dual_sub_f32 v98, v98, v100 :: v_dual_add_f32 v101, v103, v102
	v_ldexp_f32 v98, v98, 1
	s_delay_alu instid0(VALU_DEP_2) | instskip(NEXT) | instid1(VALU_DEP_4)
	v_sub_f32_e32 v100, v101, v103
	v_fma_f32 v103, 0x3f317218, v97, -v112
	s_delay_alu instid0(VALU_DEP_1) | instskip(NEXT) | instid1(VALU_DEP_1)
	v_dual_sub_f32 v100, v102, v100 :: v_dual_fmamk_f32 v97, v97, 0xb102e308, v103
	v_add_f32_e32 v98, v98, v100
	s_delay_alu instid0(VALU_DEP_2) | instskip(NEXT) | instid1(VALU_DEP_2)
	v_add_f32_e32 v100, v112, v97
	v_add_f32_e32 v102, v101, v98
	s_delay_alu instid0(VALU_DEP_2) | instskip(NEXT) | instid1(VALU_DEP_2)
	v_sub_f32_e32 v112, v100, v112
	v_add_f32_e32 v103, v100, v102
	v_sub_f32_e32 v101, v102, v101
	s_delay_alu instid0(VALU_DEP_3) | instskip(NEXT) | instid1(VALU_DEP_2)
	v_sub_f32_e32 v97, v97, v112
	v_dual_sub_f32 v113, v103, v100 :: v_dual_sub_f32 v98, v98, v101
	s_delay_alu instid0(VALU_DEP_1) | instskip(NEXT) | instid1(VALU_DEP_2)
	v_sub_f32_e32 v114, v103, v113
	v_dual_sub_f32 v101, v102, v113 :: v_dual_add_f32 v102, v97, v98
	s_delay_alu instid0(VALU_DEP_2) | instskip(NEXT) | instid1(VALU_DEP_1)
	v_sub_f32_e32 v100, v100, v114
	v_dual_add_f32 v100, v101, v100 :: v_dual_sub_f32 v101, v102, v97
	s_delay_alu instid0(VALU_DEP_1) | instskip(NEXT) | instid1(VALU_DEP_2)
	v_add_f32_e32 v100, v102, v100
	v_sub_f32_e32 v102, v102, v101
	v_sub_f32_e32 v98, v98, v101
	s_delay_alu instid0(VALU_DEP_2) | instskip(NEXT) | instid1(VALU_DEP_1)
	v_dual_add_f32 v112, v103, v100 :: v_dual_sub_f32 v97, v97, v102
	v_sub_f32_e32 v101, v112, v103
	s_delay_alu instid0(VALU_DEP_2) | instskip(NEXT) | instid1(VALU_DEP_2)
	v_add_f32_e32 v97, v98, v97
	v_sub_f32_e32 v98, v100, v101
	s_delay_alu instid0(VALU_DEP_1) | instskip(NEXT) | instid1(VALU_DEP_1)
	v_add_f32_e32 v97, v97, v98
	v_add_f32_e32 v97, v112, v97
	s_delay_alu instid0(VALU_DEP_1) | instskip(NEXT) | instid1(VALU_DEP_1)
	v_cndmask_b32_e64 v97, v97, v99, s22
	v_add_f32_e32 v97, v87, v97
.LBB521_280:
	s_or_b32 exec_lo, exec_lo, s24
	s_delay_alu instid0(VALU_DEP_1) | instskip(SKIP_1) | instid1(VALU_DEP_2)
	v_bfe_u32 v87, v97, 16, 1
	v_cmp_o_f32_e64 s22, v97, v97
	v_add3_u32 v87, v97, v87, 0x7fff
	s_delay_alu instid0(VALU_DEP_1) | instskip(NEXT) | instid1(VALU_DEP_1)
	v_and_b32_e32 v87, 0xffff0000, v87
	v_cndmask_b32_e64 v98, 0x7fc00000, v87, s22
	s_delay_alu instid0(VALU_DEP_1) | instskip(NEXT) | instid1(VALU_DEP_1)
	v_dual_max_f32 v97, v98, v98 :: v_dual_lshlrev_b32 v28, 16, v28
	v_max_f32_e32 v87, v28, v28
	v_cmp_u_f32_e64 s22, v98, v98
	s_delay_alu instid0(VALU_DEP_2) | instskip(SKIP_1) | instid1(VALU_DEP_2)
	v_min_f32_e32 v99, v97, v87
	v_max_f32_e32 v97, v97, v87
	v_cndmask_b32_e64 v99, v99, v98, s22
	s_delay_alu instid0(VALU_DEP_2) | instskip(SKIP_1) | instid1(VALU_DEP_1)
	v_cndmask_b32_e64 v97, v97, v98, s22
	v_cmp_u_f32_e64 s22, v28, v28
	v_cndmask_b32_e64 v99, v99, v28, s22
	s_delay_alu instid0(VALU_DEP_3) | instskip(NEXT) | instid1(VALU_DEP_2)
	v_cndmask_b32_e64 v97, v97, v28, s22
	v_cmp_class_f32_e64 s25, v99, 0x1f8
	s_delay_alu instid0(VALU_DEP_2) | instskip(NEXT) | instid1(VALU_DEP_1)
	v_cmp_neq_f32_e64 s24, v99, v97
	s_or_b32 s24, s24, s25
	s_delay_alu instid0(SALU_CYCLE_1)
	s_and_saveexec_b32 s25, s24
	s_cbranch_execz .LBB521_282
; %bb.281:
	v_sub_f32_e32 v98, v99, v97
	s_delay_alu instid0(VALU_DEP_1) | instskip(SKIP_1) | instid1(VALU_DEP_2)
	v_mul_f32_e32 v99, 0x3fb8aa3b, v98
	v_cmp_ngt_f32_e64 s24, 0xc2ce8ed0, v98
	v_fma_f32 v100, 0x3fb8aa3b, v98, -v99
	v_rndne_f32_e32 v101, v99
	s_delay_alu instid0(VALU_DEP_1) | instskip(NEXT) | instid1(VALU_DEP_1)
	v_dual_fmamk_f32 v100, v98, 0x32a5705f, v100 :: v_dual_sub_f32 v99, v99, v101
	v_add_f32_e32 v99, v99, v100
	v_cvt_i32_f32_e32 v100, v101
	s_delay_alu instid0(VALU_DEP_2) | instskip(SKIP_2) | instid1(VALU_DEP_1)
	v_exp_f32_e32 v99, v99
	s_waitcnt_depctr 0xfff
	v_ldexp_f32 v99, v99, v100
	v_cndmask_b32_e64 v99, 0, v99, s24
	v_cmp_nlt_f32_e64 s24, 0x42b17218, v98
	s_delay_alu instid0(VALU_DEP_1) | instskip(NEXT) | instid1(VALU_DEP_1)
	v_cndmask_b32_e64 v100, 0x7f800000, v99, s24
	v_add_f32_e32 v101, 1.0, v100
	v_cmp_gt_f32_e64 s26, 0x33800000, |v100|
	s_delay_alu instid0(VALU_DEP_2) | instskip(NEXT) | instid1(VALU_DEP_1)
	v_cvt_f64_f32_e32 v[98:99], v101
	v_frexp_exp_i32_f64_e32 v98, v[98:99]
	v_frexp_mant_f32_e32 v99, v101
	s_delay_alu instid0(VALU_DEP_1) | instskip(SKIP_1) | instid1(VALU_DEP_1)
	v_cmp_gt_f32_e64 s24, 0x3f2aaaab, v99
	v_add_f32_e32 v99, -1.0, v101
	v_sub_f32_e32 v103, v99, v101
	v_sub_f32_e32 v99, v100, v99
	s_delay_alu instid0(VALU_DEP_4) | instskip(SKIP_1) | instid1(VALU_DEP_1)
	v_subrev_co_ci_u32_e64 v98, s24, 0, v98, s24
	s_mov_b32 s24, 0x3e9b6dac
	v_sub_nc_u32_e32 v102, 0, v98
	v_cvt_f32_i32_e32 v98, v98
	s_delay_alu instid0(VALU_DEP_2) | instskip(NEXT) | instid1(VALU_DEP_1)
	v_ldexp_f32 v101, v101, v102
	v_dual_add_f32 v112, 1.0, v101 :: v_dual_add_f32 v103, 1.0, v103
	s_delay_alu instid0(VALU_DEP_1) | instskip(NEXT) | instid1(VALU_DEP_2)
	v_add_f32_e32 v99, v99, v103
	v_add_f32_e32 v103, -1.0, v112
	s_delay_alu instid0(VALU_DEP_2) | instskip(NEXT) | instid1(VALU_DEP_2)
	v_ldexp_f32 v99, v99, v102
	v_dual_add_f32 v102, -1.0, v101 :: v_dual_sub_f32 v103, v101, v103
	s_delay_alu instid0(VALU_DEP_1) | instskip(NEXT) | instid1(VALU_DEP_2)
	v_add_f32_e32 v113, 1.0, v102
	v_add_f32_e32 v103, v99, v103
	s_delay_alu instid0(VALU_DEP_2) | instskip(NEXT) | instid1(VALU_DEP_2)
	v_sub_f32_e32 v101, v101, v113
	v_add_f32_e32 v113, v112, v103
	s_delay_alu instid0(VALU_DEP_2) | instskip(NEXT) | instid1(VALU_DEP_2)
	v_add_f32_e32 v99, v99, v101
	v_rcp_f32_e32 v101, v113
	v_sub_f32_e32 v112, v112, v113
	s_delay_alu instid0(VALU_DEP_1) | instskip(NEXT) | instid1(VALU_DEP_1)
	v_dual_add_f32 v114, v102, v99 :: v_dual_add_f32 v103, v103, v112
	v_sub_f32_e32 v102, v102, v114
	s_waitcnt_depctr 0xfff
	v_mul_f32_e32 v115, v114, v101
	s_delay_alu instid0(VALU_DEP_1) | instskip(NEXT) | instid1(VALU_DEP_1)
	v_dual_add_f32 v99, v99, v102 :: v_dual_mul_f32 v116, v113, v115
	v_fma_f32 v112, v115, v113, -v116
	s_delay_alu instid0(VALU_DEP_1) | instskip(NEXT) | instid1(VALU_DEP_1)
	v_fmac_f32_e32 v112, v115, v103
	v_add_f32_e32 v117, v116, v112
	s_delay_alu instid0(VALU_DEP_1) | instskip(SKIP_1) | instid1(VALU_DEP_2)
	v_sub_f32_e32 v118, v114, v117
	v_sub_f32_e32 v102, v117, v116
	;; [unrolled: 1-line block ×3, first 2 shown]
	s_delay_alu instid0(VALU_DEP_2) | instskip(NEXT) | instid1(VALU_DEP_2)
	v_sub_f32_e32 v102, v102, v112
	v_sub_f32_e32 v114, v114, v117
	s_delay_alu instid0(VALU_DEP_1) | instskip(NEXT) | instid1(VALU_DEP_1)
	v_add_f32_e32 v99, v99, v114
	v_add_f32_e32 v99, v102, v99
	s_delay_alu instid0(VALU_DEP_1) | instskip(NEXT) | instid1(VALU_DEP_1)
	v_add_f32_e32 v102, v118, v99
	v_mul_f32_e32 v112, v101, v102
	s_delay_alu instid0(VALU_DEP_1) | instskip(NEXT) | instid1(VALU_DEP_1)
	v_dual_sub_f32 v117, v118, v102 :: v_dual_mul_f32 v114, v113, v112
	v_add_f32_e32 v99, v99, v117
	s_delay_alu instid0(VALU_DEP_2) | instskip(NEXT) | instid1(VALU_DEP_1)
	v_fma_f32 v113, v112, v113, -v114
	v_fmac_f32_e32 v113, v112, v103
	s_delay_alu instid0(VALU_DEP_1) | instskip(NEXT) | instid1(VALU_DEP_1)
	v_add_f32_e32 v103, v114, v113
	v_sub_f32_e32 v116, v102, v103
	v_sub_f32_e32 v114, v103, v114
	s_delay_alu instid0(VALU_DEP_2) | instskip(NEXT) | instid1(VALU_DEP_1)
	v_sub_f32_e32 v102, v102, v116
	v_sub_f32_e32 v102, v102, v103
	s_delay_alu instid0(VALU_DEP_3) | instskip(NEXT) | instid1(VALU_DEP_2)
	v_sub_f32_e32 v103, v114, v113
	v_add_f32_e32 v99, v99, v102
	v_add_f32_e32 v102, v115, v112
	s_delay_alu instid0(VALU_DEP_2) | instskip(NEXT) | instid1(VALU_DEP_2)
	v_add_f32_e32 v99, v103, v99
	v_sub_f32_e32 v103, v102, v115
	s_delay_alu instid0(VALU_DEP_2) | instskip(NEXT) | instid1(VALU_DEP_2)
	v_add_f32_e32 v99, v116, v99
	v_sub_f32_e32 v103, v112, v103
	s_delay_alu instid0(VALU_DEP_2) | instskip(NEXT) | instid1(VALU_DEP_1)
	v_mul_f32_e32 v99, v101, v99
	v_add_f32_e32 v99, v103, v99
	s_delay_alu instid0(VALU_DEP_1) | instskip(NEXT) | instid1(VALU_DEP_1)
	v_add_f32_e32 v101, v102, v99
	v_mul_f32_e32 v103, v101, v101
	s_delay_alu instid0(VALU_DEP_1) | instskip(SKIP_2) | instid1(VALU_DEP_3)
	v_fmaak_f32 v112, s24, v103, 0x3ecc95a3
	v_mul_f32_e32 v113, v101, v103
	v_cmp_eq_f32_e64 s24, 0x7f800000, v100
	v_fmaak_f32 v103, v103, v112, 0x3f2aaada
	v_ldexp_f32 v112, v101, 1
	v_sub_f32_e32 v101, v101, v102
	s_delay_alu instid0(VALU_DEP_4) | instskip(NEXT) | instid1(VALU_DEP_3)
	s_or_b32 s24, s24, s26
	v_mul_f32_e32 v103, v113, v103
	v_mul_f32_e32 v113, 0x3f317218, v98
	s_delay_alu instid0(VALU_DEP_2) | instskip(NEXT) | instid1(VALU_DEP_1)
	v_dual_sub_f32 v99, v99, v101 :: v_dual_add_f32 v102, v112, v103
	v_ldexp_f32 v99, v99, 1
	s_delay_alu instid0(VALU_DEP_2) | instskip(NEXT) | instid1(VALU_DEP_4)
	v_sub_f32_e32 v101, v102, v112
	v_fma_f32 v112, 0x3f317218, v98, -v113
	s_delay_alu instid0(VALU_DEP_1) | instskip(NEXT) | instid1(VALU_DEP_1)
	v_dual_sub_f32 v101, v103, v101 :: v_dual_fmamk_f32 v98, v98, 0xb102e308, v112
	v_add_f32_e32 v99, v99, v101
	s_delay_alu instid0(VALU_DEP_2) | instskip(NEXT) | instid1(VALU_DEP_2)
	v_add_f32_e32 v101, v113, v98
	v_add_f32_e32 v103, v102, v99
	s_delay_alu instid0(VALU_DEP_2) | instskip(NEXT) | instid1(VALU_DEP_2)
	v_sub_f32_e32 v113, v101, v113
	v_add_f32_e32 v112, v101, v103
	v_sub_f32_e32 v102, v103, v102
	s_delay_alu instid0(VALU_DEP_3) | instskip(NEXT) | instid1(VALU_DEP_2)
	v_sub_f32_e32 v98, v98, v113
	v_dual_sub_f32 v114, v112, v101 :: v_dual_sub_f32 v99, v99, v102
	s_delay_alu instid0(VALU_DEP_1) | instskip(NEXT) | instid1(VALU_DEP_2)
	v_sub_f32_e32 v115, v112, v114
	v_dual_sub_f32 v102, v103, v114 :: v_dual_add_f32 v103, v98, v99
	s_delay_alu instid0(VALU_DEP_2) | instskip(NEXT) | instid1(VALU_DEP_1)
	v_sub_f32_e32 v101, v101, v115
	v_dual_add_f32 v101, v102, v101 :: v_dual_sub_f32 v102, v103, v98
	s_delay_alu instid0(VALU_DEP_1) | instskip(NEXT) | instid1(VALU_DEP_2)
	v_add_f32_e32 v101, v103, v101
	v_sub_f32_e32 v103, v103, v102
	v_sub_f32_e32 v99, v99, v102
	s_delay_alu instid0(VALU_DEP_2) | instskip(NEXT) | instid1(VALU_DEP_1)
	v_dual_add_f32 v113, v112, v101 :: v_dual_sub_f32 v98, v98, v103
	v_sub_f32_e32 v102, v113, v112
	s_delay_alu instid0(VALU_DEP_2) | instskip(NEXT) | instid1(VALU_DEP_2)
	v_add_f32_e32 v98, v99, v98
	v_sub_f32_e32 v99, v101, v102
	s_delay_alu instid0(VALU_DEP_1) | instskip(NEXT) | instid1(VALU_DEP_1)
	v_add_f32_e32 v98, v98, v99
	v_add_f32_e32 v98, v113, v98
	s_delay_alu instid0(VALU_DEP_1) | instskip(NEXT) | instid1(VALU_DEP_1)
	v_cndmask_b32_e64 v98, v98, v100, s24
	v_add_f32_e32 v98, v97, v98
.LBB521_282:
	s_or_b32 exec_lo, exec_lo, s25
	s_delay_alu instid0(VALU_DEP_1) | instskip(SKIP_3) | instid1(VALU_DEP_3)
	v_bfe_u32 v97, v98, 16, 1
	v_lshrrev_b32_e32 v99, 5, v21
	v_cmp_o_f32_e64 s24, v98, v98
	s_mov_b32 s26, exec_lo
	v_add3_u32 v97, v98, v97, 0x7fff
	s_delay_alu instid0(VALU_DEP_3) | instskip(NEXT) | instid1(VALU_DEP_2)
	v_add_lshl_u32 v99, v99, v21, 1
	v_lshrrev_b32_e32 v97, 16, v97
	s_delay_alu instid0(VALU_DEP_1)
	v_cndmask_b32_e64 v97, 0x7fc0, v97, s24
	ds_store_b16 v99, v97
	s_waitcnt lgkmcnt(0)
	s_barrier
	buffer_gl0_inv
	v_cmpx_gt_u32_e32 32, v21
	s_cbranch_execz .LBB521_310
; %bb.283:
	v_lshrrev_b32_e32 v98, 3, v21
	s_delay_alu instid0(VALU_DEP_1) | instskip(NEXT) | instid1(VALU_DEP_1)
	v_and_b32_e32 v98, 0x7e, v98
	v_lshl_or_b32 v98, v21, 2, v98
	ds_load_u16 v99, v98 offset:2
	ds_load_u16 v100, v98
	s_waitcnt lgkmcnt(1)
	v_lshlrev_b32_e32 v101, 16, v99
	s_waitcnt lgkmcnt(0)
	s_delay_alu instid0(VALU_DEP_1) | instskip(NEXT) | instid1(VALU_DEP_1)
	v_dual_max_f32 v102, v101, v101 :: v_dual_lshlrev_b32 v99, 16, v100
	v_max_f32_e32 v100, v99, v99
	v_cmp_u_f32_e64 s24, v99, v99
	s_delay_alu instid0(VALU_DEP_2) | instskip(SKIP_2) | instid1(VALU_DEP_3)
	v_min_f32_e32 v103, v100, v102
	v_max_f32_e32 v102, v100, v102
	v_cmp_u_f32_e64 s25, v101, v101
	v_cndmask_b32_e64 v103, v103, v99, s24
	s_delay_alu instid0(VALU_DEP_3) | instskip(NEXT) | instid1(VALU_DEP_2)
	v_cndmask_b32_e64 v102, v102, v99, s24
	v_cndmask_b32_e64 v103, v103, v101, s25
	s_delay_alu instid0(VALU_DEP_2) | instskip(SKIP_1) | instid1(VALU_DEP_3)
	v_cndmask_b32_e64 v101, v102, v101, s25
	v_mov_b32_e32 v102, v99
	v_cmp_class_f32_e64 s27, v103, 0x1f8
	s_delay_alu instid0(VALU_DEP_3) | instskip(NEXT) | instid1(VALU_DEP_1)
	v_cmp_neq_f32_e64 s25, v103, v101
	s_or_b32 s25, s25, s27
	s_delay_alu instid0(SALU_CYCLE_1)
	s_and_saveexec_b32 s27, s25
	s_cbranch_execz .LBB521_285
; %bb.284:
	v_sub_f32_e32 v102, v103, v101
	s_delay_alu instid0(VALU_DEP_1) | instskip(SKIP_1) | instid1(VALU_DEP_2)
	v_mul_f32_e32 v103, 0x3fb8aa3b, v102
	v_cmp_ngt_f32_e64 s25, 0xc2ce8ed0, v102
	v_fma_f32 v112, 0x3fb8aa3b, v102, -v103
	v_rndne_f32_e32 v113, v103
	s_delay_alu instid0(VALU_DEP_1) | instskip(NEXT) | instid1(VALU_DEP_1)
	v_dual_fmamk_f32 v112, v102, 0x32a5705f, v112 :: v_dual_sub_f32 v103, v103, v113
	v_add_f32_e32 v103, v103, v112
	v_cvt_i32_f32_e32 v112, v113
	s_delay_alu instid0(VALU_DEP_2) | instskip(SKIP_2) | instid1(VALU_DEP_1)
	v_exp_f32_e32 v103, v103
	s_waitcnt_depctr 0xfff
	v_ldexp_f32 v103, v103, v112
	v_cndmask_b32_e64 v103, 0, v103, s25
	v_cmp_nlt_f32_e64 s25, 0x42b17218, v102
	s_delay_alu instid0(VALU_DEP_1) | instskip(NEXT) | instid1(VALU_DEP_1)
	v_cndmask_b32_e64 v112, 0x7f800000, v103, s25
	v_add_f32_e32 v113, 1.0, v112
	v_cmp_gt_f32_e64 s28, 0x33800000, |v112|
	s_delay_alu instid0(VALU_DEP_2) | instskip(NEXT) | instid1(VALU_DEP_1)
	v_cvt_f64_f32_e32 v[102:103], v113
	v_frexp_exp_i32_f64_e32 v102, v[102:103]
	v_frexp_mant_f32_e32 v103, v113
	s_delay_alu instid0(VALU_DEP_1) | instskip(SKIP_1) | instid1(VALU_DEP_1)
	v_cmp_gt_f32_e64 s25, 0x3f2aaaab, v103
	v_add_f32_e32 v103, -1.0, v113
	v_sub_f32_e32 v115, v103, v113
	v_sub_f32_e32 v103, v112, v103
	s_delay_alu instid0(VALU_DEP_4) | instskip(SKIP_1) | instid1(VALU_DEP_1)
	v_subrev_co_ci_u32_e64 v102, s25, 0, v102, s25
	s_mov_b32 s25, 0x3e9b6dac
	v_sub_nc_u32_e32 v114, 0, v102
	v_cvt_f32_i32_e32 v102, v102
	s_delay_alu instid0(VALU_DEP_2) | instskip(NEXT) | instid1(VALU_DEP_1)
	v_ldexp_f32 v113, v113, v114
	v_dual_add_f32 v116, 1.0, v113 :: v_dual_add_f32 v115, 1.0, v115
	s_delay_alu instid0(VALU_DEP_1) | instskip(NEXT) | instid1(VALU_DEP_2)
	v_add_f32_e32 v103, v103, v115
	v_add_f32_e32 v115, -1.0, v116
	s_delay_alu instid0(VALU_DEP_2) | instskip(NEXT) | instid1(VALU_DEP_2)
	v_ldexp_f32 v103, v103, v114
	v_dual_add_f32 v114, -1.0, v113 :: v_dual_sub_f32 v115, v113, v115
	s_delay_alu instid0(VALU_DEP_1) | instskip(NEXT) | instid1(VALU_DEP_2)
	v_add_f32_e32 v117, 1.0, v114
	v_add_f32_e32 v115, v103, v115
	s_delay_alu instid0(VALU_DEP_2) | instskip(NEXT) | instid1(VALU_DEP_2)
	v_sub_f32_e32 v113, v113, v117
	v_add_f32_e32 v117, v116, v115
	s_delay_alu instid0(VALU_DEP_2) | instskip(NEXT) | instid1(VALU_DEP_2)
	v_add_f32_e32 v103, v103, v113
	v_rcp_f32_e32 v113, v117
	v_sub_f32_e32 v116, v116, v117
	s_delay_alu instid0(VALU_DEP_1) | instskip(NEXT) | instid1(VALU_DEP_1)
	v_dual_add_f32 v118, v114, v103 :: v_dual_add_f32 v115, v115, v116
	v_sub_f32_e32 v114, v114, v118
	s_waitcnt_depctr 0xfff
	v_mul_f32_e32 v119, v118, v113
	s_delay_alu instid0(VALU_DEP_1) | instskip(NEXT) | instid1(VALU_DEP_1)
	v_dual_add_f32 v103, v103, v114 :: v_dual_mul_f32 v128, v117, v119
	v_fma_f32 v116, v119, v117, -v128
	s_delay_alu instid0(VALU_DEP_1) | instskip(NEXT) | instid1(VALU_DEP_1)
	v_fmac_f32_e32 v116, v119, v115
	v_add_f32_e32 v129, v128, v116
	s_delay_alu instid0(VALU_DEP_1) | instskip(SKIP_1) | instid1(VALU_DEP_2)
	v_sub_f32_e32 v130, v118, v129
	v_sub_f32_e32 v114, v129, v128
	;; [unrolled: 1-line block ×3, first 2 shown]
	s_delay_alu instid0(VALU_DEP_2) | instskip(NEXT) | instid1(VALU_DEP_2)
	v_sub_f32_e32 v114, v114, v116
	v_sub_f32_e32 v118, v118, v129
	s_delay_alu instid0(VALU_DEP_1) | instskip(NEXT) | instid1(VALU_DEP_1)
	v_add_f32_e32 v103, v103, v118
	v_add_f32_e32 v103, v114, v103
	s_delay_alu instid0(VALU_DEP_1) | instskip(NEXT) | instid1(VALU_DEP_1)
	v_add_f32_e32 v114, v130, v103
	v_mul_f32_e32 v116, v113, v114
	s_delay_alu instid0(VALU_DEP_1) | instskip(NEXT) | instid1(VALU_DEP_1)
	v_dual_sub_f32 v129, v130, v114 :: v_dual_mul_f32 v118, v117, v116
	v_add_f32_e32 v103, v103, v129
	s_delay_alu instid0(VALU_DEP_2) | instskip(NEXT) | instid1(VALU_DEP_1)
	v_fma_f32 v117, v116, v117, -v118
	v_fmac_f32_e32 v117, v116, v115
	s_delay_alu instid0(VALU_DEP_1) | instskip(NEXT) | instid1(VALU_DEP_1)
	v_add_f32_e32 v115, v118, v117
	v_sub_f32_e32 v128, v114, v115
	v_sub_f32_e32 v118, v115, v118
	s_delay_alu instid0(VALU_DEP_2) | instskip(NEXT) | instid1(VALU_DEP_1)
	v_sub_f32_e32 v114, v114, v128
	v_sub_f32_e32 v114, v114, v115
	s_delay_alu instid0(VALU_DEP_3) | instskip(NEXT) | instid1(VALU_DEP_2)
	v_sub_f32_e32 v115, v118, v117
	v_add_f32_e32 v103, v103, v114
	v_add_f32_e32 v114, v119, v116
	s_delay_alu instid0(VALU_DEP_2) | instskip(NEXT) | instid1(VALU_DEP_2)
	v_add_f32_e32 v103, v115, v103
	v_sub_f32_e32 v115, v114, v119
	s_delay_alu instid0(VALU_DEP_2) | instskip(NEXT) | instid1(VALU_DEP_2)
	v_add_f32_e32 v103, v128, v103
	v_sub_f32_e32 v115, v116, v115
	s_delay_alu instid0(VALU_DEP_2) | instskip(NEXT) | instid1(VALU_DEP_1)
	v_mul_f32_e32 v103, v113, v103
	v_add_f32_e32 v103, v115, v103
	s_delay_alu instid0(VALU_DEP_1) | instskip(NEXT) | instid1(VALU_DEP_1)
	v_add_f32_e32 v113, v114, v103
	v_mul_f32_e32 v115, v113, v113
	s_delay_alu instid0(VALU_DEP_1) | instskip(SKIP_2) | instid1(VALU_DEP_3)
	v_fmaak_f32 v116, s25, v115, 0x3ecc95a3
	v_mul_f32_e32 v117, v113, v115
	v_cmp_eq_f32_e64 s25, 0x7f800000, v112
	v_fmaak_f32 v115, v115, v116, 0x3f2aaada
	v_ldexp_f32 v116, v113, 1
	v_sub_f32_e32 v113, v113, v114
	s_delay_alu instid0(VALU_DEP_4) | instskip(NEXT) | instid1(VALU_DEP_3)
	s_or_b32 s25, s25, s28
	v_mul_f32_e32 v115, v117, v115
	v_mul_f32_e32 v117, 0x3f317218, v102
	s_delay_alu instid0(VALU_DEP_2) | instskip(NEXT) | instid1(VALU_DEP_1)
	v_dual_sub_f32 v103, v103, v113 :: v_dual_add_f32 v114, v116, v115
	v_ldexp_f32 v103, v103, 1
	s_delay_alu instid0(VALU_DEP_2) | instskip(NEXT) | instid1(VALU_DEP_4)
	v_sub_f32_e32 v113, v114, v116
	v_fma_f32 v116, 0x3f317218, v102, -v117
	s_delay_alu instid0(VALU_DEP_1) | instskip(NEXT) | instid1(VALU_DEP_1)
	v_dual_sub_f32 v113, v115, v113 :: v_dual_fmamk_f32 v102, v102, 0xb102e308, v116
	v_add_f32_e32 v103, v103, v113
	s_delay_alu instid0(VALU_DEP_2) | instskip(NEXT) | instid1(VALU_DEP_2)
	v_add_f32_e32 v113, v117, v102
	v_add_f32_e32 v115, v114, v103
	s_delay_alu instid0(VALU_DEP_2) | instskip(NEXT) | instid1(VALU_DEP_2)
	v_sub_f32_e32 v117, v113, v117
	v_add_f32_e32 v116, v113, v115
	v_sub_f32_e32 v114, v115, v114
	s_delay_alu instid0(VALU_DEP_3) | instskip(NEXT) | instid1(VALU_DEP_2)
	v_sub_f32_e32 v102, v102, v117
	v_dual_sub_f32 v118, v116, v113 :: v_dual_sub_f32 v103, v103, v114
	s_delay_alu instid0(VALU_DEP_1) | instskip(NEXT) | instid1(VALU_DEP_2)
	v_sub_f32_e32 v119, v116, v118
	v_dual_sub_f32 v114, v115, v118 :: v_dual_add_f32 v115, v102, v103
	s_delay_alu instid0(VALU_DEP_2) | instskip(NEXT) | instid1(VALU_DEP_1)
	v_sub_f32_e32 v113, v113, v119
	v_dual_add_f32 v113, v114, v113 :: v_dual_sub_f32 v114, v115, v102
	s_delay_alu instid0(VALU_DEP_1) | instskip(NEXT) | instid1(VALU_DEP_2)
	v_add_f32_e32 v113, v115, v113
	v_sub_f32_e32 v115, v115, v114
	v_sub_f32_e32 v103, v103, v114
	s_delay_alu instid0(VALU_DEP_2) | instskip(NEXT) | instid1(VALU_DEP_1)
	v_dual_add_f32 v117, v116, v113 :: v_dual_sub_f32 v102, v102, v115
	v_sub_f32_e32 v114, v117, v116
	s_delay_alu instid0(VALU_DEP_2) | instskip(NEXT) | instid1(VALU_DEP_2)
	v_add_f32_e32 v102, v103, v102
	v_sub_f32_e32 v103, v113, v114
	s_delay_alu instid0(VALU_DEP_1) | instskip(NEXT) | instid1(VALU_DEP_1)
	v_add_f32_e32 v102, v102, v103
	v_add_f32_e32 v102, v117, v102
	s_delay_alu instid0(VALU_DEP_1) | instskip(NEXT) | instid1(VALU_DEP_1)
	v_cndmask_b32_e64 v102, v102, v112, s25
	v_add_f32_e32 v102, v101, v102
.LBB521_285:
	s_or_b32 exec_lo, exec_lo, s27
	s_delay_alu instid0(VALU_DEP_1) | instskip(SKIP_2) | instid1(VALU_DEP_2)
	v_bfe_u32 v101, v102, 16, 1
	v_cmp_o_f32_e64 s25, v102, v102
	s_mov_b32 s27, exec_lo
	v_add3_u32 v101, v102, v101, 0x7fff
	s_delay_alu instid0(VALU_DEP_1) | instskip(NEXT) | instid1(VALU_DEP_1)
	v_lshrrev_b32_e32 v101, 16, v101
	v_cndmask_b32_e64 v103, 0x7fc0, v101, s25
	v_mbcnt_lo_u32_b32 v101, -1, 0
	s_delay_alu instid0(VALU_DEP_2) | instskip(NEXT) | instid1(VALU_DEP_2)
	v_and_b32_e32 v112, 0xffff, v103
	v_and_b32_e32 v102, 15, v101
	s_delay_alu instid0(VALU_DEP_2) | instskip(NEXT) | instid1(VALU_DEP_2)
	v_mov_b32_dpp v113, v112 row_shr:1 row_mask:0xf bank_mask:0xf
	v_cmpx_ne_u32_e32 0, v102
	s_cbranch_execz .LBB521_289
; %bb.286:
	v_lshlrev_b32_e32 v103, 16, v112
	s_delay_alu instid0(VALU_DEP_1) | instskip(NEXT) | instid1(VALU_DEP_1)
	v_dual_max_f32 v113, v103, v103 :: v_dual_lshlrev_b32 v112, 16, v113
	v_max_f32_e32 v114, v112, v112
	v_cmp_u_f32_e64 s25, v112, v112
	s_delay_alu instid0(VALU_DEP_2) | instskip(SKIP_1) | instid1(VALU_DEP_2)
	v_min_f32_e32 v115, v114, v113
	v_max_f32_e32 v113, v114, v113
	v_cndmask_b32_e64 v114, v115, v112, s25
	s_delay_alu instid0(VALU_DEP_2) | instskip(SKIP_1) | instid1(VALU_DEP_1)
	v_cndmask_b32_e64 v115, v113, v112, s25
	v_cmp_u_f32_e64 s25, v103, v103
	v_cndmask_b32_e64 v113, v114, v103, s25
	s_delay_alu instid0(VALU_DEP_3) | instskip(NEXT) | instid1(VALU_DEP_2)
	v_cndmask_b32_e64 v103, v115, v103, s25
	v_cmp_class_f32_e64 s28, v113, 0x1f8
	s_delay_alu instid0(VALU_DEP_2) | instskip(NEXT) | instid1(VALU_DEP_1)
	v_cmp_neq_f32_e64 s25, v113, v103
	s_or_b32 s25, s25, s28
	s_delay_alu instid0(SALU_CYCLE_1)
	s_and_saveexec_b32 s28, s25
	s_cbranch_execz .LBB521_288
; %bb.287:
	v_sub_f32_e32 v112, v113, v103
	s_delay_alu instid0(VALU_DEP_1) | instskip(SKIP_1) | instid1(VALU_DEP_2)
	v_mul_f32_e32 v113, 0x3fb8aa3b, v112
	v_cmp_ngt_f32_e64 s25, 0xc2ce8ed0, v112
	v_fma_f32 v114, 0x3fb8aa3b, v112, -v113
	v_rndne_f32_e32 v115, v113
	s_delay_alu instid0(VALU_DEP_1) | instskip(NEXT) | instid1(VALU_DEP_1)
	v_dual_fmamk_f32 v114, v112, 0x32a5705f, v114 :: v_dual_sub_f32 v113, v113, v115
	v_add_f32_e32 v113, v113, v114
	v_cvt_i32_f32_e32 v114, v115
	s_delay_alu instid0(VALU_DEP_2) | instskip(SKIP_2) | instid1(VALU_DEP_1)
	v_exp_f32_e32 v113, v113
	s_waitcnt_depctr 0xfff
	v_ldexp_f32 v113, v113, v114
	v_cndmask_b32_e64 v113, 0, v113, s25
	v_cmp_nlt_f32_e64 s25, 0x42b17218, v112
	s_delay_alu instid0(VALU_DEP_1) | instskip(NEXT) | instid1(VALU_DEP_1)
	v_cndmask_b32_e64 v114, 0x7f800000, v113, s25
	v_add_f32_e32 v115, 1.0, v114
	v_cmp_gt_f32_e64 s29, 0x33800000, |v114|
	s_delay_alu instid0(VALU_DEP_2) | instskip(NEXT) | instid1(VALU_DEP_1)
	v_cvt_f64_f32_e32 v[112:113], v115
	v_frexp_exp_i32_f64_e32 v112, v[112:113]
	v_frexp_mant_f32_e32 v113, v115
	s_delay_alu instid0(VALU_DEP_1) | instskip(SKIP_1) | instid1(VALU_DEP_1)
	v_cmp_gt_f32_e64 s25, 0x3f2aaaab, v113
	v_add_f32_e32 v113, -1.0, v115
	v_sub_f32_e32 v117, v113, v115
	v_sub_f32_e32 v113, v114, v113
	s_delay_alu instid0(VALU_DEP_4) | instskip(SKIP_1) | instid1(VALU_DEP_1)
	v_subrev_co_ci_u32_e64 v112, s25, 0, v112, s25
	s_mov_b32 s25, 0x3e9b6dac
	v_sub_nc_u32_e32 v116, 0, v112
	v_cvt_f32_i32_e32 v112, v112
	s_delay_alu instid0(VALU_DEP_2) | instskip(NEXT) | instid1(VALU_DEP_1)
	v_ldexp_f32 v115, v115, v116
	v_dual_add_f32 v118, 1.0, v115 :: v_dual_add_f32 v117, 1.0, v117
	s_delay_alu instid0(VALU_DEP_1) | instskip(NEXT) | instid1(VALU_DEP_2)
	v_add_f32_e32 v113, v113, v117
	v_add_f32_e32 v117, -1.0, v118
	s_delay_alu instid0(VALU_DEP_2) | instskip(NEXT) | instid1(VALU_DEP_2)
	v_ldexp_f32 v113, v113, v116
	v_dual_add_f32 v116, -1.0, v115 :: v_dual_sub_f32 v117, v115, v117
	s_delay_alu instid0(VALU_DEP_1) | instskip(NEXT) | instid1(VALU_DEP_2)
	v_add_f32_e32 v119, 1.0, v116
	v_add_f32_e32 v117, v113, v117
	s_delay_alu instid0(VALU_DEP_2) | instskip(NEXT) | instid1(VALU_DEP_2)
	v_sub_f32_e32 v115, v115, v119
	v_add_f32_e32 v119, v118, v117
	s_delay_alu instid0(VALU_DEP_2) | instskip(NEXT) | instid1(VALU_DEP_2)
	v_add_f32_e32 v113, v113, v115
	v_rcp_f32_e32 v115, v119
	v_sub_f32_e32 v118, v118, v119
	s_delay_alu instid0(VALU_DEP_1) | instskip(NEXT) | instid1(VALU_DEP_1)
	v_dual_add_f32 v128, v116, v113 :: v_dual_add_f32 v117, v117, v118
	v_sub_f32_e32 v116, v116, v128
	s_waitcnt_depctr 0xfff
	v_mul_f32_e32 v129, v128, v115
	s_delay_alu instid0(VALU_DEP_1) | instskip(NEXT) | instid1(VALU_DEP_1)
	v_dual_add_f32 v113, v113, v116 :: v_dual_mul_f32 v130, v119, v129
	v_fma_f32 v118, v129, v119, -v130
	s_delay_alu instid0(VALU_DEP_1) | instskip(NEXT) | instid1(VALU_DEP_1)
	v_fmac_f32_e32 v118, v129, v117
	v_add_f32_e32 v131, v130, v118
	s_delay_alu instid0(VALU_DEP_1) | instskip(SKIP_1) | instid1(VALU_DEP_2)
	v_sub_f32_e32 v132, v128, v131
	v_sub_f32_e32 v116, v131, v130
	;; [unrolled: 1-line block ×3, first 2 shown]
	s_delay_alu instid0(VALU_DEP_2) | instskip(NEXT) | instid1(VALU_DEP_2)
	v_sub_f32_e32 v116, v116, v118
	v_sub_f32_e32 v128, v128, v131
	s_delay_alu instid0(VALU_DEP_1) | instskip(NEXT) | instid1(VALU_DEP_1)
	v_add_f32_e32 v113, v113, v128
	v_add_f32_e32 v113, v116, v113
	s_delay_alu instid0(VALU_DEP_1) | instskip(NEXT) | instid1(VALU_DEP_1)
	v_add_f32_e32 v116, v132, v113
	v_mul_f32_e32 v118, v115, v116
	s_delay_alu instid0(VALU_DEP_1) | instskip(NEXT) | instid1(VALU_DEP_1)
	v_dual_sub_f32 v131, v132, v116 :: v_dual_mul_f32 v128, v119, v118
	v_add_f32_e32 v113, v113, v131
	s_delay_alu instid0(VALU_DEP_2) | instskip(NEXT) | instid1(VALU_DEP_1)
	v_fma_f32 v119, v118, v119, -v128
	v_fmac_f32_e32 v119, v118, v117
	s_delay_alu instid0(VALU_DEP_1) | instskip(NEXT) | instid1(VALU_DEP_1)
	v_add_f32_e32 v117, v128, v119
	v_sub_f32_e32 v130, v116, v117
	v_sub_f32_e32 v128, v117, v128
	s_delay_alu instid0(VALU_DEP_2) | instskip(NEXT) | instid1(VALU_DEP_1)
	v_sub_f32_e32 v116, v116, v130
	v_sub_f32_e32 v116, v116, v117
	s_delay_alu instid0(VALU_DEP_3) | instskip(NEXT) | instid1(VALU_DEP_2)
	v_sub_f32_e32 v117, v128, v119
	v_add_f32_e32 v113, v113, v116
	v_add_f32_e32 v116, v129, v118
	s_delay_alu instid0(VALU_DEP_2) | instskip(NEXT) | instid1(VALU_DEP_2)
	v_add_f32_e32 v113, v117, v113
	v_sub_f32_e32 v117, v116, v129
	s_delay_alu instid0(VALU_DEP_2) | instskip(NEXT) | instid1(VALU_DEP_2)
	v_add_f32_e32 v113, v130, v113
	v_sub_f32_e32 v117, v118, v117
	s_delay_alu instid0(VALU_DEP_2) | instskip(NEXT) | instid1(VALU_DEP_1)
	v_mul_f32_e32 v113, v115, v113
	v_add_f32_e32 v113, v117, v113
	s_delay_alu instid0(VALU_DEP_1) | instskip(NEXT) | instid1(VALU_DEP_1)
	v_add_f32_e32 v115, v116, v113
	v_mul_f32_e32 v117, v115, v115
	s_delay_alu instid0(VALU_DEP_1) | instskip(SKIP_2) | instid1(VALU_DEP_3)
	v_fmaak_f32 v118, s25, v117, 0x3ecc95a3
	v_mul_f32_e32 v119, v115, v117
	v_cmp_eq_f32_e64 s25, 0x7f800000, v114
	v_fmaak_f32 v117, v117, v118, 0x3f2aaada
	v_ldexp_f32 v118, v115, 1
	v_sub_f32_e32 v115, v115, v116
	s_delay_alu instid0(VALU_DEP_4) | instskip(NEXT) | instid1(VALU_DEP_3)
	s_or_b32 s25, s25, s29
	v_mul_f32_e32 v117, v119, v117
	v_mul_f32_e32 v119, 0x3f317218, v112
	s_delay_alu instid0(VALU_DEP_2) | instskip(NEXT) | instid1(VALU_DEP_1)
	v_dual_sub_f32 v113, v113, v115 :: v_dual_add_f32 v116, v118, v117
	v_ldexp_f32 v113, v113, 1
	s_delay_alu instid0(VALU_DEP_2) | instskip(NEXT) | instid1(VALU_DEP_4)
	v_sub_f32_e32 v115, v116, v118
	v_fma_f32 v118, 0x3f317218, v112, -v119
	s_delay_alu instid0(VALU_DEP_1) | instskip(NEXT) | instid1(VALU_DEP_1)
	v_dual_sub_f32 v115, v117, v115 :: v_dual_fmamk_f32 v112, v112, 0xb102e308, v118
	v_add_f32_e32 v113, v113, v115
	s_delay_alu instid0(VALU_DEP_2) | instskip(NEXT) | instid1(VALU_DEP_2)
	v_add_f32_e32 v115, v119, v112
	v_add_f32_e32 v117, v116, v113
	s_delay_alu instid0(VALU_DEP_2) | instskip(NEXT) | instid1(VALU_DEP_2)
	v_sub_f32_e32 v119, v115, v119
	v_add_f32_e32 v118, v115, v117
	v_sub_f32_e32 v116, v117, v116
	s_delay_alu instid0(VALU_DEP_3) | instskip(NEXT) | instid1(VALU_DEP_2)
	v_sub_f32_e32 v112, v112, v119
	v_dual_sub_f32 v128, v118, v115 :: v_dual_sub_f32 v113, v113, v116
	s_delay_alu instid0(VALU_DEP_1) | instskip(NEXT) | instid1(VALU_DEP_2)
	v_sub_f32_e32 v129, v118, v128
	v_dual_sub_f32 v116, v117, v128 :: v_dual_add_f32 v117, v112, v113
	s_delay_alu instid0(VALU_DEP_2) | instskip(NEXT) | instid1(VALU_DEP_1)
	v_sub_f32_e32 v115, v115, v129
	v_dual_add_f32 v115, v116, v115 :: v_dual_sub_f32 v116, v117, v112
	s_delay_alu instid0(VALU_DEP_1) | instskip(NEXT) | instid1(VALU_DEP_2)
	v_add_f32_e32 v115, v117, v115
	v_sub_f32_e32 v117, v117, v116
	v_sub_f32_e32 v113, v113, v116
	s_delay_alu instid0(VALU_DEP_2) | instskip(NEXT) | instid1(VALU_DEP_1)
	v_dual_add_f32 v119, v118, v115 :: v_dual_sub_f32 v112, v112, v117
	v_sub_f32_e32 v116, v119, v118
	s_delay_alu instid0(VALU_DEP_2) | instskip(NEXT) | instid1(VALU_DEP_2)
	v_add_f32_e32 v112, v113, v112
	v_sub_f32_e32 v113, v115, v116
	s_delay_alu instid0(VALU_DEP_1) | instskip(NEXT) | instid1(VALU_DEP_1)
	v_add_f32_e32 v112, v112, v113
	v_add_f32_e32 v112, v119, v112
	s_delay_alu instid0(VALU_DEP_1) | instskip(NEXT) | instid1(VALU_DEP_1)
	v_cndmask_b32_e64 v112, v112, v114, s25
	v_add_f32_e32 v112, v103, v112
.LBB521_288:
	s_or_b32 exec_lo, exec_lo, s28
	s_delay_alu instid0(VALU_DEP_1) | instskip(SKIP_1) | instid1(VALU_DEP_2)
	v_bfe_u32 v103, v112, 16, 1
	v_cmp_o_f32_e64 s25, v112, v112
	v_add3_u32 v103, v112, v103, 0x7fff
	s_delay_alu instid0(VALU_DEP_1) | instskip(NEXT) | instid1(VALU_DEP_1)
	v_lshrrev_b32_e32 v103, 16, v103
	v_cndmask_b32_e64 v103, 0x7fc0, v103, s25
	s_delay_alu instid0(VALU_DEP_1)
	v_and_b32_e32 v112, 0xffff, v103
.LBB521_289:
	s_or_b32 exec_lo, exec_lo, s27
	s_delay_alu instid0(VALU_DEP_1)
	v_mov_b32_dpp v113, v112 row_shr:2 row_mask:0xf bank_mask:0xf
	s_mov_b32 s27, exec_lo
	v_cmpx_lt_u32_e32 1, v102
	s_cbranch_execz .LBB521_293
; %bb.290:
	v_lshlrev_b32_e32 v103, 16, v112
	s_delay_alu instid0(VALU_DEP_1) | instskip(NEXT) | instid1(VALU_DEP_1)
	v_dual_max_f32 v113, v103, v103 :: v_dual_lshlrev_b32 v112, 16, v113
	v_max_f32_e32 v114, v112, v112
	v_cmp_u_f32_e64 s25, v112, v112
	s_delay_alu instid0(VALU_DEP_2) | instskip(SKIP_1) | instid1(VALU_DEP_2)
	v_min_f32_e32 v115, v114, v113
	v_max_f32_e32 v113, v114, v113
	v_cndmask_b32_e64 v114, v115, v112, s25
	s_delay_alu instid0(VALU_DEP_2) | instskip(SKIP_1) | instid1(VALU_DEP_1)
	v_cndmask_b32_e64 v115, v113, v112, s25
	v_cmp_u_f32_e64 s25, v103, v103
	v_cndmask_b32_e64 v113, v114, v103, s25
	s_delay_alu instid0(VALU_DEP_3) | instskip(NEXT) | instid1(VALU_DEP_2)
	v_cndmask_b32_e64 v103, v115, v103, s25
	v_cmp_class_f32_e64 s28, v113, 0x1f8
	s_delay_alu instid0(VALU_DEP_2) | instskip(NEXT) | instid1(VALU_DEP_1)
	v_cmp_neq_f32_e64 s25, v113, v103
	s_or_b32 s25, s25, s28
	s_delay_alu instid0(SALU_CYCLE_1)
	s_and_saveexec_b32 s28, s25
	s_cbranch_execz .LBB521_292
; %bb.291:
	v_sub_f32_e32 v112, v113, v103
	s_delay_alu instid0(VALU_DEP_1) | instskip(SKIP_1) | instid1(VALU_DEP_2)
	v_mul_f32_e32 v113, 0x3fb8aa3b, v112
	v_cmp_ngt_f32_e64 s25, 0xc2ce8ed0, v112
	v_fma_f32 v114, 0x3fb8aa3b, v112, -v113
	v_rndne_f32_e32 v115, v113
	s_delay_alu instid0(VALU_DEP_1) | instskip(NEXT) | instid1(VALU_DEP_1)
	v_dual_fmamk_f32 v114, v112, 0x32a5705f, v114 :: v_dual_sub_f32 v113, v113, v115
	v_add_f32_e32 v113, v113, v114
	v_cvt_i32_f32_e32 v114, v115
	s_delay_alu instid0(VALU_DEP_2) | instskip(SKIP_2) | instid1(VALU_DEP_1)
	v_exp_f32_e32 v113, v113
	s_waitcnt_depctr 0xfff
	v_ldexp_f32 v113, v113, v114
	v_cndmask_b32_e64 v113, 0, v113, s25
	v_cmp_nlt_f32_e64 s25, 0x42b17218, v112
	s_delay_alu instid0(VALU_DEP_1) | instskip(NEXT) | instid1(VALU_DEP_1)
	v_cndmask_b32_e64 v114, 0x7f800000, v113, s25
	v_add_f32_e32 v115, 1.0, v114
	v_cmp_gt_f32_e64 s29, 0x33800000, |v114|
	s_delay_alu instid0(VALU_DEP_2) | instskip(NEXT) | instid1(VALU_DEP_1)
	v_cvt_f64_f32_e32 v[112:113], v115
	v_frexp_exp_i32_f64_e32 v112, v[112:113]
	v_frexp_mant_f32_e32 v113, v115
	s_delay_alu instid0(VALU_DEP_1) | instskip(SKIP_1) | instid1(VALU_DEP_1)
	v_cmp_gt_f32_e64 s25, 0x3f2aaaab, v113
	v_add_f32_e32 v113, -1.0, v115
	v_sub_f32_e32 v117, v113, v115
	v_sub_f32_e32 v113, v114, v113
	s_delay_alu instid0(VALU_DEP_4) | instskip(SKIP_1) | instid1(VALU_DEP_1)
	v_subrev_co_ci_u32_e64 v112, s25, 0, v112, s25
	s_mov_b32 s25, 0x3e9b6dac
	v_sub_nc_u32_e32 v116, 0, v112
	v_cvt_f32_i32_e32 v112, v112
	s_delay_alu instid0(VALU_DEP_2) | instskip(NEXT) | instid1(VALU_DEP_1)
	v_ldexp_f32 v115, v115, v116
	v_dual_add_f32 v118, 1.0, v115 :: v_dual_add_f32 v117, 1.0, v117
	s_delay_alu instid0(VALU_DEP_1) | instskip(NEXT) | instid1(VALU_DEP_2)
	v_add_f32_e32 v113, v113, v117
	v_add_f32_e32 v117, -1.0, v118
	s_delay_alu instid0(VALU_DEP_2) | instskip(NEXT) | instid1(VALU_DEP_2)
	v_ldexp_f32 v113, v113, v116
	v_dual_add_f32 v116, -1.0, v115 :: v_dual_sub_f32 v117, v115, v117
	s_delay_alu instid0(VALU_DEP_1) | instskip(NEXT) | instid1(VALU_DEP_2)
	v_add_f32_e32 v119, 1.0, v116
	v_add_f32_e32 v117, v113, v117
	s_delay_alu instid0(VALU_DEP_2) | instskip(NEXT) | instid1(VALU_DEP_2)
	v_sub_f32_e32 v115, v115, v119
	v_add_f32_e32 v119, v118, v117
	s_delay_alu instid0(VALU_DEP_2) | instskip(NEXT) | instid1(VALU_DEP_2)
	v_add_f32_e32 v113, v113, v115
	v_rcp_f32_e32 v115, v119
	v_sub_f32_e32 v118, v118, v119
	s_delay_alu instid0(VALU_DEP_1) | instskip(NEXT) | instid1(VALU_DEP_1)
	v_dual_add_f32 v128, v116, v113 :: v_dual_add_f32 v117, v117, v118
	v_sub_f32_e32 v116, v116, v128
	s_waitcnt_depctr 0xfff
	v_mul_f32_e32 v129, v128, v115
	s_delay_alu instid0(VALU_DEP_1) | instskip(NEXT) | instid1(VALU_DEP_1)
	v_dual_add_f32 v113, v113, v116 :: v_dual_mul_f32 v130, v119, v129
	v_fma_f32 v118, v129, v119, -v130
	s_delay_alu instid0(VALU_DEP_1) | instskip(NEXT) | instid1(VALU_DEP_1)
	v_fmac_f32_e32 v118, v129, v117
	v_add_f32_e32 v131, v130, v118
	s_delay_alu instid0(VALU_DEP_1) | instskip(SKIP_1) | instid1(VALU_DEP_2)
	v_sub_f32_e32 v132, v128, v131
	v_sub_f32_e32 v116, v131, v130
	;; [unrolled: 1-line block ×3, first 2 shown]
	s_delay_alu instid0(VALU_DEP_2) | instskip(NEXT) | instid1(VALU_DEP_2)
	v_sub_f32_e32 v116, v116, v118
	v_sub_f32_e32 v128, v128, v131
	s_delay_alu instid0(VALU_DEP_1) | instskip(NEXT) | instid1(VALU_DEP_1)
	v_add_f32_e32 v113, v113, v128
	v_add_f32_e32 v113, v116, v113
	s_delay_alu instid0(VALU_DEP_1) | instskip(NEXT) | instid1(VALU_DEP_1)
	v_add_f32_e32 v116, v132, v113
	v_mul_f32_e32 v118, v115, v116
	s_delay_alu instid0(VALU_DEP_1) | instskip(NEXT) | instid1(VALU_DEP_1)
	v_dual_sub_f32 v131, v132, v116 :: v_dual_mul_f32 v128, v119, v118
	v_add_f32_e32 v113, v113, v131
	s_delay_alu instid0(VALU_DEP_2) | instskip(NEXT) | instid1(VALU_DEP_1)
	v_fma_f32 v119, v118, v119, -v128
	v_fmac_f32_e32 v119, v118, v117
	s_delay_alu instid0(VALU_DEP_1) | instskip(NEXT) | instid1(VALU_DEP_1)
	v_add_f32_e32 v117, v128, v119
	v_sub_f32_e32 v130, v116, v117
	v_sub_f32_e32 v128, v117, v128
	s_delay_alu instid0(VALU_DEP_2) | instskip(NEXT) | instid1(VALU_DEP_1)
	v_sub_f32_e32 v116, v116, v130
	v_sub_f32_e32 v116, v116, v117
	s_delay_alu instid0(VALU_DEP_3) | instskip(NEXT) | instid1(VALU_DEP_2)
	v_sub_f32_e32 v117, v128, v119
	v_add_f32_e32 v113, v113, v116
	v_add_f32_e32 v116, v129, v118
	s_delay_alu instid0(VALU_DEP_2) | instskip(NEXT) | instid1(VALU_DEP_2)
	v_add_f32_e32 v113, v117, v113
	v_sub_f32_e32 v117, v116, v129
	s_delay_alu instid0(VALU_DEP_2) | instskip(NEXT) | instid1(VALU_DEP_2)
	v_add_f32_e32 v113, v130, v113
	v_sub_f32_e32 v117, v118, v117
	s_delay_alu instid0(VALU_DEP_2) | instskip(NEXT) | instid1(VALU_DEP_1)
	v_mul_f32_e32 v113, v115, v113
	v_add_f32_e32 v113, v117, v113
	s_delay_alu instid0(VALU_DEP_1) | instskip(NEXT) | instid1(VALU_DEP_1)
	v_add_f32_e32 v115, v116, v113
	v_mul_f32_e32 v117, v115, v115
	s_delay_alu instid0(VALU_DEP_1) | instskip(SKIP_2) | instid1(VALU_DEP_3)
	v_fmaak_f32 v118, s25, v117, 0x3ecc95a3
	v_mul_f32_e32 v119, v115, v117
	v_cmp_eq_f32_e64 s25, 0x7f800000, v114
	v_fmaak_f32 v117, v117, v118, 0x3f2aaada
	v_ldexp_f32 v118, v115, 1
	v_sub_f32_e32 v115, v115, v116
	s_delay_alu instid0(VALU_DEP_4) | instskip(NEXT) | instid1(VALU_DEP_3)
	s_or_b32 s25, s25, s29
	v_mul_f32_e32 v117, v119, v117
	v_mul_f32_e32 v119, 0x3f317218, v112
	s_delay_alu instid0(VALU_DEP_2) | instskip(NEXT) | instid1(VALU_DEP_1)
	v_dual_sub_f32 v113, v113, v115 :: v_dual_add_f32 v116, v118, v117
	v_ldexp_f32 v113, v113, 1
	s_delay_alu instid0(VALU_DEP_2) | instskip(NEXT) | instid1(VALU_DEP_4)
	v_sub_f32_e32 v115, v116, v118
	v_fma_f32 v118, 0x3f317218, v112, -v119
	s_delay_alu instid0(VALU_DEP_1) | instskip(NEXT) | instid1(VALU_DEP_1)
	v_dual_sub_f32 v115, v117, v115 :: v_dual_fmamk_f32 v112, v112, 0xb102e308, v118
	v_add_f32_e32 v113, v113, v115
	s_delay_alu instid0(VALU_DEP_2) | instskip(NEXT) | instid1(VALU_DEP_2)
	v_add_f32_e32 v115, v119, v112
	v_add_f32_e32 v117, v116, v113
	s_delay_alu instid0(VALU_DEP_2) | instskip(NEXT) | instid1(VALU_DEP_2)
	v_sub_f32_e32 v119, v115, v119
	v_add_f32_e32 v118, v115, v117
	v_sub_f32_e32 v116, v117, v116
	s_delay_alu instid0(VALU_DEP_3) | instskip(NEXT) | instid1(VALU_DEP_2)
	v_sub_f32_e32 v112, v112, v119
	v_dual_sub_f32 v128, v118, v115 :: v_dual_sub_f32 v113, v113, v116
	s_delay_alu instid0(VALU_DEP_1) | instskip(NEXT) | instid1(VALU_DEP_2)
	v_sub_f32_e32 v129, v118, v128
	v_dual_sub_f32 v116, v117, v128 :: v_dual_add_f32 v117, v112, v113
	s_delay_alu instid0(VALU_DEP_2) | instskip(NEXT) | instid1(VALU_DEP_1)
	v_sub_f32_e32 v115, v115, v129
	v_dual_add_f32 v115, v116, v115 :: v_dual_sub_f32 v116, v117, v112
	s_delay_alu instid0(VALU_DEP_1) | instskip(NEXT) | instid1(VALU_DEP_2)
	v_add_f32_e32 v115, v117, v115
	v_sub_f32_e32 v117, v117, v116
	v_sub_f32_e32 v113, v113, v116
	s_delay_alu instid0(VALU_DEP_2) | instskip(NEXT) | instid1(VALU_DEP_1)
	v_dual_add_f32 v119, v118, v115 :: v_dual_sub_f32 v112, v112, v117
	v_sub_f32_e32 v116, v119, v118
	s_delay_alu instid0(VALU_DEP_2) | instskip(NEXT) | instid1(VALU_DEP_2)
	v_add_f32_e32 v112, v113, v112
	v_sub_f32_e32 v113, v115, v116
	s_delay_alu instid0(VALU_DEP_1) | instskip(NEXT) | instid1(VALU_DEP_1)
	v_add_f32_e32 v112, v112, v113
	v_add_f32_e32 v112, v119, v112
	s_delay_alu instid0(VALU_DEP_1) | instskip(NEXT) | instid1(VALU_DEP_1)
	v_cndmask_b32_e64 v112, v112, v114, s25
	v_add_f32_e32 v112, v103, v112
.LBB521_292:
	s_or_b32 exec_lo, exec_lo, s28
	s_delay_alu instid0(VALU_DEP_1) | instskip(SKIP_1) | instid1(VALU_DEP_2)
	v_bfe_u32 v103, v112, 16, 1
	v_cmp_o_f32_e64 s25, v112, v112
	v_add3_u32 v103, v112, v103, 0x7fff
	s_delay_alu instid0(VALU_DEP_1) | instskip(NEXT) | instid1(VALU_DEP_1)
	v_lshrrev_b32_e32 v103, 16, v103
	v_cndmask_b32_e64 v103, 0x7fc0, v103, s25
	s_delay_alu instid0(VALU_DEP_1)
	v_and_b32_e32 v112, 0xffff, v103
.LBB521_293:
	s_or_b32 exec_lo, exec_lo, s27
	s_delay_alu instid0(VALU_DEP_1)
	v_mov_b32_dpp v113, v112 row_shr:4 row_mask:0xf bank_mask:0xf
	s_mov_b32 s27, exec_lo
	v_cmpx_lt_u32_e32 3, v102
	s_cbranch_execz .LBB521_297
; %bb.294:
	v_lshlrev_b32_e32 v103, 16, v112
	s_delay_alu instid0(VALU_DEP_1) | instskip(NEXT) | instid1(VALU_DEP_1)
	v_dual_max_f32 v113, v103, v103 :: v_dual_lshlrev_b32 v112, 16, v113
	v_max_f32_e32 v114, v112, v112
	v_cmp_u_f32_e64 s25, v112, v112
	s_delay_alu instid0(VALU_DEP_2) | instskip(SKIP_1) | instid1(VALU_DEP_2)
	v_min_f32_e32 v115, v114, v113
	v_max_f32_e32 v113, v114, v113
	v_cndmask_b32_e64 v114, v115, v112, s25
	s_delay_alu instid0(VALU_DEP_2) | instskip(SKIP_1) | instid1(VALU_DEP_1)
	v_cndmask_b32_e64 v115, v113, v112, s25
	v_cmp_u_f32_e64 s25, v103, v103
	v_cndmask_b32_e64 v113, v114, v103, s25
	s_delay_alu instid0(VALU_DEP_3) | instskip(NEXT) | instid1(VALU_DEP_2)
	v_cndmask_b32_e64 v103, v115, v103, s25
	v_cmp_class_f32_e64 s28, v113, 0x1f8
	s_delay_alu instid0(VALU_DEP_2) | instskip(NEXT) | instid1(VALU_DEP_1)
	v_cmp_neq_f32_e64 s25, v113, v103
	s_or_b32 s25, s25, s28
	s_delay_alu instid0(SALU_CYCLE_1)
	s_and_saveexec_b32 s28, s25
	s_cbranch_execz .LBB521_296
; %bb.295:
	v_sub_f32_e32 v112, v113, v103
	s_delay_alu instid0(VALU_DEP_1) | instskip(SKIP_1) | instid1(VALU_DEP_2)
	v_mul_f32_e32 v113, 0x3fb8aa3b, v112
	v_cmp_ngt_f32_e64 s25, 0xc2ce8ed0, v112
	v_fma_f32 v114, 0x3fb8aa3b, v112, -v113
	v_rndne_f32_e32 v115, v113
	s_delay_alu instid0(VALU_DEP_1) | instskip(NEXT) | instid1(VALU_DEP_1)
	v_dual_fmamk_f32 v114, v112, 0x32a5705f, v114 :: v_dual_sub_f32 v113, v113, v115
	v_add_f32_e32 v113, v113, v114
	v_cvt_i32_f32_e32 v114, v115
	s_delay_alu instid0(VALU_DEP_2) | instskip(SKIP_2) | instid1(VALU_DEP_1)
	v_exp_f32_e32 v113, v113
	s_waitcnt_depctr 0xfff
	v_ldexp_f32 v113, v113, v114
	v_cndmask_b32_e64 v113, 0, v113, s25
	v_cmp_nlt_f32_e64 s25, 0x42b17218, v112
	s_delay_alu instid0(VALU_DEP_1) | instskip(NEXT) | instid1(VALU_DEP_1)
	v_cndmask_b32_e64 v114, 0x7f800000, v113, s25
	v_add_f32_e32 v115, 1.0, v114
	v_cmp_gt_f32_e64 s29, 0x33800000, |v114|
	s_delay_alu instid0(VALU_DEP_2) | instskip(NEXT) | instid1(VALU_DEP_1)
	v_cvt_f64_f32_e32 v[112:113], v115
	v_frexp_exp_i32_f64_e32 v112, v[112:113]
	v_frexp_mant_f32_e32 v113, v115
	s_delay_alu instid0(VALU_DEP_1) | instskip(SKIP_1) | instid1(VALU_DEP_1)
	v_cmp_gt_f32_e64 s25, 0x3f2aaaab, v113
	v_add_f32_e32 v113, -1.0, v115
	v_sub_f32_e32 v117, v113, v115
	v_sub_f32_e32 v113, v114, v113
	s_delay_alu instid0(VALU_DEP_4) | instskip(SKIP_1) | instid1(VALU_DEP_1)
	v_subrev_co_ci_u32_e64 v112, s25, 0, v112, s25
	s_mov_b32 s25, 0x3e9b6dac
	v_sub_nc_u32_e32 v116, 0, v112
	v_cvt_f32_i32_e32 v112, v112
	s_delay_alu instid0(VALU_DEP_2) | instskip(NEXT) | instid1(VALU_DEP_1)
	v_ldexp_f32 v115, v115, v116
	v_dual_add_f32 v118, 1.0, v115 :: v_dual_add_f32 v117, 1.0, v117
	s_delay_alu instid0(VALU_DEP_1) | instskip(NEXT) | instid1(VALU_DEP_2)
	v_add_f32_e32 v113, v113, v117
	v_add_f32_e32 v117, -1.0, v118
	s_delay_alu instid0(VALU_DEP_2) | instskip(NEXT) | instid1(VALU_DEP_2)
	v_ldexp_f32 v113, v113, v116
	v_dual_add_f32 v116, -1.0, v115 :: v_dual_sub_f32 v117, v115, v117
	s_delay_alu instid0(VALU_DEP_1) | instskip(NEXT) | instid1(VALU_DEP_2)
	v_add_f32_e32 v119, 1.0, v116
	v_add_f32_e32 v117, v113, v117
	s_delay_alu instid0(VALU_DEP_2) | instskip(NEXT) | instid1(VALU_DEP_2)
	v_sub_f32_e32 v115, v115, v119
	v_add_f32_e32 v119, v118, v117
	s_delay_alu instid0(VALU_DEP_2) | instskip(NEXT) | instid1(VALU_DEP_2)
	v_add_f32_e32 v113, v113, v115
	v_rcp_f32_e32 v115, v119
	v_sub_f32_e32 v118, v118, v119
	s_delay_alu instid0(VALU_DEP_1) | instskip(NEXT) | instid1(VALU_DEP_1)
	v_dual_add_f32 v128, v116, v113 :: v_dual_add_f32 v117, v117, v118
	v_sub_f32_e32 v116, v116, v128
	s_waitcnt_depctr 0xfff
	v_mul_f32_e32 v129, v128, v115
	s_delay_alu instid0(VALU_DEP_1) | instskip(NEXT) | instid1(VALU_DEP_1)
	v_dual_add_f32 v113, v113, v116 :: v_dual_mul_f32 v130, v119, v129
	v_fma_f32 v118, v129, v119, -v130
	s_delay_alu instid0(VALU_DEP_1) | instskip(NEXT) | instid1(VALU_DEP_1)
	v_fmac_f32_e32 v118, v129, v117
	v_add_f32_e32 v131, v130, v118
	s_delay_alu instid0(VALU_DEP_1) | instskip(SKIP_1) | instid1(VALU_DEP_2)
	v_sub_f32_e32 v132, v128, v131
	v_sub_f32_e32 v116, v131, v130
	;; [unrolled: 1-line block ×3, first 2 shown]
	s_delay_alu instid0(VALU_DEP_2) | instskip(NEXT) | instid1(VALU_DEP_2)
	v_sub_f32_e32 v116, v116, v118
	v_sub_f32_e32 v128, v128, v131
	s_delay_alu instid0(VALU_DEP_1) | instskip(NEXT) | instid1(VALU_DEP_1)
	v_add_f32_e32 v113, v113, v128
	v_add_f32_e32 v113, v116, v113
	s_delay_alu instid0(VALU_DEP_1) | instskip(NEXT) | instid1(VALU_DEP_1)
	v_add_f32_e32 v116, v132, v113
	v_mul_f32_e32 v118, v115, v116
	s_delay_alu instid0(VALU_DEP_1) | instskip(NEXT) | instid1(VALU_DEP_1)
	v_dual_sub_f32 v131, v132, v116 :: v_dual_mul_f32 v128, v119, v118
	v_add_f32_e32 v113, v113, v131
	s_delay_alu instid0(VALU_DEP_2) | instskip(NEXT) | instid1(VALU_DEP_1)
	v_fma_f32 v119, v118, v119, -v128
	v_fmac_f32_e32 v119, v118, v117
	s_delay_alu instid0(VALU_DEP_1) | instskip(NEXT) | instid1(VALU_DEP_1)
	v_add_f32_e32 v117, v128, v119
	v_sub_f32_e32 v130, v116, v117
	v_sub_f32_e32 v128, v117, v128
	s_delay_alu instid0(VALU_DEP_2) | instskip(NEXT) | instid1(VALU_DEP_1)
	v_sub_f32_e32 v116, v116, v130
	v_sub_f32_e32 v116, v116, v117
	s_delay_alu instid0(VALU_DEP_3) | instskip(NEXT) | instid1(VALU_DEP_2)
	v_sub_f32_e32 v117, v128, v119
	v_add_f32_e32 v113, v113, v116
	v_add_f32_e32 v116, v129, v118
	s_delay_alu instid0(VALU_DEP_2) | instskip(NEXT) | instid1(VALU_DEP_2)
	v_add_f32_e32 v113, v117, v113
	v_sub_f32_e32 v117, v116, v129
	s_delay_alu instid0(VALU_DEP_2) | instskip(NEXT) | instid1(VALU_DEP_2)
	v_add_f32_e32 v113, v130, v113
	v_sub_f32_e32 v117, v118, v117
	s_delay_alu instid0(VALU_DEP_2) | instskip(NEXT) | instid1(VALU_DEP_1)
	v_mul_f32_e32 v113, v115, v113
	v_add_f32_e32 v113, v117, v113
	s_delay_alu instid0(VALU_DEP_1) | instskip(NEXT) | instid1(VALU_DEP_1)
	v_add_f32_e32 v115, v116, v113
	v_mul_f32_e32 v117, v115, v115
	s_delay_alu instid0(VALU_DEP_1) | instskip(SKIP_2) | instid1(VALU_DEP_3)
	v_fmaak_f32 v118, s25, v117, 0x3ecc95a3
	v_mul_f32_e32 v119, v115, v117
	v_cmp_eq_f32_e64 s25, 0x7f800000, v114
	v_fmaak_f32 v117, v117, v118, 0x3f2aaada
	v_ldexp_f32 v118, v115, 1
	v_sub_f32_e32 v115, v115, v116
	s_delay_alu instid0(VALU_DEP_4) | instskip(NEXT) | instid1(VALU_DEP_3)
	s_or_b32 s25, s25, s29
	v_mul_f32_e32 v117, v119, v117
	v_mul_f32_e32 v119, 0x3f317218, v112
	s_delay_alu instid0(VALU_DEP_2) | instskip(NEXT) | instid1(VALU_DEP_1)
	v_dual_sub_f32 v113, v113, v115 :: v_dual_add_f32 v116, v118, v117
	v_ldexp_f32 v113, v113, 1
	s_delay_alu instid0(VALU_DEP_2) | instskip(NEXT) | instid1(VALU_DEP_4)
	v_sub_f32_e32 v115, v116, v118
	v_fma_f32 v118, 0x3f317218, v112, -v119
	s_delay_alu instid0(VALU_DEP_1) | instskip(NEXT) | instid1(VALU_DEP_1)
	v_dual_sub_f32 v115, v117, v115 :: v_dual_fmamk_f32 v112, v112, 0xb102e308, v118
	v_add_f32_e32 v113, v113, v115
	s_delay_alu instid0(VALU_DEP_2) | instskip(NEXT) | instid1(VALU_DEP_2)
	v_add_f32_e32 v115, v119, v112
	v_add_f32_e32 v117, v116, v113
	s_delay_alu instid0(VALU_DEP_2) | instskip(NEXT) | instid1(VALU_DEP_2)
	v_sub_f32_e32 v119, v115, v119
	v_add_f32_e32 v118, v115, v117
	v_sub_f32_e32 v116, v117, v116
	s_delay_alu instid0(VALU_DEP_3) | instskip(NEXT) | instid1(VALU_DEP_2)
	v_sub_f32_e32 v112, v112, v119
	v_dual_sub_f32 v128, v118, v115 :: v_dual_sub_f32 v113, v113, v116
	s_delay_alu instid0(VALU_DEP_1) | instskip(NEXT) | instid1(VALU_DEP_2)
	v_sub_f32_e32 v129, v118, v128
	v_dual_sub_f32 v116, v117, v128 :: v_dual_add_f32 v117, v112, v113
	s_delay_alu instid0(VALU_DEP_2) | instskip(NEXT) | instid1(VALU_DEP_1)
	v_sub_f32_e32 v115, v115, v129
	v_dual_add_f32 v115, v116, v115 :: v_dual_sub_f32 v116, v117, v112
	s_delay_alu instid0(VALU_DEP_1) | instskip(NEXT) | instid1(VALU_DEP_2)
	v_add_f32_e32 v115, v117, v115
	v_sub_f32_e32 v117, v117, v116
	v_sub_f32_e32 v113, v113, v116
	s_delay_alu instid0(VALU_DEP_2) | instskip(NEXT) | instid1(VALU_DEP_1)
	v_dual_add_f32 v119, v118, v115 :: v_dual_sub_f32 v112, v112, v117
	v_sub_f32_e32 v116, v119, v118
	s_delay_alu instid0(VALU_DEP_2) | instskip(NEXT) | instid1(VALU_DEP_2)
	v_add_f32_e32 v112, v113, v112
	v_sub_f32_e32 v113, v115, v116
	s_delay_alu instid0(VALU_DEP_1) | instskip(NEXT) | instid1(VALU_DEP_1)
	v_add_f32_e32 v112, v112, v113
	v_add_f32_e32 v112, v119, v112
	s_delay_alu instid0(VALU_DEP_1) | instskip(NEXT) | instid1(VALU_DEP_1)
	v_cndmask_b32_e64 v112, v112, v114, s25
	v_add_f32_e32 v112, v103, v112
.LBB521_296:
	s_or_b32 exec_lo, exec_lo, s28
	s_delay_alu instid0(VALU_DEP_1) | instskip(SKIP_1) | instid1(VALU_DEP_2)
	v_bfe_u32 v103, v112, 16, 1
	v_cmp_o_f32_e64 s25, v112, v112
	v_add3_u32 v103, v112, v103, 0x7fff
	s_delay_alu instid0(VALU_DEP_1) | instskip(NEXT) | instid1(VALU_DEP_1)
	v_lshrrev_b32_e32 v103, 16, v103
	v_cndmask_b32_e64 v103, 0x7fc0, v103, s25
	s_delay_alu instid0(VALU_DEP_1)
	v_and_b32_e32 v112, 0xffff, v103
.LBB521_297:
	s_or_b32 exec_lo, exec_lo, s27
	s_delay_alu instid0(VALU_DEP_1)
	v_mov_b32_dpp v113, v112 row_shr:8 row_mask:0xf bank_mask:0xf
	s_mov_b32 s27, exec_lo
	v_cmpx_lt_u32_e32 7, v102
	s_cbranch_execz .LBB521_301
; %bb.298:
	s_delay_alu instid0(VALU_DEP_2) | instskip(NEXT) | instid1(VALU_DEP_1)
	v_lshlrev_b32_e32 v103, 16, v113
	v_dual_max_f32 v113, v103, v103 :: v_dual_lshlrev_b32 v102, 16, v112
	s_delay_alu instid0(VALU_DEP_1) | instskip(SKIP_1) | instid1(VALU_DEP_2)
	v_max_f32_e32 v112, v102, v102
	v_cmp_u_f32_e64 s25, v103, v103
	v_min_f32_e32 v114, v113, v112
	v_max_f32_e32 v112, v113, v112
	s_delay_alu instid0(VALU_DEP_2) | instskip(NEXT) | instid1(VALU_DEP_2)
	v_cndmask_b32_e64 v113, v114, v103, s25
	v_cndmask_b32_e64 v114, v112, v103, s25
	v_cmp_u_f32_e64 s25, v102, v102
	s_delay_alu instid0(VALU_DEP_1) | instskip(NEXT) | instid1(VALU_DEP_3)
	v_cndmask_b32_e64 v112, v113, v102, s25
	v_cndmask_b32_e64 v102, v114, v102, s25
	s_delay_alu instid0(VALU_DEP_2) | instskip(NEXT) | instid1(VALU_DEP_2)
	v_cmp_class_f32_e64 s28, v112, 0x1f8
	v_cmp_neq_f32_e64 s25, v112, v102
	s_delay_alu instid0(VALU_DEP_1) | instskip(NEXT) | instid1(SALU_CYCLE_1)
	s_or_b32 s25, s25, s28
	s_and_saveexec_b32 s28, s25
	s_cbranch_execz .LBB521_300
; %bb.299:
	v_sub_f32_e32 v103, v112, v102
	s_delay_alu instid0(VALU_DEP_1) | instskip(SKIP_1) | instid1(VALU_DEP_2)
	v_mul_f32_e32 v112, 0x3fb8aa3b, v103
	v_cmp_ngt_f32_e64 s25, 0xc2ce8ed0, v103
	v_fma_f32 v113, 0x3fb8aa3b, v103, -v112
	v_rndne_f32_e32 v114, v112
	s_delay_alu instid0(VALU_DEP_1) | instskip(NEXT) | instid1(VALU_DEP_1)
	v_dual_fmamk_f32 v113, v103, 0x32a5705f, v113 :: v_dual_sub_f32 v112, v112, v114
	v_add_f32_e32 v112, v112, v113
	v_cvt_i32_f32_e32 v113, v114
	s_delay_alu instid0(VALU_DEP_2) | instskip(SKIP_2) | instid1(VALU_DEP_1)
	v_exp_f32_e32 v112, v112
	s_waitcnt_depctr 0xfff
	v_ldexp_f32 v112, v112, v113
	v_cndmask_b32_e64 v112, 0, v112, s25
	v_cmp_nlt_f32_e64 s25, 0x42b17218, v103
	s_delay_alu instid0(VALU_DEP_1) | instskip(NEXT) | instid1(VALU_DEP_1)
	v_cndmask_b32_e64 v103, 0x7f800000, v112, s25
	v_add_f32_e32 v114, 1.0, v103
	v_cmp_gt_f32_e64 s29, 0x33800000, |v103|
	s_delay_alu instid0(VALU_DEP_2) | instskip(NEXT) | instid1(VALU_DEP_1)
	v_cvt_f64_f32_e32 v[112:113], v114
	v_frexp_exp_i32_f64_e32 v112, v[112:113]
	v_frexp_mant_f32_e32 v113, v114
	s_delay_alu instid0(VALU_DEP_1) | instskip(SKIP_1) | instid1(VALU_DEP_1)
	v_cmp_gt_f32_e64 s25, 0x3f2aaaab, v113
	v_add_f32_e32 v113, -1.0, v114
	v_dual_sub_f32 v116, v113, v114 :: v_dual_sub_f32 v113, v103, v113
	s_delay_alu instid0(VALU_DEP_1) | instskip(NEXT) | instid1(VALU_DEP_4)
	v_add_f32_e32 v116, 1.0, v116
	v_subrev_co_ci_u32_e64 v112, s25, 0, v112, s25
	s_mov_b32 s25, 0x3e9b6dac
	s_delay_alu instid0(VALU_DEP_1) | instskip(SKIP_1) | instid1(VALU_DEP_2)
	v_sub_nc_u32_e32 v115, 0, v112
	v_cvt_f32_i32_e32 v112, v112
	v_ldexp_f32 v114, v114, v115
	s_delay_alu instid0(VALU_DEP_1) | instskip(NEXT) | instid1(VALU_DEP_1)
	v_add_f32_e32 v117, 1.0, v114
	v_dual_add_f32 v113, v113, v116 :: v_dual_add_f32 v116, -1.0, v117
	s_delay_alu instid0(VALU_DEP_1) | instskip(NEXT) | instid1(VALU_DEP_2)
	v_ldexp_f32 v113, v113, v115
	v_dual_add_f32 v115, -1.0, v114 :: v_dual_sub_f32 v116, v114, v116
	s_delay_alu instid0(VALU_DEP_1) | instskip(NEXT) | instid1(VALU_DEP_2)
	v_add_f32_e32 v118, 1.0, v115
	v_add_f32_e32 v116, v113, v116
	s_delay_alu instid0(VALU_DEP_2) | instskip(NEXT) | instid1(VALU_DEP_1)
	v_sub_f32_e32 v114, v114, v118
	v_add_f32_e32 v113, v113, v114
	s_delay_alu instid0(VALU_DEP_1) | instskip(NEXT) | instid1(VALU_DEP_1)
	v_dual_add_f32 v119, v115, v113 :: v_dual_add_f32 v118, v117, v116
	v_sub_f32_e32 v115, v115, v119
	s_delay_alu instid0(VALU_DEP_2) | instskip(SKIP_1) | instid1(VALU_DEP_1)
	v_rcp_f32_e32 v114, v118
	v_sub_f32_e32 v117, v117, v118
	v_dual_add_f32 v113, v113, v115 :: v_dual_add_f32 v116, v116, v117
	s_waitcnt_depctr 0xfff
	v_mul_f32_e32 v128, v119, v114
	s_delay_alu instid0(VALU_DEP_1) | instskip(NEXT) | instid1(VALU_DEP_1)
	v_mul_f32_e32 v129, v118, v128
	v_fma_f32 v117, v128, v118, -v129
	s_delay_alu instid0(VALU_DEP_1) | instskip(NEXT) | instid1(VALU_DEP_1)
	v_fmac_f32_e32 v117, v128, v116
	v_add_f32_e32 v130, v129, v117
	s_delay_alu instid0(VALU_DEP_1) | instskip(NEXT) | instid1(VALU_DEP_1)
	v_sub_f32_e32 v131, v119, v130
	v_sub_f32_e32 v119, v119, v131
	;; [unrolled: 1-line block ×3, first 2 shown]
	s_delay_alu instid0(VALU_DEP_2) | instskip(NEXT) | instid1(VALU_DEP_2)
	v_sub_f32_e32 v119, v119, v130
	v_sub_f32_e32 v115, v115, v117
	s_delay_alu instid0(VALU_DEP_2) | instskip(NEXT) | instid1(VALU_DEP_1)
	v_add_f32_e32 v113, v113, v119
	v_add_f32_e32 v113, v115, v113
	s_delay_alu instid0(VALU_DEP_1) | instskip(NEXT) | instid1(VALU_DEP_1)
	v_add_f32_e32 v115, v131, v113
	v_mul_f32_e32 v117, v114, v115
	s_delay_alu instid0(VALU_DEP_1) | instskip(NEXT) | instid1(VALU_DEP_1)
	v_dual_sub_f32 v130, v131, v115 :: v_dual_mul_f32 v119, v118, v117
	v_add_f32_e32 v113, v113, v130
	s_delay_alu instid0(VALU_DEP_2) | instskip(NEXT) | instid1(VALU_DEP_1)
	v_fma_f32 v118, v117, v118, -v119
	v_fmac_f32_e32 v118, v117, v116
	s_delay_alu instid0(VALU_DEP_1) | instskip(NEXT) | instid1(VALU_DEP_1)
	v_add_f32_e32 v116, v119, v118
	v_sub_f32_e32 v129, v115, v116
	v_sub_f32_e32 v119, v116, v119
	s_delay_alu instid0(VALU_DEP_2) | instskip(NEXT) | instid1(VALU_DEP_1)
	v_sub_f32_e32 v115, v115, v129
	v_sub_f32_e32 v115, v115, v116
	s_delay_alu instid0(VALU_DEP_1) | instskip(SKIP_1) | instid1(VALU_DEP_1)
	v_dual_sub_f32 v116, v119, v118 :: v_dual_add_f32 v113, v113, v115
	v_add_f32_e32 v115, v128, v117
	v_dual_add_f32 v113, v116, v113 :: v_dual_sub_f32 v116, v115, v128
	s_delay_alu instid0(VALU_DEP_1) | instskip(NEXT) | instid1(VALU_DEP_1)
	v_add_f32_e32 v113, v129, v113
	v_dual_sub_f32 v116, v117, v116 :: v_dual_mul_f32 v113, v114, v113
	s_delay_alu instid0(VALU_DEP_1) | instskip(NEXT) | instid1(VALU_DEP_1)
	v_add_f32_e32 v113, v116, v113
	v_add_f32_e32 v114, v115, v113
	s_delay_alu instid0(VALU_DEP_1) | instskip(NEXT) | instid1(VALU_DEP_1)
	v_mul_f32_e32 v116, v114, v114
	v_fmaak_f32 v117, s25, v116, 0x3ecc95a3
	v_mul_f32_e32 v118, v114, v116
	v_cmp_eq_f32_e64 s25, 0x7f800000, v103
	s_delay_alu instid0(VALU_DEP_3) | instskip(SKIP_2) | instid1(VALU_DEP_4)
	v_fmaak_f32 v116, v116, v117, 0x3f2aaada
	v_ldexp_f32 v117, v114, 1
	v_sub_f32_e32 v114, v114, v115
	s_or_b32 s25, s25, s29
	s_delay_alu instid0(VALU_DEP_3) | instskip(NEXT) | instid1(VALU_DEP_2)
	v_mul_f32_e32 v116, v118, v116
	v_dual_mul_f32 v118, 0x3f317218, v112 :: v_dual_sub_f32 v113, v113, v114
	s_delay_alu instid0(VALU_DEP_2) | instskip(NEXT) | instid1(VALU_DEP_2)
	v_add_f32_e32 v115, v117, v116
	v_ldexp_f32 v113, v113, 1
	s_delay_alu instid0(VALU_DEP_2) | instskip(NEXT) | instid1(VALU_DEP_4)
	v_sub_f32_e32 v114, v115, v117
	v_fma_f32 v117, 0x3f317218, v112, -v118
	s_delay_alu instid0(VALU_DEP_2) | instskip(NEXT) | instid1(VALU_DEP_1)
	v_sub_f32_e32 v114, v116, v114
	v_dual_fmamk_f32 v112, v112, 0xb102e308, v117 :: v_dual_add_f32 v113, v113, v114
	s_delay_alu instid0(VALU_DEP_1) | instskip(NEXT) | instid1(VALU_DEP_1)
	v_add_f32_e32 v114, v118, v112
	v_sub_f32_e32 v118, v114, v118
	s_delay_alu instid0(VALU_DEP_1) | instskip(NEXT) | instid1(VALU_DEP_4)
	v_sub_f32_e32 v112, v112, v118
	v_add_f32_e32 v116, v115, v113
	s_delay_alu instid0(VALU_DEP_1) | instskip(NEXT) | instid1(VALU_DEP_1)
	v_sub_f32_e32 v115, v116, v115
	v_sub_f32_e32 v113, v113, v115
	v_add_f32_e32 v117, v114, v116
	s_delay_alu instid0(VALU_DEP_1) | instskip(NEXT) | instid1(VALU_DEP_1)
	v_sub_f32_e32 v119, v117, v114
	v_sub_f32_e32 v115, v116, v119
	s_delay_alu instid0(VALU_DEP_4) | instskip(SKIP_1) | instid1(VALU_DEP_1)
	v_add_f32_e32 v116, v112, v113
	v_sub_f32_e32 v128, v117, v119
	v_sub_f32_e32 v114, v114, v128
	s_delay_alu instid0(VALU_DEP_1) | instskip(NEXT) | instid1(VALU_DEP_1)
	v_dual_add_f32 v114, v115, v114 :: v_dual_sub_f32 v115, v116, v112
	v_dual_add_f32 v114, v116, v114 :: v_dual_sub_f32 v113, v113, v115
	v_sub_f32_e32 v116, v116, v115
	s_delay_alu instid0(VALU_DEP_2) | instskip(NEXT) | instid1(VALU_DEP_1)
	v_add_f32_e32 v118, v117, v114
	v_dual_sub_f32 v112, v112, v116 :: v_dual_sub_f32 v115, v118, v117
	s_delay_alu instid0(VALU_DEP_1) | instskip(NEXT) | instid1(VALU_DEP_1)
	v_dual_add_f32 v112, v113, v112 :: v_dual_sub_f32 v113, v114, v115
	v_add_f32_e32 v112, v112, v113
	s_delay_alu instid0(VALU_DEP_1) | instskip(NEXT) | instid1(VALU_DEP_1)
	v_add_f32_e32 v112, v118, v112
	v_cndmask_b32_e64 v103, v112, v103, s25
	s_delay_alu instid0(VALU_DEP_1)
	v_add_f32_e32 v103, v102, v103
.LBB521_300:
	s_or_b32 exec_lo, exec_lo, s28
	s_delay_alu instid0(VALU_DEP_1) | instskip(SKIP_1) | instid1(VALU_DEP_2)
	v_bfe_u32 v102, v103, 16, 1
	v_cmp_o_f32_e64 s25, v103, v103
	v_add3_u32 v102, v103, v102, 0x7fff
	s_delay_alu instid0(VALU_DEP_1) | instskip(NEXT) | instid1(VALU_DEP_1)
	v_lshrrev_b32_e32 v102, 16, v102
	v_cndmask_b32_e64 v103, 0x7fc0, v102, s25
	s_delay_alu instid0(VALU_DEP_1)
	v_and_b32_e32 v112, 0xffff, v103
.LBB521_301:
	s_or_b32 exec_lo, exec_lo, s27
	ds_swizzle_b32 v102, v112 offset:swizzle(BROADCAST,32,15)
	v_and_b32_e32 v113, 16, v101
	s_mov_b32 s27, exec_lo
	s_delay_alu instid0(VALU_DEP_1)
	v_cmpx_ne_u32_e32 0, v113
	s_cbranch_execz .LBB521_305
; %bb.302:
	s_waitcnt lgkmcnt(0)
	v_lshlrev_b32_e32 v103, 16, v102
	s_delay_alu instid0(VALU_DEP_1) | instskip(NEXT) | instid1(VALU_DEP_1)
	v_dual_max_f32 v112, v103, v103 :: v_dual_lshlrev_b32 v113, 16, v112
	v_max_f32_e32 v102, v113, v113
	v_cmp_u_f32_e64 s25, v103, v103
	s_delay_alu instid0(VALU_DEP_2) | instskip(SKIP_1) | instid1(VALU_DEP_2)
	v_min_f32_e32 v114, v112, v102
	v_max_f32_e32 v102, v112, v102
	v_cndmask_b32_e64 v112, v114, v103, s25
	s_delay_alu instid0(VALU_DEP_2) | instskip(SKIP_1) | instid1(VALU_DEP_1)
	v_cndmask_b32_e64 v102, v102, v103, s25
	v_cmp_u_f32_e64 s25, v113, v113
	v_cndmask_b32_e64 v112, v112, v113, s25
	s_delay_alu instid0(VALU_DEP_3) | instskip(NEXT) | instid1(VALU_DEP_2)
	v_cndmask_b32_e64 v102, v102, v113, s25
	v_cmp_class_f32_e64 s28, v112, 0x1f8
	s_delay_alu instid0(VALU_DEP_2) | instskip(NEXT) | instid1(VALU_DEP_1)
	v_cmp_neq_f32_e64 s25, v112, v102
	s_or_b32 s25, s25, s28
	s_delay_alu instid0(SALU_CYCLE_1)
	s_and_saveexec_b32 s28, s25
	s_cbranch_execz .LBB521_304
; %bb.303:
	v_sub_f32_e32 v103, v112, v102
	s_delay_alu instid0(VALU_DEP_1) | instskip(SKIP_1) | instid1(VALU_DEP_2)
	v_mul_f32_e32 v112, 0x3fb8aa3b, v103
	v_cmp_ngt_f32_e64 s25, 0xc2ce8ed0, v103
	v_fma_f32 v113, 0x3fb8aa3b, v103, -v112
	v_rndne_f32_e32 v114, v112
	s_delay_alu instid0(VALU_DEP_1) | instskip(NEXT) | instid1(VALU_DEP_1)
	v_dual_fmamk_f32 v113, v103, 0x32a5705f, v113 :: v_dual_sub_f32 v112, v112, v114
	v_add_f32_e32 v112, v112, v113
	v_cvt_i32_f32_e32 v113, v114
	s_delay_alu instid0(VALU_DEP_2) | instskip(SKIP_2) | instid1(VALU_DEP_1)
	v_exp_f32_e32 v112, v112
	s_waitcnt_depctr 0xfff
	v_ldexp_f32 v112, v112, v113
	v_cndmask_b32_e64 v112, 0, v112, s25
	v_cmp_nlt_f32_e64 s25, 0x42b17218, v103
	s_delay_alu instid0(VALU_DEP_1) | instskip(NEXT) | instid1(VALU_DEP_1)
	v_cndmask_b32_e64 v103, 0x7f800000, v112, s25
	v_add_f32_e32 v114, 1.0, v103
	v_cmp_gt_f32_e64 s29, 0x33800000, |v103|
	s_delay_alu instid0(VALU_DEP_2) | instskip(NEXT) | instid1(VALU_DEP_1)
	v_cvt_f64_f32_e32 v[112:113], v114
	v_frexp_exp_i32_f64_e32 v112, v[112:113]
	v_frexp_mant_f32_e32 v113, v114
	s_delay_alu instid0(VALU_DEP_1) | instskip(SKIP_1) | instid1(VALU_DEP_1)
	v_cmp_gt_f32_e64 s25, 0x3f2aaaab, v113
	v_add_f32_e32 v113, -1.0, v114
	v_dual_sub_f32 v116, v113, v114 :: v_dual_sub_f32 v113, v103, v113
	s_delay_alu instid0(VALU_DEP_1) | instskip(NEXT) | instid1(VALU_DEP_4)
	v_add_f32_e32 v116, 1.0, v116
	v_subrev_co_ci_u32_e64 v112, s25, 0, v112, s25
	s_mov_b32 s25, 0x3e9b6dac
	s_delay_alu instid0(VALU_DEP_1) | instskip(SKIP_1) | instid1(VALU_DEP_2)
	v_sub_nc_u32_e32 v115, 0, v112
	v_cvt_f32_i32_e32 v112, v112
	v_ldexp_f32 v114, v114, v115
	s_delay_alu instid0(VALU_DEP_1) | instskip(NEXT) | instid1(VALU_DEP_1)
	v_add_f32_e32 v117, 1.0, v114
	v_dual_add_f32 v113, v113, v116 :: v_dual_add_f32 v116, -1.0, v117
	s_delay_alu instid0(VALU_DEP_1) | instskip(NEXT) | instid1(VALU_DEP_2)
	v_ldexp_f32 v113, v113, v115
	v_dual_add_f32 v115, -1.0, v114 :: v_dual_sub_f32 v116, v114, v116
	s_delay_alu instid0(VALU_DEP_1) | instskip(NEXT) | instid1(VALU_DEP_2)
	v_add_f32_e32 v118, 1.0, v115
	v_add_f32_e32 v116, v113, v116
	s_delay_alu instid0(VALU_DEP_2) | instskip(NEXT) | instid1(VALU_DEP_1)
	v_sub_f32_e32 v114, v114, v118
	v_add_f32_e32 v113, v113, v114
	s_delay_alu instid0(VALU_DEP_1) | instskip(NEXT) | instid1(VALU_DEP_1)
	v_dual_add_f32 v119, v115, v113 :: v_dual_add_f32 v118, v117, v116
	v_sub_f32_e32 v115, v115, v119
	s_delay_alu instid0(VALU_DEP_2) | instskip(SKIP_1) | instid1(VALU_DEP_1)
	v_rcp_f32_e32 v114, v118
	v_sub_f32_e32 v117, v117, v118
	v_dual_add_f32 v113, v113, v115 :: v_dual_add_f32 v116, v116, v117
	s_waitcnt_depctr 0xfff
	v_mul_f32_e32 v128, v119, v114
	s_delay_alu instid0(VALU_DEP_1) | instskip(NEXT) | instid1(VALU_DEP_1)
	v_mul_f32_e32 v129, v118, v128
	v_fma_f32 v117, v128, v118, -v129
	s_delay_alu instid0(VALU_DEP_1) | instskip(NEXT) | instid1(VALU_DEP_1)
	v_fmac_f32_e32 v117, v128, v116
	v_add_f32_e32 v130, v129, v117
	s_delay_alu instid0(VALU_DEP_1) | instskip(NEXT) | instid1(VALU_DEP_1)
	v_sub_f32_e32 v131, v119, v130
	v_sub_f32_e32 v119, v119, v131
	;; [unrolled: 1-line block ×3, first 2 shown]
	s_delay_alu instid0(VALU_DEP_2) | instskip(NEXT) | instid1(VALU_DEP_2)
	v_sub_f32_e32 v119, v119, v130
	v_sub_f32_e32 v115, v115, v117
	s_delay_alu instid0(VALU_DEP_2) | instskip(NEXT) | instid1(VALU_DEP_1)
	v_add_f32_e32 v113, v113, v119
	v_add_f32_e32 v113, v115, v113
	s_delay_alu instid0(VALU_DEP_1) | instskip(NEXT) | instid1(VALU_DEP_1)
	v_add_f32_e32 v115, v131, v113
	v_mul_f32_e32 v117, v114, v115
	s_delay_alu instid0(VALU_DEP_1) | instskip(NEXT) | instid1(VALU_DEP_1)
	v_dual_sub_f32 v130, v131, v115 :: v_dual_mul_f32 v119, v118, v117
	v_add_f32_e32 v113, v113, v130
	s_delay_alu instid0(VALU_DEP_2) | instskip(NEXT) | instid1(VALU_DEP_1)
	v_fma_f32 v118, v117, v118, -v119
	v_fmac_f32_e32 v118, v117, v116
	s_delay_alu instid0(VALU_DEP_1) | instskip(NEXT) | instid1(VALU_DEP_1)
	v_add_f32_e32 v116, v119, v118
	v_sub_f32_e32 v129, v115, v116
	v_sub_f32_e32 v119, v116, v119
	s_delay_alu instid0(VALU_DEP_2) | instskip(NEXT) | instid1(VALU_DEP_1)
	v_sub_f32_e32 v115, v115, v129
	v_sub_f32_e32 v115, v115, v116
	s_delay_alu instid0(VALU_DEP_1) | instskip(SKIP_1) | instid1(VALU_DEP_1)
	v_dual_sub_f32 v116, v119, v118 :: v_dual_add_f32 v113, v113, v115
	v_add_f32_e32 v115, v128, v117
	v_dual_add_f32 v113, v116, v113 :: v_dual_sub_f32 v116, v115, v128
	s_delay_alu instid0(VALU_DEP_1) | instskip(NEXT) | instid1(VALU_DEP_1)
	v_add_f32_e32 v113, v129, v113
	v_dual_sub_f32 v116, v117, v116 :: v_dual_mul_f32 v113, v114, v113
	s_delay_alu instid0(VALU_DEP_1) | instskip(NEXT) | instid1(VALU_DEP_1)
	v_add_f32_e32 v113, v116, v113
	v_add_f32_e32 v114, v115, v113
	s_delay_alu instid0(VALU_DEP_1) | instskip(NEXT) | instid1(VALU_DEP_1)
	v_mul_f32_e32 v116, v114, v114
	v_fmaak_f32 v117, s25, v116, 0x3ecc95a3
	v_mul_f32_e32 v118, v114, v116
	v_cmp_eq_f32_e64 s25, 0x7f800000, v103
	s_delay_alu instid0(VALU_DEP_3) | instskip(SKIP_2) | instid1(VALU_DEP_4)
	v_fmaak_f32 v116, v116, v117, 0x3f2aaada
	v_ldexp_f32 v117, v114, 1
	v_sub_f32_e32 v114, v114, v115
	s_or_b32 s25, s25, s29
	s_delay_alu instid0(VALU_DEP_3) | instskip(NEXT) | instid1(VALU_DEP_2)
	v_mul_f32_e32 v116, v118, v116
	v_dual_mul_f32 v118, 0x3f317218, v112 :: v_dual_sub_f32 v113, v113, v114
	s_delay_alu instid0(VALU_DEP_2) | instskip(NEXT) | instid1(VALU_DEP_2)
	v_add_f32_e32 v115, v117, v116
	v_ldexp_f32 v113, v113, 1
	s_delay_alu instid0(VALU_DEP_2) | instskip(NEXT) | instid1(VALU_DEP_4)
	v_sub_f32_e32 v114, v115, v117
	v_fma_f32 v117, 0x3f317218, v112, -v118
	s_delay_alu instid0(VALU_DEP_2) | instskip(NEXT) | instid1(VALU_DEP_1)
	v_sub_f32_e32 v114, v116, v114
	v_dual_fmamk_f32 v112, v112, 0xb102e308, v117 :: v_dual_add_f32 v113, v113, v114
	s_delay_alu instid0(VALU_DEP_1) | instskip(NEXT) | instid1(VALU_DEP_1)
	v_add_f32_e32 v114, v118, v112
	v_sub_f32_e32 v118, v114, v118
	s_delay_alu instid0(VALU_DEP_1) | instskip(NEXT) | instid1(VALU_DEP_4)
	v_sub_f32_e32 v112, v112, v118
	v_add_f32_e32 v116, v115, v113
	s_delay_alu instid0(VALU_DEP_1) | instskip(NEXT) | instid1(VALU_DEP_1)
	v_sub_f32_e32 v115, v116, v115
	v_sub_f32_e32 v113, v113, v115
	v_add_f32_e32 v117, v114, v116
	s_delay_alu instid0(VALU_DEP_1) | instskip(NEXT) | instid1(VALU_DEP_1)
	v_sub_f32_e32 v119, v117, v114
	v_sub_f32_e32 v115, v116, v119
	s_delay_alu instid0(VALU_DEP_4) | instskip(SKIP_1) | instid1(VALU_DEP_1)
	v_add_f32_e32 v116, v112, v113
	v_sub_f32_e32 v128, v117, v119
	v_sub_f32_e32 v114, v114, v128
	s_delay_alu instid0(VALU_DEP_1) | instskip(NEXT) | instid1(VALU_DEP_1)
	v_dual_add_f32 v114, v115, v114 :: v_dual_sub_f32 v115, v116, v112
	v_dual_add_f32 v114, v116, v114 :: v_dual_sub_f32 v113, v113, v115
	v_sub_f32_e32 v116, v116, v115
	s_delay_alu instid0(VALU_DEP_2) | instskip(NEXT) | instid1(VALU_DEP_1)
	v_add_f32_e32 v118, v117, v114
	v_dual_sub_f32 v112, v112, v116 :: v_dual_sub_f32 v115, v118, v117
	s_delay_alu instid0(VALU_DEP_1) | instskip(NEXT) | instid1(VALU_DEP_1)
	v_dual_add_f32 v112, v113, v112 :: v_dual_sub_f32 v113, v114, v115
	v_add_f32_e32 v112, v112, v113
	s_delay_alu instid0(VALU_DEP_1) | instskip(NEXT) | instid1(VALU_DEP_1)
	v_add_f32_e32 v112, v118, v112
	v_cndmask_b32_e64 v103, v112, v103, s25
	s_delay_alu instid0(VALU_DEP_1)
	v_add_f32_e32 v103, v102, v103
.LBB521_304:
	s_or_b32 exec_lo, exec_lo, s28
	s_delay_alu instid0(VALU_DEP_1) | instskip(SKIP_1) | instid1(VALU_DEP_2)
	v_bfe_u32 v102, v103, 16, 1
	v_cmp_o_f32_e64 s25, v103, v103
	v_add3_u32 v102, v103, v102, 0x7fff
	s_delay_alu instid0(VALU_DEP_1) | instskip(NEXT) | instid1(VALU_DEP_1)
	v_lshrrev_b32_e32 v102, 16, v102
	v_cndmask_b32_e64 v103, 0x7fc0, v102, s25
.LBB521_305:
	s_or_b32 exec_lo, exec_lo, s27
	s_waitcnt lgkmcnt(0)
	v_add_nc_u32_e32 v102, -1, v101
	s_delay_alu instid0(VALU_DEP_1) | instskip(NEXT) | instid1(VALU_DEP_1)
	v_cmp_gt_i32_e64 s25, 0, v102
	v_cndmask_b32_e64 v101, v102, v101, s25
	v_and_b32_e32 v102, 0xffff, v103
	s_delay_alu instid0(VALU_DEP_2) | instskip(SKIP_3) | instid1(VALU_DEP_1)
	v_lshlrev_b32_e32 v101, 2, v101
	ds_bpermute_b32 v101, v101, v102
	s_waitcnt lgkmcnt(0)
	v_lshlrev_b32_e32 v101, 16, v101
	v_max_f32_e32 v102, v101, v101
	v_cmp_u_f32_e64 s25, v101, v101
	s_delay_alu instid0(VALU_DEP_2) | instskip(SKIP_1) | instid1(VALU_DEP_2)
	v_min_f32_e32 v103, v102, v100
	v_max_f32_e32 v100, v102, v100
	v_cndmask_b32_e64 v102, v103, v101, s25
	s_delay_alu instid0(VALU_DEP_2) | instskip(NEXT) | instid1(VALU_DEP_2)
	v_cndmask_b32_e64 v103, v100, v101, s25
	v_cndmask_b32_e64 v100, v102, v99, s24
	s_delay_alu instid0(VALU_DEP_2) | instskip(NEXT) | instid1(VALU_DEP_2)
	v_cndmask_b32_e64 v99, v103, v99, s24
	v_cmp_class_f32_e64 s25, v100, 0x1f8
	s_delay_alu instid0(VALU_DEP_2) | instskip(NEXT) | instid1(VALU_DEP_1)
	v_cmp_neq_f32_e64 s24, v100, v99
	s_or_b32 s24, s24, s25
	s_delay_alu instid0(SALU_CYCLE_1)
	s_and_saveexec_b32 s25, s24
	s_cbranch_execz .LBB521_307
; %bb.306:
	v_sub_f32_e32 v100, v100, v99
	s_delay_alu instid0(VALU_DEP_1) | instskip(NEXT) | instid1(VALU_DEP_1)
	v_mul_f32_e32 v101, 0x3fb8aa3b, v100
	v_fma_f32 v102, 0x3fb8aa3b, v100, -v101
	v_rndne_f32_e32 v103, v101
	s_delay_alu instid0(VALU_DEP_1) | instskip(NEXT) | instid1(VALU_DEP_1)
	v_dual_fmamk_f32 v102, v100, 0x32a5705f, v102 :: v_dual_sub_f32 v101, v101, v103
	v_add_f32_e32 v101, v101, v102
	v_cvt_i32_f32_e32 v102, v103
	v_cmp_ngt_f32_e64 s24, 0xc2ce8ed0, v100
	s_delay_alu instid0(VALU_DEP_3) | instskip(SKIP_2) | instid1(VALU_DEP_1)
	v_exp_f32_e32 v101, v101
	s_waitcnt_depctr 0xfff
	v_ldexp_f32 v101, v101, v102
	v_cndmask_b32_e64 v101, 0, v101, s24
	v_cmp_nlt_f32_e64 s24, 0x42b17218, v100
	s_delay_alu instid0(VALU_DEP_1) | instskip(NEXT) | instid1(VALU_DEP_1)
	v_cndmask_b32_e64 v102, 0x7f800000, v101, s24
	v_add_f32_e32 v103, 1.0, v102
	v_cmp_gt_f32_e64 s27, 0x33800000, |v102|
	s_delay_alu instid0(VALU_DEP_2) | instskip(NEXT) | instid1(VALU_DEP_1)
	v_cvt_f64_f32_e32 v[100:101], v103
	v_frexp_exp_i32_f64_e32 v100, v[100:101]
	v_frexp_mant_f32_e32 v101, v103
	s_delay_alu instid0(VALU_DEP_1) | instskip(SKIP_1) | instid1(VALU_DEP_1)
	v_cmp_gt_f32_e64 s24, 0x3f2aaaab, v101
	v_add_f32_e32 v101, -1.0, v103
	v_sub_f32_e32 v113, v101, v103
	s_delay_alu instid0(VALU_DEP_3) | instskip(SKIP_1) | instid1(VALU_DEP_1)
	v_subrev_co_ci_u32_e64 v100, s24, 0, v100, s24
	s_mov_b32 s24, 0x3e9b6dac
	v_sub_nc_u32_e32 v112, 0, v100
	v_cvt_f32_i32_e32 v100, v100
	s_delay_alu instid0(VALU_DEP_2) | instskip(NEXT) | instid1(VALU_DEP_1)
	v_ldexp_f32 v103, v103, v112
	v_dual_sub_f32 v101, v102, v101 :: v_dual_add_f32 v114, 1.0, v103
	v_add_f32_e32 v113, 1.0, v113
	s_delay_alu instid0(VALU_DEP_1) | instskip(NEXT) | instid1(VALU_DEP_3)
	v_add_f32_e32 v101, v101, v113
	v_add_f32_e32 v113, -1.0, v114
	s_delay_alu instid0(VALU_DEP_2) | instskip(NEXT) | instid1(VALU_DEP_2)
	v_ldexp_f32 v101, v101, v112
	v_dual_add_f32 v112, -1.0, v103 :: v_dual_sub_f32 v113, v103, v113
	s_delay_alu instid0(VALU_DEP_1) | instskip(NEXT) | instid1(VALU_DEP_2)
	v_add_f32_e32 v115, 1.0, v112
	v_add_f32_e32 v113, v101, v113
	s_delay_alu instid0(VALU_DEP_2) | instskip(NEXT) | instid1(VALU_DEP_2)
	v_sub_f32_e32 v103, v103, v115
	v_add_f32_e32 v115, v114, v113
	s_delay_alu instid0(VALU_DEP_2) | instskip(NEXT) | instid1(VALU_DEP_2)
	v_add_f32_e32 v101, v101, v103
	v_rcp_f32_e32 v103, v115
	v_sub_f32_e32 v114, v114, v115
	s_delay_alu instid0(VALU_DEP_1) | instskip(NEXT) | instid1(VALU_DEP_1)
	v_dual_add_f32 v116, v112, v101 :: v_dual_add_f32 v113, v113, v114
	v_sub_f32_e32 v112, v112, v116
	s_waitcnt_depctr 0xfff
	v_mul_f32_e32 v117, v116, v103
	s_delay_alu instid0(VALU_DEP_1) | instskip(NEXT) | instid1(VALU_DEP_1)
	v_dual_add_f32 v101, v101, v112 :: v_dual_mul_f32 v118, v115, v117
	v_fma_f32 v114, v117, v115, -v118
	s_delay_alu instid0(VALU_DEP_1) | instskip(NEXT) | instid1(VALU_DEP_1)
	v_fmac_f32_e32 v114, v117, v113
	v_add_f32_e32 v119, v118, v114
	s_delay_alu instid0(VALU_DEP_1) | instskip(SKIP_1) | instid1(VALU_DEP_2)
	v_sub_f32_e32 v128, v116, v119
	v_sub_f32_e32 v112, v119, v118
	;; [unrolled: 1-line block ×3, first 2 shown]
	s_delay_alu instid0(VALU_DEP_2) | instskip(NEXT) | instid1(VALU_DEP_2)
	v_sub_f32_e32 v112, v112, v114
	v_sub_f32_e32 v116, v116, v119
	s_delay_alu instid0(VALU_DEP_1) | instskip(NEXT) | instid1(VALU_DEP_1)
	v_add_f32_e32 v101, v101, v116
	v_add_f32_e32 v101, v112, v101
	s_delay_alu instid0(VALU_DEP_1) | instskip(NEXT) | instid1(VALU_DEP_1)
	v_add_f32_e32 v112, v128, v101
	v_mul_f32_e32 v114, v103, v112
	s_delay_alu instid0(VALU_DEP_1) | instskip(NEXT) | instid1(VALU_DEP_1)
	v_dual_sub_f32 v119, v128, v112 :: v_dual_mul_f32 v116, v115, v114
	v_add_f32_e32 v101, v101, v119
	s_delay_alu instid0(VALU_DEP_2) | instskip(NEXT) | instid1(VALU_DEP_1)
	v_fma_f32 v115, v114, v115, -v116
	v_fmac_f32_e32 v115, v114, v113
	s_delay_alu instid0(VALU_DEP_1) | instskip(NEXT) | instid1(VALU_DEP_1)
	v_add_f32_e32 v113, v116, v115
	v_sub_f32_e32 v118, v112, v113
	v_sub_f32_e32 v116, v113, v116
	s_delay_alu instid0(VALU_DEP_2) | instskip(NEXT) | instid1(VALU_DEP_1)
	v_sub_f32_e32 v112, v112, v118
	v_sub_f32_e32 v112, v112, v113
	s_delay_alu instid0(VALU_DEP_3) | instskip(NEXT) | instid1(VALU_DEP_2)
	v_sub_f32_e32 v113, v116, v115
	v_add_f32_e32 v101, v101, v112
	v_add_f32_e32 v112, v117, v114
	s_delay_alu instid0(VALU_DEP_2) | instskip(NEXT) | instid1(VALU_DEP_2)
	v_add_f32_e32 v101, v113, v101
	v_sub_f32_e32 v113, v112, v117
	s_delay_alu instid0(VALU_DEP_2) | instskip(NEXT) | instid1(VALU_DEP_2)
	v_add_f32_e32 v101, v118, v101
	v_sub_f32_e32 v113, v114, v113
	s_delay_alu instid0(VALU_DEP_2) | instskip(NEXT) | instid1(VALU_DEP_1)
	v_mul_f32_e32 v101, v103, v101
	v_add_f32_e32 v101, v113, v101
	s_delay_alu instid0(VALU_DEP_1) | instskip(NEXT) | instid1(VALU_DEP_1)
	v_add_f32_e32 v103, v112, v101
	v_mul_f32_e32 v113, v103, v103
	s_delay_alu instid0(VALU_DEP_1) | instskip(SKIP_2) | instid1(VALU_DEP_3)
	v_fmaak_f32 v114, s24, v113, 0x3ecc95a3
	v_mul_f32_e32 v115, v103, v113
	v_cmp_eq_f32_e64 s24, 0x7f800000, v102
	v_fmaak_f32 v113, v113, v114, 0x3f2aaada
	v_ldexp_f32 v114, v103, 1
	v_sub_f32_e32 v103, v103, v112
	s_delay_alu instid0(VALU_DEP_4) | instskip(NEXT) | instid1(VALU_DEP_3)
	s_or_b32 s24, s24, s27
	v_mul_f32_e32 v113, v115, v113
	v_mul_f32_e32 v115, 0x3f317218, v100
	s_delay_alu instid0(VALU_DEP_2) | instskip(NEXT) | instid1(VALU_DEP_1)
	v_dual_sub_f32 v101, v101, v103 :: v_dual_add_f32 v112, v114, v113
	v_ldexp_f32 v101, v101, 1
	s_delay_alu instid0(VALU_DEP_2) | instskip(NEXT) | instid1(VALU_DEP_4)
	v_sub_f32_e32 v103, v112, v114
	v_fma_f32 v114, 0x3f317218, v100, -v115
	s_delay_alu instid0(VALU_DEP_1) | instskip(NEXT) | instid1(VALU_DEP_1)
	v_dual_sub_f32 v103, v113, v103 :: v_dual_fmamk_f32 v100, v100, 0xb102e308, v114
	v_add_f32_e32 v101, v101, v103
	s_delay_alu instid0(VALU_DEP_2) | instskip(NEXT) | instid1(VALU_DEP_2)
	v_add_f32_e32 v103, v115, v100
	v_add_f32_e32 v113, v112, v101
	s_delay_alu instid0(VALU_DEP_2) | instskip(NEXT) | instid1(VALU_DEP_2)
	v_sub_f32_e32 v115, v103, v115
	v_add_f32_e32 v114, v103, v113
	v_sub_f32_e32 v112, v113, v112
	s_delay_alu instid0(VALU_DEP_3) | instskip(NEXT) | instid1(VALU_DEP_2)
	v_sub_f32_e32 v100, v100, v115
	v_dual_sub_f32 v116, v114, v103 :: v_dual_sub_f32 v101, v101, v112
	s_delay_alu instid0(VALU_DEP_1) | instskip(NEXT) | instid1(VALU_DEP_2)
	v_sub_f32_e32 v117, v114, v116
	v_dual_sub_f32 v112, v113, v116 :: v_dual_add_f32 v113, v100, v101
	s_delay_alu instid0(VALU_DEP_2) | instskip(NEXT) | instid1(VALU_DEP_1)
	v_sub_f32_e32 v103, v103, v117
	v_dual_add_f32 v103, v112, v103 :: v_dual_sub_f32 v112, v113, v100
	s_delay_alu instid0(VALU_DEP_1) | instskip(NEXT) | instid1(VALU_DEP_2)
	v_add_f32_e32 v103, v113, v103
	v_sub_f32_e32 v113, v113, v112
	v_sub_f32_e32 v101, v101, v112
	s_delay_alu instid0(VALU_DEP_2) | instskip(NEXT) | instid1(VALU_DEP_1)
	v_dual_add_f32 v115, v114, v103 :: v_dual_sub_f32 v100, v100, v113
	v_sub_f32_e32 v112, v115, v114
	s_delay_alu instid0(VALU_DEP_2) | instskip(NEXT) | instid1(VALU_DEP_2)
	v_add_f32_e32 v100, v101, v100
	v_sub_f32_e32 v101, v103, v112
	s_delay_alu instid0(VALU_DEP_1) | instskip(NEXT) | instid1(VALU_DEP_1)
	v_add_f32_e32 v100, v100, v101
	v_add_f32_e32 v100, v115, v100
	s_delay_alu instid0(VALU_DEP_1) | instskip(NEXT) | instid1(VALU_DEP_1)
	v_cndmask_b32_e64 v100, v100, v102, s24
	v_add_f32_e32 v101, v99, v100
.LBB521_307:
	s_or_b32 exec_lo, exec_lo, s25
	s_delay_alu instid0(VALU_DEP_1) | instskip(SKIP_1) | instid1(VALU_DEP_2)
	v_bfe_u32 v99, v101, 16, 1
	v_cmp_o_f32_e64 s24, v101, v101
	; wave barrier
	v_add3_u32 v99, v101, v99, 0x7fff
	s_delay_alu instid0(VALU_DEP_1) | instskip(NEXT) | instid1(VALU_DEP_1)
	v_lshrrev_b32_e32 v99, 16, v99
	v_cndmask_b32_e64 v99, 0x7fc0, v99, s24
	s_delay_alu instid0(VALU_DEP_1)
	v_cndmask_b32_e64 v99, v99, v97, s2
	ds_store_b16 v98, v99
	; wave barrier
	ds_load_u16 v101, v98 offset:2
	v_lshlrev_b32_e32 v100, 16, v99
	s_waitcnt lgkmcnt(0)
	v_lshlrev_b32_e32 v99, 16, v101
	s_delay_alu instid0(VALU_DEP_1) | instskip(NEXT) | instid1(VALU_DEP_1)
	v_dual_max_f32 v101, v100, v100 :: v_dual_max_f32 v102, v99, v99
	v_min_f32_e32 v103, v101, v102
	v_max_f32_e32 v101, v101, v102
	v_cmp_u_f32_e64 s2, v100, v100
	s_delay_alu instid0(VALU_DEP_1) | instskip(NEXT) | instid1(VALU_DEP_3)
	v_cndmask_b32_e64 v102, v103, v100, s2
	v_cndmask_b32_e64 v103, v101, v100, s2
	v_cmp_u_f32_e64 s2, v99, v99
	s_delay_alu instid0(VALU_DEP_1) | instskip(NEXT) | instid1(VALU_DEP_3)
	v_cndmask_b32_e64 v101, v102, v99, s2
	v_cndmask_b32_e64 v99, v103, v99, s2
	s_delay_alu instid0(VALU_DEP_2) | instskip(NEXT) | instid1(VALU_DEP_2)
	v_cmp_class_f32_e64 s24, v101, 0x1f8
	v_cmp_neq_f32_e64 s2, v101, v99
	s_delay_alu instid0(VALU_DEP_1) | instskip(NEXT) | instid1(SALU_CYCLE_1)
	s_or_b32 s2, s2, s24
	s_and_saveexec_b32 s24, s2
	s_cbranch_execz .LBB521_309
; %bb.308:
	v_sub_f32_e32 v100, v101, v99
	s_delay_alu instid0(VALU_DEP_1) | instskip(SKIP_1) | instid1(VALU_DEP_2)
	v_mul_f32_e32 v101, 0x3fb8aa3b, v100
	v_cmp_ngt_f32_e64 s2, 0xc2ce8ed0, v100
	v_fma_f32 v102, 0x3fb8aa3b, v100, -v101
	v_rndne_f32_e32 v103, v101
	s_delay_alu instid0(VALU_DEP_1) | instskip(NEXT) | instid1(VALU_DEP_1)
	v_dual_fmamk_f32 v102, v100, 0x32a5705f, v102 :: v_dual_sub_f32 v101, v101, v103
	v_add_f32_e32 v101, v101, v102
	v_cvt_i32_f32_e32 v102, v103
	s_delay_alu instid0(VALU_DEP_2) | instskip(SKIP_2) | instid1(VALU_DEP_1)
	v_exp_f32_e32 v101, v101
	s_waitcnt_depctr 0xfff
	v_ldexp_f32 v101, v101, v102
	v_cndmask_b32_e64 v101, 0, v101, s2
	v_cmp_nlt_f32_e64 s2, 0x42b17218, v100
	s_delay_alu instid0(VALU_DEP_1) | instskip(NEXT) | instid1(VALU_DEP_1)
	v_cndmask_b32_e64 v102, 0x7f800000, v101, s2
	v_add_f32_e32 v103, 1.0, v102
	v_cmp_gt_f32_e64 s25, 0x33800000, |v102|
	s_delay_alu instid0(VALU_DEP_2) | instskip(NEXT) | instid1(VALU_DEP_1)
	v_cvt_f64_f32_e32 v[100:101], v103
	v_frexp_exp_i32_f64_e32 v100, v[100:101]
	v_frexp_mant_f32_e32 v101, v103
	s_delay_alu instid0(VALU_DEP_1) | instskip(SKIP_1) | instid1(VALU_DEP_1)
	v_cmp_gt_f32_e64 s2, 0x3f2aaaab, v101
	v_add_f32_e32 v101, -1.0, v103
	v_sub_f32_e32 v113, v101, v103
	v_sub_f32_e32 v101, v102, v101
	s_delay_alu instid0(VALU_DEP_4) | instskip(SKIP_1) | instid1(VALU_DEP_1)
	v_subrev_co_ci_u32_e64 v100, s2, 0, v100, s2
	s_mov_b32 s2, 0x3e9b6dac
	v_sub_nc_u32_e32 v112, 0, v100
	v_cvt_f32_i32_e32 v100, v100
	s_delay_alu instid0(VALU_DEP_2) | instskip(NEXT) | instid1(VALU_DEP_1)
	v_ldexp_f32 v103, v103, v112
	v_dual_add_f32 v114, 1.0, v103 :: v_dual_add_f32 v113, 1.0, v113
	s_delay_alu instid0(VALU_DEP_1) | instskip(NEXT) | instid1(VALU_DEP_2)
	v_add_f32_e32 v101, v101, v113
	v_add_f32_e32 v113, -1.0, v114
	s_delay_alu instid0(VALU_DEP_2) | instskip(NEXT) | instid1(VALU_DEP_2)
	v_ldexp_f32 v101, v101, v112
	v_dual_add_f32 v112, -1.0, v103 :: v_dual_sub_f32 v113, v103, v113
	s_delay_alu instid0(VALU_DEP_1) | instskip(NEXT) | instid1(VALU_DEP_2)
	v_add_f32_e32 v115, 1.0, v112
	v_add_f32_e32 v113, v101, v113
	s_delay_alu instid0(VALU_DEP_2) | instskip(NEXT) | instid1(VALU_DEP_2)
	v_sub_f32_e32 v103, v103, v115
	v_add_f32_e32 v115, v114, v113
	s_delay_alu instid0(VALU_DEP_2) | instskip(NEXT) | instid1(VALU_DEP_2)
	v_add_f32_e32 v101, v101, v103
	v_rcp_f32_e32 v103, v115
	v_sub_f32_e32 v114, v114, v115
	s_delay_alu instid0(VALU_DEP_1) | instskip(NEXT) | instid1(VALU_DEP_1)
	v_dual_add_f32 v116, v112, v101 :: v_dual_add_f32 v113, v113, v114
	v_sub_f32_e32 v112, v112, v116
	s_waitcnt_depctr 0xfff
	v_mul_f32_e32 v117, v116, v103
	s_delay_alu instid0(VALU_DEP_1) | instskip(NEXT) | instid1(VALU_DEP_1)
	v_dual_add_f32 v101, v101, v112 :: v_dual_mul_f32 v118, v115, v117
	v_fma_f32 v114, v117, v115, -v118
	s_delay_alu instid0(VALU_DEP_1) | instskip(NEXT) | instid1(VALU_DEP_1)
	v_fmac_f32_e32 v114, v117, v113
	v_add_f32_e32 v119, v118, v114
	s_delay_alu instid0(VALU_DEP_1) | instskip(SKIP_1) | instid1(VALU_DEP_2)
	v_sub_f32_e32 v128, v116, v119
	v_sub_f32_e32 v112, v119, v118
	;; [unrolled: 1-line block ×3, first 2 shown]
	s_delay_alu instid0(VALU_DEP_2) | instskip(NEXT) | instid1(VALU_DEP_2)
	v_sub_f32_e32 v112, v112, v114
	v_sub_f32_e32 v116, v116, v119
	s_delay_alu instid0(VALU_DEP_1) | instskip(NEXT) | instid1(VALU_DEP_1)
	v_add_f32_e32 v101, v101, v116
	v_add_f32_e32 v101, v112, v101
	s_delay_alu instid0(VALU_DEP_1) | instskip(NEXT) | instid1(VALU_DEP_1)
	v_add_f32_e32 v112, v128, v101
	v_mul_f32_e32 v114, v103, v112
	s_delay_alu instid0(VALU_DEP_1) | instskip(NEXT) | instid1(VALU_DEP_1)
	v_dual_sub_f32 v119, v128, v112 :: v_dual_mul_f32 v116, v115, v114
	v_add_f32_e32 v101, v101, v119
	s_delay_alu instid0(VALU_DEP_2) | instskip(NEXT) | instid1(VALU_DEP_1)
	v_fma_f32 v115, v114, v115, -v116
	v_fmac_f32_e32 v115, v114, v113
	s_delay_alu instid0(VALU_DEP_1) | instskip(NEXT) | instid1(VALU_DEP_1)
	v_add_f32_e32 v113, v116, v115
	v_sub_f32_e32 v118, v112, v113
	v_sub_f32_e32 v116, v113, v116
	s_delay_alu instid0(VALU_DEP_2) | instskip(NEXT) | instid1(VALU_DEP_1)
	v_sub_f32_e32 v112, v112, v118
	v_sub_f32_e32 v112, v112, v113
	s_delay_alu instid0(VALU_DEP_3) | instskip(NEXT) | instid1(VALU_DEP_2)
	v_sub_f32_e32 v113, v116, v115
	v_add_f32_e32 v101, v101, v112
	v_add_f32_e32 v112, v117, v114
	s_delay_alu instid0(VALU_DEP_2) | instskip(NEXT) | instid1(VALU_DEP_2)
	v_add_f32_e32 v101, v113, v101
	v_sub_f32_e32 v113, v112, v117
	s_delay_alu instid0(VALU_DEP_2) | instskip(NEXT) | instid1(VALU_DEP_2)
	v_add_f32_e32 v101, v118, v101
	v_sub_f32_e32 v113, v114, v113
	s_delay_alu instid0(VALU_DEP_2) | instskip(NEXT) | instid1(VALU_DEP_1)
	v_mul_f32_e32 v101, v103, v101
	v_add_f32_e32 v101, v113, v101
	s_delay_alu instid0(VALU_DEP_1) | instskip(NEXT) | instid1(VALU_DEP_1)
	v_add_f32_e32 v103, v112, v101
	v_mul_f32_e32 v113, v103, v103
	s_delay_alu instid0(VALU_DEP_1) | instskip(SKIP_2) | instid1(VALU_DEP_3)
	v_fmaak_f32 v114, s2, v113, 0x3ecc95a3
	v_mul_f32_e32 v115, v103, v113
	v_cmp_eq_f32_e64 s2, 0x7f800000, v102
	v_fmaak_f32 v113, v113, v114, 0x3f2aaada
	v_ldexp_f32 v114, v103, 1
	v_sub_f32_e32 v103, v103, v112
	s_delay_alu instid0(VALU_DEP_4) | instskip(NEXT) | instid1(VALU_DEP_3)
	s_or_b32 s2, s2, s25
	v_mul_f32_e32 v113, v115, v113
	v_mul_f32_e32 v115, 0x3f317218, v100
	s_delay_alu instid0(VALU_DEP_2) | instskip(NEXT) | instid1(VALU_DEP_1)
	v_dual_sub_f32 v101, v101, v103 :: v_dual_add_f32 v112, v114, v113
	v_ldexp_f32 v101, v101, 1
	s_delay_alu instid0(VALU_DEP_2) | instskip(NEXT) | instid1(VALU_DEP_4)
	v_sub_f32_e32 v103, v112, v114
	v_fma_f32 v114, 0x3f317218, v100, -v115
	s_delay_alu instid0(VALU_DEP_1) | instskip(NEXT) | instid1(VALU_DEP_1)
	v_dual_sub_f32 v103, v113, v103 :: v_dual_fmamk_f32 v100, v100, 0xb102e308, v114
	v_add_f32_e32 v101, v101, v103
	s_delay_alu instid0(VALU_DEP_2) | instskip(NEXT) | instid1(VALU_DEP_2)
	v_add_f32_e32 v103, v115, v100
	v_add_f32_e32 v113, v112, v101
	s_delay_alu instid0(VALU_DEP_2) | instskip(NEXT) | instid1(VALU_DEP_2)
	v_sub_f32_e32 v115, v103, v115
	v_add_f32_e32 v114, v103, v113
	v_sub_f32_e32 v112, v113, v112
	s_delay_alu instid0(VALU_DEP_3) | instskip(NEXT) | instid1(VALU_DEP_2)
	v_sub_f32_e32 v100, v100, v115
	v_dual_sub_f32 v116, v114, v103 :: v_dual_sub_f32 v101, v101, v112
	s_delay_alu instid0(VALU_DEP_1) | instskip(NEXT) | instid1(VALU_DEP_2)
	v_sub_f32_e32 v117, v114, v116
	v_dual_sub_f32 v112, v113, v116 :: v_dual_add_f32 v113, v100, v101
	s_delay_alu instid0(VALU_DEP_2) | instskip(NEXT) | instid1(VALU_DEP_1)
	v_sub_f32_e32 v103, v103, v117
	v_dual_add_f32 v103, v112, v103 :: v_dual_sub_f32 v112, v113, v100
	s_delay_alu instid0(VALU_DEP_1) | instskip(NEXT) | instid1(VALU_DEP_2)
	v_add_f32_e32 v103, v113, v103
	v_sub_f32_e32 v113, v113, v112
	v_sub_f32_e32 v101, v101, v112
	s_delay_alu instid0(VALU_DEP_2) | instskip(NEXT) | instid1(VALU_DEP_1)
	v_dual_add_f32 v115, v114, v103 :: v_dual_sub_f32 v100, v100, v113
	v_sub_f32_e32 v112, v115, v114
	s_delay_alu instid0(VALU_DEP_2) | instskip(NEXT) | instid1(VALU_DEP_2)
	v_add_f32_e32 v100, v101, v100
	v_sub_f32_e32 v101, v103, v112
	s_delay_alu instid0(VALU_DEP_1) | instskip(NEXT) | instid1(VALU_DEP_1)
	v_add_f32_e32 v100, v100, v101
	v_add_f32_e32 v100, v115, v100
	s_delay_alu instid0(VALU_DEP_1) | instskip(NEXT) | instid1(VALU_DEP_1)
	v_cndmask_b32_e64 v100, v100, v102, s2
	v_add_f32_e32 v100, v99, v100
.LBB521_309:
	s_or_b32 exec_lo, exec_lo, s24
	s_delay_alu instid0(VALU_DEP_1) | instskip(SKIP_1) | instid1(VALU_DEP_2)
	v_bfe_u32 v99, v100, 16, 1
	v_cmp_o_f32_e64 s2, v100, v100
	v_add3_u32 v99, v100, v99, 0x7fff
	s_delay_alu instid0(VALU_DEP_1) | instskip(NEXT) | instid1(VALU_DEP_1)
	v_lshrrev_b32_e32 v99, 16, v99
	v_cndmask_b32_e64 v99, 0x7fc0, v99, s2
	ds_store_b16 v98, v99 offset:2
.LBB521_310:
	s_or_b32 exec_lo, exec_lo, s26
	s_waitcnt lgkmcnt(0)
	s_barrier
	buffer_gl0_inv
	s_and_saveexec_b32 s2, s1
	s_cbranch_execz .LBB521_312
; %bb.311:
	v_add_nc_u32_e32 v97, -1, v21
	s_delay_alu instid0(VALU_DEP_1) | instskip(NEXT) | instid1(VALU_DEP_1)
	v_lshrrev_b32_e32 v98, 5, v97
	v_add_lshl_u32 v97, v98, v97, 1
	ds_load_u16 v97, v97
.LBB521_312:
	s_or_b32 exec_lo, exec_lo, s2
	s_and_saveexec_b32 s2, s1
	s_cbranch_execz .LBB521_316
; %bb.313:
	s_waitcnt lgkmcnt(0)
	v_lshlrev_b32_e32 v64, 16, v97
	s_delay_alu instid0(VALU_DEP_1) | instskip(NEXT) | instid1(VALU_DEP_1)
	v_max_f32_e32 v16, v64, v64
	v_min_f32_e32 v65, v16, v96
	v_max_f32_e32 v16, v16, v96
	v_cmp_u_f32_e64 s1, v64, v64
	s_delay_alu instid0(VALU_DEP_1) | instskip(NEXT) | instid1(VALU_DEP_3)
	v_cndmask_b32_e64 v65, v65, v64, s1
	v_cndmask_b32_e64 v16, v16, v64, s1
	s_delay_alu instid0(VALU_DEP_2) | instskip(NEXT) | instid1(VALU_DEP_2)
	v_cndmask_b32_e64 v65, v65, v22, s23
	v_cndmask_b32_e64 v16, v16, v22, s23
	s_delay_alu instid0(VALU_DEP_2) | instskip(NEXT) | instid1(VALU_DEP_2)
	v_cmp_class_f32_e64 s23, v65, 0x1f8
	v_cmp_neq_f32_e64 s1, v65, v16
	s_delay_alu instid0(VALU_DEP_1) | instskip(NEXT) | instid1(SALU_CYCLE_1)
	s_or_b32 s1, s1, s23
	s_and_saveexec_b32 s23, s1
	s_cbranch_execz .LBB521_315
; %bb.314:
	v_sub_f32_e32 v22, v65, v16
	s_delay_alu instid0(VALU_DEP_1) | instskip(SKIP_1) | instid1(VALU_DEP_2)
	v_mul_f32_e32 v64, 0x3fb8aa3b, v22
	v_cmp_ngt_f32_e64 s1, 0xc2ce8ed0, v22
	v_fma_f32 v65, 0x3fb8aa3b, v22, -v64
	v_rndne_f32_e32 v96, v64
	s_delay_alu instid0(VALU_DEP_1) | instskip(NEXT) | instid1(VALU_DEP_1)
	v_dual_fmamk_f32 v65, v22, 0x32a5705f, v65 :: v_dual_sub_f32 v64, v64, v96
	v_add_f32_e32 v64, v64, v65
	v_cvt_i32_f32_e32 v65, v96
	s_delay_alu instid0(VALU_DEP_2) | instskip(SKIP_2) | instid1(VALU_DEP_1)
	v_exp_f32_e32 v64, v64
	s_waitcnt_depctr 0xfff
	v_ldexp_f32 v64, v64, v65
	v_cndmask_b32_e64 v64, 0, v64, s1
	v_cmp_nlt_f32_e64 s1, 0x42b17218, v22
	s_delay_alu instid0(VALU_DEP_1) | instskip(NEXT) | instid1(VALU_DEP_1)
	v_cndmask_b32_e64 v22, 0x7f800000, v64, s1
	v_add_f32_e32 v96, 1.0, v22
	v_cmp_gt_f32_e64 s24, 0x33800000, |v22|
	s_delay_alu instid0(VALU_DEP_2) | instskip(NEXT) | instid1(VALU_DEP_1)
	v_cvt_f64_f32_e32 v[64:65], v96
	v_frexp_exp_i32_f64_e32 v64, v[64:65]
	v_frexp_mant_f32_e32 v65, v96
	s_delay_alu instid0(VALU_DEP_1) | instskip(SKIP_1) | instid1(VALU_DEP_1)
	v_cmp_gt_f32_e64 s1, 0x3f2aaaab, v65
	v_add_f32_e32 v65, -1.0, v96
	v_dual_sub_f32 v98, v65, v96 :: v_dual_sub_f32 v65, v22, v65
	s_delay_alu instid0(VALU_DEP_3) | instskip(SKIP_1) | instid1(VALU_DEP_1)
	v_subrev_co_ci_u32_e64 v64, s1, 0, v64, s1
	s_mov_b32 s1, 0x3e9b6dac
	v_sub_nc_u32_e32 v97, 0, v64
	v_cvt_f32_i32_e32 v64, v64
	s_delay_alu instid0(VALU_DEP_2) | instskip(NEXT) | instid1(VALU_DEP_1)
	v_ldexp_f32 v96, v96, v97
	v_dual_add_f32 v98, 1.0, v98 :: v_dual_add_f32 v99, 1.0, v96
	s_delay_alu instid0(VALU_DEP_1) | instskip(NEXT) | instid1(VALU_DEP_1)
	v_dual_add_f32 v65, v65, v98 :: v_dual_add_f32 v98, -1.0, v99
	v_ldexp_f32 v65, v65, v97
	s_delay_alu instid0(VALU_DEP_2) | instskip(NEXT) | instid1(VALU_DEP_1)
	v_dual_add_f32 v97, -1.0, v96 :: v_dual_sub_f32 v98, v96, v98
	v_add_f32_e32 v100, 1.0, v97
	s_delay_alu instid0(VALU_DEP_2) | instskip(NEXT) | instid1(VALU_DEP_2)
	v_add_f32_e32 v98, v65, v98
	v_sub_f32_e32 v96, v96, v100
	s_delay_alu instid0(VALU_DEP_1) | instskip(NEXT) | instid1(VALU_DEP_1)
	v_add_f32_e32 v65, v65, v96
	v_dual_add_f32 v101, v97, v65 :: v_dual_add_f32 v100, v99, v98
	s_delay_alu instid0(VALU_DEP_1) | instskip(NEXT) | instid1(VALU_DEP_2)
	v_sub_f32_e32 v97, v97, v101
	v_rcp_f32_e32 v96, v100
	v_sub_f32_e32 v99, v99, v100
	s_delay_alu instid0(VALU_DEP_1) | instskip(SKIP_2) | instid1(VALU_DEP_1)
	v_dual_add_f32 v98, v98, v99 :: v_dual_add_f32 v65, v65, v97
	s_waitcnt_depctr 0xfff
	v_mul_f32_e32 v102, v101, v96
	v_mul_f32_e32 v103, v100, v102
	s_delay_alu instid0(VALU_DEP_1) | instskip(NEXT) | instid1(VALU_DEP_1)
	v_fma_f32 v99, v102, v100, -v103
	v_fmac_f32_e32 v99, v102, v98
	s_delay_alu instid0(VALU_DEP_1) | instskip(NEXT) | instid1(VALU_DEP_1)
	v_add_f32_e32 v112, v103, v99
	v_sub_f32_e32 v113, v101, v112
	s_delay_alu instid0(VALU_DEP_1) | instskip(SKIP_1) | instid1(VALU_DEP_2)
	v_sub_f32_e32 v101, v101, v113
	v_sub_f32_e32 v97, v112, v103
	;; [unrolled: 1-line block ×3, first 2 shown]
	s_delay_alu instid0(VALU_DEP_2) | instskip(NEXT) | instid1(VALU_DEP_2)
	v_sub_f32_e32 v97, v97, v99
	v_add_f32_e32 v65, v65, v101
	s_delay_alu instid0(VALU_DEP_1) | instskip(NEXT) | instid1(VALU_DEP_1)
	v_add_f32_e32 v65, v97, v65
	v_add_f32_e32 v97, v113, v65
	s_delay_alu instid0(VALU_DEP_1) | instskip(NEXT) | instid1(VALU_DEP_1)
	v_mul_f32_e32 v99, v96, v97
	v_dual_sub_f32 v112, v113, v97 :: v_dual_mul_f32 v101, v100, v99
	s_delay_alu instid0(VALU_DEP_1) | instskip(NEXT) | instid1(VALU_DEP_2)
	v_add_f32_e32 v65, v65, v112
	v_fma_f32 v100, v99, v100, -v101
	s_delay_alu instid0(VALU_DEP_1) | instskip(NEXT) | instid1(VALU_DEP_1)
	v_fmac_f32_e32 v100, v99, v98
	v_add_f32_e32 v98, v101, v100
	s_delay_alu instid0(VALU_DEP_1) | instskip(NEXT) | instid1(VALU_DEP_1)
	v_sub_f32_e32 v103, v97, v98
	v_sub_f32_e32 v97, v97, v103
	s_delay_alu instid0(VALU_DEP_1) | instskip(NEXT) | instid1(VALU_DEP_1)
	v_sub_f32_e32 v97, v97, v98
	v_add_f32_e32 v65, v65, v97
	v_add_f32_e32 v97, v102, v99
	v_sub_f32_e32 v101, v98, v101
	s_delay_alu instid0(VALU_DEP_1) | instskip(NEXT) | instid1(VALU_DEP_1)
	v_sub_f32_e32 v98, v101, v100
	v_dual_add_f32 v65, v98, v65 :: v_dual_sub_f32 v98, v97, v102
	s_delay_alu instid0(VALU_DEP_1) | instskip(NEXT) | instid1(VALU_DEP_1)
	v_add_f32_e32 v65, v103, v65
	v_dual_sub_f32 v98, v99, v98 :: v_dual_mul_f32 v65, v96, v65
	s_delay_alu instid0(VALU_DEP_1) | instskip(NEXT) | instid1(VALU_DEP_1)
	v_add_f32_e32 v65, v98, v65
	v_add_f32_e32 v96, v97, v65
	s_delay_alu instid0(VALU_DEP_1) | instskip(NEXT) | instid1(VALU_DEP_1)
	v_mul_f32_e32 v98, v96, v96
	v_fmaak_f32 v99, s1, v98, 0x3ecc95a3
	v_mul_f32_e32 v100, v96, v98
	v_cmp_eq_f32_e64 s1, 0x7f800000, v22
	s_delay_alu instid0(VALU_DEP_3) | instskip(SKIP_2) | instid1(VALU_DEP_4)
	v_fmaak_f32 v98, v98, v99, 0x3f2aaada
	v_ldexp_f32 v99, v96, 1
	v_sub_f32_e32 v96, v96, v97
	s_or_b32 s1, s1, s24
	s_delay_alu instid0(VALU_DEP_3) | instskip(SKIP_1) | instid1(VALU_DEP_3)
	v_mul_f32_e32 v98, v100, v98
	v_mul_f32_e32 v100, 0x3f317218, v64
	v_sub_f32_e32 v65, v65, v96
	s_delay_alu instid0(VALU_DEP_3) | instskip(NEXT) | instid1(VALU_DEP_2)
	v_add_f32_e32 v97, v99, v98
	v_ldexp_f32 v65, v65, 1
	s_delay_alu instid0(VALU_DEP_2) | instskip(SKIP_1) | instid1(VALU_DEP_2)
	v_sub_f32_e32 v96, v97, v99
	v_fma_f32 v99, 0x3f317218, v64, -v100
	v_sub_f32_e32 v96, v98, v96
	s_delay_alu instid0(VALU_DEP_1) | instskip(NEXT) | instid1(VALU_DEP_1)
	v_dual_fmamk_f32 v64, v64, 0xb102e308, v99 :: v_dual_add_f32 v65, v65, v96
	v_add_f32_e32 v96, v100, v64
	s_delay_alu instid0(VALU_DEP_1) | instskip(NEXT) | instid1(VALU_DEP_1)
	v_sub_f32_e32 v100, v96, v100
	v_sub_f32_e32 v64, v64, v100
	s_delay_alu instid0(VALU_DEP_4) | instskip(NEXT) | instid1(VALU_DEP_1)
	v_add_f32_e32 v98, v97, v65
	v_add_f32_e32 v99, v96, v98
	s_delay_alu instid0(VALU_DEP_1) | instskip(SKIP_1) | instid1(VALU_DEP_2)
	v_sub_f32_e32 v101, v99, v96
	v_sub_f32_e32 v97, v98, v97
	;; [unrolled: 1-line block ×3, first 2 shown]
	s_delay_alu instid0(VALU_DEP_1) | instskip(SKIP_1) | instid1(VALU_DEP_2)
	v_dual_sub_f32 v96, v96, v102 :: v_dual_sub_f32 v65, v65, v97
	v_sub_f32_e32 v97, v98, v101
	v_add_f32_e32 v98, v64, v65
	s_delay_alu instid0(VALU_DEP_2) | instskip(NEXT) | instid1(VALU_DEP_2)
	v_add_f32_e32 v96, v97, v96
	v_sub_f32_e32 v97, v98, v64
	s_delay_alu instid0(VALU_DEP_2) | instskip(NEXT) | instid1(VALU_DEP_1)
	v_add_f32_e32 v96, v98, v96
	v_add_f32_e32 v100, v99, v96
	s_delay_alu instid0(VALU_DEP_3) | instskip(NEXT) | instid1(VALU_DEP_1)
	v_sub_f32_e32 v98, v98, v97
	v_dual_sub_f32 v64, v64, v98 :: v_dual_sub_f32 v65, v65, v97
	s_delay_alu instid0(VALU_DEP_1) | instskip(NEXT) | instid1(VALU_DEP_1)
	v_dual_sub_f32 v97, v100, v99 :: v_dual_add_f32 v64, v65, v64
	v_sub_f32_e32 v65, v96, v97
	s_delay_alu instid0(VALU_DEP_1) | instskip(NEXT) | instid1(VALU_DEP_1)
	v_add_f32_e32 v64, v64, v65
	v_add_f32_e32 v64, v100, v64
	s_delay_alu instid0(VALU_DEP_1) | instskip(NEXT) | instid1(VALU_DEP_1)
	v_cndmask_b32_e64 v22, v64, v22, s1
	v_add_f32_e32 v64, v16, v22
.LBB521_315:
	s_or_b32 exec_lo, exec_lo, s23
	s_delay_alu instid0(VALU_DEP_1) | instskip(SKIP_2) | instid1(VALU_DEP_2)
	v_bfe_u32 v16, v64, 16, 1
	v_cmp_o_f32_e64 s1, v64, v64
	;;#ASMSTART
	;;#ASMEND
	v_add3_u32 v16, v64, v16, 0x7fff
	s_delay_alu instid0(VALU_DEP_1) | instskip(NEXT) | instid1(VALU_DEP_1)
	v_lshrrev_b32_e32 v16, 16, v16
	v_cndmask_b32_e64 v16, 0x7fc0, v16, s1
	s_delay_alu instid0(VALU_DEP_1) | instskip(NEXT) | instid1(VALU_DEP_1)
	v_lshlrev_b32_e32 v22, 16, v16
	v_max_f32_e32 v65, v22, v22
	s_delay_alu instid0(VALU_DEP_1)
	v_min_f32_e32 v64, v65, v17
	v_max_f32_e32 v65, v65, v17
.LBB521_316:
	s_or_b32 exec_lo, exec_lo, s2
	v_cmp_u_f32_e64 s1, v22, v22
	s_delay_alu instid0(VALU_DEP_1) | instskip(NEXT) | instid1(VALU_DEP_3)
	v_cndmask_b32_e64 v17, v64, v22, s1
	v_cndmask_b32_e64 v64, v65, v22, s1
	s_delay_alu instid0(VALU_DEP_2) | instskip(NEXT) | instid1(VALU_DEP_2)
	v_cndmask_b32_e32 v17, v17, v13, vcc_lo
	v_cndmask_b32_e32 v13, v64, v13, vcc_lo
	s_delay_alu instid0(VALU_DEP_2) | instskip(NEXT) | instid1(VALU_DEP_2)
	v_cmp_class_f32_e64 s1, v17, 0x1f8
	v_cmp_neq_f32_e32 vcc_lo, v17, v13
	s_delay_alu instid0(VALU_DEP_2) | instskip(NEXT) | instid1(SALU_CYCLE_1)
	s_or_b32 s2, vcc_lo, s1
	s_and_saveexec_b32 s1, s2
	s_cbranch_execz .LBB521_318
; %bb.317:
	v_sub_f32_e32 v17, v17, v13
	s_mov_b32 s2, 0x3e9b6dac
	s_delay_alu instid0(VALU_DEP_1) | instskip(NEXT) | instid1(VALU_DEP_1)
	v_mul_f32_e32 v22, 0x3fb8aa3b, v17
	v_fma_f32 v64, 0x3fb8aa3b, v17, -v22
	v_rndne_f32_e32 v65, v22
	s_delay_alu instid0(VALU_DEP_2) | instskip(NEXT) | instid1(VALU_DEP_2)
	v_fmamk_f32 v64, v17, 0x32a5705f, v64
	v_sub_f32_e32 v22, v22, v65
	s_delay_alu instid0(VALU_DEP_1) | instskip(SKIP_2) | instid1(VALU_DEP_3)
	v_add_f32_e32 v22, v22, v64
	v_cvt_i32_f32_e32 v64, v65
	v_cmp_ngt_f32_e32 vcc_lo, 0xc2ce8ed0, v17
	v_exp_f32_e32 v22, v22
	s_waitcnt_depctr 0xfff
	v_ldexp_f32 v22, v22, v64
	s_delay_alu instid0(VALU_DEP_1) | instskip(SKIP_1) | instid1(VALU_DEP_2)
	v_cndmask_b32_e32 v22, 0, v22, vcc_lo
	v_cmp_nlt_f32_e32 vcc_lo, 0x42b17218, v17
	v_cndmask_b32_e32 v17, 0x7f800000, v22, vcc_lo
	s_delay_alu instid0(VALU_DEP_1) | instskip(NEXT) | instid1(VALU_DEP_1)
	v_add_f32_e32 v22, 1.0, v17
	v_cvt_f64_f32_e32 v[64:65], v22
	s_delay_alu instid0(VALU_DEP_1) | instskip(SKIP_1) | instid1(VALU_DEP_1)
	v_frexp_exp_i32_f64_e32 v64, v[64:65]
	v_frexp_mant_f32_e32 v65, v22
	v_cmp_gt_f32_e32 vcc_lo, 0x3f2aaaab, v65
	v_add_f32_e32 v65, -1.0, v22
	s_waitcnt lgkmcnt(0)
	s_delay_alu instid0(VALU_DEP_1) | instskip(SKIP_2) | instid1(VALU_DEP_1)
	v_sub_f32_e32 v97, v65, v22
	v_sub_f32_e32 v65, v17, v65
	v_subrev_co_ci_u32_e32 v64, vcc_lo, 0, v64, vcc_lo
	v_sub_nc_u32_e32 v96, 0, v64
	v_cvt_f32_i32_e32 v64, v64
	s_delay_alu instid0(VALU_DEP_2) | instskip(NEXT) | instid1(VALU_DEP_1)
	v_ldexp_f32 v22, v22, v96
	v_dual_add_f32 v97, 1.0, v97 :: v_dual_add_f32 v98, 1.0, v22
	s_delay_alu instid0(VALU_DEP_1) | instskip(NEXT) | instid1(VALU_DEP_2)
	v_add_f32_e32 v65, v65, v97
	v_add_f32_e32 v97, -1.0, v98
	s_delay_alu instid0(VALU_DEP_2) | instskip(NEXT) | instid1(VALU_DEP_2)
	v_ldexp_f32 v65, v65, v96
	v_dual_add_f32 v96, -1.0, v22 :: v_dual_sub_f32 v97, v22, v97
	s_delay_alu instid0(VALU_DEP_1) | instskip(NEXT) | instid1(VALU_DEP_1)
	v_add_f32_e32 v99, 1.0, v96
	v_sub_f32_e32 v22, v22, v99
	v_cmp_eq_f32_e32 vcc_lo, 0x7f800000, v17
	s_delay_alu instid0(VALU_DEP_2) | instskip(NEXT) | instid1(VALU_DEP_1)
	v_add_f32_e32 v22, v65, v22
	v_dual_add_f32 v97, v65, v97 :: v_dual_add_f32 v100, v96, v22
	s_delay_alu instid0(VALU_DEP_1) | instskip(NEXT) | instid1(VALU_DEP_1)
	v_add_f32_e32 v99, v98, v97
	v_rcp_f32_e32 v65, v99
	v_sub_f32_e32 v98, v98, v99
	s_delay_alu instid0(VALU_DEP_1) | instskip(SKIP_2) | instid1(VALU_DEP_1)
	v_dual_add_f32 v97, v97, v98 :: v_dual_sub_f32 v96, v96, v100
	s_waitcnt_depctr 0xfff
	v_dual_mul_f32 v101, v100, v65 :: v_dual_add_f32 v22, v22, v96
	v_mul_f32_e32 v102, v99, v101
	s_delay_alu instid0(VALU_DEP_1) | instskip(NEXT) | instid1(VALU_DEP_1)
	v_fma_f32 v98, v101, v99, -v102
	v_fmac_f32_e32 v98, v101, v97
	s_delay_alu instid0(VALU_DEP_1) | instskip(NEXT) | instid1(VALU_DEP_1)
	v_add_f32_e32 v103, v102, v98
	v_sub_f32_e32 v112, v100, v103
	s_delay_alu instid0(VALU_DEP_1) | instskip(SKIP_1) | instid1(VALU_DEP_2)
	v_sub_f32_e32 v100, v100, v112
	v_sub_f32_e32 v96, v103, v102
	;; [unrolled: 1-line block ×3, first 2 shown]
	s_delay_alu instid0(VALU_DEP_2) | instskip(NEXT) | instid1(VALU_DEP_2)
	v_sub_f32_e32 v96, v96, v98
	v_add_f32_e32 v22, v22, v100
	s_delay_alu instid0(VALU_DEP_1) | instskip(NEXT) | instid1(VALU_DEP_1)
	v_add_f32_e32 v22, v96, v22
	v_add_f32_e32 v96, v112, v22
	s_delay_alu instid0(VALU_DEP_1) | instskip(NEXT) | instid1(VALU_DEP_1)
	v_mul_f32_e32 v98, v65, v96
	v_dual_sub_f32 v103, v112, v96 :: v_dual_mul_f32 v100, v99, v98
	s_delay_alu instid0(VALU_DEP_1) | instskip(NEXT) | instid1(VALU_DEP_2)
	v_add_f32_e32 v22, v22, v103
	v_fma_f32 v99, v98, v99, -v100
	s_delay_alu instid0(VALU_DEP_1) | instskip(NEXT) | instid1(VALU_DEP_1)
	v_fmac_f32_e32 v99, v98, v97
	v_add_f32_e32 v97, v100, v99
	s_delay_alu instid0(VALU_DEP_1) | instskip(SKIP_1) | instid1(VALU_DEP_2)
	v_sub_f32_e32 v102, v96, v97
	v_sub_f32_e32 v100, v97, v100
	;; [unrolled: 1-line block ×3, first 2 shown]
	s_delay_alu instid0(VALU_DEP_1) | instskip(NEXT) | instid1(VALU_DEP_1)
	v_sub_f32_e32 v96, v96, v97
	v_dual_sub_f32 v97, v100, v99 :: v_dual_add_f32 v22, v22, v96
	v_add_f32_e32 v96, v101, v98
	s_delay_alu instid0(VALU_DEP_1) | instskip(NEXT) | instid1(VALU_DEP_1)
	v_dual_add_f32 v22, v97, v22 :: v_dual_sub_f32 v97, v96, v101
	v_add_f32_e32 v22, v102, v22
	s_delay_alu instid0(VALU_DEP_1) | instskip(NEXT) | instid1(VALU_DEP_1)
	v_dual_sub_f32 v97, v98, v97 :: v_dual_mul_f32 v22, v65, v22
	v_add_f32_e32 v22, v97, v22
	s_delay_alu instid0(VALU_DEP_1) | instskip(NEXT) | instid1(VALU_DEP_1)
	v_add_f32_e32 v65, v96, v22
	v_mul_f32_e32 v97, v65, v65
	s_delay_alu instid0(VALU_DEP_1) | instskip(SKIP_2) | instid1(VALU_DEP_3)
	v_fmaak_f32 v98, s2, v97, 0x3ecc95a3
	v_mul_f32_e32 v99, v65, v97
	v_cmp_gt_f32_e64 s2, 0x33800000, |v17|
	v_fmaak_f32 v97, v97, v98, 0x3f2aaada
	v_ldexp_f32 v98, v65, 1
	v_sub_f32_e32 v65, v65, v96
	s_delay_alu instid0(VALU_DEP_4) | instskip(NEXT) | instid1(VALU_DEP_3)
	s_or_b32 vcc_lo, vcc_lo, s2
	v_mul_f32_e32 v97, v99, v97
	s_delay_alu instid0(VALU_DEP_2) | instskip(NEXT) | instid1(VALU_DEP_2)
	v_dual_mul_f32 v99, 0x3f317218, v64 :: v_dual_sub_f32 v22, v22, v65
	v_add_f32_e32 v96, v98, v97
	s_delay_alu instid0(VALU_DEP_2) | instskip(NEXT) | instid1(VALU_DEP_2)
	v_ldexp_f32 v22, v22, 1
	v_sub_f32_e32 v65, v96, v98
	s_delay_alu instid0(VALU_DEP_4) | instskip(NEXT) | instid1(VALU_DEP_1)
	v_fma_f32 v98, 0x3f317218, v64, -v99
	v_dual_sub_f32 v65, v97, v65 :: v_dual_fmamk_f32 v64, v64, 0xb102e308, v98
	s_delay_alu instid0(VALU_DEP_1) | instskip(NEXT) | instid1(VALU_DEP_1)
	v_dual_add_f32 v22, v22, v65 :: v_dual_add_f32 v65, v99, v64
	v_add_f32_e32 v97, v96, v22
	s_delay_alu instid0(VALU_DEP_2) | instskip(NEXT) | instid1(VALU_DEP_2)
	v_sub_f32_e32 v99, v65, v99
	v_add_f32_e32 v98, v65, v97
	v_sub_f32_e32 v96, v97, v96
	s_delay_alu instid0(VALU_DEP_2) | instskip(NEXT) | instid1(VALU_DEP_2)
	v_sub_f32_e32 v100, v98, v65
	v_sub_f32_e32 v22, v22, v96
	s_delay_alu instid0(VALU_DEP_2) | instskip(SKIP_1) | instid1(VALU_DEP_2)
	v_sub_f32_e32 v101, v98, v100
	v_sub_f32_e32 v96, v97, v100
	;; [unrolled: 1-line block ×3, first 2 shown]
	s_delay_alu instid0(VALU_DEP_1) | instskip(SKIP_1) | instid1(VALU_DEP_1)
	v_add_f32_e32 v65, v96, v65
	v_sub_f32_e32 v64, v64, v99
	v_add_f32_e32 v97, v64, v22
	s_delay_alu instid0(VALU_DEP_1) | instskip(NEXT) | instid1(VALU_DEP_1)
	v_add_f32_e32 v65, v97, v65
	v_dual_sub_f32 v96, v97, v64 :: v_dual_add_f32 v99, v98, v65
	s_delay_alu instid0(VALU_DEP_1) | instskip(SKIP_1) | instid1(VALU_DEP_3)
	v_sub_f32_e32 v97, v97, v96
	v_sub_f32_e32 v22, v22, v96
	;; [unrolled: 1-line block ×3, first 2 shown]
	s_delay_alu instid0(VALU_DEP_3) | instskip(NEXT) | instid1(VALU_DEP_1)
	v_sub_f32_e32 v64, v64, v97
	v_add_f32_e32 v22, v22, v64
	s_delay_alu instid0(VALU_DEP_3) | instskip(NEXT) | instid1(VALU_DEP_1)
	v_sub_f32_e32 v64, v65, v96
	v_add_f32_e32 v22, v22, v64
	s_delay_alu instid0(VALU_DEP_1) | instskip(NEXT) | instid1(VALU_DEP_1)
	v_add_f32_e32 v22, v99, v22
	v_cndmask_b32_e32 v17, v22, v17, vcc_lo
	s_delay_alu instid0(VALU_DEP_1)
	v_add_f32_e32 v22, v13, v17
.LBB521_318:
	s_or_b32 exec_lo, exec_lo, s1
	s_delay_alu instid0(VALU_DEP_1) | instskip(SKIP_1) | instid1(VALU_DEP_2)
	v_bfe_u32 v13, v22, 16, 1
	v_cmp_o_f32_e32 vcc_lo, v22, v22
	v_add3_u32 v13, v22, v13, 0x7fff
	s_delay_alu instid0(VALU_DEP_1) | instskip(NEXT) | instid1(VALU_DEP_1)
	v_lshrrev_b32_e32 v13, 16, v13
	v_cndmask_b32_e32 v17, 0x7fc0, v13, vcc_lo
	s_delay_alu instid0(VALU_DEP_1) | instskip(NEXT) | instid1(VALU_DEP_1)
	v_lshlrev_b32_e32 v13, 16, v17
	v_max_f32_e32 v22, v13, v13
	v_cmp_u_f32_e32 vcc_lo, v13, v13
	s_delay_alu instid0(VALU_DEP_2) | instskip(NEXT) | instid1(VALU_DEP_1)
	v_min_f32_e32 v64, v22, v7
	v_dual_max_f32 v7, v22, v7 :: v_dual_cndmask_b32 v22, v64, v13
	s_delay_alu instid0(VALU_DEP_1) | instskip(NEXT) | instid1(VALU_DEP_2)
	v_cndmask_b32_e32 v64, v7, v13, vcc_lo
	v_cndmask_b32_e64 v7, v22, v2, s3
	s_delay_alu instid0(VALU_DEP_2) | instskip(NEXT) | instid1(VALU_DEP_2)
	v_cndmask_b32_e64 v2, v64, v2, s3
	v_cmp_class_f32_e64 s1, v7, 0x1f8
	s_delay_alu instid0(VALU_DEP_2) | instskip(NEXT) | instid1(VALU_DEP_2)
	v_cmp_neq_f32_e32 vcc_lo, v7, v2
	s_or_b32 s2, vcc_lo, s1
	s_delay_alu instid0(SALU_CYCLE_1)
	s_and_saveexec_b32 s1, s2
	s_cbranch_execz .LBB521_320
; %bb.319:
	v_sub_f32_e32 v7, v7, v2
	s_mov_b32 s2, 0x3e9b6dac
	s_delay_alu instid0(VALU_DEP_1) | instskip(SKIP_1) | instid1(VALU_DEP_2)
	v_mul_f32_e32 v13, 0x3fb8aa3b, v7
	v_cmp_ngt_f32_e32 vcc_lo, 0xc2ce8ed0, v7
	v_fma_f32 v22, 0x3fb8aa3b, v7, -v13
	v_rndne_f32_e32 v64, v13
	s_delay_alu instid0(VALU_DEP_1) | instskip(NEXT) | instid1(VALU_DEP_1)
	v_dual_fmamk_f32 v22, v7, 0x32a5705f, v22 :: v_dual_sub_f32 v13, v13, v64
	v_add_f32_e32 v13, v13, v22
	v_cvt_i32_f32_e32 v22, v64
	s_delay_alu instid0(VALU_DEP_2) | instskip(SKIP_2) | instid1(VALU_DEP_1)
	v_exp_f32_e32 v13, v13
	s_waitcnt_depctr 0xfff
	v_ldexp_f32 v13, v13, v22
	v_cndmask_b32_e32 v13, 0, v13, vcc_lo
	v_cmp_nlt_f32_e32 vcc_lo, 0x42b17218, v7
	s_delay_alu instid0(VALU_DEP_2) | instskip(NEXT) | instid1(VALU_DEP_1)
	v_cndmask_b32_e32 v7, 0x7f800000, v13, vcc_lo
	v_add_f32_e32 v13, 1.0, v7
	s_delay_alu instid0(VALU_DEP_1) | instskip(NEXT) | instid1(VALU_DEP_1)
	v_cvt_f64_f32_e32 v[64:65], v13
	v_frexp_exp_i32_f64_e32 v22, v[64:65]
	v_frexp_mant_f32_e32 v64, v13
	s_delay_alu instid0(VALU_DEP_1) | instskip(SKIP_1) | instid1(VALU_DEP_1)
	v_cmp_gt_f32_e32 vcc_lo, 0x3f2aaaab, v64
	v_add_f32_e32 v64, -1.0, v13
	v_sub_f32_e32 v96, v64, v13
	v_sub_f32_e32 v64, v7, v64
	s_delay_alu instid0(VALU_DEP_2) | instskip(NEXT) | instid1(VALU_DEP_1)
	v_add_f32_e32 v96, 1.0, v96
	v_add_f32_e32 v64, v64, v96
	v_subrev_co_ci_u32_e32 v22, vcc_lo, 0, v22, vcc_lo
	s_delay_alu instid0(VALU_DEP_1) | instskip(SKIP_1) | instid1(VALU_DEP_2)
	v_sub_nc_u32_e32 v65, 0, v22
	v_cvt_f32_i32_e32 v22, v22
	v_ldexp_f32 v13, v13, v65
	v_ldexp_f32 v64, v64, v65
	s_waitcnt lgkmcnt(0)
	s_delay_alu instid0(VALU_DEP_2) | instskip(NEXT) | instid1(VALU_DEP_1)
	v_add_f32_e32 v97, 1.0, v13
	v_add_f32_e32 v96, -1.0, v97
	s_delay_alu instid0(VALU_DEP_1) | instskip(SKIP_1) | instid1(VALU_DEP_2)
	v_sub_f32_e32 v96, v13, v96
	v_cmp_eq_f32_e32 vcc_lo, 0x7f800000, v7
	v_dual_add_f32 v96, v64, v96 :: v_dual_add_f32 v65, -1.0, v13
	s_delay_alu instid0(VALU_DEP_1) | instskip(NEXT) | instid1(VALU_DEP_1)
	v_add_f32_e32 v98, 1.0, v65
	v_sub_f32_e32 v13, v13, v98
	s_delay_alu instid0(VALU_DEP_1) | instskip(NEXT) | instid1(VALU_DEP_1)
	v_dual_add_f32 v98, v97, v96 :: v_dual_add_f32 v13, v64, v13
	v_rcp_f32_e32 v64, v98
	v_sub_f32_e32 v97, v97, v98
	s_delay_alu instid0(VALU_DEP_2) | instskip(NEXT) | instid1(VALU_DEP_1)
	v_add_f32_e32 v99, v65, v13
	v_dual_add_f32 v96, v96, v97 :: v_dual_sub_f32 v65, v65, v99
	s_waitcnt_depctr 0xfff
	v_dual_mul_f32 v100, v99, v64 :: v_dual_add_f32 v13, v13, v65
	s_delay_alu instid0(VALU_DEP_1) | instskip(NEXT) | instid1(VALU_DEP_1)
	v_mul_f32_e32 v101, v98, v100
	v_fma_f32 v97, v100, v98, -v101
	s_delay_alu instid0(VALU_DEP_1) | instskip(NEXT) | instid1(VALU_DEP_1)
	v_fmac_f32_e32 v97, v100, v96
	v_add_f32_e32 v102, v101, v97
	s_delay_alu instid0(VALU_DEP_1) | instskip(NEXT) | instid1(VALU_DEP_1)
	v_sub_f32_e32 v103, v99, v102
	v_sub_f32_e32 v99, v99, v103
	;; [unrolled: 1-line block ×3, first 2 shown]
	s_delay_alu instid0(VALU_DEP_2) | instskip(NEXT) | instid1(VALU_DEP_2)
	v_sub_f32_e32 v99, v99, v102
	v_sub_f32_e32 v65, v65, v97
	s_delay_alu instid0(VALU_DEP_2) | instskip(NEXT) | instid1(VALU_DEP_1)
	v_add_f32_e32 v13, v13, v99
	v_add_f32_e32 v13, v65, v13
	s_delay_alu instid0(VALU_DEP_1) | instskip(NEXT) | instid1(VALU_DEP_1)
	v_add_f32_e32 v65, v103, v13
	v_mul_f32_e32 v97, v64, v65
	s_delay_alu instid0(VALU_DEP_1) | instskip(NEXT) | instid1(VALU_DEP_1)
	v_mul_f32_e32 v99, v98, v97
	v_fma_f32 v98, v97, v98, -v99
	s_delay_alu instid0(VALU_DEP_1) | instskip(SKIP_1) | instid1(VALU_DEP_2)
	v_fmac_f32_e32 v98, v97, v96
	v_sub_f32_e32 v102, v103, v65
	v_add_f32_e32 v96, v99, v98
	s_delay_alu instid0(VALU_DEP_2) | instskip(NEXT) | instid1(VALU_DEP_2)
	v_add_f32_e32 v13, v13, v102
	v_sub_f32_e32 v101, v65, v96
	s_delay_alu instid0(VALU_DEP_1) | instskip(NEXT) | instid1(VALU_DEP_1)
	v_sub_f32_e32 v65, v65, v101
	v_sub_f32_e32 v65, v65, v96
	s_delay_alu instid0(VALU_DEP_1) | instskip(SKIP_2) | instid1(VALU_DEP_1)
	v_add_f32_e32 v13, v13, v65
	v_add_f32_e32 v65, v100, v97
	v_sub_f32_e32 v99, v96, v99
	v_sub_f32_e32 v96, v99, v98
	s_delay_alu instid0(VALU_DEP_1) | instskip(NEXT) | instid1(VALU_DEP_1)
	v_dual_add_f32 v13, v96, v13 :: v_dual_sub_f32 v96, v65, v100
	v_add_f32_e32 v13, v101, v13
	s_delay_alu instid0(VALU_DEP_1) | instskip(NEXT) | instid1(VALU_DEP_1)
	v_dual_sub_f32 v96, v97, v96 :: v_dual_mul_f32 v13, v64, v13
	v_add_f32_e32 v13, v96, v13
	s_delay_alu instid0(VALU_DEP_1) | instskip(NEXT) | instid1(VALU_DEP_1)
	v_add_f32_e32 v64, v65, v13
	v_mul_f32_e32 v96, v64, v64
	s_delay_alu instid0(VALU_DEP_1) | instskip(SKIP_2) | instid1(VALU_DEP_3)
	v_fmaak_f32 v97, s2, v96, 0x3ecc95a3
	v_mul_f32_e32 v98, v64, v96
	v_cmp_gt_f32_e64 s2, 0x33800000, |v7|
	v_fmaak_f32 v96, v96, v97, 0x3f2aaada
	v_ldexp_f32 v97, v64, 1
	v_sub_f32_e32 v64, v64, v65
	s_delay_alu instid0(VALU_DEP_4) | instskip(NEXT) | instid1(VALU_DEP_3)
	s_or_b32 vcc_lo, vcc_lo, s2
	v_mul_f32_e32 v96, v98, v96
	s_delay_alu instid0(VALU_DEP_2) | instskip(NEXT) | instid1(VALU_DEP_2)
	v_dual_mul_f32 v98, 0x3f317218, v22 :: v_dual_sub_f32 v13, v13, v64
	v_add_f32_e32 v65, v97, v96
	s_delay_alu instid0(VALU_DEP_2) | instskip(NEXT) | instid1(VALU_DEP_2)
	v_ldexp_f32 v13, v13, 1
	v_sub_f32_e32 v64, v65, v97
	s_delay_alu instid0(VALU_DEP_4) | instskip(NEXT) | instid1(VALU_DEP_2)
	v_fma_f32 v97, 0x3f317218, v22, -v98
	v_sub_f32_e32 v64, v96, v64
	s_delay_alu instid0(VALU_DEP_1) | instskip(NEXT) | instid1(VALU_DEP_1)
	v_dual_fmamk_f32 v22, v22, 0xb102e308, v97 :: v_dual_add_f32 v13, v13, v64
	v_add_f32_e32 v64, v98, v22
	s_delay_alu instid0(VALU_DEP_2) | instskip(NEXT) | instid1(VALU_DEP_2)
	v_add_f32_e32 v96, v65, v13
	v_sub_f32_e32 v98, v64, v98
	s_delay_alu instid0(VALU_DEP_2) | instskip(NEXT) | instid1(VALU_DEP_2)
	v_add_f32_e32 v97, v64, v96
	v_dual_sub_f32 v65, v96, v65 :: v_dual_sub_f32 v22, v22, v98
	s_delay_alu instid0(VALU_DEP_2) | instskip(NEXT) | instid1(VALU_DEP_2)
	v_sub_f32_e32 v99, v97, v64
	v_sub_f32_e32 v13, v13, v65
	s_delay_alu instid0(VALU_DEP_2) | instskip(NEXT) | instid1(VALU_DEP_2)
	v_sub_f32_e32 v100, v97, v99
	v_dual_sub_f32 v65, v96, v99 :: v_dual_add_f32 v96, v22, v13
	s_delay_alu instid0(VALU_DEP_2) | instskip(NEXT) | instid1(VALU_DEP_1)
	v_sub_f32_e32 v64, v64, v100
	v_dual_add_f32 v64, v65, v64 :: v_dual_sub_f32 v65, v96, v22
	s_delay_alu instid0(VALU_DEP_1) | instskip(NEXT) | instid1(VALU_DEP_2)
	v_add_f32_e32 v64, v96, v64
	v_sub_f32_e32 v96, v96, v65
	v_sub_f32_e32 v13, v13, v65
	s_delay_alu instid0(VALU_DEP_3) | instskip(NEXT) | instid1(VALU_DEP_3)
	v_add_f32_e32 v98, v97, v64
	v_sub_f32_e32 v22, v22, v96
	s_delay_alu instid0(VALU_DEP_2) | instskip(NEXT) | instid1(VALU_DEP_1)
	v_sub_f32_e32 v65, v98, v97
	v_dual_add_f32 v13, v13, v22 :: v_dual_sub_f32 v22, v64, v65
	s_delay_alu instid0(VALU_DEP_1) | instskip(NEXT) | instid1(VALU_DEP_1)
	v_add_f32_e32 v13, v13, v22
	v_add_f32_e32 v13, v98, v13
	s_delay_alu instid0(VALU_DEP_1) | instskip(NEXT) | instid1(VALU_DEP_1)
	v_cndmask_b32_e32 v7, v13, v7, vcc_lo
	v_add_f32_e32 v13, v2, v7
.LBB521_320:
	s_or_b32 exec_lo, exec_lo, s1
	s_delay_alu instid0(VALU_DEP_1) | instskip(SKIP_1) | instid1(VALU_DEP_2)
	v_bfe_u32 v2, v13, 16, 1
	v_cmp_o_f32_e32 vcc_lo, v13, v13
	v_add3_u32 v2, v13, v2, 0x7fff
	s_delay_alu instid0(VALU_DEP_1) | instskip(NEXT) | instid1(VALU_DEP_1)
	v_lshrrev_b32_e32 v2, 16, v2
	v_cndmask_b32_e32 v22, 0x7fc0, v2, vcc_lo
	s_delay_alu instid0(VALU_DEP_1) | instskip(NEXT) | instid1(VALU_DEP_1)
	v_lshlrev_b32_e32 v7, 16, v22
	v_max_f32_e32 v2, v7, v7
	s_delay_alu instid0(VALU_DEP_1) | instskip(SKIP_2) | instid1(VALU_DEP_3)
	v_min_f32_e32 v13, v2, v23
	v_max_f32_e32 v2, v2, v23
	v_cmp_u_f32_e32 vcc_lo, v7, v7
	v_cndmask_b32_e32 v13, v13, v7, vcc_lo
	s_delay_alu instid0(VALU_DEP_3) | instskip(NEXT) | instid1(VALU_DEP_2)
	v_cndmask_b32_e32 v2, v2, v7, vcc_lo
	v_cndmask_b32_e64 v13, v13, v3, s4
	s_delay_alu instid0(VALU_DEP_2) | instskip(NEXT) | instid1(VALU_DEP_2)
	v_cndmask_b32_e64 v2, v2, v3, s4
	v_cmp_class_f32_e64 s1, v13, 0x1f8
	s_delay_alu instid0(VALU_DEP_2) | instskip(NEXT) | instid1(VALU_DEP_2)
	v_cmp_neq_f32_e32 vcc_lo, v13, v2
	s_or_b32 s2, vcc_lo, s1
	s_delay_alu instid0(SALU_CYCLE_1)
	s_and_saveexec_b32 s1, s2
	s_cbranch_execz .LBB521_322
; %bb.321:
	v_sub_f32_e32 v3, v13, v2
	s_mov_b32 s2, 0x3e9b6dac
	s_delay_alu instid0(VALU_DEP_1) | instskip(SKIP_1) | instid1(VALU_DEP_2)
	v_mul_f32_e32 v7, 0x3fb8aa3b, v3
	v_cmp_ngt_f32_e32 vcc_lo, 0xc2ce8ed0, v3
	v_fma_f32 v13, 0x3fb8aa3b, v3, -v7
	v_rndne_f32_e32 v23, v7
	s_delay_alu instid0(VALU_DEP_2) | instskip(NEXT) | instid1(VALU_DEP_2)
	v_fmamk_f32 v13, v3, 0x32a5705f, v13
	v_sub_f32_e32 v7, v7, v23
	s_delay_alu instid0(VALU_DEP_1) | instskip(SKIP_1) | instid1(VALU_DEP_2)
	v_add_f32_e32 v7, v7, v13
	v_cvt_i32_f32_e32 v13, v23
	v_exp_f32_e32 v7, v7
	s_waitcnt_depctr 0xfff
	v_ldexp_f32 v7, v7, v13
	s_delay_alu instid0(VALU_DEP_1) | instskip(SKIP_1) | instid1(VALU_DEP_2)
	v_cndmask_b32_e32 v7, 0, v7, vcc_lo
	v_cmp_nlt_f32_e32 vcc_lo, 0x42b17218, v3
	v_cndmask_b32_e32 v3, 0x7f800000, v7, vcc_lo
	s_delay_alu instid0(VALU_DEP_1) | instskip(NEXT) | instid1(VALU_DEP_1)
	v_add_f32_e32 v7, 1.0, v3
	v_cvt_f64_f32_e32 v[64:65], v7
	v_frexp_mant_f32_e32 v23, v7
	s_delay_alu instid0(VALU_DEP_1) | instskip(SKIP_1) | instid1(VALU_DEP_4)
	v_cmp_gt_f32_e32 vcc_lo, 0x3f2aaaab, v23
	v_add_f32_e32 v23, -1.0, v7
	v_frexp_exp_i32_f64_e32 v13, v[64:65]
	s_delay_alu instid0(VALU_DEP_2) | instskip(SKIP_1) | instid1(VALU_DEP_2)
	v_sub_f32_e32 v65, v23, v7
	v_sub_f32_e32 v23, v3, v23
	v_add_f32_e32 v65, 1.0, v65
	s_delay_alu instid0(VALU_DEP_1) | instskip(SKIP_1) | instid1(VALU_DEP_1)
	v_add_f32_e32 v23, v23, v65
	v_subrev_co_ci_u32_e32 v13, vcc_lo, 0, v13, vcc_lo
	v_sub_nc_u32_e32 v64, 0, v13
	v_cvt_f32_i32_e32 v13, v13
	s_delay_alu instid0(VALU_DEP_2) | instskip(SKIP_1) | instid1(VALU_DEP_2)
	v_ldexp_f32 v7, v7, v64
	v_ldexp_f32 v23, v23, v64
	v_add_f32_e32 v96, 1.0, v7
	s_delay_alu instid0(VALU_DEP_1) | instskip(SKIP_1) | instid1(VALU_DEP_1)
	v_dual_add_f32 v64, -1.0, v7 :: v_dual_add_f32 v65, -1.0, v96
	s_waitcnt lgkmcnt(0)
	v_add_f32_e32 v97, 1.0, v64
	s_delay_alu instid0(VALU_DEP_2) | instskip(NEXT) | instid1(VALU_DEP_2)
	v_sub_f32_e32 v65, v7, v65
	v_sub_f32_e32 v7, v7, v97
	s_delay_alu instid0(VALU_DEP_2) | instskip(NEXT) | instid1(VALU_DEP_2)
	v_add_f32_e32 v65, v23, v65
	v_add_f32_e32 v7, v23, v7
	s_delay_alu instid0(VALU_DEP_2) | instskip(NEXT) | instid1(VALU_DEP_2)
	v_add_f32_e32 v97, v96, v65
	v_add_f32_e32 v98, v64, v7
	s_delay_alu instid0(VALU_DEP_2) | instskip(SKIP_1) | instid1(VALU_DEP_2)
	v_rcp_f32_e32 v23, v97
	v_sub_f32_e32 v96, v96, v97
	v_sub_f32_e32 v64, v64, v98
	v_cmp_eq_f32_e32 vcc_lo, 0x7f800000, v3
	s_delay_alu instid0(VALU_DEP_3) | instskip(NEXT) | instid1(VALU_DEP_3)
	v_add_f32_e32 v65, v65, v96
	v_add_f32_e32 v7, v7, v64
	s_waitcnt_depctr 0xfff
	v_mul_f32_e32 v99, v98, v23
	s_delay_alu instid0(VALU_DEP_1) | instskip(NEXT) | instid1(VALU_DEP_1)
	v_mul_f32_e32 v100, v97, v99
	v_fma_f32 v96, v99, v97, -v100
	s_delay_alu instid0(VALU_DEP_1) | instskip(NEXT) | instid1(VALU_DEP_1)
	v_fmac_f32_e32 v96, v99, v65
	v_add_f32_e32 v101, v100, v96
	s_delay_alu instid0(VALU_DEP_1) | instskip(SKIP_1) | instid1(VALU_DEP_2)
	v_sub_f32_e32 v102, v98, v101
	v_sub_f32_e32 v64, v101, v100
	;; [unrolled: 1-line block ×3, first 2 shown]
	s_delay_alu instid0(VALU_DEP_2) | instskip(NEXT) | instid1(VALU_DEP_2)
	v_sub_f32_e32 v64, v64, v96
	v_sub_f32_e32 v98, v98, v101
	s_delay_alu instid0(VALU_DEP_1) | instskip(NEXT) | instid1(VALU_DEP_1)
	v_add_f32_e32 v7, v7, v98
	v_add_f32_e32 v7, v64, v7
	s_delay_alu instid0(VALU_DEP_1) | instskip(NEXT) | instid1(VALU_DEP_1)
	v_add_f32_e32 v64, v102, v7
	v_mul_f32_e32 v96, v23, v64
	v_sub_f32_e32 v101, v102, v64
	s_delay_alu instid0(VALU_DEP_1) | instskip(NEXT) | instid1(VALU_DEP_1)
	v_dual_mul_f32 v98, v97, v96 :: v_dual_add_f32 v7, v7, v101
	v_fma_f32 v97, v96, v97, -v98
	s_delay_alu instid0(VALU_DEP_1) | instskip(NEXT) | instid1(VALU_DEP_1)
	v_fmac_f32_e32 v97, v96, v65
	v_add_f32_e32 v65, v98, v97
	s_delay_alu instid0(VALU_DEP_1) | instskip(SKIP_1) | instid1(VALU_DEP_2)
	v_sub_f32_e32 v100, v64, v65
	v_sub_f32_e32 v98, v65, v98
	;; [unrolled: 1-line block ×3, first 2 shown]
	s_delay_alu instid0(VALU_DEP_1) | instskip(NEXT) | instid1(VALU_DEP_3)
	v_sub_f32_e32 v64, v64, v65
	v_sub_f32_e32 v65, v98, v97
	s_delay_alu instid0(VALU_DEP_2) | instskip(NEXT) | instid1(VALU_DEP_1)
	v_add_f32_e32 v7, v7, v64
	v_dual_add_f32 v64, v99, v96 :: v_dual_add_f32 v7, v65, v7
	s_delay_alu instid0(VALU_DEP_1) | instskip(NEXT) | instid1(VALU_DEP_2)
	v_sub_f32_e32 v65, v64, v99
	v_add_f32_e32 v7, v100, v7
	s_delay_alu instid0(VALU_DEP_2) | instskip(NEXT) | instid1(VALU_DEP_2)
	v_sub_f32_e32 v65, v96, v65
	v_mul_f32_e32 v7, v23, v7
	s_delay_alu instid0(VALU_DEP_1) | instskip(NEXT) | instid1(VALU_DEP_1)
	v_add_f32_e32 v7, v65, v7
	v_add_f32_e32 v23, v64, v7
	s_delay_alu instid0(VALU_DEP_1) | instskip(NEXT) | instid1(VALU_DEP_1)
	v_mul_f32_e32 v65, v23, v23
	v_fmaak_f32 v96, s2, v65, 0x3ecc95a3
	v_mul_f32_e32 v97, v23, v65
	v_cmp_gt_f32_e64 s2, 0x33800000, |v3|
	s_delay_alu instid0(VALU_DEP_3) | instskip(SKIP_2) | instid1(VALU_DEP_4)
	v_fmaak_f32 v65, v65, v96, 0x3f2aaada
	v_ldexp_f32 v96, v23, 1
	v_sub_f32_e32 v23, v23, v64
	s_or_b32 vcc_lo, vcc_lo, s2
	s_delay_alu instid0(VALU_DEP_3) | instskip(SKIP_1) | instid1(VALU_DEP_2)
	v_mul_f32_e32 v65, v97, v65
	v_mul_f32_e32 v97, 0x3f317218, v13
	v_dual_sub_f32 v7, v7, v23 :: v_dual_add_f32 v64, v96, v65
	s_delay_alu instid0(VALU_DEP_1) | instskip(NEXT) | instid1(VALU_DEP_2)
	v_ldexp_f32 v7, v7, 1
	v_sub_f32_e32 v23, v64, v96
	s_delay_alu instid0(VALU_DEP_4) | instskip(NEXT) | instid1(VALU_DEP_2)
	v_fma_f32 v96, 0x3f317218, v13, -v97
	v_sub_f32_e32 v23, v65, v23
	s_delay_alu instid0(VALU_DEP_2) | instskip(NEXT) | instid1(VALU_DEP_2)
	v_fmamk_f32 v13, v13, 0xb102e308, v96
	v_add_f32_e32 v7, v7, v23
	s_delay_alu instid0(VALU_DEP_2) | instskip(NEXT) | instid1(VALU_DEP_2)
	v_add_f32_e32 v23, v97, v13
	v_add_f32_e32 v65, v64, v7
	s_delay_alu instid0(VALU_DEP_2) | instskip(NEXT) | instid1(VALU_DEP_2)
	v_sub_f32_e32 v97, v23, v97
	v_add_f32_e32 v96, v23, v65
	v_sub_f32_e32 v64, v65, v64
	s_delay_alu instid0(VALU_DEP_2) | instskip(NEXT) | instid1(VALU_DEP_2)
	v_dual_sub_f32 v13, v13, v97 :: v_dual_sub_f32 v98, v96, v23
	v_sub_f32_e32 v7, v7, v64
	s_delay_alu instid0(VALU_DEP_2) | instskip(SKIP_1) | instid1(VALU_DEP_3)
	v_sub_f32_e32 v99, v96, v98
	v_sub_f32_e32 v64, v65, v98
	v_add_f32_e32 v65, v13, v7
	s_delay_alu instid0(VALU_DEP_3) | instskip(NEXT) | instid1(VALU_DEP_1)
	v_sub_f32_e32 v23, v23, v99
	v_dual_add_f32 v23, v64, v23 :: v_dual_sub_f32 v64, v65, v13
	s_delay_alu instid0(VALU_DEP_1) | instskip(NEXT) | instid1(VALU_DEP_2)
	v_add_f32_e32 v23, v65, v23
	v_sub_f32_e32 v65, v65, v64
	v_sub_f32_e32 v7, v7, v64
	s_delay_alu instid0(VALU_DEP_3) | instskip(NEXT) | instid1(VALU_DEP_3)
	v_add_f32_e32 v97, v96, v23
	v_sub_f32_e32 v13, v13, v65
	s_delay_alu instid0(VALU_DEP_1) | instskip(NEXT) | instid1(VALU_DEP_1)
	v_dual_sub_f32 v64, v97, v96 :: v_dual_add_f32 v7, v7, v13
	v_sub_f32_e32 v13, v23, v64
	s_delay_alu instid0(VALU_DEP_1) | instskip(NEXT) | instid1(VALU_DEP_1)
	v_add_f32_e32 v7, v7, v13
	v_add_f32_e32 v7, v97, v7
	s_delay_alu instid0(VALU_DEP_1) | instskip(NEXT) | instid1(VALU_DEP_1)
	v_cndmask_b32_e32 v3, v7, v3, vcc_lo
	v_add_f32_e32 v7, v2, v3
.LBB521_322:
	s_or_b32 exec_lo, exec_lo, s1
	s_delay_alu instid0(VALU_DEP_1) | instskip(SKIP_1) | instid1(VALU_DEP_2)
	v_bfe_u32 v2, v7, 16, 1
	v_cmp_o_f32_e32 vcc_lo, v7, v7
	v_add3_u32 v2, v7, v2, 0x7fff
	s_delay_alu instid0(VALU_DEP_1) | instskip(NEXT) | instid1(VALU_DEP_1)
	v_lshrrev_b32_e32 v2, 16, v2
	v_cndmask_b32_e32 v23, 0x7fc0, v2, vcc_lo
	s_delay_alu instid0(VALU_DEP_1) | instskip(NEXT) | instid1(VALU_DEP_1)
	v_lshlrev_b32_e32 v3, 16, v23
	v_max_f32_e32 v2, v3, v3
	s_delay_alu instid0(VALU_DEP_1) | instskip(SKIP_2) | instid1(VALU_DEP_3)
	v_min_f32_e32 v7, v2, v53
	v_max_f32_e32 v2, v2, v53
	v_cmp_u_f32_e32 vcc_lo, v3, v3
	v_cndmask_b32_e32 v7, v7, v3, vcc_lo
	s_delay_alu instid0(VALU_DEP_3) | instskip(NEXT) | instid1(VALU_DEP_2)
	v_cndmask_b32_e32 v2, v2, v3, vcc_lo
	v_cndmask_b32_e64 v7, v7, v6, s5
	s_delay_alu instid0(VALU_DEP_2) | instskip(NEXT) | instid1(VALU_DEP_2)
	v_cndmask_b32_e64 v2, v2, v6, s5
	v_cmp_class_f32_e64 s1, v7, 0x1f8
	s_delay_alu instid0(VALU_DEP_2) | instskip(NEXT) | instid1(VALU_DEP_2)
	v_cmp_neq_f32_e32 vcc_lo, v7, v2
	s_or_b32 s2, vcc_lo, s1
	s_delay_alu instid0(SALU_CYCLE_1)
	s_and_saveexec_b32 s1, s2
	s_cbranch_execz .LBB521_324
; %bb.323:
	v_sub_f32_e32 v3, v7, v2
	s_mov_b32 s2, 0x3e9b6dac
	s_delay_alu instid0(VALU_DEP_1) | instskip(NEXT) | instid1(VALU_DEP_1)
	v_mul_f32_e32 v6, 0x3fb8aa3b, v3
	v_fma_f32 v7, 0x3fb8aa3b, v3, -v6
	v_rndne_f32_e32 v13, v6
	s_delay_alu instid0(VALU_DEP_1) | instskip(SKIP_1) | instid1(VALU_DEP_4)
	v_sub_f32_e32 v6, v6, v13
	v_cmp_ngt_f32_e32 vcc_lo, 0xc2ce8ed0, v3
	v_fmamk_f32 v7, v3, 0x32a5705f, v7
	s_delay_alu instid0(VALU_DEP_1) | instskip(SKIP_1) | instid1(VALU_DEP_2)
	v_add_f32_e32 v6, v6, v7
	v_cvt_i32_f32_e32 v7, v13
	v_exp_f32_e32 v6, v6
	s_waitcnt_depctr 0xfff
	v_ldexp_f32 v6, v6, v7
	s_delay_alu instid0(VALU_DEP_1) | instskip(SKIP_1) | instid1(VALU_DEP_2)
	v_cndmask_b32_e32 v6, 0, v6, vcc_lo
	v_cmp_nlt_f32_e32 vcc_lo, 0x42b17218, v3
	v_cndmask_b32_e32 v3, 0x7f800000, v6, vcc_lo
	s_delay_alu instid0(VALU_DEP_1) | instskip(NEXT) | instid1(VALU_DEP_1)
	v_add_f32_e32 v13, 1.0, v3
	v_cvt_f64_f32_e32 v[6:7], v13
	s_delay_alu instid0(VALU_DEP_1) | instskip(SKIP_1) | instid1(VALU_DEP_1)
	v_frexp_exp_i32_f64_e32 v6, v[6:7]
	v_frexp_mant_f32_e32 v7, v13
	v_cmp_gt_f32_e32 vcc_lo, 0x3f2aaaab, v7
	v_add_f32_e32 v7, -1.0, v13
	s_delay_alu instid0(VALU_DEP_1) | instskip(NEXT) | instid1(VALU_DEP_1)
	v_sub_f32_e32 v64, v7, v13
	v_add_f32_e32 v64, 1.0, v64
	v_subrev_co_ci_u32_e32 v6, vcc_lo, 0, v6, vcc_lo
	v_cmp_eq_f32_e32 vcc_lo, 0x7f800000, v3
	s_delay_alu instid0(VALU_DEP_2) | instskip(SKIP_1) | instid1(VALU_DEP_2)
	v_sub_nc_u32_e32 v53, 0, v6
	v_cvt_f32_i32_e32 v6, v6
	v_ldexp_f32 v13, v13, v53
	s_delay_alu instid0(VALU_DEP_1) | instskip(SKIP_1) | instid1(VALU_DEP_1)
	v_add_f32_e32 v65, 1.0, v13
	v_sub_f32_e32 v7, v3, v7
	v_dual_add_f32 v7, v7, v64 :: v_dual_add_f32 v64, -1.0, v65
	s_delay_alu instid0(VALU_DEP_1) | instskip(NEXT) | instid1(VALU_DEP_2)
	v_ldexp_f32 v7, v7, v53
	v_dual_add_f32 v53, -1.0, v13 :: v_dual_sub_f32 v64, v13, v64
	s_delay_alu instid0(VALU_DEP_1) | instskip(NEXT) | instid1(VALU_DEP_2)
	v_add_f32_e32 v96, 1.0, v53
	v_add_f32_e32 v64, v7, v64
	s_delay_alu instid0(VALU_DEP_2) | instskip(NEXT) | instid1(VALU_DEP_1)
	v_sub_f32_e32 v13, v13, v96
	v_add_f32_e32 v7, v7, v13
	s_waitcnt lgkmcnt(0)
	s_delay_alu instid0(VALU_DEP_1) | instskip(NEXT) | instid1(VALU_DEP_1)
	v_add_f32_e32 v97, v53, v7
	v_sub_f32_e32 v53, v53, v97
	s_delay_alu instid0(VALU_DEP_1) | instskip(NEXT) | instid1(VALU_DEP_1)
	v_dual_add_f32 v96, v65, v64 :: v_dual_add_f32 v7, v7, v53
	v_rcp_f32_e32 v13, v96
	v_sub_f32_e32 v65, v65, v96
	s_delay_alu instid0(VALU_DEP_1) | instskip(SKIP_2) | instid1(VALU_DEP_1)
	v_add_f32_e32 v64, v64, v65
	s_waitcnt_depctr 0xfff
	v_mul_f32_e32 v98, v97, v13
	v_mul_f32_e32 v99, v96, v98
	s_delay_alu instid0(VALU_DEP_1) | instskip(NEXT) | instid1(VALU_DEP_1)
	v_fma_f32 v65, v98, v96, -v99
	v_fmac_f32_e32 v65, v98, v64
	s_delay_alu instid0(VALU_DEP_1) | instskip(NEXT) | instid1(VALU_DEP_1)
	v_add_f32_e32 v100, v99, v65
	v_sub_f32_e32 v101, v97, v100
	v_sub_f32_e32 v53, v100, v99
	s_delay_alu instid0(VALU_DEP_2) | instskip(NEXT) | instid1(VALU_DEP_2)
	v_sub_f32_e32 v97, v97, v101
	v_sub_f32_e32 v53, v53, v65
	s_delay_alu instid0(VALU_DEP_2) | instskip(NEXT) | instid1(VALU_DEP_1)
	v_sub_f32_e32 v97, v97, v100
	v_add_f32_e32 v7, v7, v97
	s_delay_alu instid0(VALU_DEP_1) | instskip(NEXT) | instid1(VALU_DEP_1)
	v_add_f32_e32 v7, v53, v7
	v_add_f32_e32 v53, v101, v7
	s_delay_alu instid0(VALU_DEP_1) | instskip(SKIP_1) | instid1(VALU_DEP_2)
	v_mul_f32_e32 v65, v13, v53
	v_sub_f32_e32 v100, v101, v53
	v_mul_f32_e32 v97, v96, v65
	s_delay_alu instid0(VALU_DEP_2) | instskip(NEXT) | instid1(VALU_DEP_2)
	v_add_f32_e32 v7, v7, v100
	v_fma_f32 v96, v65, v96, -v97
	s_delay_alu instid0(VALU_DEP_1) | instskip(NEXT) | instid1(VALU_DEP_1)
	v_fmac_f32_e32 v96, v65, v64
	v_add_f32_e32 v64, v97, v96
	s_delay_alu instid0(VALU_DEP_1) | instskip(SKIP_1) | instid1(VALU_DEP_2)
	v_sub_f32_e32 v99, v53, v64
	v_sub_f32_e32 v97, v64, v97
	;; [unrolled: 1-line block ×3, first 2 shown]
	s_delay_alu instid0(VALU_DEP_1) | instskip(NEXT) | instid1(VALU_DEP_1)
	v_sub_f32_e32 v53, v53, v64
	v_dual_sub_f32 v64, v97, v96 :: v_dual_add_f32 v7, v7, v53
	v_add_f32_e32 v53, v98, v65
	s_delay_alu instid0(VALU_DEP_1) | instskip(NEXT) | instid1(VALU_DEP_1)
	v_dual_add_f32 v7, v64, v7 :: v_dual_sub_f32 v64, v53, v98
	v_dual_add_f32 v7, v99, v7 :: v_dual_sub_f32 v64, v65, v64
	s_delay_alu instid0(VALU_DEP_1) | instskip(NEXT) | instid1(VALU_DEP_1)
	v_mul_f32_e32 v7, v13, v7
	v_add_f32_e32 v7, v64, v7
	s_delay_alu instid0(VALU_DEP_1) | instskip(NEXT) | instid1(VALU_DEP_1)
	v_add_f32_e32 v13, v53, v7
	v_mul_f32_e32 v64, v13, v13
	s_delay_alu instid0(VALU_DEP_1) | instskip(SKIP_2) | instid1(VALU_DEP_3)
	v_fmaak_f32 v65, s2, v64, 0x3ecc95a3
	v_mul_f32_e32 v96, v13, v64
	v_cmp_gt_f32_e64 s2, 0x33800000, |v3|
	v_fmaak_f32 v64, v64, v65, 0x3f2aaada
	v_ldexp_f32 v65, v13, 1
	v_sub_f32_e32 v13, v13, v53
	s_delay_alu instid0(VALU_DEP_4) | instskip(NEXT) | instid1(VALU_DEP_3)
	s_or_b32 vcc_lo, vcc_lo, s2
	v_mul_f32_e32 v64, v96, v64
	s_delay_alu instid0(VALU_DEP_2) | instskip(NEXT) | instid1(VALU_DEP_2)
	v_dual_mul_f32 v96, 0x3f317218, v6 :: v_dual_sub_f32 v7, v7, v13
	v_add_f32_e32 v53, v65, v64
	s_delay_alu instid0(VALU_DEP_2) | instskip(NEXT) | instid1(VALU_DEP_2)
	v_ldexp_f32 v7, v7, 1
	v_sub_f32_e32 v13, v53, v65
	s_delay_alu instid0(VALU_DEP_4) | instskip(NEXT) | instid1(VALU_DEP_1)
	v_fma_f32 v65, 0x3f317218, v6, -v96
	v_dual_sub_f32 v13, v64, v13 :: v_dual_fmamk_f32 v6, v6, 0xb102e308, v65
	s_delay_alu instid0(VALU_DEP_1) | instskip(NEXT) | instid1(VALU_DEP_1)
	v_add_f32_e32 v7, v7, v13
	v_dual_add_f32 v13, v96, v6 :: v_dual_add_f32 v64, v53, v7
	s_delay_alu instid0(VALU_DEP_1) | instskip(NEXT) | instid1(VALU_DEP_2)
	v_sub_f32_e32 v96, v13, v96
	v_add_f32_e32 v65, v13, v64
	s_delay_alu instid0(VALU_DEP_2) | instskip(NEXT) | instid1(VALU_DEP_2)
	v_dual_sub_f32 v53, v64, v53 :: v_dual_sub_f32 v6, v6, v96
	v_sub_f32_e32 v97, v65, v13
	s_delay_alu instid0(VALU_DEP_2) | instskip(NEXT) | instid1(VALU_DEP_2)
	v_sub_f32_e32 v7, v7, v53
	v_sub_f32_e32 v98, v65, v97
	s_delay_alu instid0(VALU_DEP_2) | instskip(NEXT) | instid1(VALU_DEP_2)
	v_dual_sub_f32 v53, v64, v97 :: v_dual_add_f32 v64, v6, v7
	v_sub_f32_e32 v13, v13, v98
	s_delay_alu instid0(VALU_DEP_1) | instskip(NEXT) | instid1(VALU_DEP_3)
	v_add_f32_e32 v13, v53, v13
	v_sub_f32_e32 v53, v64, v6
	s_delay_alu instid0(VALU_DEP_2) | instskip(NEXT) | instid1(VALU_DEP_2)
	v_add_f32_e32 v13, v64, v13
	v_sub_f32_e32 v64, v64, v53
	v_sub_f32_e32 v7, v7, v53
	s_delay_alu instid0(VALU_DEP_3) | instskip(NEXT) | instid1(VALU_DEP_1)
	v_add_f32_e32 v96, v65, v13
	v_dual_sub_f32 v6, v6, v64 :: v_dual_sub_f32 v53, v96, v65
	s_delay_alu instid0(VALU_DEP_1) | instskip(NEXT) | instid1(VALU_DEP_1)
	v_dual_add_f32 v6, v7, v6 :: v_dual_sub_f32 v7, v13, v53
	v_add_f32_e32 v6, v6, v7
	s_delay_alu instid0(VALU_DEP_1) | instskip(NEXT) | instid1(VALU_DEP_1)
	v_add_f32_e32 v6, v96, v6
	v_cndmask_b32_e32 v3, v6, v3, vcc_lo
	s_delay_alu instid0(VALU_DEP_1)
	v_add_f32_e32 v3, v2, v3
.LBB521_324:
	s_or_b32 exec_lo, exec_lo, s1
	s_delay_alu instid0(VALU_DEP_1) | instskip(SKIP_1) | instid1(VALU_DEP_2)
	v_bfe_u32 v2, v3, 16, 1
	v_cmp_o_f32_e32 vcc_lo, v3, v3
	v_add3_u32 v2, v3, v2, 0x7fff
	s_delay_alu instid0(VALU_DEP_1) | instskip(NEXT) | instid1(VALU_DEP_1)
	v_lshrrev_b32_e32 v2, 16, v2
	v_cndmask_b32_e32 v64, 0x7fc0, v2, vcc_lo
	s_delay_alu instid0(VALU_DEP_1) | instskip(NEXT) | instid1(VALU_DEP_1)
	v_lshlrev_b32_e32 v3, 16, v64
	v_max_f32_e32 v2, v3, v3
	v_cmp_u_f32_e32 vcc_lo, v3, v3
	s_delay_alu instid0(VALU_DEP_2) | instskip(SKIP_1) | instid1(VALU_DEP_2)
	v_min_f32_e32 v6, v2, v52
	v_max_f32_e32 v2, v2, v52
	v_cndmask_b32_e32 v6, v6, v3, vcc_lo
	s_delay_alu instid0(VALU_DEP_2) | instskip(NEXT) | instid1(VALU_DEP_2)
	v_cndmask_b32_e32 v2, v2, v3, vcc_lo
	v_cndmask_b32_e64 v6, v6, v12, s6
	s_delay_alu instid0(VALU_DEP_2) | instskip(NEXT) | instid1(VALU_DEP_2)
	v_cndmask_b32_e64 v2, v2, v12, s6
	v_cmp_class_f32_e64 s1, v6, 0x1f8
	s_delay_alu instid0(VALU_DEP_2) | instskip(NEXT) | instid1(VALU_DEP_2)
	v_cmp_neq_f32_e32 vcc_lo, v6, v2
	s_or_b32 s2, vcc_lo, s1
	s_delay_alu instid0(SALU_CYCLE_1)
	s_and_saveexec_b32 s1, s2
	s_cbranch_execz .LBB521_326
; %bb.325:
	v_sub_f32_e32 v3, v6, v2
	s_mov_b32 s2, 0x3e9b6dac
	s_delay_alu instid0(VALU_DEP_1) | instskip(SKIP_1) | instid1(VALU_DEP_2)
	v_mul_f32_e32 v6, 0x3fb8aa3b, v3
	v_cmp_ngt_f32_e32 vcc_lo, 0xc2ce8ed0, v3
	v_fma_f32 v7, 0x3fb8aa3b, v3, -v6
	v_rndne_f32_e32 v12, v6
	s_delay_alu instid0(VALU_DEP_1) | instskip(NEXT) | instid1(VALU_DEP_1)
	v_dual_fmamk_f32 v7, v3, 0x32a5705f, v7 :: v_dual_sub_f32 v6, v6, v12
	v_add_f32_e32 v6, v6, v7
	v_cvt_i32_f32_e32 v7, v12
	s_delay_alu instid0(VALU_DEP_2) | instskip(SKIP_2) | instid1(VALU_DEP_1)
	v_exp_f32_e32 v6, v6
	s_waitcnt_depctr 0xfff
	v_ldexp_f32 v6, v6, v7
	v_cndmask_b32_e32 v6, 0, v6, vcc_lo
	v_cmp_nlt_f32_e32 vcc_lo, 0x42b17218, v3
	s_delay_alu instid0(VALU_DEP_2) | instskip(NEXT) | instid1(VALU_DEP_1)
	v_cndmask_b32_e32 v3, 0x7f800000, v6, vcc_lo
	v_add_f32_e32 v12, 1.0, v3
	s_delay_alu instid0(VALU_DEP_1) | instskip(NEXT) | instid1(VALU_DEP_1)
	v_cvt_f64_f32_e32 v[6:7], v12
	v_frexp_exp_i32_f64_e32 v6, v[6:7]
	v_frexp_mant_f32_e32 v7, v12
	s_delay_alu instid0(VALU_DEP_1) | instskip(SKIP_1) | instid1(VALU_DEP_1)
	v_cmp_gt_f32_e32 vcc_lo, 0x3f2aaaab, v7
	v_add_f32_e32 v7, -1.0, v12
	v_sub_f32_e32 v52, v7, v12
	s_delay_alu instid0(VALU_DEP_1) | instskip(NEXT) | instid1(VALU_DEP_1)
	v_dual_add_f32 v52, 1.0, v52 :: v_dual_sub_f32 v7, v3, v7
	v_add_f32_e32 v7, v7, v52
	v_subrev_co_ci_u32_e32 v6, vcc_lo, 0, v6, vcc_lo
	v_cmp_eq_f32_e32 vcc_lo, 0x7f800000, v3
	s_delay_alu instid0(VALU_DEP_2) | instskip(SKIP_1) | instid1(VALU_DEP_2)
	v_sub_nc_u32_e32 v13, 0, v6
	v_cvt_f32_i32_e32 v6, v6
	v_ldexp_f32 v12, v12, v13
	v_ldexp_f32 v7, v7, v13
	s_delay_alu instid0(VALU_DEP_2) | instskip(NEXT) | instid1(VALU_DEP_1)
	v_add_f32_e32 v53, 1.0, v12
	v_dual_add_f32 v13, -1.0, v12 :: v_dual_add_f32 v52, -1.0, v53
	s_delay_alu instid0(VALU_DEP_1) | instskip(NEXT) | instid1(VALU_DEP_1)
	v_dual_add_f32 v65, 1.0, v13 :: v_dual_sub_f32 v52, v12, v52
	v_add_f32_e32 v52, v7, v52
	s_delay_alu instid0(VALU_DEP_1) | instskip(NEXT) | instid1(VALU_DEP_1)
	v_dual_sub_f32 v12, v12, v65 :: v_dual_add_f32 v65, v53, v52
	v_add_f32_e32 v7, v7, v12
	s_delay_alu instid0(VALU_DEP_2) | instskip(NEXT) | instid1(VALU_DEP_1)
	v_rcp_f32_e32 v12, v65
	v_add_f32_e32 v96, v13, v7
	v_sub_f32_e32 v53, v53, v65
	s_delay_alu instid0(VALU_DEP_1) | instskip(SKIP_3) | instid1(VALU_DEP_1)
	v_add_f32_e32 v52, v52, v53
	s_waitcnt lgkmcnt(0)
	s_waitcnt_depctr 0xfff
	v_mul_f32_e32 v97, v96, v12
	v_mul_f32_e32 v98, v65, v97
	s_delay_alu instid0(VALU_DEP_1) | instskip(NEXT) | instid1(VALU_DEP_1)
	v_fma_f32 v53, v97, v65, -v98
	v_fmac_f32_e32 v53, v97, v52
	s_delay_alu instid0(VALU_DEP_1) | instskip(NEXT) | instid1(VALU_DEP_1)
	v_add_f32_e32 v99, v98, v53
	v_dual_sub_f32 v13, v13, v96 :: v_dual_sub_f32 v100, v96, v99
	s_delay_alu instid0(VALU_DEP_1) | instskip(NEXT) | instid1(VALU_DEP_1)
	v_dual_add_f32 v7, v7, v13 :: v_dual_sub_f32 v96, v96, v100
	v_dual_sub_f32 v13, v99, v98 :: v_dual_sub_f32 v96, v96, v99
	s_delay_alu instid0(VALU_DEP_1) | instskip(NEXT) | instid1(VALU_DEP_2)
	v_sub_f32_e32 v13, v13, v53
	v_add_f32_e32 v7, v7, v96
	s_delay_alu instid0(VALU_DEP_1) | instskip(NEXT) | instid1(VALU_DEP_1)
	v_add_f32_e32 v7, v13, v7
	v_add_f32_e32 v13, v100, v7
	s_delay_alu instid0(VALU_DEP_1) | instskip(SKIP_1) | instid1(VALU_DEP_2)
	v_mul_f32_e32 v53, v12, v13
	v_sub_f32_e32 v99, v100, v13
	v_mul_f32_e32 v96, v65, v53
	s_delay_alu instid0(VALU_DEP_1) | instskip(NEXT) | instid1(VALU_DEP_1)
	v_fma_f32 v65, v53, v65, -v96
	v_fmac_f32_e32 v65, v53, v52
	s_delay_alu instid0(VALU_DEP_1) | instskip(NEXT) | instid1(VALU_DEP_1)
	v_add_f32_e32 v52, v96, v65
	v_sub_f32_e32 v98, v13, v52
	s_delay_alu instid0(VALU_DEP_1) | instskip(NEXT) | instid1(VALU_DEP_1)
	v_dual_sub_f32 v96, v52, v96 :: v_dual_sub_f32 v13, v13, v98
	v_dual_sub_f32 v13, v13, v52 :: v_dual_sub_f32 v52, v96, v65
	v_add_f32_e32 v7, v7, v99
	s_delay_alu instid0(VALU_DEP_1) | instskip(SKIP_1) | instid1(VALU_DEP_1)
	v_add_f32_e32 v7, v7, v13
	v_add_f32_e32 v13, v97, v53
	v_dual_add_f32 v7, v52, v7 :: v_dual_sub_f32 v52, v13, v97
	s_delay_alu instid0(VALU_DEP_1) | instskip(NEXT) | instid1(VALU_DEP_1)
	v_dual_add_f32 v7, v98, v7 :: v_dual_sub_f32 v52, v53, v52
	v_mul_f32_e32 v7, v12, v7
	s_delay_alu instid0(VALU_DEP_1) | instskip(NEXT) | instid1(VALU_DEP_1)
	v_add_f32_e32 v7, v52, v7
	v_add_f32_e32 v12, v13, v7
	s_delay_alu instid0(VALU_DEP_1) | instskip(NEXT) | instid1(VALU_DEP_1)
	v_mul_f32_e32 v52, v12, v12
	v_fmaak_f32 v53, s2, v52, 0x3ecc95a3
	v_mul_f32_e32 v65, v12, v52
	v_cmp_gt_f32_e64 s2, 0x33800000, |v3|
	s_delay_alu instid0(VALU_DEP_3) | instskip(SKIP_2) | instid1(VALU_DEP_4)
	v_fmaak_f32 v52, v52, v53, 0x3f2aaada
	v_ldexp_f32 v53, v12, 1
	v_sub_f32_e32 v12, v12, v13
	s_or_b32 vcc_lo, vcc_lo, s2
	s_delay_alu instid0(VALU_DEP_3) | instskip(NEXT) | instid1(VALU_DEP_2)
	v_dual_mul_f32 v52, v65, v52 :: v_dual_mul_f32 v65, 0x3f317218, v6
	v_sub_f32_e32 v7, v7, v12
	s_delay_alu instid0(VALU_DEP_2) | instskip(NEXT) | instid1(VALU_DEP_2)
	v_add_f32_e32 v13, v53, v52
	v_ldexp_f32 v7, v7, 1
	s_delay_alu instid0(VALU_DEP_2) | instskip(SKIP_1) | instid1(VALU_DEP_2)
	v_sub_f32_e32 v12, v13, v53
	v_fma_f32 v53, 0x3f317218, v6, -v65
	v_sub_f32_e32 v12, v52, v12
	s_delay_alu instid0(VALU_DEP_1) | instskip(NEXT) | instid1(VALU_DEP_1)
	v_dual_fmamk_f32 v6, v6, 0xb102e308, v53 :: v_dual_add_f32 v7, v7, v12
	v_add_f32_e32 v12, v65, v6
	s_delay_alu instid0(VALU_DEP_1) | instskip(NEXT) | instid1(VALU_DEP_1)
	v_sub_f32_e32 v65, v12, v65
	v_sub_f32_e32 v6, v6, v65
	s_delay_alu instid0(VALU_DEP_4) | instskip(NEXT) | instid1(VALU_DEP_1)
	v_add_f32_e32 v52, v13, v7
	v_add_f32_e32 v53, v12, v52
	s_delay_alu instid0(VALU_DEP_1) | instskip(NEXT) | instid1(VALU_DEP_1)
	v_dual_sub_f32 v13, v52, v13 :: v_dual_sub_f32 v96, v53, v12
	v_sub_f32_e32 v7, v7, v13
	s_delay_alu instid0(VALU_DEP_2) | instskip(NEXT) | instid1(VALU_DEP_2)
	v_sub_f32_e32 v97, v53, v96
	v_dual_sub_f32 v13, v52, v96 :: v_dual_add_f32 v52, v6, v7
	s_delay_alu instid0(VALU_DEP_2) | instskip(NEXT) | instid1(VALU_DEP_1)
	v_sub_f32_e32 v12, v12, v97
	v_dual_add_f32 v12, v13, v12 :: v_dual_sub_f32 v13, v52, v6
	s_delay_alu instid0(VALU_DEP_1) | instskip(NEXT) | instid1(VALU_DEP_2)
	v_add_f32_e32 v12, v52, v12
	v_sub_f32_e32 v52, v52, v13
	s_delay_alu instid0(VALU_DEP_1) | instskip(NEXT) | instid1(VALU_DEP_1)
	v_dual_sub_f32 v7, v7, v13 :: v_dual_sub_f32 v6, v6, v52
	v_dual_add_f32 v6, v7, v6 :: v_dual_add_f32 v65, v53, v12
	s_delay_alu instid0(VALU_DEP_1) | instskip(NEXT) | instid1(VALU_DEP_1)
	v_sub_f32_e32 v13, v65, v53
	v_sub_f32_e32 v7, v12, v13
	s_delay_alu instid0(VALU_DEP_1) | instskip(NEXT) | instid1(VALU_DEP_1)
	v_add_f32_e32 v6, v6, v7
	v_add_f32_e32 v6, v65, v6
	s_delay_alu instid0(VALU_DEP_1) | instskip(NEXT) | instid1(VALU_DEP_1)
	v_cndmask_b32_e32 v3, v6, v3, vcc_lo
	v_add_f32_e32 v3, v2, v3
.LBB521_326:
	s_or_b32 exec_lo, exec_lo, s1
	s_delay_alu instid0(VALU_DEP_1) | instskip(SKIP_1) | instid1(VALU_DEP_2)
	v_bfe_u32 v2, v3, 16, 1
	v_cmp_o_f32_e32 vcc_lo, v3, v3
	v_add3_u32 v2, v3, v2, 0x7fff
	s_delay_alu instid0(VALU_DEP_1) | instskip(NEXT) | instid1(VALU_DEP_1)
	v_lshrrev_b32_e32 v2, 16, v2
	v_cndmask_b32_e32 v65, 0x7fc0, v2, vcc_lo
	s_delay_alu instid0(VALU_DEP_1) | instskip(NEXT) | instid1(VALU_DEP_1)
	v_lshlrev_b32_e32 v3, 16, v65
	v_max_f32_e32 v2, v3, v3
	s_delay_alu instid0(VALU_DEP_1) | instskip(SKIP_2) | instid1(VALU_DEP_3)
	v_min_f32_e32 v6, v2, v54
	v_max_f32_e32 v2, v2, v54
	v_cmp_u_f32_e32 vcc_lo, v3, v3
	v_cndmask_b32_e32 v6, v6, v3, vcc_lo
	s_delay_alu instid0(VALU_DEP_3) | instskip(NEXT) | instid1(VALU_DEP_2)
	v_cndmask_b32_e32 v2, v2, v3, vcc_lo
	v_cndmask_b32_e64 v6, v6, v51, s7
	s_delay_alu instid0(VALU_DEP_2) | instskip(NEXT) | instid1(VALU_DEP_2)
	v_cndmask_b32_e64 v2, v2, v51, s7
	v_cmp_class_f32_e64 s1, v6, 0x1f8
	s_delay_alu instid0(VALU_DEP_2) | instskip(NEXT) | instid1(VALU_DEP_2)
	v_cmp_neq_f32_e32 vcc_lo, v6, v2
	s_or_b32 s2, vcc_lo, s1
	s_delay_alu instid0(SALU_CYCLE_1)
	s_and_saveexec_b32 s1, s2
	s_cbranch_execz .LBB521_328
; %bb.327:
	v_sub_f32_e32 v3, v6, v2
	s_mov_b32 s2, 0x3e9b6dac
	s_delay_alu instid0(VALU_DEP_1) | instskip(SKIP_1) | instid1(VALU_DEP_2)
	v_mul_f32_e32 v6, 0x3fb8aa3b, v3
	v_cmp_ngt_f32_e32 vcc_lo, 0xc2ce8ed0, v3
	v_fma_f32 v7, 0x3fb8aa3b, v3, -v6
	v_rndne_f32_e32 v12, v6
	s_delay_alu instid0(VALU_DEP_1) | instskip(NEXT) | instid1(VALU_DEP_1)
	v_dual_fmamk_f32 v7, v3, 0x32a5705f, v7 :: v_dual_sub_f32 v6, v6, v12
	v_add_f32_e32 v6, v6, v7
	v_cvt_i32_f32_e32 v7, v12
	s_delay_alu instid0(VALU_DEP_2) | instskip(SKIP_2) | instid1(VALU_DEP_1)
	v_exp_f32_e32 v6, v6
	s_waitcnt_depctr 0xfff
	v_ldexp_f32 v6, v6, v7
	v_cndmask_b32_e32 v6, 0, v6, vcc_lo
	v_cmp_nlt_f32_e32 vcc_lo, 0x42b17218, v3
	s_delay_alu instid0(VALU_DEP_2) | instskip(NEXT) | instid1(VALU_DEP_1)
	v_cndmask_b32_e32 v3, 0x7f800000, v6, vcc_lo
	v_add_f32_e32 v12, 1.0, v3
	s_delay_alu instid0(VALU_DEP_1) | instskip(NEXT) | instid1(VALU_DEP_1)
	v_cvt_f64_f32_e32 v[6:7], v12
	v_frexp_exp_i32_f64_e32 v6, v[6:7]
	v_frexp_mant_f32_e32 v7, v12
	s_delay_alu instid0(VALU_DEP_1) | instskip(SKIP_1) | instid1(VALU_DEP_1)
	v_cmp_gt_f32_e32 vcc_lo, 0x3f2aaaab, v7
	v_add_f32_e32 v7, -1.0, v12
	v_sub_f32_e32 v51, v7, v12
	v_sub_f32_e32 v7, v3, v7
	s_delay_alu instid0(VALU_DEP_2) | instskip(SKIP_1) | instid1(VALU_DEP_1)
	v_add_f32_e32 v51, 1.0, v51
	v_subrev_co_ci_u32_e32 v6, vcc_lo, 0, v6, vcc_lo
	v_sub_nc_u32_e32 v13, 0, v6
	v_cvt_f32_i32_e32 v6, v6
	s_delay_alu instid0(VALU_DEP_2) | instskip(NEXT) | instid1(VALU_DEP_1)
	v_ldexp_f32 v12, v12, v13
	v_dual_add_f32 v52, 1.0, v12 :: v_dual_add_f32 v7, v7, v51
	s_delay_alu instid0(VALU_DEP_1) | instskip(NEXT) | instid1(VALU_DEP_2)
	v_add_f32_e32 v51, -1.0, v52
	v_ldexp_f32 v7, v7, v13
	v_add_f32_e32 v13, -1.0, v12
	s_delay_alu instid0(VALU_DEP_3) | instskip(NEXT) | instid1(VALU_DEP_2)
	v_sub_f32_e32 v51, v12, v51
	v_add_f32_e32 v53, 1.0, v13
	s_delay_alu instid0(VALU_DEP_1) | instskip(SKIP_1) | instid1(VALU_DEP_2)
	v_dual_add_f32 v51, v7, v51 :: v_dual_sub_f32 v12, v12, v53
	v_cmp_eq_f32_e32 vcc_lo, 0x7f800000, v3
	v_add_f32_e32 v53, v52, v51
	s_delay_alu instid0(VALU_DEP_3) | instskip(NEXT) | instid1(VALU_DEP_2)
	v_add_f32_e32 v7, v7, v12
	v_rcp_f32_e32 v12, v53
	v_sub_f32_e32 v52, v52, v53
	s_delay_alu instid0(VALU_DEP_1) | instskip(SKIP_3) | instid1(VALU_DEP_1)
	v_dual_add_f32 v54, v13, v7 :: v_dual_add_f32 v51, v51, v52
	s_waitcnt_depctr 0xfff
	v_mul_f32_e32 v96, v54, v12
	s_waitcnt lgkmcnt(0)
	v_mul_f32_e32 v97, v53, v96
	s_delay_alu instid0(VALU_DEP_1) | instskip(NEXT) | instid1(VALU_DEP_1)
	v_fma_f32 v52, v96, v53, -v97
	v_dual_fmac_f32 v52, v96, v51 :: v_dual_sub_f32 v13, v13, v54
	s_delay_alu instid0(VALU_DEP_1) | instskip(NEXT) | instid1(VALU_DEP_1)
	v_add_f32_e32 v98, v97, v52
	v_sub_f32_e32 v99, v54, v98
	s_delay_alu instid0(VALU_DEP_1) | instskip(SKIP_1) | instid1(VALU_DEP_1)
	v_dual_sub_f32 v54, v54, v99 :: v_dual_add_f32 v7, v7, v13
	v_sub_f32_e32 v13, v98, v97
	v_dual_sub_f32 v54, v54, v98 :: v_dual_sub_f32 v13, v13, v52
	s_delay_alu instid0(VALU_DEP_1) | instskip(NEXT) | instid1(VALU_DEP_1)
	v_add_f32_e32 v7, v7, v54
	v_add_f32_e32 v7, v13, v7
	s_delay_alu instid0(VALU_DEP_1) | instskip(NEXT) | instid1(VALU_DEP_1)
	v_add_f32_e32 v13, v99, v7
	v_mul_f32_e32 v52, v12, v13
	v_sub_f32_e32 v98, v99, v13
	s_delay_alu instid0(VALU_DEP_1) | instskip(NEXT) | instid1(VALU_DEP_1)
	v_dual_mul_f32 v54, v53, v52 :: v_dual_add_f32 v7, v7, v98
	v_fma_f32 v53, v52, v53, -v54
	s_delay_alu instid0(VALU_DEP_1) | instskip(NEXT) | instid1(VALU_DEP_1)
	v_fmac_f32_e32 v53, v52, v51
	v_add_f32_e32 v51, v54, v53
	s_delay_alu instid0(VALU_DEP_1) | instskip(NEXT) | instid1(VALU_DEP_1)
	v_dual_sub_f32 v97, v13, v51 :: v_dual_sub_f32 v54, v51, v54
	v_sub_f32_e32 v13, v13, v97
	s_delay_alu instid0(VALU_DEP_1) | instskip(NEXT) | instid1(VALU_DEP_3)
	v_sub_f32_e32 v13, v13, v51
	v_sub_f32_e32 v51, v54, v53
	s_delay_alu instid0(VALU_DEP_2) | instskip(SKIP_1) | instid1(VALU_DEP_2)
	v_add_f32_e32 v7, v7, v13
	v_add_f32_e32 v13, v96, v52
	;; [unrolled: 1-line block ×3, first 2 shown]
	s_delay_alu instid0(VALU_DEP_2) | instskip(NEXT) | instid1(VALU_DEP_2)
	v_sub_f32_e32 v51, v13, v96
	v_add_f32_e32 v7, v97, v7
	s_delay_alu instid0(VALU_DEP_2) | instskip(NEXT) | instid1(VALU_DEP_2)
	v_sub_f32_e32 v51, v52, v51
	v_mul_f32_e32 v7, v12, v7
	s_delay_alu instid0(VALU_DEP_1) | instskip(NEXT) | instid1(VALU_DEP_1)
	v_add_f32_e32 v7, v51, v7
	v_add_f32_e32 v12, v13, v7
	s_delay_alu instid0(VALU_DEP_1) | instskip(NEXT) | instid1(VALU_DEP_1)
	v_mul_f32_e32 v51, v12, v12
	v_fmaak_f32 v52, s2, v51, 0x3ecc95a3
	v_mul_f32_e32 v53, v12, v51
	v_cmp_gt_f32_e64 s2, 0x33800000, |v3|
	s_delay_alu instid0(VALU_DEP_3) | instskip(SKIP_2) | instid1(VALU_DEP_4)
	v_fmaak_f32 v51, v51, v52, 0x3f2aaada
	v_ldexp_f32 v52, v12, 1
	v_sub_f32_e32 v12, v12, v13
	s_or_b32 vcc_lo, vcc_lo, s2
	s_delay_alu instid0(VALU_DEP_3) | instskip(SKIP_1) | instid1(VALU_DEP_3)
	v_mul_f32_e32 v51, v53, v51
	v_mul_f32_e32 v53, 0x3f317218, v6
	v_sub_f32_e32 v7, v7, v12
	s_delay_alu instid0(VALU_DEP_3) | instskip(NEXT) | instid1(VALU_DEP_2)
	v_add_f32_e32 v13, v52, v51
	v_ldexp_f32 v7, v7, 1
	s_delay_alu instid0(VALU_DEP_2) | instskip(SKIP_1) | instid1(VALU_DEP_2)
	v_sub_f32_e32 v12, v13, v52
	v_fma_f32 v52, 0x3f317218, v6, -v53
	v_sub_f32_e32 v12, v51, v12
	s_delay_alu instid0(VALU_DEP_1) | instskip(NEXT) | instid1(VALU_DEP_1)
	v_dual_fmamk_f32 v6, v6, 0xb102e308, v52 :: v_dual_add_f32 v7, v7, v12
	v_add_f32_e32 v12, v53, v6
	s_delay_alu instid0(VALU_DEP_2) | instskip(NEXT) | instid1(VALU_DEP_2)
	v_add_f32_e32 v51, v13, v7
	v_sub_f32_e32 v53, v12, v53
	s_delay_alu instid0(VALU_DEP_2) | instskip(NEXT) | instid1(VALU_DEP_2)
	v_dual_add_f32 v52, v12, v51 :: v_dual_sub_f32 v13, v51, v13
	v_sub_f32_e32 v6, v6, v53
	s_delay_alu instid0(VALU_DEP_2) | instskip(NEXT) | instid1(VALU_DEP_1)
	v_dual_sub_f32 v54, v52, v12 :: v_dual_sub_f32 v7, v7, v13
	v_sub_f32_e32 v96, v52, v54
	v_sub_f32_e32 v13, v51, v54
	s_delay_alu instid0(VALU_DEP_2) | instskip(NEXT) | instid1(VALU_DEP_1)
	v_dual_add_f32 v51, v6, v7 :: v_dual_sub_f32 v12, v12, v96
	v_dual_add_f32 v12, v13, v12 :: v_dual_sub_f32 v13, v51, v6
	s_delay_alu instid0(VALU_DEP_1) | instskip(NEXT) | instid1(VALU_DEP_2)
	v_add_f32_e32 v12, v51, v12
	v_sub_f32_e32 v51, v51, v13
	v_sub_f32_e32 v7, v7, v13
	s_delay_alu instid0(VALU_DEP_2) | instskip(NEXT) | instid1(VALU_DEP_1)
	v_dual_add_f32 v53, v52, v12 :: v_dual_sub_f32 v6, v6, v51
	v_dual_sub_f32 v13, v53, v52 :: v_dual_add_f32 v6, v7, v6
	s_delay_alu instid0(VALU_DEP_1) | instskip(NEXT) | instid1(VALU_DEP_1)
	v_sub_f32_e32 v7, v12, v13
	v_add_f32_e32 v6, v6, v7
	s_delay_alu instid0(VALU_DEP_1) | instskip(NEXT) | instid1(VALU_DEP_1)
	v_add_f32_e32 v6, v53, v6
	v_cndmask_b32_e32 v3, v6, v3, vcc_lo
	s_delay_alu instid0(VALU_DEP_1)
	v_add_f32_e32 v3, v2, v3
.LBB521_328:
	s_or_b32 exec_lo, exec_lo, s1
	s_delay_alu instid0(VALU_DEP_1) | instskip(SKIP_1) | instid1(VALU_DEP_2)
	v_bfe_u32 v2, v3, 16, 1
	v_cmp_o_f32_e32 vcc_lo, v3, v3
	v_add3_u32 v2, v3, v2, 0x7fff
	s_delay_alu instid0(VALU_DEP_1) | instskip(NEXT) | instid1(VALU_DEP_1)
	v_lshrrev_b32_e32 v2, 16, v2
	v_cndmask_b32_e32 v145, 0x7fc0, v2, vcc_lo
	s_delay_alu instid0(VALU_DEP_1) | instskip(NEXT) | instid1(VALU_DEP_1)
	v_lshlrev_b32_e32 v3, 16, v145
	v_max_f32_e32 v2, v3, v3
	s_delay_alu instid0(VALU_DEP_1) | instskip(SKIP_2) | instid1(VALU_DEP_3)
	v_min_f32_e32 v6, v2, v55
	v_max_f32_e32 v2, v2, v55
	v_cmp_u_f32_e32 vcc_lo, v3, v3
	v_cndmask_b32_e32 v6, v6, v3, vcc_lo
	s_delay_alu instid0(VALU_DEP_3) | instskip(NEXT) | instid1(VALU_DEP_2)
	v_cndmask_b32_e32 v2, v2, v3, vcc_lo
	v_cndmask_b32_e64 v6, v6, v50, s8
	s_delay_alu instid0(VALU_DEP_2) | instskip(NEXT) | instid1(VALU_DEP_2)
	v_cndmask_b32_e64 v2, v2, v50, s8
	v_cmp_class_f32_e64 s1, v6, 0x1f8
	s_delay_alu instid0(VALU_DEP_2) | instskip(NEXT) | instid1(VALU_DEP_2)
	v_cmp_neq_f32_e32 vcc_lo, v6, v2
	s_or_b32 s2, vcc_lo, s1
	s_delay_alu instid0(SALU_CYCLE_1)
	s_and_saveexec_b32 s1, s2
	s_cbranch_execz .LBB521_330
; %bb.329:
	v_sub_f32_e32 v3, v6, v2
	s_mov_b32 s2, 0x3e9b6dac
	s_delay_alu instid0(VALU_DEP_1) | instskip(SKIP_1) | instid1(VALU_DEP_2)
	v_mul_f32_e32 v6, 0x3fb8aa3b, v3
	v_cmp_ngt_f32_e32 vcc_lo, 0xc2ce8ed0, v3
	v_fma_f32 v7, 0x3fb8aa3b, v3, -v6
	v_rndne_f32_e32 v12, v6
	s_delay_alu instid0(VALU_DEP_1) | instskip(NEXT) | instid1(VALU_DEP_1)
	v_dual_fmamk_f32 v7, v3, 0x32a5705f, v7 :: v_dual_sub_f32 v6, v6, v12
	v_add_f32_e32 v6, v6, v7
	v_cvt_i32_f32_e32 v7, v12
	s_delay_alu instid0(VALU_DEP_2) | instskip(SKIP_2) | instid1(VALU_DEP_1)
	v_exp_f32_e32 v6, v6
	s_waitcnt_depctr 0xfff
	v_ldexp_f32 v6, v6, v7
	v_cndmask_b32_e32 v6, 0, v6, vcc_lo
	v_cmp_nlt_f32_e32 vcc_lo, 0x42b17218, v3
	s_delay_alu instid0(VALU_DEP_2) | instskip(NEXT) | instid1(VALU_DEP_1)
	v_cndmask_b32_e32 v3, 0x7f800000, v6, vcc_lo
	v_add_f32_e32 v12, 1.0, v3
	s_delay_alu instid0(VALU_DEP_1) | instskip(NEXT) | instid1(VALU_DEP_1)
	v_cvt_f64_f32_e32 v[6:7], v12
	v_frexp_exp_i32_f64_e32 v6, v[6:7]
	v_frexp_mant_f32_e32 v7, v12
	s_delay_alu instid0(VALU_DEP_1) | instskip(SKIP_1) | instid1(VALU_DEP_1)
	v_cmp_gt_f32_e32 vcc_lo, 0x3f2aaaab, v7
	v_add_f32_e32 v7, -1.0, v12
	v_sub_f32_e32 v50, v7, v12
	s_delay_alu instid0(VALU_DEP_1) | instskip(NEXT) | instid1(VALU_DEP_1)
	v_dual_sub_f32 v7, v3, v7 :: v_dual_add_f32 v50, 1.0, v50
	v_add_f32_e32 v7, v7, v50
	v_subrev_co_ci_u32_e32 v6, vcc_lo, 0, v6, vcc_lo
	s_delay_alu instid0(VALU_DEP_1) | instskip(SKIP_1) | instid1(VALU_DEP_2)
	v_sub_nc_u32_e32 v13, 0, v6
	v_cvt_f32_i32_e32 v6, v6
	v_ldexp_f32 v12, v12, v13
	v_ldexp_f32 v7, v7, v13
	s_delay_alu instid0(VALU_DEP_2) | instskip(NEXT) | instid1(VALU_DEP_1)
	v_add_f32_e32 v13, -1.0, v12
	v_dual_add_f32 v51, 1.0, v12 :: v_dual_add_f32 v52, 1.0, v13
	s_delay_alu instid0(VALU_DEP_1) | instskip(SKIP_1) | instid1(VALU_DEP_2)
	v_add_f32_e32 v50, -1.0, v51
	v_cmp_eq_f32_e32 vcc_lo, 0x7f800000, v3
	v_sub_f32_e32 v50, v12, v50
	s_delay_alu instid0(VALU_DEP_4) | instskip(NEXT) | instid1(VALU_DEP_2)
	v_sub_f32_e32 v12, v12, v52
	v_add_f32_e32 v50, v7, v50
	s_delay_alu instid0(VALU_DEP_2) | instskip(NEXT) | instid1(VALU_DEP_1)
	v_add_f32_e32 v7, v7, v12
	v_dual_add_f32 v53, v13, v7 :: v_dual_add_f32 v52, v51, v50
	s_delay_alu instid0(VALU_DEP_1) | instskip(NEXT) | instid1(VALU_DEP_2)
	v_sub_f32_e32 v13, v13, v53
	v_rcp_f32_e32 v12, v52
	v_sub_f32_e32 v51, v51, v52
	s_delay_alu instid0(VALU_DEP_1) | instskip(SKIP_2) | instid1(VALU_DEP_1)
	v_dual_add_f32 v7, v7, v13 :: v_dual_add_f32 v50, v50, v51
	s_waitcnt_depctr 0xfff
	v_mul_f32_e32 v54, v53, v12
	v_mul_f32_e32 v55, v52, v54
	s_delay_alu instid0(VALU_DEP_1) | instskip(NEXT) | instid1(VALU_DEP_1)
	v_fma_f32 v51, v54, v52, -v55
	v_fmac_f32_e32 v51, v54, v50
	s_delay_alu instid0(VALU_DEP_1) | instskip(SKIP_1) | instid1(VALU_DEP_1)
	v_add_f32_e32 v96, v55, v51
	s_waitcnt lgkmcnt(0)
	v_sub_f32_e32 v97, v53, v96
	s_delay_alu instid0(VALU_DEP_1) | instskip(SKIP_1) | instid1(VALU_DEP_2)
	v_sub_f32_e32 v53, v53, v97
	v_sub_f32_e32 v13, v96, v55
	;; [unrolled: 1-line block ×3, first 2 shown]
	s_delay_alu instid0(VALU_DEP_2) | instskip(NEXT) | instid1(VALU_DEP_2)
	v_sub_f32_e32 v13, v13, v51
	v_add_f32_e32 v7, v7, v53
	s_delay_alu instid0(VALU_DEP_1) | instskip(NEXT) | instid1(VALU_DEP_1)
	v_add_f32_e32 v7, v13, v7
	v_add_f32_e32 v13, v97, v7
	s_delay_alu instid0(VALU_DEP_1) | instskip(NEXT) | instid1(VALU_DEP_1)
	v_mul_f32_e32 v51, v12, v13
	v_dual_sub_f32 v96, v97, v13 :: v_dual_mul_f32 v53, v52, v51
	s_delay_alu instid0(VALU_DEP_1) | instskip(NEXT) | instid1(VALU_DEP_2)
	v_add_f32_e32 v7, v7, v96
	v_fma_f32 v52, v51, v52, -v53
	s_delay_alu instid0(VALU_DEP_1) | instskip(NEXT) | instid1(VALU_DEP_1)
	v_fmac_f32_e32 v52, v51, v50
	v_add_f32_e32 v50, v53, v52
	s_delay_alu instid0(VALU_DEP_1) | instskip(SKIP_1) | instid1(VALU_DEP_2)
	v_sub_f32_e32 v55, v13, v50
	v_sub_f32_e32 v53, v50, v53
	;; [unrolled: 1-line block ×3, first 2 shown]
	s_delay_alu instid0(VALU_DEP_1) | instskip(NEXT) | instid1(VALU_DEP_1)
	v_sub_f32_e32 v13, v13, v50
	v_dual_sub_f32 v50, v53, v52 :: v_dual_add_f32 v7, v7, v13
	v_add_f32_e32 v13, v54, v51
	s_delay_alu instid0(VALU_DEP_1) | instskip(NEXT) | instid1(VALU_DEP_1)
	v_dual_add_f32 v7, v50, v7 :: v_dual_sub_f32 v50, v13, v54
	v_add_f32_e32 v7, v55, v7
	s_delay_alu instid0(VALU_DEP_1) | instskip(NEXT) | instid1(VALU_DEP_1)
	v_dual_sub_f32 v50, v51, v50 :: v_dual_mul_f32 v7, v12, v7
	v_add_f32_e32 v7, v50, v7
	s_delay_alu instid0(VALU_DEP_1) | instskip(NEXT) | instid1(VALU_DEP_1)
	v_add_f32_e32 v12, v13, v7
	v_mul_f32_e32 v50, v12, v12
	s_delay_alu instid0(VALU_DEP_1) | instskip(SKIP_2) | instid1(VALU_DEP_3)
	v_fmaak_f32 v51, s2, v50, 0x3ecc95a3
	v_mul_f32_e32 v52, v12, v50
	v_cmp_gt_f32_e64 s2, 0x33800000, |v3|
	v_fmaak_f32 v50, v50, v51, 0x3f2aaada
	v_ldexp_f32 v51, v12, 1
	v_sub_f32_e32 v12, v12, v13
	s_delay_alu instid0(VALU_DEP_4) | instskip(NEXT) | instid1(VALU_DEP_3)
	s_or_b32 vcc_lo, vcc_lo, s2
	v_mul_f32_e32 v50, v52, v50
	s_delay_alu instid0(VALU_DEP_2) | instskip(NEXT) | instid1(VALU_DEP_2)
	v_dual_mul_f32 v52, 0x3f317218, v6 :: v_dual_sub_f32 v7, v7, v12
	v_add_f32_e32 v13, v51, v50
	s_delay_alu instid0(VALU_DEP_2) | instskip(NEXT) | instid1(VALU_DEP_2)
	v_ldexp_f32 v7, v7, 1
	v_sub_f32_e32 v12, v13, v51
	s_delay_alu instid0(VALU_DEP_4) | instskip(NEXT) | instid1(VALU_DEP_2)
	v_fma_f32 v51, 0x3f317218, v6, -v52
	v_sub_f32_e32 v12, v50, v12
	s_delay_alu instid0(VALU_DEP_1) | instskip(NEXT) | instid1(VALU_DEP_1)
	v_dual_fmamk_f32 v6, v6, 0xb102e308, v51 :: v_dual_add_f32 v7, v7, v12
	v_add_f32_e32 v12, v52, v6
	s_delay_alu instid0(VALU_DEP_1) | instskip(NEXT) | instid1(VALU_DEP_1)
	v_sub_f32_e32 v52, v12, v52
	v_sub_f32_e32 v6, v6, v52
	s_delay_alu instid0(VALU_DEP_4) | instskip(NEXT) | instid1(VALU_DEP_1)
	v_add_f32_e32 v50, v13, v7
	v_sub_f32_e32 v13, v50, v13
	s_delay_alu instid0(VALU_DEP_1) | instskip(SKIP_1) | instid1(VALU_DEP_1)
	v_sub_f32_e32 v7, v7, v13
	v_add_f32_e32 v51, v12, v50
	v_sub_f32_e32 v53, v51, v12
	s_delay_alu instid0(VALU_DEP_1) | instskip(NEXT) | instid1(VALU_DEP_4)
	v_sub_f32_e32 v13, v50, v53
	v_add_f32_e32 v50, v6, v7
	v_sub_f32_e32 v54, v51, v53
	s_delay_alu instid0(VALU_DEP_1) | instskip(NEXT) | instid1(VALU_DEP_1)
	v_sub_f32_e32 v12, v12, v54
	v_dual_add_f32 v12, v13, v12 :: v_dual_sub_f32 v13, v50, v6
	s_delay_alu instid0(VALU_DEP_1) | instskip(SKIP_1) | instid1(VALU_DEP_2)
	v_dual_add_f32 v12, v50, v12 :: v_dual_sub_f32 v7, v7, v13
	v_sub_f32_e32 v50, v50, v13
	v_add_f32_e32 v52, v51, v12
	s_delay_alu instid0(VALU_DEP_1) | instskip(NEXT) | instid1(VALU_DEP_1)
	v_dual_sub_f32 v6, v6, v50 :: v_dual_sub_f32 v13, v52, v51
	v_dual_add_f32 v6, v7, v6 :: v_dual_sub_f32 v7, v12, v13
	s_delay_alu instid0(VALU_DEP_1) | instskip(NEXT) | instid1(VALU_DEP_1)
	v_add_f32_e32 v6, v6, v7
	v_add_f32_e32 v6, v52, v6
	s_delay_alu instid0(VALU_DEP_1) | instskip(NEXT) | instid1(VALU_DEP_1)
	v_cndmask_b32_e32 v3, v6, v3, vcc_lo
	v_add_f32_e32 v3, v2, v3
.LBB521_330:
	s_or_b32 exec_lo, exec_lo, s1
	s_delay_alu instid0(VALU_DEP_1) | instskip(SKIP_1) | instid1(VALU_DEP_2)
	v_bfe_u32 v2, v3, 16, 1
	v_cmp_o_f32_e32 vcc_lo, v3, v3
	v_add3_u32 v2, v3, v2, 0x7fff
	s_delay_alu instid0(VALU_DEP_1) | instskip(NEXT) | instid1(VALU_DEP_1)
	v_lshrrev_b32_e32 v2, 16, v2
	v_cndmask_b32_e32 v146, 0x7fc0, v2, vcc_lo
	s_delay_alu instid0(VALU_DEP_1) | instskip(NEXT) | instid1(VALU_DEP_1)
	v_lshlrev_b32_e32 v3, 16, v146
	v_max_f32_e32 v2, v3, v3
	v_cmp_u_f32_e32 vcc_lo, v3, v3
	s_delay_alu instid0(VALU_DEP_2) | instskip(SKIP_1) | instid1(VALU_DEP_2)
	v_min_f32_e32 v6, v2, v66
	v_max_f32_e32 v2, v2, v66
	v_cndmask_b32_e32 v6, v6, v3, vcc_lo
	s_delay_alu instid0(VALU_DEP_2) | instskip(NEXT) | instid1(VALU_DEP_2)
	v_cndmask_b32_e32 v2, v2, v3, vcc_lo
	v_cndmask_b32_e64 v6, v6, v49, s9
	s_delay_alu instid0(VALU_DEP_2) | instskip(NEXT) | instid1(VALU_DEP_2)
	v_cndmask_b32_e64 v2, v2, v49, s9
	v_cmp_class_f32_e64 s1, v6, 0x1f8
	s_delay_alu instid0(VALU_DEP_2) | instskip(NEXT) | instid1(VALU_DEP_2)
	v_cmp_neq_f32_e32 vcc_lo, v6, v2
	s_or_b32 s2, vcc_lo, s1
	s_delay_alu instid0(SALU_CYCLE_1)
	s_and_saveexec_b32 s1, s2
	s_cbranch_execz .LBB521_332
; %bb.331:
	v_sub_f32_e32 v3, v6, v2
	s_mov_b32 s2, 0x3e9b6dac
	s_delay_alu instid0(VALU_DEP_1) | instskip(SKIP_1) | instid1(VALU_DEP_2)
	v_mul_f32_e32 v6, 0x3fb8aa3b, v3
	v_cmp_ngt_f32_e32 vcc_lo, 0xc2ce8ed0, v3
	v_fma_f32 v7, 0x3fb8aa3b, v3, -v6
	v_rndne_f32_e32 v12, v6
	s_delay_alu instid0(VALU_DEP_1) | instskip(NEXT) | instid1(VALU_DEP_1)
	v_dual_fmamk_f32 v7, v3, 0x32a5705f, v7 :: v_dual_sub_f32 v6, v6, v12
	v_add_f32_e32 v6, v6, v7
	v_cvt_i32_f32_e32 v7, v12
	s_delay_alu instid0(VALU_DEP_2) | instskip(SKIP_2) | instid1(VALU_DEP_1)
	v_exp_f32_e32 v6, v6
	s_waitcnt_depctr 0xfff
	v_ldexp_f32 v6, v6, v7
	v_cndmask_b32_e32 v6, 0, v6, vcc_lo
	v_cmp_nlt_f32_e32 vcc_lo, 0x42b17218, v3
	s_delay_alu instid0(VALU_DEP_2) | instskip(NEXT) | instid1(VALU_DEP_1)
	v_cndmask_b32_e32 v3, 0x7f800000, v6, vcc_lo
	v_add_f32_e32 v12, 1.0, v3
	s_delay_alu instid0(VALU_DEP_1) | instskip(NEXT) | instid1(VALU_DEP_1)
	v_cvt_f64_f32_e32 v[6:7], v12
	v_frexp_exp_i32_f64_e32 v6, v[6:7]
	v_frexp_mant_f32_e32 v7, v12
	s_delay_alu instid0(VALU_DEP_1) | instskip(SKIP_1) | instid1(VALU_DEP_1)
	v_cmp_gt_f32_e32 vcc_lo, 0x3f2aaaab, v7
	v_add_f32_e32 v7, -1.0, v12
	v_sub_f32_e32 v49, v7, v12
	v_sub_f32_e32 v7, v3, v7
	s_delay_alu instid0(VALU_DEP_2) | instskip(SKIP_1) | instid1(VALU_DEP_1)
	v_add_f32_e32 v49, 1.0, v49
	v_subrev_co_ci_u32_e32 v6, vcc_lo, 0, v6, vcc_lo
	v_sub_nc_u32_e32 v13, 0, v6
	v_cvt_f32_i32_e32 v6, v6
	s_delay_alu instid0(VALU_DEP_2) | instskip(NEXT) | instid1(VALU_DEP_1)
	v_ldexp_f32 v12, v12, v13
	v_dual_add_f32 v50, 1.0, v12 :: v_dual_add_f32 v7, v7, v49
	s_delay_alu instid0(VALU_DEP_1) | instskip(SKIP_1) | instid1(VALU_DEP_3)
	v_ldexp_f32 v7, v7, v13
	v_add_f32_e32 v13, -1.0, v12
	v_add_f32_e32 v49, -1.0, v50
	s_delay_alu instid0(VALU_DEP_2) | instskip(NEXT) | instid1(VALU_DEP_2)
	v_add_f32_e32 v51, 1.0, v13
	v_sub_f32_e32 v49, v12, v49
	s_delay_alu instid0(VALU_DEP_1) | instskip(SKIP_1) | instid1(VALU_DEP_2)
	v_dual_sub_f32 v12, v12, v51 :: v_dual_add_f32 v49, v7, v49
	v_cmp_eq_f32_e32 vcc_lo, 0x7f800000, v3
	v_add_f32_e32 v51, v50, v49
	s_delay_alu instid0(VALU_DEP_1) | instskip(NEXT) | instid1(VALU_DEP_1)
	v_sub_f32_e32 v50, v50, v51
	v_add_f32_e32 v49, v49, v50
	v_add_f32_e32 v7, v7, v12
	v_rcp_f32_e32 v12, v51
	s_delay_alu instid0(VALU_DEP_1) | instskip(SKIP_2) | instid1(VALU_DEP_1)
	v_add_f32_e32 v52, v13, v7
	s_waitcnt_depctr 0xfff
	v_mul_f32_e32 v53, v52, v12
	v_dual_mul_f32 v54, v51, v53 :: v_dual_sub_f32 v13, v13, v52
	s_delay_alu instid0(VALU_DEP_1) | instskip(NEXT) | instid1(VALU_DEP_1)
	v_fma_f32 v50, v53, v51, -v54
	v_fmac_f32_e32 v50, v53, v49
	s_delay_alu instid0(VALU_DEP_3) | instskip(NEXT) | instid1(VALU_DEP_2)
	v_add_f32_e32 v7, v7, v13
	v_add_f32_e32 v55, v54, v50
	s_delay_alu instid0(VALU_DEP_1) | instskip(NEXT) | instid1(VALU_DEP_1)
	v_dual_sub_f32 v66, v52, v55 :: v_dual_sub_f32 v13, v55, v54
	v_sub_f32_e32 v52, v52, v66
	s_delay_alu instid0(VALU_DEP_1) | instskip(NEXT) | instid1(VALU_DEP_1)
	v_dual_sub_f32 v13, v13, v50 :: v_dual_sub_f32 v52, v52, v55
	v_add_f32_e32 v7, v7, v52
	s_delay_alu instid0(VALU_DEP_1) | instskip(NEXT) | instid1(VALU_DEP_1)
	v_add_f32_e32 v7, v13, v7
	v_add_f32_e32 v13, v66, v7
	s_delay_alu instid0(VALU_DEP_1) | instskip(NEXT) | instid1(VALU_DEP_1)
	v_mul_f32_e32 v50, v12, v13
	v_dual_sub_f32 v55, v66, v13 :: v_dual_mul_f32 v52, v51, v50
	s_delay_alu instid0(VALU_DEP_1) | instskip(NEXT) | instid1(VALU_DEP_2)
	v_add_f32_e32 v7, v7, v55
	v_fma_f32 v51, v50, v51, -v52
	s_delay_alu instid0(VALU_DEP_1) | instskip(NEXT) | instid1(VALU_DEP_1)
	v_fmac_f32_e32 v51, v50, v49
	v_add_f32_e32 v49, v52, v51
	s_delay_alu instid0(VALU_DEP_1) | instskip(SKIP_1) | instid1(VALU_DEP_2)
	v_sub_f32_e32 v54, v13, v49
	v_sub_f32_e32 v52, v49, v52
	;; [unrolled: 1-line block ×3, first 2 shown]
	s_delay_alu instid0(VALU_DEP_1) | instskip(NEXT) | instid1(VALU_DEP_3)
	v_sub_f32_e32 v13, v13, v49
	v_sub_f32_e32 v49, v52, v51
	s_delay_alu instid0(VALU_DEP_2) | instskip(SKIP_1) | instid1(VALU_DEP_2)
	v_add_f32_e32 v7, v7, v13
	v_add_f32_e32 v13, v53, v50
	;; [unrolled: 1-line block ×3, first 2 shown]
	s_delay_alu instid0(VALU_DEP_2) | instskip(NEXT) | instid1(VALU_DEP_2)
	v_sub_f32_e32 v49, v13, v53
	v_add_f32_e32 v7, v54, v7
	s_delay_alu instid0(VALU_DEP_2) | instskip(NEXT) | instid1(VALU_DEP_2)
	v_sub_f32_e32 v49, v50, v49
	v_mul_f32_e32 v7, v12, v7
	s_delay_alu instid0(VALU_DEP_1) | instskip(NEXT) | instid1(VALU_DEP_1)
	v_add_f32_e32 v7, v49, v7
	v_add_f32_e32 v12, v13, v7
	s_delay_alu instid0(VALU_DEP_1) | instskip(NEXT) | instid1(VALU_DEP_1)
	v_mul_f32_e32 v49, v12, v12
	v_fmaak_f32 v50, s2, v49, 0x3ecc95a3
	v_mul_f32_e32 v51, v12, v49
	v_cmp_gt_f32_e64 s2, 0x33800000, |v3|
	s_delay_alu instid0(VALU_DEP_3) | instskip(SKIP_2) | instid1(VALU_DEP_4)
	v_fmaak_f32 v49, v49, v50, 0x3f2aaada
	v_ldexp_f32 v50, v12, 1
	v_sub_f32_e32 v12, v12, v13
	s_or_b32 vcc_lo, vcc_lo, s2
	s_delay_alu instid0(VALU_DEP_3) | instskip(SKIP_1) | instid1(VALU_DEP_3)
	v_mul_f32_e32 v49, v51, v49
	v_mul_f32_e32 v51, 0x3f317218, v6
	v_sub_f32_e32 v7, v7, v12
	s_delay_alu instid0(VALU_DEP_3) | instskip(NEXT) | instid1(VALU_DEP_2)
	v_add_f32_e32 v13, v50, v49
	v_ldexp_f32 v7, v7, 1
	s_delay_alu instid0(VALU_DEP_2) | instskip(SKIP_1) | instid1(VALU_DEP_2)
	v_sub_f32_e32 v12, v13, v50
	v_fma_f32 v50, 0x3f317218, v6, -v51
	v_sub_f32_e32 v12, v49, v12
	s_delay_alu instid0(VALU_DEP_1) | instskip(NEXT) | instid1(VALU_DEP_1)
	v_dual_fmamk_f32 v6, v6, 0xb102e308, v50 :: v_dual_add_f32 v7, v7, v12
	v_dual_add_f32 v12, v51, v6 :: v_dual_add_f32 v49, v13, v7
	s_delay_alu instid0(VALU_DEP_1) | instskip(NEXT) | instid1(VALU_DEP_2)
	v_sub_f32_e32 v51, v12, v51
	v_add_f32_e32 v50, v12, v49
	s_delay_alu instid0(VALU_DEP_2) | instskip(NEXT) | instid1(VALU_DEP_1)
	v_dual_sub_f32 v13, v49, v13 :: v_dual_sub_f32 v6, v6, v51
	v_dual_sub_f32 v52, v50, v12 :: v_dual_sub_f32 v7, v7, v13
	s_delay_alu instid0(VALU_DEP_1) | instskip(SKIP_1) | instid1(VALU_DEP_2)
	v_sub_f32_e32 v53, v50, v52
	v_sub_f32_e32 v13, v49, v52
	v_dual_add_f32 v49, v6, v7 :: v_dual_sub_f32 v12, v12, v53
	s_delay_alu instid0(VALU_DEP_1) | instskip(NEXT) | instid1(VALU_DEP_2)
	v_add_f32_e32 v12, v13, v12
	v_sub_f32_e32 v13, v49, v6
	s_delay_alu instid0(VALU_DEP_2) | instskip(NEXT) | instid1(VALU_DEP_2)
	v_add_f32_e32 v12, v49, v12
	v_sub_f32_e32 v49, v49, v13
	v_sub_f32_e32 v7, v7, v13
	s_delay_alu instid0(VALU_DEP_3) | instskip(NEXT) | instid1(VALU_DEP_1)
	v_add_f32_e32 v51, v50, v12
	v_dual_sub_f32 v6, v6, v49 :: v_dual_sub_f32 v13, v51, v50
	s_delay_alu instid0(VALU_DEP_1) | instskip(NEXT) | instid1(VALU_DEP_1)
	v_dual_add_f32 v6, v7, v6 :: v_dual_sub_f32 v7, v12, v13
	v_add_f32_e32 v6, v6, v7
	s_delay_alu instid0(VALU_DEP_1) | instskip(NEXT) | instid1(VALU_DEP_1)
	v_add_f32_e32 v6, v51, v6
	v_cndmask_b32_e32 v3, v6, v3, vcc_lo
	s_delay_alu instid0(VALU_DEP_1)
	v_add_f32_e32 v3, v2, v3
.LBB521_332:
	s_or_b32 exec_lo, exec_lo, s1
	s_delay_alu instid0(VALU_DEP_1) | instskip(SKIP_1) | instid1(VALU_DEP_2)
	v_bfe_u32 v2, v3, 16, 1
	v_cmp_o_f32_e32 vcc_lo, v3, v3
	v_add3_u32 v2, v3, v2, 0x7fff
	s_delay_alu instid0(VALU_DEP_1) | instskip(NEXT) | instid1(VALU_DEP_1)
	v_lshrrev_b32_e32 v2, 16, v2
	v_cndmask_b32_e32 v66, 0x7fc0, v2, vcc_lo
	s_delay_alu instid0(VALU_DEP_1) | instskip(NEXT) | instid1(VALU_DEP_1)
	v_lshlrev_b32_e32 v3, 16, v66
	v_max_f32_e32 v2, v3, v3
	s_delay_alu instid0(VALU_DEP_1) | instskip(SKIP_2) | instid1(VALU_DEP_3)
	v_min_f32_e32 v6, v2, v67
	v_max_f32_e32 v2, v2, v67
	v_cmp_u_f32_e32 vcc_lo, v3, v3
	v_cndmask_b32_e32 v6, v6, v3, vcc_lo
	s_delay_alu instid0(VALU_DEP_3) | instskip(NEXT) | instid1(VALU_DEP_2)
	v_cndmask_b32_e32 v2, v2, v3, vcc_lo
	v_cndmask_b32_e64 v6, v6, v48, s10
	s_delay_alu instid0(VALU_DEP_2) | instskip(NEXT) | instid1(VALU_DEP_2)
	v_cndmask_b32_e64 v2, v2, v48, s10
	v_cmp_class_f32_e64 s1, v6, 0x1f8
	s_delay_alu instid0(VALU_DEP_2) | instskip(NEXT) | instid1(VALU_DEP_2)
	v_cmp_neq_f32_e32 vcc_lo, v6, v2
	s_or_b32 s2, vcc_lo, s1
	s_delay_alu instid0(SALU_CYCLE_1)
	s_and_saveexec_b32 s1, s2
	s_cbranch_execz .LBB521_334
; %bb.333:
	v_sub_f32_e32 v3, v6, v2
	s_mov_b32 s2, 0x3e9b6dac
	s_delay_alu instid0(VALU_DEP_1) | instskip(SKIP_1) | instid1(VALU_DEP_2)
	v_mul_f32_e32 v6, 0x3fb8aa3b, v3
	v_cmp_ngt_f32_e32 vcc_lo, 0xc2ce8ed0, v3
	v_fma_f32 v7, 0x3fb8aa3b, v3, -v6
	v_rndne_f32_e32 v12, v6
	s_delay_alu instid0(VALU_DEP_1) | instskip(NEXT) | instid1(VALU_DEP_1)
	v_dual_fmamk_f32 v7, v3, 0x32a5705f, v7 :: v_dual_sub_f32 v6, v6, v12
	v_add_f32_e32 v6, v6, v7
	v_cvt_i32_f32_e32 v7, v12
	s_delay_alu instid0(VALU_DEP_2) | instskip(SKIP_2) | instid1(VALU_DEP_1)
	v_exp_f32_e32 v6, v6
	s_waitcnt_depctr 0xfff
	v_ldexp_f32 v6, v6, v7
	v_cndmask_b32_e32 v6, 0, v6, vcc_lo
	v_cmp_nlt_f32_e32 vcc_lo, 0x42b17218, v3
	s_delay_alu instid0(VALU_DEP_2) | instskip(NEXT) | instid1(VALU_DEP_1)
	v_cndmask_b32_e32 v3, 0x7f800000, v6, vcc_lo
	v_add_f32_e32 v12, 1.0, v3
	s_delay_alu instid0(VALU_DEP_1) | instskip(NEXT) | instid1(VALU_DEP_1)
	v_cvt_f64_f32_e32 v[6:7], v12
	v_frexp_exp_i32_f64_e32 v6, v[6:7]
	v_frexp_mant_f32_e32 v7, v12
	s_delay_alu instid0(VALU_DEP_1) | instskip(SKIP_1) | instid1(VALU_DEP_1)
	v_cmp_gt_f32_e32 vcc_lo, 0x3f2aaaab, v7
	v_add_f32_e32 v7, -1.0, v12
	v_sub_f32_e32 v48, v7, v12
	s_delay_alu instid0(VALU_DEP_1) | instskip(NEXT) | instid1(VALU_DEP_1)
	v_dual_add_f32 v48, 1.0, v48 :: v_dual_sub_f32 v7, v3, v7
	v_add_f32_e32 v7, v7, v48
	v_subrev_co_ci_u32_e32 v6, vcc_lo, 0, v6, vcc_lo
	v_cmp_eq_f32_e32 vcc_lo, 0x7f800000, v3
	s_delay_alu instid0(VALU_DEP_2) | instskip(SKIP_1) | instid1(VALU_DEP_2)
	v_sub_nc_u32_e32 v13, 0, v6
	v_cvt_f32_i32_e32 v6, v6
	v_ldexp_f32 v12, v12, v13
	v_ldexp_f32 v7, v7, v13
	s_delay_alu instid0(VALU_DEP_2) | instskip(NEXT) | instid1(VALU_DEP_1)
	v_add_f32_e32 v49, 1.0, v12
	v_dual_add_f32 v13, -1.0, v12 :: v_dual_add_f32 v48, -1.0, v49
	s_delay_alu instid0(VALU_DEP_1) | instskip(NEXT) | instid1(VALU_DEP_2)
	v_add_f32_e32 v50, 1.0, v13
	v_sub_f32_e32 v48, v12, v48
	s_delay_alu instid0(VALU_DEP_2) | instskip(NEXT) | instid1(VALU_DEP_2)
	v_sub_f32_e32 v12, v12, v50
	v_add_f32_e32 v48, v7, v48
	s_delay_alu instid0(VALU_DEP_2) | instskip(NEXT) | instid1(VALU_DEP_1)
	v_add_f32_e32 v7, v7, v12
	v_add_f32_e32 v51, v13, v7
	s_delay_alu instid0(VALU_DEP_3) | instskip(NEXT) | instid1(VALU_DEP_2)
	v_add_f32_e32 v50, v49, v48
	v_sub_f32_e32 v13, v13, v51
	s_delay_alu instid0(VALU_DEP_2) | instskip(SKIP_1) | instid1(VALU_DEP_1)
	v_rcp_f32_e32 v12, v50
	v_sub_f32_e32 v49, v49, v50
	v_add_f32_e32 v48, v48, v49
	s_delay_alu instid0(VALU_DEP_3) | instskip(SKIP_2) | instid1(VALU_DEP_1)
	v_add_f32_e32 v7, v7, v13
	s_waitcnt_depctr 0xfff
	v_mul_f32_e32 v52, v51, v12
	v_mul_f32_e32 v53, v50, v52
	s_delay_alu instid0(VALU_DEP_1) | instskip(NEXT) | instid1(VALU_DEP_1)
	v_fma_f32 v49, v52, v50, -v53
	v_fmac_f32_e32 v49, v52, v48
	s_delay_alu instid0(VALU_DEP_1) | instskip(NEXT) | instid1(VALU_DEP_1)
	v_add_f32_e32 v54, v53, v49
	v_sub_f32_e32 v55, v51, v54
	s_delay_alu instid0(VALU_DEP_1) | instskip(NEXT) | instid1(VALU_DEP_1)
	v_sub_f32_e32 v51, v51, v55
	v_sub_f32_e32 v51, v51, v54
	s_delay_alu instid0(VALU_DEP_1) | instskip(SKIP_1) | instid1(VALU_DEP_1)
	v_add_f32_e32 v7, v7, v51
	v_sub_f32_e32 v13, v54, v53
	v_sub_f32_e32 v13, v13, v49
	s_delay_alu instid0(VALU_DEP_1) | instskip(NEXT) | instid1(VALU_DEP_1)
	v_add_f32_e32 v7, v13, v7
	v_add_f32_e32 v13, v55, v7
	s_delay_alu instid0(VALU_DEP_1) | instskip(SKIP_1) | instid1(VALU_DEP_2)
	v_mul_f32_e32 v49, v12, v13
	v_sub_f32_e32 v54, v55, v13
	v_mul_f32_e32 v51, v50, v49
	s_delay_alu instid0(VALU_DEP_2) | instskip(NEXT) | instid1(VALU_DEP_2)
	v_add_f32_e32 v7, v7, v54
	v_fma_f32 v50, v49, v50, -v51
	s_delay_alu instid0(VALU_DEP_1) | instskip(NEXT) | instid1(VALU_DEP_1)
	v_fmac_f32_e32 v50, v49, v48
	v_add_f32_e32 v48, v51, v50
	s_delay_alu instid0(VALU_DEP_1) | instskip(SKIP_1) | instid1(VALU_DEP_2)
	v_sub_f32_e32 v53, v13, v48
	v_sub_f32_e32 v51, v48, v51
	;; [unrolled: 1-line block ×3, first 2 shown]
	s_delay_alu instid0(VALU_DEP_1) | instskip(NEXT) | instid1(VALU_DEP_1)
	v_dual_sub_f32 v13, v13, v48 :: v_dual_sub_f32 v48, v51, v50
	v_add_f32_e32 v7, v7, v13
	v_add_f32_e32 v13, v52, v49
	s_delay_alu instid0(VALU_DEP_1) | instskip(NEXT) | instid1(VALU_DEP_1)
	v_dual_add_f32 v7, v48, v7 :: v_dual_sub_f32 v48, v13, v52
	v_add_f32_e32 v7, v53, v7
	s_delay_alu instid0(VALU_DEP_1) | instskip(NEXT) | instid1(VALU_DEP_1)
	v_dual_sub_f32 v48, v49, v48 :: v_dual_mul_f32 v7, v12, v7
	v_add_f32_e32 v7, v48, v7
	s_delay_alu instid0(VALU_DEP_1) | instskip(NEXT) | instid1(VALU_DEP_1)
	v_add_f32_e32 v12, v13, v7
	v_mul_f32_e32 v48, v12, v12
	s_delay_alu instid0(VALU_DEP_1) | instskip(SKIP_2) | instid1(VALU_DEP_3)
	v_fmaak_f32 v49, s2, v48, 0x3ecc95a3
	v_mul_f32_e32 v50, v12, v48
	v_cmp_gt_f32_e64 s2, 0x33800000, |v3|
	v_fmaak_f32 v48, v48, v49, 0x3f2aaada
	v_ldexp_f32 v49, v12, 1
	v_sub_f32_e32 v12, v12, v13
	s_delay_alu instid0(VALU_DEP_4) | instskip(NEXT) | instid1(VALU_DEP_3)
	s_or_b32 vcc_lo, vcc_lo, s2
	v_mul_f32_e32 v48, v50, v48
	s_delay_alu instid0(VALU_DEP_2) | instskip(NEXT) | instid1(VALU_DEP_2)
	v_dual_mul_f32 v50, 0x3f317218, v6 :: v_dual_sub_f32 v7, v7, v12
	v_add_f32_e32 v13, v49, v48
	s_delay_alu instid0(VALU_DEP_2) | instskip(NEXT) | instid1(VALU_DEP_2)
	v_ldexp_f32 v7, v7, 1
	v_sub_f32_e32 v12, v13, v49
	s_delay_alu instid0(VALU_DEP_4) | instskip(NEXT) | instid1(VALU_DEP_2)
	v_fma_f32 v49, 0x3f317218, v6, -v50
	v_sub_f32_e32 v12, v48, v12
	s_delay_alu instid0(VALU_DEP_1) | instskip(NEXT) | instid1(VALU_DEP_1)
	v_dual_fmamk_f32 v6, v6, 0xb102e308, v49 :: v_dual_add_f32 v7, v7, v12
	v_add_f32_e32 v12, v50, v6
	s_delay_alu instid0(VALU_DEP_2) | instskip(NEXT) | instid1(VALU_DEP_2)
	v_add_f32_e32 v48, v13, v7
	v_sub_f32_e32 v50, v12, v50
	s_delay_alu instid0(VALU_DEP_2) | instskip(NEXT) | instid1(VALU_DEP_2)
	v_add_f32_e32 v49, v12, v48
	v_dual_sub_f32 v13, v48, v13 :: v_dual_sub_f32 v6, v6, v50
	s_delay_alu instid0(VALU_DEP_2) | instskip(NEXT) | instid1(VALU_DEP_1)
	v_sub_f32_e32 v51, v49, v12
	v_dual_sub_f32 v52, v49, v51 :: v_dual_sub_f32 v7, v7, v13
	v_sub_f32_e32 v13, v48, v51
	s_delay_alu instid0(VALU_DEP_2) | instskip(NEXT) | instid1(VALU_DEP_3)
	v_sub_f32_e32 v12, v12, v52
	v_add_f32_e32 v48, v6, v7
	s_delay_alu instid0(VALU_DEP_1) | instskip(NEXT) | instid1(VALU_DEP_1)
	v_dual_add_f32 v12, v13, v12 :: v_dual_sub_f32 v13, v48, v6
	v_dual_add_f32 v12, v48, v12 :: v_dual_sub_f32 v7, v7, v13
	v_sub_f32_e32 v48, v48, v13
	s_delay_alu instid0(VALU_DEP_1) | instskip(NEXT) | instid1(VALU_DEP_1)
	v_sub_f32_e32 v6, v6, v48
	v_add_f32_e32 v6, v7, v6
	s_delay_alu instid0(VALU_DEP_4) | instskip(NEXT) | instid1(VALU_DEP_1)
	v_add_f32_e32 v50, v49, v12
	v_sub_f32_e32 v13, v50, v49
	s_delay_alu instid0(VALU_DEP_1) | instskip(NEXT) | instid1(VALU_DEP_1)
	v_sub_f32_e32 v7, v12, v13
	v_add_f32_e32 v6, v6, v7
	s_delay_alu instid0(VALU_DEP_1) | instskip(NEXT) | instid1(VALU_DEP_1)
	v_add_f32_e32 v6, v50, v6
	v_cndmask_b32_e32 v3, v6, v3, vcc_lo
	s_delay_alu instid0(VALU_DEP_1)
	v_add_f32_e32 v3, v2, v3
.LBB521_334:
	s_or_b32 exec_lo, exec_lo, s1
	s_delay_alu instid0(VALU_DEP_1) | instskip(SKIP_1) | instid1(VALU_DEP_2)
	v_bfe_u32 v2, v3, 16, 1
	v_cmp_o_f32_e32 vcc_lo, v3, v3
	v_add3_u32 v2, v3, v2, 0x7fff
	s_delay_alu instid0(VALU_DEP_1) | instskip(NEXT) | instid1(VALU_DEP_1)
	v_lshrrev_b32_e32 v2, 16, v2
	v_cndmask_b32_e32 v67, 0x7fc0, v2, vcc_lo
	s_delay_alu instid0(VALU_DEP_1) | instskip(NEXT) | instid1(VALU_DEP_1)
	v_lshlrev_b32_e32 v3, 16, v67
	v_max_f32_e32 v2, v3, v3
	s_delay_alu instid0(VALU_DEP_1) | instskip(SKIP_2) | instid1(VALU_DEP_3)
	v_min_f32_e32 v6, v2, v68
	v_max_f32_e32 v2, v2, v68
	v_cmp_u_f32_e32 vcc_lo, v3, v3
	v_cndmask_b32_e32 v6, v6, v3, vcc_lo
	s_delay_alu instid0(VALU_DEP_3) | instskip(NEXT) | instid1(VALU_DEP_2)
	v_cndmask_b32_e32 v2, v2, v3, vcc_lo
	v_cndmask_b32_e64 v6, v6, v39, s11
	s_delay_alu instid0(VALU_DEP_2) | instskip(NEXT) | instid1(VALU_DEP_2)
	v_cndmask_b32_e64 v2, v2, v39, s11
	v_cmp_class_f32_e64 s1, v6, 0x1f8
	s_delay_alu instid0(VALU_DEP_2) | instskip(NEXT) | instid1(VALU_DEP_2)
	v_cmp_neq_f32_e32 vcc_lo, v6, v2
	s_or_b32 s2, vcc_lo, s1
	s_delay_alu instid0(SALU_CYCLE_1)
	s_and_saveexec_b32 s1, s2
	s_cbranch_execz .LBB521_336
; %bb.335:
	v_sub_f32_e32 v3, v6, v2
	s_mov_b32 s2, 0x3e9b6dac
	s_delay_alu instid0(VALU_DEP_1) | instskip(SKIP_1) | instid1(VALU_DEP_2)
	v_mul_f32_e32 v6, 0x3fb8aa3b, v3
	v_cmp_ngt_f32_e32 vcc_lo, 0xc2ce8ed0, v3
	v_fma_f32 v7, 0x3fb8aa3b, v3, -v6
	v_rndne_f32_e32 v12, v6
	s_delay_alu instid0(VALU_DEP_1) | instskip(NEXT) | instid1(VALU_DEP_1)
	v_dual_fmamk_f32 v7, v3, 0x32a5705f, v7 :: v_dual_sub_f32 v6, v6, v12
	v_add_f32_e32 v6, v6, v7
	v_cvt_i32_f32_e32 v7, v12
	s_delay_alu instid0(VALU_DEP_2) | instskip(SKIP_2) | instid1(VALU_DEP_1)
	v_exp_f32_e32 v6, v6
	s_waitcnt_depctr 0xfff
	v_ldexp_f32 v6, v6, v7
	v_cndmask_b32_e32 v6, 0, v6, vcc_lo
	v_cmp_nlt_f32_e32 vcc_lo, 0x42b17218, v3
	s_delay_alu instid0(VALU_DEP_2) | instskip(NEXT) | instid1(VALU_DEP_1)
	v_cndmask_b32_e32 v3, 0x7f800000, v6, vcc_lo
	v_add_f32_e32 v12, 1.0, v3
	s_delay_alu instid0(VALU_DEP_1) | instskip(NEXT) | instid1(VALU_DEP_1)
	v_cvt_f64_f32_e32 v[6:7], v12
	v_frexp_exp_i32_f64_e32 v6, v[6:7]
	v_frexp_mant_f32_e32 v7, v12
	s_delay_alu instid0(VALU_DEP_1) | instskip(SKIP_1) | instid1(VALU_DEP_1)
	v_cmp_gt_f32_e32 vcc_lo, 0x3f2aaaab, v7
	v_add_f32_e32 v7, -1.0, v12
	v_sub_f32_e32 v39, v7, v12
	v_sub_f32_e32 v7, v3, v7
	v_subrev_co_ci_u32_e32 v6, vcc_lo, 0, v6, vcc_lo
	s_delay_alu instid0(VALU_DEP_1) | instskip(SKIP_1) | instid1(VALU_DEP_2)
	v_sub_nc_u32_e32 v13, 0, v6
	v_cvt_f32_i32_e32 v6, v6
	v_ldexp_f32 v12, v12, v13
	s_delay_alu instid0(VALU_DEP_1) | instskip(NEXT) | instid1(VALU_DEP_1)
	v_dual_add_f32 v48, 1.0, v12 :: v_dual_add_f32 v39, 1.0, v39
	v_add_f32_e32 v7, v7, v39
	s_delay_alu instid0(VALU_DEP_2) | instskip(NEXT) | instid1(VALU_DEP_2)
	v_add_f32_e32 v39, -1.0, v48
	v_ldexp_f32 v7, v7, v13
	v_add_f32_e32 v13, -1.0, v12
	s_delay_alu instid0(VALU_DEP_3) | instskip(NEXT) | instid1(VALU_DEP_2)
	v_sub_f32_e32 v39, v12, v39
	v_add_f32_e32 v49, 1.0, v13
	s_delay_alu instid0(VALU_DEP_1) | instskip(NEXT) | instid1(VALU_DEP_1)
	v_dual_add_f32 v39, v7, v39 :: v_dual_sub_f32 v12, v12, v49
	v_add_f32_e32 v49, v48, v39
	v_cmp_eq_f32_e32 vcc_lo, 0x7f800000, v3
	s_delay_alu instid0(VALU_DEP_3) | instskip(NEXT) | instid1(VALU_DEP_3)
	v_add_f32_e32 v7, v7, v12
	v_rcp_f32_e32 v12, v49
	v_sub_f32_e32 v48, v48, v49
	s_delay_alu instid0(VALU_DEP_1) | instskip(SKIP_2) | instid1(VALU_DEP_1)
	v_dual_add_f32 v50, v13, v7 :: v_dual_add_f32 v39, v39, v48
	s_waitcnt_depctr 0xfff
	v_mul_f32_e32 v51, v50, v12
	v_mul_f32_e32 v52, v49, v51
	v_sub_f32_e32 v13, v13, v50
	s_delay_alu instid0(VALU_DEP_2) | instskip(NEXT) | instid1(VALU_DEP_2)
	v_fma_f32 v48, v51, v49, -v52
	v_add_f32_e32 v7, v7, v13
	s_delay_alu instid0(VALU_DEP_2) | instskip(NEXT) | instid1(VALU_DEP_1)
	v_fmac_f32_e32 v48, v51, v39
	v_add_f32_e32 v53, v52, v48
	s_delay_alu instid0(VALU_DEP_1) | instskip(NEXT) | instid1(VALU_DEP_1)
	v_dual_sub_f32 v54, v50, v53 :: v_dual_sub_f32 v13, v53, v52
	v_dual_sub_f32 v50, v50, v54 :: v_dual_sub_f32 v13, v13, v48
	s_delay_alu instid0(VALU_DEP_1) | instskip(NEXT) | instid1(VALU_DEP_1)
	v_sub_f32_e32 v50, v50, v53
	v_add_f32_e32 v7, v7, v50
	s_delay_alu instid0(VALU_DEP_1) | instskip(NEXT) | instid1(VALU_DEP_1)
	v_add_f32_e32 v7, v13, v7
	v_add_f32_e32 v13, v54, v7
	s_delay_alu instid0(VALU_DEP_1) | instskip(NEXT) | instid1(VALU_DEP_1)
	v_mul_f32_e32 v48, v12, v13
	v_dual_sub_f32 v53, v54, v13 :: v_dual_mul_f32 v50, v49, v48
	s_delay_alu instid0(VALU_DEP_1) | instskip(NEXT) | instid1(VALU_DEP_2)
	v_add_f32_e32 v7, v7, v53
	v_fma_f32 v49, v48, v49, -v50
	s_delay_alu instid0(VALU_DEP_1) | instskip(NEXT) | instid1(VALU_DEP_1)
	v_fmac_f32_e32 v49, v48, v39
	v_add_f32_e32 v39, v50, v49
	s_delay_alu instid0(VALU_DEP_1) | instskip(NEXT) | instid1(VALU_DEP_1)
	v_sub_f32_e32 v52, v13, v39
	v_dual_sub_f32 v50, v39, v50 :: v_dual_sub_f32 v13, v13, v52
	s_delay_alu instid0(VALU_DEP_1) | instskip(NEXT) | instid1(VALU_DEP_2)
	v_sub_f32_e32 v13, v13, v39
	v_sub_f32_e32 v39, v50, v49
	s_delay_alu instid0(VALU_DEP_2) | instskip(SKIP_1) | instid1(VALU_DEP_2)
	v_add_f32_e32 v7, v7, v13
	v_add_f32_e32 v13, v51, v48
	;; [unrolled: 1-line block ×3, first 2 shown]
	s_delay_alu instid0(VALU_DEP_2) | instskip(NEXT) | instid1(VALU_DEP_2)
	v_sub_f32_e32 v39, v13, v51
	v_add_f32_e32 v7, v52, v7
	s_delay_alu instid0(VALU_DEP_2) | instskip(NEXT) | instid1(VALU_DEP_2)
	v_sub_f32_e32 v39, v48, v39
	v_mul_f32_e32 v7, v12, v7
	s_delay_alu instid0(VALU_DEP_1) | instskip(NEXT) | instid1(VALU_DEP_1)
	v_add_f32_e32 v7, v39, v7
	v_add_f32_e32 v12, v13, v7
	s_delay_alu instid0(VALU_DEP_1) | instskip(NEXT) | instid1(VALU_DEP_1)
	v_mul_f32_e32 v39, v12, v12
	v_fmaak_f32 v48, s2, v39, 0x3ecc95a3
	v_mul_f32_e32 v49, v12, v39
	v_cmp_gt_f32_e64 s2, 0x33800000, |v3|
	s_delay_alu instid0(VALU_DEP_3) | instskip(SKIP_2) | instid1(VALU_DEP_4)
	v_fmaak_f32 v39, v39, v48, 0x3f2aaada
	v_ldexp_f32 v48, v12, 1
	v_sub_f32_e32 v12, v12, v13
	s_or_b32 vcc_lo, vcc_lo, s2
	s_delay_alu instid0(VALU_DEP_3) | instskip(SKIP_1) | instid1(VALU_DEP_3)
	v_mul_f32_e32 v39, v49, v39
	v_mul_f32_e32 v49, 0x3f317218, v6
	v_sub_f32_e32 v7, v7, v12
	s_delay_alu instid0(VALU_DEP_3) | instskip(NEXT) | instid1(VALU_DEP_2)
	v_add_f32_e32 v13, v48, v39
	v_ldexp_f32 v7, v7, 1
	s_delay_alu instid0(VALU_DEP_2) | instskip(SKIP_1) | instid1(VALU_DEP_2)
	v_sub_f32_e32 v12, v13, v48
	v_fma_f32 v48, 0x3f317218, v6, -v49
	v_sub_f32_e32 v12, v39, v12
	s_delay_alu instid0(VALU_DEP_1) | instskip(NEXT) | instid1(VALU_DEP_1)
	v_dual_fmamk_f32 v6, v6, 0xb102e308, v48 :: v_dual_add_f32 v7, v7, v12
	v_add_f32_e32 v12, v49, v6
	s_delay_alu instid0(VALU_DEP_2) | instskip(NEXT) | instid1(VALU_DEP_2)
	v_add_f32_e32 v39, v13, v7
	v_sub_f32_e32 v49, v12, v49
	s_delay_alu instid0(VALU_DEP_2) | instskip(NEXT) | instid1(VALU_DEP_2)
	v_dual_add_f32 v48, v12, v39 :: v_dual_sub_f32 v13, v39, v13
	v_sub_f32_e32 v6, v6, v49
	s_delay_alu instid0(VALU_DEP_2) | instskip(NEXT) | instid1(VALU_DEP_1)
	v_dual_sub_f32 v50, v48, v12 :: v_dual_sub_f32 v7, v7, v13
	v_sub_f32_e32 v51, v48, v50
	v_sub_f32_e32 v13, v39, v50
	s_delay_alu instid0(VALU_DEP_3) | instskip(NEXT) | instid1(VALU_DEP_3)
	v_add_f32_e32 v39, v6, v7
	v_sub_f32_e32 v12, v12, v51
	s_delay_alu instid0(VALU_DEP_1) | instskip(NEXT) | instid1(VALU_DEP_1)
	v_dual_add_f32 v12, v13, v12 :: v_dual_sub_f32 v13, v39, v6
	v_add_f32_e32 v12, v39, v12
	s_delay_alu instid0(VALU_DEP_2) | instskip(SKIP_1) | instid1(VALU_DEP_2)
	v_sub_f32_e32 v39, v39, v13
	v_sub_f32_e32 v7, v7, v13
	v_dual_add_f32 v49, v48, v12 :: v_dual_sub_f32 v6, v6, v39
	s_delay_alu instid0(VALU_DEP_1) | instskip(NEXT) | instid1(VALU_DEP_1)
	v_dual_sub_f32 v13, v49, v48 :: v_dual_add_f32 v6, v7, v6
	v_sub_f32_e32 v7, v12, v13
	s_delay_alu instid0(VALU_DEP_1) | instskip(NEXT) | instid1(VALU_DEP_1)
	v_add_f32_e32 v6, v6, v7
	v_add_f32_e32 v6, v49, v6
	s_delay_alu instid0(VALU_DEP_1) | instskip(NEXT) | instid1(VALU_DEP_1)
	v_cndmask_b32_e32 v3, v6, v3, vcc_lo
	v_add_f32_e32 v3, v2, v3
.LBB521_336:
	s_or_b32 exec_lo, exec_lo, s1
	s_delay_alu instid0(VALU_DEP_1) | instskip(SKIP_1) | instid1(VALU_DEP_2)
	v_bfe_u32 v2, v3, 16, 1
	v_cmp_o_f32_e32 vcc_lo, v3, v3
	v_add3_u32 v2, v3, v2, 0x7fff
	s_delay_alu instid0(VALU_DEP_1) | instskip(NEXT) | instid1(VALU_DEP_1)
	v_lshrrev_b32_e32 v2, 16, v2
	v_cndmask_b32_e32 v68, 0x7fc0, v2, vcc_lo
	s_delay_alu instid0(VALU_DEP_1) | instskip(NEXT) | instid1(VALU_DEP_1)
	v_lshlrev_b32_e32 v3, 16, v68
	v_max_f32_e32 v2, v3, v3
	s_delay_alu instid0(VALU_DEP_1) | instskip(SKIP_2) | instid1(VALU_DEP_3)
	v_min_f32_e32 v6, v2, v69
	v_max_f32_e32 v2, v2, v69
	v_cmp_u_f32_e32 vcc_lo, v3, v3
	v_cndmask_b32_e32 v6, v6, v3, vcc_lo
	s_delay_alu instid0(VALU_DEP_3) | instskip(NEXT) | instid1(VALU_DEP_2)
	v_cndmask_b32_e32 v2, v2, v3, vcc_lo
	v_cndmask_b32_e64 v6, v6, v38, s12
	s_delay_alu instid0(VALU_DEP_2) | instskip(NEXT) | instid1(VALU_DEP_2)
	v_cndmask_b32_e64 v2, v2, v38, s12
	v_cmp_class_f32_e64 s1, v6, 0x1f8
	s_delay_alu instid0(VALU_DEP_2) | instskip(NEXT) | instid1(VALU_DEP_2)
	v_cmp_neq_f32_e32 vcc_lo, v6, v2
	s_or_b32 s2, vcc_lo, s1
	s_delay_alu instid0(SALU_CYCLE_1)
	s_and_saveexec_b32 s1, s2
	s_cbranch_execz .LBB521_338
; %bb.337:
	v_sub_f32_e32 v3, v6, v2
	s_mov_b32 s2, 0x3e9b6dac
	s_delay_alu instid0(VALU_DEP_1) | instskip(SKIP_1) | instid1(VALU_DEP_2)
	v_mul_f32_e32 v6, 0x3fb8aa3b, v3
	v_cmp_ngt_f32_e32 vcc_lo, 0xc2ce8ed0, v3
	v_fma_f32 v7, 0x3fb8aa3b, v3, -v6
	v_rndne_f32_e32 v12, v6
	s_delay_alu instid0(VALU_DEP_1) | instskip(NEXT) | instid1(VALU_DEP_1)
	v_dual_fmamk_f32 v7, v3, 0x32a5705f, v7 :: v_dual_sub_f32 v6, v6, v12
	v_add_f32_e32 v6, v6, v7
	v_cvt_i32_f32_e32 v7, v12
	s_delay_alu instid0(VALU_DEP_2) | instskip(SKIP_2) | instid1(VALU_DEP_1)
	v_exp_f32_e32 v6, v6
	s_waitcnt_depctr 0xfff
	v_ldexp_f32 v6, v6, v7
	v_cndmask_b32_e32 v6, 0, v6, vcc_lo
	v_cmp_nlt_f32_e32 vcc_lo, 0x42b17218, v3
	s_delay_alu instid0(VALU_DEP_2) | instskip(NEXT) | instid1(VALU_DEP_1)
	v_cndmask_b32_e32 v3, 0x7f800000, v6, vcc_lo
	v_add_f32_e32 v12, 1.0, v3
	s_delay_alu instid0(VALU_DEP_1) | instskip(NEXT) | instid1(VALU_DEP_1)
	v_cvt_f64_f32_e32 v[6:7], v12
	v_frexp_exp_i32_f64_e32 v6, v[6:7]
	v_frexp_mant_f32_e32 v7, v12
	s_delay_alu instid0(VALU_DEP_1) | instskip(SKIP_1) | instid1(VALU_DEP_1)
	v_cmp_gt_f32_e32 vcc_lo, 0x3f2aaaab, v7
	v_add_f32_e32 v7, -1.0, v12
	v_sub_f32_e32 v38, v7, v12
	s_delay_alu instid0(VALU_DEP_1) | instskip(NEXT) | instid1(VALU_DEP_1)
	v_dual_sub_f32 v7, v3, v7 :: v_dual_add_f32 v38, 1.0, v38
	v_add_f32_e32 v7, v7, v38
	v_subrev_co_ci_u32_e32 v6, vcc_lo, 0, v6, vcc_lo
	s_delay_alu instid0(VALU_DEP_1) | instskip(SKIP_1) | instid1(VALU_DEP_2)
	v_sub_nc_u32_e32 v13, 0, v6
	v_cvt_f32_i32_e32 v6, v6
	v_ldexp_f32 v12, v12, v13
	v_ldexp_f32 v7, v7, v13
	s_delay_alu instid0(VALU_DEP_2) | instskip(NEXT) | instid1(VALU_DEP_1)
	v_add_f32_e32 v13, -1.0, v12
	v_dual_add_f32 v39, 1.0, v12 :: v_dual_add_f32 v48, 1.0, v13
	s_delay_alu instid0(VALU_DEP_1) | instskip(SKIP_1) | instid1(VALU_DEP_2)
	v_add_f32_e32 v38, -1.0, v39
	v_cmp_eq_f32_e32 vcc_lo, 0x7f800000, v3
	v_sub_f32_e32 v38, v12, v38
	s_delay_alu instid0(VALU_DEP_4) | instskip(NEXT) | instid1(VALU_DEP_2)
	v_sub_f32_e32 v12, v12, v48
	v_add_f32_e32 v38, v7, v38
	s_delay_alu instid0(VALU_DEP_2) | instskip(NEXT) | instid1(VALU_DEP_1)
	v_add_f32_e32 v7, v7, v12
	v_dual_add_f32 v49, v13, v7 :: v_dual_add_f32 v48, v39, v38
	s_delay_alu instid0(VALU_DEP_1) | instskip(NEXT) | instid1(VALU_DEP_2)
	v_sub_f32_e32 v13, v13, v49
	v_rcp_f32_e32 v12, v48
	v_sub_f32_e32 v39, v39, v48
	s_delay_alu instid0(VALU_DEP_1) | instskip(SKIP_2) | instid1(VALU_DEP_1)
	v_dual_add_f32 v7, v7, v13 :: v_dual_add_f32 v38, v38, v39
	s_waitcnt_depctr 0xfff
	v_mul_f32_e32 v50, v49, v12
	v_mul_f32_e32 v51, v48, v50
	s_delay_alu instid0(VALU_DEP_1) | instskip(NEXT) | instid1(VALU_DEP_1)
	v_fma_f32 v39, v50, v48, -v51
	v_fmac_f32_e32 v39, v50, v38
	s_delay_alu instid0(VALU_DEP_1) | instskip(NEXT) | instid1(VALU_DEP_1)
	v_add_f32_e32 v52, v51, v39
	v_sub_f32_e32 v53, v49, v52
	s_delay_alu instid0(VALU_DEP_1) | instskip(SKIP_1) | instid1(VALU_DEP_2)
	v_sub_f32_e32 v49, v49, v53
	v_sub_f32_e32 v13, v52, v51
	;; [unrolled: 1-line block ×3, first 2 shown]
	s_delay_alu instid0(VALU_DEP_2) | instskip(NEXT) | instid1(VALU_DEP_2)
	v_sub_f32_e32 v13, v13, v39
	v_add_f32_e32 v7, v7, v49
	s_delay_alu instid0(VALU_DEP_1) | instskip(NEXT) | instid1(VALU_DEP_1)
	v_add_f32_e32 v7, v13, v7
	v_add_f32_e32 v13, v53, v7
	s_delay_alu instid0(VALU_DEP_1) | instskip(NEXT) | instid1(VALU_DEP_1)
	v_mul_f32_e32 v39, v12, v13
	v_dual_sub_f32 v52, v53, v13 :: v_dual_mul_f32 v49, v48, v39
	s_delay_alu instid0(VALU_DEP_1) | instskip(NEXT) | instid1(VALU_DEP_2)
	v_add_f32_e32 v7, v7, v52
	v_fma_f32 v48, v39, v48, -v49
	s_delay_alu instid0(VALU_DEP_1) | instskip(NEXT) | instid1(VALU_DEP_1)
	v_fmac_f32_e32 v48, v39, v38
	v_add_f32_e32 v38, v49, v48
	s_delay_alu instid0(VALU_DEP_1) | instskip(SKIP_1) | instid1(VALU_DEP_2)
	v_sub_f32_e32 v51, v13, v38
	v_sub_f32_e32 v49, v38, v49
	;; [unrolled: 1-line block ×3, first 2 shown]
	s_delay_alu instid0(VALU_DEP_1) | instskip(NEXT) | instid1(VALU_DEP_1)
	v_sub_f32_e32 v13, v13, v38
	v_dual_sub_f32 v38, v49, v48 :: v_dual_add_f32 v7, v7, v13
	v_add_f32_e32 v13, v50, v39
	s_delay_alu instid0(VALU_DEP_1) | instskip(NEXT) | instid1(VALU_DEP_1)
	v_dual_add_f32 v7, v38, v7 :: v_dual_sub_f32 v38, v13, v50
	v_add_f32_e32 v7, v51, v7
	s_delay_alu instid0(VALU_DEP_1) | instskip(NEXT) | instid1(VALU_DEP_1)
	v_dual_sub_f32 v38, v39, v38 :: v_dual_mul_f32 v7, v12, v7
	v_add_f32_e32 v7, v38, v7
	s_delay_alu instid0(VALU_DEP_1) | instskip(NEXT) | instid1(VALU_DEP_1)
	v_add_f32_e32 v12, v13, v7
	v_mul_f32_e32 v38, v12, v12
	s_delay_alu instid0(VALU_DEP_1) | instskip(SKIP_2) | instid1(VALU_DEP_3)
	v_fmaak_f32 v39, s2, v38, 0x3ecc95a3
	v_mul_f32_e32 v48, v12, v38
	v_cmp_gt_f32_e64 s2, 0x33800000, |v3|
	v_fmaak_f32 v38, v38, v39, 0x3f2aaada
	v_ldexp_f32 v39, v12, 1
	v_sub_f32_e32 v12, v12, v13
	s_delay_alu instid0(VALU_DEP_4) | instskip(NEXT) | instid1(VALU_DEP_3)
	s_or_b32 vcc_lo, vcc_lo, s2
	v_mul_f32_e32 v38, v48, v38
	s_delay_alu instid0(VALU_DEP_2) | instskip(NEXT) | instid1(VALU_DEP_2)
	v_dual_mul_f32 v48, 0x3f317218, v6 :: v_dual_sub_f32 v7, v7, v12
	v_add_f32_e32 v13, v39, v38
	s_delay_alu instid0(VALU_DEP_2) | instskip(NEXT) | instid1(VALU_DEP_2)
	v_ldexp_f32 v7, v7, 1
	v_sub_f32_e32 v12, v13, v39
	s_delay_alu instid0(VALU_DEP_4) | instskip(NEXT) | instid1(VALU_DEP_2)
	v_fma_f32 v39, 0x3f317218, v6, -v48
	v_sub_f32_e32 v12, v38, v12
	s_delay_alu instid0(VALU_DEP_1) | instskip(NEXT) | instid1(VALU_DEP_1)
	v_dual_fmamk_f32 v6, v6, 0xb102e308, v39 :: v_dual_add_f32 v7, v7, v12
	v_add_f32_e32 v12, v48, v6
	s_delay_alu instid0(VALU_DEP_1) | instskip(NEXT) | instid1(VALU_DEP_1)
	v_sub_f32_e32 v48, v12, v48
	v_sub_f32_e32 v6, v6, v48
	s_delay_alu instid0(VALU_DEP_4) | instskip(NEXT) | instid1(VALU_DEP_1)
	v_add_f32_e32 v38, v13, v7
	v_sub_f32_e32 v13, v38, v13
	s_delay_alu instid0(VALU_DEP_1) | instskip(SKIP_1) | instid1(VALU_DEP_1)
	v_sub_f32_e32 v7, v7, v13
	v_add_f32_e32 v39, v12, v38
	v_sub_f32_e32 v49, v39, v12
	s_delay_alu instid0(VALU_DEP_1) | instskip(NEXT) | instid1(VALU_DEP_4)
	v_sub_f32_e32 v13, v38, v49
	v_add_f32_e32 v38, v6, v7
	v_sub_f32_e32 v50, v39, v49
	s_delay_alu instid0(VALU_DEP_1) | instskip(NEXT) | instid1(VALU_DEP_1)
	v_sub_f32_e32 v12, v12, v50
	v_dual_add_f32 v12, v13, v12 :: v_dual_sub_f32 v13, v38, v6
	s_delay_alu instid0(VALU_DEP_1) | instskip(SKIP_1) | instid1(VALU_DEP_2)
	v_dual_add_f32 v12, v38, v12 :: v_dual_sub_f32 v7, v7, v13
	v_sub_f32_e32 v38, v38, v13
	v_add_f32_e32 v48, v39, v12
	s_delay_alu instid0(VALU_DEP_1) | instskip(NEXT) | instid1(VALU_DEP_1)
	v_dual_sub_f32 v6, v6, v38 :: v_dual_sub_f32 v13, v48, v39
	v_dual_add_f32 v6, v7, v6 :: v_dual_sub_f32 v7, v12, v13
	s_delay_alu instid0(VALU_DEP_1) | instskip(NEXT) | instid1(VALU_DEP_1)
	v_add_f32_e32 v6, v6, v7
	v_add_f32_e32 v6, v48, v6
	s_delay_alu instid0(VALU_DEP_1) | instskip(NEXT) | instid1(VALU_DEP_1)
	v_cndmask_b32_e32 v3, v6, v3, vcc_lo
	v_add_f32_e32 v3, v2, v3
.LBB521_338:
	s_or_b32 exec_lo, exec_lo, s1
	s_delay_alu instid0(VALU_DEP_1) | instskip(SKIP_1) | instid1(VALU_DEP_2)
	v_bfe_u32 v2, v3, 16, 1
	v_cmp_o_f32_e32 vcc_lo, v3, v3
	v_add3_u32 v2, v3, v2, 0x7fff
	s_delay_alu instid0(VALU_DEP_1) | instskip(NEXT) | instid1(VALU_DEP_1)
	v_lshrrev_b32_e32 v2, 16, v2
	v_cndmask_b32_e32 v69, 0x7fc0, v2, vcc_lo
	s_delay_alu instid0(VALU_DEP_1) | instskip(NEXT) | instid1(VALU_DEP_1)
	v_lshlrev_b32_e32 v3, 16, v69
	v_max_f32_e32 v2, v3, v3
	s_delay_alu instid0(VALU_DEP_1) | instskip(SKIP_2) | instid1(VALU_DEP_3)
	v_min_f32_e32 v6, v2, v70
	v_max_f32_e32 v2, v2, v70
	v_cmp_u_f32_e32 vcc_lo, v3, v3
	v_cndmask_b32_e32 v6, v6, v3, vcc_lo
	s_delay_alu instid0(VALU_DEP_3) | instskip(NEXT) | instid1(VALU_DEP_2)
	v_cndmask_b32_e32 v2, v2, v3, vcc_lo
	v_cndmask_b32_e64 v6, v6, v37, s13
	s_delay_alu instid0(VALU_DEP_2) | instskip(NEXT) | instid1(VALU_DEP_2)
	v_cndmask_b32_e64 v2, v2, v37, s13
	v_cmp_class_f32_e64 s1, v6, 0x1f8
	s_delay_alu instid0(VALU_DEP_2) | instskip(NEXT) | instid1(VALU_DEP_2)
	v_cmp_neq_f32_e32 vcc_lo, v6, v2
	s_or_b32 s2, vcc_lo, s1
	s_delay_alu instid0(SALU_CYCLE_1)
	s_and_saveexec_b32 s1, s2
	s_cbranch_execz .LBB521_340
; %bb.339:
	v_sub_f32_e32 v3, v6, v2
	s_mov_b32 s2, 0x3e9b6dac
	s_delay_alu instid0(VALU_DEP_1) | instskip(SKIP_1) | instid1(VALU_DEP_2)
	v_mul_f32_e32 v6, 0x3fb8aa3b, v3
	v_cmp_ngt_f32_e32 vcc_lo, 0xc2ce8ed0, v3
	v_fma_f32 v7, 0x3fb8aa3b, v3, -v6
	v_rndne_f32_e32 v12, v6
	s_delay_alu instid0(VALU_DEP_1) | instskip(NEXT) | instid1(VALU_DEP_1)
	v_dual_fmamk_f32 v7, v3, 0x32a5705f, v7 :: v_dual_sub_f32 v6, v6, v12
	v_add_f32_e32 v6, v6, v7
	v_cvt_i32_f32_e32 v7, v12
	s_delay_alu instid0(VALU_DEP_2) | instskip(SKIP_2) | instid1(VALU_DEP_1)
	v_exp_f32_e32 v6, v6
	s_waitcnt_depctr 0xfff
	v_ldexp_f32 v6, v6, v7
	v_cndmask_b32_e32 v6, 0, v6, vcc_lo
	v_cmp_nlt_f32_e32 vcc_lo, 0x42b17218, v3
	s_delay_alu instid0(VALU_DEP_2) | instskip(NEXT) | instid1(VALU_DEP_1)
	v_cndmask_b32_e32 v3, 0x7f800000, v6, vcc_lo
	v_add_f32_e32 v12, 1.0, v3
	s_delay_alu instid0(VALU_DEP_1) | instskip(NEXT) | instid1(VALU_DEP_1)
	v_cvt_f64_f32_e32 v[6:7], v12
	v_frexp_exp_i32_f64_e32 v6, v[6:7]
	v_frexp_mant_f32_e32 v7, v12
	s_delay_alu instid0(VALU_DEP_1) | instskip(SKIP_1) | instid1(VALU_DEP_1)
	v_cmp_gt_f32_e32 vcc_lo, 0x3f2aaaab, v7
	v_add_f32_e32 v7, -1.0, v12
	v_sub_f32_e32 v37, v7, v12
	v_sub_f32_e32 v7, v3, v7
	s_delay_alu instid0(VALU_DEP_2) | instskip(SKIP_1) | instid1(VALU_DEP_1)
	v_add_f32_e32 v37, 1.0, v37
	v_subrev_co_ci_u32_e32 v6, vcc_lo, 0, v6, vcc_lo
	v_sub_nc_u32_e32 v13, 0, v6
	v_cvt_f32_i32_e32 v6, v6
	s_delay_alu instid0(VALU_DEP_2) | instskip(NEXT) | instid1(VALU_DEP_1)
	v_ldexp_f32 v12, v12, v13
	v_dual_add_f32 v38, 1.0, v12 :: v_dual_add_f32 v7, v7, v37
	s_delay_alu instid0(VALU_DEP_1) | instskip(SKIP_1) | instid1(VALU_DEP_3)
	v_ldexp_f32 v7, v7, v13
	v_add_f32_e32 v13, -1.0, v12
	v_add_f32_e32 v37, -1.0, v38
	s_delay_alu instid0(VALU_DEP_2) | instskip(NEXT) | instid1(VALU_DEP_2)
	v_add_f32_e32 v39, 1.0, v13
	v_sub_f32_e32 v37, v12, v37
	s_delay_alu instid0(VALU_DEP_1) | instskip(SKIP_1) | instid1(VALU_DEP_2)
	v_dual_sub_f32 v12, v12, v39 :: v_dual_add_f32 v37, v7, v37
	v_cmp_eq_f32_e32 vcc_lo, 0x7f800000, v3
	v_add_f32_e32 v39, v38, v37
	s_delay_alu instid0(VALU_DEP_1) | instskip(NEXT) | instid1(VALU_DEP_1)
	v_sub_f32_e32 v38, v38, v39
	v_add_f32_e32 v37, v37, v38
	v_add_f32_e32 v7, v7, v12
	v_rcp_f32_e32 v12, v39
	s_delay_alu instid0(VALU_DEP_1) | instskip(SKIP_2) | instid1(VALU_DEP_1)
	v_add_f32_e32 v48, v13, v7
	s_waitcnt_depctr 0xfff
	v_mul_f32_e32 v49, v48, v12
	v_dual_mul_f32 v50, v39, v49 :: v_dual_sub_f32 v13, v13, v48
	s_delay_alu instid0(VALU_DEP_1) | instskip(NEXT) | instid1(VALU_DEP_1)
	v_fma_f32 v38, v49, v39, -v50
	v_fmac_f32_e32 v38, v49, v37
	s_delay_alu instid0(VALU_DEP_3) | instskip(NEXT) | instid1(VALU_DEP_2)
	v_add_f32_e32 v7, v7, v13
	v_add_f32_e32 v51, v50, v38
	s_delay_alu instid0(VALU_DEP_1) | instskip(NEXT) | instid1(VALU_DEP_1)
	v_dual_sub_f32 v52, v48, v51 :: v_dual_sub_f32 v13, v51, v50
	v_dual_sub_f32 v48, v48, v52 :: v_dual_sub_f32 v13, v13, v38
	s_delay_alu instid0(VALU_DEP_1) | instskip(NEXT) | instid1(VALU_DEP_1)
	v_sub_f32_e32 v48, v48, v51
	v_add_f32_e32 v7, v7, v48
	s_delay_alu instid0(VALU_DEP_1) | instskip(NEXT) | instid1(VALU_DEP_1)
	v_add_f32_e32 v7, v13, v7
	v_add_f32_e32 v13, v52, v7
	s_delay_alu instid0(VALU_DEP_1) | instskip(NEXT) | instid1(VALU_DEP_1)
	v_mul_f32_e32 v38, v12, v13
	v_dual_sub_f32 v51, v52, v13 :: v_dual_mul_f32 v48, v39, v38
	s_delay_alu instid0(VALU_DEP_1) | instskip(NEXT) | instid1(VALU_DEP_2)
	v_add_f32_e32 v7, v7, v51
	v_fma_f32 v39, v38, v39, -v48
	s_delay_alu instid0(VALU_DEP_1) | instskip(NEXT) | instid1(VALU_DEP_1)
	v_fmac_f32_e32 v39, v38, v37
	v_add_f32_e32 v37, v48, v39
	s_delay_alu instid0(VALU_DEP_1) | instskip(SKIP_1) | instid1(VALU_DEP_2)
	v_sub_f32_e32 v50, v13, v37
	v_sub_f32_e32 v48, v37, v48
	;; [unrolled: 1-line block ×3, first 2 shown]
	s_delay_alu instid0(VALU_DEP_1) | instskip(NEXT) | instid1(VALU_DEP_3)
	v_sub_f32_e32 v13, v13, v37
	v_sub_f32_e32 v37, v48, v39
	s_delay_alu instid0(VALU_DEP_2) | instskip(SKIP_1) | instid1(VALU_DEP_2)
	v_add_f32_e32 v7, v7, v13
	v_add_f32_e32 v13, v49, v38
	;; [unrolled: 1-line block ×3, first 2 shown]
	s_delay_alu instid0(VALU_DEP_2) | instskip(NEXT) | instid1(VALU_DEP_2)
	v_sub_f32_e32 v37, v13, v49
	v_add_f32_e32 v7, v50, v7
	s_delay_alu instid0(VALU_DEP_2) | instskip(NEXT) | instid1(VALU_DEP_2)
	v_sub_f32_e32 v37, v38, v37
	v_mul_f32_e32 v7, v12, v7
	s_delay_alu instid0(VALU_DEP_1) | instskip(NEXT) | instid1(VALU_DEP_1)
	v_add_f32_e32 v7, v37, v7
	v_add_f32_e32 v12, v13, v7
	s_delay_alu instid0(VALU_DEP_1) | instskip(NEXT) | instid1(VALU_DEP_1)
	v_mul_f32_e32 v37, v12, v12
	v_fmaak_f32 v38, s2, v37, 0x3ecc95a3
	v_mul_f32_e32 v39, v12, v37
	v_cmp_gt_f32_e64 s2, 0x33800000, |v3|
	s_delay_alu instid0(VALU_DEP_3) | instskip(SKIP_2) | instid1(VALU_DEP_4)
	v_fmaak_f32 v37, v37, v38, 0x3f2aaada
	v_ldexp_f32 v38, v12, 1
	v_sub_f32_e32 v12, v12, v13
	s_or_b32 vcc_lo, vcc_lo, s2
	s_delay_alu instid0(VALU_DEP_3) | instskip(SKIP_1) | instid1(VALU_DEP_3)
	v_mul_f32_e32 v37, v39, v37
	v_mul_f32_e32 v39, 0x3f317218, v6
	v_sub_f32_e32 v7, v7, v12
	s_delay_alu instid0(VALU_DEP_3) | instskip(NEXT) | instid1(VALU_DEP_2)
	v_add_f32_e32 v13, v38, v37
	v_ldexp_f32 v7, v7, 1
	s_delay_alu instid0(VALU_DEP_2) | instskip(SKIP_1) | instid1(VALU_DEP_2)
	v_sub_f32_e32 v12, v13, v38
	v_fma_f32 v38, 0x3f317218, v6, -v39
	v_sub_f32_e32 v12, v37, v12
	s_delay_alu instid0(VALU_DEP_1) | instskip(NEXT) | instid1(VALU_DEP_1)
	v_dual_fmamk_f32 v6, v6, 0xb102e308, v38 :: v_dual_add_f32 v7, v7, v12
	v_dual_add_f32 v12, v39, v6 :: v_dual_add_f32 v37, v13, v7
	s_delay_alu instid0(VALU_DEP_1) | instskip(NEXT) | instid1(VALU_DEP_2)
	v_sub_f32_e32 v39, v12, v39
	v_add_f32_e32 v38, v12, v37
	s_delay_alu instid0(VALU_DEP_2) | instskip(NEXT) | instid1(VALU_DEP_1)
	v_dual_sub_f32 v13, v37, v13 :: v_dual_sub_f32 v6, v6, v39
	v_dual_sub_f32 v48, v38, v12 :: v_dual_sub_f32 v7, v7, v13
	s_delay_alu instid0(VALU_DEP_1) | instskip(SKIP_1) | instid1(VALU_DEP_2)
	v_sub_f32_e32 v49, v38, v48
	v_sub_f32_e32 v13, v37, v48
	v_dual_add_f32 v37, v6, v7 :: v_dual_sub_f32 v12, v12, v49
	s_delay_alu instid0(VALU_DEP_1) | instskip(NEXT) | instid1(VALU_DEP_2)
	v_add_f32_e32 v12, v13, v12
	v_sub_f32_e32 v13, v37, v6
	s_delay_alu instid0(VALU_DEP_2) | instskip(NEXT) | instid1(VALU_DEP_2)
	v_add_f32_e32 v12, v37, v12
	v_sub_f32_e32 v37, v37, v13
	v_sub_f32_e32 v7, v7, v13
	s_delay_alu instid0(VALU_DEP_3) | instskip(NEXT) | instid1(VALU_DEP_1)
	v_add_f32_e32 v39, v38, v12
	v_dual_sub_f32 v6, v6, v37 :: v_dual_sub_f32 v13, v39, v38
	s_delay_alu instid0(VALU_DEP_1) | instskip(NEXT) | instid1(VALU_DEP_1)
	v_dual_add_f32 v6, v7, v6 :: v_dual_sub_f32 v7, v12, v13
	v_add_f32_e32 v6, v6, v7
	s_delay_alu instid0(VALU_DEP_1) | instskip(NEXT) | instid1(VALU_DEP_1)
	v_add_f32_e32 v6, v39, v6
	v_cndmask_b32_e32 v3, v6, v3, vcc_lo
	s_delay_alu instid0(VALU_DEP_1)
	v_add_f32_e32 v3, v2, v3
.LBB521_340:
	s_or_b32 exec_lo, exec_lo, s1
	s_delay_alu instid0(VALU_DEP_1) | instskip(SKIP_1) | instid1(VALU_DEP_2)
	v_bfe_u32 v2, v3, 16, 1
	v_cmp_o_f32_e32 vcc_lo, v3, v3
	v_add3_u32 v2, v3, v2, 0x7fff
	s_delay_alu instid0(VALU_DEP_1) | instskip(NEXT) | instid1(VALU_DEP_1)
	v_lshrrev_b32_e32 v2, 16, v2
	v_cndmask_b32_e32 v70, 0x7fc0, v2, vcc_lo
	s_delay_alu instid0(VALU_DEP_1) | instskip(NEXT) | instid1(VALU_DEP_1)
	v_lshlrev_b32_e32 v3, 16, v70
	v_max_f32_e32 v2, v3, v3
	s_delay_alu instid0(VALU_DEP_1) | instskip(SKIP_2) | instid1(VALU_DEP_3)
	v_min_f32_e32 v6, v2, v71
	v_max_f32_e32 v2, v2, v71
	v_cmp_u_f32_e32 vcc_lo, v3, v3
	v_cndmask_b32_e32 v6, v6, v3, vcc_lo
	s_delay_alu instid0(VALU_DEP_3) | instskip(NEXT) | instid1(VALU_DEP_2)
	v_cndmask_b32_e32 v2, v2, v3, vcc_lo
	v_cndmask_b32_e64 v6, v6, v36, s14
	s_delay_alu instid0(VALU_DEP_2) | instskip(NEXT) | instid1(VALU_DEP_2)
	v_cndmask_b32_e64 v2, v2, v36, s14
	v_cmp_class_f32_e64 s1, v6, 0x1f8
	s_delay_alu instid0(VALU_DEP_2) | instskip(NEXT) | instid1(VALU_DEP_2)
	v_cmp_neq_f32_e32 vcc_lo, v6, v2
	s_or_b32 s2, vcc_lo, s1
	s_delay_alu instid0(SALU_CYCLE_1)
	s_and_saveexec_b32 s1, s2
	s_cbranch_execz .LBB521_342
; %bb.341:
	v_sub_f32_e32 v3, v6, v2
	s_mov_b32 s2, 0x3e9b6dac
	s_delay_alu instid0(VALU_DEP_1) | instskip(SKIP_1) | instid1(VALU_DEP_2)
	v_mul_f32_e32 v6, 0x3fb8aa3b, v3
	v_cmp_ngt_f32_e32 vcc_lo, 0xc2ce8ed0, v3
	v_fma_f32 v7, 0x3fb8aa3b, v3, -v6
	v_rndne_f32_e32 v12, v6
	s_delay_alu instid0(VALU_DEP_1) | instskip(NEXT) | instid1(VALU_DEP_1)
	v_dual_fmamk_f32 v7, v3, 0x32a5705f, v7 :: v_dual_sub_f32 v6, v6, v12
	v_add_f32_e32 v6, v6, v7
	v_cvt_i32_f32_e32 v7, v12
	s_delay_alu instid0(VALU_DEP_2) | instskip(SKIP_2) | instid1(VALU_DEP_1)
	v_exp_f32_e32 v6, v6
	s_waitcnt_depctr 0xfff
	v_ldexp_f32 v6, v6, v7
	v_cndmask_b32_e32 v6, 0, v6, vcc_lo
	v_cmp_nlt_f32_e32 vcc_lo, 0x42b17218, v3
	s_delay_alu instid0(VALU_DEP_2) | instskip(NEXT) | instid1(VALU_DEP_1)
	v_cndmask_b32_e32 v3, 0x7f800000, v6, vcc_lo
	v_add_f32_e32 v12, 1.0, v3
	s_delay_alu instid0(VALU_DEP_1) | instskip(NEXT) | instid1(VALU_DEP_1)
	v_cvt_f64_f32_e32 v[6:7], v12
	v_frexp_exp_i32_f64_e32 v6, v[6:7]
	v_frexp_mant_f32_e32 v7, v12
	s_delay_alu instid0(VALU_DEP_1) | instskip(SKIP_1) | instid1(VALU_DEP_1)
	v_cmp_gt_f32_e32 vcc_lo, 0x3f2aaaab, v7
	v_add_f32_e32 v7, -1.0, v12
	v_sub_f32_e32 v36, v7, v12
	s_delay_alu instid0(VALU_DEP_1) | instskip(NEXT) | instid1(VALU_DEP_1)
	v_dual_add_f32 v36, 1.0, v36 :: v_dual_sub_f32 v7, v3, v7
	v_add_f32_e32 v7, v7, v36
	v_subrev_co_ci_u32_e32 v6, vcc_lo, 0, v6, vcc_lo
	v_cmp_eq_f32_e32 vcc_lo, 0x7f800000, v3
	s_delay_alu instid0(VALU_DEP_2) | instskip(SKIP_1) | instid1(VALU_DEP_2)
	v_sub_nc_u32_e32 v13, 0, v6
	v_cvt_f32_i32_e32 v6, v6
	v_ldexp_f32 v12, v12, v13
	v_ldexp_f32 v7, v7, v13
	s_delay_alu instid0(VALU_DEP_2) | instskip(NEXT) | instid1(VALU_DEP_1)
	v_add_f32_e32 v37, 1.0, v12
	v_dual_add_f32 v13, -1.0, v12 :: v_dual_add_f32 v36, -1.0, v37
	s_delay_alu instid0(VALU_DEP_1) | instskip(NEXT) | instid1(VALU_DEP_2)
	v_add_f32_e32 v38, 1.0, v13
	v_sub_f32_e32 v36, v12, v36
	s_delay_alu instid0(VALU_DEP_2) | instskip(NEXT) | instid1(VALU_DEP_2)
	v_sub_f32_e32 v12, v12, v38
	v_add_f32_e32 v36, v7, v36
	s_delay_alu instid0(VALU_DEP_2) | instskip(NEXT) | instid1(VALU_DEP_1)
	v_add_f32_e32 v7, v7, v12
	v_add_f32_e32 v39, v13, v7
	s_delay_alu instid0(VALU_DEP_3) | instskip(NEXT) | instid1(VALU_DEP_2)
	v_add_f32_e32 v38, v37, v36
	v_sub_f32_e32 v13, v13, v39
	s_delay_alu instid0(VALU_DEP_2) | instskip(SKIP_1) | instid1(VALU_DEP_1)
	v_rcp_f32_e32 v12, v38
	v_sub_f32_e32 v37, v37, v38
	v_add_f32_e32 v36, v36, v37
	s_delay_alu instid0(VALU_DEP_3) | instskip(SKIP_2) | instid1(VALU_DEP_1)
	v_add_f32_e32 v7, v7, v13
	s_waitcnt_depctr 0xfff
	v_mul_f32_e32 v48, v39, v12
	v_mul_f32_e32 v49, v38, v48
	s_delay_alu instid0(VALU_DEP_1) | instskip(NEXT) | instid1(VALU_DEP_1)
	v_fma_f32 v37, v48, v38, -v49
	v_fmac_f32_e32 v37, v48, v36
	s_delay_alu instid0(VALU_DEP_1) | instskip(NEXT) | instid1(VALU_DEP_1)
	v_add_f32_e32 v50, v49, v37
	v_sub_f32_e32 v51, v39, v50
	s_delay_alu instid0(VALU_DEP_1) | instskip(NEXT) | instid1(VALU_DEP_1)
	v_sub_f32_e32 v39, v39, v51
	v_sub_f32_e32 v39, v39, v50
	s_delay_alu instid0(VALU_DEP_1) | instskip(SKIP_1) | instid1(VALU_DEP_1)
	v_add_f32_e32 v7, v7, v39
	v_sub_f32_e32 v13, v50, v49
	v_sub_f32_e32 v13, v13, v37
	s_delay_alu instid0(VALU_DEP_1) | instskip(NEXT) | instid1(VALU_DEP_1)
	v_add_f32_e32 v7, v13, v7
	v_add_f32_e32 v13, v51, v7
	s_delay_alu instid0(VALU_DEP_1) | instskip(SKIP_1) | instid1(VALU_DEP_2)
	v_mul_f32_e32 v37, v12, v13
	v_sub_f32_e32 v50, v51, v13
	v_mul_f32_e32 v39, v38, v37
	s_delay_alu instid0(VALU_DEP_2) | instskip(NEXT) | instid1(VALU_DEP_2)
	v_add_f32_e32 v7, v7, v50
	v_fma_f32 v38, v37, v38, -v39
	s_delay_alu instid0(VALU_DEP_1) | instskip(NEXT) | instid1(VALU_DEP_1)
	v_fmac_f32_e32 v38, v37, v36
	v_add_f32_e32 v36, v39, v38
	s_delay_alu instid0(VALU_DEP_1) | instskip(SKIP_1) | instid1(VALU_DEP_2)
	v_sub_f32_e32 v49, v13, v36
	v_sub_f32_e32 v39, v36, v39
	;; [unrolled: 1-line block ×3, first 2 shown]
	s_delay_alu instid0(VALU_DEP_1) | instskip(NEXT) | instid1(VALU_DEP_1)
	v_dual_sub_f32 v13, v13, v36 :: v_dual_sub_f32 v36, v39, v38
	v_add_f32_e32 v7, v7, v13
	v_add_f32_e32 v13, v48, v37
	s_delay_alu instid0(VALU_DEP_1) | instskip(NEXT) | instid1(VALU_DEP_1)
	v_dual_add_f32 v7, v36, v7 :: v_dual_sub_f32 v36, v13, v48
	v_add_f32_e32 v7, v49, v7
	s_delay_alu instid0(VALU_DEP_1) | instskip(NEXT) | instid1(VALU_DEP_1)
	v_dual_sub_f32 v36, v37, v36 :: v_dual_mul_f32 v7, v12, v7
	v_add_f32_e32 v7, v36, v7
	s_delay_alu instid0(VALU_DEP_1) | instskip(NEXT) | instid1(VALU_DEP_1)
	v_add_f32_e32 v12, v13, v7
	v_mul_f32_e32 v36, v12, v12
	s_delay_alu instid0(VALU_DEP_1) | instskip(SKIP_2) | instid1(VALU_DEP_3)
	v_fmaak_f32 v37, s2, v36, 0x3ecc95a3
	v_mul_f32_e32 v38, v12, v36
	v_cmp_gt_f32_e64 s2, 0x33800000, |v3|
	v_fmaak_f32 v36, v36, v37, 0x3f2aaada
	v_ldexp_f32 v37, v12, 1
	v_sub_f32_e32 v12, v12, v13
	s_delay_alu instid0(VALU_DEP_4) | instskip(NEXT) | instid1(VALU_DEP_3)
	s_or_b32 vcc_lo, vcc_lo, s2
	v_mul_f32_e32 v36, v38, v36
	s_delay_alu instid0(VALU_DEP_2) | instskip(NEXT) | instid1(VALU_DEP_2)
	v_dual_mul_f32 v38, 0x3f317218, v6 :: v_dual_sub_f32 v7, v7, v12
	v_add_f32_e32 v13, v37, v36
	s_delay_alu instid0(VALU_DEP_2) | instskip(NEXT) | instid1(VALU_DEP_2)
	v_ldexp_f32 v7, v7, 1
	v_sub_f32_e32 v12, v13, v37
	s_delay_alu instid0(VALU_DEP_4) | instskip(NEXT) | instid1(VALU_DEP_2)
	v_fma_f32 v37, 0x3f317218, v6, -v38
	v_sub_f32_e32 v12, v36, v12
	s_delay_alu instid0(VALU_DEP_1) | instskip(NEXT) | instid1(VALU_DEP_1)
	v_dual_fmamk_f32 v6, v6, 0xb102e308, v37 :: v_dual_add_f32 v7, v7, v12
	v_add_f32_e32 v12, v38, v6
	s_delay_alu instid0(VALU_DEP_2) | instskip(NEXT) | instid1(VALU_DEP_2)
	v_add_f32_e32 v36, v13, v7
	v_sub_f32_e32 v38, v12, v38
	s_delay_alu instid0(VALU_DEP_2) | instskip(NEXT) | instid1(VALU_DEP_2)
	v_add_f32_e32 v37, v12, v36
	v_dual_sub_f32 v13, v36, v13 :: v_dual_sub_f32 v6, v6, v38
	s_delay_alu instid0(VALU_DEP_2) | instskip(NEXT) | instid1(VALU_DEP_1)
	v_sub_f32_e32 v39, v37, v12
	v_dual_sub_f32 v48, v37, v39 :: v_dual_sub_f32 v7, v7, v13
	v_sub_f32_e32 v13, v36, v39
	s_delay_alu instid0(VALU_DEP_2) | instskip(NEXT) | instid1(VALU_DEP_3)
	v_sub_f32_e32 v12, v12, v48
	v_add_f32_e32 v36, v6, v7
	s_delay_alu instid0(VALU_DEP_1) | instskip(NEXT) | instid1(VALU_DEP_1)
	v_dual_add_f32 v12, v13, v12 :: v_dual_sub_f32 v13, v36, v6
	v_dual_add_f32 v12, v36, v12 :: v_dual_sub_f32 v7, v7, v13
	v_sub_f32_e32 v36, v36, v13
	s_delay_alu instid0(VALU_DEP_1) | instskip(NEXT) | instid1(VALU_DEP_1)
	v_sub_f32_e32 v6, v6, v36
	v_add_f32_e32 v6, v7, v6
	s_delay_alu instid0(VALU_DEP_4) | instskip(NEXT) | instid1(VALU_DEP_1)
	v_add_f32_e32 v38, v37, v12
	v_sub_f32_e32 v13, v38, v37
	s_delay_alu instid0(VALU_DEP_1) | instskip(NEXT) | instid1(VALU_DEP_1)
	v_sub_f32_e32 v7, v12, v13
	v_add_f32_e32 v6, v6, v7
	s_delay_alu instid0(VALU_DEP_1) | instskip(NEXT) | instid1(VALU_DEP_1)
	v_add_f32_e32 v6, v38, v6
	v_cndmask_b32_e32 v3, v6, v3, vcc_lo
	s_delay_alu instid0(VALU_DEP_1)
	v_add_f32_e32 v3, v2, v3
.LBB521_342:
	s_or_b32 exec_lo, exec_lo, s1
	s_delay_alu instid0(VALU_DEP_1) | instskip(SKIP_1) | instid1(VALU_DEP_2)
	v_bfe_u32 v2, v3, 16, 1
	v_cmp_o_f32_e32 vcc_lo, v3, v3
	v_add3_u32 v2, v3, v2, 0x7fff
	s_delay_alu instid0(VALU_DEP_1) | instskip(NEXT) | instid1(VALU_DEP_1)
	v_lshrrev_b32_e32 v2, 16, v2
	v_cndmask_b32_e32 v71, 0x7fc0, v2, vcc_lo
	s_delay_alu instid0(VALU_DEP_1) | instskip(NEXT) | instid1(VALU_DEP_1)
	v_lshlrev_b32_e32 v3, 16, v71
	v_max_f32_e32 v2, v3, v3
	s_delay_alu instid0(VALU_DEP_1) | instskip(SKIP_2) | instid1(VALU_DEP_3)
	v_min_f32_e32 v6, v2, v80
	v_max_f32_e32 v2, v2, v80
	v_cmp_u_f32_e32 vcc_lo, v3, v3
	v_cndmask_b32_e32 v6, v6, v3, vcc_lo
	s_delay_alu instid0(VALU_DEP_3) | instskip(NEXT) | instid1(VALU_DEP_2)
	v_cndmask_b32_e32 v2, v2, v3, vcc_lo
	v_cndmask_b32_e64 v6, v6, v35, s15
	s_delay_alu instid0(VALU_DEP_2) | instskip(NEXT) | instid1(VALU_DEP_2)
	v_cndmask_b32_e64 v2, v2, v35, s15
	v_cmp_class_f32_e64 s1, v6, 0x1f8
	s_delay_alu instid0(VALU_DEP_2) | instskip(NEXT) | instid1(VALU_DEP_2)
	v_cmp_neq_f32_e32 vcc_lo, v6, v2
	s_or_b32 s2, vcc_lo, s1
	s_delay_alu instid0(SALU_CYCLE_1)
	s_and_saveexec_b32 s1, s2
	s_cbranch_execz .LBB521_344
; %bb.343:
	v_sub_f32_e32 v3, v6, v2
	s_mov_b32 s2, 0x3e9b6dac
	s_delay_alu instid0(VALU_DEP_1) | instskip(SKIP_1) | instid1(VALU_DEP_2)
	v_mul_f32_e32 v6, 0x3fb8aa3b, v3
	v_cmp_ngt_f32_e32 vcc_lo, 0xc2ce8ed0, v3
	v_fma_f32 v7, 0x3fb8aa3b, v3, -v6
	v_rndne_f32_e32 v12, v6
	s_delay_alu instid0(VALU_DEP_1) | instskip(NEXT) | instid1(VALU_DEP_1)
	v_dual_fmamk_f32 v7, v3, 0x32a5705f, v7 :: v_dual_sub_f32 v6, v6, v12
	v_add_f32_e32 v6, v6, v7
	v_cvt_i32_f32_e32 v7, v12
	s_delay_alu instid0(VALU_DEP_2) | instskip(SKIP_2) | instid1(VALU_DEP_1)
	v_exp_f32_e32 v6, v6
	s_waitcnt_depctr 0xfff
	v_ldexp_f32 v6, v6, v7
	v_cndmask_b32_e32 v6, 0, v6, vcc_lo
	v_cmp_nlt_f32_e32 vcc_lo, 0x42b17218, v3
	s_delay_alu instid0(VALU_DEP_2) | instskip(NEXT) | instid1(VALU_DEP_1)
	v_cndmask_b32_e32 v3, 0x7f800000, v6, vcc_lo
	v_add_f32_e32 v12, 1.0, v3
	s_delay_alu instid0(VALU_DEP_1) | instskip(NEXT) | instid1(VALU_DEP_1)
	v_cvt_f64_f32_e32 v[6:7], v12
	v_frexp_exp_i32_f64_e32 v6, v[6:7]
	v_frexp_mant_f32_e32 v7, v12
	s_delay_alu instid0(VALU_DEP_1) | instskip(SKIP_1) | instid1(VALU_DEP_1)
	v_cmp_gt_f32_e32 vcc_lo, 0x3f2aaaab, v7
	v_add_f32_e32 v7, -1.0, v12
	v_sub_f32_e32 v35, v7, v12
	v_sub_f32_e32 v7, v3, v7
	v_subrev_co_ci_u32_e32 v6, vcc_lo, 0, v6, vcc_lo
	s_delay_alu instid0(VALU_DEP_1) | instskip(SKIP_1) | instid1(VALU_DEP_2)
	v_sub_nc_u32_e32 v13, 0, v6
	v_cvt_f32_i32_e32 v6, v6
	v_ldexp_f32 v12, v12, v13
	s_delay_alu instid0(VALU_DEP_1) | instskip(NEXT) | instid1(VALU_DEP_1)
	v_dual_add_f32 v36, 1.0, v12 :: v_dual_add_f32 v35, 1.0, v35
	v_add_f32_e32 v7, v7, v35
	s_delay_alu instid0(VALU_DEP_2) | instskip(NEXT) | instid1(VALU_DEP_2)
	v_add_f32_e32 v35, -1.0, v36
	v_ldexp_f32 v7, v7, v13
	v_add_f32_e32 v13, -1.0, v12
	s_delay_alu instid0(VALU_DEP_3) | instskip(NEXT) | instid1(VALU_DEP_2)
	v_sub_f32_e32 v35, v12, v35
	v_add_f32_e32 v37, 1.0, v13
	s_delay_alu instid0(VALU_DEP_1) | instskip(NEXT) | instid1(VALU_DEP_1)
	v_dual_add_f32 v35, v7, v35 :: v_dual_sub_f32 v12, v12, v37
	v_add_f32_e32 v37, v36, v35
	v_cmp_eq_f32_e32 vcc_lo, 0x7f800000, v3
	s_delay_alu instid0(VALU_DEP_3) | instskip(NEXT) | instid1(VALU_DEP_3)
	v_add_f32_e32 v7, v7, v12
	v_rcp_f32_e32 v12, v37
	v_sub_f32_e32 v36, v36, v37
	s_delay_alu instid0(VALU_DEP_1) | instskip(SKIP_2) | instid1(VALU_DEP_1)
	v_dual_add_f32 v38, v13, v7 :: v_dual_add_f32 v35, v35, v36
	s_waitcnt_depctr 0xfff
	v_mul_f32_e32 v39, v38, v12
	v_mul_f32_e32 v48, v37, v39
	v_sub_f32_e32 v13, v13, v38
	s_delay_alu instid0(VALU_DEP_2) | instskip(NEXT) | instid1(VALU_DEP_2)
	v_fma_f32 v36, v39, v37, -v48
	v_add_f32_e32 v7, v7, v13
	s_delay_alu instid0(VALU_DEP_2) | instskip(NEXT) | instid1(VALU_DEP_1)
	v_fmac_f32_e32 v36, v39, v35
	v_add_f32_e32 v49, v48, v36
	s_delay_alu instid0(VALU_DEP_1) | instskip(NEXT) | instid1(VALU_DEP_1)
	v_dual_sub_f32 v50, v38, v49 :: v_dual_sub_f32 v13, v49, v48
	v_dual_sub_f32 v38, v38, v50 :: v_dual_sub_f32 v13, v13, v36
	s_delay_alu instid0(VALU_DEP_1) | instskip(NEXT) | instid1(VALU_DEP_1)
	v_sub_f32_e32 v38, v38, v49
	v_add_f32_e32 v7, v7, v38
	s_delay_alu instid0(VALU_DEP_1) | instskip(NEXT) | instid1(VALU_DEP_1)
	v_add_f32_e32 v7, v13, v7
	v_add_f32_e32 v13, v50, v7
	s_delay_alu instid0(VALU_DEP_1) | instskip(NEXT) | instid1(VALU_DEP_1)
	v_mul_f32_e32 v36, v12, v13
	v_dual_sub_f32 v49, v50, v13 :: v_dual_mul_f32 v38, v37, v36
	s_delay_alu instid0(VALU_DEP_1) | instskip(NEXT) | instid1(VALU_DEP_2)
	v_add_f32_e32 v7, v7, v49
	v_fma_f32 v37, v36, v37, -v38
	s_delay_alu instid0(VALU_DEP_1) | instskip(NEXT) | instid1(VALU_DEP_1)
	v_fmac_f32_e32 v37, v36, v35
	v_add_f32_e32 v35, v38, v37
	s_delay_alu instid0(VALU_DEP_1) | instskip(NEXT) | instid1(VALU_DEP_1)
	v_sub_f32_e32 v48, v13, v35
	v_dual_sub_f32 v38, v35, v38 :: v_dual_sub_f32 v13, v13, v48
	s_delay_alu instid0(VALU_DEP_1) | instskip(NEXT) | instid1(VALU_DEP_2)
	v_sub_f32_e32 v13, v13, v35
	v_sub_f32_e32 v35, v38, v37
	s_delay_alu instid0(VALU_DEP_2) | instskip(SKIP_1) | instid1(VALU_DEP_2)
	v_add_f32_e32 v7, v7, v13
	v_add_f32_e32 v13, v39, v36
	;; [unrolled: 1-line block ×3, first 2 shown]
	s_delay_alu instid0(VALU_DEP_2) | instskip(NEXT) | instid1(VALU_DEP_2)
	v_sub_f32_e32 v35, v13, v39
	v_add_f32_e32 v7, v48, v7
	s_delay_alu instid0(VALU_DEP_2) | instskip(NEXT) | instid1(VALU_DEP_2)
	v_sub_f32_e32 v35, v36, v35
	v_mul_f32_e32 v7, v12, v7
	s_delay_alu instid0(VALU_DEP_1) | instskip(NEXT) | instid1(VALU_DEP_1)
	v_add_f32_e32 v7, v35, v7
	v_add_f32_e32 v12, v13, v7
	s_delay_alu instid0(VALU_DEP_1) | instskip(NEXT) | instid1(VALU_DEP_1)
	v_mul_f32_e32 v35, v12, v12
	v_fmaak_f32 v36, s2, v35, 0x3ecc95a3
	v_mul_f32_e32 v37, v12, v35
	v_cmp_gt_f32_e64 s2, 0x33800000, |v3|
	s_delay_alu instid0(VALU_DEP_3) | instskip(SKIP_2) | instid1(VALU_DEP_4)
	v_fmaak_f32 v35, v35, v36, 0x3f2aaada
	v_ldexp_f32 v36, v12, 1
	v_sub_f32_e32 v12, v12, v13
	s_or_b32 vcc_lo, vcc_lo, s2
	s_delay_alu instid0(VALU_DEP_3) | instskip(SKIP_1) | instid1(VALU_DEP_3)
	v_mul_f32_e32 v35, v37, v35
	v_mul_f32_e32 v37, 0x3f317218, v6
	v_sub_f32_e32 v7, v7, v12
	s_delay_alu instid0(VALU_DEP_3) | instskip(NEXT) | instid1(VALU_DEP_2)
	v_add_f32_e32 v13, v36, v35
	v_ldexp_f32 v7, v7, 1
	s_delay_alu instid0(VALU_DEP_2) | instskip(SKIP_1) | instid1(VALU_DEP_2)
	v_sub_f32_e32 v12, v13, v36
	v_fma_f32 v36, 0x3f317218, v6, -v37
	v_sub_f32_e32 v12, v35, v12
	s_delay_alu instid0(VALU_DEP_1) | instskip(NEXT) | instid1(VALU_DEP_1)
	v_dual_fmamk_f32 v6, v6, 0xb102e308, v36 :: v_dual_add_f32 v7, v7, v12
	v_add_f32_e32 v12, v37, v6
	s_delay_alu instid0(VALU_DEP_2) | instskip(NEXT) | instid1(VALU_DEP_2)
	v_add_f32_e32 v35, v13, v7
	v_sub_f32_e32 v37, v12, v37
	s_delay_alu instid0(VALU_DEP_2) | instskip(NEXT) | instid1(VALU_DEP_2)
	v_dual_add_f32 v36, v12, v35 :: v_dual_sub_f32 v13, v35, v13
	v_sub_f32_e32 v6, v6, v37
	s_delay_alu instid0(VALU_DEP_2) | instskip(NEXT) | instid1(VALU_DEP_1)
	v_dual_sub_f32 v38, v36, v12 :: v_dual_sub_f32 v7, v7, v13
	v_sub_f32_e32 v39, v36, v38
	v_sub_f32_e32 v13, v35, v38
	s_delay_alu instid0(VALU_DEP_3) | instskip(NEXT) | instid1(VALU_DEP_3)
	v_add_f32_e32 v35, v6, v7
	v_sub_f32_e32 v12, v12, v39
	s_delay_alu instid0(VALU_DEP_1) | instskip(NEXT) | instid1(VALU_DEP_1)
	v_dual_add_f32 v12, v13, v12 :: v_dual_sub_f32 v13, v35, v6
	v_add_f32_e32 v12, v35, v12
	s_delay_alu instid0(VALU_DEP_2) | instskip(SKIP_1) | instid1(VALU_DEP_2)
	v_sub_f32_e32 v35, v35, v13
	v_sub_f32_e32 v7, v7, v13
	v_dual_add_f32 v37, v36, v12 :: v_dual_sub_f32 v6, v6, v35
	s_delay_alu instid0(VALU_DEP_1) | instskip(NEXT) | instid1(VALU_DEP_1)
	v_dual_sub_f32 v13, v37, v36 :: v_dual_add_f32 v6, v7, v6
	v_sub_f32_e32 v7, v12, v13
	s_delay_alu instid0(VALU_DEP_1) | instskip(NEXT) | instid1(VALU_DEP_1)
	v_add_f32_e32 v6, v6, v7
	v_add_f32_e32 v6, v37, v6
	s_delay_alu instid0(VALU_DEP_1) | instskip(NEXT) | instid1(VALU_DEP_1)
	v_cndmask_b32_e32 v3, v6, v3, vcc_lo
	v_add_f32_e32 v3, v2, v3
.LBB521_344:
	s_or_b32 exec_lo, exec_lo, s1
	s_delay_alu instid0(VALU_DEP_1) | instskip(SKIP_1) | instid1(VALU_DEP_2)
	v_bfe_u32 v2, v3, 16, 1
	v_cmp_o_f32_e32 vcc_lo, v3, v3
	v_add3_u32 v2, v3, v2, 0x7fff
	s_delay_alu instid0(VALU_DEP_1) | instskip(NEXT) | instid1(VALU_DEP_1)
	v_lshrrev_b32_e32 v2, 16, v2
	v_cndmask_b32_e32 v80, 0x7fc0, v2, vcc_lo
	s_delay_alu instid0(VALU_DEP_1) | instskip(NEXT) | instid1(VALU_DEP_1)
	v_lshlrev_b32_e32 v3, 16, v80
	v_max_f32_e32 v2, v3, v3
	s_delay_alu instid0(VALU_DEP_1) | instskip(SKIP_2) | instid1(VALU_DEP_3)
	v_min_f32_e32 v6, v2, v81
	v_max_f32_e32 v2, v2, v81
	v_cmp_u_f32_e32 vcc_lo, v3, v3
	v_cndmask_b32_e32 v6, v6, v3, vcc_lo
	s_delay_alu instid0(VALU_DEP_3) | instskip(NEXT) | instid1(VALU_DEP_2)
	v_cndmask_b32_e32 v2, v2, v3, vcc_lo
	v_cndmask_b32_e64 v6, v6, v34, s16
	s_delay_alu instid0(VALU_DEP_2) | instskip(NEXT) | instid1(VALU_DEP_2)
	v_cndmask_b32_e64 v2, v2, v34, s16
	v_cmp_class_f32_e64 s1, v6, 0x1f8
	s_delay_alu instid0(VALU_DEP_2) | instskip(NEXT) | instid1(VALU_DEP_2)
	v_cmp_neq_f32_e32 vcc_lo, v6, v2
	s_or_b32 s2, vcc_lo, s1
	s_delay_alu instid0(SALU_CYCLE_1)
	s_and_saveexec_b32 s1, s2
	s_cbranch_execz .LBB521_346
; %bb.345:
	v_sub_f32_e32 v3, v6, v2
	s_mov_b32 s2, 0x3e9b6dac
	s_delay_alu instid0(VALU_DEP_1) | instskip(SKIP_1) | instid1(VALU_DEP_2)
	v_mul_f32_e32 v6, 0x3fb8aa3b, v3
	v_cmp_ngt_f32_e32 vcc_lo, 0xc2ce8ed0, v3
	v_fma_f32 v7, 0x3fb8aa3b, v3, -v6
	v_rndne_f32_e32 v12, v6
	s_delay_alu instid0(VALU_DEP_1) | instskip(NEXT) | instid1(VALU_DEP_1)
	v_dual_fmamk_f32 v7, v3, 0x32a5705f, v7 :: v_dual_sub_f32 v6, v6, v12
	v_add_f32_e32 v6, v6, v7
	v_cvt_i32_f32_e32 v7, v12
	s_delay_alu instid0(VALU_DEP_2) | instskip(SKIP_2) | instid1(VALU_DEP_1)
	v_exp_f32_e32 v6, v6
	s_waitcnt_depctr 0xfff
	v_ldexp_f32 v6, v6, v7
	v_cndmask_b32_e32 v6, 0, v6, vcc_lo
	v_cmp_nlt_f32_e32 vcc_lo, 0x42b17218, v3
	s_delay_alu instid0(VALU_DEP_2) | instskip(NEXT) | instid1(VALU_DEP_1)
	v_cndmask_b32_e32 v3, 0x7f800000, v6, vcc_lo
	v_add_f32_e32 v12, 1.0, v3
	s_delay_alu instid0(VALU_DEP_1) | instskip(NEXT) | instid1(VALU_DEP_1)
	v_cvt_f64_f32_e32 v[6:7], v12
	v_frexp_exp_i32_f64_e32 v6, v[6:7]
	v_frexp_mant_f32_e32 v7, v12
	s_delay_alu instid0(VALU_DEP_1) | instskip(SKIP_1) | instid1(VALU_DEP_1)
	v_cmp_gt_f32_e32 vcc_lo, 0x3f2aaaab, v7
	v_add_f32_e32 v7, -1.0, v12
	v_sub_f32_e32 v34, v7, v12
	s_delay_alu instid0(VALU_DEP_1) | instskip(NEXT) | instid1(VALU_DEP_1)
	v_dual_sub_f32 v7, v3, v7 :: v_dual_add_f32 v34, 1.0, v34
	v_add_f32_e32 v7, v7, v34
	v_subrev_co_ci_u32_e32 v6, vcc_lo, 0, v6, vcc_lo
	s_delay_alu instid0(VALU_DEP_1) | instskip(SKIP_1) | instid1(VALU_DEP_2)
	v_sub_nc_u32_e32 v13, 0, v6
	v_cvt_f32_i32_e32 v6, v6
	v_ldexp_f32 v12, v12, v13
	v_ldexp_f32 v7, v7, v13
	s_delay_alu instid0(VALU_DEP_2) | instskip(NEXT) | instid1(VALU_DEP_1)
	v_add_f32_e32 v13, -1.0, v12
	v_dual_add_f32 v35, 1.0, v12 :: v_dual_add_f32 v36, 1.0, v13
	s_delay_alu instid0(VALU_DEP_1) | instskip(SKIP_1) | instid1(VALU_DEP_2)
	v_add_f32_e32 v34, -1.0, v35
	v_cmp_eq_f32_e32 vcc_lo, 0x7f800000, v3
	v_sub_f32_e32 v34, v12, v34
	s_delay_alu instid0(VALU_DEP_4) | instskip(NEXT) | instid1(VALU_DEP_2)
	v_sub_f32_e32 v12, v12, v36
	v_add_f32_e32 v34, v7, v34
	s_delay_alu instid0(VALU_DEP_2) | instskip(NEXT) | instid1(VALU_DEP_1)
	v_add_f32_e32 v7, v7, v12
	v_dual_add_f32 v37, v13, v7 :: v_dual_add_f32 v36, v35, v34
	s_delay_alu instid0(VALU_DEP_1) | instskip(NEXT) | instid1(VALU_DEP_2)
	v_sub_f32_e32 v13, v13, v37
	v_rcp_f32_e32 v12, v36
	v_sub_f32_e32 v35, v35, v36
	s_delay_alu instid0(VALU_DEP_1) | instskip(SKIP_2) | instid1(VALU_DEP_1)
	v_dual_add_f32 v7, v7, v13 :: v_dual_add_f32 v34, v34, v35
	s_waitcnt_depctr 0xfff
	v_mul_f32_e32 v38, v37, v12
	v_mul_f32_e32 v39, v36, v38
	s_delay_alu instid0(VALU_DEP_1) | instskip(NEXT) | instid1(VALU_DEP_1)
	v_fma_f32 v35, v38, v36, -v39
	v_fmac_f32_e32 v35, v38, v34
	s_delay_alu instid0(VALU_DEP_1) | instskip(NEXT) | instid1(VALU_DEP_1)
	v_add_f32_e32 v48, v39, v35
	v_sub_f32_e32 v49, v37, v48
	s_delay_alu instid0(VALU_DEP_1) | instskip(SKIP_1) | instid1(VALU_DEP_2)
	v_sub_f32_e32 v37, v37, v49
	v_sub_f32_e32 v13, v48, v39
	;; [unrolled: 1-line block ×3, first 2 shown]
	s_delay_alu instid0(VALU_DEP_2) | instskip(NEXT) | instid1(VALU_DEP_2)
	v_sub_f32_e32 v13, v13, v35
	v_add_f32_e32 v7, v7, v37
	s_delay_alu instid0(VALU_DEP_1) | instskip(NEXT) | instid1(VALU_DEP_1)
	v_add_f32_e32 v7, v13, v7
	v_add_f32_e32 v13, v49, v7
	s_delay_alu instid0(VALU_DEP_1) | instskip(NEXT) | instid1(VALU_DEP_1)
	v_mul_f32_e32 v35, v12, v13
	v_dual_sub_f32 v48, v49, v13 :: v_dual_mul_f32 v37, v36, v35
	s_delay_alu instid0(VALU_DEP_1) | instskip(NEXT) | instid1(VALU_DEP_2)
	v_add_f32_e32 v7, v7, v48
	v_fma_f32 v36, v35, v36, -v37
	s_delay_alu instid0(VALU_DEP_1) | instskip(NEXT) | instid1(VALU_DEP_1)
	v_fmac_f32_e32 v36, v35, v34
	v_add_f32_e32 v34, v37, v36
	s_delay_alu instid0(VALU_DEP_1) | instskip(SKIP_1) | instid1(VALU_DEP_2)
	v_sub_f32_e32 v39, v13, v34
	v_sub_f32_e32 v37, v34, v37
	;; [unrolled: 1-line block ×3, first 2 shown]
	s_delay_alu instid0(VALU_DEP_1) | instskip(NEXT) | instid1(VALU_DEP_1)
	v_sub_f32_e32 v13, v13, v34
	v_dual_sub_f32 v34, v37, v36 :: v_dual_add_f32 v7, v7, v13
	v_add_f32_e32 v13, v38, v35
	s_delay_alu instid0(VALU_DEP_1) | instskip(NEXT) | instid1(VALU_DEP_1)
	v_dual_add_f32 v7, v34, v7 :: v_dual_sub_f32 v34, v13, v38
	v_add_f32_e32 v7, v39, v7
	s_delay_alu instid0(VALU_DEP_1) | instskip(NEXT) | instid1(VALU_DEP_1)
	v_dual_sub_f32 v34, v35, v34 :: v_dual_mul_f32 v7, v12, v7
	v_add_f32_e32 v7, v34, v7
	s_delay_alu instid0(VALU_DEP_1) | instskip(NEXT) | instid1(VALU_DEP_1)
	v_add_f32_e32 v12, v13, v7
	v_mul_f32_e32 v34, v12, v12
	s_delay_alu instid0(VALU_DEP_1) | instskip(SKIP_2) | instid1(VALU_DEP_3)
	v_fmaak_f32 v35, s2, v34, 0x3ecc95a3
	v_mul_f32_e32 v36, v12, v34
	v_cmp_gt_f32_e64 s2, 0x33800000, |v3|
	v_fmaak_f32 v34, v34, v35, 0x3f2aaada
	v_ldexp_f32 v35, v12, 1
	v_sub_f32_e32 v12, v12, v13
	s_delay_alu instid0(VALU_DEP_4) | instskip(NEXT) | instid1(VALU_DEP_3)
	s_or_b32 vcc_lo, vcc_lo, s2
	v_mul_f32_e32 v34, v36, v34
	s_delay_alu instid0(VALU_DEP_2) | instskip(NEXT) | instid1(VALU_DEP_2)
	v_dual_mul_f32 v36, 0x3f317218, v6 :: v_dual_sub_f32 v7, v7, v12
	v_add_f32_e32 v13, v35, v34
	s_delay_alu instid0(VALU_DEP_2) | instskip(NEXT) | instid1(VALU_DEP_2)
	v_ldexp_f32 v7, v7, 1
	v_sub_f32_e32 v12, v13, v35
	s_delay_alu instid0(VALU_DEP_4) | instskip(NEXT) | instid1(VALU_DEP_2)
	v_fma_f32 v35, 0x3f317218, v6, -v36
	v_sub_f32_e32 v12, v34, v12
	s_delay_alu instid0(VALU_DEP_1) | instskip(NEXT) | instid1(VALU_DEP_1)
	v_dual_fmamk_f32 v6, v6, 0xb102e308, v35 :: v_dual_add_f32 v7, v7, v12
	v_add_f32_e32 v12, v36, v6
	s_delay_alu instid0(VALU_DEP_1) | instskip(NEXT) | instid1(VALU_DEP_1)
	v_sub_f32_e32 v36, v12, v36
	v_sub_f32_e32 v6, v6, v36
	s_delay_alu instid0(VALU_DEP_4) | instskip(NEXT) | instid1(VALU_DEP_1)
	v_add_f32_e32 v34, v13, v7
	v_sub_f32_e32 v13, v34, v13
	s_delay_alu instid0(VALU_DEP_1) | instskip(SKIP_1) | instid1(VALU_DEP_1)
	v_sub_f32_e32 v7, v7, v13
	v_add_f32_e32 v35, v12, v34
	v_sub_f32_e32 v37, v35, v12
	s_delay_alu instid0(VALU_DEP_1) | instskip(NEXT) | instid1(VALU_DEP_4)
	v_sub_f32_e32 v13, v34, v37
	v_add_f32_e32 v34, v6, v7
	v_sub_f32_e32 v38, v35, v37
	s_delay_alu instid0(VALU_DEP_1) | instskip(NEXT) | instid1(VALU_DEP_1)
	v_sub_f32_e32 v12, v12, v38
	v_dual_add_f32 v12, v13, v12 :: v_dual_sub_f32 v13, v34, v6
	s_delay_alu instid0(VALU_DEP_1) | instskip(SKIP_1) | instid1(VALU_DEP_2)
	v_dual_add_f32 v12, v34, v12 :: v_dual_sub_f32 v7, v7, v13
	v_sub_f32_e32 v34, v34, v13
	v_add_f32_e32 v36, v35, v12
	s_delay_alu instid0(VALU_DEP_1) | instskip(NEXT) | instid1(VALU_DEP_1)
	v_dual_sub_f32 v6, v6, v34 :: v_dual_sub_f32 v13, v36, v35
	v_dual_add_f32 v6, v7, v6 :: v_dual_sub_f32 v7, v12, v13
	s_delay_alu instid0(VALU_DEP_1) | instskip(NEXT) | instid1(VALU_DEP_1)
	v_add_f32_e32 v6, v6, v7
	v_add_f32_e32 v6, v36, v6
	s_delay_alu instid0(VALU_DEP_1) | instskip(NEXT) | instid1(VALU_DEP_1)
	v_cndmask_b32_e32 v3, v6, v3, vcc_lo
	v_add_f32_e32 v3, v2, v3
.LBB521_346:
	s_or_b32 exec_lo, exec_lo, s1
	s_delay_alu instid0(VALU_DEP_1) | instskip(SKIP_1) | instid1(VALU_DEP_2)
	v_bfe_u32 v2, v3, 16, 1
	v_cmp_o_f32_e32 vcc_lo, v3, v3
	v_add3_u32 v2, v3, v2, 0x7fff
	s_delay_alu instid0(VALU_DEP_1) | instskip(NEXT) | instid1(VALU_DEP_1)
	v_lshrrev_b32_e32 v2, 16, v2
	v_cndmask_b32_e32 v81, 0x7fc0, v2, vcc_lo
	s_delay_alu instid0(VALU_DEP_1) | instskip(NEXT) | instid1(VALU_DEP_1)
	v_lshlrev_b32_e32 v3, 16, v81
	v_max_f32_e32 v2, v3, v3
	s_delay_alu instid0(VALU_DEP_1) | instskip(SKIP_2) | instid1(VALU_DEP_3)
	v_min_f32_e32 v6, v2, v82
	v_max_f32_e32 v2, v2, v82
	v_cmp_u_f32_e32 vcc_lo, v3, v3
	v_cndmask_b32_e32 v6, v6, v3, vcc_lo
	s_delay_alu instid0(VALU_DEP_3) | instskip(NEXT) | instid1(VALU_DEP_2)
	v_cndmask_b32_e32 v2, v2, v3, vcc_lo
	v_cndmask_b32_e64 v6, v6, v33, s17
	s_delay_alu instid0(VALU_DEP_2) | instskip(NEXT) | instid1(VALU_DEP_2)
	v_cndmask_b32_e64 v2, v2, v33, s17
	v_cmp_class_f32_e64 s1, v6, 0x1f8
	s_delay_alu instid0(VALU_DEP_2) | instskip(NEXT) | instid1(VALU_DEP_2)
	v_cmp_neq_f32_e32 vcc_lo, v6, v2
	s_or_b32 s2, vcc_lo, s1
	s_delay_alu instid0(SALU_CYCLE_1)
	s_and_saveexec_b32 s1, s2
	s_cbranch_execz .LBB521_348
; %bb.347:
	v_sub_f32_e32 v3, v6, v2
	s_mov_b32 s2, 0x3e9b6dac
	s_delay_alu instid0(VALU_DEP_1) | instskip(SKIP_1) | instid1(VALU_DEP_2)
	v_mul_f32_e32 v6, 0x3fb8aa3b, v3
	v_cmp_ngt_f32_e32 vcc_lo, 0xc2ce8ed0, v3
	v_fma_f32 v7, 0x3fb8aa3b, v3, -v6
	v_rndne_f32_e32 v12, v6
	s_delay_alu instid0(VALU_DEP_1) | instskip(NEXT) | instid1(VALU_DEP_1)
	v_dual_fmamk_f32 v7, v3, 0x32a5705f, v7 :: v_dual_sub_f32 v6, v6, v12
	v_add_f32_e32 v6, v6, v7
	v_cvt_i32_f32_e32 v7, v12
	s_delay_alu instid0(VALU_DEP_2) | instskip(SKIP_2) | instid1(VALU_DEP_1)
	v_exp_f32_e32 v6, v6
	s_waitcnt_depctr 0xfff
	v_ldexp_f32 v6, v6, v7
	v_cndmask_b32_e32 v6, 0, v6, vcc_lo
	v_cmp_nlt_f32_e32 vcc_lo, 0x42b17218, v3
	s_delay_alu instid0(VALU_DEP_2) | instskip(NEXT) | instid1(VALU_DEP_1)
	v_cndmask_b32_e32 v3, 0x7f800000, v6, vcc_lo
	v_add_f32_e32 v12, 1.0, v3
	s_delay_alu instid0(VALU_DEP_1) | instskip(NEXT) | instid1(VALU_DEP_1)
	v_cvt_f64_f32_e32 v[6:7], v12
	v_frexp_exp_i32_f64_e32 v6, v[6:7]
	v_frexp_mant_f32_e32 v7, v12
	s_delay_alu instid0(VALU_DEP_1) | instskip(SKIP_1) | instid1(VALU_DEP_1)
	v_cmp_gt_f32_e32 vcc_lo, 0x3f2aaaab, v7
	v_add_f32_e32 v7, -1.0, v12
	v_sub_f32_e32 v33, v7, v12
	v_sub_f32_e32 v7, v3, v7
	s_delay_alu instid0(VALU_DEP_2) | instskip(SKIP_1) | instid1(VALU_DEP_1)
	v_add_f32_e32 v33, 1.0, v33
	v_subrev_co_ci_u32_e32 v6, vcc_lo, 0, v6, vcc_lo
	v_sub_nc_u32_e32 v13, 0, v6
	v_cvt_f32_i32_e32 v6, v6
	s_delay_alu instid0(VALU_DEP_2) | instskip(NEXT) | instid1(VALU_DEP_1)
	v_ldexp_f32 v12, v12, v13
	v_dual_add_f32 v34, 1.0, v12 :: v_dual_add_f32 v7, v7, v33
	s_delay_alu instid0(VALU_DEP_1) | instskip(SKIP_1) | instid1(VALU_DEP_3)
	v_ldexp_f32 v7, v7, v13
	v_add_f32_e32 v13, -1.0, v12
	v_add_f32_e32 v33, -1.0, v34
	s_delay_alu instid0(VALU_DEP_2) | instskip(NEXT) | instid1(VALU_DEP_2)
	v_add_f32_e32 v35, 1.0, v13
	v_sub_f32_e32 v33, v12, v33
	s_delay_alu instid0(VALU_DEP_1) | instskip(SKIP_1) | instid1(VALU_DEP_2)
	v_dual_sub_f32 v12, v12, v35 :: v_dual_add_f32 v33, v7, v33
	v_cmp_eq_f32_e32 vcc_lo, 0x7f800000, v3
	v_add_f32_e32 v35, v34, v33
	s_delay_alu instid0(VALU_DEP_1) | instskip(NEXT) | instid1(VALU_DEP_1)
	v_sub_f32_e32 v34, v34, v35
	v_add_f32_e32 v33, v33, v34
	v_add_f32_e32 v7, v7, v12
	v_rcp_f32_e32 v12, v35
	s_delay_alu instid0(VALU_DEP_1) | instskip(SKIP_2) | instid1(VALU_DEP_1)
	v_add_f32_e32 v36, v13, v7
	s_waitcnt_depctr 0xfff
	v_mul_f32_e32 v37, v36, v12
	v_dual_mul_f32 v38, v35, v37 :: v_dual_sub_f32 v13, v13, v36
	s_delay_alu instid0(VALU_DEP_1) | instskip(NEXT) | instid1(VALU_DEP_1)
	v_fma_f32 v34, v37, v35, -v38
	v_fmac_f32_e32 v34, v37, v33
	s_delay_alu instid0(VALU_DEP_3) | instskip(NEXT) | instid1(VALU_DEP_2)
	v_add_f32_e32 v7, v7, v13
	v_add_f32_e32 v39, v38, v34
	s_delay_alu instid0(VALU_DEP_1) | instskip(NEXT) | instid1(VALU_DEP_1)
	v_dual_sub_f32 v48, v36, v39 :: v_dual_sub_f32 v13, v39, v38
	v_dual_sub_f32 v36, v36, v48 :: v_dual_sub_f32 v13, v13, v34
	s_delay_alu instid0(VALU_DEP_1) | instskip(NEXT) | instid1(VALU_DEP_1)
	v_sub_f32_e32 v36, v36, v39
	v_add_f32_e32 v7, v7, v36
	s_delay_alu instid0(VALU_DEP_1) | instskip(NEXT) | instid1(VALU_DEP_1)
	v_add_f32_e32 v7, v13, v7
	v_add_f32_e32 v13, v48, v7
	s_delay_alu instid0(VALU_DEP_1) | instskip(NEXT) | instid1(VALU_DEP_1)
	v_mul_f32_e32 v34, v12, v13
	v_dual_sub_f32 v39, v48, v13 :: v_dual_mul_f32 v36, v35, v34
	s_delay_alu instid0(VALU_DEP_1) | instskip(NEXT) | instid1(VALU_DEP_2)
	v_add_f32_e32 v7, v7, v39
	v_fma_f32 v35, v34, v35, -v36
	s_delay_alu instid0(VALU_DEP_1) | instskip(NEXT) | instid1(VALU_DEP_1)
	v_fmac_f32_e32 v35, v34, v33
	v_add_f32_e32 v33, v36, v35
	s_delay_alu instid0(VALU_DEP_1) | instskip(SKIP_1) | instid1(VALU_DEP_2)
	v_sub_f32_e32 v38, v13, v33
	v_sub_f32_e32 v36, v33, v36
	;; [unrolled: 1-line block ×3, first 2 shown]
	s_delay_alu instid0(VALU_DEP_1) | instskip(NEXT) | instid1(VALU_DEP_3)
	v_sub_f32_e32 v13, v13, v33
	v_sub_f32_e32 v33, v36, v35
	s_delay_alu instid0(VALU_DEP_2) | instskip(SKIP_1) | instid1(VALU_DEP_2)
	v_add_f32_e32 v7, v7, v13
	v_add_f32_e32 v13, v37, v34
	;; [unrolled: 1-line block ×3, first 2 shown]
	s_delay_alu instid0(VALU_DEP_2) | instskip(NEXT) | instid1(VALU_DEP_2)
	v_sub_f32_e32 v33, v13, v37
	v_add_f32_e32 v7, v38, v7
	s_delay_alu instid0(VALU_DEP_2) | instskip(NEXT) | instid1(VALU_DEP_2)
	v_sub_f32_e32 v33, v34, v33
	v_mul_f32_e32 v7, v12, v7
	s_delay_alu instid0(VALU_DEP_1) | instskip(NEXT) | instid1(VALU_DEP_1)
	v_add_f32_e32 v7, v33, v7
	v_add_f32_e32 v12, v13, v7
	s_delay_alu instid0(VALU_DEP_1) | instskip(NEXT) | instid1(VALU_DEP_1)
	v_mul_f32_e32 v33, v12, v12
	v_fmaak_f32 v34, s2, v33, 0x3ecc95a3
	v_mul_f32_e32 v35, v12, v33
	v_cmp_gt_f32_e64 s2, 0x33800000, |v3|
	s_delay_alu instid0(VALU_DEP_3) | instskip(SKIP_2) | instid1(VALU_DEP_4)
	v_fmaak_f32 v33, v33, v34, 0x3f2aaada
	v_ldexp_f32 v34, v12, 1
	v_sub_f32_e32 v12, v12, v13
	s_or_b32 vcc_lo, vcc_lo, s2
	s_delay_alu instid0(VALU_DEP_3) | instskip(SKIP_1) | instid1(VALU_DEP_3)
	v_mul_f32_e32 v33, v35, v33
	v_mul_f32_e32 v35, 0x3f317218, v6
	v_sub_f32_e32 v7, v7, v12
	s_delay_alu instid0(VALU_DEP_3) | instskip(NEXT) | instid1(VALU_DEP_2)
	v_add_f32_e32 v13, v34, v33
	v_ldexp_f32 v7, v7, 1
	s_delay_alu instid0(VALU_DEP_2) | instskip(SKIP_1) | instid1(VALU_DEP_2)
	v_sub_f32_e32 v12, v13, v34
	v_fma_f32 v34, 0x3f317218, v6, -v35
	v_sub_f32_e32 v12, v33, v12
	s_delay_alu instid0(VALU_DEP_1) | instskip(NEXT) | instid1(VALU_DEP_1)
	v_dual_fmamk_f32 v6, v6, 0xb102e308, v34 :: v_dual_add_f32 v7, v7, v12
	v_dual_add_f32 v12, v35, v6 :: v_dual_add_f32 v33, v13, v7
	s_delay_alu instid0(VALU_DEP_1) | instskip(NEXT) | instid1(VALU_DEP_2)
	v_sub_f32_e32 v35, v12, v35
	v_add_f32_e32 v34, v12, v33
	s_delay_alu instid0(VALU_DEP_2) | instskip(NEXT) | instid1(VALU_DEP_1)
	v_dual_sub_f32 v13, v33, v13 :: v_dual_sub_f32 v6, v6, v35
	v_dual_sub_f32 v36, v34, v12 :: v_dual_sub_f32 v7, v7, v13
	s_delay_alu instid0(VALU_DEP_1) | instskip(SKIP_1) | instid1(VALU_DEP_2)
	v_sub_f32_e32 v37, v34, v36
	v_sub_f32_e32 v13, v33, v36
	v_dual_add_f32 v33, v6, v7 :: v_dual_sub_f32 v12, v12, v37
	s_delay_alu instid0(VALU_DEP_1) | instskip(NEXT) | instid1(VALU_DEP_2)
	v_add_f32_e32 v12, v13, v12
	v_sub_f32_e32 v13, v33, v6
	s_delay_alu instid0(VALU_DEP_2) | instskip(NEXT) | instid1(VALU_DEP_2)
	v_add_f32_e32 v12, v33, v12
	v_sub_f32_e32 v33, v33, v13
	v_sub_f32_e32 v7, v7, v13
	s_delay_alu instid0(VALU_DEP_3) | instskip(NEXT) | instid1(VALU_DEP_1)
	v_add_f32_e32 v35, v34, v12
	v_dual_sub_f32 v6, v6, v33 :: v_dual_sub_f32 v13, v35, v34
	s_delay_alu instid0(VALU_DEP_1) | instskip(NEXT) | instid1(VALU_DEP_1)
	v_dual_add_f32 v6, v7, v6 :: v_dual_sub_f32 v7, v12, v13
	v_add_f32_e32 v6, v6, v7
	s_delay_alu instid0(VALU_DEP_1) | instskip(NEXT) | instid1(VALU_DEP_1)
	v_add_f32_e32 v6, v35, v6
	v_cndmask_b32_e32 v3, v6, v3, vcc_lo
	s_delay_alu instid0(VALU_DEP_1)
	v_add_f32_e32 v3, v2, v3
.LBB521_348:
	s_or_b32 exec_lo, exec_lo, s1
	s_delay_alu instid0(VALU_DEP_1) | instskip(SKIP_1) | instid1(VALU_DEP_2)
	v_bfe_u32 v2, v3, 16, 1
	v_cmp_o_f32_e32 vcc_lo, v3, v3
	v_add3_u32 v2, v3, v2, 0x7fff
	s_delay_alu instid0(VALU_DEP_1) | instskip(NEXT) | instid1(VALU_DEP_1)
	v_lshrrev_b32_e32 v2, 16, v2
	v_cndmask_b32_e32 v82, 0x7fc0, v2, vcc_lo
	s_delay_alu instid0(VALU_DEP_1) | instskip(NEXT) | instid1(VALU_DEP_1)
	v_lshlrev_b32_e32 v3, 16, v82
	v_max_f32_e32 v2, v3, v3
	s_delay_alu instid0(VALU_DEP_1) | instskip(SKIP_2) | instid1(VALU_DEP_3)
	v_min_f32_e32 v6, v2, v83
	v_max_f32_e32 v2, v2, v83
	v_cmp_u_f32_e32 vcc_lo, v3, v3
	v_cndmask_b32_e32 v6, v6, v3, vcc_lo
	s_delay_alu instid0(VALU_DEP_3) | instskip(NEXT) | instid1(VALU_DEP_2)
	v_cndmask_b32_e32 v2, v2, v3, vcc_lo
	v_cndmask_b32_e64 v6, v6, v32, s18
	s_delay_alu instid0(VALU_DEP_2) | instskip(NEXT) | instid1(VALU_DEP_2)
	v_cndmask_b32_e64 v2, v2, v32, s18
	v_cmp_class_f32_e64 s1, v6, 0x1f8
	s_delay_alu instid0(VALU_DEP_2) | instskip(NEXT) | instid1(VALU_DEP_2)
	v_cmp_neq_f32_e32 vcc_lo, v6, v2
	s_or_b32 s2, vcc_lo, s1
	s_delay_alu instid0(SALU_CYCLE_1)
	s_and_saveexec_b32 s1, s2
	s_cbranch_execz .LBB521_350
; %bb.349:
	v_sub_f32_e32 v3, v6, v2
	s_mov_b32 s2, 0x3e9b6dac
	s_delay_alu instid0(VALU_DEP_1) | instskip(SKIP_1) | instid1(VALU_DEP_2)
	v_mul_f32_e32 v6, 0x3fb8aa3b, v3
	v_cmp_ngt_f32_e32 vcc_lo, 0xc2ce8ed0, v3
	v_fma_f32 v7, 0x3fb8aa3b, v3, -v6
	v_rndne_f32_e32 v12, v6
	s_delay_alu instid0(VALU_DEP_1) | instskip(NEXT) | instid1(VALU_DEP_1)
	v_dual_fmamk_f32 v7, v3, 0x32a5705f, v7 :: v_dual_sub_f32 v6, v6, v12
	v_add_f32_e32 v6, v6, v7
	v_cvt_i32_f32_e32 v7, v12
	s_delay_alu instid0(VALU_DEP_2) | instskip(SKIP_2) | instid1(VALU_DEP_1)
	v_exp_f32_e32 v6, v6
	s_waitcnt_depctr 0xfff
	v_ldexp_f32 v6, v6, v7
	v_cndmask_b32_e32 v6, 0, v6, vcc_lo
	v_cmp_nlt_f32_e32 vcc_lo, 0x42b17218, v3
	s_delay_alu instid0(VALU_DEP_2) | instskip(NEXT) | instid1(VALU_DEP_1)
	v_cndmask_b32_e32 v3, 0x7f800000, v6, vcc_lo
	v_add_f32_e32 v12, 1.0, v3
	s_delay_alu instid0(VALU_DEP_1) | instskip(NEXT) | instid1(VALU_DEP_1)
	v_cvt_f64_f32_e32 v[6:7], v12
	v_frexp_exp_i32_f64_e32 v6, v[6:7]
	v_frexp_mant_f32_e32 v7, v12
	s_delay_alu instid0(VALU_DEP_1) | instskip(SKIP_1) | instid1(VALU_DEP_1)
	v_cmp_gt_f32_e32 vcc_lo, 0x3f2aaaab, v7
	v_add_f32_e32 v7, -1.0, v12
	v_sub_f32_e32 v32, v7, v12
	s_delay_alu instid0(VALU_DEP_1) | instskip(NEXT) | instid1(VALU_DEP_1)
	v_dual_add_f32 v32, 1.0, v32 :: v_dual_sub_f32 v7, v3, v7
	v_add_f32_e32 v7, v7, v32
	v_subrev_co_ci_u32_e32 v6, vcc_lo, 0, v6, vcc_lo
	v_cmp_eq_f32_e32 vcc_lo, 0x7f800000, v3
	s_delay_alu instid0(VALU_DEP_2) | instskip(SKIP_1) | instid1(VALU_DEP_2)
	v_sub_nc_u32_e32 v13, 0, v6
	v_cvt_f32_i32_e32 v6, v6
	v_ldexp_f32 v12, v12, v13
	v_ldexp_f32 v7, v7, v13
	s_delay_alu instid0(VALU_DEP_2) | instskip(NEXT) | instid1(VALU_DEP_1)
	v_add_f32_e32 v33, 1.0, v12
	v_dual_add_f32 v13, -1.0, v12 :: v_dual_add_f32 v32, -1.0, v33
	s_delay_alu instid0(VALU_DEP_1) | instskip(NEXT) | instid1(VALU_DEP_2)
	v_add_f32_e32 v34, 1.0, v13
	v_sub_f32_e32 v32, v12, v32
	s_delay_alu instid0(VALU_DEP_2) | instskip(NEXT) | instid1(VALU_DEP_2)
	v_sub_f32_e32 v12, v12, v34
	v_add_f32_e32 v32, v7, v32
	s_delay_alu instid0(VALU_DEP_2) | instskip(NEXT) | instid1(VALU_DEP_1)
	v_add_f32_e32 v7, v7, v12
	v_add_f32_e32 v35, v13, v7
	s_delay_alu instid0(VALU_DEP_3) | instskip(NEXT) | instid1(VALU_DEP_2)
	v_add_f32_e32 v34, v33, v32
	v_sub_f32_e32 v13, v13, v35
	s_delay_alu instid0(VALU_DEP_2) | instskip(SKIP_1) | instid1(VALU_DEP_1)
	v_rcp_f32_e32 v12, v34
	v_sub_f32_e32 v33, v33, v34
	v_add_f32_e32 v32, v32, v33
	s_delay_alu instid0(VALU_DEP_3) | instskip(SKIP_2) | instid1(VALU_DEP_1)
	v_add_f32_e32 v7, v7, v13
	s_waitcnt_depctr 0xfff
	v_mul_f32_e32 v36, v35, v12
	v_mul_f32_e32 v37, v34, v36
	s_delay_alu instid0(VALU_DEP_1) | instskip(NEXT) | instid1(VALU_DEP_1)
	v_fma_f32 v33, v36, v34, -v37
	v_fmac_f32_e32 v33, v36, v32
	s_delay_alu instid0(VALU_DEP_1) | instskip(NEXT) | instid1(VALU_DEP_1)
	v_add_f32_e32 v38, v37, v33
	v_sub_f32_e32 v39, v35, v38
	s_delay_alu instid0(VALU_DEP_1) | instskip(NEXT) | instid1(VALU_DEP_1)
	v_sub_f32_e32 v35, v35, v39
	v_sub_f32_e32 v35, v35, v38
	s_delay_alu instid0(VALU_DEP_1) | instskip(SKIP_1) | instid1(VALU_DEP_1)
	v_add_f32_e32 v7, v7, v35
	v_sub_f32_e32 v13, v38, v37
	v_sub_f32_e32 v13, v13, v33
	s_delay_alu instid0(VALU_DEP_1) | instskip(NEXT) | instid1(VALU_DEP_1)
	v_add_f32_e32 v7, v13, v7
	v_add_f32_e32 v13, v39, v7
	s_delay_alu instid0(VALU_DEP_1) | instskip(SKIP_1) | instid1(VALU_DEP_2)
	v_mul_f32_e32 v33, v12, v13
	v_sub_f32_e32 v38, v39, v13
	v_mul_f32_e32 v35, v34, v33
	s_delay_alu instid0(VALU_DEP_2) | instskip(NEXT) | instid1(VALU_DEP_2)
	v_add_f32_e32 v7, v7, v38
	v_fma_f32 v34, v33, v34, -v35
	s_delay_alu instid0(VALU_DEP_1) | instskip(NEXT) | instid1(VALU_DEP_1)
	v_fmac_f32_e32 v34, v33, v32
	v_add_f32_e32 v32, v35, v34
	s_delay_alu instid0(VALU_DEP_1) | instskip(SKIP_1) | instid1(VALU_DEP_2)
	v_sub_f32_e32 v37, v13, v32
	v_sub_f32_e32 v35, v32, v35
	;; [unrolled: 1-line block ×3, first 2 shown]
	s_delay_alu instid0(VALU_DEP_1) | instskip(NEXT) | instid1(VALU_DEP_1)
	v_dual_sub_f32 v13, v13, v32 :: v_dual_sub_f32 v32, v35, v34
	v_add_f32_e32 v7, v7, v13
	v_add_f32_e32 v13, v36, v33
	s_delay_alu instid0(VALU_DEP_1) | instskip(NEXT) | instid1(VALU_DEP_1)
	v_dual_add_f32 v7, v32, v7 :: v_dual_sub_f32 v32, v13, v36
	v_add_f32_e32 v7, v37, v7
	s_delay_alu instid0(VALU_DEP_1) | instskip(NEXT) | instid1(VALU_DEP_1)
	v_dual_sub_f32 v32, v33, v32 :: v_dual_mul_f32 v7, v12, v7
	v_add_f32_e32 v7, v32, v7
	s_delay_alu instid0(VALU_DEP_1) | instskip(NEXT) | instid1(VALU_DEP_1)
	v_add_f32_e32 v12, v13, v7
	v_mul_f32_e32 v32, v12, v12
	s_delay_alu instid0(VALU_DEP_1) | instskip(SKIP_2) | instid1(VALU_DEP_3)
	v_fmaak_f32 v33, s2, v32, 0x3ecc95a3
	v_mul_f32_e32 v34, v12, v32
	v_cmp_gt_f32_e64 s2, 0x33800000, |v3|
	v_fmaak_f32 v32, v32, v33, 0x3f2aaada
	v_ldexp_f32 v33, v12, 1
	v_sub_f32_e32 v12, v12, v13
	s_delay_alu instid0(VALU_DEP_4) | instskip(NEXT) | instid1(VALU_DEP_3)
	s_or_b32 vcc_lo, vcc_lo, s2
	v_mul_f32_e32 v32, v34, v32
	s_delay_alu instid0(VALU_DEP_2) | instskip(NEXT) | instid1(VALU_DEP_2)
	v_dual_mul_f32 v34, 0x3f317218, v6 :: v_dual_sub_f32 v7, v7, v12
	v_add_f32_e32 v13, v33, v32
	s_delay_alu instid0(VALU_DEP_2) | instskip(NEXT) | instid1(VALU_DEP_2)
	v_ldexp_f32 v7, v7, 1
	v_sub_f32_e32 v12, v13, v33
	s_delay_alu instid0(VALU_DEP_4) | instskip(NEXT) | instid1(VALU_DEP_2)
	v_fma_f32 v33, 0x3f317218, v6, -v34
	v_sub_f32_e32 v12, v32, v12
	s_delay_alu instid0(VALU_DEP_1) | instskip(NEXT) | instid1(VALU_DEP_1)
	v_dual_fmamk_f32 v6, v6, 0xb102e308, v33 :: v_dual_add_f32 v7, v7, v12
	v_add_f32_e32 v12, v34, v6
	s_delay_alu instid0(VALU_DEP_2) | instskip(NEXT) | instid1(VALU_DEP_2)
	v_add_f32_e32 v32, v13, v7
	v_sub_f32_e32 v34, v12, v34
	s_delay_alu instid0(VALU_DEP_2) | instskip(NEXT) | instid1(VALU_DEP_2)
	v_add_f32_e32 v33, v12, v32
	v_dual_sub_f32 v13, v32, v13 :: v_dual_sub_f32 v6, v6, v34
	s_delay_alu instid0(VALU_DEP_2) | instskip(NEXT) | instid1(VALU_DEP_1)
	v_sub_f32_e32 v35, v33, v12
	v_dual_sub_f32 v36, v33, v35 :: v_dual_sub_f32 v7, v7, v13
	v_sub_f32_e32 v13, v32, v35
	s_delay_alu instid0(VALU_DEP_2) | instskip(NEXT) | instid1(VALU_DEP_3)
	v_sub_f32_e32 v12, v12, v36
	v_add_f32_e32 v32, v6, v7
	s_delay_alu instid0(VALU_DEP_1) | instskip(NEXT) | instid1(VALU_DEP_1)
	v_dual_add_f32 v12, v13, v12 :: v_dual_sub_f32 v13, v32, v6
	v_dual_add_f32 v12, v32, v12 :: v_dual_sub_f32 v7, v7, v13
	v_sub_f32_e32 v32, v32, v13
	s_delay_alu instid0(VALU_DEP_1) | instskip(NEXT) | instid1(VALU_DEP_1)
	v_sub_f32_e32 v6, v6, v32
	v_add_f32_e32 v6, v7, v6
	s_delay_alu instid0(VALU_DEP_4) | instskip(NEXT) | instid1(VALU_DEP_1)
	v_add_f32_e32 v34, v33, v12
	v_sub_f32_e32 v13, v34, v33
	s_delay_alu instid0(VALU_DEP_1) | instskip(NEXT) | instid1(VALU_DEP_1)
	v_sub_f32_e32 v7, v12, v13
	v_add_f32_e32 v6, v6, v7
	s_delay_alu instid0(VALU_DEP_1) | instskip(NEXT) | instid1(VALU_DEP_1)
	v_add_f32_e32 v6, v34, v6
	v_cndmask_b32_e32 v3, v6, v3, vcc_lo
	s_delay_alu instid0(VALU_DEP_1)
	v_add_f32_e32 v3, v2, v3
.LBB521_350:
	s_or_b32 exec_lo, exec_lo, s1
	s_delay_alu instid0(VALU_DEP_1) | instskip(SKIP_1) | instid1(VALU_DEP_2)
	v_bfe_u32 v2, v3, 16, 1
	v_cmp_o_f32_e32 vcc_lo, v3, v3
	v_add3_u32 v2, v3, v2, 0x7fff
	s_delay_alu instid0(VALU_DEP_1) | instskip(NEXT) | instid1(VALU_DEP_1)
	v_lshrrev_b32_e32 v2, 16, v2
	v_cndmask_b32_e32 v83, 0x7fc0, v2, vcc_lo
	s_delay_alu instid0(VALU_DEP_1) | instskip(NEXT) | instid1(VALU_DEP_1)
	v_lshlrev_b32_e32 v3, 16, v83
	v_max_f32_e32 v2, v3, v3
	s_delay_alu instid0(VALU_DEP_1) | instskip(SKIP_2) | instid1(VALU_DEP_3)
	v_min_f32_e32 v6, v2, v84
	v_max_f32_e32 v2, v2, v84
	v_cmp_u_f32_e32 vcc_lo, v3, v3
	v_cndmask_b32_e32 v6, v6, v3, vcc_lo
	s_delay_alu instid0(VALU_DEP_3) | instskip(NEXT) | instid1(VALU_DEP_2)
	v_cndmask_b32_e32 v2, v2, v3, vcc_lo
	v_cndmask_b32_e64 v6, v6, v31, s19
	s_delay_alu instid0(VALU_DEP_2) | instskip(NEXT) | instid1(VALU_DEP_2)
	v_cndmask_b32_e64 v2, v2, v31, s19
	v_cmp_class_f32_e64 s1, v6, 0x1f8
	s_delay_alu instid0(VALU_DEP_2) | instskip(NEXT) | instid1(VALU_DEP_2)
	v_cmp_neq_f32_e32 vcc_lo, v6, v2
	s_or_b32 s2, vcc_lo, s1
	s_delay_alu instid0(SALU_CYCLE_1)
	s_and_saveexec_b32 s1, s2
	s_cbranch_execz .LBB521_352
; %bb.351:
	v_sub_f32_e32 v3, v6, v2
	s_mov_b32 s2, 0x3e9b6dac
	s_delay_alu instid0(VALU_DEP_1) | instskip(SKIP_1) | instid1(VALU_DEP_2)
	v_mul_f32_e32 v6, 0x3fb8aa3b, v3
	v_cmp_ngt_f32_e32 vcc_lo, 0xc2ce8ed0, v3
	v_fma_f32 v7, 0x3fb8aa3b, v3, -v6
	v_rndne_f32_e32 v12, v6
	s_delay_alu instid0(VALU_DEP_1) | instskip(NEXT) | instid1(VALU_DEP_1)
	v_dual_fmamk_f32 v7, v3, 0x32a5705f, v7 :: v_dual_sub_f32 v6, v6, v12
	v_add_f32_e32 v6, v6, v7
	v_cvt_i32_f32_e32 v7, v12
	s_delay_alu instid0(VALU_DEP_2) | instskip(SKIP_2) | instid1(VALU_DEP_1)
	v_exp_f32_e32 v6, v6
	s_waitcnt_depctr 0xfff
	v_ldexp_f32 v6, v6, v7
	v_cndmask_b32_e32 v6, 0, v6, vcc_lo
	v_cmp_nlt_f32_e32 vcc_lo, 0x42b17218, v3
	s_delay_alu instid0(VALU_DEP_2) | instskip(NEXT) | instid1(VALU_DEP_1)
	v_cndmask_b32_e32 v3, 0x7f800000, v6, vcc_lo
	v_add_f32_e32 v12, 1.0, v3
	s_delay_alu instid0(VALU_DEP_1) | instskip(NEXT) | instid1(VALU_DEP_1)
	v_cvt_f64_f32_e32 v[6:7], v12
	v_frexp_exp_i32_f64_e32 v6, v[6:7]
	v_frexp_mant_f32_e32 v7, v12
	s_delay_alu instid0(VALU_DEP_1) | instskip(SKIP_1) | instid1(VALU_DEP_1)
	v_cmp_gt_f32_e32 vcc_lo, 0x3f2aaaab, v7
	v_add_f32_e32 v7, -1.0, v12
	v_sub_f32_e32 v31, v7, v12
	v_sub_f32_e32 v7, v3, v7
	v_subrev_co_ci_u32_e32 v6, vcc_lo, 0, v6, vcc_lo
	s_delay_alu instid0(VALU_DEP_1) | instskip(SKIP_1) | instid1(VALU_DEP_2)
	v_sub_nc_u32_e32 v13, 0, v6
	v_cvt_f32_i32_e32 v6, v6
	v_ldexp_f32 v12, v12, v13
	s_delay_alu instid0(VALU_DEP_1) | instskip(NEXT) | instid1(VALU_DEP_1)
	v_dual_add_f32 v32, 1.0, v12 :: v_dual_add_f32 v31, 1.0, v31
	v_add_f32_e32 v7, v7, v31
	s_delay_alu instid0(VALU_DEP_2) | instskip(NEXT) | instid1(VALU_DEP_2)
	v_add_f32_e32 v31, -1.0, v32
	v_ldexp_f32 v7, v7, v13
	v_add_f32_e32 v13, -1.0, v12
	s_delay_alu instid0(VALU_DEP_3) | instskip(NEXT) | instid1(VALU_DEP_2)
	v_sub_f32_e32 v31, v12, v31
	v_add_f32_e32 v33, 1.0, v13
	s_delay_alu instid0(VALU_DEP_1) | instskip(NEXT) | instid1(VALU_DEP_1)
	v_dual_add_f32 v31, v7, v31 :: v_dual_sub_f32 v12, v12, v33
	v_add_f32_e32 v33, v32, v31
	v_cmp_eq_f32_e32 vcc_lo, 0x7f800000, v3
	s_delay_alu instid0(VALU_DEP_3) | instskip(NEXT) | instid1(VALU_DEP_3)
	v_add_f32_e32 v7, v7, v12
	v_rcp_f32_e32 v12, v33
	v_sub_f32_e32 v32, v32, v33
	s_delay_alu instid0(VALU_DEP_1) | instskip(SKIP_2) | instid1(VALU_DEP_1)
	v_dual_add_f32 v34, v13, v7 :: v_dual_add_f32 v31, v31, v32
	s_waitcnt_depctr 0xfff
	v_mul_f32_e32 v35, v34, v12
	v_mul_f32_e32 v36, v33, v35
	v_sub_f32_e32 v13, v13, v34
	s_delay_alu instid0(VALU_DEP_2) | instskip(NEXT) | instid1(VALU_DEP_2)
	v_fma_f32 v32, v35, v33, -v36
	v_add_f32_e32 v7, v7, v13
	s_delay_alu instid0(VALU_DEP_2) | instskip(NEXT) | instid1(VALU_DEP_1)
	v_fmac_f32_e32 v32, v35, v31
	v_add_f32_e32 v37, v36, v32
	s_delay_alu instid0(VALU_DEP_1) | instskip(NEXT) | instid1(VALU_DEP_1)
	v_dual_sub_f32 v38, v34, v37 :: v_dual_sub_f32 v13, v37, v36
	v_dual_sub_f32 v34, v34, v38 :: v_dual_sub_f32 v13, v13, v32
	s_delay_alu instid0(VALU_DEP_1) | instskip(NEXT) | instid1(VALU_DEP_1)
	v_sub_f32_e32 v34, v34, v37
	v_add_f32_e32 v7, v7, v34
	s_delay_alu instid0(VALU_DEP_1) | instskip(NEXT) | instid1(VALU_DEP_1)
	v_add_f32_e32 v7, v13, v7
	v_add_f32_e32 v13, v38, v7
	s_delay_alu instid0(VALU_DEP_1) | instskip(NEXT) | instid1(VALU_DEP_1)
	v_mul_f32_e32 v32, v12, v13
	v_dual_sub_f32 v37, v38, v13 :: v_dual_mul_f32 v34, v33, v32
	s_delay_alu instid0(VALU_DEP_1) | instskip(NEXT) | instid1(VALU_DEP_2)
	v_add_f32_e32 v7, v7, v37
	v_fma_f32 v33, v32, v33, -v34
	s_delay_alu instid0(VALU_DEP_1) | instskip(NEXT) | instid1(VALU_DEP_1)
	v_fmac_f32_e32 v33, v32, v31
	v_add_f32_e32 v31, v34, v33
	s_delay_alu instid0(VALU_DEP_1) | instskip(NEXT) | instid1(VALU_DEP_1)
	v_sub_f32_e32 v36, v13, v31
	v_dual_sub_f32 v34, v31, v34 :: v_dual_sub_f32 v13, v13, v36
	s_delay_alu instid0(VALU_DEP_1) | instskip(NEXT) | instid1(VALU_DEP_2)
	v_sub_f32_e32 v13, v13, v31
	v_sub_f32_e32 v31, v34, v33
	s_delay_alu instid0(VALU_DEP_2) | instskip(SKIP_1) | instid1(VALU_DEP_2)
	v_add_f32_e32 v7, v7, v13
	v_add_f32_e32 v13, v35, v32
	;; [unrolled: 1-line block ×3, first 2 shown]
	s_delay_alu instid0(VALU_DEP_2) | instskip(NEXT) | instid1(VALU_DEP_2)
	v_sub_f32_e32 v31, v13, v35
	v_add_f32_e32 v7, v36, v7
	s_delay_alu instid0(VALU_DEP_2) | instskip(NEXT) | instid1(VALU_DEP_2)
	v_sub_f32_e32 v31, v32, v31
	v_mul_f32_e32 v7, v12, v7
	s_delay_alu instid0(VALU_DEP_1) | instskip(NEXT) | instid1(VALU_DEP_1)
	v_add_f32_e32 v7, v31, v7
	v_add_f32_e32 v12, v13, v7
	s_delay_alu instid0(VALU_DEP_1) | instskip(NEXT) | instid1(VALU_DEP_1)
	v_mul_f32_e32 v31, v12, v12
	v_fmaak_f32 v32, s2, v31, 0x3ecc95a3
	v_mul_f32_e32 v33, v12, v31
	v_cmp_gt_f32_e64 s2, 0x33800000, |v3|
	s_delay_alu instid0(VALU_DEP_3) | instskip(SKIP_2) | instid1(VALU_DEP_4)
	v_fmaak_f32 v31, v31, v32, 0x3f2aaada
	v_ldexp_f32 v32, v12, 1
	v_sub_f32_e32 v12, v12, v13
	s_or_b32 vcc_lo, vcc_lo, s2
	s_delay_alu instid0(VALU_DEP_3) | instskip(SKIP_1) | instid1(VALU_DEP_3)
	v_mul_f32_e32 v31, v33, v31
	v_mul_f32_e32 v33, 0x3f317218, v6
	v_sub_f32_e32 v7, v7, v12
	s_delay_alu instid0(VALU_DEP_3) | instskip(NEXT) | instid1(VALU_DEP_2)
	v_add_f32_e32 v13, v32, v31
	v_ldexp_f32 v7, v7, 1
	s_delay_alu instid0(VALU_DEP_2) | instskip(SKIP_1) | instid1(VALU_DEP_2)
	v_sub_f32_e32 v12, v13, v32
	v_fma_f32 v32, 0x3f317218, v6, -v33
	v_sub_f32_e32 v12, v31, v12
	s_delay_alu instid0(VALU_DEP_1) | instskip(NEXT) | instid1(VALU_DEP_1)
	v_dual_fmamk_f32 v6, v6, 0xb102e308, v32 :: v_dual_add_f32 v7, v7, v12
	v_add_f32_e32 v12, v33, v6
	s_delay_alu instid0(VALU_DEP_2) | instskip(NEXT) | instid1(VALU_DEP_2)
	v_add_f32_e32 v31, v13, v7
	v_sub_f32_e32 v33, v12, v33
	s_delay_alu instid0(VALU_DEP_2) | instskip(NEXT) | instid1(VALU_DEP_2)
	v_dual_add_f32 v32, v12, v31 :: v_dual_sub_f32 v13, v31, v13
	v_sub_f32_e32 v6, v6, v33
	s_delay_alu instid0(VALU_DEP_2) | instskip(NEXT) | instid1(VALU_DEP_1)
	v_dual_sub_f32 v34, v32, v12 :: v_dual_sub_f32 v7, v7, v13
	v_sub_f32_e32 v35, v32, v34
	v_sub_f32_e32 v13, v31, v34
	s_delay_alu instid0(VALU_DEP_3) | instskip(NEXT) | instid1(VALU_DEP_3)
	v_add_f32_e32 v31, v6, v7
	v_sub_f32_e32 v12, v12, v35
	s_delay_alu instid0(VALU_DEP_1) | instskip(NEXT) | instid1(VALU_DEP_1)
	v_dual_add_f32 v12, v13, v12 :: v_dual_sub_f32 v13, v31, v6
	v_add_f32_e32 v12, v31, v12
	s_delay_alu instid0(VALU_DEP_2) | instskip(SKIP_1) | instid1(VALU_DEP_2)
	v_sub_f32_e32 v31, v31, v13
	v_sub_f32_e32 v7, v7, v13
	v_dual_add_f32 v33, v32, v12 :: v_dual_sub_f32 v6, v6, v31
	s_delay_alu instid0(VALU_DEP_1) | instskip(NEXT) | instid1(VALU_DEP_1)
	v_dual_sub_f32 v13, v33, v32 :: v_dual_add_f32 v6, v7, v6
	v_sub_f32_e32 v7, v12, v13
	s_delay_alu instid0(VALU_DEP_1) | instskip(NEXT) | instid1(VALU_DEP_1)
	v_add_f32_e32 v6, v6, v7
	v_add_f32_e32 v6, v33, v6
	s_delay_alu instid0(VALU_DEP_1) | instskip(NEXT) | instid1(VALU_DEP_1)
	v_cndmask_b32_e32 v3, v6, v3, vcc_lo
	v_add_f32_e32 v3, v2, v3
.LBB521_352:
	s_or_b32 exec_lo, exec_lo, s1
	s_delay_alu instid0(VALU_DEP_1) | instskip(SKIP_1) | instid1(VALU_DEP_2)
	v_bfe_u32 v2, v3, 16, 1
	v_cmp_o_f32_e32 vcc_lo, v3, v3
	v_add3_u32 v2, v3, v2, 0x7fff
	s_delay_alu instid0(VALU_DEP_1) | instskip(NEXT) | instid1(VALU_DEP_1)
	v_lshrrev_b32_e32 v2, 16, v2
	v_cndmask_b32_e32 v84, 0x7fc0, v2, vcc_lo
	s_delay_alu instid0(VALU_DEP_1) | instskip(NEXT) | instid1(VALU_DEP_1)
	v_lshlrev_b32_e32 v3, 16, v84
	v_max_f32_e32 v2, v3, v3
	s_delay_alu instid0(VALU_DEP_1) | instskip(SKIP_2) | instid1(VALU_DEP_3)
	v_min_f32_e32 v6, v2, v85
	v_max_f32_e32 v2, v2, v85
	v_cmp_u_f32_e32 vcc_lo, v3, v3
	v_cndmask_b32_e32 v6, v6, v3, vcc_lo
	s_delay_alu instid0(VALU_DEP_3) | instskip(NEXT) | instid1(VALU_DEP_2)
	v_cndmask_b32_e32 v2, v2, v3, vcc_lo
	v_cndmask_b32_e64 v6, v6, v30, s20
	s_delay_alu instid0(VALU_DEP_2) | instskip(NEXT) | instid1(VALU_DEP_2)
	v_cndmask_b32_e64 v2, v2, v30, s20
	v_cmp_class_f32_e64 s1, v6, 0x1f8
	s_delay_alu instid0(VALU_DEP_2) | instskip(NEXT) | instid1(VALU_DEP_2)
	v_cmp_neq_f32_e32 vcc_lo, v6, v2
	s_or_b32 s2, vcc_lo, s1
	s_delay_alu instid0(SALU_CYCLE_1)
	s_and_saveexec_b32 s1, s2
	s_cbranch_execz .LBB521_354
; %bb.353:
	v_sub_f32_e32 v3, v6, v2
	s_mov_b32 s2, 0x3e9b6dac
	s_delay_alu instid0(VALU_DEP_1) | instskip(SKIP_1) | instid1(VALU_DEP_2)
	v_mul_f32_e32 v6, 0x3fb8aa3b, v3
	v_cmp_ngt_f32_e32 vcc_lo, 0xc2ce8ed0, v3
	v_fma_f32 v7, 0x3fb8aa3b, v3, -v6
	v_rndne_f32_e32 v12, v6
	s_delay_alu instid0(VALU_DEP_1) | instskip(NEXT) | instid1(VALU_DEP_1)
	v_dual_fmamk_f32 v7, v3, 0x32a5705f, v7 :: v_dual_sub_f32 v6, v6, v12
	v_add_f32_e32 v6, v6, v7
	v_cvt_i32_f32_e32 v7, v12
	s_delay_alu instid0(VALU_DEP_2) | instskip(SKIP_2) | instid1(VALU_DEP_1)
	v_exp_f32_e32 v6, v6
	s_waitcnt_depctr 0xfff
	v_ldexp_f32 v6, v6, v7
	v_cndmask_b32_e32 v6, 0, v6, vcc_lo
	v_cmp_nlt_f32_e32 vcc_lo, 0x42b17218, v3
	s_delay_alu instid0(VALU_DEP_2) | instskip(NEXT) | instid1(VALU_DEP_1)
	v_cndmask_b32_e32 v3, 0x7f800000, v6, vcc_lo
	v_add_f32_e32 v12, 1.0, v3
	s_delay_alu instid0(VALU_DEP_1) | instskip(NEXT) | instid1(VALU_DEP_1)
	v_cvt_f64_f32_e32 v[6:7], v12
	v_frexp_exp_i32_f64_e32 v6, v[6:7]
	v_frexp_mant_f32_e32 v7, v12
	s_delay_alu instid0(VALU_DEP_1) | instskip(SKIP_1) | instid1(VALU_DEP_1)
	v_cmp_gt_f32_e32 vcc_lo, 0x3f2aaaab, v7
	v_add_f32_e32 v7, -1.0, v12
	v_sub_f32_e32 v30, v7, v12
	s_delay_alu instid0(VALU_DEP_1) | instskip(NEXT) | instid1(VALU_DEP_1)
	v_dual_sub_f32 v7, v3, v7 :: v_dual_add_f32 v30, 1.0, v30
	v_add_f32_e32 v7, v7, v30
	v_subrev_co_ci_u32_e32 v6, vcc_lo, 0, v6, vcc_lo
	s_delay_alu instid0(VALU_DEP_1) | instskip(SKIP_1) | instid1(VALU_DEP_2)
	v_sub_nc_u32_e32 v13, 0, v6
	v_cvt_f32_i32_e32 v6, v6
	v_ldexp_f32 v12, v12, v13
	v_ldexp_f32 v7, v7, v13
	s_delay_alu instid0(VALU_DEP_2) | instskip(NEXT) | instid1(VALU_DEP_1)
	v_add_f32_e32 v13, -1.0, v12
	v_dual_add_f32 v31, 1.0, v12 :: v_dual_add_f32 v32, 1.0, v13
	s_delay_alu instid0(VALU_DEP_1) | instskip(SKIP_1) | instid1(VALU_DEP_2)
	v_add_f32_e32 v30, -1.0, v31
	v_cmp_eq_f32_e32 vcc_lo, 0x7f800000, v3
	v_sub_f32_e32 v30, v12, v30
	s_delay_alu instid0(VALU_DEP_4) | instskip(NEXT) | instid1(VALU_DEP_2)
	v_sub_f32_e32 v12, v12, v32
	v_add_f32_e32 v30, v7, v30
	s_delay_alu instid0(VALU_DEP_2) | instskip(NEXT) | instid1(VALU_DEP_1)
	v_add_f32_e32 v7, v7, v12
	v_dual_add_f32 v33, v13, v7 :: v_dual_add_f32 v32, v31, v30
	s_delay_alu instid0(VALU_DEP_1) | instskip(NEXT) | instid1(VALU_DEP_2)
	v_sub_f32_e32 v13, v13, v33
	v_rcp_f32_e32 v12, v32
	v_sub_f32_e32 v31, v31, v32
	s_delay_alu instid0(VALU_DEP_1) | instskip(SKIP_2) | instid1(VALU_DEP_1)
	v_dual_add_f32 v7, v7, v13 :: v_dual_add_f32 v30, v30, v31
	s_waitcnt_depctr 0xfff
	v_mul_f32_e32 v34, v33, v12
	v_mul_f32_e32 v35, v32, v34
	s_delay_alu instid0(VALU_DEP_1) | instskip(NEXT) | instid1(VALU_DEP_1)
	v_fma_f32 v31, v34, v32, -v35
	v_fmac_f32_e32 v31, v34, v30
	s_delay_alu instid0(VALU_DEP_1) | instskip(NEXT) | instid1(VALU_DEP_1)
	v_add_f32_e32 v36, v35, v31
	v_sub_f32_e32 v37, v33, v36
	s_delay_alu instid0(VALU_DEP_1) | instskip(SKIP_1) | instid1(VALU_DEP_2)
	v_sub_f32_e32 v33, v33, v37
	v_sub_f32_e32 v13, v36, v35
	;; [unrolled: 1-line block ×3, first 2 shown]
	s_delay_alu instid0(VALU_DEP_2) | instskip(NEXT) | instid1(VALU_DEP_2)
	v_sub_f32_e32 v13, v13, v31
	v_add_f32_e32 v7, v7, v33
	s_delay_alu instid0(VALU_DEP_1) | instskip(NEXT) | instid1(VALU_DEP_1)
	v_add_f32_e32 v7, v13, v7
	v_add_f32_e32 v13, v37, v7
	s_delay_alu instid0(VALU_DEP_1) | instskip(NEXT) | instid1(VALU_DEP_1)
	v_mul_f32_e32 v31, v12, v13
	v_dual_sub_f32 v36, v37, v13 :: v_dual_mul_f32 v33, v32, v31
	s_delay_alu instid0(VALU_DEP_1) | instskip(NEXT) | instid1(VALU_DEP_2)
	v_add_f32_e32 v7, v7, v36
	v_fma_f32 v32, v31, v32, -v33
	s_delay_alu instid0(VALU_DEP_1) | instskip(NEXT) | instid1(VALU_DEP_1)
	v_fmac_f32_e32 v32, v31, v30
	v_add_f32_e32 v30, v33, v32
	s_delay_alu instid0(VALU_DEP_1) | instskip(SKIP_1) | instid1(VALU_DEP_2)
	v_sub_f32_e32 v35, v13, v30
	v_sub_f32_e32 v33, v30, v33
	v_sub_f32_e32 v13, v13, v35
	s_delay_alu instid0(VALU_DEP_1) | instskip(NEXT) | instid1(VALU_DEP_1)
	v_sub_f32_e32 v13, v13, v30
	v_dual_sub_f32 v30, v33, v32 :: v_dual_add_f32 v7, v7, v13
	v_add_f32_e32 v13, v34, v31
	s_delay_alu instid0(VALU_DEP_1) | instskip(NEXT) | instid1(VALU_DEP_1)
	v_dual_add_f32 v7, v30, v7 :: v_dual_sub_f32 v30, v13, v34
	v_add_f32_e32 v7, v35, v7
	s_delay_alu instid0(VALU_DEP_1) | instskip(NEXT) | instid1(VALU_DEP_1)
	v_dual_sub_f32 v30, v31, v30 :: v_dual_mul_f32 v7, v12, v7
	v_add_f32_e32 v7, v30, v7
	s_delay_alu instid0(VALU_DEP_1) | instskip(NEXT) | instid1(VALU_DEP_1)
	v_add_f32_e32 v12, v13, v7
	v_mul_f32_e32 v30, v12, v12
	s_delay_alu instid0(VALU_DEP_1) | instskip(SKIP_2) | instid1(VALU_DEP_3)
	v_fmaak_f32 v31, s2, v30, 0x3ecc95a3
	v_mul_f32_e32 v32, v12, v30
	v_cmp_gt_f32_e64 s2, 0x33800000, |v3|
	v_fmaak_f32 v30, v30, v31, 0x3f2aaada
	v_ldexp_f32 v31, v12, 1
	v_sub_f32_e32 v12, v12, v13
	s_delay_alu instid0(VALU_DEP_4) | instskip(NEXT) | instid1(VALU_DEP_3)
	s_or_b32 vcc_lo, vcc_lo, s2
	v_mul_f32_e32 v30, v32, v30
	s_delay_alu instid0(VALU_DEP_2) | instskip(NEXT) | instid1(VALU_DEP_2)
	v_dual_mul_f32 v32, 0x3f317218, v6 :: v_dual_sub_f32 v7, v7, v12
	v_add_f32_e32 v13, v31, v30
	s_delay_alu instid0(VALU_DEP_2) | instskip(NEXT) | instid1(VALU_DEP_2)
	v_ldexp_f32 v7, v7, 1
	v_sub_f32_e32 v12, v13, v31
	s_delay_alu instid0(VALU_DEP_4) | instskip(NEXT) | instid1(VALU_DEP_2)
	v_fma_f32 v31, 0x3f317218, v6, -v32
	v_sub_f32_e32 v12, v30, v12
	s_delay_alu instid0(VALU_DEP_1) | instskip(NEXT) | instid1(VALU_DEP_1)
	v_dual_fmamk_f32 v6, v6, 0xb102e308, v31 :: v_dual_add_f32 v7, v7, v12
	v_add_f32_e32 v12, v32, v6
	s_delay_alu instid0(VALU_DEP_1) | instskip(NEXT) | instid1(VALU_DEP_1)
	v_sub_f32_e32 v32, v12, v32
	v_sub_f32_e32 v6, v6, v32
	s_delay_alu instid0(VALU_DEP_4) | instskip(NEXT) | instid1(VALU_DEP_1)
	v_add_f32_e32 v30, v13, v7
	v_sub_f32_e32 v13, v30, v13
	s_delay_alu instid0(VALU_DEP_1) | instskip(SKIP_1) | instid1(VALU_DEP_1)
	v_sub_f32_e32 v7, v7, v13
	v_add_f32_e32 v31, v12, v30
	v_sub_f32_e32 v33, v31, v12
	s_delay_alu instid0(VALU_DEP_1) | instskip(NEXT) | instid1(VALU_DEP_4)
	v_sub_f32_e32 v13, v30, v33
	v_add_f32_e32 v30, v6, v7
	v_sub_f32_e32 v34, v31, v33
	s_delay_alu instid0(VALU_DEP_1) | instskip(NEXT) | instid1(VALU_DEP_1)
	v_sub_f32_e32 v12, v12, v34
	v_dual_add_f32 v12, v13, v12 :: v_dual_sub_f32 v13, v30, v6
	s_delay_alu instid0(VALU_DEP_1) | instskip(SKIP_1) | instid1(VALU_DEP_2)
	v_dual_add_f32 v12, v30, v12 :: v_dual_sub_f32 v7, v7, v13
	v_sub_f32_e32 v30, v30, v13
	v_add_f32_e32 v32, v31, v12
	s_delay_alu instid0(VALU_DEP_1) | instskip(NEXT) | instid1(VALU_DEP_1)
	v_dual_sub_f32 v6, v6, v30 :: v_dual_sub_f32 v13, v32, v31
	v_dual_add_f32 v6, v7, v6 :: v_dual_sub_f32 v7, v12, v13
	s_delay_alu instid0(VALU_DEP_1) | instskip(NEXT) | instid1(VALU_DEP_1)
	v_add_f32_e32 v6, v6, v7
	v_add_f32_e32 v6, v32, v6
	s_delay_alu instid0(VALU_DEP_1) | instskip(NEXT) | instid1(VALU_DEP_1)
	v_cndmask_b32_e32 v3, v6, v3, vcc_lo
	v_add_f32_e32 v3, v2, v3
.LBB521_354:
	s_or_b32 exec_lo, exec_lo, s1
	s_delay_alu instid0(VALU_DEP_1) | instskip(SKIP_1) | instid1(VALU_DEP_2)
	v_bfe_u32 v2, v3, 16, 1
	v_cmp_o_f32_e32 vcc_lo, v3, v3
	v_add3_u32 v2, v3, v2, 0x7fff
	s_delay_alu instid0(VALU_DEP_1) | instskip(NEXT) | instid1(VALU_DEP_1)
	v_lshrrev_b32_e32 v2, 16, v2
	v_cndmask_b32_e32 v85, 0x7fc0, v2, vcc_lo
	s_delay_alu instid0(VALU_DEP_1) | instskip(NEXT) | instid1(VALU_DEP_1)
	v_lshlrev_b32_e32 v3, 16, v85
	v_max_f32_e32 v2, v3, v3
	s_delay_alu instid0(VALU_DEP_1) | instskip(SKIP_2) | instid1(VALU_DEP_3)
	v_min_f32_e32 v6, v2, v86
	v_max_f32_e32 v2, v2, v86
	v_cmp_u_f32_e32 vcc_lo, v3, v3
	v_cndmask_b32_e32 v6, v6, v3, vcc_lo
	s_delay_alu instid0(VALU_DEP_3) | instskip(NEXT) | instid1(VALU_DEP_2)
	v_cndmask_b32_e32 v2, v2, v3, vcc_lo
	v_cndmask_b32_e64 v6, v6, v29, s21
	s_delay_alu instid0(VALU_DEP_2) | instskip(NEXT) | instid1(VALU_DEP_2)
	v_cndmask_b32_e64 v2, v2, v29, s21
	v_cmp_class_f32_e64 s1, v6, 0x1f8
	s_delay_alu instid0(VALU_DEP_2) | instskip(NEXT) | instid1(VALU_DEP_2)
	v_cmp_neq_f32_e32 vcc_lo, v6, v2
	s_or_b32 s2, vcc_lo, s1
	s_delay_alu instid0(SALU_CYCLE_1)
	s_and_saveexec_b32 s1, s2
	s_cbranch_execz .LBB521_356
; %bb.355:
	v_sub_f32_e32 v3, v6, v2
	s_mov_b32 s2, 0x3e9b6dac
	s_delay_alu instid0(VALU_DEP_1) | instskip(SKIP_1) | instid1(VALU_DEP_2)
	v_mul_f32_e32 v6, 0x3fb8aa3b, v3
	v_cmp_ngt_f32_e32 vcc_lo, 0xc2ce8ed0, v3
	v_fma_f32 v7, 0x3fb8aa3b, v3, -v6
	v_rndne_f32_e32 v12, v6
	s_delay_alu instid0(VALU_DEP_1) | instskip(NEXT) | instid1(VALU_DEP_1)
	v_dual_fmamk_f32 v7, v3, 0x32a5705f, v7 :: v_dual_sub_f32 v6, v6, v12
	v_add_f32_e32 v6, v6, v7
	v_cvt_i32_f32_e32 v7, v12
	s_delay_alu instid0(VALU_DEP_2) | instskip(SKIP_2) | instid1(VALU_DEP_1)
	v_exp_f32_e32 v6, v6
	s_waitcnt_depctr 0xfff
	v_ldexp_f32 v6, v6, v7
	v_cndmask_b32_e32 v6, 0, v6, vcc_lo
	v_cmp_nlt_f32_e32 vcc_lo, 0x42b17218, v3
	s_delay_alu instid0(VALU_DEP_2) | instskip(NEXT) | instid1(VALU_DEP_1)
	v_cndmask_b32_e32 v3, 0x7f800000, v6, vcc_lo
	v_add_f32_e32 v12, 1.0, v3
	s_delay_alu instid0(VALU_DEP_1) | instskip(NEXT) | instid1(VALU_DEP_1)
	v_cvt_f64_f32_e32 v[6:7], v12
	v_frexp_exp_i32_f64_e32 v6, v[6:7]
	v_frexp_mant_f32_e32 v7, v12
	s_delay_alu instid0(VALU_DEP_1) | instskip(SKIP_1) | instid1(VALU_DEP_1)
	v_cmp_gt_f32_e32 vcc_lo, 0x3f2aaaab, v7
	v_add_f32_e32 v7, -1.0, v12
	v_sub_f32_e32 v29, v7, v12
	v_sub_f32_e32 v7, v3, v7
	s_delay_alu instid0(VALU_DEP_2) | instskip(SKIP_1) | instid1(VALU_DEP_1)
	v_add_f32_e32 v29, 1.0, v29
	v_subrev_co_ci_u32_e32 v6, vcc_lo, 0, v6, vcc_lo
	v_sub_nc_u32_e32 v13, 0, v6
	v_cvt_f32_i32_e32 v6, v6
	s_delay_alu instid0(VALU_DEP_2) | instskip(NEXT) | instid1(VALU_DEP_1)
	v_ldexp_f32 v12, v12, v13
	v_dual_add_f32 v30, 1.0, v12 :: v_dual_add_f32 v7, v7, v29
	s_delay_alu instid0(VALU_DEP_1) | instskip(SKIP_1) | instid1(VALU_DEP_3)
	v_ldexp_f32 v7, v7, v13
	v_add_f32_e32 v13, -1.0, v12
	v_add_f32_e32 v29, -1.0, v30
	s_delay_alu instid0(VALU_DEP_2) | instskip(NEXT) | instid1(VALU_DEP_2)
	v_add_f32_e32 v31, 1.0, v13
	v_sub_f32_e32 v29, v12, v29
	s_delay_alu instid0(VALU_DEP_1) | instskip(SKIP_1) | instid1(VALU_DEP_2)
	v_dual_sub_f32 v12, v12, v31 :: v_dual_add_f32 v29, v7, v29
	v_cmp_eq_f32_e32 vcc_lo, 0x7f800000, v3
	v_add_f32_e32 v31, v30, v29
	s_delay_alu instid0(VALU_DEP_1) | instskip(NEXT) | instid1(VALU_DEP_1)
	v_sub_f32_e32 v30, v30, v31
	v_add_f32_e32 v29, v29, v30
	v_add_f32_e32 v7, v7, v12
	v_rcp_f32_e32 v12, v31
	s_delay_alu instid0(VALU_DEP_1) | instskip(SKIP_2) | instid1(VALU_DEP_1)
	v_add_f32_e32 v32, v13, v7
	s_waitcnt_depctr 0xfff
	v_mul_f32_e32 v33, v32, v12
	v_dual_mul_f32 v34, v31, v33 :: v_dual_sub_f32 v13, v13, v32
	s_delay_alu instid0(VALU_DEP_1) | instskip(NEXT) | instid1(VALU_DEP_1)
	v_fma_f32 v30, v33, v31, -v34
	v_fmac_f32_e32 v30, v33, v29
	s_delay_alu instid0(VALU_DEP_3) | instskip(NEXT) | instid1(VALU_DEP_2)
	v_add_f32_e32 v7, v7, v13
	v_add_f32_e32 v35, v34, v30
	s_delay_alu instid0(VALU_DEP_1) | instskip(NEXT) | instid1(VALU_DEP_1)
	v_dual_sub_f32 v36, v32, v35 :: v_dual_sub_f32 v13, v35, v34
	v_dual_sub_f32 v32, v32, v36 :: v_dual_sub_f32 v13, v13, v30
	s_delay_alu instid0(VALU_DEP_1) | instskip(NEXT) | instid1(VALU_DEP_1)
	v_sub_f32_e32 v32, v32, v35
	v_add_f32_e32 v7, v7, v32
	s_delay_alu instid0(VALU_DEP_1) | instskip(NEXT) | instid1(VALU_DEP_1)
	v_add_f32_e32 v7, v13, v7
	v_add_f32_e32 v13, v36, v7
	s_delay_alu instid0(VALU_DEP_1) | instskip(NEXT) | instid1(VALU_DEP_1)
	v_mul_f32_e32 v30, v12, v13
	v_dual_sub_f32 v35, v36, v13 :: v_dual_mul_f32 v32, v31, v30
	s_delay_alu instid0(VALU_DEP_1) | instskip(NEXT) | instid1(VALU_DEP_2)
	v_add_f32_e32 v7, v7, v35
	v_fma_f32 v31, v30, v31, -v32
	s_delay_alu instid0(VALU_DEP_1) | instskip(NEXT) | instid1(VALU_DEP_1)
	v_fmac_f32_e32 v31, v30, v29
	v_add_f32_e32 v29, v32, v31
	s_delay_alu instid0(VALU_DEP_1) | instskip(SKIP_1) | instid1(VALU_DEP_2)
	v_sub_f32_e32 v34, v13, v29
	v_sub_f32_e32 v32, v29, v32
	;; [unrolled: 1-line block ×3, first 2 shown]
	s_delay_alu instid0(VALU_DEP_1) | instskip(NEXT) | instid1(VALU_DEP_3)
	v_sub_f32_e32 v13, v13, v29
	v_sub_f32_e32 v29, v32, v31
	s_delay_alu instid0(VALU_DEP_2) | instskip(SKIP_1) | instid1(VALU_DEP_2)
	v_add_f32_e32 v7, v7, v13
	v_add_f32_e32 v13, v33, v30
	;; [unrolled: 1-line block ×3, first 2 shown]
	s_delay_alu instid0(VALU_DEP_2) | instskip(NEXT) | instid1(VALU_DEP_2)
	v_sub_f32_e32 v29, v13, v33
	v_add_f32_e32 v7, v34, v7
	s_delay_alu instid0(VALU_DEP_2) | instskip(NEXT) | instid1(VALU_DEP_2)
	v_sub_f32_e32 v29, v30, v29
	v_mul_f32_e32 v7, v12, v7
	s_delay_alu instid0(VALU_DEP_1) | instskip(NEXT) | instid1(VALU_DEP_1)
	v_add_f32_e32 v7, v29, v7
	v_add_f32_e32 v12, v13, v7
	s_delay_alu instid0(VALU_DEP_1) | instskip(NEXT) | instid1(VALU_DEP_1)
	v_mul_f32_e32 v29, v12, v12
	v_fmaak_f32 v30, s2, v29, 0x3ecc95a3
	v_mul_f32_e32 v31, v12, v29
	v_cmp_gt_f32_e64 s2, 0x33800000, |v3|
	s_delay_alu instid0(VALU_DEP_3) | instskip(SKIP_2) | instid1(VALU_DEP_4)
	v_fmaak_f32 v29, v29, v30, 0x3f2aaada
	v_ldexp_f32 v30, v12, 1
	v_sub_f32_e32 v12, v12, v13
	s_or_b32 vcc_lo, vcc_lo, s2
	s_delay_alu instid0(VALU_DEP_3) | instskip(SKIP_1) | instid1(VALU_DEP_3)
	v_mul_f32_e32 v29, v31, v29
	v_mul_f32_e32 v31, 0x3f317218, v6
	v_sub_f32_e32 v7, v7, v12
	s_delay_alu instid0(VALU_DEP_3) | instskip(NEXT) | instid1(VALU_DEP_2)
	v_add_f32_e32 v13, v30, v29
	v_ldexp_f32 v7, v7, 1
	s_delay_alu instid0(VALU_DEP_2) | instskip(SKIP_1) | instid1(VALU_DEP_2)
	v_sub_f32_e32 v12, v13, v30
	v_fma_f32 v30, 0x3f317218, v6, -v31
	v_sub_f32_e32 v12, v29, v12
	s_delay_alu instid0(VALU_DEP_1) | instskip(NEXT) | instid1(VALU_DEP_1)
	v_dual_fmamk_f32 v6, v6, 0xb102e308, v30 :: v_dual_add_f32 v7, v7, v12
	v_dual_add_f32 v12, v31, v6 :: v_dual_add_f32 v29, v13, v7
	s_delay_alu instid0(VALU_DEP_1) | instskip(NEXT) | instid1(VALU_DEP_2)
	v_sub_f32_e32 v31, v12, v31
	v_add_f32_e32 v30, v12, v29
	s_delay_alu instid0(VALU_DEP_2) | instskip(NEXT) | instid1(VALU_DEP_1)
	v_dual_sub_f32 v13, v29, v13 :: v_dual_sub_f32 v6, v6, v31
	v_dual_sub_f32 v32, v30, v12 :: v_dual_sub_f32 v7, v7, v13
	s_delay_alu instid0(VALU_DEP_1) | instskip(SKIP_1) | instid1(VALU_DEP_2)
	v_sub_f32_e32 v33, v30, v32
	v_sub_f32_e32 v13, v29, v32
	v_dual_add_f32 v29, v6, v7 :: v_dual_sub_f32 v12, v12, v33
	s_delay_alu instid0(VALU_DEP_1) | instskip(NEXT) | instid1(VALU_DEP_2)
	v_add_f32_e32 v12, v13, v12
	v_sub_f32_e32 v13, v29, v6
	s_delay_alu instid0(VALU_DEP_2) | instskip(NEXT) | instid1(VALU_DEP_2)
	v_add_f32_e32 v12, v29, v12
	v_sub_f32_e32 v29, v29, v13
	v_sub_f32_e32 v7, v7, v13
	s_delay_alu instid0(VALU_DEP_3) | instskip(NEXT) | instid1(VALU_DEP_1)
	v_add_f32_e32 v31, v30, v12
	v_dual_sub_f32 v6, v6, v29 :: v_dual_sub_f32 v13, v31, v30
	s_delay_alu instid0(VALU_DEP_1) | instskip(NEXT) | instid1(VALU_DEP_1)
	v_dual_add_f32 v6, v7, v6 :: v_dual_sub_f32 v7, v12, v13
	v_add_f32_e32 v6, v6, v7
	s_delay_alu instid0(VALU_DEP_1) | instskip(NEXT) | instid1(VALU_DEP_1)
	v_add_f32_e32 v6, v31, v6
	v_cndmask_b32_e32 v3, v6, v3, vcc_lo
	s_delay_alu instid0(VALU_DEP_1)
	v_add_f32_e32 v3, v2, v3
.LBB521_356:
	s_or_b32 exec_lo, exec_lo, s1
	s_delay_alu instid0(VALU_DEP_1) | instskip(SKIP_1) | instid1(VALU_DEP_2)
	v_bfe_u32 v2, v3, 16, 1
	v_cmp_o_f32_e32 vcc_lo, v3, v3
	v_add3_u32 v2, v3, v2, 0x7fff
	s_delay_alu instid0(VALU_DEP_1) | instskip(NEXT) | instid1(VALU_DEP_1)
	v_lshrrev_b32_e32 v2, 16, v2
	v_cndmask_b32_e32 v86, 0x7fc0, v2, vcc_lo
	s_delay_alu instid0(VALU_DEP_1) | instskip(NEXT) | instid1(VALU_DEP_1)
	v_lshlrev_b32_e32 v3, 16, v86
	v_max_f32_e32 v2, v3, v3
	s_delay_alu instid0(VALU_DEP_1) | instskip(SKIP_2) | instid1(VALU_DEP_3)
	v_min_f32_e32 v6, v2, v87
	v_max_f32_e32 v2, v2, v87
	v_cmp_u_f32_e32 vcc_lo, v3, v3
	v_cndmask_b32_e32 v6, v6, v3, vcc_lo
	s_delay_alu instid0(VALU_DEP_3) | instskip(NEXT) | instid1(VALU_DEP_2)
	v_cndmask_b32_e32 v2, v2, v3, vcc_lo
	v_cndmask_b32_e64 v6, v6, v28, s22
	s_delay_alu instid0(VALU_DEP_2) | instskip(NEXT) | instid1(VALU_DEP_2)
	v_cndmask_b32_e64 v2, v2, v28, s22
	v_cmp_class_f32_e64 s1, v6, 0x1f8
	s_delay_alu instid0(VALU_DEP_2) | instskip(NEXT) | instid1(VALU_DEP_2)
	v_cmp_neq_f32_e32 vcc_lo, v6, v2
	s_or_b32 s2, vcc_lo, s1
	s_delay_alu instid0(SALU_CYCLE_1)
	s_and_saveexec_b32 s1, s2
	s_cbranch_execz .LBB521_358
; %bb.357:
	v_sub_f32_e32 v3, v6, v2
	s_mov_b32 s2, 0x3e9b6dac
	s_delay_alu instid0(VALU_DEP_1) | instskip(SKIP_1) | instid1(VALU_DEP_2)
	v_mul_f32_e32 v6, 0x3fb8aa3b, v3
	v_cmp_ngt_f32_e32 vcc_lo, 0xc2ce8ed0, v3
	v_fma_f32 v7, 0x3fb8aa3b, v3, -v6
	v_rndne_f32_e32 v12, v6
	s_delay_alu instid0(VALU_DEP_1) | instskip(NEXT) | instid1(VALU_DEP_1)
	v_dual_fmamk_f32 v7, v3, 0x32a5705f, v7 :: v_dual_sub_f32 v6, v6, v12
	v_add_f32_e32 v6, v6, v7
	v_cvt_i32_f32_e32 v7, v12
	s_delay_alu instid0(VALU_DEP_2) | instskip(SKIP_2) | instid1(VALU_DEP_1)
	v_exp_f32_e32 v6, v6
	s_waitcnt_depctr 0xfff
	v_ldexp_f32 v6, v6, v7
	v_cndmask_b32_e32 v6, 0, v6, vcc_lo
	v_cmp_nlt_f32_e32 vcc_lo, 0x42b17218, v3
	s_delay_alu instid0(VALU_DEP_2) | instskip(NEXT) | instid1(VALU_DEP_1)
	v_cndmask_b32_e32 v3, 0x7f800000, v6, vcc_lo
	v_add_f32_e32 v12, 1.0, v3
	s_delay_alu instid0(VALU_DEP_1) | instskip(NEXT) | instid1(VALU_DEP_1)
	v_cvt_f64_f32_e32 v[6:7], v12
	v_frexp_exp_i32_f64_e32 v6, v[6:7]
	v_frexp_mant_f32_e32 v7, v12
	s_delay_alu instid0(VALU_DEP_1) | instskip(SKIP_1) | instid1(VALU_DEP_1)
	v_cmp_gt_f32_e32 vcc_lo, 0x3f2aaaab, v7
	v_add_f32_e32 v7, -1.0, v12
	v_sub_f32_e32 v28, v7, v12
	s_delay_alu instid0(VALU_DEP_1) | instskip(NEXT) | instid1(VALU_DEP_1)
	v_dual_add_f32 v28, 1.0, v28 :: v_dual_sub_f32 v7, v3, v7
	v_add_f32_e32 v7, v7, v28
	v_subrev_co_ci_u32_e32 v6, vcc_lo, 0, v6, vcc_lo
	v_cmp_eq_f32_e32 vcc_lo, 0x7f800000, v3
	s_delay_alu instid0(VALU_DEP_2) | instskip(SKIP_1) | instid1(VALU_DEP_2)
	v_sub_nc_u32_e32 v13, 0, v6
	v_cvt_f32_i32_e32 v6, v6
	v_ldexp_f32 v12, v12, v13
	v_ldexp_f32 v7, v7, v13
	s_delay_alu instid0(VALU_DEP_2) | instskip(NEXT) | instid1(VALU_DEP_1)
	v_add_f32_e32 v29, 1.0, v12
	v_dual_add_f32 v13, -1.0, v12 :: v_dual_add_f32 v28, -1.0, v29
	s_delay_alu instid0(VALU_DEP_1) | instskip(NEXT) | instid1(VALU_DEP_2)
	v_add_f32_e32 v30, 1.0, v13
	v_sub_f32_e32 v28, v12, v28
	s_delay_alu instid0(VALU_DEP_2) | instskip(NEXT) | instid1(VALU_DEP_2)
	v_sub_f32_e32 v12, v12, v30
	v_add_f32_e32 v28, v7, v28
	s_delay_alu instid0(VALU_DEP_2) | instskip(NEXT) | instid1(VALU_DEP_1)
	v_add_f32_e32 v7, v7, v12
	v_add_f32_e32 v31, v13, v7
	s_delay_alu instid0(VALU_DEP_3) | instskip(NEXT) | instid1(VALU_DEP_2)
	v_add_f32_e32 v30, v29, v28
	v_sub_f32_e32 v13, v13, v31
	s_delay_alu instid0(VALU_DEP_2) | instskip(SKIP_1) | instid1(VALU_DEP_1)
	v_rcp_f32_e32 v12, v30
	v_sub_f32_e32 v29, v29, v30
	v_add_f32_e32 v28, v28, v29
	s_delay_alu instid0(VALU_DEP_3) | instskip(SKIP_2) | instid1(VALU_DEP_1)
	v_add_f32_e32 v7, v7, v13
	s_waitcnt_depctr 0xfff
	v_mul_f32_e32 v32, v31, v12
	v_mul_f32_e32 v33, v30, v32
	s_delay_alu instid0(VALU_DEP_1) | instskip(NEXT) | instid1(VALU_DEP_1)
	v_fma_f32 v29, v32, v30, -v33
	v_fmac_f32_e32 v29, v32, v28
	s_delay_alu instid0(VALU_DEP_1) | instskip(NEXT) | instid1(VALU_DEP_1)
	v_add_f32_e32 v34, v33, v29
	v_sub_f32_e32 v35, v31, v34
	s_delay_alu instid0(VALU_DEP_1) | instskip(NEXT) | instid1(VALU_DEP_1)
	v_sub_f32_e32 v31, v31, v35
	v_sub_f32_e32 v31, v31, v34
	s_delay_alu instid0(VALU_DEP_1) | instskip(SKIP_1) | instid1(VALU_DEP_1)
	v_add_f32_e32 v7, v7, v31
	v_sub_f32_e32 v13, v34, v33
	v_sub_f32_e32 v13, v13, v29
	s_delay_alu instid0(VALU_DEP_1) | instskip(NEXT) | instid1(VALU_DEP_1)
	v_add_f32_e32 v7, v13, v7
	v_add_f32_e32 v13, v35, v7
	s_delay_alu instid0(VALU_DEP_1) | instskip(SKIP_1) | instid1(VALU_DEP_2)
	v_mul_f32_e32 v29, v12, v13
	v_sub_f32_e32 v34, v35, v13
	v_mul_f32_e32 v31, v30, v29
	s_delay_alu instid0(VALU_DEP_2) | instskip(NEXT) | instid1(VALU_DEP_2)
	v_add_f32_e32 v7, v7, v34
	v_fma_f32 v30, v29, v30, -v31
	s_delay_alu instid0(VALU_DEP_1) | instskip(NEXT) | instid1(VALU_DEP_1)
	v_fmac_f32_e32 v30, v29, v28
	v_add_f32_e32 v28, v31, v30
	s_delay_alu instid0(VALU_DEP_1) | instskip(SKIP_1) | instid1(VALU_DEP_2)
	v_sub_f32_e32 v33, v13, v28
	v_sub_f32_e32 v31, v28, v31
	;; [unrolled: 1-line block ×3, first 2 shown]
	s_delay_alu instid0(VALU_DEP_1) | instskip(NEXT) | instid1(VALU_DEP_1)
	v_dual_sub_f32 v13, v13, v28 :: v_dual_sub_f32 v28, v31, v30
	v_add_f32_e32 v7, v7, v13
	v_add_f32_e32 v13, v32, v29
	s_delay_alu instid0(VALU_DEP_1) | instskip(NEXT) | instid1(VALU_DEP_1)
	v_dual_add_f32 v7, v28, v7 :: v_dual_sub_f32 v28, v13, v32
	v_add_f32_e32 v7, v33, v7
	s_delay_alu instid0(VALU_DEP_1) | instskip(NEXT) | instid1(VALU_DEP_1)
	v_dual_sub_f32 v28, v29, v28 :: v_dual_mul_f32 v7, v12, v7
	v_add_f32_e32 v7, v28, v7
	s_delay_alu instid0(VALU_DEP_1) | instskip(NEXT) | instid1(VALU_DEP_1)
	v_add_f32_e32 v12, v13, v7
	v_mul_f32_e32 v28, v12, v12
	s_delay_alu instid0(VALU_DEP_1) | instskip(SKIP_2) | instid1(VALU_DEP_3)
	v_fmaak_f32 v29, s2, v28, 0x3ecc95a3
	v_mul_f32_e32 v30, v12, v28
	v_cmp_gt_f32_e64 s2, 0x33800000, |v3|
	v_fmaak_f32 v28, v28, v29, 0x3f2aaada
	v_ldexp_f32 v29, v12, 1
	v_sub_f32_e32 v12, v12, v13
	s_delay_alu instid0(VALU_DEP_4) | instskip(NEXT) | instid1(VALU_DEP_3)
	s_or_b32 vcc_lo, vcc_lo, s2
	v_mul_f32_e32 v28, v30, v28
	s_delay_alu instid0(VALU_DEP_2) | instskip(NEXT) | instid1(VALU_DEP_2)
	v_dual_mul_f32 v30, 0x3f317218, v6 :: v_dual_sub_f32 v7, v7, v12
	v_add_f32_e32 v13, v29, v28
	s_delay_alu instid0(VALU_DEP_2) | instskip(NEXT) | instid1(VALU_DEP_2)
	v_ldexp_f32 v7, v7, 1
	v_sub_f32_e32 v12, v13, v29
	s_delay_alu instid0(VALU_DEP_4) | instskip(NEXT) | instid1(VALU_DEP_2)
	v_fma_f32 v29, 0x3f317218, v6, -v30
	v_sub_f32_e32 v12, v28, v12
	s_delay_alu instid0(VALU_DEP_1) | instskip(NEXT) | instid1(VALU_DEP_1)
	v_dual_fmamk_f32 v6, v6, 0xb102e308, v29 :: v_dual_add_f32 v7, v7, v12
	v_add_f32_e32 v12, v30, v6
	s_delay_alu instid0(VALU_DEP_2) | instskip(NEXT) | instid1(VALU_DEP_2)
	v_add_f32_e32 v28, v13, v7
	v_sub_f32_e32 v30, v12, v30
	s_delay_alu instid0(VALU_DEP_2) | instskip(NEXT) | instid1(VALU_DEP_2)
	v_add_f32_e32 v29, v12, v28
	v_dual_sub_f32 v13, v28, v13 :: v_dual_sub_f32 v6, v6, v30
	s_delay_alu instid0(VALU_DEP_2) | instskip(NEXT) | instid1(VALU_DEP_1)
	v_sub_f32_e32 v31, v29, v12
	v_dual_sub_f32 v32, v29, v31 :: v_dual_sub_f32 v7, v7, v13
	v_sub_f32_e32 v13, v28, v31
	s_delay_alu instid0(VALU_DEP_2) | instskip(NEXT) | instid1(VALU_DEP_3)
	v_sub_f32_e32 v12, v12, v32
	v_add_f32_e32 v28, v6, v7
	s_delay_alu instid0(VALU_DEP_1) | instskip(NEXT) | instid1(VALU_DEP_1)
	v_dual_add_f32 v12, v13, v12 :: v_dual_sub_f32 v13, v28, v6
	v_dual_add_f32 v12, v28, v12 :: v_dual_sub_f32 v7, v7, v13
	v_sub_f32_e32 v28, v28, v13
	s_delay_alu instid0(VALU_DEP_1) | instskip(NEXT) | instid1(VALU_DEP_1)
	v_sub_f32_e32 v6, v6, v28
	v_add_f32_e32 v6, v7, v6
	s_delay_alu instid0(VALU_DEP_4) | instskip(NEXT) | instid1(VALU_DEP_1)
	v_add_f32_e32 v30, v29, v12
	v_sub_f32_e32 v13, v30, v29
	s_delay_alu instid0(VALU_DEP_1) | instskip(NEXT) | instid1(VALU_DEP_1)
	v_sub_f32_e32 v7, v12, v13
	v_add_f32_e32 v6, v6, v7
	s_delay_alu instid0(VALU_DEP_1) | instskip(NEXT) | instid1(VALU_DEP_1)
	v_add_f32_e32 v6, v30, v6
	v_cndmask_b32_e32 v3, v6, v3, vcc_lo
	s_delay_alu instid0(VALU_DEP_1)
	v_add_f32_e32 v3, v2, v3
.LBB521_358:
	s_or_b32 exec_lo, exec_lo, s1
	s_delay_alu instid0(VALU_DEP_1) | instskip(SKIP_2) | instid1(VALU_DEP_2)
	v_bfe_u32 v2, v3, 16, 1
	v_cmp_o_f32_e32 vcc_lo, v3, v3
	s_mov_b32 s1, exec_lo
	v_add3_u32 v2, v3, v2, 0x7fff
	s_delay_alu instid0(VALU_DEP_1) | instskip(NEXT) | instid1(VALU_DEP_1)
	v_lshrrev_b32_e32 v2, 16, v2
	v_cndmask_b32_e32 v87, 0x7fc0, v2, vcc_lo
	v_cmpx_eq_u32_e32 63, v21
	s_cbranch_execz .LBB521_360
; %bb.359:
	s_delay_alu instid0(VALU_DEP_2) | instskip(NEXT) | instid1(VALU_DEP_1)
	v_and_b32_e32 v2, 0xffff, v87
	v_or_b32_e32 v2, 0x20000, v2
	flat_store_b32 v[18:19], v2 offset:128
.LBB521_360:
	s_or_b32 exec_lo, exec_lo, s1
.LBB521_361:
	v_add_co_u32 v0, vcc_lo, v10, v0
	v_add_co_ci_u32_e32 v1, vcc_lo, v11, v1, vcc_lo
	v_perm_b32 v2, v23, v22, 0x5040100
	s_delay_alu instid0(VALU_DEP_3) | instskip(NEXT) | instid1(VALU_DEP_3)
	v_add_co_u32 v0, vcc_lo, v0, v14
	v_add_co_ci_u32_e32 v1, vcc_lo, v1, v15, vcc_lo
	v_perm_b32 v3, v17, v16, 0x5040100
	v_perm_b32 v6, v146, v145, 0x5040100
	;; [unrolled: 1-line block ×10, first 2 shown]
	s_waitcnt lgkmcnt(0)
	s_waitcnt_vscnt null, 0x0
	s_barrier
	buffer_gl0_inv
	s_and_saveexec_b32 s1, s0
	s_delay_alu instid0(SALU_CYCLE_1)
	s_xor_b32 s0, exec_lo, s1
	s_cbranch_execz .LBB521_363
; %bb.362:
	ds_store_2addr_b32 v27, v3, v2 offset1:1
	ds_store_2addr_b32 v27, v7, v6 offset0:2 offset1:3
	ds_store_2addr_b32 v27, v11, v10 offset0:4 offset1:5
	;; [unrolled: 1-line block ×4, first 2 shown]
	ds_store_b32 v27, v16 offset:40
	s_waitcnt lgkmcnt(0)
	s_barrier
	buffer_gl0_inv
	ds_load_u16 v2, v25
	ds_load_u16 v3, v25 offset:128
	ds_load_u16 v4, v25 offset:256
	;; [unrolled: 1-line block ×21, first 2 shown]
	v_add_co_u32 v0, vcc_lo, v0, v25
	v_add_co_ci_u32_e32 v1, vcc_lo, 0, v1, vcc_lo
                                        ; implicit-def: $vgpr27
                                        ; implicit-def: $vgpr26
                                        ; implicit-def: $vgpr24
                                        ; implicit-def: $vgpr25
	s_waitcnt lgkmcnt(21)
	flat_store_b16 v[0:1], v2
	s_waitcnt lgkmcnt(21)
	flat_store_b16 v[0:1], v3 offset:128
	s_waitcnt lgkmcnt(21)
	flat_store_b16 v[0:1], v4 offset:256
	;; [unrolled: 2-line block ×21, first 2 shown]
                                        ; implicit-def: $vgpr2_vgpr3_vgpr4_vgpr5
                                        ; implicit-def: $vgpr6_vgpr7_vgpr8_vgpr9
                                        ; implicit-def: $vgpr21
                                        ; implicit-def: $vgpr20
                                        ; implicit-def: $vgpr0
                                        ; implicit-def: $vgpr1
                                        ; implicit-def: $vgpr2
                                        ; implicit-def: $vgpr3
                                        ; implicit-def: $vgpr6
                                        ; implicit-def: $vgpr7
                                        ; implicit-def: $vgpr10
                                        ; implicit-def: $vgpr11
                                        ; implicit-def: $vgpr12
                                        ; implicit-def: $vgpr13
                                        ; implicit-def: $vgpr14
                                        ; implicit-def: $vgpr15
                                        ; implicit-def: $vgpr16
.LBB521_363:
	s_and_not1_saveexec_b32 s1, s0
	s_cbranch_execz .LBB521_491
; %bb.364:
	ds_store_2addr_b32 v27, v3, v2 offset1:1
	ds_store_2addr_b32 v27, v7, v6 offset0:2 offset1:3
	ds_store_2addr_b32 v27, v11, v10 offset0:4 offset1:5
	;; [unrolled: 1-line block ×4, first 2 shown]
	ds_store_b32 v27, v16 offset:40
	s_waitcnt lgkmcnt(0)
	s_waitcnt_vscnt null, 0x0
	s_barrier
	buffer_gl0_inv
	ds_load_u16 v3, v25
	ds_load_u16 v2, v25 offset:128
	ds_load_u16 v7, v25 offset:256
	;; [unrolled: 1-line block ×21, first 2 shown]
	v_add_co_u32 v0, vcc_lo, v0, v25
	v_mov_b32_e32 v22, 0
	v_add_co_ci_u32_e32 v1, vcc_lo, 0, v1, vcc_lo
	s_mov_b32 s0, exec_lo
	v_cmpx_lt_u32_e64 v21, v20
	s_cbranch_execz .LBB521_366
; %bb.365:
	s_waitcnt lgkmcnt(21)
	flat_store_b16 v[0:1], v3
.LBB521_366:
	s_or_b32 exec_lo, exec_lo, s0
	v_add_nc_u32_e32 v25, 64, v21
	s_mov_b32 s0, exec_lo
	s_delay_alu instid0(VALU_DEP_1)
	v_cmpx_lt_u32_e64 v25, v20
	s_cbranch_execz .LBB521_368
; %bb.367:
	s_waitcnt lgkmcnt(20)
	flat_store_b16 v[0:1], v2 offset:128
.LBB521_368:
	s_or_b32 exec_lo, exec_lo, s0
	v_add_nc_u32_e32 v25, 0x80, v21
	s_mov_b32 s0, exec_lo
	s_delay_alu instid0(VALU_DEP_1)
	v_cmpx_lt_u32_e64 v25, v20
	s_cbranch_execz .LBB521_370
; %bb.369:
	s_waitcnt lgkmcnt(19)
	flat_store_b16 v[0:1], v7 offset:256
.LBB521_370:
	;; [unrolled: 10-line block ×15, first 2 shown]
	s_or_b32 exec_lo, exec_lo, s0
	v_or_b32_e32 v25, 0x400, v21
	s_mov_b32 s0, exec_lo
	s_delay_alu instid0(VALU_DEP_1)
	v_cmpx_lt_u32_e64 v25, v20
	s_cbranch_execz .LBB521_398
; %bb.397:
	s_waitcnt lgkmcnt(5)
	flat_store_b16 v[0:1], v29 offset:2048
.LBB521_398:
	s_or_b32 exec_lo, exec_lo, s0
	v_add_nc_u32_e32 v25, 0x440, v21
	s_mov_b32 s0, exec_lo
	s_delay_alu instid0(VALU_DEP_1)
	v_cmpx_lt_u32_e64 v25, v20
	s_cbranch_execz .LBB521_400
; %bb.399:
	s_waitcnt lgkmcnt(4)
	flat_store_b16 v[0:1], v27 offset:2176
.LBB521_400:
	s_or_b32 exec_lo, exec_lo, s0
	v_add_nc_u32_e32 v25, 0x480, v21
	;; [unrolled: 10-line block ×5, first 2 shown]
	s_mov_b32 s0, exec_lo
	s_delay_alu instid0(VALU_DEP_1)
	v_cmpx_lt_u32_e64 v25, v20
	s_cbranch_execz .LBB521_408
; %bb.407:
	s_waitcnt lgkmcnt(0)
	flat_store_b16 v[0:1], v33 offset:2688
.LBB521_408:
	s_or_b32 exec_lo, exec_lo, s0
	s_delay_alu instid0(SALU_CYCLE_1)
	s_mov_b32 s2, exec_lo
	v_cmpx_lt_u64_e32 1, v[8:9]
	s_cbranch_execz .LBB521_490
; %bb.409:
	s_add_u32 s0, 0, 0x2e8b0a00
	s_addc_u32 s3, 0, 42
	s_mul_hi_u32 s5, s0, 0xffffffea
	s_add_i32 s3, s3, 0xba2e890
	s_sub_i32 s5, s5, s0
	s_mul_i32 s6, s3, 0xffffffea
	s_mul_i32 s4, s0, 0xffffffea
	s_add_i32 s5, s5, s6
	s_mul_hi_u32 s7, s3, s4
	s_mul_i32 s6, s3, s4
	s_mul_i32 s8, s0, s5
	s_mul_hi_u32 s4, s0, s4
	s_mul_hi_u32 s9, s0, s5
	s_add_u32 s4, s4, s8
	s_addc_u32 s8, 0, s9
	s_mul_hi_u32 s9, s3, s5
	s_add_u32 s4, s4, s6
	s_addc_u32 s4, s8, s7
	s_mul_i32 s5, s3, s5
	s_addc_u32 s6, s9, 0
	s_add_u32 s4, s4, s5
	v_add_co_u32 v0, vcc_lo, v20, -1
	v_add_co_u32 v34, s0, s0, s4
	s_addc_u32 s4, 0, s6
	s_cmp_lg_u32 s0, 0
	v_add_co_ci_u32_e32 v1, vcc_lo, -1, v24, vcc_lo
	s_addc_u32 s0, s3, s4
	v_mul_hi_u32 v20, v0, v34
	v_mad_u64_u32 v[8:9], null, v0, s0, 0
	s_delay_alu instid0(VALU_DEP_3) | instskip(NEXT) | instid1(VALU_DEP_2)
	v_mad_u64_u32 v[24:25], null, v1, v34, 0
	v_add_co_u32 v20, vcc_lo, v20, v8
	s_delay_alu instid0(VALU_DEP_3) | instskip(SKIP_1) | instid1(VALU_DEP_3)
	v_add_co_ci_u32_e32 v34, vcc_lo, 0, v9, vcc_lo
	v_mad_u64_u32 v[8:9], null, v1, s0, 0
	v_add_co_u32 v20, vcc_lo, v20, v24
	s_delay_alu instid0(VALU_DEP_3) | instskip(NEXT) | instid1(VALU_DEP_3)
	v_add_co_ci_u32_e32 v20, vcc_lo, v34, v25, vcc_lo
	v_add_co_ci_u32_e32 v9, vcc_lo, 0, v9, vcc_lo
	s_delay_alu instid0(VALU_DEP_2) | instskip(NEXT) | instid1(VALU_DEP_2)
	v_add_co_u32 v20, vcc_lo, v20, v8
	v_add_co_ci_u32_e32 v34, vcc_lo, 0, v9, vcc_lo
	s_delay_alu instid0(VALU_DEP_2) | instskip(SKIP_1) | instid1(VALU_DEP_1)
	v_mad_u64_u32 v[8:9], null, v20, 22, 0
	s_waitcnt lgkmcnt(18)
	v_mad_u64_u32 v[24:25], null, v34, 22, v[9:10]
	s_delay_alu instid0(VALU_DEP_2) | instskip(NEXT) | instid1(VALU_DEP_2)
	v_sub_co_u32 v8, vcc_lo, v0, v8
	v_sub_co_ci_u32_e32 v9, vcc_lo, v1, v24, vcc_lo
	s_delay_alu instid0(VALU_DEP_2) | instskip(NEXT) | instid1(VALU_DEP_2)
	v_sub_co_u32 v24, vcc_lo, v8, 22
	v_subrev_co_ci_u32_e32 v25, vcc_lo, 0, v9, vcc_lo
	s_delay_alu instid0(VALU_DEP_2)
	v_cmp_lt_u32_e32 vcc_lo, 21, v24
	v_cmp_eq_u32_e64 s0, 0, v9
	v_cndmask_b32_e64 v24, 0, -1, vcc_lo
	v_add_co_u32 v35, vcc_lo, v20, 2
	v_add_co_ci_u32_e32 v36, vcc_lo, 0, v34, vcc_lo
	v_cmp_lt_u32_e32 vcc_lo, 21, v8
	v_cndmask_b32_e64 v8, 0, -1, vcc_lo
	v_cmp_eq_u32_e32 vcc_lo, 0, v25
	s_delay_alu instid0(VALU_DEP_2) | instskip(SKIP_3) | instid1(VALU_DEP_3)
	v_cndmask_b32_e64 v8, -1, v8, s0
	v_cndmask_b32_e32 v24, -1, v24, vcc_lo
	v_add_co_u32 v25, vcc_lo, v20, 1
	v_add_co_ci_u32_e32 v37, vcc_lo, 0, v34, vcc_lo
	v_cmp_ne_u32_e32 vcc_lo, 0, v24
	s_delay_alu instid0(VALU_DEP_2) | instskip(NEXT) | instid1(VALU_DEP_4)
	v_cndmask_b32_e32 v9, v37, v36, vcc_lo
	v_cndmask_b32_e32 v24, v25, v35, vcc_lo
	v_cmp_ne_u32_e32 vcc_lo, 0, v8
	s_delay_alu instid0(VALU_DEP_2) | instskip(NEXT) | instid1(VALU_DEP_1)
	v_dual_cndmask_b32 v9, v34, v9 :: v_dual_cndmask_b32 v8, v20, v24
	v_cmp_eq_u64_e32 vcc_lo, v[8:9], v[21:22]
	s_and_b32 exec_lo, exec_lo, vcc_lo
	s_cbranch_execz .LBB521_490
; %bb.410:
	v_mul_hi_u32_u24_e32 v8, 22, v21
	v_sub_co_u32 v0, vcc_lo, v0, v26
	s_mov_b32 s0, 0
	s_mov_b32 s4, 0
	s_delay_alu instid0(VALU_DEP_2) | instskip(SKIP_1) | instid1(VALU_DEP_1)
	v_sub_co_ci_u32_e32 v1, vcc_lo, v1, v8, vcc_lo
	s_mov_b32 s3, exec_lo
	v_cmpx_lt_i64_e32 10, v[0:1]
	s_xor_b32 s3, exec_lo, s3
	s_cbranch_execnz .LBB521_414
; %bb.411:
	s_or_saveexec_b32 s3, s3
	s_mov_b32 s5, 0
	s_xor_b32 exec_lo, exec_lo, s3
	s_cbranch_execnz .LBB521_455
.LBB521_412:
	s_or_b32 exec_lo, exec_lo, s3
	s_and_saveexec_b32 s3, s4
	s_cbranch_execnz .LBB521_466
.LBB521_413:
	s_or_b32 exec_lo, exec_lo, s3
	s_and_saveexec_b32 s3, s0
	s_cbranch_execnz .LBB521_467
	s_branch .LBB521_471
.LBB521_414:
	s_mov_b32 s5, 0
	s_mov_b32 s4, exec_lo
	v_cmpx_lt_i64_e32 15, v[0:1]
	s_xor_b32 s4, exec_lo, s4
	s_cbranch_execz .LBB521_436
; %bb.415:
	s_mov_b32 s6, exec_lo
                                        ; implicit-def: $vgpr14
	v_cmpx_lt_i64_e32 18, v[0:1]
	s_xor_b32 s6, exec_lo, s6
	s_cbranch_execz .LBB521_425
; %bb.416:
	s_mov_b32 s7, 0
	s_mov_b32 s5, exec_lo
                                        ; implicit-def: $vgpr14
	v_cmpx_lt_i64_e32 19, v[0:1]
	s_xor_b32 s5, exec_lo, s5
	s_cbranch_execz .LBB521_422
; %bb.417:
	s_mov_b32 s7, exec_lo
	v_cmpx_lt_i64_e32 20, v[0:1]
	s_xor_b32 s7, exec_lo, s7
	s_cbranch_execz .LBB521_419
; %bb.418:
	s_waitcnt lgkmcnt(0)
	flat_store_b16 v[4:5], v33
                                        ; implicit-def: $vgpr19
.LBB521_419:
	s_or_saveexec_b32 s7, s7
	s_mov_b32 s8, 0
	s_xor_b32 exec_lo, exec_lo, s7
; %bb.420:
	s_delay_alu instid0(SALU_CYCLE_1)
	s_mov_b32 s8, exec_lo
; %bb.421:
	s_or_b32 exec_lo, exec_lo, s7
	s_waitcnt lgkmcnt(1)
	v_mov_b32_e32 v14, v19
	s_and_b32 s7, s8, exec_lo
                                        ; implicit-def: $vgpr32
.LBB521_422:
	s_and_not1_saveexec_b32 s5, s5
	s_cbranch_execz .LBB521_424
; %bb.423:
	s_waitcnt lgkmcnt(2)
	flat_store_b16 v[4:5], v32
                                        ; implicit-def: $vgpr14
.LBB521_424:
	s_or_b32 exec_lo, exec_lo, s5
	s_delay_alu instid0(SALU_CYCLE_1)
	s_and_b32 s5, s7, exec_lo
                                        ; implicit-def: $vgpr29
                                        ; implicit-def: $vgpr27
                                        ; implicit-def: $vgpr31
.LBB521_425:
	s_and_not1_saveexec_b32 s6, s6
	s_cbranch_execz .LBB521_435
; %bb.426:
	s_mov_b32 s7, exec_lo
	v_cmpx_lt_i64_e32 16, v[0:1]
	s_xor_b32 s7, exec_lo, s7
	s_cbranch_execz .LBB521_432
; %bb.427:
	s_mov_b32 s8, exec_lo
	v_cmpx_lt_i64_e32 17, v[0:1]
	s_xor_b32 s8, exec_lo, s8
	s_cbranch_execz .LBB521_429
; %bb.428:
	s_waitcnt lgkmcnt(3)
	flat_store_b16 v[4:5], v31
                                        ; implicit-def: $vgpr27
.LBB521_429:
	s_and_not1_saveexec_b32 s8, s8
	s_cbranch_execz .LBB521_431
; %bb.430:
	s_waitcnt lgkmcnt(4)
	flat_store_b16 v[4:5], v27
.LBB521_431:
	s_or_b32 exec_lo, exec_lo, s8
                                        ; implicit-def: $vgpr29
.LBB521_432:
	s_and_not1_saveexec_b32 s7, s7
	s_cbranch_execz .LBB521_434
; %bb.433:
	s_waitcnt lgkmcnt(5)
	flat_store_b16 v[4:5], v29
.LBB521_434:
	s_or_b32 exec_lo, exec_lo, s7
                                        ; implicit-def: $vgpr14
.LBB521_435:
	s_delay_alu instid0(SALU_CYCLE_1) | instskip(NEXT) | instid1(SALU_CYCLE_1)
	s_or_b32 exec_lo, exec_lo, s6
	s_and_b32 s5, s5, exec_lo
                                        ; implicit-def: $vgpr28
                                        ; implicit-def: $vgpr23
                                        ; implicit-def: $vgpr18
                                        ; implicit-def: $vgpr30
.LBB521_436:
	s_and_not1_saveexec_b32 s4, s4
	s_cbranch_execz .LBB521_454
; %bb.437:
	s_mov_b32 s6, exec_lo
	v_cmpx_lt_i64_e32 12, v[0:1]
	s_xor_b32 s6, exec_lo, s6
	s_cbranch_execz .LBB521_447
; %bb.438:
	s_mov_b32 s7, exec_lo
	v_cmpx_lt_i64_e32 13, v[0:1]
	s_xor_b32 s7, exec_lo, s7
	;; [unrolled: 5-line block ×3, first 2 shown]
	s_cbranch_execz .LBB521_441
; %bb.440:
	s_waitcnt lgkmcnt(6)
	flat_store_b16 v[4:5], v30
                                        ; implicit-def: $vgpr18
.LBB521_441:
	s_and_not1_saveexec_b32 s8, s8
	s_cbranch_execz .LBB521_443
; %bb.442:
	s_waitcnt lgkmcnt(7)
	flat_store_b16 v[4:5], v18
.LBB521_443:
	s_or_b32 exec_lo, exec_lo, s8
                                        ; implicit-def: $vgpr28
.LBB521_444:
	s_and_not1_saveexec_b32 s7, s7
	s_cbranch_execz .LBB521_446
; %bb.445:
	s_waitcnt lgkmcnt(8)
	flat_store_b16 v[4:5], v28
.LBB521_446:
	s_or_b32 exec_lo, exec_lo, s7
                                        ; implicit-def: $vgpr14
                                        ; implicit-def: $vgpr23
.LBB521_447:
	s_or_saveexec_b32 s6, s6
	s_mov_b32 s7, s5
	s_xor_b32 exec_lo, exec_lo, s6
	s_cbranch_execz .LBB521_453
; %bb.448:
	s_mov_b32 s7, exec_lo
	v_cmpx_lt_i64_e32 11, v[0:1]
	s_xor_b32 s7, exec_lo, s7
	s_cbranch_execz .LBB521_450
; %bb.449:
	s_waitcnt lgkmcnt(9)
	flat_store_b16 v[4:5], v23
                                        ; implicit-def: $vgpr14
.LBB521_450:
	s_or_saveexec_b32 s7, s7
	s_mov_b32 s8, s5
	s_xor_b32 exec_lo, exec_lo, s7
; %bb.451:
	s_delay_alu instid0(SALU_CYCLE_1)
	s_or_b32 s8, s5, exec_lo
; %bb.452:
	s_or_b32 exec_lo, exec_lo, s7
	s_delay_alu instid0(SALU_CYCLE_1) | instskip(SKIP_1) | instid1(SALU_CYCLE_1)
	s_and_not1_b32 s7, s5, exec_lo
	s_and_b32 s8, s8, exec_lo
	s_or_b32 s7, s7, s8
.LBB521_453:
	s_or_b32 exec_lo, exec_lo, s6
	s_delay_alu instid0(SALU_CYCLE_1) | instskip(SKIP_1) | instid1(SALU_CYCLE_1)
	s_and_not1_b32 s5, s5, exec_lo
	s_and_b32 s6, s7, exec_lo
	s_or_b32 s5, s5, s6
.LBB521_454:
	s_or_b32 exec_lo, exec_lo, s4
	s_delay_alu instid0(SALU_CYCLE_1)
	s_and_b32 s4, s5, exec_lo
                                        ; implicit-def: $vgpr16
                                        ; implicit-def: $vgpr17
                                        ; implicit-def: $vgpr15
	s_or_saveexec_b32 s3, s3
	s_mov_b32 s5, 0
	s_xor_b32 exec_lo, exec_lo, s3
	s_cbranch_execz .LBB521_412
.LBB521_455:
	s_mov_b32 s6, 0
	s_mov_b32 s5, -1
	s_mov_b32 s7, s4
	s_mov_b32 s0, exec_lo
                                        ; implicit-def: $vgpr14
	v_cmpx_lt_i64_e32 5, v[0:1]
	s_cbranch_execz .LBB521_465
; %bb.456:
	s_mov_b32 s6, -1
	s_mov_b32 s7, s4
	s_mov_b32 s5, exec_lo
	v_cmpx_lt_i64_e32 7, v[0:1]
	s_cbranch_execz .LBB521_464
; %bb.457:
	s_mov_b32 s6, exec_lo
	v_cmpx_lt_i64_e32 8, v[0:1]
	s_cbranch_execz .LBB521_463
; %bb.458:
	s_mov_b32 s7, exec_lo
	v_cmpx_lt_i64_e32 9, v[0:1]
	s_xor_b32 s7, exec_lo, s7
; %bb.459:
                                        ; implicit-def: $vgpr17
; %bb.460:
	s_delay_alu instid0(SALU_CYCLE_1)
	s_and_not1_saveexec_b32 s7, s7
	s_cbranch_execz .LBB521_462
; %bb.461:
	s_waitcnt lgkmcnt(11)
	v_mov_b32_e32 v15, v17
.LBB521_462:
	s_or_b32 exec_lo, exec_lo, s7
	s_waitcnt lgkmcnt(11)
	s_delay_alu instid0(VALU_DEP_1)
	v_mov_b32_e32 v16, v15
.LBB521_463:
	s_or_b32 exec_lo, exec_lo, s6
	s_delay_alu instid0(SALU_CYCLE_1)
	s_xor_b32 s6, exec_lo, -1
	s_or_b32 s7, s4, exec_lo
.LBB521_464:
	s_or_b32 exec_lo, exec_lo, s5
	s_waitcnt lgkmcnt(10)
	v_mov_b32_e32 v14, v16
	s_and_not1_b32 s8, s4, exec_lo
	s_and_b32 s7, s7, exec_lo
	s_xor_b32 s5, exec_lo, -1
	s_and_b32 s6, s6, exec_lo
	s_or_b32 s7, s8, s7
.LBB521_465:
	s_or_b32 exec_lo, exec_lo, s0
	s_delay_alu instid0(SALU_CYCLE_1)
	s_and_not1_b32 s4, s4, exec_lo
	s_and_b32 s7, s7, exec_lo
	s_and_b32 s5, s5, exec_lo
	;; [unrolled: 1-line block ×3, first 2 shown]
	s_or_b32 s4, s4, s7
	s_or_b32 exec_lo, exec_lo, s3
	s_and_saveexec_b32 s3, s4
	s_cbranch_execz .LBB521_413
.LBB521_466:
	s_waitcnt lgkmcnt(10)
	flat_store_b16 v[4:5], v14
	s_or_b32 exec_lo, exec_lo, s3
	s_and_saveexec_b32 s3, s0
	s_cbranch_execz .LBB521_471
.LBB521_467:
	s_mov_b32 s0, exec_lo
	v_cmpx_lt_i64_e32 6, v[0:1]
	s_xor_b32 s0, exec_lo, s0
	s_cbranch_execz .LBB521_469
; %bb.468:
	s_waitcnt lgkmcnt(14)
	flat_store_b16 v[4:5], v13
                                        ; implicit-def: $vgpr12
.LBB521_469:
	s_and_not1_saveexec_b32 s0, s0
	s_cbranch_execz .LBB521_471
; %bb.470:
	s_waitcnt lgkmcnt(15)
	flat_store_b16 v[4:5], v12
.LBB521_471:
	s_or_b32 exec_lo, exec_lo, s3
	s_delay_alu instid0(SALU_CYCLE_1)
	s_and_b32 exec_lo, exec_lo, s5
	s_cbranch_execz .LBB521_490
; %bb.472:
	s_mov_b32 s0, exec_lo
	v_cmpx_lt_i64_e32 2, v[0:1]
	s_xor_b32 s0, exec_lo, s0
	s_cbranch_execz .LBB521_482
; %bb.473:
	s_mov_b32 s3, exec_lo
	v_cmpx_lt_i64_e32 3, v[0:1]
	s_xor_b32 s3, exec_lo, s3
	;; [unrolled: 5-line block ×3, first 2 shown]
	s_cbranch_execz .LBB521_476
; %bb.475:
	s_waitcnt lgkmcnt(16)
	flat_store_b16 v[4:5], v11
                                        ; implicit-def: $vgpr4_vgpr5
                                        ; implicit-def: $vgpr6
.LBB521_476:
	s_and_not1_saveexec_b32 s4, s4
	s_cbranch_execz .LBB521_478
; %bb.477:
	s_waitcnt lgkmcnt(17)
	flat_store_b16 v[4:5], v6
.LBB521_478:
	s_or_b32 exec_lo, exec_lo, s4
                                        ; implicit-def: $vgpr4_vgpr5
                                        ; implicit-def: $vgpr10
.LBB521_479:
	s_and_not1_saveexec_b32 s3, s3
	s_cbranch_execz .LBB521_481
; %bb.480:
	flat_store_b16 v[4:5], v10
.LBB521_481:
	s_or_b32 exec_lo, exec_lo, s3
                                        ; implicit-def: $vgpr0_vgpr1
                                        ; implicit-def: $vgpr4_vgpr5
                                        ; implicit-def: $vgpr7
                                        ; implicit-def: $vgpr2
                                        ; implicit-def: $vgpr3
.LBB521_482:
	s_and_not1_saveexec_b32 s0, s0
	s_cbranch_execz .LBB521_490
; %bb.483:
	s_mov_b32 s0, exec_lo
	v_cmpx_lt_i64_e32 1, v[0:1]
	s_xor_b32 s0, exec_lo, s0
	s_cbranch_execz .LBB521_485
; %bb.484:
	flat_store_b16 v[4:5], v7
                                        ; implicit-def: $vgpr4_vgpr5
                                        ; implicit-def: $vgpr2
                                        ; implicit-def: $vgpr0_vgpr1
                                        ; implicit-def: $vgpr3
.LBB521_485:
	s_and_not1_saveexec_b32 s0, s0
	s_cbranch_execz .LBB521_490
; %bb.486:
	s_mov_b32 s0, exec_lo
	v_cmpx_ne_u64_e32 1, v[0:1]
	s_xor_b32 s0, exec_lo, s0
	s_cbranch_execz .LBB521_488
; %bb.487:
	flat_store_b16 v[4:5], v3
                                        ; implicit-def: $vgpr4_vgpr5
                                        ; implicit-def: $vgpr2
.LBB521_488:
	s_and_not1_saveexec_b32 s0, s0
	s_cbranch_execz .LBB521_490
; %bb.489:
	flat_store_b16 v[4:5], v2
.LBB521_490:
	s_or_b32 exec_lo, exec_lo, s2
.LBB521_491:
	s_delay_alu instid0(SALU_CYCLE_1)
	s_or_b32 exec_lo, exec_lo, s1
	v_readlane_b32 s30, v40, 0
	v_readlane_b32 s31, v40, 1
	s_or_saveexec_b32 s0, -1
	scratch_load_b32 v40, off, s32          ; 4-byte Folded Reload
	s_mov_b32 exec_lo, s0
	s_waitcnt vmcnt(0) lgkmcnt(0)
	s_setpc_b64 s[30:31]
.Lfunc_end521:
	.size	_ZZZN7rocprim17ROCPRIM_400000_NS6detail9scan_implILNS1_25lookback_scan_determinismE0ELb0ELb0ENS0_14default_configEPKN3c108BFloat16EPS6_S6_ZZZN2at6native31launch_logcumsumexp_cuda_kernelERKNSA_10TensorBaseESE_lENKUlvE_clEvENKUlvE4_clEvEUlS6_S6_E_S6_EEDaPvRmT3_T4_T5_mT6_P12ihipStream_tbENKUlT_T0_E_clISt17integral_constantIbLb0EESU_IbLb1EEEEDaSQ_SR_ENKUlSQ_E_clINS1_13target_configIS4_NS1_20scan_config_selectorIS6_EENS1_11comp_targetILNS1_3genE9ELNS1_11target_archE1100ELNS1_3gpuE3ELNS1_3repE0EEELNS0_4arch9wavefront6targetE0EEEEEDaSQ_, .Lfunc_end521-_ZZZN7rocprim17ROCPRIM_400000_NS6detail9scan_implILNS1_25lookback_scan_determinismE0ELb0ELb0ENS0_14default_configEPKN3c108BFloat16EPS6_S6_ZZZN2at6native31launch_logcumsumexp_cuda_kernelERKNSA_10TensorBaseESE_lENKUlvE_clEvENKUlvE4_clEvEUlS6_S6_E_S6_EEDaPvRmT3_T4_T5_mT6_P12ihipStream_tbENKUlT_T0_E_clISt17integral_constantIbLb0EESU_IbLb1EEEEDaSQ_SR_ENKUlSQ_E_clINS1_13target_configIS4_NS1_20scan_config_selectorIS6_EENS1_11comp_targetILNS1_3genE9ELNS1_11target_archE1100ELNS1_3gpuE3ELNS1_3repE0EEELNS0_4arch9wavefront6targetE0EEEEEDaSQ_
                                        ; -- End function
	.section	.AMDGPU.csdata,"",@progbits
; Function info:
; codeLenInByte = 118064
; NumSgprs: 35
; NumVgprs: 199
; ScratchSize: 8
; MemoryBound: 0
	.section	.text._ZN7rocprim17ROCPRIM_400000_NS6detail17trampoline_kernelINS0_14default_configENS1_20scan_config_selectorIN3c108BFloat16EEEZZNS1_9scan_implILNS1_25lookback_scan_determinismE0ELb0ELb0ES3_PKS6_PS6_S6_ZZZN2at6native31launch_logcumsumexp_cuda_kernelERKNSD_10TensorBaseESH_lENKUlvE_clEvENKUlvE4_clEvEUlS6_S6_E_S6_EEDaPvRmT3_T4_T5_mT6_P12ihipStream_tbENKUlT_T0_E_clISt17integral_constantIbLb0EESX_IbLb1EEEEDaST_SU_EUlST_E_NS1_11comp_targetILNS1_3genE9ELNS1_11target_archE1100ELNS1_3gpuE3ELNS1_3repE0EEENS1_30default_config_static_selectorELNS0_4arch9wavefront6targetE0EEEvT1_,"axG",@progbits,_ZN7rocprim17ROCPRIM_400000_NS6detail17trampoline_kernelINS0_14default_configENS1_20scan_config_selectorIN3c108BFloat16EEEZZNS1_9scan_implILNS1_25lookback_scan_determinismE0ELb0ELb0ES3_PKS6_PS6_S6_ZZZN2at6native31launch_logcumsumexp_cuda_kernelERKNSD_10TensorBaseESH_lENKUlvE_clEvENKUlvE4_clEvEUlS6_S6_E_S6_EEDaPvRmT3_T4_T5_mT6_P12ihipStream_tbENKUlT_T0_E_clISt17integral_constantIbLb0EESX_IbLb1EEEEDaST_SU_EUlST_E_NS1_11comp_targetILNS1_3genE9ELNS1_11target_archE1100ELNS1_3gpuE3ELNS1_3repE0EEENS1_30default_config_static_selectorELNS0_4arch9wavefront6targetE0EEEvT1_,comdat
	.globl	_ZN7rocprim17ROCPRIM_400000_NS6detail17trampoline_kernelINS0_14default_configENS1_20scan_config_selectorIN3c108BFloat16EEEZZNS1_9scan_implILNS1_25lookback_scan_determinismE0ELb0ELb0ES3_PKS6_PS6_S6_ZZZN2at6native31launch_logcumsumexp_cuda_kernelERKNSD_10TensorBaseESH_lENKUlvE_clEvENKUlvE4_clEvEUlS6_S6_E_S6_EEDaPvRmT3_T4_T5_mT6_P12ihipStream_tbENKUlT_T0_E_clISt17integral_constantIbLb0EESX_IbLb1EEEEDaST_SU_EUlST_E_NS1_11comp_targetILNS1_3genE9ELNS1_11target_archE1100ELNS1_3gpuE3ELNS1_3repE0EEENS1_30default_config_static_selectorELNS0_4arch9wavefront6targetE0EEEvT1_ ; -- Begin function _ZN7rocprim17ROCPRIM_400000_NS6detail17trampoline_kernelINS0_14default_configENS1_20scan_config_selectorIN3c108BFloat16EEEZZNS1_9scan_implILNS1_25lookback_scan_determinismE0ELb0ELb0ES3_PKS6_PS6_S6_ZZZN2at6native31launch_logcumsumexp_cuda_kernelERKNSD_10TensorBaseESH_lENKUlvE_clEvENKUlvE4_clEvEUlS6_S6_E_S6_EEDaPvRmT3_T4_T5_mT6_P12ihipStream_tbENKUlT_T0_E_clISt17integral_constantIbLb0EESX_IbLb1EEEEDaST_SU_EUlST_E_NS1_11comp_targetILNS1_3genE9ELNS1_11target_archE1100ELNS1_3gpuE3ELNS1_3repE0EEENS1_30default_config_static_selectorELNS0_4arch9wavefront6targetE0EEEvT1_
	.p2align	8
	.type	_ZN7rocprim17ROCPRIM_400000_NS6detail17trampoline_kernelINS0_14default_configENS1_20scan_config_selectorIN3c108BFloat16EEEZZNS1_9scan_implILNS1_25lookback_scan_determinismE0ELb0ELb0ES3_PKS6_PS6_S6_ZZZN2at6native31launch_logcumsumexp_cuda_kernelERKNSD_10TensorBaseESH_lENKUlvE_clEvENKUlvE4_clEvEUlS6_S6_E_S6_EEDaPvRmT3_T4_T5_mT6_P12ihipStream_tbENKUlT_T0_E_clISt17integral_constantIbLb0EESX_IbLb1EEEEDaST_SU_EUlST_E_NS1_11comp_targetILNS1_3genE9ELNS1_11target_archE1100ELNS1_3gpuE3ELNS1_3repE0EEENS1_30default_config_static_selectorELNS0_4arch9wavefront6targetE0EEEvT1_,@function
_ZN7rocprim17ROCPRIM_400000_NS6detail17trampoline_kernelINS0_14default_configENS1_20scan_config_selectorIN3c108BFloat16EEEZZNS1_9scan_implILNS1_25lookback_scan_determinismE0ELb0ELb0ES3_PKS6_PS6_S6_ZZZN2at6native31launch_logcumsumexp_cuda_kernelERKNSD_10TensorBaseESH_lENKUlvE_clEvENKUlvE4_clEvEUlS6_S6_E_S6_EEDaPvRmT3_T4_T5_mT6_P12ihipStream_tbENKUlT_T0_E_clISt17integral_constantIbLb0EESX_IbLb1EEEEDaST_SU_EUlST_E_NS1_11comp_targetILNS1_3genE9ELNS1_11target_archE1100ELNS1_3gpuE3ELNS1_3repE0EEENS1_30default_config_static_selectorELNS0_4arch9wavefront6targetE0EEEvT1_: ; @_ZN7rocprim17ROCPRIM_400000_NS6detail17trampoline_kernelINS0_14default_configENS1_20scan_config_selectorIN3c108BFloat16EEEZZNS1_9scan_implILNS1_25lookback_scan_determinismE0ELb0ELb0ES3_PKS6_PS6_S6_ZZZN2at6native31launch_logcumsumexp_cuda_kernelERKNSD_10TensorBaseESH_lENKUlvE_clEvENKUlvE4_clEvEUlS6_S6_E_S6_EEDaPvRmT3_T4_T5_mT6_P12ihipStream_tbENKUlT_T0_E_clISt17integral_constantIbLb0EESX_IbLb1EEEEDaST_SU_EUlST_E_NS1_11comp_targetILNS1_3genE9ELNS1_11target_archE1100ELNS1_3gpuE3ELNS1_3repE0EEENS1_30default_config_static_selectorELNS0_4arch9wavefront6targetE0EEEvT1_
; %bb.0:
	s_clause 0x2
	s_load_b256 s[12:19], s[0:1], 0x0
	s_load_b256 s[20:27], s[0:1], 0x20
	s_load_b256 s[36:43], s[0:1], 0x40
	v_mov_b32_e32 v31, v0
	s_mov_b64 s[2:3], src_private_base
	s_add_u32 s8, s0, 0x60
	s_addc_u32 s9, s1, 0
	s_movk_i32 s32, 0x70
	s_getpc_b64 s[0:1]
	s_add_u32 s0, s0, _ZZZN7rocprim17ROCPRIM_400000_NS6detail9scan_implILNS1_25lookback_scan_determinismE0ELb0ELb0ENS0_14default_configEPKN3c108BFloat16EPS6_S6_ZZZN2at6native31launch_logcumsumexp_cuda_kernelERKNSA_10TensorBaseESE_lENKUlvE_clEvENKUlvE4_clEvEUlS6_S6_E_S6_EEDaPvRmT3_T4_T5_mT6_P12ihipStream_tbENKUlT_T0_E_clISt17integral_constantIbLb0EESU_IbLb1EEEEDaSQ_SR_ENKUlSQ_E_clINS1_13target_configIS4_NS1_20scan_config_selectorIS6_EENS1_11comp_targetILNS1_3genE9ELNS1_11target_archE1100ELNS1_3gpuE3ELNS1_3repE0EEELNS0_4arch9wavefront6targetE0EEEEEDaSQ_@rel32@lo+4
	s_addc_u32 s1, s1, _ZZZN7rocprim17ROCPRIM_400000_NS6detail9scan_implILNS1_25lookback_scan_determinismE0ELb0ELb0ENS0_14default_configEPKN3c108BFloat16EPS6_S6_ZZZN2at6native31launch_logcumsumexp_cuda_kernelERKNSA_10TensorBaseESE_lENKUlvE_clEvENKUlvE4_clEvEUlS6_S6_E_S6_EEDaPvRmT3_T4_T5_mT6_P12ihipStream_tbENKUlT_T0_E_clISt17integral_constantIbLb0EESU_IbLb1EEEEDaSQ_SR_ENKUlSQ_E_clINS1_13target_configIS4_NS1_20scan_config_selectorIS6_EENS1_11comp_targetILNS1_3genE9ELNS1_11target_archE1100ELNS1_3gpuE3ELNS1_3repE0EEELNS0_4arch9wavefront6targetE0EEEEEDaSQ_@rel32@hi+12
	s_waitcnt lgkmcnt(0)
	v_dual_mov_b32 v0, s12 :: v_dual_mov_b32 v1, s13
	v_dual_mov_b32 v2, s14 :: v_dual_mov_b32 v3, s15
	;; [unrolled: 1-line block ×12, first 2 shown]
	s_clause 0x5
	scratch_store_b128 off, v[0:3], off
	scratch_store_b128 off, v[4:7], off offset:16
	scratch_store_b128 off, v[8:11], off offset:32
	;; [unrolled: 1-line block ×5, first 2 shown]
	v_dual_mov_b32 v0, 0 :: v_dual_mov_b32 v1, s3
	s_swappc_b64 s[30:31], s[0:1]
	s_endpgm
	.section	.rodata,"a",@progbits
	.p2align	6, 0x0
	.amdhsa_kernel _ZN7rocprim17ROCPRIM_400000_NS6detail17trampoline_kernelINS0_14default_configENS1_20scan_config_selectorIN3c108BFloat16EEEZZNS1_9scan_implILNS1_25lookback_scan_determinismE0ELb0ELb0ES3_PKS6_PS6_S6_ZZZN2at6native31launch_logcumsumexp_cuda_kernelERKNSD_10TensorBaseESH_lENKUlvE_clEvENKUlvE4_clEvEUlS6_S6_E_S6_EEDaPvRmT3_T4_T5_mT6_P12ihipStream_tbENKUlT_T0_E_clISt17integral_constantIbLb0EESX_IbLb1EEEEDaST_SU_EUlST_E_NS1_11comp_targetILNS1_3genE9ELNS1_11target_archE1100ELNS1_3gpuE3ELNS1_3repE0EEENS1_30default_config_static_selectorELNS0_4arch9wavefront6targetE0EEEvT1_
		.amdhsa_group_segment_fixed_size 2816
		.amdhsa_private_segment_fixed_size 120
		.amdhsa_kernarg_size 352
		.amdhsa_user_sgpr_count 15
		.amdhsa_user_sgpr_dispatch_ptr 0
		.amdhsa_user_sgpr_queue_ptr 0
		.amdhsa_user_sgpr_kernarg_segment_ptr 1
		.amdhsa_user_sgpr_dispatch_id 0
		.amdhsa_user_sgpr_private_segment_size 0
		.amdhsa_wavefront_size32 1
		.amdhsa_uses_dynamic_stack 0
		.amdhsa_enable_private_segment 1
		.amdhsa_system_sgpr_workgroup_id_x 1
		.amdhsa_system_sgpr_workgroup_id_y 0
		.amdhsa_system_sgpr_workgroup_id_z 0
		.amdhsa_system_sgpr_workgroup_info 0
		.amdhsa_system_vgpr_workitem_id 0
		.amdhsa_next_free_vgpr 199
		.amdhsa_next_free_sgpr 44
		.amdhsa_reserve_vcc 1
		.amdhsa_float_round_mode_32 0
		.amdhsa_float_round_mode_16_64 0
		.amdhsa_float_denorm_mode_32 3
		.amdhsa_float_denorm_mode_16_64 3
		.amdhsa_dx10_clamp 1
		.amdhsa_ieee_mode 1
		.amdhsa_fp16_overflow 0
		.amdhsa_workgroup_processor_mode 1
		.amdhsa_memory_ordered 1
		.amdhsa_forward_progress 0
		.amdhsa_shared_vgpr_count 0
		.amdhsa_exception_fp_ieee_invalid_op 0
		.amdhsa_exception_fp_denorm_src 0
		.amdhsa_exception_fp_ieee_div_zero 0
		.amdhsa_exception_fp_ieee_overflow 0
		.amdhsa_exception_fp_ieee_underflow 0
		.amdhsa_exception_fp_ieee_inexact 0
		.amdhsa_exception_int_div_zero 0
	.end_amdhsa_kernel
	.section	.text._ZN7rocprim17ROCPRIM_400000_NS6detail17trampoline_kernelINS0_14default_configENS1_20scan_config_selectorIN3c108BFloat16EEEZZNS1_9scan_implILNS1_25lookback_scan_determinismE0ELb0ELb0ES3_PKS6_PS6_S6_ZZZN2at6native31launch_logcumsumexp_cuda_kernelERKNSD_10TensorBaseESH_lENKUlvE_clEvENKUlvE4_clEvEUlS6_S6_E_S6_EEDaPvRmT3_T4_T5_mT6_P12ihipStream_tbENKUlT_T0_E_clISt17integral_constantIbLb0EESX_IbLb1EEEEDaST_SU_EUlST_E_NS1_11comp_targetILNS1_3genE9ELNS1_11target_archE1100ELNS1_3gpuE3ELNS1_3repE0EEENS1_30default_config_static_selectorELNS0_4arch9wavefront6targetE0EEEvT1_,"axG",@progbits,_ZN7rocprim17ROCPRIM_400000_NS6detail17trampoline_kernelINS0_14default_configENS1_20scan_config_selectorIN3c108BFloat16EEEZZNS1_9scan_implILNS1_25lookback_scan_determinismE0ELb0ELb0ES3_PKS6_PS6_S6_ZZZN2at6native31launch_logcumsumexp_cuda_kernelERKNSD_10TensorBaseESH_lENKUlvE_clEvENKUlvE4_clEvEUlS6_S6_E_S6_EEDaPvRmT3_T4_T5_mT6_P12ihipStream_tbENKUlT_T0_E_clISt17integral_constantIbLb0EESX_IbLb1EEEEDaST_SU_EUlST_E_NS1_11comp_targetILNS1_3genE9ELNS1_11target_archE1100ELNS1_3gpuE3ELNS1_3repE0EEENS1_30default_config_static_selectorELNS0_4arch9wavefront6targetE0EEEvT1_,comdat
.Lfunc_end522:
	.size	_ZN7rocprim17ROCPRIM_400000_NS6detail17trampoline_kernelINS0_14default_configENS1_20scan_config_selectorIN3c108BFloat16EEEZZNS1_9scan_implILNS1_25lookback_scan_determinismE0ELb0ELb0ES3_PKS6_PS6_S6_ZZZN2at6native31launch_logcumsumexp_cuda_kernelERKNSD_10TensorBaseESH_lENKUlvE_clEvENKUlvE4_clEvEUlS6_S6_E_S6_EEDaPvRmT3_T4_T5_mT6_P12ihipStream_tbENKUlT_T0_E_clISt17integral_constantIbLb0EESX_IbLb1EEEEDaST_SU_EUlST_E_NS1_11comp_targetILNS1_3genE9ELNS1_11target_archE1100ELNS1_3gpuE3ELNS1_3repE0EEENS1_30default_config_static_selectorELNS0_4arch9wavefront6targetE0EEEvT1_, .Lfunc_end522-_ZN7rocprim17ROCPRIM_400000_NS6detail17trampoline_kernelINS0_14default_configENS1_20scan_config_selectorIN3c108BFloat16EEEZZNS1_9scan_implILNS1_25lookback_scan_determinismE0ELb0ELb0ES3_PKS6_PS6_S6_ZZZN2at6native31launch_logcumsumexp_cuda_kernelERKNSD_10TensorBaseESH_lENKUlvE_clEvENKUlvE4_clEvEUlS6_S6_E_S6_EEDaPvRmT3_T4_T5_mT6_P12ihipStream_tbENKUlT_T0_E_clISt17integral_constantIbLb0EESX_IbLb1EEEEDaST_SU_EUlST_E_NS1_11comp_targetILNS1_3genE9ELNS1_11target_archE1100ELNS1_3gpuE3ELNS1_3repE0EEENS1_30default_config_static_selectorELNS0_4arch9wavefront6targetE0EEEvT1_
                                        ; -- End function
	.section	.AMDGPU.csdata,"",@progbits
; Kernel info:
; codeLenInByte = 240
; NumSgprs: 46
; NumVgprs: 199
; ScratchSize: 120
; MemoryBound: 0
; FloatMode: 240
; IeeeMode: 1
; LDSByteSize: 2816 bytes/workgroup (compile time only)
; SGPRBlocks: 5
; VGPRBlocks: 24
; NumSGPRsForWavesPerEU: 46
; NumVGPRsForWavesPerEU: 199
; Occupancy: 7
; WaveLimiterHint : 1
; COMPUTE_PGM_RSRC2:SCRATCH_EN: 1
; COMPUTE_PGM_RSRC2:USER_SGPR: 15
; COMPUTE_PGM_RSRC2:TRAP_HANDLER: 0
; COMPUTE_PGM_RSRC2:TGID_X_EN: 1
; COMPUTE_PGM_RSRC2:TGID_Y_EN: 0
; COMPUTE_PGM_RSRC2:TGID_Z_EN: 0
; COMPUTE_PGM_RSRC2:TIDIG_COMP_CNT: 0
	.section	.text._ZN7rocprim17ROCPRIM_400000_NS6detail17trampoline_kernelINS0_14default_configENS1_20scan_config_selectorIN3c108BFloat16EEEZZNS1_9scan_implILNS1_25lookback_scan_determinismE0ELb0ELb0ES3_PKS6_PS6_S6_ZZZN2at6native31launch_logcumsumexp_cuda_kernelERKNSD_10TensorBaseESH_lENKUlvE_clEvENKUlvE4_clEvEUlS6_S6_E_S6_EEDaPvRmT3_T4_T5_mT6_P12ihipStream_tbENKUlT_T0_E_clISt17integral_constantIbLb0EESX_IbLb1EEEEDaST_SU_EUlST_E_NS1_11comp_targetILNS1_3genE8ELNS1_11target_archE1030ELNS1_3gpuE2ELNS1_3repE0EEENS1_30default_config_static_selectorELNS0_4arch9wavefront6targetE0EEEvT1_,"axG",@progbits,_ZN7rocprim17ROCPRIM_400000_NS6detail17trampoline_kernelINS0_14default_configENS1_20scan_config_selectorIN3c108BFloat16EEEZZNS1_9scan_implILNS1_25lookback_scan_determinismE0ELb0ELb0ES3_PKS6_PS6_S6_ZZZN2at6native31launch_logcumsumexp_cuda_kernelERKNSD_10TensorBaseESH_lENKUlvE_clEvENKUlvE4_clEvEUlS6_S6_E_S6_EEDaPvRmT3_T4_T5_mT6_P12ihipStream_tbENKUlT_T0_E_clISt17integral_constantIbLb0EESX_IbLb1EEEEDaST_SU_EUlST_E_NS1_11comp_targetILNS1_3genE8ELNS1_11target_archE1030ELNS1_3gpuE2ELNS1_3repE0EEENS1_30default_config_static_selectorELNS0_4arch9wavefront6targetE0EEEvT1_,comdat
	.globl	_ZN7rocprim17ROCPRIM_400000_NS6detail17trampoline_kernelINS0_14default_configENS1_20scan_config_selectorIN3c108BFloat16EEEZZNS1_9scan_implILNS1_25lookback_scan_determinismE0ELb0ELb0ES3_PKS6_PS6_S6_ZZZN2at6native31launch_logcumsumexp_cuda_kernelERKNSD_10TensorBaseESH_lENKUlvE_clEvENKUlvE4_clEvEUlS6_S6_E_S6_EEDaPvRmT3_T4_T5_mT6_P12ihipStream_tbENKUlT_T0_E_clISt17integral_constantIbLb0EESX_IbLb1EEEEDaST_SU_EUlST_E_NS1_11comp_targetILNS1_3genE8ELNS1_11target_archE1030ELNS1_3gpuE2ELNS1_3repE0EEENS1_30default_config_static_selectorELNS0_4arch9wavefront6targetE0EEEvT1_ ; -- Begin function _ZN7rocprim17ROCPRIM_400000_NS6detail17trampoline_kernelINS0_14default_configENS1_20scan_config_selectorIN3c108BFloat16EEEZZNS1_9scan_implILNS1_25lookback_scan_determinismE0ELb0ELb0ES3_PKS6_PS6_S6_ZZZN2at6native31launch_logcumsumexp_cuda_kernelERKNSD_10TensorBaseESH_lENKUlvE_clEvENKUlvE4_clEvEUlS6_S6_E_S6_EEDaPvRmT3_T4_T5_mT6_P12ihipStream_tbENKUlT_T0_E_clISt17integral_constantIbLb0EESX_IbLb1EEEEDaST_SU_EUlST_E_NS1_11comp_targetILNS1_3genE8ELNS1_11target_archE1030ELNS1_3gpuE2ELNS1_3repE0EEENS1_30default_config_static_selectorELNS0_4arch9wavefront6targetE0EEEvT1_
	.p2align	8
	.type	_ZN7rocprim17ROCPRIM_400000_NS6detail17trampoline_kernelINS0_14default_configENS1_20scan_config_selectorIN3c108BFloat16EEEZZNS1_9scan_implILNS1_25lookback_scan_determinismE0ELb0ELb0ES3_PKS6_PS6_S6_ZZZN2at6native31launch_logcumsumexp_cuda_kernelERKNSD_10TensorBaseESH_lENKUlvE_clEvENKUlvE4_clEvEUlS6_S6_E_S6_EEDaPvRmT3_T4_T5_mT6_P12ihipStream_tbENKUlT_T0_E_clISt17integral_constantIbLb0EESX_IbLb1EEEEDaST_SU_EUlST_E_NS1_11comp_targetILNS1_3genE8ELNS1_11target_archE1030ELNS1_3gpuE2ELNS1_3repE0EEENS1_30default_config_static_selectorELNS0_4arch9wavefront6targetE0EEEvT1_,@function
_ZN7rocprim17ROCPRIM_400000_NS6detail17trampoline_kernelINS0_14default_configENS1_20scan_config_selectorIN3c108BFloat16EEEZZNS1_9scan_implILNS1_25lookback_scan_determinismE0ELb0ELb0ES3_PKS6_PS6_S6_ZZZN2at6native31launch_logcumsumexp_cuda_kernelERKNSD_10TensorBaseESH_lENKUlvE_clEvENKUlvE4_clEvEUlS6_S6_E_S6_EEDaPvRmT3_T4_T5_mT6_P12ihipStream_tbENKUlT_T0_E_clISt17integral_constantIbLb0EESX_IbLb1EEEEDaST_SU_EUlST_E_NS1_11comp_targetILNS1_3genE8ELNS1_11target_archE1030ELNS1_3gpuE2ELNS1_3repE0EEENS1_30default_config_static_selectorELNS0_4arch9wavefront6targetE0EEEvT1_: ; @_ZN7rocprim17ROCPRIM_400000_NS6detail17trampoline_kernelINS0_14default_configENS1_20scan_config_selectorIN3c108BFloat16EEEZZNS1_9scan_implILNS1_25lookback_scan_determinismE0ELb0ELb0ES3_PKS6_PS6_S6_ZZZN2at6native31launch_logcumsumexp_cuda_kernelERKNSD_10TensorBaseESH_lENKUlvE_clEvENKUlvE4_clEvEUlS6_S6_E_S6_EEDaPvRmT3_T4_T5_mT6_P12ihipStream_tbENKUlT_T0_E_clISt17integral_constantIbLb0EESX_IbLb1EEEEDaST_SU_EUlST_E_NS1_11comp_targetILNS1_3genE8ELNS1_11target_archE1030ELNS1_3gpuE2ELNS1_3repE0EEENS1_30default_config_static_selectorELNS0_4arch9wavefront6targetE0EEEvT1_
; %bb.0:
	.section	.rodata,"a",@progbits
	.p2align	6, 0x0
	.amdhsa_kernel _ZN7rocprim17ROCPRIM_400000_NS6detail17trampoline_kernelINS0_14default_configENS1_20scan_config_selectorIN3c108BFloat16EEEZZNS1_9scan_implILNS1_25lookback_scan_determinismE0ELb0ELb0ES3_PKS6_PS6_S6_ZZZN2at6native31launch_logcumsumexp_cuda_kernelERKNSD_10TensorBaseESH_lENKUlvE_clEvENKUlvE4_clEvEUlS6_S6_E_S6_EEDaPvRmT3_T4_T5_mT6_P12ihipStream_tbENKUlT_T0_E_clISt17integral_constantIbLb0EESX_IbLb1EEEEDaST_SU_EUlST_E_NS1_11comp_targetILNS1_3genE8ELNS1_11target_archE1030ELNS1_3gpuE2ELNS1_3repE0EEENS1_30default_config_static_selectorELNS0_4arch9wavefront6targetE0EEEvT1_
		.amdhsa_group_segment_fixed_size 0
		.amdhsa_private_segment_fixed_size 0
		.amdhsa_kernarg_size 96
		.amdhsa_user_sgpr_count 15
		.amdhsa_user_sgpr_dispatch_ptr 0
		.amdhsa_user_sgpr_queue_ptr 0
		.amdhsa_user_sgpr_kernarg_segment_ptr 1
		.amdhsa_user_sgpr_dispatch_id 0
		.amdhsa_user_sgpr_private_segment_size 0
		.amdhsa_wavefront_size32 1
		.amdhsa_uses_dynamic_stack 0
		.amdhsa_enable_private_segment 0
		.amdhsa_system_sgpr_workgroup_id_x 1
		.amdhsa_system_sgpr_workgroup_id_y 0
		.amdhsa_system_sgpr_workgroup_id_z 0
		.amdhsa_system_sgpr_workgroup_info 0
		.amdhsa_system_vgpr_workitem_id 0
		.amdhsa_next_free_vgpr 1
		.amdhsa_next_free_sgpr 1
		.amdhsa_reserve_vcc 0
		.amdhsa_float_round_mode_32 0
		.amdhsa_float_round_mode_16_64 0
		.amdhsa_float_denorm_mode_32 3
		.amdhsa_float_denorm_mode_16_64 3
		.amdhsa_dx10_clamp 1
		.amdhsa_ieee_mode 1
		.amdhsa_fp16_overflow 0
		.amdhsa_workgroup_processor_mode 1
		.amdhsa_memory_ordered 1
		.amdhsa_forward_progress 0
		.amdhsa_shared_vgpr_count 0
		.amdhsa_exception_fp_ieee_invalid_op 0
		.amdhsa_exception_fp_denorm_src 0
		.amdhsa_exception_fp_ieee_div_zero 0
		.amdhsa_exception_fp_ieee_overflow 0
		.amdhsa_exception_fp_ieee_underflow 0
		.amdhsa_exception_fp_ieee_inexact 0
		.amdhsa_exception_int_div_zero 0
	.end_amdhsa_kernel
	.section	.text._ZN7rocprim17ROCPRIM_400000_NS6detail17trampoline_kernelINS0_14default_configENS1_20scan_config_selectorIN3c108BFloat16EEEZZNS1_9scan_implILNS1_25lookback_scan_determinismE0ELb0ELb0ES3_PKS6_PS6_S6_ZZZN2at6native31launch_logcumsumexp_cuda_kernelERKNSD_10TensorBaseESH_lENKUlvE_clEvENKUlvE4_clEvEUlS6_S6_E_S6_EEDaPvRmT3_T4_T5_mT6_P12ihipStream_tbENKUlT_T0_E_clISt17integral_constantIbLb0EESX_IbLb1EEEEDaST_SU_EUlST_E_NS1_11comp_targetILNS1_3genE8ELNS1_11target_archE1030ELNS1_3gpuE2ELNS1_3repE0EEENS1_30default_config_static_selectorELNS0_4arch9wavefront6targetE0EEEvT1_,"axG",@progbits,_ZN7rocprim17ROCPRIM_400000_NS6detail17trampoline_kernelINS0_14default_configENS1_20scan_config_selectorIN3c108BFloat16EEEZZNS1_9scan_implILNS1_25lookback_scan_determinismE0ELb0ELb0ES3_PKS6_PS6_S6_ZZZN2at6native31launch_logcumsumexp_cuda_kernelERKNSD_10TensorBaseESH_lENKUlvE_clEvENKUlvE4_clEvEUlS6_S6_E_S6_EEDaPvRmT3_T4_T5_mT6_P12ihipStream_tbENKUlT_T0_E_clISt17integral_constantIbLb0EESX_IbLb1EEEEDaST_SU_EUlST_E_NS1_11comp_targetILNS1_3genE8ELNS1_11target_archE1030ELNS1_3gpuE2ELNS1_3repE0EEENS1_30default_config_static_selectorELNS0_4arch9wavefront6targetE0EEEvT1_,comdat
.Lfunc_end523:
	.size	_ZN7rocprim17ROCPRIM_400000_NS6detail17trampoline_kernelINS0_14default_configENS1_20scan_config_selectorIN3c108BFloat16EEEZZNS1_9scan_implILNS1_25lookback_scan_determinismE0ELb0ELb0ES3_PKS6_PS6_S6_ZZZN2at6native31launch_logcumsumexp_cuda_kernelERKNSD_10TensorBaseESH_lENKUlvE_clEvENKUlvE4_clEvEUlS6_S6_E_S6_EEDaPvRmT3_T4_T5_mT6_P12ihipStream_tbENKUlT_T0_E_clISt17integral_constantIbLb0EESX_IbLb1EEEEDaST_SU_EUlST_E_NS1_11comp_targetILNS1_3genE8ELNS1_11target_archE1030ELNS1_3gpuE2ELNS1_3repE0EEENS1_30default_config_static_selectorELNS0_4arch9wavefront6targetE0EEEvT1_, .Lfunc_end523-_ZN7rocprim17ROCPRIM_400000_NS6detail17trampoline_kernelINS0_14default_configENS1_20scan_config_selectorIN3c108BFloat16EEEZZNS1_9scan_implILNS1_25lookback_scan_determinismE0ELb0ELb0ES3_PKS6_PS6_S6_ZZZN2at6native31launch_logcumsumexp_cuda_kernelERKNSD_10TensorBaseESH_lENKUlvE_clEvENKUlvE4_clEvEUlS6_S6_E_S6_EEDaPvRmT3_T4_T5_mT6_P12ihipStream_tbENKUlT_T0_E_clISt17integral_constantIbLb0EESX_IbLb1EEEEDaST_SU_EUlST_E_NS1_11comp_targetILNS1_3genE8ELNS1_11target_archE1030ELNS1_3gpuE2ELNS1_3repE0EEENS1_30default_config_static_selectorELNS0_4arch9wavefront6targetE0EEEvT1_
                                        ; -- End function
	.section	.AMDGPU.csdata,"",@progbits
; Kernel info:
; codeLenInByte = 0
; NumSgprs: 0
; NumVgprs: 0
; ScratchSize: 0
; MemoryBound: 0
; FloatMode: 240
; IeeeMode: 1
; LDSByteSize: 0 bytes/workgroup (compile time only)
; SGPRBlocks: 0
; VGPRBlocks: 0
; NumSGPRsForWavesPerEU: 1
; NumVGPRsForWavesPerEU: 1
; Occupancy: 16
; WaveLimiterHint : 0
; COMPUTE_PGM_RSRC2:SCRATCH_EN: 0
; COMPUTE_PGM_RSRC2:USER_SGPR: 15
; COMPUTE_PGM_RSRC2:TRAP_HANDLER: 0
; COMPUTE_PGM_RSRC2:TGID_X_EN: 1
; COMPUTE_PGM_RSRC2:TGID_Y_EN: 0
; COMPUTE_PGM_RSRC2:TGID_Z_EN: 0
; COMPUTE_PGM_RSRC2:TIDIG_COMP_CNT: 0
	.section	.text._ZN7rocprim17ROCPRIM_400000_NS6detail17trampoline_kernelINS0_14default_configENS1_20scan_config_selectorIN3c108BFloat16EEEZZNS1_9scan_implILNS1_25lookback_scan_determinismE0ELb0ELb0ES3_PKS6_PS6_S6_ZZZN2at6native31launch_logcumsumexp_cuda_kernelERKNSD_10TensorBaseESH_lENKUlvE_clEvENKUlvE4_clEvEUlS6_S6_E_S6_EEDaPvRmT3_T4_T5_mT6_P12ihipStream_tbENKUlT_T0_E_clISt17integral_constantIbLb0EESX_IbLb1EEEEDaST_SU_EUlST_E0_NS1_11comp_targetILNS1_3genE0ELNS1_11target_archE4294967295ELNS1_3gpuE0ELNS1_3repE0EEENS1_30default_config_static_selectorELNS0_4arch9wavefront6targetE0EEEvT1_,"axG",@progbits,_ZN7rocprim17ROCPRIM_400000_NS6detail17trampoline_kernelINS0_14default_configENS1_20scan_config_selectorIN3c108BFloat16EEEZZNS1_9scan_implILNS1_25lookback_scan_determinismE0ELb0ELb0ES3_PKS6_PS6_S6_ZZZN2at6native31launch_logcumsumexp_cuda_kernelERKNSD_10TensorBaseESH_lENKUlvE_clEvENKUlvE4_clEvEUlS6_S6_E_S6_EEDaPvRmT3_T4_T5_mT6_P12ihipStream_tbENKUlT_T0_E_clISt17integral_constantIbLb0EESX_IbLb1EEEEDaST_SU_EUlST_E0_NS1_11comp_targetILNS1_3genE0ELNS1_11target_archE4294967295ELNS1_3gpuE0ELNS1_3repE0EEENS1_30default_config_static_selectorELNS0_4arch9wavefront6targetE0EEEvT1_,comdat
	.globl	_ZN7rocprim17ROCPRIM_400000_NS6detail17trampoline_kernelINS0_14default_configENS1_20scan_config_selectorIN3c108BFloat16EEEZZNS1_9scan_implILNS1_25lookback_scan_determinismE0ELb0ELb0ES3_PKS6_PS6_S6_ZZZN2at6native31launch_logcumsumexp_cuda_kernelERKNSD_10TensorBaseESH_lENKUlvE_clEvENKUlvE4_clEvEUlS6_S6_E_S6_EEDaPvRmT3_T4_T5_mT6_P12ihipStream_tbENKUlT_T0_E_clISt17integral_constantIbLb0EESX_IbLb1EEEEDaST_SU_EUlST_E0_NS1_11comp_targetILNS1_3genE0ELNS1_11target_archE4294967295ELNS1_3gpuE0ELNS1_3repE0EEENS1_30default_config_static_selectorELNS0_4arch9wavefront6targetE0EEEvT1_ ; -- Begin function _ZN7rocprim17ROCPRIM_400000_NS6detail17trampoline_kernelINS0_14default_configENS1_20scan_config_selectorIN3c108BFloat16EEEZZNS1_9scan_implILNS1_25lookback_scan_determinismE0ELb0ELb0ES3_PKS6_PS6_S6_ZZZN2at6native31launch_logcumsumexp_cuda_kernelERKNSD_10TensorBaseESH_lENKUlvE_clEvENKUlvE4_clEvEUlS6_S6_E_S6_EEDaPvRmT3_T4_T5_mT6_P12ihipStream_tbENKUlT_T0_E_clISt17integral_constantIbLb0EESX_IbLb1EEEEDaST_SU_EUlST_E0_NS1_11comp_targetILNS1_3genE0ELNS1_11target_archE4294967295ELNS1_3gpuE0ELNS1_3repE0EEENS1_30default_config_static_selectorELNS0_4arch9wavefront6targetE0EEEvT1_
	.p2align	8
	.type	_ZN7rocprim17ROCPRIM_400000_NS6detail17trampoline_kernelINS0_14default_configENS1_20scan_config_selectorIN3c108BFloat16EEEZZNS1_9scan_implILNS1_25lookback_scan_determinismE0ELb0ELb0ES3_PKS6_PS6_S6_ZZZN2at6native31launch_logcumsumexp_cuda_kernelERKNSD_10TensorBaseESH_lENKUlvE_clEvENKUlvE4_clEvEUlS6_S6_E_S6_EEDaPvRmT3_T4_T5_mT6_P12ihipStream_tbENKUlT_T0_E_clISt17integral_constantIbLb0EESX_IbLb1EEEEDaST_SU_EUlST_E0_NS1_11comp_targetILNS1_3genE0ELNS1_11target_archE4294967295ELNS1_3gpuE0ELNS1_3repE0EEENS1_30default_config_static_selectorELNS0_4arch9wavefront6targetE0EEEvT1_,@function
_ZN7rocprim17ROCPRIM_400000_NS6detail17trampoline_kernelINS0_14default_configENS1_20scan_config_selectorIN3c108BFloat16EEEZZNS1_9scan_implILNS1_25lookback_scan_determinismE0ELb0ELb0ES3_PKS6_PS6_S6_ZZZN2at6native31launch_logcumsumexp_cuda_kernelERKNSD_10TensorBaseESH_lENKUlvE_clEvENKUlvE4_clEvEUlS6_S6_E_S6_EEDaPvRmT3_T4_T5_mT6_P12ihipStream_tbENKUlT_T0_E_clISt17integral_constantIbLb0EESX_IbLb1EEEEDaST_SU_EUlST_E0_NS1_11comp_targetILNS1_3genE0ELNS1_11target_archE4294967295ELNS1_3gpuE0ELNS1_3repE0EEENS1_30default_config_static_selectorELNS0_4arch9wavefront6targetE0EEEvT1_: ; @_ZN7rocprim17ROCPRIM_400000_NS6detail17trampoline_kernelINS0_14default_configENS1_20scan_config_selectorIN3c108BFloat16EEEZZNS1_9scan_implILNS1_25lookback_scan_determinismE0ELb0ELb0ES3_PKS6_PS6_S6_ZZZN2at6native31launch_logcumsumexp_cuda_kernelERKNSD_10TensorBaseESH_lENKUlvE_clEvENKUlvE4_clEvEUlS6_S6_E_S6_EEDaPvRmT3_T4_T5_mT6_P12ihipStream_tbENKUlT_T0_E_clISt17integral_constantIbLb0EESX_IbLb1EEEEDaST_SU_EUlST_E0_NS1_11comp_targetILNS1_3genE0ELNS1_11target_archE4294967295ELNS1_3gpuE0ELNS1_3repE0EEENS1_30default_config_static_selectorELNS0_4arch9wavefront6targetE0EEEvT1_
; %bb.0:
	.section	.rodata,"a",@progbits
	.p2align	6, 0x0
	.amdhsa_kernel _ZN7rocprim17ROCPRIM_400000_NS6detail17trampoline_kernelINS0_14default_configENS1_20scan_config_selectorIN3c108BFloat16EEEZZNS1_9scan_implILNS1_25lookback_scan_determinismE0ELb0ELb0ES3_PKS6_PS6_S6_ZZZN2at6native31launch_logcumsumexp_cuda_kernelERKNSD_10TensorBaseESH_lENKUlvE_clEvENKUlvE4_clEvEUlS6_S6_E_S6_EEDaPvRmT3_T4_T5_mT6_P12ihipStream_tbENKUlT_T0_E_clISt17integral_constantIbLb0EESX_IbLb1EEEEDaST_SU_EUlST_E0_NS1_11comp_targetILNS1_3genE0ELNS1_11target_archE4294967295ELNS1_3gpuE0ELNS1_3repE0EEENS1_30default_config_static_selectorELNS0_4arch9wavefront6targetE0EEEvT1_
		.amdhsa_group_segment_fixed_size 0
		.amdhsa_private_segment_fixed_size 0
		.amdhsa_kernarg_size 32
		.amdhsa_user_sgpr_count 15
		.amdhsa_user_sgpr_dispatch_ptr 0
		.amdhsa_user_sgpr_queue_ptr 0
		.amdhsa_user_sgpr_kernarg_segment_ptr 1
		.amdhsa_user_sgpr_dispatch_id 0
		.amdhsa_user_sgpr_private_segment_size 0
		.amdhsa_wavefront_size32 1
		.amdhsa_uses_dynamic_stack 0
		.amdhsa_enable_private_segment 0
		.amdhsa_system_sgpr_workgroup_id_x 1
		.amdhsa_system_sgpr_workgroup_id_y 0
		.amdhsa_system_sgpr_workgroup_id_z 0
		.amdhsa_system_sgpr_workgroup_info 0
		.amdhsa_system_vgpr_workitem_id 0
		.amdhsa_next_free_vgpr 1
		.amdhsa_next_free_sgpr 1
		.amdhsa_reserve_vcc 0
		.amdhsa_float_round_mode_32 0
		.amdhsa_float_round_mode_16_64 0
		.amdhsa_float_denorm_mode_32 3
		.amdhsa_float_denorm_mode_16_64 3
		.amdhsa_dx10_clamp 1
		.amdhsa_ieee_mode 1
		.amdhsa_fp16_overflow 0
		.amdhsa_workgroup_processor_mode 1
		.amdhsa_memory_ordered 1
		.amdhsa_forward_progress 0
		.amdhsa_shared_vgpr_count 0
		.amdhsa_exception_fp_ieee_invalid_op 0
		.amdhsa_exception_fp_denorm_src 0
		.amdhsa_exception_fp_ieee_div_zero 0
		.amdhsa_exception_fp_ieee_overflow 0
		.amdhsa_exception_fp_ieee_underflow 0
		.amdhsa_exception_fp_ieee_inexact 0
		.amdhsa_exception_int_div_zero 0
	.end_amdhsa_kernel
	.section	.text._ZN7rocprim17ROCPRIM_400000_NS6detail17trampoline_kernelINS0_14default_configENS1_20scan_config_selectorIN3c108BFloat16EEEZZNS1_9scan_implILNS1_25lookback_scan_determinismE0ELb0ELb0ES3_PKS6_PS6_S6_ZZZN2at6native31launch_logcumsumexp_cuda_kernelERKNSD_10TensorBaseESH_lENKUlvE_clEvENKUlvE4_clEvEUlS6_S6_E_S6_EEDaPvRmT3_T4_T5_mT6_P12ihipStream_tbENKUlT_T0_E_clISt17integral_constantIbLb0EESX_IbLb1EEEEDaST_SU_EUlST_E0_NS1_11comp_targetILNS1_3genE0ELNS1_11target_archE4294967295ELNS1_3gpuE0ELNS1_3repE0EEENS1_30default_config_static_selectorELNS0_4arch9wavefront6targetE0EEEvT1_,"axG",@progbits,_ZN7rocprim17ROCPRIM_400000_NS6detail17trampoline_kernelINS0_14default_configENS1_20scan_config_selectorIN3c108BFloat16EEEZZNS1_9scan_implILNS1_25lookback_scan_determinismE0ELb0ELb0ES3_PKS6_PS6_S6_ZZZN2at6native31launch_logcumsumexp_cuda_kernelERKNSD_10TensorBaseESH_lENKUlvE_clEvENKUlvE4_clEvEUlS6_S6_E_S6_EEDaPvRmT3_T4_T5_mT6_P12ihipStream_tbENKUlT_T0_E_clISt17integral_constantIbLb0EESX_IbLb1EEEEDaST_SU_EUlST_E0_NS1_11comp_targetILNS1_3genE0ELNS1_11target_archE4294967295ELNS1_3gpuE0ELNS1_3repE0EEENS1_30default_config_static_selectorELNS0_4arch9wavefront6targetE0EEEvT1_,comdat
.Lfunc_end524:
	.size	_ZN7rocprim17ROCPRIM_400000_NS6detail17trampoline_kernelINS0_14default_configENS1_20scan_config_selectorIN3c108BFloat16EEEZZNS1_9scan_implILNS1_25lookback_scan_determinismE0ELb0ELb0ES3_PKS6_PS6_S6_ZZZN2at6native31launch_logcumsumexp_cuda_kernelERKNSD_10TensorBaseESH_lENKUlvE_clEvENKUlvE4_clEvEUlS6_S6_E_S6_EEDaPvRmT3_T4_T5_mT6_P12ihipStream_tbENKUlT_T0_E_clISt17integral_constantIbLb0EESX_IbLb1EEEEDaST_SU_EUlST_E0_NS1_11comp_targetILNS1_3genE0ELNS1_11target_archE4294967295ELNS1_3gpuE0ELNS1_3repE0EEENS1_30default_config_static_selectorELNS0_4arch9wavefront6targetE0EEEvT1_, .Lfunc_end524-_ZN7rocprim17ROCPRIM_400000_NS6detail17trampoline_kernelINS0_14default_configENS1_20scan_config_selectorIN3c108BFloat16EEEZZNS1_9scan_implILNS1_25lookback_scan_determinismE0ELb0ELb0ES3_PKS6_PS6_S6_ZZZN2at6native31launch_logcumsumexp_cuda_kernelERKNSD_10TensorBaseESH_lENKUlvE_clEvENKUlvE4_clEvEUlS6_S6_E_S6_EEDaPvRmT3_T4_T5_mT6_P12ihipStream_tbENKUlT_T0_E_clISt17integral_constantIbLb0EESX_IbLb1EEEEDaST_SU_EUlST_E0_NS1_11comp_targetILNS1_3genE0ELNS1_11target_archE4294967295ELNS1_3gpuE0ELNS1_3repE0EEENS1_30default_config_static_selectorELNS0_4arch9wavefront6targetE0EEEvT1_
                                        ; -- End function
	.section	.AMDGPU.csdata,"",@progbits
; Kernel info:
; codeLenInByte = 0
; NumSgprs: 0
; NumVgprs: 0
; ScratchSize: 0
; MemoryBound: 0
; FloatMode: 240
; IeeeMode: 1
; LDSByteSize: 0 bytes/workgroup (compile time only)
; SGPRBlocks: 0
; VGPRBlocks: 0
; NumSGPRsForWavesPerEU: 1
; NumVGPRsForWavesPerEU: 1
; Occupancy: 16
; WaveLimiterHint : 0
; COMPUTE_PGM_RSRC2:SCRATCH_EN: 0
; COMPUTE_PGM_RSRC2:USER_SGPR: 15
; COMPUTE_PGM_RSRC2:TRAP_HANDLER: 0
; COMPUTE_PGM_RSRC2:TGID_X_EN: 1
; COMPUTE_PGM_RSRC2:TGID_Y_EN: 0
; COMPUTE_PGM_RSRC2:TGID_Z_EN: 0
; COMPUTE_PGM_RSRC2:TIDIG_COMP_CNT: 0
	.section	.text._ZN7rocprim17ROCPRIM_400000_NS6detail17trampoline_kernelINS0_14default_configENS1_20scan_config_selectorIN3c108BFloat16EEEZZNS1_9scan_implILNS1_25lookback_scan_determinismE0ELb0ELb0ES3_PKS6_PS6_S6_ZZZN2at6native31launch_logcumsumexp_cuda_kernelERKNSD_10TensorBaseESH_lENKUlvE_clEvENKUlvE4_clEvEUlS6_S6_E_S6_EEDaPvRmT3_T4_T5_mT6_P12ihipStream_tbENKUlT_T0_E_clISt17integral_constantIbLb0EESX_IbLb1EEEEDaST_SU_EUlST_E0_NS1_11comp_targetILNS1_3genE5ELNS1_11target_archE942ELNS1_3gpuE9ELNS1_3repE0EEENS1_30default_config_static_selectorELNS0_4arch9wavefront6targetE0EEEvT1_,"axG",@progbits,_ZN7rocprim17ROCPRIM_400000_NS6detail17trampoline_kernelINS0_14default_configENS1_20scan_config_selectorIN3c108BFloat16EEEZZNS1_9scan_implILNS1_25lookback_scan_determinismE0ELb0ELb0ES3_PKS6_PS6_S6_ZZZN2at6native31launch_logcumsumexp_cuda_kernelERKNSD_10TensorBaseESH_lENKUlvE_clEvENKUlvE4_clEvEUlS6_S6_E_S6_EEDaPvRmT3_T4_T5_mT6_P12ihipStream_tbENKUlT_T0_E_clISt17integral_constantIbLb0EESX_IbLb1EEEEDaST_SU_EUlST_E0_NS1_11comp_targetILNS1_3genE5ELNS1_11target_archE942ELNS1_3gpuE9ELNS1_3repE0EEENS1_30default_config_static_selectorELNS0_4arch9wavefront6targetE0EEEvT1_,comdat
	.globl	_ZN7rocprim17ROCPRIM_400000_NS6detail17trampoline_kernelINS0_14default_configENS1_20scan_config_selectorIN3c108BFloat16EEEZZNS1_9scan_implILNS1_25lookback_scan_determinismE0ELb0ELb0ES3_PKS6_PS6_S6_ZZZN2at6native31launch_logcumsumexp_cuda_kernelERKNSD_10TensorBaseESH_lENKUlvE_clEvENKUlvE4_clEvEUlS6_S6_E_S6_EEDaPvRmT3_T4_T5_mT6_P12ihipStream_tbENKUlT_T0_E_clISt17integral_constantIbLb0EESX_IbLb1EEEEDaST_SU_EUlST_E0_NS1_11comp_targetILNS1_3genE5ELNS1_11target_archE942ELNS1_3gpuE9ELNS1_3repE0EEENS1_30default_config_static_selectorELNS0_4arch9wavefront6targetE0EEEvT1_ ; -- Begin function _ZN7rocprim17ROCPRIM_400000_NS6detail17trampoline_kernelINS0_14default_configENS1_20scan_config_selectorIN3c108BFloat16EEEZZNS1_9scan_implILNS1_25lookback_scan_determinismE0ELb0ELb0ES3_PKS6_PS6_S6_ZZZN2at6native31launch_logcumsumexp_cuda_kernelERKNSD_10TensorBaseESH_lENKUlvE_clEvENKUlvE4_clEvEUlS6_S6_E_S6_EEDaPvRmT3_T4_T5_mT6_P12ihipStream_tbENKUlT_T0_E_clISt17integral_constantIbLb0EESX_IbLb1EEEEDaST_SU_EUlST_E0_NS1_11comp_targetILNS1_3genE5ELNS1_11target_archE942ELNS1_3gpuE9ELNS1_3repE0EEENS1_30default_config_static_selectorELNS0_4arch9wavefront6targetE0EEEvT1_
	.p2align	8
	.type	_ZN7rocprim17ROCPRIM_400000_NS6detail17trampoline_kernelINS0_14default_configENS1_20scan_config_selectorIN3c108BFloat16EEEZZNS1_9scan_implILNS1_25lookback_scan_determinismE0ELb0ELb0ES3_PKS6_PS6_S6_ZZZN2at6native31launch_logcumsumexp_cuda_kernelERKNSD_10TensorBaseESH_lENKUlvE_clEvENKUlvE4_clEvEUlS6_S6_E_S6_EEDaPvRmT3_T4_T5_mT6_P12ihipStream_tbENKUlT_T0_E_clISt17integral_constantIbLb0EESX_IbLb1EEEEDaST_SU_EUlST_E0_NS1_11comp_targetILNS1_3genE5ELNS1_11target_archE942ELNS1_3gpuE9ELNS1_3repE0EEENS1_30default_config_static_selectorELNS0_4arch9wavefront6targetE0EEEvT1_,@function
_ZN7rocprim17ROCPRIM_400000_NS6detail17trampoline_kernelINS0_14default_configENS1_20scan_config_selectorIN3c108BFloat16EEEZZNS1_9scan_implILNS1_25lookback_scan_determinismE0ELb0ELb0ES3_PKS6_PS6_S6_ZZZN2at6native31launch_logcumsumexp_cuda_kernelERKNSD_10TensorBaseESH_lENKUlvE_clEvENKUlvE4_clEvEUlS6_S6_E_S6_EEDaPvRmT3_T4_T5_mT6_P12ihipStream_tbENKUlT_T0_E_clISt17integral_constantIbLb0EESX_IbLb1EEEEDaST_SU_EUlST_E0_NS1_11comp_targetILNS1_3genE5ELNS1_11target_archE942ELNS1_3gpuE9ELNS1_3repE0EEENS1_30default_config_static_selectorELNS0_4arch9wavefront6targetE0EEEvT1_: ; @_ZN7rocprim17ROCPRIM_400000_NS6detail17trampoline_kernelINS0_14default_configENS1_20scan_config_selectorIN3c108BFloat16EEEZZNS1_9scan_implILNS1_25lookback_scan_determinismE0ELb0ELb0ES3_PKS6_PS6_S6_ZZZN2at6native31launch_logcumsumexp_cuda_kernelERKNSD_10TensorBaseESH_lENKUlvE_clEvENKUlvE4_clEvEUlS6_S6_E_S6_EEDaPvRmT3_T4_T5_mT6_P12ihipStream_tbENKUlT_T0_E_clISt17integral_constantIbLb0EESX_IbLb1EEEEDaST_SU_EUlST_E0_NS1_11comp_targetILNS1_3genE5ELNS1_11target_archE942ELNS1_3gpuE9ELNS1_3repE0EEENS1_30default_config_static_selectorELNS0_4arch9wavefront6targetE0EEEvT1_
; %bb.0:
	.section	.rodata,"a",@progbits
	.p2align	6, 0x0
	.amdhsa_kernel _ZN7rocprim17ROCPRIM_400000_NS6detail17trampoline_kernelINS0_14default_configENS1_20scan_config_selectorIN3c108BFloat16EEEZZNS1_9scan_implILNS1_25lookback_scan_determinismE0ELb0ELb0ES3_PKS6_PS6_S6_ZZZN2at6native31launch_logcumsumexp_cuda_kernelERKNSD_10TensorBaseESH_lENKUlvE_clEvENKUlvE4_clEvEUlS6_S6_E_S6_EEDaPvRmT3_T4_T5_mT6_P12ihipStream_tbENKUlT_T0_E_clISt17integral_constantIbLb0EESX_IbLb1EEEEDaST_SU_EUlST_E0_NS1_11comp_targetILNS1_3genE5ELNS1_11target_archE942ELNS1_3gpuE9ELNS1_3repE0EEENS1_30default_config_static_selectorELNS0_4arch9wavefront6targetE0EEEvT1_
		.amdhsa_group_segment_fixed_size 0
		.amdhsa_private_segment_fixed_size 0
		.amdhsa_kernarg_size 32
		.amdhsa_user_sgpr_count 15
		.amdhsa_user_sgpr_dispatch_ptr 0
		.amdhsa_user_sgpr_queue_ptr 0
		.amdhsa_user_sgpr_kernarg_segment_ptr 1
		.amdhsa_user_sgpr_dispatch_id 0
		.amdhsa_user_sgpr_private_segment_size 0
		.amdhsa_wavefront_size32 1
		.amdhsa_uses_dynamic_stack 0
		.amdhsa_enable_private_segment 0
		.amdhsa_system_sgpr_workgroup_id_x 1
		.amdhsa_system_sgpr_workgroup_id_y 0
		.amdhsa_system_sgpr_workgroup_id_z 0
		.amdhsa_system_sgpr_workgroup_info 0
		.amdhsa_system_vgpr_workitem_id 0
		.amdhsa_next_free_vgpr 1
		.amdhsa_next_free_sgpr 1
		.amdhsa_reserve_vcc 0
		.amdhsa_float_round_mode_32 0
		.amdhsa_float_round_mode_16_64 0
		.amdhsa_float_denorm_mode_32 3
		.amdhsa_float_denorm_mode_16_64 3
		.amdhsa_dx10_clamp 1
		.amdhsa_ieee_mode 1
		.amdhsa_fp16_overflow 0
		.amdhsa_workgroup_processor_mode 1
		.amdhsa_memory_ordered 1
		.amdhsa_forward_progress 0
		.amdhsa_shared_vgpr_count 0
		.amdhsa_exception_fp_ieee_invalid_op 0
		.amdhsa_exception_fp_denorm_src 0
		.amdhsa_exception_fp_ieee_div_zero 0
		.amdhsa_exception_fp_ieee_overflow 0
		.amdhsa_exception_fp_ieee_underflow 0
		.amdhsa_exception_fp_ieee_inexact 0
		.amdhsa_exception_int_div_zero 0
	.end_amdhsa_kernel
	.section	.text._ZN7rocprim17ROCPRIM_400000_NS6detail17trampoline_kernelINS0_14default_configENS1_20scan_config_selectorIN3c108BFloat16EEEZZNS1_9scan_implILNS1_25lookback_scan_determinismE0ELb0ELb0ES3_PKS6_PS6_S6_ZZZN2at6native31launch_logcumsumexp_cuda_kernelERKNSD_10TensorBaseESH_lENKUlvE_clEvENKUlvE4_clEvEUlS6_S6_E_S6_EEDaPvRmT3_T4_T5_mT6_P12ihipStream_tbENKUlT_T0_E_clISt17integral_constantIbLb0EESX_IbLb1EEEEDaST_SU_EUlST_E0_NS1_11comp_targetILNS1_3genE5ELNS1_11target_archE942ELNS1_3gpuE9ELNS1_3repE0EEENS1_30default_config_static_selectorELNS0_4arch9wavefront6targetE0EEEvT1_,"axG",@progbits,_ZN7rocprim17ROCPRIM_400000_NS6detail17trampoline_kernelINS0_14default_configENS1_20scan_config_selectorIN3c108BFloat16EEEZZNS1_9scan_implILNS1_25lookback_scan_determinismE0ELb0ELb0ES3_PKS6_PS6_S6_ZZZN2at6native31launch_logcumsumexp_cuda_kernelERKNSD_10TensorBaseESH_lENKUlvE_clEvENKUlvE4_clEvEUlS6_S6_E_S6_EEDaPvRmT3_T4_T5_mT6_P12ihipStream_tbENKUlT_T0_E_clISt17integral_constantIbLb0EESX_IbLb1EEEEDaST_SU_EUlST_E0_NS1_11comp_targetILNS1_3genE5ELNS1_11target_archE942ELNS1_3gpuE9ELNS1_3repE0EEENS1_30default_config_static_selectorELNS0_4arch9wavefront6targetE0EEEvT1_,comdat
.Lfunc_end525:
	.size	_ZN7rocprim17ROCPRIM_400000_NS6detail17trampoline_kernelINS0_14default_configENS1_20scan_config_selectorIN3c108BFloat16EEEZZNS1_9scan_implILNS1_25lookback_scan_determinismE0ELb0ELb0ES3_PKS6_PS6_S6_ZZZN2at6native31launch_logcumsumexp_cuda_kernelERKNSD_10TensorBaseESH_lENKUlvE_clEvENKUlvE4_clEvEUlS6_S6_E_S6_EEDaPvRmT3_T4_T5_mT6_P12ihipStream_tbENKUlT_T0_E_clISt17integral_constantIbLb0EESX_IbLb1EEEEDaST_SU_EUlST_E0_NS1_11comp_targetILNS1_3genE5ELNS1_11target_archE942ELNS1_3gpuE9ELNS1_3repE0EEENS1_30default_config_static_selectorELNS0_4arch9wavefront6targetE0EEEvT1_, .Lfunc_end525-_ZN7rocprim17ROCPRIM_400000_NS6detail17trampoline_kernelINS0_14default_configENS1_20scan_config_selectorIN3c108BFloat16EEEZZNS1_9scan_implILNS1_25lookback_scan_determinismE0ELb0ELb0ES3_PKS6_PS6_S6_ZZZN2at6native31launch_logcumsumexp_cuda_kernelERKNSD_10TensorBaseESH_lENKUlvE_clEvENKUlvE4_clEvEUlS6_S6_E_S6_EEDaPvRmT3_T4_T5_mT6_P12ihipStream_tbENKUlT_T0_E_clISt17integral_constantIbLb0EESX_IbLb1EEEEDaST_SU_EUlST_E0_NS1_11comp_targetILNS1_3genE5ELNS1_11target_archE942ELNS1_3gpuE9ELNS1_3repE0EEENS1_30default_config_static_selectorELNS0_4arch9wavefront6targetE0EEEvT1_
                                        ; -- End function
	.section	.AMDGPU.csdata,"",@progbits
; Kernel info:
; codeLenInByte = 0
; NumSgprs: 0
; NumVgprs: 0
; ScratchSize: 0
; MemoryBound: 0
; FloatMode: 240
; IeeeMode: 1
; LDSByteSize: 0 bytes/workgroup (compile time only)
; SGPRBlocks: 0
; VGPRBlocks: 0
; NumSGPRsForWavesPerEU: 1
; NumVGPRsForWavesPerEU: 1
; Occupancy: 16
; WaveLimiterHint : 0
; COMPUTE_PGM_RSRC2:SCRATCH_EN: 0
; COMPUTE_PGM_RSRC2:USER_SGPR: 15
; COMPUTE_PGM_RSRC2:TRAP_HANDLER: 0
; COMPUTE_PGM_RSRC2:TGID_X_EN: 1
; COMPUTE_PGM_RSRC2:TGID_Y_EN: 0
; COMPUTE_PGM_RSRC2:TGID_Z_EN: 0
; COMPUTE_PGM_RSRC2:TIDIG_COMP_CNT: 0
	.section	.text._ZN7rocprim17ROCPRIM_400000_NS6detail17trampoline_kernelINS0_14default_configENS1_20scan_config_selectorIN3c108BFloat16EEEZZNS1_9scan_implILNS1_25lookback_scan_determinismE0ELb0ELb0ES3_PKS6_PS6_S6_ZZZN2at6native31launch_logcumsumexp_cuda_kernelERKNSD_10TensorBaseESH_lENKUlvE_clEvENKUlvE4_clEvEUlS6_S6_E_S6_EEDaPvRmT3_T4_T5_mT6_P12ihipStream_tbENKUlT_T0_E_clISt17integral_constantIbLb0EESX_IbLb1EEEEDaST_SU_EUlST_E0_NS1_11comp_targetILNS1_3genE4ELNS1_11target_archE910ELNS1_3gpuE8ELNS1_3repE0EEENS1_30default_config_static_selectorELNS0_4arch9wavefront6targetE0EEEvT1_,"axG",@progbits,_ZN7rocprim17ROCPRIM_400000_NS6detail17trampoline_kernelINS0_14default_configENS1_20scan_config_selectorIN3c108BFloat16EEEZZNS1_9scan_implILNS1_25lookback_scan_determinismE0ELb0ELb0ES3_PKS6_PS6_S6_ZZZN2at6native31launch_logcumsumexp_cuda_kernelERKNSD_10TensorBaseESH_lENKUlvE_clEvENKUlvE4_clEvEUlS6_S6_E_S6_EEDaPvRmT3_T4_T5_mT6_P12ihipStream_tbENKUlT_T0_E_clISt17integral_constantIbLb0EESX_IbLb1EEEEDaST_SU_EUlST_E0_NS1_11comp_targetILNS1_3genE4ELNS1_11target_archE910ELNS1_3gpuE8ELNS1_3repE0EEENS1_30default_config_static_selectorELNS0_4arch9wavefront6targetE0EEEvT1_,comdat
	.globl	_ZN7rocprim17ROCPRIM_400000_NS6detail17trampoline_kernelINS0_14default_configENS1_20scan_config_selectorIN3c108BFloat16EEEZZNS1_9scan_implILNS1_25lookback_scan_determinismE0ELb0ELb0ES3_PKS6_PS6_S6_ZZZN2at6native31launch_logcumsumexp_cuda_kernelERKNSD_10TensorBaseESH_lENKUlvE_clEvENKUlvE4_clEvEUlS6_S6_E_S6_EEDaPvRmT3_T4_T5_mT6_P12ihipStream_tbENKUlT_T0_E_clISt17integral_constantIbLb0EESX_IbLb1EEEEDaST_SU_EUlST_E0_NS1_11comp_targetILNS1_3genE4ELNS1_11target_archE910ELNS1_3gpuE8ELNS1_3repE0EEENS1_30default_config_static_selectorELNS0_4arch9wavefront6targetE0EEEvT1_ ; -- Begin function _ZN7rocprim17ROCPRIM_400000_NS6detail17trampoline_kernelINS0_14default_configENS1_20scan_config_selectorIN3c108BFloat16EEEZZNS1_9scan_implILNS1_25lookback_scan_determinismE0ELb0ELb0ES3_PKS6_PS6_S6_ZZZN2at6native31launch_logcumsumexp_cuda_kernelERKNSD_10TensorBaseESH_lENKUlvE_clEvENKUlvE4_clEvEUlS6_S6_E_S6_EEDaPvRmT3_T4_T5_mT6_P12ihipStream_tbENKUlT_T0_E_clISt17integral_constantIbLb0EESX_IbLb1EEEEDaST_SU_EUlST_E0_NS1_11comp_targetILNS1_3genE4ELNS1_11target_archE910ELNS1_3gpuE8ELNS1_3repE0EEENS1_30default_config_static_selectorELNS0_4arch9wavefront6targetE0EEEvT1_
	.p2align	8
	.type	_ZN7rocprim17ROCPRIM_400000_NS6detail17trampoline_kernelINS0_14default_configENS1_20scan_config_selectorIN3c108BFloat16EEEZZNS1_9scan_implILNS1_25lookback_scan_determinismE0ELb0ELb0ES3_PKS6_PS6_S6_ZZZN2at6native31launch_logcumsumexp_cuda_kernelERKNSD_10TensorBaseESH_lENKUlvE_clEvENKUlvE4_clEvEUlS6_S6_E_S6_EEDaPvRmT3_T4_T5_mT6_P12ihipStream_tbENKUlT_T0_E_clISt17integral_constantIbLb0EESX_IbLb1EEEEDaST_SU_EUlST_E0_NS1_11comp_targetILNS1_3genE4ELNS1_11target_archE910ELNS1_3gpuE8ELNS1_3repE0EEENS1_30default_config_static_selectorELNS0_4arch9wavefront6targetE0EEEvT1_,@function
_ZN7rocprim17ROCPRIM_400000_NS6detail17trampoline_kernelINS0_14default_configENS1_20scan_config_selectorIN3c108BFloat16EEEZZNS1_9scan_implILNS1_25lookback_scan_determinismE0ELb0ELb0ES3_PKS6_PS6_S6_ZZZN2at6native31launch_logcumsumexp_cuda_kernelERKNSD_10TensorBaseESH_lENKUlvE_clEvENKUlvE4_clEvEUlS6_S6_E_S6_EEDaPvRmT3_T4_T5_mT6_P12ihipStream_tbENKUlT_T0_E_clISt17integral_constantIbLb0EESX_IbLb1EEEEDaST_SU_EUlST_E0_NS1_11comp_targetILNS1_3genE4ELNS1_11target_archE910ELNS1_3gpuE8ELNS1_3repE0EEENS1_30default_config_static_selectorELNS0_4arch9wavefront6targetE0EEEvT1_: ; @_ZN7rocprim17ROCPRIM_400000_NS6detail17trampoline_kernelINS0_14default_configENS1_20scan_config_selectorIN3c108BFloat16EEEZZNS1_9scan_implILNS1_25lookback_scan_determinismE0ELb0ELb0ES3_PKS6_PS6_S6_ZZZN2at6native31launch_logcumsumexp_cuda_kernelERKNSD_10TensorBaseESH_lENKUlvE_clEvENKUlvE4_clEvEUlS6_S6_E_S6_EEDaPvRmT3_T4_T5_mT6_P12ihipStream_tbENKUlT_T0_E_clISt17integral_constantIbLb0EESX_IbLb1EEEEDaST_SU_EUlST_E0_NS1_11comp_targetILNS1_3genE4ELNS1_11target_archE910ELNS1_3gpuE8ELNS1_3repE0EEENS1_30default_config_static_selectorELNS0_4arch9wavefront6targetE0EEEvT1_
; %bb.0:
	.section	.rodata,"a",@progbits
	.p2align	6, 0x0
	.amdhsa_kernel _ZN7rocprim17ROCPRIM_400000_NS6detail17trampoline_kernelINS0_14default_configENS1_20scan_config_selectorIN3c108BFloat16EEEZZNS1_9scan_implILNS1_25lookback_scan_determinismE0ELb0ELb0ES3_PKS6_PS6_S6_ZZZN2at6native31launch_logcumsumexp_cuda_kernelERKNSD_10TensorBaseESH_lENKUlvE_clEvENKUlvE4_clEvEUlS6_S6_E_S6_EEDaPvRmT3_T4_T5_mT6_P12ihipStream_tbENKUlT_T0_E_clISt17integral_constantIbLb0EESX_IbLb1EEEEDaST_SU_EUlST_E0_NS1_11comp_targetILNS1_3genE4ELNS1_11target_archE910ELNS1_3gpuE8ELNS1_3repE0EEENS1_30default_config_static_selectorELNS0_4arch9wavefront6targetE0EEEvT1_
		.amdhsa_group_segment_fixed_size 0
		.amdhsa_private_segment_fixed_size 0
		.amdhsa_kernarg_size 32
		.amdhsa_user_sgpr_count 15
		.amdhsa_user_sgpr_dispatch_ptr 0
		.amdhsa_user_sgpr_queue_ptr 0
		.amdhsa_user_sgpr_kernarg_segment_ptr 1
		.amdhsa_user_sgpr_dispatch_id 0
		.amdhsa_user_sgpr_private_segment_size 0
		.amdhsa_wavefront_size32 1
		.amdhsa_uses_dynamic_stack 0
		.amdhsa_enable_private_segment 0
		.amdhsa_system_sgpr_workgroup_id_x 1
		.amdhsa_system_sgpr_workgroup_id_y 0
		.amdhsa_system_sgpr_workgroup_id_z 0
		.amdhsa_system_sgpr_workgroup_info 0
		.amdhsa_system_vgpr_workitem_id 0
		.amdhsa_next_free_vgpr 1
		.amdhsa_next_free_sgpr 1
		.amdhsa_reserve_vcc 0
		.amdhsa_float_round_mode_32 0
		.amdhsa_float_round_mode_16_64 0
		.amdhsa_float_denorm_mode_32 3
		.amdhsa_float_denorm_mode_16_64 3
		.amdhsa_dx10_clamp 1
		.amdhsa_ieee_mode 1
		.amdhsa_fp16_overflow 0
		.amdhsa_workgroup_processor_mode 1
		.amdhsa_memory_ordered 1
		.amdhsa_forward_progress 0
		.amdhsa_shared_vgpr_count 0
		.amdhsa_exception_fp_ieee_invalid_op 0
		.amdhsa_exception_fp_denorm_src 0
		.amdhsa_exception_fp_ieee_div_zero 0
		.amdhsa_exception_fp_ieee_overflow 0
		.amdhsa_exception_fp_ieee_underflow 0
		.amdhsa_exception_fp_ieee_inexact 0
		.amdhsa_exception_int_div_zero 0
	.end_amdhsa_kernel
	.section	.text._ZN7rocprim17ROCPRIM_400000_NS6detail17trampoline_kernelINS0_14default_configENS1_20scan_config_selectorIN3c108BFloat16EEEZZNS1_9scan_implILNS1_25lookback_scan_determinismE0ELb0ELb0ES3_PKS6_PS6_S6_ZZZN2at6native31launch_logcumsumexp_cuda_kernelERKNSD_10TensorBaseESH_lENKUlvE_clEvENKUlvE4_clEvEUlS6_S6_E_S6_EEDaPvRmT3_T4_T5_mT6_P12ihipStream_tbENKUlT_T0_E_clISt17integral_constantIbLb0EESX_IbLb1EEEEDaST_SU_EUlST_E0_NS1_11comp_targetILNS1_3genE4ELNS1_11target_archE910ELNS1_3gpuE8ELNS1_3repE0EEENS1_30default_config_static_selectorELNS0_4arch9wavefront6targetE0EEEvT1_,"axG",@progbits,_ZN7rocprim17ROCPRIM_400000_NS6detail17trampoline_kernelINS0_14default_configENS1_20scan_config_selectorIN3c108BFloat16EEEZZNS1_9scan_implILNS1_25lookback_scan_determinismE0ELb0ELb0ES3_PKS6_PS6_S6_ZZZN2at6native31launch_logcumsumexp_cuda_kernelERKNSD_10TensorBaseESH_lENKUlvE_clEvENKUlvE4_clEvEUlS6_S6_E_S6_EEDaPvRmT3_T4_T5_mT6_P12ihipStream_tbENKUlT_T0_E_clISt17integral_constantIbLb0EESX_IbLb1EEEEDaST_SU_EUlST_E0_NS1_11comp_targetILNS1_3genE4ELNS1_11target_archE910ELNS1_3gpuE8ELNS1_3repE0EEENS1_30default_config_static_selectorELNS0_4arch9wavefront6targetE0EEEvT1_,comdat
.Lfunc_end526:
	.size	_ZN7rocprim17ROCPRIM_400000_NS6detail17trampoline_kernelINS0_14default_configENS1_20scan_config_selectorIN3c108BFloat16EEEZZNS1_9scan_implILNS1_25lookback_scan_determinismE0ELb0ELb0ES3_PKS6_PS6_S6_ZZZN2at6native31launch_logcumsumexp_cuda_kernelERKNSD_10TensorBaseESH_lENKUlvE_clEvENKUlvE4_clEvEUlS6_S6_E_S6_EEDaPvRmT3_T4_T5_mT6_P12ihipStream_tbENKUlT_T0_E_clISt17integral_constantIbLb0EESX_IbLb1EEEEDaST_SU_EUlST_E0_NS1_11comp_targetILNS1_3genE4ELNS1_11target_archE910ELNS1_3gpuE8ELNS1_3repE0EEENS1_30default_config_static_selectorELNS0_4arch9wavefront6targetE0EEEvT1_, .Lfunc_end526-_ZN7rocprim17ROCPRIM_400000_NS6detail17trampoline_kernelINS0_14default_configENS1_20scan_config_selectorIN3c108BFloat16EEEZZNS1_9scan_implILNS1_25lookback_scan_determinismE0ELb0ELb0ES3_PKS6_PS6_S6_ZZZN2at6native31launch_logcumsumexp_cuda_kernelERKNSD_10TensorBaseESH_lENKUlvE_clEvENKUlvE4_clEvEUlS6_S6_E_S6_EEDaPvRmT3_T4_T5_mT6_P12ihipStream_tbENKUlT_T0_E_clISt17integral_constantIbLb0EESX_IbLb1EEEEDaST_SU_EUlST_E0_NS1_11comp_targetILNS1_3genE4ELNS1_11target_archE910ELNS1_3gpuE8ELNS1_3repE0EEENS1_30default_config_static_selectorELNS0_4arch9wavefront6targetE0EEEvT1_
                                        ; -- End function
	.section	.AMDGPU.csdata,"",@progbits
; Kernel info:
; codeLenInByte = 0
; NumSgprs: 0
; NumVgprs: 0
; ScratchSize: 0
; MemoryBound: 0
; FloatMode: 240
; IeeeMode: 1
; LDSByteSize: 0 bytes/workgroup (compile time only)
; SGPRBlocks: 0
; VGPRBlocks: 0
; NumSGPRsForWavesPerEU: 1
; NumVGPRsForWavesPerEU: 1
; Occupancy: 16
; WaveLimiterHint : 0
; COMPUTE_PGM_RSRC2:SCRATCH_EN: 0
; COMPUTE_PGM_RSRC2:USER_SGPR: 15
; COMPUTE_PGM_RSRC2:TRAP_HANDLER: 0
; COMPUTE_PGM_RSRC2:TGID_X_EN: 1
; COMPUTE_PGM_RSRC2:TGID_Y_EN: 0
; COMPUTE_PGM_RSRC2:TGID_Z_EN: 0
; COMPUTE_PGM_RSRC2:TIDIG_COMP_CNT: 0
	.section	.text._ZN7rocprim17ROCPRIM_400000_NS6detail17trampoline_kernelINS0_14default_configENS1_20scan_config_selectorIN3c108BFloat16EEEZZNS1_9scan_implILNS1_25lookback_scan_determinismE0ELb0ELb0ES3_PKS6_PS6_S6_ZZZN2at6native31launch_logcumsumexp_cuda_kernelERKNSD_10TensorBaseESH_lENKUlvE_clEvENKUlvE4_clEvEUlS6_S6_E_S6_EEDaPvRmT3_T4_T5_mT6_P12ihipStream_tbENKUlT_T0_E_clISt17integral_constantIbLb0EESX_IbLb1EEEEDaST_SU_EUlST_E0_NS1_11comp_targetILNS1_3genE3ELNS1_11target_archE908ELNS1_3gpuE7ELNS1_3repE0EEENS1_30default_config_static_selectorELNS0_4arch9wavefront6targetE0EEEvT1_,"axG",@progbits,_ZN7rocprim17ROCPRIM_400000_NS6detail17trampoline_kernelINS0_14default_configENS1_20scan_config_selectorIN3c108BFloat16EEEZZNS1_9scan_implILNS1_25lookback_scan_determinismE0ELb0ELb0ES3_PKS6_PS6_S6_ZZZN2at6native31launch_logcumsumexp_cuda_kernelERKNSD_10TensorBaseESH_lENKUlvE_clEvENKUlvE4_clEvEUlS6_S6_E_S6_EEDaPvRmT3_T4_T5_mT6_P12ihipStream_tbENKUlT_T0_E_clISt17integral_constantIbLb0EESX_IbLb1EEEEDaST_SU_EUlST_E0_NS1_11comp_targetILNS1_3genE3ELNS1_11target_archE908ELNS1_3gpuE7ELNS1_3repE0EEENS1_30default_config_static_selectorELNS0_4arch9wavefront6targetE0EEEvT1_,comdat
	.globl	_ZN7rocprim17ROCPRIM_400000_NS6detail17trampoline_kernelINS0_14default_configENS1_20scan_config_selectorIN3c108BFloat16EEEZZNS1_9scan_implILNS1_25lookback_scan_determinismE0ELb0ELb0ES3_PKS6_PS6_S6_ZZZN2at6native31launch_logcumsumexp_cuda_kernelERKNSD_10TensorBaseESH_lENKUlvE_clEvENKUlvE4_clEvEUlS6_S6_E_S6_EEDaPvRmT3_T4_T5_mT6_P12ihipStream_tbENKUlT_T0_E_clISt17integral_constantIbLb0EESX_IbLb1EEEEDaST_SU_EUlST_E0_NS1_11comp_targetILNS1_3genE3ELNS1_11target_archE908ELNS1_3gpuE7ELNS1_3repE0EEENS1_30default_config_static_selectorELNS0_4arch9wavefront6targetE0EEEvT1_ ; -- Begin function _ZN7rocprim17ROCPRIM_400000_NS6detail17trampoline_kernelINS0_14default_configENS1_20scan_config_selectorIN3c108BFloat16EEEZZNS1_9scan_implILNS1_25lookback_scan_determinismE0ELb0ELb0ES3_PKS6_PS6_S6_ZZZN2at6native31launch_logcumsumexp_cuda_kernelERKNSD_10TensorBaseESH_lENKUlvE_clEvENKUlvE4_clEvEUlS6_S6_E_S6_EEDaPvRmT3_T4_T5_mT6_P12ihipStream_tbENKUlT_T0_E_clISt17integral_constantIbLb0EESX_IbLb1EEEEDaST_SU_EUlST_E0_NS1_11comp_targetILNS1_3genE3ELNS1_11target_archE908ELNS1_3gpuE7ELNS1_3repE0EEENS1_30default_config_static_selectorELNS0_4arch9wavefront6targetE0EEEvT1_
	.p2align	8
	.type	_ZN7rocprim17ROCPRIM_400000_NS6detail17trampoline_kernelINS0_14default_configENS1_20scan_config_selectorIN3c108BFloat16EEEZZNS1_9scan_implILNS1_25lookback_scan_determinismE0ELb0ELb0ES3_PKS6_PS6_S6_ZZZN2at6native31launch_logcumsumexp_cuda_kernelERKNSD_10TensorBaseESH_lENKUlvE_clEvENKUlvE4_clEvEUlS6_S6_E_S6_EEDaPvRmT3_T4_T5_mT6_P12ihipStream_tbENKUlT_T0_E_clISt17integral_constantIbLb0EESX_IbLb1EEEEDaST_SU_EUlST_E0_NS1_11comp_targetILNS1_3genE3ELNS1_11target_archE908ELNS1_3gpuE7ELNS1_3repE0EEENS1_30default_config_static_selectorELNS0_4arch9wavefront6targetE0EEEvT1_,@function
_ZN7rocprim17ROCPRIM_400000_NS6detail17trampoline_kernelINS0_14default_configENS1_20scan_config_selectorIN3c108BFloat16EEEZZNS1_9scan_implILNS1_25lookback_scan_determinismE0ELb0ELb0ES3_PKS6_PS6_S6_ZZZN2at6native31launch_logcumsumexp_cuda_kernelERKNSD_10TensorBaseESH_lENKUlvE_clEvENKUlvE4_clEvEUlS6_S6_E_S6_EEDaPvRmT3_T4_T5_mT6_P12ihipStream_tbENKUlT_T0_E_clISt17integral_constantIbLb0EESX_IbLb1EEEEDaST_SU_EUlST_E0_NS1_11comp_targetILNS1_3genE3ELNS1_11target_archE908ELNS1_3gpuE7ELNS1_3repE0EEENS1_30default_config_static_selectorELNS0_4arch9wavefront6targetE0EEEvT1_: ; @_ZN7rocprim17ROCPRIM_400000_NS6detail17trampoline_kernelINS0_14default_configENS1_20scan_config_selectorIN3c108BFloat16EEEZZNS1_9scan_implILNS1_25lookback_scan_determinismE0ELb0ELb0ES3_PKS6_PS6_S6_ZZZN2at6native31launch_logcumsumexp_cuda_kernelERKNSD_10TensorBaseESH_lENKUlvE_clEvENKUlvE4_clEvEUlS6_S6_E_S6_EEDaPvRmT3_T4_T5_mT6_P12ihipStream_tbENKUlT_T0_E_clISt17integral_constantIbLb0EESX_IbLb1EEEEDaST_SU_EUlST_E0_NS1_11comp_targetILNS1_3genE3ELNS1_11target_archE908ELNS1_3gpuE7ELNS1_3repE0EEENS1_30default_config_static_selectorELNS0_4arch9wavefront6targetE0EEEvT1_
; %bb.0:
	.section	.rodata,"a",@progbits
	.p2align	6, 0x0
	.amdhsa_kernel _ZN7rocprim17ROCPRIM_400000_NS6detail17trampoline_kernelINS0_14default_configENS1_20scan_config_selectorIN3c108BFloat16EEEZZNS1_9scan_implILNS1_25lookback_scan_determinismE0ELb0ELb0ES3_PKS6_PS6_S6_ZZZN2at6native31launch_logcumsumexp_cuda_kernelERKNSD_10TensorBaseESH_lENKUlvE_clEvENKUlvE4_clEvEUlS6_S6_E_S6_EEDaPvRmT3_T4_T5_mT6_P12ihipStream_tbENKUlT_T0_E_clISt17integral_constantIbLb0EESX_IbLb1EEEEDaST_SU_EUlST_E0_NS1_11comp_targetILNS1_3genE3ELNS1_11target_archE908ELNS1_3gpuE7ELNS1_3repE0EEENS1_30default_config_static_selectorELNS0_4arch9wavefront6targetE0EEEvT1_
		.amdhsa_group_segment_fixed_size 0
		.amdhsa_private_segment_fixed_size 0
		.amdhsa_kernarg_size 32
		.amdhsa_user_sgpr_count 15
		.amdhsa_user_sgpr_dispatch_ptr 0
		.amdhsa_user_sgpr_queue_ptr 0
		.amdhsa_user_sgpr_kernarg_segment_ptr 1
		.amdhsa_user_sgpr_dispatch_id 0
		.amdhsa_user_sgpr_private_segment_size 0
		.amdhsa_wavefront_size32 1
		.amdhsa_uses_dynamic_stack 0
		.amdhsa_enable_private_segment 0
		.amdhsa_system_sgpr_workgroup_id_x 1
		.amdhsa_system_sgpr_workgroup_id_y 0
		.amdhsa_system_sgpr_workgroup_id_z 0
		.amdhsa_system_sgpr_workgroup_info 0
		.amdhsa_system_vgpr_workitem_id 0
		.amdhsa_next_free_vgpr 1
		.amdhsa_next_free_sgpr 1
		.amdhsa_reserve_vcc 0
		.amdhsa_float_round_mode_32 0
		.amdhsa_float_round_mode_16_64 0
		.amdhsa_float_denorm_mode_32 3
		.amdhsa_float_denorm_mode_16_64 3
		.amdhsa_dx10_clamp 1
		.amdhsa_ieee_mode 1
		.amdhsa_fp16_overflow 0
		.amdhsa_workgroup_processor_mode 1
		.amdhsa_memory_ordered 1
		.amdhsa_forward_progress 0
		.amdhsa_shared_vgpr_count 0
		.amdhsa_exception_fp_ieee_invalid_op 0
		.amdhsa_exception_fp_denorm_src 0
		.amdhsa_exception_fp_ieee_div_zero 0
		.amdhsa_exception_fp_ieee_overflow 0
		.amdhsa_exception_fp_ieee_underflow 0
		.amdhsa_exception_fp_ieee_inexact 0
		.amdhsa_exception_int_div_zero 0
	.end_amdhsa_kernel
	.section	.text._ZN7rocprim17ROCPRIM_400000_NS6detail17trampoline_kernelINS0_14default_configENS1_20scan_config_selectorIN3c108BFloat16EEEZZNS1_9scan_implILNS1_25lookback_scan_determinismE0ELb0ELb0ES3_PKS6_PS6_S6_ZZZN2at6native31launch_logcumsumexp_cuda_kernelERKNSD_10TensorBaseESH_lENKUlvE_clEvENKUlvE4_clEvEUlS6_S6_E_S6_EEDaPvRmT3_T4_T5_mT6_P12ihipStream_tbENKUlT_T0_E_clISt17integral_constantIbLb0EESX_IbLb1EEEEDaST_SU_EUlST_E0_NS1_11comp_targetILNS1_3genE3ELNS1_11target_archE908ELNS1_3gpuE7ELNS1_3repE0EEENS1_30default_config_static_selectorELNS0_4arch9wavefront6targetE0EEEvT1_,"axG",@progbits,_ZN7rocprim17ROCPRIM_400000_NS6detail17trampoline_kernelINS0_14default_configENS1_20scan_config_selectorIN3c108BFloat16EEEZZNS1_9scan_implILNS1_25lookback_scan_determinismE0ELb0ELb0ES3_PKS6_PS6_S6_ZZZN2at6native31launch_logcumsumexp_cuda_kernelERKNSD_10TensorBaseESH_lENKUlvE_clEvENKUlvE4_clEvEUlS6_S6_E_S6_EEDaPvRmT3_T4_T5_mT6_P12ihipStream_tbENKUlT_T0_E_clISt17integral_constantIbLb0EESX_IbLb1EEEEDaST_SU_EUlST_E0_NS1_11comp_targetILNS1_3genE3ELNS1_11target_archE908ELNS1_3gpuE7ELNS1_3repE0EEENS1_30default_config_static_selectorELNS0_4arch9wavefront6targetE0EEEvT1_,comdat
.Lfunc_end527:
	.size	_ZN7rocprim17ROCPRIM_400000_NS6detail17trampoline_kernelINS0_14default_configENS1_20scan_config_selectorIN3c108BFloat16EEEZZNS1_9scan_implILNS1_25lookback_scan_determinismE0ELb0ELb0ES3_PKS6_PS6_S6_ZZZN2at6native31launch_logcumsumexp_cuda_kernelERKNSD_10TensorBaseESH_lENKUlvE_clEvENKUlvE4_clEvEUlS6_S6_E_S6_EEDaPvRmT3_T4_T5_mT6_P12ihipStream_tbENKUlT_T0_E_clISt17integral_constantIbLb0EESX_IbLb1EEEEDaST_SU_EUlST_E0_NS1_11comp_targetILNS1_3genE3ELNS1_11target_archE908ELNS1_3gpuE7ELNS1_3repE0EEENS1_30default_config_static_selectorELNS0_4arch9wavefront6targetE0EEEvT1_, .Lfunc_end527-_ZN7rocprim17ROCPRIM_400000_NS6detail17trampoline_kernelINS0_14default_configENS1_20scan_config_selectorIN3c108BFloat16EEEZZNS1_9scan_implILNS1_25lookback_scan_determinismE0ELb0ELb0ES3_PKS6_PS6_S6_ZZZN2at6native31launch_logcumsumexp_cuda_kernelERKNSD_10TensorBaseESH_lENKUlvE_clEvENKUlvE4_clEvEUlS6_S6_E_S6_EEDaPvRmT3_T4_T5_mT6_P12ihipStream_tbENKUlT_T0_E_clISt17integral_constantIbLb0EESX_IbLb1EEEEDaST_SU_EUlST_E0_NS1_11comp_targetILNS1_3genE3ELNS1_11target_archE908ELNS1_3gpuE7ELNS1_3repE0EEENS1_30default_config_static_selectorELNS0_4arch9wavefront6targetE0EEEvT1_
                                        ; -- End function
	.section	.AMDGPU.csdata,"",@progbits
; Kernel info:
; codeLenInByte = 0
; NumSgprs: 0
; NumVgprs: 0
; ScratchSize: 0
; MemoryBound: 0
; FloatMode: 240
; IeeeMode: 1
; LDSByteSize: 0 bytes/workgroup (compile time only)
; SGPRBlocks: 0
; VGPRBlocks: 0
; NumSGPRsForWavesPerEU: 1
; NumVGPRsForWavesPerEU: 1
; Occupancy: 16
; WaveLimiterHint : 0
; COMPUTE_PGM_RSRC2:SCRATCH_EN: 0
; COMPUTE_PGM_RSRC2:USER_SGPR: 15
; COMPUTE_PGM_RSRC2:TRAP_HANDLER: 0
; COMPUTE_PGM_RSRC2:TGID_X_EN: 1
; COMPUTE_PGM_RSRC2:TGID_Y_EN: 0
; COMPUTE_PGM_RSRC2:TGID_Z_EN: 0
; COMPUTE_PGM_RSRC2:TIDIG_COMP_CNT: 0
	.section	.text._ZN7rocprim17ROCPRIM_400000_NS6detail17trampoline_kernelINS0_14default_configENS1_20scan_config_selectorIN3c108BFloat16EEEZZNS1_9scan_implILNS1_25lookback_scan_determinismE0ELb0ELb0ES3_PKS6_PS6_S6_ZZZN2at6native31launch_logcumsumexp_cuda_kernelERKNSD_10TensorBaseESH_lENKUlvE_clEvENKUlvE4_clEvEUlS6_S6_E_S6_EEDaPvRmT3_T4_T5_mT6_P12ihipStream_tbENKUlT_T0_E_clISt17integral_constantIbLb0EESX_IbLb1EEEEDaST_SU_EUlST_E0_NS1_11comp_targetILNS1_3genE2ELNS1_11target_archE906ELNS1_3gpuE6ELNS1_3repE0EEENS1_30default_config_static_selectorELNS0_4arch9wavefront6targetE0EEEvT1_,"axG",@progbits,_ZN7rocprim17ROCPRIM_400000_NS6detail17trampoline_kernelINS0_14default_configENS1_20scan_config_selectorIN3c108BFloat16EEEZZNS1_9scan_implILNS1_25lookback_scan_determinismE0ELb0ELb0ES3_PKS6_PS6_S6_ZZZN2at6native31launch_logcumsumexp_cuda_kernelERKNSD_10TensorBaseESH_lENKUlvE_clEvENKUlvE4_clEvEUlS6_S6_E_S6_EEDaPvRmT3_T4_T5_mT6_P12ihipStream_tbENKUlT_T0_E_clISt17integral_constantIbLb0EESX_IbLb1EEEEDaST_SU_EUlST_E0_NS1_11comp_targetILNS1_3genE2ELNS1_11target_archE906ELNS1_3gpuE6ELNS1_3repE0EEENS1_30default_config_static_selectorELNS0_4arch9wavefront6targetE0EEEvT1_,comdat
	.globl	_ZN7rocprim17ROCPRIM_400000_NS6detail17trampoline_kernelINS0_14default_configENS1_20scan_config_selectorIN3c108BFloat16EEEZZNS1_9scan_implILNS1_25lookback_scan_determinismE0ELb0ELb0ES3_PKS6_PS6_S6_ZZZN2at6native31launch_logcumsumexp_cuda_kernelERKNSD_10TensorBaseESH_lENKUlvE_clEvENKUlvE4_clEvEUlS6_S6_E_S6_EEDaPvRmT3_T4_T5_mT6_P12ihipStream_tbENKUlT_T0_E_clISt17integral_constantIbLb0EESX_IbLb1EEEEDaST_SU_EUlST_E0_NS1_11comp_targetILNS1_3genE2ELNS1_11target_archE906ELNS1_3gpuE6ELNS1_3repE0EEENS1_30default_config_static_selectorELNS0_4arch9wavefront6targetE0EEEvT1_ ; -- Begin function _ZN7rocprim17ROCPRIM_400000_NS6detail17trampoline_kernelINS0_14default_configENS1_20scan_config_selectorIN3c108BFloat16EEEZZNS1_9scan_implILNS1_25lookback_scan_determinismE0ELb0ELb0ES3_PKS6_PS6_S6_ZZZN2at6native31launch_logcumsumexp_cuda_kernelERKNSD_10TensorBaseESH_lENKUlvE_clEvENKUlvE4_clEvEUlS6_S6_E_S6_EEDaPvRmT3_T4_T5_mT6_P12ihipStream_tbENKUlT_T0_E_clISt17integral_constantIbLb0EESX_IbLb1EEEEDaST_SU_EUlST_E0_NS1_11comp_targetILNS1_3genE2ELNS1_11target_archE906ELNS1_3gpuE6ELNS1_3repE0EEENS1_30default_config_static_selectorELNS0_4arch9wavefront6targetE0EEEvT1_
	.p2align	8
	.type	_ZN7rocprim17ROCPRIM_400000_NS6detail17trampoline_kernelINS0_14default_configENS1_20scan_config_selectorIN3c108BFloat16EEEZZNS1_9scan_implILNS1_25lookback_scan_determinismE0ELb0ELb0ES3_PKS6_PS6_S6_ZZZN2at6native31launch_logcumsumexp_cuda_kernelERKNSD_10TensorBaseESH_lENKUlvE_clEvENKUlvE4_clEvEUlS6_S6_E_S6_EEDaPvRmT3_T4_T5_mT6_P12ihipStream_tbENKUlT_T0_E_clISt17integral_constantIbLb0EESX_IbLb1EEEEDaST_SU_EUlST_E0_NS1_11comp_targetILNS1_3genE2ELNS1_11target_archE906ELNS1_3gpuE6ELNS1_3repE0EEENS1_30default_config_static_selectorELNS0_4arch9wavefront6targetE0EEEvT1_,@function
_ZN7rocprim17ROCPRIM_400000_NS6detail17trampoline_kernelINS0_14default_configENS1_20scan_config_selectorIN3c108BFloat16EEEZZNS1_9scan_implILNS1_25lookback_scan_determinismE0ELb0ELb0ES3_PKS6_PS6_S6_ZZZN2at6native31launch_logcumsumexp_cuda_kernelERKNSD_10TensorBaseESH_lENKUlvE_clEvENKUlvE4_clEvEUlS6_S6_E_S6_EEDaPvRmT3_T4_T5_mT6_P12ihipStream_tbENKUlT_T0_E_clISt17integral_constantIbLb0EESX_IbLb1EEEEDaST_SU_EUlST_E0_NS1_11comp_targetILNS1_3genE2ELNS1_11target_archE906ELNS1_3gpuE6ELNS1_3repE0EEENS1_30default_config_static_selectorELNS0_4arch9wavefront6targetE0EEEvT1_: ; @_ZN7rocprim17ROCPRIM_400000_NS6detail17trampoline_kernelINS0_14default_configENS1_20scan_config_selectorIN3c108BFloat16EEEZZNS1_9scan_implILNS1_25lookback_scan_determinismE0ELb0ELb0ES3_PKS6_PS6_S6_ZZZN2at6native31launch_logcumsumexp_cuda_kernelERKNSD_10TensorBaseESH_lENKUlvE_clEvENKUlvE4_clEvEUlS6_S6_E_S6_EEDaPvRmT3_T4_T5_mT6_P12ihipStream_tbENKUlT_T0_E_clISt17integral_constantIbLb0EESX_IbLb1EEEEDaST_SU_EUlST_E0_NS1_11comp_targetILNS1_3genE2ELNS1_11target_archE906ELNS1_3gpuE6ELNS1_3repE0EEENS1_30default_config_static_selectorELNS0_4arch9wavefront6targetE0EEEvT1_
; %bb.0:
	.section	.rodata,"a",@progbits
	.p2align	6, 0x0
	.amdhsa_kernel _ZN7rocprim17ROCPRIM_400000_NS6detail17trampoline_kernelINS0_14default_configENS1_20scan_config_selectorIN3c108BFloat16EEEZZNS1_9scan_implILNS1_25lookback_scan_determinismE0ELb0ELb0ES3_PKS6_PS6_S6_ZZZN2at6native31launch_logcumsumexp_cuda_kernelERKNSD_10TensorBaseESH_lENKUlvE_clEvENKUlvE4_clEvEUlS6_S6_E_S6_EEDaPvRmT3_T4_T5_mT6_P12ihipStream_tbENKUlT_T0_E_clISt17integral_constantIbLb0EESX_IbLb1EEEEDaST_SU_EUlST_E0_NS1_11comp_targetILNS1_3genE2ELNS1_11target_archE906ELNS1_3gpuE6ELNS1_3repE0EEENS1_30default_config_static_selectorELNS0_4arch9wavefront6targetE0EEEvT1_
		.amdhsa_group_segment_fixed_size 0
		.amdhsa_private_segment_fixed_size 0
		.amdhsa_kernarg_size 32
		.amdhsa_user_sgpr_count 15
		.amdhsa_user_sgpr_dispatch_ptr 0
		.amdhsa_user_sgpr_queue_ptr 0
		.amdhsa_user_sgpr_kernarg_segment_ptr 1
		.amdhsa_user_sgpr_dispatch_id 0
		.amdhsa_user_sgpr_private_segment_size 0
		.amdhsa_wavefront_size32 1
		.amdhsa_uses_dynamic_stack 0
		.amdhsa_enable_private_segment 0
		.amdhsa_system_sgpr_workgroup_id_x 1
		.amdhsa_system_sgpr_workgroup_id_y 0
		.amdhsa_system_sgpr_workgroup_id_z 0
		.amdhsa_system_sgpr_workgroup_info 0
		.amdhsa_system_vgpr_workitem_id 0
		.amdhsa_next_free_vgpr 1
		.amdhsa_next_free_sgpr 1
		.amdhsa_reserve_vcc 0
		.amdhsa_float_round_mode_32 0
		.amdhsa_float_round_mode_16_64 0
		.amdhsa_float_denorm_mode_32 3
		.amdhsa_float_denorm_mode_16_64 3
		.amdhsa_dx10_clamp 1
		.amdhsa_ieee_mode 1
		.amdhsa_fp16_overflow 0
		.amdhsa_workgroup_processor_mode 1
		.amdhsa_memory_ordered 1
		.amdhsa_forward_progress 0
		.amdhsa_shared_vgpr_count 0
		.amdhsa_exception_fp_ieee_invalid_op 0
		.amdhsa_exception_fp_denorm_src 0
		.amdhsa_exception_fp_ieee_div_zero 0
		.amdhsa_exception_fp_ieee_overflow 0
		.amdhsa_exception_fp_ieee_underflow 0
		.amdhsa_exception_fp_ieee_inexact 0
		.amdhsa_exception_int_div_zero 0
	.end_amdhsa_kernel
	.section	.text._ZN7rocprim17ROCPRIM_400000_NS6detail17trampoline_kernelINS0_14default_configENS1_20scan_config_selectorIN3c108BFloat16EEEZZNS1_9scan_implILNS1_25lookback_scan_determinismE0ELb0ELb0ES3_PKS6_PS6_S6_ZZZN2at6native31launch_logcumsumexp_cuda_kernelERKNSD_10TensorBaseESH_lENKUlvE_clEvENKUlvE4_clEvEUlS6_S6_E_S6_EEDaPvRmT3_T4_T5_mT6_P12ihipStream_tbENKUlT_T0_E_clISt17integral_constantIbLb0EESX_IbLb1EEEEDaST_SU_EUlST_E0_NS1_11comp_targetILNS1_3genE2ELNS1_11target_archE906ELNS1_3gpuE6ELNS1_3repE0EEENS1_30default_config_static_selectorELNS0_4arch9wavefront6targetE0EEEvT1_,"axG",@progbits,_ZN7rocprim17ROCPRIM_400000_NS6detail17trampoline_kernelINS0_14default_configENS1_20scan_config_selectorIN3c108BFloat16EEEZZNS1_9scan_implILNS1_25lookback_scan_determinismE0ELb0ELb0ES3_PKS6_PS6_S6_ZZZN2at6native31launch_logcumsumexp_cuda_kernelERKNSD_10TensorBaseESH_lENKUlvE_clEvENKUlvE4_clEvEUlS6_S6_E_S6_EEDaPvRmT3_T4_T5_mT6_P12ihipStream_tbENKUlT_T0_E_clISt17integral_constantIbLb0EESX_IbLb1EEEEDaST_SU_EUlST_E0_NS1_11comp_targetILNS1_3genE2ELNS1_11target_archE906ELNS1_3gpuE6ELNS1_3repE0EEENS1_30default_config_static_selectorELNS0_4arch9wavefront6targetE0EEEvT1_,comdat
.Lfunc_end528:
	.size	_ZN7rocprim17ROCPRIM_400000_NS6detail17trampoline_kernelINS0_14default_configENS1_20scan_config_selectorIN3c108BFloat16EEEZZNS1_9scan_implILNS1_25lookback_scan_determinismE0ELb0ELb0ES3_PKS6_PS6_S6_ZZZN2at6native31launch_logcumsumexp_cuda_kernelERKNSD_10TensorBaseESH_lENKUlvE_clEvENKUlvE4_clEvEUlS6_S6_E_S6_EEDaPvRmT3_T4_T5_mT6_P12ihipStream_tbENKUlT_T0_E_clISt17integral_constantIbLb0EESX_IbLb1EEEEDaST_SU_EUlST_E0_NS1_11comp_targetILNS1_3genE2ELNS1_11target_archE906ELNS1_3gpuE6ELNS1_3repE0EEENS1_30default_config_static_selectorELNS0_4arch9wavefront6targetE0EEEvT1_, .Lfunc_end528-_ZN7rocprim17ROCPRIM_400000_NS6detail17trampoline_kernelINS0_14default_configENS1_20scan_config_selectorIN3c108BFloat16EEEZZNS1_9scan_implILNS1_25lookback_scan_determinismE0ELb0ELb0ES3_PKS6_PS6_S6_ZZZN2at6native31launch_logcumsumexp_cuda_kernelERKNSD_10TensorBaseESH_lENKUlvE_clEvENKUlvE4_clEvEUlS6_S6_E_S6_EEDaPvRmT3_T4_T5_mT6_P12ihipStream_tbENKUlT_T0_E_clISt17integral_constantIbLb0EESX_IbLb1EEEEDaST_SU_EUlST_E0_NS1_11comp_targetILNS1_3genE2ELNS1_11target_archE906ELNS1_3gpuE6ELNS1_3repE0EEENS1_30default_config_static_selectorELNS0_4arch9wavefront6targetE0EEEvT1_
                                        ; -- End function
	.section	.AMDGPU.csdata,"",@progbits
; Kernel info:
; codeLenInByte = 0
; NumSgprs: 0
; NumVgprs: 0
; ScratchSize: 0
; MemoryBound: 0
; FloatMode: 240
; IeeeMode: 1
; LDSByteSize: 0 bytes/workgroup (compile time only)
; SGPRBlocks: 0
; VGPRBlocks: 0
; NumSGPRsForWavesPerEU: 1
; NumVGPRsForWavesPerEU: 1
; Occupancy: 16
; WaveLimiterHint : 0
; COMPUTE_PGM_RSRC2:SCRATCH_EN: 0
; COMPUTE_PGM_RSRC2:USER_SGPR: 15
; COMPUTE_PGM_RSRC2:TRAP_HANDLER: 0
; COMPUTE_PGM_RSRC2:TGID_X_EN: 1
; COMPUTE_PGM_RSRC2:TGID_Y_EN: 0
; COMPUTE_PGM_RSRC2:TGID_Z_EN: 0
; COMPUTE_PGM_RSRC2:TIDIG_COMP_CNT: 0
	.section	.text._ZN7rocprim17ROCPRIM_400000_NS6detail17trampoline_kernelINS0_14default_configENS1_20scan_config_selectorIN3c108BFloat16EEEZZNS1_9scan_implILNS1_25lookback_scan_determinismE0ELb0ELb0ES3_PKS6_PS6_S6_ZZZN2at6native31launch_logcumsumexp_cuda_kernelERKNSD_10TensorBaseESH_lENKUlvE_clEvENKUlvE4_clEvEUlS6_S6_E_S6_EEDaPvRmT3_T4_T5_mT6_P12ihipStream_tbENKUlT_T0_E_clISt17integral_constantIbLb0EESX_IbLb1EEEEDaST_SU_EUlST_E0_NS1_11comp_targetILNS1_3genE10ELNS1_11target_archE1201ELNS1_3gpuE5ELNS1_3repE0EEENS1_30default_config_static_selectorELNS0_4arch9wavefront6targetE0EEEvT1_,"axG",@progbits,_ZN7rocprim17ROCPRIM_400000_NS6detail17trampoline_kernelINS0_14default_configENS1_20scan_config_selectorIN3c108BFloat16EEEZZNS1_9scan_implILNS1_25lookback_scan_determinismE0ELb0ELb0ES3_PKS6_PS6_S6_ZZZN2at6native31launch_logcumsumexp_cuda_kernelERKNSD_10TensorBaseESH_lENKUlvE_clEvENKUlvE4_clEvEUlS6_S6_E_S6_EEDaPvRmT3_T4_T5_mT6_P12ihipStream_tbENKUlT_T0_E_clISt17integral_constantIbLb0EESX_IbLb1EEEEDaST_SU_EUlST_E0_NS1_11comp_targetILNS1_3genE10ELNS1_11target_archE1201ELNS1_3gpuE5ELNS1_3repE0EEENS1_30default_config_static_selectorELNS0_4arch9wavefront6targetE0EEEvT1_,comdat
	.globl	_ZN7rocprim17ROCPRIM_400000_NS6detail17trampoline_kernelINS0_14default_configENS1_20scan_config_selectorIN3c108BFloat16EEEZZNS1_9scan_implILNS1_25lookback_scan_determinismE0ELb0ELb0ES3_PKS6_PS6_S6_ZZZN2at6native31launch_logcumsumexp_cuda_kernelERKNSD_10TensorBaseESH_lENKUlvE_clEvENKUlvE4_clEvEUlS6_S6_E_S6_EEDaPvRmT3_T4_T5_mT6_P12ihipStream_tbENKUlT_T0_E_clISt17integral_constantIbLb0EESX_IbLb1EEEEDaST_SU_EUlST_E0_NS1_11comp_targetILNS1_3genE10ELNS1_11target_archE1201ELNS1_3gpuE5ELNS1_3repE0EEENS1_30default_config_static_selectorELNS0_4arch9wavefront6targetE0EEEvT1_ ; -- Begin function _ZN7rocprim17ROCPRIM_400000_NS6detail17trampoline_kernelINS0_14default_configENS1_20scan_config_selectorIN3c108BFloat16EEEZZNS1_9scan_implILNS1_25lookback_scan_determinismE0ELb0ELb0ES3_PKS6_PS6_S6_ZZZN2at6native31launch_logcumsumexp_cuda_kernelERKNSD_10TensorBaseESH_lENKUlvE_clEvENKUlvE4_clEvEUlS6_S6_E_S6_EEDaPvRmT3_T4_T5_mT6_P12ihipStream_tbENKUlT_T0_E_clISt17integral_constantIbLb0EESX_IbLb1EEEEDaST_SU_EUlST_E0_NS1_11comp_targetILNS1_3genE10ELNS1_11target_archE1201ELNS1_3gpuE5ELNS1_3repE0EEENS1_30default_config_static_selectorELNS0_4arch9wavefront6targetE0EEEvT1_
	.p2align	8
	.type	_ZN7rocprim17ROCPRIM_400000_NS6detail17trampoline_kernelINS0_14default_configENS1_20scan_config_selectorIN3c108BFloat16EEEZZNS1_9scan_implILNS1_25lookback_scan_determinismE0ELb0ELb0ES3_PKS6_PS6_S6_ZZZN2at6native31launch_logcumsumexp_cuda_kernelERKNSD_10TensorBaseESH_lENKUlvE_clEvENKUlvE4_clEvEUlS6_S6_E_S6_EEDaPvRmT3_T4_T5_mT6_P12ihipStream_tbENKUlT_T0_E_clISt17integral_constantIbLb0EESX_IbLb1EEEEDaST_SU_EUlST_E0_NS1_11comp_targetILNS1_3genE10ELNS1_11target_archE1201ELNS1_3gpuE5ELNS1_3repE0EEENS1_30default_config_static_selectorELNS0_4arch9wavefront6targetE0EEEvT1_,@function
_ZN7rocprim17ROCPRIM_400000_NS6detail17trampoline_kernelINS0_14default_configENS1_20scan_config_selectorIN3c108BFloat16EEEZZNS1_9scan_implILNS1_25lookback_scan_determinismE0ELb0ELb0ES3_PKS6_PS6_S6_ZZZN2at6native31launch_logcumsumexp_cuda_kernelERKNSD_10TensorBaseESH_lENKUlvE_clEvENKUlvE4_clEvEUlS6_S6_E_S6_EEDaPvRmT3_T4_T5_mT6_P12ihipStream_tbENKUlT_T0_E_clISt17integral_constantIbLb0EESX_IbLb1EEEEDaST_SU_EUlST_E0_NS1_11comp_targetILNS1_3genE10ELNS1_11target_archE1201ELNS1_3gpuE5ELNS1_3repE0EEENS1_30default_config_static_selectorELNS0_4arch9wavefront6targetE0EEEvT1_: ; @_ZN7rocprim17ROCPRIM_400000_NS6detail17trampoline_kernelINS0_14default_configENS1_20scan_config_selectorIN3c108BFloat16EEEZZNS1_9scan_implILNS1_25lookback_scan_determinismE0ELb0ELb0ES3_PKS6_PS6_S6_ZZZN2at6native31launch_logcumsumexp_cuda_kernelERKNSD_10TensorBaseESH_lENKUlvE_clEvENKUlvE4_clEvEUlS6_S6_E_S6_EEDaPvRmT3_T4_T5_mT6_P12ihipStream_tbENKUlT_T0_E_clISt17integral_constantIbLb0EESX_IbLb1EEEEDaST_SU_EUlST_E0_NS1_11comp_targetILNS1_3genE10ELNS1_11target_archE1201ELNS1_3gpuE5ELNS1_3repE0EEENS1_30default_config_static_selectorELNS0_4arch9wavefront6targetE0EEEvT1_
; %bb.0:
	.section	.rodata,"a",@progbits
	.p2align	6, 0x0
	.amdhsa_kernel _ZN7rocprim17ROCPRIM_400000_NS6detail17trampoline_kernelINS0_14default_configENS1_20scan_config_selectorIN3c108BFloat16EEEZZNS1_9scan_implILNS1_25lookback_scan_determinismE0ELb0ELb0ES3_PKS6_PS6_S6_ZZZN2at6native31launch_logcumsumexp_cuda_kernelERKNSD_10TensorBaseESH_lENKUlvE_clEvENKUlvE4_clEvEUlS6_S6_E_S6_EEDaPvRmT3_T4_T5_mT6_P12ihipStream_tbENKUlT_T0_E_clISt17integral_constantIbLb0EESX_IbLb1EEEEDaST_SU_EUlST_E0_NS1_11comp_targetILNS1_3genE10ELNS1_11target_archE1201ELNS1_3gpuE5ELNS1_3repE0EEENS1_30default_config_static_selectorELNS0_4arch9wavefront6targetE0EEEvT1_
		.amdhsa_group_segment_fixed_size 0
		.amdhsa_private_segment_fixed_size 0
		.amdhsa_kernarg_size 32
		.amdhsa_user_sgpr_count 15
		.amdhsa_user_sgpr_dispatch_ptr 0
		.amdhsa_user_sgpr_queue_ptr 0
		.amdhsa_user_sgpr_kernarg_segment_ptr 1
		.amdhsa_user_sgpr_dispatch_id 0
		.amdhsa_user_sgpr_private_segment_size 0
		.amdhsa_wavefront_size32 1
		.amdhsa_uses_dynamic_stack 0
		.amdhsa_enable_private_segment 0
		.amdhsa_system_sgpr_workgroup_id_x 1
		.amdhsa_system_sgpr_workgroup_id_y 0
		.amdhsa_system_sgpr_workgroup_id_z 0
		.amdhsa_system_sgpr_workgroup_info 0
		.amdhsa_system_vgpr_workitem_id 0
		.amdhsa_next_free_vgpr 1
		.amdhsa_next_free_sgpr 1
		.amdhsa_reserve_vcc 0
		.amdhsa_float_round_mode_32 0
		.amdhsa_float_round_mode_16_64 0
		.amdhsa_float_denorm_mode_32 3
		.amdhsa_float_denorm_mode_16_64 3
		.amdhsa_dx10_clamp 1
		.amdhsa_ieee_mode 1
		.amdhsa_fp16_overflow 0
		.amdhsa_workgroup_processor_mode 1
		.amdhsa_memory_ordered 1
		.amdhsa_forward_progress 0
		.amdhsa_shared_vgpr_count 0
		.amdhsa_exception_fp_ieee_invalid_op 0
		.amdhsa_exception_fp_denorm_src 0
		.amdhsa_exception_fp_ieee_div_zero 0
		.amdhsa_exception_fp_ieee_overflow 0
		.amdhsa_exception_fp_ieee_underflow 0
		.amdhsa_exception_fp_ieee_inexact 0
		.amdhsa_exception_int_div_zero 0
	.end_amdhsa_kernel
	.section	.text._ZN7rocprim17ROCPRIM_400000_NS6detail17trampoline_kernelINS0_14default_configENS1_20scan_config_selectorIN3c108BFloat16EEEZZNS1_9scan_implILNS1_25lookback_scan_determinismE0ELb0ELb0ES3_PKS6_PS6_S6_ZZZN2at6native31launch_logcumsumexp_cuda_kernelERKNSD_10TensorBaseESH_lENKUlvE_clEvENKUlvE4_clEvEUlS6_S6_E_S6_EEDaPvRmT3_T4_T5_mT6_P12ihipStream_tbENKUlT_T0_E_clISt17integral_constantIbLb0EESX_IbLb1EEEEDaST_SU_EUlST_E0_NS1_11comp_targetILNS1_3genE10ELNS1_11target_archE1201ELNS1_3gpuE5ELNS1_3repE0EEENS1_30default_config_static_selectorELNS0_4arch9wavefront6targetE0EEEvT1_,"axG",@progbits,_ZN7rocprim17ROCPRIM_400000_NS6detail17trampoline_kernelINS0_14default_configENS1_20scan_config_selectorIN3c108BFloat16EEEZZNS1_9scan_implILNS1_25lookback_scan_determinismE0ELb0ELb0ES3_PKS6_PS6_S6_ZZZN2at6native31launch_logcumsumexp_cuda_kernelERKNSD_10TensorBaseESH_lENKUlvE_clEvENKUlvE4_clEvEUlS6_S6_E_S6_EEDaPvRmT3_T4_T5_mT6_P12ihipStream_tbENKUlT_T0_E_clISt17integral_constantIbLb0EESX_IbLb1EEEEDaST_SU_EUlST_E0_NS1_11comp_targetILNS1_3genE10ELNS1_11target_archE1201ELNS1_3gpuE5ELNS1_3repE0EEENS1_30default_config_static_selectorELNS0_4arch9wavefront6targetE0EEEvT1_,comdat
.Lfunc_end529:
	.size	_ZN7rocprim17ROCPRIM_400000_NS6detail17trampoline_kernelINS0_14default_configENS1_20scan_config_selectorIN3c108BFloat16EEEZZNS1_9scan_implILNS1_25lookback_scan_determinismE0ELb0ELb0ES3_PKS6_PS6_S6_ZZZN2at6native31launch_logcumsumexp_cuda_kernelERKNSD_10TensorBaseESH_lENKUlvE_clEvENKUlvE4_clEvEUlS6_S6_E_S6_EEDaPvRmT3_T4_T5_mT6_P12ihipStream_tbENKUlT_T0_E_clISt17integral_constantIbLb0EESX_IbLb1EEEEDaST_SU_EUlST_E0_NS1_11comp_targetILNS1_3genE10ELNS1_11target_archE1201ELNS1_3gpuE5ELNS1_3repE0EEENS1_30default_config_static_selectorELNS0_4arch9wavefront6targetE0EEEvT1_, .Lfunc_end529-_ZN7rocprim17ROCPRIM_400000_NS6detail17trampoline_kernelINS0_14default_configENS1_20scan_config_selectorIN3c108BFloat16EEEZZNS1_9scan_implILNS1_25lookback_scan_determinismE0ELb0ELb0ES3_PKS6_PS6_S6_ZZZN2at6native31launch_logcumsumexp_cuda_kernelERKNSD_10TensorBaseESH_lENKUlvE_clEvENKUlvE4_clEvEUlS6_S6_E_S6_EEDaPvRmT3_T4_T5_mT6_P12ihipStream_tbENKUlT_T0_E_clISt17integral_constantIbLb0EESX_IbLb1EEEEDaST_SU_EUlST_E0_NS1_11comp_targetILNS1_3genE10ELNS1_11target_archE1201ELNS1_3gpuE5ELNS1_3repE0EEENS1_30default_config_static_selectorELNS0_4arch9wavefront6targetE0EEEvT1_
                                        ; -- End function
	.section	.AMDGPU.csdata,"",@progbits
; Kernel info:
; codeLenInByte = 0
; NumSgprs: 0
; NumVgprs: 0
; ScratchSize: 0
; MemoryBound: 0
; FloatMode: 240
; IeeeMode: 1
; LDSByteSize: 0 bytes/workgroup (compile time only)
; SGPRBlocks: 0
; VGPRBlocks: 0
; NumSGPRsForWavesPerEU: 1
; NumVGPRsForWavesPerEU: 1
; Occupancy: 16
; WaveLimiterHint : 0
; COMPUTE_PGM_RSRC2:SCRATCH_EN: 0
; COMPUTE_PGM_RSRC2:USER_SGPR: 15
; COMPUTE_PGM_RSRC2:TRAP_HANDLER: 0
; COMPUTE_PGM_RSRC2:TGID_X_EN: 1
; COMPUTE_PGM_RSRC2:TGID_Y_EN: 0
; COMPUTE_PGM_RSRC2:TGID_Z_EN: 0
; COMPUTE_PGM_RSRC2:TIDIG_COMP_CNT: 0
	.section	.text._ZN7rocprim17ROCPRIM_400000_NS6detail17trampoline_kernelINS0_14default_configENS1_20scan_config_selectorIN3c108BFloat16EEEZZNS1_9scan_implILNS1_25lookback_scan_determinismE0ELb0ELb0ES3_PKS6_PS6_S6_ZZZN2at6native31launch_logcumsumexp_cuda_kernelERKNSD_10TensorBaseESH_lENKUlvE_clEvENKUlvE4_clEvEUlS6_S6_E_S6_EEDaPvRmT3_T4_T5_mT6_P12ihipStream_tbENKUlT_T0_E_clISt17integral_constantIbLb0EESX_IbLb1EEEEDaST_SU_EUlST_E0_NS1_11comp_targetILNS1_3genE10ELNS1_11target_archE1200ELNS1_3gpuE4ELNS1_3repE0EEENS1_30default_config_static_selectorELNS0_4arch9wavefront6targetE0EEEvT1_,"axG",@progbits,_ZN7rocprim17ROCPRIM_400000_NS6detail17trampoline_kernelINS0_14default_configENS1_20scan_config_selectorIN3c108BFloat16EEEZZNS1_9scan_implILNS1_25lookback_scan_determinismE0ELb0ELb0ES3_PKS6_PS6_S6_ZZZN2at6native31launch_logcumsumexp_cuda_kernelERKNSD_10TensorBaseESH_lENKUlvE_clEvENKUlvE4_clEvEUlS6_S6_E_S6_EEDaPvRmT3_T4_T5_mT6_P12ihipStream_tbENKUlT_T0_E_clISt17integral_constantIbLb0EESX_IbLb1EEEEDaST_SU_EUlST_E0_NS1_11comp_targetILNS1_3genE10ELNS1_11target_archE1200ELNS1_3gpuE4ELNS1_3repE0EEENS1_30default_config_static_selectorELNS0_4arch9wavefront6targetE0EEEvT1_,comdat
	.globl	_ZN7rocprim17ROCPRIM_400000_NS6detail17trampoline_kernelINS0_14default_configENS1_20scan_config_selectorIN3c108BFloat16EEEZZNS1_9scan_implILNS1_25lookback_scan_determinismE0ELb0ELb0ES3_PKS6_PS6_S6_ZZZN2at6native31launch_logcumsumexp_cuda_kernelERKNSD_10TensorBaseESH_lENKUlvE_clEvENKUlvE4_clEvEUlS6_S6_E_S6_EEDaPvRmT3_T4_T5_mT6_P12ihipStream_tbENKUlT_T0_E_clISt17integral_constantIbLb0EESX_IbLb1EEEEDaST_SU_EUlST_E0_NS1_11comp_targetILNS1_3genE10ELNS1_11target_archE1200ELNS1_3gpuE4ELNS1_3repE0EEENS1_30default_config_static_selectorELNS0_4arch9wavefront6targetE0EEEvT1_ ; -- Begin function _ZN7rocprim17ROCPRIM_400000_NS6detail17trampoline_kernelINS0_14default_configENS1_20scan_config_selectorIN3c108BFloat16EEEZZNS1_9scan_implILNS1_25lookback_scan_determinismE0ELb0ELb0ES3_PKS6_PS6_S6_ZZZN2at6native31launch_logcumsumexp_cuda_kernelERKNSD_10TensorBaseESH_lENKUlvE_clEvENKUlvE4_clEvEUlS6_S6_E_S6_EEDaPvRmT3_T4_T5_mT6_P12ihipStream_tbENKUlT_T0_E_clISt17integral_constantIbLb0EESX_IbLb1EEEEDaST_SU_EUlST_E0_NS1_11comp_targetILNS1_3genE10ELNS1_11target_archE1200ELNS1_3gpuE4ELNS1_3repE0EEENS1_30default_config_static_selectorELNS0_4arch9wavefront6targetE0EEEvT1_
	.p2align	8
	.type	_ZN7rocprim17ROCPRIM_400000_NS6detail17trampoline_kernelINS0_14default_configENS1_20scan_config_selectorIN3c108BFloat16EEEZZNS1_9scan_implILNS1_25lookback_scan_determinismE0ELb0ELb0ES3_PKS6_PS6_S6_ZZZN2at6native31launch_logcumsumexp_cuda_kernelERKNSD_10TensorBaseESH_lENKUlvE_clEvENKUlvE4_clEvEUlS6_S6_E_S6_EEDaPvRmT3_T4_T5_mT6_P12ihipStream_tbENKUlT_T0_E_clISt17integral_constantIbLb0EESX_IbLb1EEEEDaST_SU_EUlST_E0_NS1_11comp_targetILNS1_3genE10ELNS1_11target_archE1200ELNS1_3gpuE4ELNS1_3repE0EEENS1_30default_config_static_selectorELNS0_4arch9wavefront6targetE0EEEvT1_,@function
_ZN7rocprim17ROCPRIM_400000_NS6detail17trampoline_kernelINS0_14default_configENS1_20scan_config_selectorIN3c108BFloat16EEEZZNS1_9scan_implILNS1_25lookback_scan_determinismE0ELb0ELb0ES3_PKS6_PS6_S6_ZZZN2at6native31launch_logcumsumexp_cuda_kernelERKNSD_10TensorBaseESH_lENKUlvE_clEvENKUlvE4_clEvEUlS6_S6_E_S6_EEDaPvRmT3_T4_T5_mT6_P12ihipStream_tbENKUlT_T0_E_clISt17integral_constantIbLb0EESX_IbLb1EEEEDaST_SU_EUlST_E0_NS1_11comp_targetILNS1_3genE10ELNS1_11target_archE1200ELNS1_3gpuE4ELNS1_3repE0EEENS1_30default_config_static_selectorELNS0_4arch9wavefront6targetE0EEEvT1_: ; @_ZN7rocprim17ROCPRIM_400000_NS6detail17trampoline_kernelINS0_14default_configENS1_20scan_config_selectorIN3c108BFloat16EEEZZNS1_9scan_implILNS1_25lookback_scan_determinismE0ELb0ELb0ES3_PKS6_PS6_S6_ZZZN2at6native31launch_logcumsumexp_cuda_kernelERKNSD_10TensorBaseESH_lENKUlvE_clEvENKUlvE4_clEvEUlS6_S6_E_S6_EEDaPvRmT3_T4_T5_mT6_P12ihipStream_tbENKUlT_T0_E_clISt17integral_constantIbLb0EESX_IbLb1EEEEDaST_SU_EUlST_E0_NS1_11comp_targetILNS1_3genE10ELNS1_11target_archE1200ELNS1_3gpuE4ELNS1_3repE0EEENS1_30default_config_static_selectorELNS0_4arch9wavefront6targetE0EEEvT1_
; %bb.0:
	.section	.rodata,"a",@progbits
	.p2align	6, 0x0
	.amdhsa_kernel _ZN7rocprim17ROCPRIM_400000_NS6detail17trampoline_kernelINS0_14default_configENS1_20scan_config_selectorIN3c108BFloat16EEEZZNS1_9scan_implILNS1_25lookback_scan_determinismE0ELb0ELb0ES3_PKS6_PS6_S6_ZZZN2at6native31launch_logcumsumexp_cuda_kernelERKNSD_10TensorBaseESH_lENKUlvE_clEvENKUlvE4_clEvEUlS6_S6_E_S6_EEDaPvRmT3_T4_T5_mT6_P12ihipStream_tbENKUlT_T0_E_clISt17integral_constantIbLb0EESX_IbLb1EEEEDaST_SU_EUlST_E0_NS1_11comp_targetILNS1_3genE10ELNS1_11target_archE1200ELNS1_3gpuE4ELNS1_3repE0EEENS1_30default_config_static_selectorELNS0_4arch9wavefront6targetE0EEEvT1_
		.amdhsa_group_segment_fixed_size 0
		.amdhsa_private_segment_fixed_size 0
		.amdhsa_kernarg_size 32
		.amdhsa_user_sgpr_count 15
		.amdhsa_user_sgpr_dispatch_ptr 0
		.amdhsa_user_sgpr_queue_ptr 0
		.amdhsa_user_sgpr_kernarg_segment_ptr 1
		.amdhsa_user_sgpr_dispatch_id 0
		.amdhsa_user_sgpr_private_segment_size 0
		.amdhsa_wavefront_size32 1
		.amdhsa_uses_dynamic_stack 0
		.amdhsa_enable_private_segment 0
		.amdhsa_system_sgpr_workgroup_id_x 1
		.amdhsa_system_sgpr_workgroup_id_y 0
		.amdhsa_system_sgpr_workgroup_id_z 0
		.amdhsa_system_sgpr_workgroup_info 0
		.amdhsa_system_vgpr_workitem_id 0
		.amdhsa_next_free_vgpr 1
		.amdhsa_next_free_sgpr 1
		.amdhsa_reserve_vcc 0
		.amdhsa_float_round_mode_32 0
		.amdhsa_float_round_mode_16_64 0
		.amdhsa_float_denorm_mode_32 3
		.amdhsa_float_denorm_mode_16_64 3
		.amdhsa_dx10_clamp 1
		.amdhsa_ieee_mode 1
		.amdhsa_fp16_overflow 0
		.amdhsa_workgroup_processor_mode 1
		.amdhsa_memory_ordered 1
		.amdhsa_forward_progress 0
		.amdhsa_shared_vgpr_count 0
		.amdhsa_exception_fp_ieee_invalid_op 0
		.amdhsa_exception_fp_denorm_src 0
		.amdhsa_exception_fp_ieee_div_zero 0
		.amdhsa_exception_fp_ieee_overflow 0
		.amdhsa_exception_fp_ieee_underflow 0
		.amdhsa_exception_fp_ieee_inexact 0
		.amdhsa_exception_int_div_zero 0
	.end_amdhsa_kernel
	.section	.text._ZN7rocprim17ROCPRIM_400000_NS6detail17trampoline_kernelINS0_14default_configENS1_20scan_config_selectorIN3c108BFloat16EEEZZNS1_9scan_implILNS1_25lookback_scan_determinismE0ELb0ELb0ES3_PKS6_PS6_S6_ZZZN2at6native31launch_logcumsumexp_cuda_kernelERKNSD_10TensorBaseESH_lENKUlvE_clEvENKUlvE4_clEvEUlS6_S6_E_S6_EEDaPvRmT3_T4_T5_mT6_P12ihipStream_tbENKUlT_T0_E_clISt17integral_constantIbLb0EESX_IbLb1EEEEDaST_SU_EUlST_E0_NS1_11comp_targetILNS1_3genE10ELNS1_11target_archE1200ELNS1_3gpuE4ELNS1_3repE0EEENS1_30default_config_static_selectorELNS0_4arch9wavefront6targetE0EEEvT1_,"axG",@progbits,_ZN7rocprim17ROCPRIM_400000_NS6detail17trampoline_kernelINS0_14default_configENS1_20scan_config_selectorIN3c108BFloat16EEEZZNS1_9scan_implILNS1_25lookback_scan_determinismE0ELb0ELb0ES3_PKS6_PS6_S6_ZZZN2at6native31launch_logcumsumexp_cuda_kernelERKNSD_10TensorBaseESH_lENKUlvE_clEvENKUlvE4_clEvEUlS6_S6_E_S6_EEDaPvRmT3_T4_T5_mT6_P12ihipStream_tbENKUlT_T0_E_clISt17integral_constantIbLb0EESX_IbLb1EEEEDaST_SU_EUlST_E0_NS1_11comp_targetILNS1_3genE10ELNS1_11target_archE1200ELNS1_3gpuE4ELNS1_3repE0EEENS1_30default_config_static_selectorELNS0_4arch9wavefront6targetE0EEEvT1_,comdat
.Lfunc_end530:
	.size	_ZN7rocprim17ROCPRIM_400000_NS6detail17trampoline_kernelINS0_14default_configENS1_20scan_config_selectorIN3c108BFloat16EEEZZNS1_9scan_implILNS1_25lookback_scan_determinismE0ELb0ELb0ES3_PKS6_PS6_S6_ZZZN2at6native31launch_logcumsumexp_cuda_kernelERKNSD_10TensorBaseESH_lENKUlvE_clEvENKUlvE4_clEvEUlS6_S6_E_S6_EEDaPvRmT3_T4_T5_mT6_P12ihipStream_tbENKUlT_T0_E_clISt17integral_constantIbLb0EESX_IbLb1EEEEDaST_SU_EUlST_E0_NS1_11comp_targetILNS1_3genE10ELNS1_11target_archE1200ELNS1_3gpuE4ELNS1_3repE0EEENS1_30default_config_static_selectorELNS0_4arch9wavefront6targetE0EEEvT1_, .Lfunc_end530-_ZN7rocprim17ROCPRIM_400000_NS6detail17trampoline_kernelINS0_14default_configENS1_20scan_config_selectorIN3c108BFloat16EEEZZNS1_9scan_implILNS1_25lookback_scan_determinismE0ELb0ELb0ES3_PKS6_PS6_S6_ZZZN2at6native31launch_logcumsumexp_cuda_kernelERKNSD_10TensorBaseESH_lENKUlvE_clEvENKUlvE4_clEvEUlS6_S6_E_S6_EEDaPvRmT3_T4_T5_mT6_P12ihipStream_tbENKUlT_T0_E_clISt17integral_constantIbLb0EESX_IbLb1EEEEDaST_SU_EUlST_E0_NS1_11comp_targetILNS1_3genE10ELNS1_11target_archE1200ELNS1_3gpuE4ELNS1_3repE0EEENS1_30default_config_static_selectorELNS0_4arch9wavefront6targetE0EEEvT1_
                                        ; -- End function
	.section	.AMDGPU.csdata,"",@progbits
; Kernel info:
; codeLenInByte = 0
; NumSgprs: 0
; NumVgprs: 0
; ScratchSize: 0
; MemoryBound: 0
; FloatMode: 240
; IeeeMode: 1
; LDSByteSize: 0 bytes/workgroup (compile time only)
; SGPRBlocks: 0
; VGPRBlocks: 0
; NumSGPRsForWavesPerEU: 1
; NumVGPRsForWavesPerEU: 1
; Occupancy: 16
; WaveLimiterHint : 0
; COMPUTE_PGM_RSRC2:SCRATCH_EN: 0
; COMPUTE_PGM_RSRC2:USER_SGPR: 15
; COMPUTE_PGM_RSRC2:TRAP_HANDLER: 0
; COMPUTE_PGM_RSRC2:TGID_X_EN: 1
; COMPUTE_PGM_RSRC2:TGID_Y_EN: 0
; COMPUTE_PGM_RSRC2:TGID_Z_EN: 0
; COMPUTE_PGM_RSRC2:TIDIG_COMP_CNT: 0
	.section	.text._ZN7rocprim17ROCPRIM_400000_NS6detail17trampoline_kernelINS0_14default_configENS1_20scan_config_selectorIN3c108BFloat16EEEZZNS1_9scan_implILNS1_25lookback_scan_determinismE0ELb0ELb0ES3_PKS6_PS6_S6_ZZZN2at6native31launch_logcumsumexp_cuda_kernelERKNSD_10TensorBaseESH_lENKUlvE_clEvENKUlvE4_clEvEUlS6_S6_E_S6_EEDaPvRmT3_T4_T5_mT6_P12ihipStream_tbENKUlT_T0_E_clISt17integral_constantIbLb0EESX_IbLb1EEEEDaST_SU_EUlST_E0_NS1_11comp_targetILNS1_3genE9ELNS1_11target_archE1100ELNS1_3gpuE3ELNS1_3repE0EEENS1_30default_config_static_selectorELNS0_4arch9wavefront6targetE0EEEvT1_,"axG",@progbits,_ZN7rocprim17ROCPRIM_400000_NS6detail17trampoline_kernelINS0_14default_configENS1_20scan_config_selectorIN3c108BFloat16EEEZZNS1_9scan_implILNS1_25lookback_scan_determinismE0ELb0ELb0ES3_PKS6_PS6_S6_ZZZN2at6native31launch_logcumsumexp_cuda_kernelERKNSD_10TensorBaseESH_lENKUlvE_clEvENKUlvE4_clEvEUlS6_S6_E_S6_EEDaPvRmT3_T4_T5_mT6_P12ihipStream_tbENKUlT_T0_E_clISt17integral_constantIbLb0EESX_IbLb1EEEEDaST_SU_EUlST_E0_NS1_11comp_targetILNS1_3genE9ELNS1_11target_archE1100ELNS1_3gpuE3ELNS1_3repE0EEENS1_30default_config_static_selectorELNS0_4arch9wavefront6targetE0EEEvT1_,comdat
	.globl	_ZN7rocprim17ROCPRIM_400000_NS6detail17trampoline_kernelINS0_14default_configENS1_20scan_config_selectorIN3c108BFloat16EEEZZNS1_9scan_implILNS1_25lookback_scan_determinismE0ELb0ELb0ES3_PKS6_PS6_S6_ZZZN2at6native31launch_logcumsumexp_cuda_kernelERKNSD_10TensorBaseESH_lENKUlvE_clEvENKUlvE4_clEvEUlS6_S6_E_S6_EEDaPvRmT3_T4_T5_mT6_P12ihipStream_tbENKUlT_T0_E_clISt17integral_constantIbLb0EESX_IbLb1EEEEDaST_SU_EUlST_E0_NS1_11comp_targetILNS1_3genE9ELNS1_11target_archE1100ELNS1_3gpuE3ELNS1_3repE0EEENS1_30default_config_static_selectorELNS0_4arch9wavefront6targetE0EEEvT1_ ; -- Begin function _ZN7rocprim17ROCPRIM_400000_NS6detail17trampoline_kernelINS0_14default_configENS1_20scan_config_selectorIN3c108BFloat16EEEZZNS1_9scan_implILNS1_25lookback_scan_determinismE0ELb0ELb0ES3_PKS6_PS6_S6_ZZZN2at6native31launch_logcumsumexp_cuda_kernelERKNSD_10TensorBaseESH_lENKUlvE_clEvENKUlvE4_clEvEUlS6_S6_E_S6_EEDaPvRmT3_T4_T5_mT6_P12ihipStream_tbENKUlT_T0_E_clISt17integral_constantIbLb0EESX_IbLb1EEEEDaST_SU_EUlST_E0_NS1_11comp_targetILNS1_3genE9ELNS1_11target_archE1100ELNS1_3gpuE3ELNS1_3repE0EEENS1_30default_config_static_selectorELNS0_4arch9wavefront6targetE0EEEvT1_
	.p2align	8
	.type	_ZN7rocprim17ROCPRIM_400000_NS6detail17trampoline_kernelINS0_14default_configENS1_20scan_config_selectorIN3c108BFloat16EEEZZNS1_9scan_implILNS1_25lookback_scan_determinismE0ELb0ELb0ES3_PKS6_PS6_S6_ZZZN2at6native31launch_logcumsumexp_cuda_kernelERKNSD_10TensorBaseESH_lENKUlvE_clEvENKUlvE4_clEvEUlS6_S6_E_S6_EEDaPvRmT3_T4_T5_mT6_P12ihipStream_tbENKUlT_T0_E_clISt17integral_constantIbLb0EESX_IbLb1EEEEDaST_SU_EUlST_E0_NS1_11comp_targetILNS1_3genE9ELNS1_11target_archE1100ELNS1_3gpuE3ELNS1_3repE0EEENS1_30default_config_static_selectorELNS0_4arch9wavefront6targetE0EEEvT1_,@function
_ZN7rocprim17ROCPRIM_400000_NS6detail17trampoline_kernelINS0_14default_configENS1_20scan_config_selectorIN3c108BFloat16EEEZZNS1_9scan_implILNS1_25lookback_scan_determinismE0ELb0ELb0ES3_PKS6_PS6_S6_ZZZN2at6native31launch_logcumsumexp_cuda_kernelERKNSD_10TensorBaseESH_lENKUlvE_clEvENKUlvE4_clEvEUlS6_S6_E_S6_EEDaPvRmT3_T4_T5_mT6_P12ihipStream_tbENKUlT_T0_E_clISt17integral_constantIbLb0EESX_IbLb1EEEEDaST_SU_EUlST_E0_NS1_11comp_targetILNS1_3genE9ELNS1_11target_archE1100ELNS1_3gpuE3ELNS1_3repE0EEENS1_30default_config_static_selectorELNS0_4arch9wavefront6targetE0EEEvT1_: ; @_ZN7rocprim17ROCPRIM_400000_NS6detail17trampoline_kernelINS0_14default_configENS1_20scan_config_selectorIN3c108BFloat16EEEZZNS1_9scan_implILNS1_25lookback_scan_determinismE0ELb0ELb0ES3_PKS6_PS6_S6_ZZZN2at6native31launch_logcumsumexp_cuda_kernelERKNSD_10TensorBaseESH_lENKUlvE_clEvENKUlvE4_clEvEUlS6_S6_E_S6_EEDaPvRmT3_T4_T5_mT6_P12ihipStream_tbENKUlT_T0_E_clISt17integral_constantIbLb0EESX_IbLb1EEEEDaST_SU_EUlST_E0_NS1_11comp_targetILNS1_3genE9ELNS1_11target_archE1100ELNS1_3gpuE3ELNS1_3repE0EEENS1_30default_config_static_selectorELNS0_4arch9wavefront6targetE0EEEvT1_
; %bb.0:
	s_load_b128 s[24:27], s[0:1], 0x0
	v_dual_mov_b32 v1, 0 :: v_dual_lshlrev_b32 v12, 1, v0
	s_waitcnt lgkmcnt(0)
	global_load_u16 v2, v1, s[24:25]
	v_cmp_gt_u32_e32 vcc_lo, s26, v0
	s_waitcnt vmcnt(0)
	v_mov_b32_e32 v3, v2
	s_and_saveexec_b32 s2, vcc_lo
	s_cbranch_execz .LBB531_2
; %bb.1:
	global_load_u16 v3, v12, s[24:25]
.LBB531_2:
	s_or_b32 exec_lo, exec_lo, s2
	v_or_b32_e32 v1, 64, v0
	v_mov_b32_e32 v4, v2
	s_delay_alu instid0(VALU_DEP_2) | instskip(NEXT) | instid1(VALU_DEP_1)
	v_cmp_gt_u32_e64 s2, s26, v1
	s_and_saveexec_b32 s3, s2
	s_cbranch_execz .LBB531_4
; %bb.3:
	global_load_u16 v4, v12, s[24:25] offset:128
.LBB531_4:
	s_or_b32 exec_lo, exec_lo, s3
	v_or_b32_e32 v1, 0x80, v0
	v_mov_b32_e32 v5, v2
	s_delay_alu instid0(VALU_DEP_2) | instskip(NEXT) | instid1(VALU_DEP_1)
	v_cmp_gt_u32_e64 s3, s26, v1
	s_and_saveexec_b32 s4, s3
	s_cbranch_execz .LBB531_6
; %bb.5:
	global_load_u16 v5, v12, s[24:25] offset:256
.LBB531_6:
	;; [unrolled: 10-line block ×20, first 2 shown]
	s_or_b32 exec_lo, exec_lo, s22
	v_or_b32_e32 v1, 0x540, v0
	s_delay_alu instid0(VALU_DEP_1) | instskip(SKIP_1) | instid1(VALU_DEP_1)
	v_cmp_gt_u32_e64 s22, s26, v1
	v_cmp_le_u32_e64 s23, s26, v1
	s_and_saveexec_b32 s26, s23
	s_delay_alu instid0(SALU_CYCLE_1)
	s_xor_b32 s23, exec_lo, s26
; %bb.43:
	v_mov_b32_e32 v1, 0
; %bb.44:
	s_and_not1_saveexec_b32 s23, s23
	s_cbranch_execz .LBB531_46
; %bb.45:
	global_load_u16 v2, v12, s[24:25] offset:2688
	v_mov_b32_e32 v1, 0
.LBB531_46:
	s_or_b32 exec_lo, exec_lo, s23
	s_waitcnt vmcnt(0)
	ds_store_b16 v12, v3
	ds_store_b16 v12, v4 offset:128
	ds_store_b16 v12, v5 offset:256
	ds_store_b16 v12, v6 offset:384
	ds_store_b16 v12, v7 offset:512
	ds_store_b16 v12, v8 offset:640
	ds_store_b16 v12, v9 offset:768
	ds_store_b16 v12, v10 offset:896
	ds_store_b16 v12, v11 offset:1024
	ds_store_b16 v12, v13 offset:1152
	ds_store_b16 v12, v14 offset:1280
	ds_store_b16 v12, v15 offset:1408
	ds_store_b16 v12, v16 offset:1536
	ds_store_b16 v12, v17 offset:1664
	ds_store_b16 v12, v18 offset:1792
	ds_store_b16 v12, v19 offset:1920
	v_mad_u32_u24 v14, v0, 42, v12
	ds_store_b16 v12, v20 offset:2048
	ds_store_b16 v12, v21 offset:2176
	ds_store_b16 v12, v22 offset:2304
	ds_store_b16 v12, v23 offset:2432
	ds_store_b16 v12, v24 offset:2560
	ds_store_b16 v12, v2 offset:2688
	s_waitcnt lgkmcnt(0)
	s_barrier
	buffer_gl0_inv
	ds_load_2addr_b32 v[2:3], v14 offset1:1
	ds_load_2addr_b32 v[10:11], v14 offset0:2 offset1:3
	ds_load_2addr_b32 v[8:9], v14 offset0:4 offset1:5
	;; [unrolled: 1-line block ×4, first 2 shown]
	ds_load_b32 v42, v14 offset:40
	s_waitcnt lgkmcnt(0)
	s_barrier
	buffer_gl0_inv
	v_lshlrev_b32_e32 v46, 16, v2
	s_delay_alu instid0(VALU_DEP_1) | instskip(SKIP_1) | instid1(VALU_DEP_1)
	v_max_f32_e32 v49, v46, v46
	v_and_b32_e32 v13, 0xffff0000, v2
	v_max_f32_e32 v17, v13, v13
	v_cmp_u_f32_e64 s45, v46, v46
	s_delay_alu instid0(VALU_DEP_2) | instskip(SKIP_2) | instid1(VALU_DEP_3)
	v_max_f32_e32 v48, v49, v17
	v_min_f32_e32 v47, v49, v17
	v_cmp_u_f32_e64 s23, v13, v13
	v_cndmask_b32_e64 v15, v48, v46, s45
	s_delay_alu instid0(VALU_DEP_3) | instskip(NEXT) | instid1(VALU_DEP_1)
	v_cndmask_b32_e64 v14, v47, v46, s45
	v_cndmask_b32_e64 v16, v14, v13, s23
	s_delay_alu instid0(VALU_DEP_3) | instskip(SKIP_1) | instid1(VALU_DEP_3)
	v_cndmask_b32_e64 v14, v15, v13, s23
	v_mov_b32_e32 v15, v46
	v_cmp_class_f32_e64 s25, v16, 0x1f8
	s_delay_alu instid0(VALU_DEP_3) | instskip(NEXT) | instid1(VALU_DEP_1)
	v_cmp_neq_f32_e64 s24, v16, v14
	s_or_b32 s24, s24, s25
	s_delay_alu instid0(SALU_CYCLE_1)
	s_and_saveexec_b32 s25, s24
	s_cbranch_execz .LBB531_48
; %bb.47:
	v_sub_f32_e32 v15, v16, v14
	s_delay_alu instid0(VALU_DEP_1) | instskip(SKIP_1) | instid1(VALU_DEP_2)
	v_mul_f32_e32 v16, 0x3fb8aa3b, v15
	v_cmp_ngt_f32_e64 s24, 0xc2ce8ed0, v15
	v_fma_f32 v18, 0x3fb8aa3b, v15, -v16
	v_rndne_f32_e32 v19, v16
	s_delay_alu instid0(VALU_DEP_2) | instskip(NEXT) | instid1(VALU_DEP_2)
	v_fmamk_f32 v18, v15, 0x32a5705f, v18
	v_sub_f32_e32 v16, v16, v19
	s_delay_alu instid0(VALU_DEP_1) | instskip(SKIP_1) | instid1(VALU_DEP_2)
	v_add_f32_e32 v16, v16, v18
	v_cvt_i32_f32_e32 v18, v19
	v_exp_f32_e32 v16, v16
	s_waitcnt_depctr 0xfff
	v_ldexp_f32 v16, v16, v18
	s_delay_alu instid0(VALU_DEP_1) | instskip(SKIP_1) | instid1(VALU_DEP_1)
	v_cndmask_b32_e64 v16, 0, v16, s24
	v_cmp_nlt_f32_e64 s24, 0x42b17218, v15
	v_cndmask_b32_e64 v18, 0x7f800000, v16, s24
	s_delay_alu instid0(VALU_DEP_1) | instskip(SKIP_1) | instid1(VALU_DEP_2)
	v_add_f32_e32 v19, 1.0, v18
	v_cmp_gt_f32_e64 s26, 0x33800000, |v18|
	v_cvt_f64_f32_e32 v[15:16], v19
	s_delay_alu instid0(VALU_DEP_1) | instskip(SKIP_1) | instid1(VALU_DEP_1)
	v_frexp_exp_i32_f64_e32 v15, v[15:16]
	v_frexp_mant_f32_e32 v16, v19
	v_cmp_gt_f32_e64 s24, 0x3f2aaaab, v16
	v_add_f32_e32 v16, -1.0, v19
	s_delay_alu instid0(VALU_DEP_1) | instskip(NEXT) | instid1(VALU_DEP_1)
	v_sub_f32_e32 v21, v16, v19
	v_add_f32_e32 v21, 1.0, v21
	s_delay_alu instid0(VALU_DEP_4) | instskip(SKIP_1) | instid1(VALU_DEP_1)
	v_subrev_co_ci_u32_e64 v15, s24, 0, v15, s24
	s_mov_b32 s24, 0x3e9b6dac
	v_sub_nc_u32_e32 v20, 0, v15
	v_cvt_f32_i32_e32 v15, v15
	s_delay_alu instid0(VALU_DEP_2) | instskip(NEXT) | instid1(VALU_DEP_1)
	v_ldexp_f32 v19, v19, v20
	v_add_f32_e32 v22, 1.0, v19
	v_sub_f32_e32 v16, v18, v16
	s_delay_alu instid0(VALU_DEP_1) | instskip(NEXT) | instid1(VALU_DEP_1)
	v_add_f32_e32 v16, v16, v21
	v_ldexp_f32 v16, v16, v20
	v_add_f32_e32 v20, -1.0, v19
	s_delay_alu instid0(VALU_DEP_1) | instskip(SKIP_1) | instid1(VALU_DEP_1)
	v_add_f32_e32 v23, 1.0, v20
	v_add_f32_e32 v21, -1.0, v22
	v_sub_f32_e32 v21, v19, v21
	s_delay_alu instid0(VALU_DEP_3) | instskip(NEXT) | instid1(VALU_DEP_2)
	v_sub_f32_e32 v19, v19, v23
	v_add_f32_e32 v21, v16, v21
	s_delay_alu instid0(VALU_DEP_1) | instskip(NEXT) | instid1(VALU_DEP_1)
	v_dual_add_f32 v16, v16, v19 :: v_dual_add_f32 v23, v22, v21
	v_rcp_f32_e32 v19, v23
	v_sub_f32_e32 v22, v22, v23
	s_delay_alu instid0(VALU_DEP_1) | instskip(NEXT) | instid1(VALU_DEP_1)
	v_dual_add_f32 v24, v20, v16 :: v_dual_add_f32 v21, v21, v22
	v_sub_f32_e32 v20, v20, v24
	s_waitcnt_depctr 0xfff
	v_mul_f32_e32 v25, v24, v19
	v_add_f32_e32 v16, v16, v20
	s_delay_alu instid0(VALU_DEP_2) | instskip(NEXT) | instid1(VALU_DEP_1)
	v_mul_f32_e32 v26, v23, v25
	v_fma_f32 v22, v25, v23, -v26
	s_delay_alu instid0(VALU_DEP_1) | instskip(NEXT) | instid1(VALU_DEP_1)
	v_fmac_f32_e32 v22, v25, v21
	v_add_f32_e32 v27, v26, v22
	s_delay_alu instid0(VALU_DEP_1) | instskip(SKIP_1) | instid1(VALU_DEP_2)
	v_sub_f32_e32 v28, v24, v27
	v_sub_f32_e32 v20, v27, v26
	;; [unrolled: 1-line block ×3, first 2 shown]
	s_delay_alu instid0(VALU_DEP_2) | instskip(NEXT) | instid1(VALU_DEP_2)
	v_sub_f32_e32 v20, v20, v22
	v_sub_f32_e32 v24, v24, v27
	s_delay_alu instid0(VALU_DEP_1) | instskip(NEXT) | instid1(VALU_DEP_1)
	v_add_f32_e32 v16, v16, v24
	v_add_f32_e32 v16, v20, v16
	s_delay_alu instid0(VALU_DEP_1) | instskip(NEXT) | instid1(VALU_DEP_1)
	v_add_f32_e32 v20, v28, v16
	v_mul_f32_e32 v22, v19, v20
	s_delay_alu instid0(VALU_DEP_1) | instskip(NEXT) | instid1(VALU_DEP_1)
	v_mul_f32_e32 v24, v23, v22
	v_fma_f32 v23, v22, v23, -v24
	s_delay_alu instid0(VALU_DEP_1) | instskip(SKIP_1) | instid1(VALU_DEP_2)
	v_fmac_f32_e32 v23, v22, v21
	v_sub_f32_e32 v27, v28, v20
	v_add_f32_e32 v21, v24, v23
	s_delay_alu instid0(VALU_DEP_2) | instskip(NEXT) | instid1(VALU_DEP_2)
	v_add_f32_e32 v16, v16, v27
	v_sub_f32_e32 v26, v20, v21
	v_sub_f32_e32 v24, v21, v24
	s_delay_alu instid0(VALU_DEP_2) | instskip(NEXT) | instid1(VALU_DEP_1)
	v_sub_f32_e32 v20, v20, v26
	v_sub_f32_e32 v20, v20, v21
	s_delay_alu instid0(VALU_DEP_3) | instskip(NEXT) | instid1(VALU_DEP_2)
	v_sub_f32_e32 v21, v24, v23
	v_add_f32_e32 v16, v16, v20
	v_add_f32_e32 v20, v25, v22
	s_delay_alu instid0(VALU_DEP_1) | instskip(NEXT) | instid1(VALU_DEP_1)
	v_dual_add_f32 v16, v21, v16 :: v_dual_sub_f32 v21, v20, v25
	v_add_f32_e32 v16, v26, v16
	s_delay_alu instid0(VALU_DEP_1) | instskip(NEXT) | instid1(VALU_DEP_1)
	v_dual_sub_f32 v21, v22, v21 :: v_dual_mul_f32 v16, v19, v16
	v_add_f32_e32 v16, v21, v16
	s_delay_alu instid0(VALU_DEP_1) | instskip(NEXT) | instid1(VALU_DEP_1)
	v_add_f32_e32 v19, v20, v16
	v_mul_f32_e32 v21, v19, v19
	s_delay_alu instid0(VALU_DEP_1) | instskip(SKIP_2) | instid1(VALU_DEP_3)
	v_fmaak_f32 v22, s24, v21, 0x3ecc95a3
	v_mul_f32_e32 v23, v19, v21
	v_cmp_eq_f32_e64 s24, 0x7f800000, v18
	v_fmaak_f32 v21, v21, v22, 0x3f2aaada
	v_ldexp_f32 v22, v19, 1
	v_sub_f32_e32 v19, v19, v20
	s_delay_alu instid0(VALU_DEP_4) | instskip(NEXT) | instid1(VALU_DEP_3)
	s_or_b32 s24, s24, s26
	v_mul_f32_e32 v21, v23, v21
	v_mul_f32_e32 v23, 0x3f317218, v15
	s_delay_alu instid0(VALU_DEP_3) | instskip(NEXT) | instid1(VALU_DEP_3)
	v_sub_f32_e32 v16, v16, v19
	v_add_f32_e32 v20, v22, v21
	s_delay_alu instid0(VALU_DEP_2) | instskip(NEXT) | instid1(VALU_DEP_2)
	v_ldexp_f32 v16, v16, 1
	v_sub_f32_e32 v19, v20, v22
	v_fma_f32 v22, 0x3f317218, v15, -v23
	s_delay_alu instid0(VALU_DEP_2) | instskip(NEXT) | instid1(VALU_DEP_1)
	v_sub_f32_e32 v19, v21, v19
	v_dual_fmamk_f32 v15, v15, 0xb102e308, v22 :: v_dual_add_f32 v16, v16, v19
	s_delay_alu instid0(VALU_DEP_1) | instskip(NEXT) | instid1(VALU_DEP_2)
	v_add_f32_e32 v19, v23, v15
	v_add_f32_e32 v21, v20, v16
	s_delay_alu instid0(VALU_DEP_2) | instskip(NEXT) | instid1(VALU_DEP_2)
	v_sub_f32_e32 v23, v19, v23
	v_add_f32_e32 v22, v19, v21
	s_delay_alu instid0(VALU_DEP_2) | instskip(NEXT) | instid1(VALU_DEP_2)
	v_dual_sub_f32 v20, v21, v20 :: v_dual_sub_f32 v15, v15, v23
	v_sub_f32_e32 v24, v22, v19
	s_delay_alu instid0(VALU_DEP_2) | instskip(NEXT) | instid1(VALU_DEP_2)
	v_sub_f32_e32 v16, v16, v20
	v_sub_f32_e32 v25, v22, v24
	;; [unrolled: 1-line block ×3, first 2 shown]
	s_delay_alu instid0(VALU_DEP_3) | instskip(NEXT) | instid1(VALU_DEP_3)
	v_add_f32_e32 v21, v15, v16
	v_sub_f32_e32 v19, v19, v25
	s_delay_alu instid0(VALU_DEP_1) | instskip(NEXT) | instid1(VALU_DEP_3)
	v_add_f32_e32 v19, v20, v19
	v_sub_f32_e32 v20, v21, v15
	s_delay_alu instid0(VALU_DEP_2) | instskip(NEXT) | instid1(VALU_DEP_2)
	v_add_f32_e32 v19, v21, v19
	v_sub_f32_e32 v21, v21, v20
	s_delay_alu instid0(VALU_DEP_1) | instskip(NEXT) | instid1(VALU_DEP_1)
	v_dual_sub_f32 v16, v16, v20 :: v_dual_sub_f32 v15, v15, v21
	v_add_f32_e32 v15, v16, v15
	s_delay_alu instid0(VALU_DEP_4) | instskip(NEXT) | instid1(VALU_DEP_1)
	v_add_f32_e32 v23, v22, v19
	v_sub_f32_e32 v20, v23, v22
	s_delay_alu instid0(VALU_DEP_1) | instskip(NEXT) | instid1(VALU_DEP_1)
	v_sub_f32_e32 v16, v19, v20
	v_add_f32_e32 v15, v15, v16
	s_delay_alu instid0(VALU_DEP_1) | instskip(NEXT) | instid1(VALU_DEP_1)
	v_add_f32_e32 v15, v23, v15
	v_cndmask_b32_e64 v15, v15, v18, s24
	s_delay_alu instid0(VALU_DEP_1)
	v_add_f32_e32 v15, v14, v15
.LBB531_48:
	s_or_b32 exec_lo, exec_lo, s25
	s_delay_alu instid0(VALU_DEP_1) | instskip(SKIP_1) | instid1(VALU_DEP_2)
	v_bfe_u32 v14, v15, 16, 1
	v_cmp_o_f32_e64 s24, v15, v15
	v_add3_u32 v14, v15, v14, 0x7fff
	s_delay_alu instid0(VALU_DEP_1) | instskip(NEXT) | instid1(VALU_DEP_1)
	v_and_b32_e32 v16, 0xffff0000, v14
	v_cndmask_b32_e64 v18, 0x7fc00000, v16, s24
	s_delay_alu instid0(VALU_DEP_1) | instskip(NEXT) | instid1(VALU_DEP_1)
	v_dual_max_f32 v15, v18, v18 :: v_dual_lshlrev_b32 v14, 16, v3
	v_max_f32_e32 v16, v14, v14
	v_cmp_u_f32_e64 s24, v18, v18
	s_delay_alu instid0(VALU_DEP_2) | instskip(SKIP_1) | instid1(VALU_DEP_2)
	v_min_f32_e32 v19, v15, v16
	v_max_f32_e32 v15, v15, v16
	v_cndmask_b32_e64 v19, v19, v18, s24
	s_delay_alu instid0(VALU_DEP_2) | instskip(SKIP_1) | instid1(VALU_DEP_1)
	v_cndmask_b32_e64 v15, v15, v18, s24
	v_cmp_u_f32_e64 s24, v14, v14
	v_cndmask_b32_e64 v19, v19, v14, s24
	s_delay_alu instid0(VALU_DEP_3) | instskip(NEXT) | instid1(VALU_DEP_2)
	v_cndmask_b32_e64 v15, v15, v14, s24
	v_cmp_class_f32_e64 s26, v19, 0x1f8
	s_delay_alu instid0(VALU_DEP_2) | instskip(NEXT) | instid1(VALU_DEP_1)
	v_cmp_neq_f32_e64 s25, v19, v15
	s_or_b32 s25, s25, s26
	s_delay_alu instid0(SALU_CYCLE_1)
	s_and_saveexec_b32 s26, s25
	s_cbranch_execz .LBB531_50
; %bb.49:
	v_sub_f32_e32 v18, v19, v15
	s_delay_alu instid0(VALU_DEP_1) | instskip(SKIP_1) | instid1(VALU_DEP_2)
	v_mul_f32_e32 v19, 0x3fb8aa3b, v18
	v_cmp_ngt_f32_e64 s25, 0xc2ce8ed0, v18
	v_fma_f32 v20, 0x3fb8aa3b, v18, -v19
	v_rndne_f32_e32 v21, v19
	s_delay_alu instid0(VALU_DEP_1) | instskip(NEXT) | instid1(VALU_DEP_1)
	v_dual_fmamk_f32 v20, v18, 0x32a5705f, v20 :: v_dual_sub_f32 v19, v19, v21
	v_add_f32_e32 v19, v19, v20
	v_cvt_i32_f32_e32 v20, v21
	s_delay_alu instid0(VALU_DEP_2) | instskip(SKIP_2) | instid1(VALU_DEP_1)
	v_exp_f32_e32 v19, v19
	s_waitcnt_depctr 0xfff
	v_ldexp_f32 v19, v19, v20
	v_cndmask_b32_e64 v19, 0, v19, s25
	v_cmp_nlt_f32_e64 s25, 0x42b17218, v18
	s_delay_alu instid0(VALU_DEP_1) | instskip(NEXT) | instid1(VALU_DEP_1)
	v_cndmask_b32_e64 v20, 0x7f800000, v19, s25
	v_add_f32_e32 v21, 1.0, v20
	v_cmp_gt_f32_e64 s27, 0x33800000, |v20|
	s_delay_alu instid0(VALU_DEP_2) | instskip(NEXT) | instid1(VALU_DEP_1)
	v_cvt_f64_f32_e32 v[18:19], v21
	v_frexp_exp_i32_f64_e32 v18, v[18:19]
	v_frexp_mant_f32_e32 v19, v21
	s_delay_alu instid0(VALU_DEP_1) | instskip(SKIP_1) | instid1(VALU_DEP_1)
	v_cmp_gt_f32_e64 s25, 0x3f2aaaab, v19
	v_add_f32_e32 v19, -1.0, v21
	v_sub_f32_e32 v23, v19, v21
	v_sub_f32_e32 v19, v20, v19
	s_delay_alu instid0(VALU_DEP_4) | instskip(SKIP_1) | instid1(VALU_DEP_1)
	v_subrev_co_ci_u32_e64 v18, s25, 0, v18, s25
	s_mov_b32 s25, 0x3e9b6dac
	v_sub_nc_u32_e32 v22, 0, v18
	v_cvt_f32_i32_e32 v18, v18
	s_delay_alu instid0(VALU_DEP_2) | instskip(NEXT) | instid1(VALU_DEP_1)
	v_ldexp_f32 v21, v21, v22
	v_dual_add_f32 v24, 1.0, v21 :: v_dual_add_f32 v23, 1.0, v23
	s_delay_alu instid0(VALU_DEP_1) | instskip(NEXT) | instid1(VALU_DEP_2)
	v_add_f32_e32 v19, v19, v23
	v_add_f32_e32 v23, -1.0, v24
	s_delay_alu instid0(VALU_DEP_2) | instskip(NEXT) | instid1(VALU_DEP_2)
	v_ldexp_f32 v19, v19, v22
	v_dual_add_f32 v22, -1.0, v21 :: v_dual_sub_f32 v23, v21, v23
	s_delay_alu instid0(VALU_DEP_1) | instskip(NEXT) | instid1(VALU_DEP_2)
	v_add_f32_e32 v25, 1.0, v22
	v_add_f32_e32 v23, v19, v23
	s_delay_alu instid0(VALU_DEP_2) | instskip(NEXT) | instid1(VALU_DEP_2)
	v_sub_f32_e32 v21, v21, v25
	v_add_f32_e32 v25, v24, v23
	s_delay_alu instid0(VALU_DEP_2) | instskip(NEXT) | instid1(VALU_DEP_2)
	v_add_f32_e32 v19, v19, v21
	v_rcp_f32_e32 v21, v25
	v_sub_f32_e32 v24, v24, v25
	s_delay_alu instid0(VALU_DEP_1) | instskip(NEXT) | instid1(VALU_DEP_1)
	v_dual_add_f32 v26, v22, v19 :: v_dual_add_f32 v23, v23, v24
	v_sub_f32_e32 v22, v22, v26
	s_waitcnt_depctr 0xfff
	v_mul_f32_e32 v27, v26, v21
	s_delay_alu instid0(VALU_DEP_1) | instskip(NEXT) | instid1(VALU_DEP_1)
	v_dual_add_f32 v19, v19, v22 :: v_dual_mul_f32 v28, v25, v27
	v_fma_f32 v24, v27, v25, -v28
	s_delay_alu instid0(VALU_DEP_1) | instskip(NEXT) | instid1(VALU_DEP_1)
	v_fmac_f32_e32 v24, v27, v23
	v_add_f32_e32 v29, v28, v24
	s_delay_alu instid0(VALU_DEP_1) | instskip(SKIP_1) | instid1(VALU_DEP_2)
	v_sub_f32_e32 v30, v26, v29
	v_sub_f32_e32 v22, v29, v28
	;; [unrolled: 1-line block ×3, first 2 shown]
	s_delay_alu instid0(VALU_DEP_2) | instskip(NEXT) | instid1(VALU_DEP_2)
	v_sub_f32_e32 v22, v22, v24
	v_sub_f32_e32 v26, v26, v29
	s_delay_alu instid0(VALU_DEP_1) | instskip(NEXT) | instid1(VALU_DEP_1)
	v_add_f32_e32 v19, v19, v26
	v_add_f32_e32 v19, v22, v19
	s_delay_alu instid0(VALU_DEP_1) | instskip(NEXT) | instid1(VALU_DEP_1)
	v_add_f32_e32 v22, v30, v19
	v_mul_f32_e32 v24, v21, v22
	s_delay_alu instid0(VALU_DEP_1) | instskip(NEXT) | instid1(VALU_DEP_1)
	v_dual_sub_f32 v29, v30, v22 :: v_dual_mul_f32 v26, v25, v24
	v_add_f32_e32 v19, v19, v29
	s_delay_alu instid0(VALU_DEP_2) | instskip(NEXT) | instid1(VALU_DEP_1)
	v_fma_f32 v25, v24, v25, -v26
	v_fmac_f32_e32 v25, v24, v23
	s_delay_alu instid0(VALU_DEP_1) | instskip(NEXT) | instid1(VALU_DEP_1)
	v_add_f32_e32 v23, v26, v25
	v_sub_f32_e32 v28, v22, v23
	v_sub_f32_e32 v26, v23, v26
	s_delay_alu instid0(VALU_DEP_2) | instskip(NEXT) | instid1(VALU_DEP_1)
	v_sub_f32_e32 v22, v22, v28
	v_sub_f32_e32 v22, v22, v23
	s_delay_alu instid0(VALU_DEP_3) | instskip(NEXT) | instid1(VALU_DEP_2)
	v_sub_f32_e32 v23, v26, v25
	v_add_f32_e32 v19, v19, v22
	v_add_f32_e32 v22, v27, v24
	s_delay_alu instid0(VALU_DEP_2) | instskip(NEXT) | instid1(VALU_DEP_2)
	v_add_f32_e32 v19, v23, v19
	v_sub_f32_e32 v23, v22, v27
	s_delay_alu instid0(VALU_DEP_2) | instskip(NEXT) | instid1(VALU_DEP_2)
	v_add_f32_e32 v19, v28, v19
	v_sub_f32_e32 v23, v24, v23
	s_delay_alu instid0(VALU_DEP_2) | instskip(NEXT) | instid1(VALU_DEP_1)
	v_mul_f32_e32 v19, v21, v19
	v_add_f32_e32 v19, v23, v19
	s_delay_alu instid0(VALU_DEP_1) | instskip(NEXT) | instid1(VALU_DEP_1)
	v_add_f32_e32 v21, v22, v19
	v_mul_f32_e32 v23, v21, v21
	s_delay_alu instid0(VALU_DEP_1) | instskip(SKIP_2) | instid1(VALU_DEP_3)
	v_fmaak_f32 v24, s25, v23, 0x3ecc95a3
	v_mul_f32_e32 v25, v21, v23
	v_cmp_eq_f32_e64 s25, 0x7f800000, v20
	v_fmaak_f32 v23, v23, v24, 0x3f2aaada
	v_ldexp_f32 v24, v21, 1
	v_sub_f32_e32 v21, v21, v22
	s_delay_alu instid0(VALU_DEP_4) | instskip(NEXT) | instid1(VALU_DEP_3)
	s_or_b32 s25, s25, s27
	v_mul_f32_e32 v23, v25, v23
	v_mul_f32_e32 v25, 0x3f317218, v18
	s_delay_alu instid0(VALU_DEP_2) | instskip(NEXT) | instid1(VALU_DEP_1)
	v_dual_sub_f32 v19, v19, v21 :: v_dual_add_f32 v22, v24, v23
	v_ldexp_f32 v19, v19, 1
	s_delay_alu instid0(VALU_DEP_2) | instskip(NEXT) | instid1(VALU_DEP_4)
	v_sub_f32_e32 v21, v22, v24
	v_fma_f32 v24, 0x3f317218, v18, -v25
	s_delay_alu instid0(VALU_DEP_1) | instskip(NEXT) | instid1(VALU_DEP_1)
	v_dual_sub_f32 v21, v23, v21 :: v_dual_fmamk_f32 v18, v18, 0xb102e308, v24
	v_add_f32_e32 v19, v19, v21
	s_delay_alu instid0(VALU_DEP_2) | instskip(NEXT) | instid1(VALU_DEP_2)
	v_add_f32_e32 v21, v25, v18
	v_add_f32_e32 v23, v22, v19
	s_delay_alu instid0(VALU_DEP_2) | instskip(NEXT) | instid1(VALU_DEP_2)
	v_sub_f32_e32 v25, v21, v25
	v_add_f32_e32 v24, v21, v23
	v_sub_f32_e32 v22, v23, v22
	s_delay_alu instid0(VALU_DEP_3) | instskip(NEXT) | instid1(VALU_DEP_2)
	v_sub_f32_e32 v18, v18, v25
	v_dual_sub_f32 v26, v24, v21 :: v_dual_sub_f32 v19, v19, v22
	s_delay_alu instid0(VALU_DEP_1) | instskip(NEXT) | instid1(VALU_DEP_2)
	v_sub_f32_e32 v27, v24, v26
	v_dual_sub_f32 v22, v23, v26 :: v_dual_add_f32 v23, v18, v19
	s_delay_alu instid0(VALU_DEP_2) | instskip(NEXT) | instid1(VALU_DEP_1)
	v_sub_f32_e32 v21, v21, v27
	v_dual_add_f32 v21, v22, v21 :: v_dual_sub_f32 v22, v23, v18
	s_delay_alu instid0(VALU_DEP_1) | instskip(NEXT) | instid1(VALU_DEP_2)
	v_add_f32_e32 v21, v23, v21
	v_sub_f32_e32 v23, v23, v22
	v_sub_f32_e32 v19, v19, v22
	s_delay_alu instid0(VALU_DEP_2) | instskip(NEXT) | instid1(VALU_DEP_1)
	v_dual_add_f32 v25, v24, v21 :: v_dual_sub_f32 v18, v18, v23
	v_sub_f32_e32 v22, v25, v24
	s_delay_alu instid0(VALU_DEP_2) | instskip(NEXT) | instid1(VALU_DEP_2)
	v_add_f32_e32 v18, v19, v18
	v_sub_f32_e32 v19, v21, v22
	s_delay_alu instid0(VALU_DEP_1) | instskip(NEXT) | instid1(VALU_DEP_1)
	v_add_f32_e32 v18, v18, v19
	v_add_f32_e32 v18, v25, v18
	s_delay_alu instid0(VALU_DEP_1) | instskip(NEXT) | instid1(VALU_DEP_1)
	v_cndmask_b32_e64 v18, v18, v20, s25
	v_add_f32_e32 v18, v15, v18
.LBB531_50:
	s_or_b32 exec_lo, exec_lo, s26
	s_delay_alu instid0(VALU_DEP_1) | instskip(SKIP_1) | instid1(VALU_DEP_2)
	v_bfe_u32 v15, v18, 16, 1
	v_cmp_o_f32_e64 s25, v18, v18
	v_add3_u32 v15, v18, v15, 0x7fff
	s_delay_alu instid0(VALU_DEP_1) | instskip(NEXT) | instid1(VALU_DEP_1)
	v_and_b32_e32 v15, 0xffff0000, v15
	v_cndmask_b32_e64 v19, 0x7fc00000, v15, s25
	s_delay_alu instid0(VALU_DEP_1) | instskip(SKIP_2) | instid1(VALU_DEP_2)
	v_max_f32_e32 v15, v19, v19
	v_and_b32_e32 v3, 0xffff0000, v3
	v_cmp_u_f32_e64 s25, v19, v19
	v_max_f32_e32 v18, v3, v3
	s_delay_alu instid0(VALU_DEP_1) | instskip(SKIP_1) | instid1(VALU_DEP_2)
	v_min_f32_e32 v20, v15, v18
	v_max_f32_e32 v15, v15, v18
	v_cndmask_b32_e64 v20, v20, v19, s25
	s_delay_alu instid0(VALU_DEP_2) | instskip(SKIP_1) | instid1(VALU_DEP_1)
	v_cndmask_b32_e64 v15, v15, v19, s25
	v_cmp_u_f32_e64 s25, v3, v3
	v_cndmask_b32_e64 v20, v20, v3, s25
	s_delay_alu instid0(VALU_DEP_3) | instskip(NEXT) | instid1(VALU_DEP_2)
	v_cndmask_b32_e64 v15, v15, v3, s25
	v_cmp_class_f32_e64 s27, v20, 0x1f8
	s_delay_alu instid0(VALU_DEP_2) | instskip(NEXT) | instid1(VALU_DEP_1)
	v_cmp_neq_f32_e64 s26, v20, v15
	s_or_b32 s26, s26, s27
	s_delay_alu instid0(SALU_CYCLE_1)
	s_and_saveexec_b32 s27, s26
	s_cbranch_execz .LBB531_52
; %bb.51:
	v_sub_f32_e32 v19, v20, v15
	s_delay_alu instid0(VALU_DEP_1) | instskip(SKIP_1) | instid1(VALU_DEP_2)
	v_mul_f32_e32 v20, 0x3fb8aa3b, v19
	v_cmp_ngt_f32_e64 s26, 0xc2ce8ed0, v19
	v_fma_f32 v21, 0x3fb8aa3b, v19, -v20
	v_rndne_f32_e32 v22, v20
	s_delay_alu instid0(VALU_DEP_1) | instskip(NEXT) | instid1(VALU_DEP_1)
	v_dual_fmamk_f32 v21, v19, 0x32a5705f, v21 :: v_dual_sub_f32 v20, v20, v22
	v_add_f32_e32 v20, v20, v21
	v_cvt_i32_f32_e32 v21, v22
	s_delay_alu instid0(VALU_DEP_2) | instskip(SKIP_2) | instid1(VALU_DEP_1)
	v_exp_f32_e32 v20, v20
	s_waitcnt_depctr 0xfff
	v_ldexp_f32 v20, v20, v21
	v_cndmask_b32_e64 v20, 0, v20, s26
	v_cmp_nlt_f32_e64 s26, 0x42b17218, v19
	s_delay_alu instid0(VALU_DEP_1) | instskip(NEXT) | instid1(VALU_DEP_1)
	v_cndmask_b32_e64 v21, 0x7f800000, v20, s26
	v_add_f32_e32 v22, 1.0, v21
	v_cmp_gt_f32_e64 s28, 0x33800000, |v21|
	s_delay_alu instid0(VALU_DEP_2) | instskip(NEXT) | instid1(VALU_DEP_1)
	v_cvt_f64_f32_e32 v[19:20], v22
	v_frexp_exp_i32_f64_e32 v19, v[19:20]
	v_frexp_mant_f32_e32 v20, v22
	s_delay_alu instid0(VALU_DEP_1) | instskip(SKIP_1) | instid1(VALU_DEP_1)
	v_cmp_gt_f32_e64 s26, 0x3f2aaaab, v20
	v_add_f32_e32 v20, -1.0, v22
	v_sub_f32_e32 v24, v20, v22
	v_sub_f32_e32 v20, v21, v20
	s_delay_alu instid0(VALU_DEP_4) | instskip(SKIP_1) | instid1(VALU_DEP_1)
	v_subrev_co_ci_u32_e64 v19, s26, 0, v19, s26
	s_mov_b32 s26, 0x3e9b6dac
	v_sub_nc_u32_e32 v23, 0, v19
	v_cvt_f32_i32_e32 v19, v19
	s_delay_alu instid0(VALU_DEP_2) | instskip(NEXT) | instid1(VALU_DEP_1)
	v_ldexp_f32 v22, v22, v23
	v_dual_add_f32 v25, 1.0, v22 :: v_dual_add_f32 v24, 1.0, v24
	s_delay_alu instid0(VALU_DEP_1) | instskip(NEXT) | instid1(VALU_DEP_2)
	v_add_f32_e32 v20, v20, v24
	v_add_f32_e32 v24, -1.0, v25
	s_delay_alu instid0(VALU_DEP_2) | instskip(NEXT) | instid1(VALU_DEP_2)
	v_ldexp_f32 v20, v20, v23
	v_dual_add_f32 v23, -1.0, v22 :: v_dual_sub_f32 v24, v22, v24
	s_delay_alu instid0(VALU_DEP_1) | instskip(NEXT) | instid1(VALU_DEP_2)
	v_add_f32_e32 v26, 1.0, v23
	v_add_f32_e32 v24, v20, v24
	s_delay_alu instid0(VALU_DEP_2) | instskip(NEXT) | instid1(VALU_DEP_2)
	v_sub_f32_e32 v22, v22, v26
	v_add_f32_e32 v26, v25, v24
	s_delay_alu instid0(VALU_DEP_2) | instskip(NEXT) | instid1(VALU_DEP_2)
	v_add_f32_e32 v20, v20, v22
	v_rcp_f32_e32 v22, v26
	v_sub_f32_e32 v25, v25, v26
	s_delay_alu instid0(VALU_DEP_1) | instskip(NEXT) | instid1(VALU_DEP_1)
	v_dual_add_f32 v27, v23, v20 :: v_dual_add_f32 v24, v24, v25
	v_sub_f32_e32 v23, v23, v27
	s_waitcnt_depctr 0xfff
	v_mul_f32_e32 v28, v27, v22
	s_delay_alu instid0(VALU_DEP_1) | instskip(NEXT) | instid1(VALU_DEP_1)
	v_dual_add_f32 v20, v20, v23 :: v_dual_mul_f32 v29, v26, v28
	v_fma_f32 v25, v28, v26, -v29
	s_delay_alu instid0(VALU_DEP_1) | instskip(NEXT) | instid1(VALU_DEP_1)
	v_fmac_f32_e32 v25, v28, v24
	v_add_f32_e32 v30, v29, v25
	s_delay_alu instid0(VALU_DEP_1) | instskip(SKIP_1) | instid1(VALU_DEP_2)
	v_sub_f32_e32 v31, v27, v30
	v_sub_f32_e32 v23, v30, v29
	;; [unrolled: 1-line block ×3, first 2 shown]
	s_delay_alu instid0(VALU_DEP_2) | instskip(NEXT) | instid1(VALU_DEP_2)
	v_sub_f32_e32 v23, v23, v25
	v_sub_f32_e32 v27, v27, v30
	s_delay_alu instid0(VALU_DEP_1) | instskip(NEXT) | instid1(VALU_DEP_1)
	v_add_f32_e32 v20, v20, v27
	v_add_f32_e32 v20, v23, v20
	s_delay_alu instid0(VALU_DEP_1) | instskip(NEXT) | instid1(VALU_DEP_1)
	v_add_f32_e32 v23, v31, v20
	v_mul_f32_e32 v25, v22, v23
	s_delay_alu instid0(VALU_DEP_1) | instskip(NEXT) | instid1(VALU_DEP_1)
	v_dual_sub_f32 v30, v31, v23 :: v_dual_mul_f32 v27, v26, v25
	v_add_f32_e32 v20, v20, v30
	s_delay_alu instid0(VALU_DEP_2) | instskip(NEXT) | instid1(VALU_DEP_1)
	v_fma_f32 v26, v25, v26, -v27
	v_fmac_f32_e32 v26, v25, v24
	s_delay_alu instid0(VALU_DEP_1) | instskip(NEXT) | instid1(VALU_DEP_1)
	v_add_f32_e32 v24, v27, v26
	v_sub_f32_e32 v29, v23, v24
	v_sub_f32_e32 v27, v24, v27
	s_delay_alu instid0(VALU_DEP_2) | instskip(NEXT) | instid1(VALU_DEP_1)
	v_sub_f32_e32 v23, v23, v29
	v_sub_f32_e32 v23, v23, v24
	s_delay_alu instid0(VALU_DEP_3) | instskip(NEXT) | instid1(VALU_DEP_2)
	v_sub_f32_e32 v24, v27, v26
	v_add_f32_e32 v20, v20, v23
	v_add_f32_e32 v23, v28, v25
	s_delay_alu instid0(VALU_DEP_2) | instskip(NEXT) | instid1(VALU_DEP_2)
	v_add_f32_e32 v20, v24, v20
	v_sub_f32_e32 v24, v23, v28
	s_delay_alu instid0(VALU_DEP_2) | instskip(NEXT) | instid1(VALU_DEP_2)
	v_add_f32_e32 v20, v29, v20
	v_sub_f32_e32 v24, v25, v24
	s_delay_alu instid0(VALU_DEP_2) | instskip(NEXT) | instid1(VALU_DEP_1)
	v_mul_f32_e32 v20, v22, v20
	v_add_f32_e32 v20, v24, v20
	s_delay_alu instid0(VALU_DEP_1) | instskip(NEXT) | instid1(VALU_DEP_1)
	v_add_f32_e32 v22, v23, v20
	v_mul_f32_e32 v24, v22, v22
	s_delay_alu instid0(VALU_DEP_1) | instskip(SKIP_2) | instid1(VALU_DEP_3)
	v_fmaak_f32 v25, s26, v24, 0x3ecc95a3
	v_mul_f32_e32 v26, v22, v24
	v_cmp_eq_f32_e64 s26, 0x7f800000, v21
	v_fmaak_f32 v24, v24, v25, 0x3f2aaada
	v_ldexp_f32 v25, v22, 1
	v_sub_f32_e32 v22, v22, v23
	s_delay_alu instid0(VALU_DEP_4) | instskip(NEXT) | instid1(VALU_DEP_3)
	s_or_b32 s26, s26, s28
	v_mul_f32_e32 v24, v26, v24
	v_mul_f32_e32 v26, 0x3f317218, v19
	s_delay_alu instid0(VALU_DEP_2) | instskip(NEXT) | instid1(VALU_DEP_1)
	v_dual_sub_f32 v20, v20, v22 :: v_dual_add_f32 v23, v25, v24
	v_ldexp_f32 v20, v20, 1
	s_delay_alu instid0(VALU_DEP_2) | instskip(NEXT) | instid1(VALU_DEP_4)
	v_sub_f32_e32 v22, v23, v25
	v_fma_f32 v25, 0x3f317218, v19, -v26
	s_delay_alu instid0(VALU_DEP_1) | instskip(NEXT) | instid1(VALU_DEP_1)
	v_dual_sub_f32 v22, v24, v22 :: v_dual_fmamk_f32 v19, v19, 0xb102e308, v25
	v_add_f32_e32 v20, v20, v22
	s_delay_alu instid0(VALU_DEP_2) | instskip(NEXT) | instid1(VALU_DEP_2)
	v_add_f32_e32 v22, v26, v19
	v_add_f32_e32 v24, v23, v20
	s_delay_alu instid0(VALU_DEP_2) | instskip(NEXT) | instid1(VALU_DEP_2)
	v_sub_f32_e32 v26, v22, v26
	v_add_f32_e32 v25, v22, v24
	v_sub_f32_e32 v23, v24, v23
	s_delay_alu instid0(VALU_DEP_3) | instskip(NEXT) | instid1(VALU_DEP_2)
	v_sub_f32_e32 v19, v19, v26
	v_dual_sub_f32 v27, v25, v22 :: v_dual_sub_f32 v20, v20, v23
	s_delay_alu instid0(VALU_DEP_1) | instskip(NEXT) | instid1(VALU_DEP_2)
	v_sub_f32_e32 v28, v25, v27
	v_dual_sub_f32 v23, v24, v27 :: v_dual_add_f32 v24, v19, v20
	s_delay_alu instid0(VALU_DEP_2) | instskip(NEXT) | instid1(VALU_DEP_1)
	v_sub_f32_e32 v22, v22, v28
	v_dual_add_f32 v22, v23, v22 :: v_dual_sub_f32 v23, v24, v19
	s_delay_alu instid0(VALU_DEP_1) | instskip(NEXT) | instid1(VALU_DEP_2)
	v_add_f32_e32 v22, v24, v22
	v_sub_f32_e32 v24, v24, v23
	v_sub_f32_e32 v20, v20, v23
	s_delay_alu instid0(VALU_DEP_2) | instskip(NEXT) | instid1(VALU_DEP_1)
	v_dual_add_f32 v26, v25, v22 :: v_dual_sub_f32 v19, v19, v24
	v_sub_f32_e32 v23, v26, v25
	s_delay_alu instid0(VALU_DEP_2) | instskip(NEXT) | instid1(VALU_DEP_2)
	v_add_f32_e32 v19, v20, v19
	v_sub_f32_e32 v20, v22, v23
	s_delay_alu instid0(VALU_DEP_1) | instskip(NEXT) | instid1(VALU_DEP_1)
	v_add_f32_e32 v19, v19, v20
	v_add_f32_e32 v19, v26, v19
	s_delay_alu instid0(VALU_DEP_1) | instskip(NEXT) | instid1(VALU_DEP_1)
	v_cndmask_b32_e64 v19, v19, v21, s26
	v_add_f32_e32 v19, v15, v19
.LBB531_52:
	s_or_b32 exec_lo, exec_lo, s27
	s_delay_alu instid0(VALU_DEP_1) | instskip(SKIP_1) | instid1(VALU_DEP_2)
	v_bfe_u32 v15, v19, 16, 1
	v_cmp_o_f32_e64 s26, v19, v19
	v_add3_u32 v15, v19, v15, 0x7fff
	s_delay_alu instid0(VALU_DEP_1) | instskip(NEXT) | instid1(VALU_DEP_1)
	v_and_b32_e32 v20, 0xffff0000, v15
	v_cndmask_b32_e64 v21, 0x7fc00000, v20, s26
	s_delay_alu instid0(VALU_DEP_1) | instskip(SKIP_2) | instid1(VALU_DEP_2)
	v_max_f32_e32 v19, v21, v21
	v_lshlrev_b32_e32 v15, 16, v10
	v_cmp_u_f32_e64 s26, v21, v21
	v_max_f32_e32 v20, v15, v15
	s_delay_alu instid0(VALU_DEP_1) | instskip(SKIP_1) | instid1(VALU_DEP_2)
	v_min_f32_e32 v22, v19, v20
	v_max_f32_e32 v19, v19, v20
	v_cndmask_b32_e64 v22, v22, v21, s26
	s_delay_alu instid0(VALU_DEP_2) | instskip(SKIP_1) | instid1(VALU_DEP_1)
	v_cndmask_b32_e64 v19, v19, v21, s26
	v_cmp_u_f32_e64 s26, v15, v15
	v_cndmask_b32_e64 v22, v22, v15, s26
	s_delay_alu instid0(VALU_DEP_3) | instskip(NEXT) | instid1(VALU_DEP_2)
	v_cndmask_b32_e64 v19, v19, v15, s26
	v_cmp_class_f32_e64 s28, v22, 0x1f8
	s_delay_alu instid0(VALU_DEP_2) | instskip(NEXT) | instid1(VALU_DEP_1)
	v_cmp_neq_f32_e64 s27, v22, v19
	s_or_b32 s27, s27, s28
	s_delay_alu instid0(SALU_CYCLE_1)
	s_and_saveexec_b32 s28, s27
	s_cbranch_execz .LBB531_54
; %bb.53:
	v_sub_f32_e32 v21, v22, v19
	s_delay_alu instid0(VALU_DEP_1) | instskip(SKIP_1) | instid1(VALU_DEP_2)
	v_mul_f32_e32 v22, 0x3fb8aa3b, v21
	v_cmp_ngt_f32_e64 s27, 0xc2ce8ed0, v21
	v_fma_f32 v23, 0x3fb8aa3b, v21, -v22
	v_rndne_f32_e32 v24, v22
	s_delay_alu instid0(VALU_DEP_1) | instskip(NEXT) | instid1(VALU_DEP_1)
	v_dual_fmamk_f32 v23, v21, 0x32a5705f, v23 :: v_dual_sub_f32 v22, v22, v24
	v_add_f32_e32 v22, v22, v23
	v_cvt_i32_f32_e32 v23, v24
	s_delay_alu instid0(VALU_DEP_2) | instskip(SKIP_2) | instid1(VALU_DEP_1)
	v_exp_f32_e32 v22, v22
	s_waitcnt_depctr 0xfff
	v_ldexp_f32 v22, v22, v23
	v_cndmask_b32_e64 v22, 0, v22, s27
	v_cmp_nlt_f32_e64 s27, 0x42b17218, v21
	s_delay_alu instid0(VALU_DEP_1) | instskip(NEXT) | instid1(VALU_DEP_1)
	v_cndmask_b32_e64 v23, 0x7f800000, v22, s27
	v_add_f32_e32 v24, 1.0, v23
	v_cmp_gt_f32_e64 s29, 0x33800000, |v23|
	s_delay_alu instid0(VALU_DEP_2) | instskip(NEXT) | instid1(VALU_DEP_1)
	v_cvt_f64_f32_e32 v[21:22], v24
	v_frexp_exp_i32_f64_e32 v21, v[21:22]
	v_frexp_mant_f32_e32 v22, v24
	s_delay_alu instid0(VALU_DEP_1) | instskip(SKIP_1) | instid1(VALU_DEP_1)
	v_cmp_gt_f32_e64 s27, 0x3f2aaaab, v22
	v_add_f32_e32 v22, -1.0, v24
	v_sub_f32_e32 v26, v22, v24
	v_sub_f32_e32 v22, v23, v22
	s_delay_alu instid0(VALU_DEP_4) | instskip(SKIP_1) | instid1(VALU_DEP_1)
	v_subrev_co_ci_u32_e64 v21, s27, 0, v21, s27
	s_mov_b32 s27, 0x3e9b6dac
	v_sub_nc_u32_e32 v25, 0, v21
	v_cvt_f32_i32_e32 v21, v21
	s_delay_alu instid0(VALU_DEP_2) | instskip(NEXT) | instid1(VALU_DEP_1)
	v_ldexp_f32 v24, v24, v25
	v_dual_add_f32 v27, 1.0, v24 :: v_dual_add_f32 v26, 1.0, v26
	s_delay_alu instid0(VALU_DEP_1) | instskip(NEXT) | instid1(VALU_DEP_2)
	v_add_f32_e32 v22, v22, v26
	v_add_f32_e32 v26, -1.0, v27
	s_delay_alu instid0(VALU_DEP_2) | instskip(NEXT) | instid1(VALU_DEP_2)
	v_ldexp_f32 v22, v22, v25
	v_dual_add_f32 v25, -1.0, v24 :: v_dual_sub_f32 v26, v24, v26
	s_delay_alu instid0(VALU_DEP_1) | instskip(NEXT) | instid1(VALU_DEP_2)
	v_add_f32_e32 v28, 1.0, v25
	v_add_f32_e32 v26, v22, v26
	s_delay_alu instid0(VALU_DEP_2) | instskip(NEXT) | instid1(VALU_DEP_2)
	v_sub_f32_e32 v24, v24, v28
	v_add_f32_e32 v28, v27, v26
	s_delay_alu instid0(VALU_DEP_2) | instskip(NEXT) | instid1(VALU_DEP_2)
	v_add_f32_e32 v22, v22, v24
	v_rcp_f32_e32 v24, v28
	v_sub_f32_e32 v27, v27, v28
	s_delay_alu instid0(VALU_DEP_1) | instskip(NEXT) | instid1(VALU_DEP_1)
	v_dual_add_f32 v29, v25, v22 :: v_dual_add_f32 v26, v26, v27
	v_sub_f32_e32 v25, v25, v29
	s_waitcnt_depctr 0xfff
	v_mul_f32_e32 v30, v29, v24
	s_delay_alu instid0(VALU_DEP_1) | instskip(NEXT) | instid1(VALU_DEP_1)
	v_dual_add_f32 v22, v22, v25 :: v_dual_mul_f32 v31, v28, v30
	v_fma_f32 v27, v30, v28, -v31
	s_delay_alu instid0(VALU_DEP_1) | instskip(NEXT) | instid1(VALU_DEP_1)
	v_fmac_f32_e32 v27, v30, v26
	v_add_f32_e32 v32, v31, v27
	s_delay_alu instid0(VALU_DEP_1) | instskip(SKIP_1) | instid1(VALU_DEP_2)
	v_sub_f32_e32 v33, v29, v32
	v_sub_f32_e32 v25, v32, v31
	;; [unrolled: 1-line block ×3, first 2 shown]
	s_delay_alu instid0(VALU_DEP_2) | instskip(NEXT) | instid1(VALU_DEP_2)
	v_sub_f32_e32 v25, v25, v27
	v_sub_f32_e32 v29, v29, v32
	s_delay_alu instid0(VALU_DEP_1) | instskip(NEXT) | instid1(VALU_DEP_1)
	v_add_f32_e32 v22, v22, v29
	v_add_f32_e32 v22, v25, v22
	s_delay_alu instid0(VALU_DEP_1) | instskip(NEXT) | instid1(VALU_DEP_1)
	v_add_f32_e32 v25, v33, v22
	v_mul_f32_e32 v27, v24, v25
	s_delay_alu instid0(VALU_DEP_1) | instskip(NEXT) | instid1(VALU_DEP_1)
	v_dual_sub_f32 v32, v33, v25 :: v_dual_mul_f32 v29, v28, v27
	v_add_f32_e32 v22, v22, v32
	s_delay_alu instid0(VALU_DEP_2) | instskip(NEXT) | instid1(VALU_DEP_1)
	v_fma_f32 v28, v27, v28, -v29
	v_fmac_f32_e32 v28, v27, v26
	s_delay_alu instid0(VALU_DEP_1) | instskip(NEXT) | instid1(VALU_DEP_1)
	v_add_f32_e32 v26, v29, v28
	v_sub_f32_e32 v31, v25, v26
	v_sub_f32_e32 v29, v26, v29
	s_delay_alu instid0(VALU_DEP_2) | instskip(NEXT) | instid1(VALU_DEP_1)
	v_sub_f32_e32 v25, v25, v31
	v_sub_f32_e32 v25, v25, v26
	s_delay_alu instid0(VALU_DEP_3) | instskip(NEXT) | instid1(VALU_DEP_2)
	v_sub_f32_e32 v26, v29, v28
	v_add_f32_e32 v22, v22, v25
	v_add_f32_e32 v25, v30, v27
	s_delay_alu instid0(VALU_DEP_2) | instskip(NEXT) | instid1(VALU_DEP_2)
	v_add_f32_e32 v22, v26, v22
	v_sub_f32_e32 v26, v25, v30
	s_delay_alu instid0(VALU_DEP_2) | instskip(NEXT) | instid1(VALU_DEP_2)
	v_add_f32_e32 v22, v31, v22
	v_sub_f32_e32 v26, v27, v26
	s_delay_alu instid0(VALU_DEP_2) | instskip(NEXT) | instid1(VALU_DEP_1)
	v_mul_f32_e32 v22, v24, v22
	v_add_f32_e32 v22, v26, v22
	s_delay_alu instid0(VALU_DEP_1) | instskip(NEXT) | instid1(VALU_DEP_1)
	v_add_f32_e32 v24, v25, v22
	v_mul_f32_e32 v26, v24, v24
	s_delay_alu instid0(VALU_DEP_1) | instskip(SKIP_2) | instid1(VALU_DEP_3)
	v_fmaak_f32 v27, s27, v26, 0x3ecc95a3
	v_mul_f32_e32 v28, v24, v26
	v_cmp_eq_f32_e64 s27, 0x7f800000, v23
	v_fmaak_f32 v26, v26, v27, 0x3f2aaada
	v_ldexp_f32 v27, v24, 1
	v_sub_f32_e32 v24, v24, v25
	s_delay_alu instid0(VALU_DEP_4) | instskip(NEXT) | instid1(VALU_DEP_3)
	s_or_b32 s27, s27, s29
	v_mul_f32_e32 v26, v28, v26
	v_mul_f32_e32 v28, 0x3f317218, v21
	s_delay_alu instid0(VALU_DEP_2) | instskip(NEXT) | instid1(VALU_DEP_1)
	v_dual_sub_f32 v22, v22, v24 :: v_dual_add_f32 v25, v27, v26
	v_ldexp_f32 v22, v22, 1
	s_delay_alu instid0(VALU_DEP_2) | instskip(NEXT) | instid1(VALU_DEP_4)
	v_sub_f32_e32 v24, v25, v27
	v_fma_f32 v27, 0x3f317218, v21, -v28
	s_delay_alu instid0(VALU_DEP_1) | instskip(NEXT) | instid1(VALU_DEP_1)
	v_dual_sub_f32 v24, v26, v24 :: v_dual_fmamk_f32 v21, v21, 0xb102e308, v27
	v_add_f32_e32 v22, v22, v24
	s_delay_alu instid0(VALU_DEP_2) | instskip(NEXT) | instid1(VALU_DEP_2)
	v_add_f32_e32 v24, v28, v21
	v_add_f32_e32 v26, v25, v22
	s_delay_alu instid0(VALU_DEP_2) | instskip(NEXT) | instid1(VALU_DEP_2)
	v_sub_f32_e32 v28, v24, v28
	v_add_f32_e32 v27, v24, v26
	v_sub_f32_e32 v25, v26, v25
	s_delay_alu instid0(VALU_DEP_3) | instskip(NEXT) | instid1(VALU_DEP_2)
	v_sub_f32_e32 v21, v21, v28
	v_dual_sub_f32 v29, v27, v24 :: v_dual_sub_f32 v22, v22, v25
	s_delay_alu instid0(VALU_DEP_1) | instskip(NEXT) | instid1(VALU_DEP_2)
	v_sub_f32_e32 v30, v27, v29
	v_dual_sub_f32 v25, v26, v29 :: v_dual_add_f32 v26, v21, v22
	s_delay_alu instid0(VALU_DEP_2) | instskip(NEXT) | instid1(VALU_DEP_1)
	v_sub_f32_e32 v24, v24, v30
	v_dual_add_f32 v24, v25, v24 :: v_dual_sub_f32 v25, v26, v21
	s_delay_alu instid0(VALU_DEP_1) | instskip(NEXT) | instid1(VALU_DEP_2)
	v_add_f32_e32 v24, v26, v24
	v_sub_f32_e32 v26, v26, v25
	v_sub_f32_e32 v22, v22, v25
	s_delay_alu instid0(VALU_DEP_2) | instskip(NEXT) | instid1(VALU_DEP_1)
	v_dual_add_f32 v28, v27, v24 :: v_dual_sub_f32 v21, v21, v26
	v_sub_f32_e32 v25, v28, v27
	s_delay_alu instid0(VALU_DEP_2) | instskip(NEXT) | instid1(VALU_DEP_2)
	v_add_f32_e32 v21, v22, v21
	v_sub_f32_e32 v22, v24, v25
	s_delay_alu instid0(VALU_DEP_1) | instskip(NEXT) | instid1(VALU_DEP_1)
	v_add_f32_e32 v21, v21, v22
	v_add_f32_e32 v21, v28, v21
	s_delay_alu instid0(VALU_DEP_1) | instskip(NEXT) | instid1(VALU_DEP_1)
	v_cndmask_b32_e64 v21, v21, v23, s27
	v_add_f32_e32 v21, v19, v21
.LBB531_54:
	s_or_b32 exec_lo, exec_lo, s28
	s_delay_alu instid0(VALU_DEP_1) | instskip(SKIP_1) | instid1(VALU_DEP_2)
	v_bfe_u32 v19, v21, 16, 1
	v_cmp_o_f32_e64 s27, v21, v21
	v_add3_u32 v19, v21, v19, 0x7fff
	s_delay_alu instid0(VALU_DEP_1) | instskip(NEXT) | instid1(VALU_DEP_1)
	v_and_b32_e32 v19, 0xffff0000, v19
	v_cndmask_b32_e64 v22, 0x7fc00000, v19, s27
	s_delay_alu instid0(VALU_DEP_1) | instskip(SKIP_2) | instid1(VALU_DEP_2)
	v_max_f32_e32 v19, v22, v22
	v_and_b32_e32 v10, 0xffff0000, v10
	v_cmp_u_f32_e64 s27, v22, v22
	v_max_f32_e32 v21, v10, v10
	s_delay_alu instid0(VALU_DEP_1) | instskip(SKIP_1) | instid1(VALU_DEP_2)
	v_min_f32_e32 v23, v19, v21
	v_max_f32_e32 v19, v19, v21
	v_cndmask_b32_e64 v23, v23, v22, s27
	s_delay_alu instid0(VALU_DEP_2) | instskip(SKIP_1) | instid1(VALU_DEP_1)
	v_cndmask_b32_e64 v19, v19, v22, s27
	v_cmp_u_f32_e64 s27, v10, v10
	v_cndmask_b32_e64 v23, v23, v10, s27
	s_delay_alu instid0(VALU_DEP_3) | instskip(NEXT) | instid1(VALU_DEP_2)
	v_cndmask_b32_e64 v19, v19, v10, s27
	v_cmp_class_f32_e64 s29, v23, 0x1f8
	s_delay_alu instid0(VALU_DEP_2) | instskip(NEXT) | instid1(VALU_DEP_1)
	v_cmp_neq_f32_e64 s28, v23, v19
	s_or_b32 s28, s28, s29
	s_delay_alu instid0(SALU_CYCLE_1)
	s_and_saveexec_b32 s29, s28
	s_cbranch_execz .LBB531_56
; %bb.55:
	v_sub_f32_e32 v22, v23, v19
	s_delay_alu instid0(VALU_DEP_1) | instskip(SKIP_1) | instid1(VALU_DEP_2)
	v_mul_f32_e32 v23, 0x3fb8aa3b, v22
	v_cmp_ngt_f32_e64 s28, 0xc2ce8ed0, v22
	v_fma_f32 v24, 0x3fb8aa3b, v22, -v23
	v_rndne_f32_e32 v25, v23
	s_delay_alu instid0(VALU_DEP_1) | instskip(NEXT) | instid1(VALU_DEP_1)
	v_dual_fmamk_f32 v24, v22, 0x32a5705f, v24 :: v_dual_sub_f32 v23, v23, v25
	v_add_f32_e32 v23, v23, v24
	v_cvt_i32_f32_e32 v24, v25
	s_delay_alu instid0(VALU_DEP_2) | instskip(SKIP_2) | instid1(VALU_DEP_1)
	v_exp_f32_e32 v23, v23
	s_waitcnt_depctr 0xfff
	v_ldexp_f32 v23, v23, v24
	v_cndmask_b32_e64 v23, 0, v23, s28
	v_cmp_nlt_f32_e64 s28, 0x42b17218, v22
	s_delay_alu instid0(VALU_DEP_1) | instskip(NEXT) | instid1(VALU_DEP_1)
	v_cndmask_b32_e64 v24, 0x7f800000, v23, s28
	v_add_f32_e32 v25, 1.0, v24
	v_cmp_gt_f32_e64 s30, 0x33800000, |v24|
	s_delay_alu instid0(VALU_DEP_2) | instskip(NEXT) | instid1(VALU_DEP_1)
	v_cvt_f64_f32_e32 v[22:23], v25
	v_frexp_exp_i32_f64_e32 v22, v[22:23]
	v_frexp_mant_f32_e32 v23, v25
	s_delay_alu instid0(VALU_DEP_1) | instskip(SKIP_1) | instid1(VALU_DEP_1)
	v_cmp_gt_f32_e64 s28, 0x3f2aaaab, v23
	v_add_f32_e32 v23, -1.0, v25
	v_sub_f32_e32 v27, v23, v25
	v_sub_f32_e32 v23, v24, v23
	s_delay_alu instid0(VALU_DEP_4) | instskip(SKIP_1) | instid1(VALU_DEP_1)
	v_subrev_co_ci_u32_e64 v22, s28, 0, v22, s28
	s_mov_b32 s28, 0x3e9b6dac
	v_sub_nc_u32_e32 v26, 0, v22
	v_cvt_f32_i32_e32 v22, v22
	s_delay_alu instid0(VALU_DEP_2) | instskip(NEXT) | instid1(VALU_DEP_1)
	v_ldexp_f32 v25, v25, v26
	v_dual_add_f32 v28, 1.0, v25 :: v_dual_add_f32 v27, 1.0, v27
	s_delay_alu instid0(VALU_DEP_1) | instskip(NEXT) | instid1(VALU_DEP_2)
	v_add_f32_e32 v23, v23, v27
	v_add_f32_e32 v27, -1.0, v28
	s_delay_alu instid0(VALU_DEP_2) | instskip(NEXT) | instid1(VALU_DEP_2)
	v_ldexp_f32 v23, v23, v26
	v_dual_add_f32 v26, -1.0, v25 :: v_dual_sub_f32 v27, v25, v27
	s_delay_alu instid0(VALU_DEP_1) | instskip(NEXT) | instid1(VALU_DEP_2)
	v_add_f32_e32 v29, 1.0, v26
	v_add_f32_e32 v27, v23, v27
	s_delay_alu instid0(VALU_DEP_2) | instskip(NEXT) | instid1(VALU_DEP_2)
	v_sub_f32_e32 v25, v25, v29
	v_add_f32_e32 v29, v28, v27
	s_delay_alu instid0(VALU_DEP_2) | instskip(NEXT) | instid1(VALU_DEP_2)
	v_add_f32_e32 v23, v23, v25
	v_rcp_f32_e32 v25, v29
	v_sub_f32_e32 v28, v28, v29
	s_delay_alu instid0(VALU_DEP_1) | instskip(NEXT) | instid1(VALU_DEP_1)
	v_dual_add_f32 v30, v26, v23 :: v_dual_add_f32 v27, v27, v28
	v_sub_f32_e32 v26, v26, v30
	s_waitcnt_depctr 0xfff
	v_mul_f32_e32 v31, v30, v25
	s_delay_alu instid0(VALU_DEP_1) | instskip(NEXT) | instid1(VALU_DEP_1)
	v_dual_add_f32 v23, v23, v26 :: v_dual_mul_f32 v32, v29, v31
	v_fma_f32 v28, v31, v29, -v32
	s_delay_alu instid0(VALU_DEP_1) | instskip(NEXT) | instid1(VALU_DEP_1)
	v_fmac_f32_e32 v28, v31, v27
	v_add_f32_e32 v33, v32, v28
	s_delay_alu instid0(VALU_DEP_1) | instskip(SKIP_1) | instid1(VALU_DEP_2)
	v_sub_f32_e32 v34, v30, v33
	v_sub_f32_e32 v26, v33, v32
	;; [unrolled: 1-line block ×3, first 2 shown]
	s_delay_alu instid0(VALU_DEP_2) | instskip(NEXT) | instid1(VALU_DEP_2)
	v_sub_f32_e32 v26, v26, v28
	v_sub_f32_e32 v30, v30, v33
	s_delay_alu instid0(VALU_DEP_1) | instskip(NEXT) | instid1(VALU_DEP_1)
	v_add_f32_e32 v23, v23, v30
	v_add_f32_e32 v23, v26, v23
	s_delay_alu instid0(VALU_DEP_1) | instskip(NEXT) | instid1(VALU_DEP_1)
	v_add_f32_e32 v26, v34, v23
	v_mul_f32_e32 v28, v25, v26
	s_delay_alu instid0(VALU_DEP_1) | instskip(NEXT) | instid1(VALU_DEP_1)
	v_dual_sub_f32 v33, v34, v26 :: v_dual_mul_f32 v30, v29, v28
	v_add_f32_e32 v23, v23, v33
	s_delay_alu instid0(VALU_DEP_2) | instskip(NEXT) | instid1(VALU_DEP_1)
	v_fma_f32 v29, v28, v29, -v30
	v_fmac_f32_e32 v29, v28, v27
	s_delay_alu instid0(VALU_DEP_1) | instskip(NEXT) | instid1(VALU_DEP_1)
	v_add_f32_e32 v27, v30, v29
	v_sub_f32_e32 v32, v26, v27
	v_sub_f32_e32 v30, v27, v30
	s_delay_alu instid0(VALU_DEP_2) | instskip(NEXT) | instid1(VALU_DEP_1)
	v_sub_f32_e32 v26, v26, v32
	v_sub_f32_e32 v26, v26, v27
	s_delay_alu instid0(VALU_DEP_3) | instskip(NEXT) | instid1(VALU_DEP_2)
	v_sub_f32_e32 v27, v30, v29
	v_add_f32_e32 v23, v23, v26
	v_add_f32_e32 v26, v31, v28
	s_delay_alu instid0(VALU_DEP_2) | instskip(NEXT) | instid1(VALU_DEP_2)
	v_add_f32_e32 v23, v27, v23
	v_sub_f32_e32 v27, v26, v31
	s_delay_alu instid0(VALU_DEP_2) | instskip(NEXT) | instid1(VALU_DEP_2)
	v_add_f32_e32 v23, v32, v23
	v_sub_f32_e32 v27, v28, v27
	s_delay_alu instid0(VALU_DEP_2) | instskip(NEXT) | instid1(VALU_DEP_1)
	v_mul_f32_e32 v23, v25, v23
	v_add_f32_e32 v23, v27, v23
	s_delay_alu instid0(VALU_DEP_1) | instskip(NEXT) | instid1(VALU_DEP_1)
	v_add_f32_e32 v25, v26, v23
	v_mul_f32_e32 v27, v25, v25
	s_delay_alu instid0(VALU_DEP_1) | instskip(SKIP_2) | instid1(VALU_DEP_3)
	v_fmaak_f32 v28, s28, v27, 0x3ecc95a3
	v_mul_f32_e32 v29, v25, v27
	v_cmp_eq_f32_e64 s28, 0x7f800000, v24
	v_fmaak_f32 v27, v27, v28, 0x3f2aaada
	v_ldexp_f32 v28, v25, 1
	v_sub_f32_e32 v25, v25, v26
	s_delay_alu instid0(VALU_DEP_4) | instskip(NEXT) | instid1(VALU_DEP_3)
	s_or_b32 s28, s28, s30
	v_mul_f32_e32 v27, v29, v27
	v_mul_f32_e32 v29, 0x3f317218, v22
	s_delay_alu instid0(VALU_DEP_2) | instskip(NEXT) | instid1(VALU_DEP_1)
	v_dual_sub_f32 v23, v23, v25 :: v_dual_add_f32 v26, v28, v27
	v_ldexp_f32 v23, v23, 1
	s_delay_alu instid0(VALU_DEP_2) | instskip(NEXT) | instid1(VALU_DEP_4)
	v_sub_f32_e32 v25, v26, v28
	v_fma_f32 v28, 0x3f317218, v22, -v29
	s_delay_alu instid0(VALU_DEP_1) | instskip(NEXT) | instid1(VALU_DEP_1)
	v_dual_sub_f32 v25, v27, v25 :: v_dual_fmamk_f32 v22, v22, 0xb102e308, v28
	v_add_f32_e32 v23, v23, v25
	s_delay_alu instid0(VALU_DEP_2) | instskip(NEXT) | instid1(VALU_DEP_2)
	v_add_f32_e32 v25, v29, v22
	v_add_f32_e32 v27, v26, v23
	s_delay_alu instid0(VALU_DEP_2) | instskip(NEXT) | instid1(VALU_DEP_2)
	v_sub_f32_e32 v29, v25, v29
	v_add_f32_e32 v28, v25, v27
	v_sub_f32_e32 v26, v27, v26
	s_delay_alu instid0(VALU_DEP_3) | instskip(NEXT) | instid1(VALU_DEP_2)
	v_sub_f32_e32 v22, v22, v29
	v_dual_sub_f32 v30, v28, v25 :: v_dual_sub_f32 v23, v23, v26
	s_delay_alu instid0(VALU_DEP_1) | instskip(NEXT) | instid1(VALU_DEP_2)
	v_sub_f32_e32 v31, v28, v30
	v_dual_sub_f32 v26, v27, v30 :: v_dual_add_f32 v27, v22, v23
	s_delay_alu instid0(VALU_DEP_2) | instskip(NEXT) | instid1(VALU_DEP_1)
	v_sub_f32_e32 v25, v25, v31
	v_dual_add_f32 v25, v26, v25 :: v_dual_sub_f32 v26, v27, v22
	s_delay_alu instid0(VALU_DEP_1) | instskip(NEXT) | instid1(VALU_DEP_2)
	v_add_f32_e32 v25, v27, v25
	v_sub_f32_e32 v27, v27, v26
	v_sub_f32_e32 v23, v23, v26
	s_delay_alu instid0(VALU_DEP_2) | instskip(NEXT) | instid1(VALU_DEP_1)
	v_dual_add_f32 v29, v28, v25 :: v_dual_sub_f32 v22, v22, v27
	v_sub_f32_e32 v26, v29, v28
	s_delay_alu instid0(VALU_DEP_2) | instskip(NEXT) | instid1(VALU_DEP_2)
	v_add_f32_e32 v22, v23, v22
	v_sub_f32_e32 v23, v25, v26
	s_delay_alu instid0(VALU_DEP_1) | instskip(NEXT) | instid1(VALU_DEP_1)
	v_add_f32_e32 v22, v22, v23
	v_add_f32_e32 v22, v29, v22
	s_delay_alu instid0(VALU_DEP_1) | instskip(NEXT) | instid1(VALU_DEP_1)
	v_cndmask_b32_e64 v22, v22, v24, s28
	v_add_f32_e32 v22, v19, v22
.LBB531_56:
	s_or_b32 exec_lo, exec_lo, s29
	s_delay_alu instid0(VALU_DEP_1) | instskip(SKIP_1) | instid1(VALU_DEP_2)
	v_bfe_u32 v19, v22, 16, 1
	v_cmp_o_f32_e64 s28, v22, v22
	v_add3_u32 v19, v22, v19, 0x7fff
	s_delay_alu instid0(VALU_DEP_1) | instskip(SKIP_1) | instid1(VALU_DEP_2)
	v_and_b32_e32 v23, 0xffff0000, v19
	v_lshlrev_b32_e32 v19, 16, v11
	v_cndmask_b32_e64 v24, 0x7fc00000, v23, s28
	s_delay_alu instid0(VALU_DEP_1) | instskip(SKIP_1) | instid1(VALU_DEP_2)
	v_dual_max_f32 v23, v19, v19 :: v_dual_max_f32 v22, v24, v24
	v_cmp_u_f32_e64 s28, v24, v24
	v_min_f32_e32 v25, v22, v23
	v_max_f32_e32 v22, v22, v23
	s_delay_alu instid0(VALU_DEP_2) | instskip(NEXT) | instid1(VALU_DEP_2)
	v_cndmask_b32_e64 v25, v25, v24, s28
	v_cndmask_b32_e64 v22, v22, v24, s28
	v_cmp_u_f32_e64 s28, v19, v19
	s_delay_alu instid0(VALU_DEP_1) | instskip(NEXT) | instid1(VALU_DEP_3)
	v_cndmask_b32_e64 v25, v25, v19, s28
	v_cndmask_b32_e64 v22, v22, v19, s28
	s_delay_alu instid0(VALU_DEP_2) | instskip(NEXT) | instid1(VALU_DEP_2)
	v_cmp_class_f32_e64 s30, v25, 0x1f8
	v_cmp_neq_f32_e64 s29, v25, v22
	s_delay_alu instid0(VALU_DEP_1) | instskip(NEXT) | instid1(SALU_CYCLE_1)
	s_or_b32 s29, s29, s30
	s_and_saveexec_b32 s30, s29
	s_cbranch_execz .LBB531_58
; %bb.57:
	v_sub_f32_e32 v24, v25, v22
	s_delay_alu instid0(VALU_DEP_1) | instskip(SKIP_1) | instid1(VALU_DEP_2)
	v_mul_f32_e32 v25, 0x3fb8aa3b, v24
	v_cmp_ngt_f32_e64 s29, 0xc2ce8ed0, v24
	v_fma_f32 v26, 0x3fb8aa3b, v24, -v25
	v_rndne_f32_e32 v27, v25
	s_delay_alu instid0(VALU_DEP_1) | instskip(NEXT) | instid1(VALU_DEP_1)
	v_dual_fmamk_f32 v26, v24, 0x32a5705f, v26 :: v_dual_sub_f32 v25, v25, v27
	v_add_f32_e32 v25, v25, v26
	v_cvt_i32_f32_e32 v26, v27
	s_delay_alu instid0(VALU_DEP_2) | instskip(SKIP_2) | instid1(VALU_DEP_1)
	v_exp_f32_e32 v25, v25
	s_waitcnt_depctr 0xfff
	v_ldexp_f32 v25, v25, v26
	v_cndmask_b32_e64 v25, 0, v25, s29
	v_cmp_nlt_f32_e64 s29, 0x42b17218, v24
	s_delay_alu instid0(VALU_DEP_1) | instskip(NEXT) | instid1(VALU_DEP_1)
	v_cndmask_b32_e64 v26, 0x7f800000, v25, s29
	v_add_f32_e32 v27, 1.0, v26
	v_cmp_gt_f32_e64 s31, 0x33800000, |v26|
	s_delay_alu instid0(VALU_DEP_2) | instskip(NEXT) | instid1(VALU_DEP_1)
	v_cvt_f64_f32_e32 v[24:25], v27
	v_frexp_exp_i32_f64_e32 v24, v[24:25]
	v_frexp_mant_f32_e32 v25, v27
	s_delay_alu instid0(VALU_DEP_1) | instskip(SKIP_1) | instid1(VALU_DEP_1)
	v_cmp_gt_f32_e64 s29, 0x3f2aaaab, v25
	v_add_f32_e32 v25, -1.0, v27
	v_sub_f32_e32 v29, v25, v27
	v_sub_f32_e32 v25, v26, v25
	s_delay_alu instid0(VALU_DEP_4) | instskip(SKIP_1) | instid1(VALU_DEP_1)
	v_subrev_co_ci_u32_e64 v24, s29, 0, v24, s29
	s_mov_b32 s29, 0x3e9b6dac
	v_sub_nc_u32_e32 v28, 0, v24
	v_cvt_f32_i32_e32 v24, v24
	s_delay_alu instid0(VALU_DEP_2) | instskip(NEXT) | instid1(VALU_DEP_1)
	v_ldexp_f32 v27, v27, v28
	v_dual_add_f32 v30, 1.0, v27 :: v_dual_add_f32 v29, 1.0, v29
	s_delay_alu instid0(VALU_DEP_1) | instskip(NEXT) | instid1(VALU_DEP_2)
	v_add_f32_e32 v25, v25, v29
	v_add_f32_e32 v29, -1.0, v30
	s_delay_alu instid0(VALU_DEP_2) | instskip(NEXT) | instid1(VALU_DEP_2)
	v_ldexp_f32 v25, v25, v28
	v_dual_add_f32 v28, -1.0, v27 :: v_dual_sub_f32 v29, v27, v29
	s_delay_alu instid0(VALU_DEP_1) | instskip(NEXT) | instid1(VALU_DEP_2)
	v_add_f32_e32 v31, 1.0, v28
	v_add_f32_e32 v29, v25, v29
	s_delay_alu instid0(VALU_DEP_2) | instskip(NEXT) | instid1(VALU_DEP_2)
	v_sub_f32_e32 v27, v27, v31
	v_add_f32_e32 v31, v30, v29
	s_delay_alu instid0(VALU_DEP_2) | instskip(NEXT) | instid1(VALU_DEP_2)
	v_add_f32_e32 v25, v25, v27
	v_rcp_f32_e32 v27, v31
	v_sub_f32_e32 v30, v30, v31
	s_delay_alu instid0(VALU_DEP_1) | instskip(NEXT) | instid1(VALU_DEP_1)
	v_dual_add_f32 v32, v28, v25 :: v_dual_add_f32 v29, v29, v30
	v_sub_f32_e32 v28, v28, v32
	s_waitcnt_depctr 0xfff
	v_mul_f32_e32 v33, v32, v27
	s_delay_alu instid0(VALU_DEP_1) | instskip(NEXT) | instid1(VALU_DEP_1)
	v_dual_add_f32 v25, v25, v28 :: v_dual_mul_f32 v34, v31, v33
	v_fma_f32 v30, v33, v31, -v34
	s_delay_alu instid0(VALU_DEP_1) | instskip(NEXT) | instid1(VALU_DEP_1)
	v_fmac_f32_e32 v30, v33, v29
	v_add_f32_e32 v35, v34, v30
	s_delay_alu instid0(VALU_DEP_1) | instskip(SKIP_1) | instid1(VALU_DEP_2)
	v_sub_f32_e32 v36, v32, v35
	v_sub_f32_e32 v28, v35, v34
	;; [unrolled: 1-line block ×3, first 2 shown]
	s_delay_alu instid0(VALU_DEP_2) | instskip(NEXT) | instid1(VALU_DEP_2)
	v_sub_f32_e32 v28, v28, v30
	v_sub_f32_e32 v32, v32, v35
	s_delay_alu instid0(VALU_DEP_1) | instskip(NEXT) | instid1(VALU_DEP_1)
	v_add_f32_e32 v25, v25, v32
	v_add_f32_e32 v25, v28, v25
	s_delay_alu instid0(VALU_DEP_1) | instskip(NEXT) | instid1(VALU_DEP_1)
	v_add_f32_e32 v28, v36, v25
	v_mul_f32_e32 v30, v27, v28
	s_delay_alu instid0(VALU_DEP_1) | instskip(NEXT) | instid1(VALU_DEP_1)
	v_dual_sub_f32 v35, v36, v28 :: v_dual_mul_f32 v32, v31, v30
	v_add_f32_e32 v25, v25, v35
	s_delay_alu instid0(VALU_DEP_2) | instskip(NEXT) | instid1(VALU_DEP_1)
	v_fma_f32 v31, v30, v31, -v32
	v_fmac_f32_e32 v31, v30, v29
	s_delay_alu instid0(VALU_DEP_1) | instskip(NEXT) | instid1(VALU_DEP_1)
	v_add_f32_e32 v29, v32, v31
	v_sub_f32_e32 v34, v28, v29
	v_sub_f32_e32 v32, v29, v32
	s_delay_alu instid0(VALU_DEP_2) | instskip(NEXT) | instid1(VALU_DEP_1)
	v_sub_f32_e32 v28, v28, v34
	v_sub_f32_e32 v28, v28, v29
	s_delay_alu instid0(VALU_DEP_3) | instskip(NEXT) | instid1(VALU_DEP_2)
	v_sub_f32_e32 v29, v32, v31
	v_add_f32_e32 v25, v25, v28
	v_add_f32_e32 v28, v33, v30
	s_delay_alu instid0(VALU_DEP_2) | instskip(NEXT) | instid1(VALU_DEP_2)
	v_add_f32_e32 v25, v29, v25
	v_sub_f32_e32 v29, v28, v33
	s_delay_alu instid0(VALU_DEP_2) | instskip(NEXT) | instid1(VALU_DEP_2)
	v_add_f32_e32 v25, v34, v25
	v_sub_f32_e32 v29, v30, v29
	s_delay_alu instid0(VALU_DEP_2) | instskip(NEXT) | instid1(VALU_DEP_1)
	v_mul_f32_e32 v25, v27, v25
	v_add_f32_e32 v25, v29, v25
	s_delay_alu instid0(VALU_DEP_1) | instskip(NEXT) | instid1(VALU_DEP_1)
	v_add_f32_e32 v27, v28, v25
	v_mul_f32_e32 v29, v27, v27
	s_delay_alu instid0(VALU_DEP_1) | instskip(SKIP_2) | instid1(VALU_DEP_3)
	v_fmaak_f32 v30, s29, v29, 0x3ecc95a3
	v_mul_f32_e32 v31, v27, v29
	v_cmp_eq_f32_e64 s29, 0x7f800000, v26
	v_fmaak_f32 v29, v29, v30, 0x3f2aaada
	v_ldexp_f32 v30, v27, 1
	v_sub_f32_e32 v27, v27, v28
	s_delay_alu instid0(VALU_DEP_4) | instskip(NEXT) | instid1(VALU_DEP_3)
	s_or_b32 s29, s29, s31
	v_mul_f32_e32 v29, v31, v29
	v_mul_f32_e32 v31, 0x3f317218, v24
	s_delay_alu instid0(VALU_DEP_2) | instskip(NEXT) | instid1(VALU_DEP_1)
	v_dual_sub_f32 v25, v25, v27 :: v_dual_add_f32 v28, v30, v29
	v_ldexp_f32 v25, v25, 1
	s_delay_alu instid0(VALU_DEP_2) | instskip(NEXT) | instid1(VALU_DEP_4)
	v_sub_f32_e32 v27, v28, v30
	v_fma_f32 v30, 0x3f317218, v24, -v31
	s_delay_alu instid0(VALU_DEP_1) | instskip(NEXT) | instid1(VALU_DEP_1)
	v_dual_sub_f32 v27, v29, v27 :: v_dual_fmamk_f32 v24, v24, 0xb102e308, v30
	v_add_f32_e32 v25, v25, v27
	s_delay_alu instid0(VALU_DEP_2) | instskip(NEXT) | instid1(VALU_DEP_2)
	v_add_f32_e32 v27, v31, v24
	v_add_f32_e32 v29, v28, v25
	s_delay_alu instid0(VALU_DEP_2) | instskip(NEXT) | instid1(VALU_DEP_2)
	v_sub_f32_e32 v31, v27, v31
	v_add_f32_e32 v30, v27, v29
	v_sub_f32_e32 v28, v29, v28
	s_delay_alu instid0(VALU_DEP_3) | instskip(NEXT) | instid1(VALU_DEP_2)
	v_sub_f32_e32 v24, v24, v31
	v_dual_sub_f32 v32, v30, v27 :: v_dual_sub_f32 v25, v25, v28
	s_delay_alu instid0(VALU_DEP_1) | instskip(NEXT) | instid1(VALU_DEP_2)
	v_sub_f32_e32 v33, v30, v32
	v_dual_sub_f32 v28, v29, v32 :: v_dual_add_f32 v29, v24, v25
	s_delay_alu instid0(VALU_DEP_2) | instskip(NEXT) | instid1(VALU_DEP_1)
	v_sub_f32_e32 v27, v27, v33
	v_dual_add_f32 v27, v28, v27 :: v_dual_sub_f32 v28, v29, v24
	s_delay_alu instid0(VALU_DEP_1) | instskip(NEXT) | instid1(VALU_DEP_2)
	v_add_f32_e32 v27, v29, v27
	v_sub_f32_e32 v29, v29, v28
	v_sub_f32_e32 v25, v25, v28
	s_delay_alu instid0(VALU_DEP_2) | instskip(NEXT) | instid1(VALU_DEP_1)
	v_dual_add_f32 v31, v30, v27 :: v_dual_sub_f32 v24, v24, v29
	v_sub_f32_e32 v28, v31, v30
	s_delay_alu instid0(VALU_DEP_2) | instskip(NEXT) | instid1(VALU_DEP_2)
	v_add_f32_e32 v24, v25, v24
	v_sub_f32_e32 v25, v27, v28
	s_delay_alu instid0(VALU_DEP_1) | instskip(NEXT) | instid1(VALU_DEP_1)
	v_add_f32_e32 v24, v24, v25
	v_add_f32_e32 v24, v31, v24
	s_delay_alu instid0(VALU_DEP_1) | instskip(NEXT) | instid1(VALU_DEP_1)
	v_cndmask_b32_e64 v24, v24, v26, s29
	v_add_f32_e32 v24, v22, v24
.LBB531_58:
	s_or_b32 exec_lo, exec_lo, s30
	s_delay_alu instid0(VALU_DEP_1) | instskip(SKIP_1) | instid1(VALU_DEP_2)
	v_bfe_u32 v22, v24, 16, 1
	v_cmp_o_f32_e64 s29, v24, v24
	v_add3_u32 v22, v24, v22, 0x7fff
	s_delay_alu instid0(VALU_DEP_1) | instskip(NEXT) | instid1(VALU_DEP_1)
	v_and_b32_e32 v22, 0xffff0000, v22
	v_cndmask_b32_e64 v25, 0x7fc00000, v22, s29
	s_delay_alu instid0(VALU_DEP_1) | instskip(NEXT) | instid1(VALU_DEP_1)
	v_dual_max_f32 v22, v25, v25 :: v_dual_and_b32 v11, 0xffff0000, v11
	v_max_f32_e32 v24, v11, v11
	v_cmp_u_f32_e64 s29, v25, v25
	s_delay_alu instid0(VALU_DEP_2) | instskip(SKIP_1) | instid1(VALU_DEP_2)
	v_min_f32_e32 v26, v22, v24
	v_max_f32_e32 v22, v22, v24
	v_cndmask_b32_e64 v26, v26, v25, s29
	s_delay_alu instid0(VALU_DEP_2) | instskip(SKIP_1) | instid1(VALU_DEP_1)
	v_cndmask_b32_e64 v22, v22, v25, s29
	v_cmp_u_f32_e64 s29, v11, v11
	v_cndmask_b32_e64 v26, v26, v11, s29
	s_delay_alu instid0(VALU_DEP_3) | instskip(NEXT) | instid1(VALU_DEP_2)
	v_cndmask_b32_e64 v22, v22, v11, s29
	v_cmp_class_f32_e64 s31, v26, 0x1f8
	s_delay_alu instid0(VALU_DEP_2) | instskip(NEXT) | instid1(VALU_DEP_1)
	v_cmp_neq_f32_e64 s30, v26, v22
	s_or_b32 s30, s30, s31
	s_delay_alu instid0(SALU_CYCLE_1)
	s_and_saveexec_b32 s31, s30
	s_cbranch_execz .LBB531_60
; %bb.59:
	v_sub_f32_e32 v25, v26, v22
	s_delay_alu instid0(VALU_DEP_1) | instskip(SKIP_1) | instid1(VALU_DEP_2)
	v_mul_f32_e32 v26, 0x3fb8aa3b, v25
	v_cmp_ngt_f32_e64 s30, 0xc2ce8ed0, v25
	v_fma_f32 v27, 0x3fb8aa3b, v25, -v26
	v_rndne_f32_e32 v28, v26
	s_delay_alu instid0(VALU_DEP_1) | instskip(NEXT) | instid1(VALU_DEP_1)
	v_dual_fmamk_f32 v27, v25, 0x32a5705f, v27 :: v_dual_sub_f32 v26, v26, v28
	v_add_f32_e32 v26, v26, v27
	v_cvt_i32_f32_e32 v27, v28
	s_delay_alu instid0(VALU_DEP_2) | instskip(SKIP_2) | instid1(VALU_DEP_1)
	v_exp_f32_e32 v26, v26
	s_waitcnt_depctr 0xfff
	v_ldexp_f32 v26, v26, v27
	v_cndmask_b32_e64 v26, 0, v26, s30
	v_cmp_nlt_f32_e64 s30, 0x42b17218, v25
	s_delay_alu instid0(VALU_DEP_1) | instskip(NEXT) | instid1(VALU_DEP_1)
	v_cndmask_b32_e64 v27, 0x7f800000, v26, s30
	v_add_f32_e32 v28, 1.0, v27
	v_cmp_gt_f32_e64 s33, 0x33800000, |v27|
	s_delay_alu instid0(VALU_DEP_2) | instskip(NEXT) | instid1(VALU_DEP_1)
	v_cvt_f64_f32_e32 v[25:26], v28
	v_frexp_exp_i32_f64_e32 v25, v[25:26]
	v_frexp_mant_f32_e32 v26, v28
	s_delay_alu instid0(VALU_DEP_1) | instskip(SKIP_1) | instid1(VALU_DEP_1)
	v_cmp_gt_f32_e64 s30, 0x3f2aaaab, v26
	v_add_f32_e32 v26, -1.0, v28
	v_sub_f32_e32 v30, v26, v28
	v_sub_f32_e32 v26, v27, v26
	s_delay_alu instid0(VALU_DEP_4) | instskip(SKIP_1) | instid1(VALU_DEP_1)
	v_subrev_co_ci_u32_e64 v25, s30, 0, v25, s30
	s_mov_b32 s30, 0x3e9b6dac
	v_sub_nc_u32_e32 v29, 0, v25
	v_cvt_f32_i32_e32 v25, v25
	s_delay_alu instid0(VALU_DEP_2) | instskip(NEXT) | instid1(VALU_DEP_1)
	v_ldexp_f32 v28, v28, v29
	v_dual_add_f32 v31, 1.0, v28 :: v_dual_add_f32 v30, 1.0, v30
	s_delay_alu instid0(VALU_DEP_1) | instskip(NEXT) | instid1(VALU_DEP_2)
	v_add_f32_e32 v26, v26, v30
	v_add_f32_e32 v30, -1.0, v31
	s_delay_alu instid0(VALU_DEP_2) | instskip(NEXT) | instid1(VALU_DEP_2)
	v_ldexp_f32 v26, v26, v29
	v_dual_add_f32 v29, -1.0, v28 :: v_dual_sub_f32 v30, v28, v30
	s_delay_alu instid0(VALU_DEP_1) | instskip(NEXT) | instid1(VALU_DEP_2)
	v_add_f32_e32 v32, 1.0, v29
	v_add_f32_e32 v30, v26, v30
	s_delay_alu instid0(VALU_DEP_2) | instskip(NEXT) | instid1(VALU_DEP_2)
	v_sub_f32_e32 v28, v28, v32
	v_add_f32_e32 v32, v31, v30
	s_delay_alu instid0(VALU_DEP_2) | instskip(NEXT) | instid1(VALU_DEP_2)
	v_add_f32_e32 v26, v26, v28
	v_rcp_f32_e32 v28, v32
	v_sub_f32_e32 v31, v31, v32
	s_delay_alu instid0(VALU_DEP_1) | instskip(NEXT) | instid1(VALU_DEP_1)
	v_dual_add_f32 v33, v29, v26 :: v_dual_add_f32 v30, v30, v31
	v_sub_f32_e32 v29, v29, v33
	s_waitcnt_depctr 0xfff
	v_mul_f32_e32 v34, v33, v28
	s_delay_alu instid0(VALU_DEP_1) | instskip(NEXT) | instid1(VALU_DEP_1)
	v_dual_add_f32 v26, v26, v29 :: v_dual_mul_f32 v35, v32, v34
	v_fma_f32 v31, v34, v32, -v35
	s_delay_alu instid0(VALU_DEP_1) | instskip(NEXT) | instid1(VALU_DEP_1)
	v_fmac_f32_e32 v31, v34, v30
	v_add_f32_e32 v36, v35, v31
	s_delay_alu instid0(VALU_DEP_1) | instskip(SKIP_1) | instid1(VALU_DEP_2)
	v_sub_f32_e32 v37, v33, v36
	v_sub_f32_e32 v29, v36, v35
	;; [unrolled: 1-line block ×3, first 2 shown]
	s_delay_alu instid0(VALU_DEP_2) | instskip(NEXT) | instid1(VALU_DEP_2)
	v_sub_f32_e32 v29, v29, v31
	v_sub_f32_e32 v33, v33, v36
	s_delay_alu instid0(VALU_DEP_1) | instskip(NEXT) | instid1(VALU_DEP_1)
	v_add_f32_e32 v26, v26, v33
	v_add_f32_e32 v26, v29, v26
	s_delay_alu instid0(VALU_DEP_1) | instskip(NEXT) | instid1(VALU_DEP_1)
	v_add_f32_e32 v29, v37, v26
	v_mul_f32_e32 v31, v28, v29
	s_delay_alu instid0(VALU_DEP_1) | instskip(NEXT) | instid1(VALU_DEP_1)
	v_dual_sub_f32 v36, v37, v29 :: v_dual_mul_f32 v33, v32, v31
	v_add_f32_e32 v26, v26, v36
	s_delay_alu instid0(VALU_DEP_2) | instskip(NEXT) | instid1(VALU_DEP_1)
	v_fma_f32 v32, v31, v32, -v33
	v_fmac_f32_e32 v32, v31, v30
	s_delay_alu instid0(VALU_DEP_1) | instskip(NEXT) | instid1(VALU_DEP_1)
	v_add_f32_e32 v30, v33, v32
	v_sub_f32_e32 v35, v29, v30
	v_sub_f32_e32 v33, v30, v33
	s_delay_alu instid0(VALU_DEP_2) | instskip(NEXT) | instid1(VALU_DEP_1)
	v_sub_f32_e32 v29, v29, v35
	v_sub_f32_e32 v29, v29, v30
	s_delay_alu instid0(VALU_DEP_3) | instskip(NEXT) | instid1(VALU_DEP_2)
	v_sub_f32_e32 v30, v33, v32
	v_add_f32_e32 v26, v26, v29
	v_add_f32_e32 v29, v34, v31
	s_delay_alu instid0(VALU_DEP_2) | instskip(NEXT) | instid1(VALU_DEP_2)
	v_add_f32_e32 v26, v30, v26
	v_sub_f32_e32 v30, v29, v34
	s_delay_alu instid0(VALU_DEP_2) | instskip(NEXT) | instid1(VALU_DEP_2)
	v_add_f32_e32 v26, v35, v26
	v_sub_f32_e32 v30, v31, v30
	s_delay_alu instid0(VALU_DEP_2) | instskip(NEXT) | instid1(VALU_DEP_1)
	v_mul_f32_e32 v26, v28, v26
	v_add_f32_e32 v26, v30, v26
	s_delay_alu instid0(VALU_DEP_1) | instskip(NEXT) | instid1(VALU_DEP_1)
	v_add_f32_e32 v28, v29, v26
	v_mul_f32_e32 v30, v28, v28
	s_delay_alu instid0(VALU_DEP_1) | instskip(SKIP_2) | instid1(VALU_DEP_3)
	v_fmaak_f32 v31, s30, v30, 0x3ecc95a3
	v_mul_f32_e32 v32, v28, v30
	v_cmp_eq_f32_e64 s30, 0x7f800000, v27
	v_fmaak_f32 v30, v30, v31, 0x3f2aaada
	v_ldexp_f32 v31, v28, 1
	v_sub_f32_e32 v28, v28, v29
	s_delay_alu instid0(VALU_DEP_4) | instskip(NEXT) | instid1(VALU_DEP_3)
	s_or_b32 s30, s30, s33
	v_mul_f32_e32 v30, v32, v30
	v_mul_f32_e32 v32, 0x3f317218, v25
	s_delay_alu instid0(VALU_DEP_2) | instskip(NEXT) | instid1(VALU_DEP_1)
	v_dual_sub_f32 v26, v26, v28 :: v_dual_add_f32 v29, v31, v30
	v_ldexp_f32 v26, v26, 1
	s_delay_alu instid0(VALU_DEP_2) | instskip(NEXT) | instid1(VALU_DEP_4)
	v_sub_f32_e32 v28, v29, v31
	v_fma_f32 v31, 0x3f317218, v25, -v32
	s_delay_alu instid0(VALU_DEP_1) | instskip(NEXT) | instid1(VALU_DEP_1)
	v_dual_sub_f32 v28, v30, v28 :: v_dual_fmamk_f32 v25, v25, 0xb102e308, v31
	v_add_f32_e32 v26, v26, v28
	s_delay_alu instid0(VALU_DEP_2) | instskip(NEXT) | instid1(VALU_DEP_2)
	v_add_f32_e32 v28, v32, v25
	v_add_f32_e32 v30, v29, v26
	s_delay_alu instid0(VALU_DEP_2) | instskip(NEXT) | instid1(VALU_DEP_2)
	v_sub_f32_e32 v32, v28, v32
	v_add_f32_e32 v31, v28, v30
	v_sub_f32_e32 v29, v30, v29
	s_delay_alu instid0(VALU_DEP_3) | instskip(NEXT) | instid1(VALU_DEP_2)
	v_sub_f32_e32 v25, v25, v32
	v_dual_sub_f32 v33, v31, v28 :: v_dual_sub_f32 v26, v26, v29
	s_delay_alu instid0(VALU_DEP_1) | instskip(NEXT) | instid1(VALU_DEP_2)
	v_sub_f32_e32 v34, v31, v33
	v_dual_sub_f32 v29, v30, v33 :: v_dual_add_f32 v30, v25, v26
	s_delay_alu instid0(VALU_DEP_2) | instskip(NEXT) | instid1(VALU_DEP_1)
	v_sub_f32_e32 v28, v28, v34
	v_dual_add_f32 v28, v29, v28 :: v_dual_sub_f32 v29, v30, v25
	s_delay_alu instid0(VALU_DEP_1) | instskip(NEXT) | instid1(VALU_DEP_2)
	v_add_f32_e32 v28, v30, v28
	v_sub_f32_e32 v30, v30, v29
	v_sub_f32_e32 v26, v26, v29
	s_delay_alu instid0(VALU_DEP_2) | instskip(NEXT) | instid1(VALU_DEP_1)
	v_dual_add_f32 v32, v31, v28 :: v_dual_sub_f32 v25, v25, v30
	v_sub_f32_e32 v29, v32, v31
	s_delay_alu instid0(VALU_DEP_2) | instskip(NEXT) | instid1(VALU_DEP_2)
	v_add_f32_e32 v25, v26, v25
	v_sub_f32_e32 v26, v28, v29
	s_delay_alu instid0(VALU_DEP_1) | instskip(NEXT) | instid1(VALU_DEP_1)
	v_add_f32_e32 v25, v25, v26
	v_add_f32_e32 v25, v32, v25
	s_delay_alu instid0(VALU_DEP_1) | instskip(NEXT) | instid1(VALU_DEP_1)
	v_cndmask_b32_e64 v25, v25, v27, s30
	v_add_f32_e32 v25, v22, v25
.LBB531_60:
	s_or_b32 exec_lo, exec_lo, s31
	s_delay_alu instid0(VALU_DEP_1) | instskip(SKIP_1) | instid1(VALU_DEP_2)
	v_bfe_u32 v22, v25, 16, 1
	v_cmp_o_f32_e64 s30, v25, v25
	v_add3_u32 v22, v25, v22, 0x7fff
	s_delay_alu instid0(VALU_DEP_1) | instskip(NEXT) | instid1(VALU_DEP_1)
	v_and_b32_e32 v26, 0xffff0000, v22
	v_cndmask_b32_e64 v27, 0x7fc00000, v26, s30
	s_delay_alu instid0(VALU_DEP_1) | instskip(SKIP_1) | instid1(VALU_DEP_2)
	v_dual_max_f32 v25, v27, v27 :: v_dual_lshlrev_b32 v22, 16, v8
	v_cmp_u_f32_e64 s30, v27, v27
	v_max_f32_e32 v26, v22, v22
	s_delay_alu instid0(VALU_DEP_1) | instskip(SKIP_1) | instid1(VALU_DEP_2)
	v_min_f32_e32 v28, v25, v26
	v_max_f32_e32 v25, v25, v26
	v_cndmask_b32_e64 v28, v28, v27, s30
	s_delay_alu instid0(VALU_DEP_2) | instskip(SKIP_1) | instid1(VALU_DEP_1)
	v_cndmask_b32_e64 v25, v25, v27, s30
	v_cmp_u_f32_e64 s30, v22, v22
	v_cndmask_b32_e64 v28, v28, v22, s30
	s_delay_alu instid0(VALU_DEP_3) | instskip(NEXT) | instid1(VALU_DEP_2)
	v_cndmask_b32_e64 v25, v25, v22, s30
	v_cmp_class_f32_e64 s33, v28, 0x1f8
	s_delay_alu instid0(VALU_DEP_2) | instskip(NEXT) | instid1(VALU_DEP_1)
	v_cmp_neq_f32_e64 s31, v28, v25
	s_or_b32 s31, s31, s33
	s_delay_alu instid0(SALU_CYCLE_1)
	s_and_saveexec_b32 s33, s31
	s_cbranch_execz .LBB531_62
; %bb.61:
	v_sub_f32_e32 v27, v28, v25
	s_delay_alu instid0(VALU_DEP_1) | instskip(SKIP_1) | instid1(VALU_DEP_2)
	v_mul_f32_e32 v28, 0x3fb8aa3b, v27
	v_cmp_ngt_f32_e64 s31, 0xc2ce8ed0, v27
	v_fma_f32 v29, 0x3fb8aa3b, v27, -v28
	v_rndne_f32_e32 v30, v28
	s_delay_alu instid0(VALU_DEP_1) | instskip(NEXT) | instid1(VALU_DEP_1)
	v_dual_fmamk_f32 v29, v27, 0x32a5705f, v29 :: v_dual_sub_f32 v28, v28, v30
	v_add_f32_e32 v28, v28, v29
	v_cvt_i32_f32_e32 v29, v30
	s_delay_alu instid0(VALU_DEP_2) | instskip(SKIP_2) | instid1(VALU_DEP_1)
	v_exp_f32_e32 v28, v28
	s_waitcnt_depctr 0xfff
	v_ldexp_f32 v28, v28, v29
	v_cndmask_b32_e64 v28, 0, v28, s31
	v_cmp_nlt_f32_e64 s31, 0x42b17218, v27
	s_delay_alu instid0(VALU_DEP_1) | instskip(NEXT) | instid1(VALU_DEP_1)
	v_cndmask_b32_e64 v29, 0x7f800000, v28, s31
	v_add_f32_e32 v30, 1.0, v29
	v_cmp_gt_f32_e64 s34, 0x33800000, |v29|
	s_delay_alu instid0(VALU_DEP_2) | instskip(NEXT) | instid1(VALU_DEP_1)
	v_cvt_f64_f32_e32 v[27:28], v30
	v_frexp_exp_i32_f64_e32 v27, v[27:28]
	v_frexp_mant_f32_e32 v28, v30
	s_delay_alu instid0(VALU_DEP_1) | instskip(SKIP_1) | instid1(VALU_DEP_1)
	v_cmp_gt_f32_e64 s31, 0x3f2aaaab, v28
	v_add_f32_e32 v28, -1.0, v30
	v_sub_f32_e32 v32, v28, v30
	v_sub_f32_e32 v28, v29, v28
	s_delay_alu instid0(VALU_DEP_4) | instskip(SKIP_1) | instid1(VALU_DEP_1)
	v_subrev_co_ci_u32_e64 v27, s31, 0, v27, s31
	s_mov_b32 s31, 0x3e9b6dac
	v_sub_nc_u32_e32 v31, 0, v27
	v_cvt_f32_i32_e32 v27, v27
	s_delay_alu instid0(VALU_DEP_2) | instskip(NEXT) | instid1(VALU_DEP_1)
	v_ldexp_f32 v30, v30, v31
	v_dual_add_f32 v33, 1.0, v30 :: v_dual_add_f32 v32, 1.0, v32
	s_delay_alu instid0(VALU_DEP_1) | instskip(NEXT) | instid1(VALU_DEP_2)
	v_add_f32_e32 v28, v28, v32
	v_add_f32_e32 v32, -1.0, v33
	s_delay_alu instid0(VALU_DEP_2) | instskip(NEXT) | instid1(VALU_DEP_2)
	v_ldexp_f32 v28, v28, v31
	v_dual_add_f32 v31, -1.0, v30 :: v_dual_sub_f32 v32, v30, v32
	s_delay_alu instid0(VALU_DEP_1) | instskip(NEXT) | instid1(VALU_DEP_2)
	v_add_f32_e32 v34, 1.0, v31
	v_add_f32_e32 v32, v28, v32
	s_delay_alu instid0(VALU_DEP_2) | instskip(NEXT) | instid1(VALU_DEP_2)
	v_sub_f32_e32 v30, v30, v34
	v_add_f32_e32 v34, v33, v32
	s_delay_alu instid0(VALU_DEP_2) | instskip(NEXT) | instid1(VALU_DEP_2)
	v_add_f32_e32 v28, v28, v30
	v_rcp_f32_e32 v30, v34
	v_sub_f32_e32 v33, v33, v34
	s_delay_alu instid0(VALU_DEP_1) | instskip(NEXT) | instid1(VALU_DEP_1)
	v_dual_add_f32 v35, v31, v28 :: v_dual_add_f32 v32, v32, v33
	v_sub_f32_e32 v31, v31, v35
	s_waitcnt_depctr 0xfff
	v_mul_f32_e32 v36, v35, v30
	s_delay_alu instid0(VALU_DEP_1) | instskip(NEXT) | instid1(VALU_DEP_1)
	v_dual_add_f32 v28, v28, v31 :: v_dual_mul_f32 v37, v34, v36
	v_fma_f32 v33, v36, v34, -v37
	s_delay_alu instid0(VALU_DEP_1) | instskip(NEXT) | instid1(VALU_DEP_1)
	v_fmac_f32_e32 v33, v36, v32
	v_add_f32_e32 v38, v37, v33
	s_delay_alu instid0(VALU_DEP_1) | instskip(SKIP_1) | instid1(VALU_DEP_2)
	v_sub_f32_e32 v39, v35, v38
	v_sub_f32_e32 v31, v38, v37
	;; [unrolled: 1-line block ×3, first 2 shown]
	s_delay_alu instid0(VALU_DEP_2) | instskip(NEXT) | instid1(VALU_DEP_2)
	v_sub_f32_e32 v31, v31, v33
	v_sub_f32_e32 v35, v35, v38
	s_delay_alu instid0(VALU_DEP_1) | instskip(NEXT) | instid1(VALU_DEP_1)
	v_add_f32_e32 v28, v28, v35
	v_add_f32_e32 v28, v31, v28
	s_delay_alu instid0(VALU_DEP_1) | instskip(NEXT) | instid1(VALU_DEP_1)
	v_add_f32_e32 v31, v39, v28
	v_mul_f32_e32 v33, v30, v31
	s_delay_alu instid0(VALU_DEP_1) | instskip(NEXT) | instid1(VALU_DEP_1)
	v_dual_sub_f32 v38, v39, v31 :: v_dual_mul_f32 v35, v34, v33
	v_add_f32_e32 v28, v28, v38
	s_delay_alu instid0(VALU_DEP_2) | instskip(NEXT) | instid1(VALU_DEP_1)
	v_fma_f32 v34, v33, v34, -v35
	v_fmac_f32_e32 v34, v33, v32
	s_delay_alu instid0(VALU_DEP_1) | instskip(NEXT) | instid1(VALU_DEP_1)
	v_add_f32_e32 v32, v35, v34
	v_sub_f32_e32 v37, v31, v32
	v_sub_f32_e32 v35, v32, v35
	s_delay_alu instid0(VALU_DEP_2) | instskip(NEXT) | instid1(VALU_DEP_1)
	v_sub_f32_e32 v31, v31, v37
	v_sub_f32_e32 v31, v31, v32
	s_delay_alu instid0(VALU_DEP_3) | instskip(NEXT) | instid1(VALU_DEP_2)
	v_sub_f32_e32 v32, v35, v34
	v_add_f32_e32 v28, v28, v31
	v_add_f32_e32 v31, v36, v33
	s_delay_alu instid0(VALU_DEP_2) | instskip(NEXT) | instid1(VALU_DEP_2)
	v_add_f32_e32 v28, v32, v28
	v_sub_f32_e32 v32, v31, v36
	s_delay_alu instid0(VALU_DEP_2) | instskip(NEXT) | instid1(VALU_DEP_2)
	v_add_f32_e32 v28, v37, v28
	v_sub_f32_e32 v32, v33, v32
	s_delay_alu instid0(VALU_DEP_2) | instskip(NEXT) | instid1(VALU_DEP_1)
	v_mul_f32_e32 v28, v30, v28
	v_add_f32_e32 v28, v32, v28
	s_delay_alu instid0(VALU_DEP_1) | instskip(NEXT) | instid1(VALU_DEP_1)
	v_add_f32_e32 v30, v31, v28
	v_mul_f32_e32 v32, v30, v30
	s_delay_alu instid0(VALU_DEP_1) | instskip(SKIP_2) | instid1(VALU_DEP_3)
	v_fmaak_f32 v33, s31, v32, 0x3ecc95a3
	v_mul_f32_e32 v34, v30, v32
	v_cmp_eq_f32_e64 s31, 0x7f800000, v29
	v_fmaak_f32 v32, v32, v33, 0x3f2aaada
	v_ldexp_f32 v33, v30, 1
	v_sub_f32_e32 v30, v30, v31
	s_delay_alu instid0(VALU_DEP_4) | instskip(NEXT) | instid1(VALU_DEP_3)
	s_or_b32 s31, s31, s34
	v_mul_f32_e32 v32, v34, v32
	v_mul_f32_e32 v34, 0x3f317218, v27
	s_delay_alu instid0(VALU_DEP_2) | instskip(NEXT) | instid1(VALU_DEP_1)
	v_dual_sub_f32 v28, v28, v30 :: v_dual_add_f32 v31, v33, v32
	v_ldexp_f32 v28, v28, 1
	s_delay_alu instid0(VALU_DEP_2) | instskip(NEXT) | instid1(VALU_DEP_4)
	v_sub_f32_e32 v30, v31, v33
	v_fma_f32 v33, 0x3f317218, v27, -v34
	s_delay_alu instid0(VALU_DEP_1) | instskip(NEXT) | instid1(VALU_DEP_1)
	v_dual_sub_f32 v30, v32, v30 :: v_dual_fmamk_f32 v27, v27, 0xb102e308, v33
	v_add_f32_e32 v28, v28, v30
	s_delay_alu instid0(VALU_DEP_2) | instskip(NEXT) | instid1(VALU_DEP_2)
	v_add_f32_e32 v30, v34, v27
	v_add_f32_e32 v32, v31, v28
	s_delay_alu instid0(VALU_DEP_2) | instskip(NEXT) | instid1(VALU_DEP_2)
	v_sub_f32_e32 v34, v30, v34
	v_add_f32_e32 v33, v30, v32
	v_sub_f32_e32 v31, v32, v31
	s_delay_alu instid0(VALU_DEP_3) | instskip(NEXT) | instid1(VALU_DEP_2)
	v_sub_f32_e32 v27, v27, v34
	v_dual_sub_f32 v35, v33, v30 :: v_dual_sub_f32 v28, v28, v31
	s_delay_alu instid0(VALU_DEP_1) | instskip(NEXT) | instid1(VALU_DEP_2)
	v_sub_f32_e32 v36, v33, v35
	v_dual_sub_f32 v31, v32, v35 :: v_dual_add_f32 v32, v27, v28
	s_delay_alu instid0(VALU_DEP_2) | instskip(NEXT) | instid1(VALU_DEP_1)
	v_sub_f32_e32 v30, v30, v36
	v_dual_add_f32 v30, v31, v30 :: v_dual_sub_f32 v31, v32, v27
	s_delay_alu instid0(VALU_DEP_1) | instskip(NEXT) | instid1(VALU_DEP_2)
	v_add_f32_e32 v30, v32, v30
	v_sub_f32_e32 v32, v32, v31
	v_sub_f32_e32 v28, v28, v31
	s_delay_alu instid0(VALU_DEP_2) | instskip(NEXT) | instid1(VALU_DEP_1)
	v_dual_add_f32 v34, v33, v30 :: v_dual_sub_f32 v27, v27, v32
	v_sub_f32_e32 v31, v34, v33
	s_delay_alu instid0(VALU_DEP_2) | instskip(NEXT) | instid1(VALU_DEP_2)
	v_add_f32_e32 v27, v28, v27
	v_sub_f32_e32 v28, v30, v31
	s_delay_alu instid0(VALU_DEP_1) | instskip(NEXT) | instid1(VALU_DEP_1)
	v_add_f32_e32 v27, v27, v28
	v_add_f32_e32 v27, v34, v27
	s_delay_alu instid0(VALU_DEP_1) | instskip(NEXT) | instid1(VALU_DEP_1)
	v_cndmask_b32_e64 v27, v27, v29, s31
	v_add_f32_e32 v27, v25, v27
.LBB531_62:
	s_or_b32 exec_lo, exec_lo, s33
	s_delay_alu instid0(VALU_DEP_1) | instskip(SKIP_1) | instid1(VALU_DEP_2)
	v_bfe_u32 v25, v27, 16, 1
	v_cmp_o_f32_e64 s31, v27, v27
	v_add3_u32 v25, v27, v25, 0x7fff
	s_delay_alu instid0(VALU_DEP_1) | instskip(NEXT) | instid1(VALU_DEP_1)
	v_and_b32_e32 v25, 0xffff0000, v25
	v_cndmask_b32_e64 v28, 0x7fc00000, v25, s31
	s_delay_alu instid0(VALU_DEP_1) | instskip(SKIP_2) | instid1(VALU_DEP_2)
	v_max_f32_e32 v25, v28, v28
	v_and_b32_e32 v8, 0xffff0000, v8
	v_cmp_u_f32_e64 s31, v28, v28
	v_max_f32_e32 v27, v8, v8
	s_delay_alu instid0(VALU_DEP_1) | instskip(SKIP_1) | instid1(VALU_DEP_2)
	v_min_f32_e32 v29, v25, v27
	v_max_f32_e32 v25, v25, v27
	v_cndmask_b32_e64 v29, v29, v28, s31
	s_delay_alu instid0(VALU_DEP_2) | instskip(SKIP_1) | instid1(VALU_DEP_1)
	v_cndmask_b32_e64 v25, v25, v28, s31
	v_cmp_u_f32_e64 s31, v8, v8
	v_cndmask_b32_e64 v29, v29, v8, s31
	s_delay_alu instid0(VALU_DEP_3) | instskip(NEXT) | instid1(VALU_DEP_2)
	v_cndmask_b32_e64 v25, v25, v8, s31
	v_cmp_class_f32_e64 s34, v29, 0x1f8
	s_delay_alu instid0(VALU_DEP_2) | instskip(NEXT) | instid1(VALU_DEP_1)
	v_cmp_neq_f32_e64 s33, v29, v25
	s_or_b32 s33, s33, s34
	s_delay_alu instid0(SALU_CYCLE_1)
	s_and_saveexec_b32 s34, s33
	s_cbranch_execz .LBB531_64
; %bb.63:
	v_sub_f32_e32 v28, v29, v25
	s_delay_alu instid0(VALU_DEP_1) | instskip(SKIP_1) | instid1(VALU_DEP_2)
	v_mul_f32_e32 v29, 0x3fb8aa3b, v28
	v_cmp_ngt_f32_e64 s33, 0xc2ce8ed0, v28
	v_fma_f32 v30, 0x3fb8aa3b, v28, -v29
	v_rndne_f32_e32 v31, v29
	s_delay_alu instid0(VALU_DEP_1) | instskip(NEXT) | instid1(VALU_DEP_1)
	v_dual_fmamk_f32 v30, v28, 0x32a5705f, v30 :: v_dual_sub_f32 v29, v29, v31
	v_add_f32_e32 v29, v29, v30
	v_cvt_i32_f32_e32 v30, v31
	s_delay_alu instid0(VALU_DEP_2) | instskip(SKIP_2) | instid1(VALU_DEP_1)
	v_exp_f32_e32 v29, v29
	s_waitcnt_depctr 0xfff
	v_ldexp_f32 v29, v29, v30
	v_cndmask_b32_e64 v29, 0, v29, s33
	v_cmp_nlt_f32_e64 s33, 0x42b17218, v28
	s_delay_alu instid0(VALU_DEP_1) | instskip(NEXT) | instid1(VALU_DEP_1)
	v_cndmask_b32_e64 v30, 0x7f800000, v29, s33
	v_add_f32_e32 v31, 1.0, v30
	v_cmp_gt_f32_e64 s35, 0x33800000, |v30|
	s_delay_alu instid0(VALU_DEP_2) | instskip(NEXT) | instid1(VALU_DEP_1)
	v_cvt_f64_f32_e32 v[28:29], v31
	v_frexp_exp_i32_f64_e32 v28, v[28:29]
	v_frexp_mant_f32_e32 v29, v31
	s_delay_alu instid0(VALU_DEP_1) | instskip(SKIP_1) | instid1(VALU_DEP_1)
	v_cmp_gt_f32_e64 s33, 0x3f2aaaab, v29
	v_add_f32_e32 v29, -1.0, v31
	v_sub_f32_e32 v33, v29, v31
	v_sub_f32_e32 v29, v30, v29
	s_delay_alu instid0(VALU_DEP_4) | instskip(SKIP_1) | instid1(VALU_DEP_1)
	v_subrev_co_ci_u32_e64 v28, s33, 0, v28, s33
	s_mov_b32 s33, 0x3e9b6dac
	v_sub_nc_u32_e32 v32, 0, v28
	v_cvt_f32_i32_e32 v28, v28
	s_delay_alu instid0(VALU_DEP_2) | instskip(NEXT) | instid1(VALU_DEP_1)
	v_ldexp_f32 v31, v31, v32
	v_dual_add_f32 v34, 1.0, v31 :: v_dual_add_f32 v33, 1.0, v33
	s_delay_alu instid0(VALU_DEP_1) | instskip(NEXT) | instid1(VALU_DEP_2)
	v_add_f32_e32 v29, v29, v33
	v_add_f32_e32 v33, -1.0, v34
	s_delay_alu instid0(VALU_DEP_2) | instskip(NEXT) | instid1(VALU_DEP_2)
	v_ldexp_f32 v29, v29, v32
	v_dual_add_f32 v32, -1.0, v31 :: v_dual_sub_f32 v33, v31, v33
	s_delay_alu instid0(VALU_DEP_1) | instskip(NEXT) | instid1(VALU_DEP_2)
	v_add_f32_e32 v35, 1.0, v32
	v_add_f32_e32 v33, v29, v33
	s_delay_alu instid0(VALU_DEP_2) | instskip(NEXT) | instid1(VALU_DEP_2)
	v_sub_f32_e32 v31, v31, v35
	v_add_f32_e32 v35, v34, v33
	s_delay_alu instid0(VALU_DEP_2) | instskip(NEXT) | instid1(VALU_DEP_2)
	v_add_f32_e32 v29, v29, v31
	v_rcp_f32_e32 v31, v35
	v_sub_f32_e32 v34, v34, v35
	s_delay_alu instid0(VALU_DEP_1) | instskip(NEXT) | instid1(VALU_DEP_1)
	v_dual_add_f32 v36, v32, v29 :: v_dual_add_f32 v33, v33, v34
	v_sub_f32_e32 v32, v32, v36
	s_waitcnt_depctr 0xfff
	v_mul_f32_e32 v37, v36, v31
	s_delay_alu instid0(VALU_DEP_1) | instskip(NEXT) | instid1(VALU_DEP_1)
	v_dual_add_f32 v29, v29, v32 :: v_dual_mul_f32 v38, v35, v37
	v_fma_f32 v34, v37, v35, -v38
	s_delay_alu instid0(VALU_DEP_1) | instskip(NEXT) | instid1(VALU_DEP_1)
	v_fmac_f32_e32 v34, v37, v33
	v_add_f32_e32 v39, v38, v34
	s_delay_alu instid0(VALU_DEP_1) | instskip(SKIP_1) | instid1(VALU_DEP_2)
	v_sub_f32_e32 v40, v36, v39
	v_sub_f32_e32 v32, v39, v38
	;; [unrolled: 1-line block ×3, first 2 shown]
	s_delay_alu instid0(VALU_DEP_2) | instskip(NEXT) | instid1(VALU_DEP_2)
	v_sub_f32_e32 v32, v32, v34
	v_sub_f32_e32 v36, v36, v39
	s_delay_alu instid0(VALU_DEP_1) | instskip(NEXT) | instid1(VALU_DEP_1)
	v_add_f32_e32 v29, v29, v36
	v_add_f32_e32 v29, v32, v29
	s_delay_alu instid0(VALU_DEP_1) | instskip(NEXT) | instid1(VALU_DEP_1)
	v_add_f32_e32 v32, v40, v29
	v_mul_f32_e32 v34, v31, v32
	s_delay_alu instid0(VALU_DEP_1) | instskip(NEXT) | instid1(VALU_DEP_1)
	v_dual_sub_f32 v39, v40, v32 :: v_dual_mul_f32 v36, v35, v34
	v_add_f32_e32 v29, v29, v39
	s_delay_alu instid0(VALU_DEP_2) | instskip(NEXT) | instid1(VALU_DEP_1)
	v_fma_f32 v35, v34, v35, -v36
	v_fmac_f32_e32 v35, v34, v33
	s_delay_alu instid0(VALU_DEP_1) | instskip(NEXT) | instid1(VALU_DEP_1)
	v_add_f32_e32 v33, v36, v35
	v_sub_f32_e32 v38, v32, v33
	v_sub_f32_e32 v36, v33, v36
	s_delay_alu instid0(VALU_DEP_2) | instskip(NEXT) | instid1(VALU_DEP_1)
	v_sub_f32_e32 v32, v32, v38
	v_sub_f32_e32 v32, v32, v33
	s_delay_alu instid0(VALU_DEP_3) | instskip(NEXT) | instid1(VALU_DEP_2)
	v_sub_f32_e32 v33, v36, v35
	v_add_f32_e32 v29, v29, v32
	v_add_f32_e32 v32, v37, v34
	s_delay_alu instid0(VALU_DEP_2) | instskip(NEXT) | instid1(VALU_DEP_2)
	v_add_f32_e32 v29, v33, v29
	v_sub_f32_e32 v33, v32, v37
	s_delay_alu instid0(VALU_DEP_2) | instskip(NEXT) | instid1(VALU_DEP_2)
	v_add_f32_e32 v29, v38, v29
	v_sub_f32_e32 v33, v34, v33
	s_delay_alu instid0(VALU_DEP_2) | instskip(NEXT) | instid1(VALU_DEP_1)
	v_mul_f32_e32 v29, v31, v29
	v_add_f32_e32 v29, v33, v29
	s_delay_alu instid0(VALU_DEP_1) | instskip(NEXT) | instid1(VALU_DEP_1)
	v_add_f32_e32 v31, v32, v29
	v_mul_f32_e32 v33, v31, v31
	s_delay_alu instid0(VALU_DEP_1) | instskip(SKIP_2) | instid1(VALU_DEP_3)
	v_fmaak_f32 v34, s33, v33, 0x3ecc95a3
	v_mul_f32_e32 v35, v31, v33
	v_cmp_eq_f32_e64 s33, 0x7f800000, v30
	v_fmaak_f32 v33, v33, v34, 0x3f2aaada
	v_ldexp_f32 v34, v31, 1
	v_sub_f32_e32 v31, v31, v32
	s_delay_alu instid0(VALU_DEP_4) | instskip(NEXT) | instid1(VALU_DEP_3)
	s_or_b32 s33, s33, s35
	v_mul_f32_e32 v33, v35, v33
	v_mul_f32_e32 v35, 0x3f317218, v28
	s_delay_alu instid0(VALU_DEP_2) | instskip(NEXT) | instid1(VALU_DEP_1)
	v_dual_sub_f32 v29, v29, v31 :: v_dual_add_f32 v32, v34, v33
	v_ldexp_f32 v29, v29, 1
	s_delay_alu instid0(VALU_DEP_2) | instskip(NEXT) | instid1(VALU_DEP_4)
	v_sub_f32_e32 v31, v32, v34
	v_fma_f32 v34, 0x3f317218, v28, -v35
	s_delay_alu instid0(VALU_DEP_1) | instskip(NEXT) | instid1(VALU_DEP_1)
	v_dual_sub_f32 v31, v33, v31 :: v_dual_fmamk_f32 v28, v28, 0xb102e308, v34
	v_add_f32_e32 v29, v29, v31
	s_delay_alu instid0(VALU_DEP_2) | instskip(NEXT) | instid1(VALU_DEP_2)
	v_add_f32_e32 v31, v35, v28
	v_add_f32_e32 v33, v32, v29
	s_delay_alu instid0(VALU_DEP_2) | instskip(NEXT) | instid1(VALU_DEP_2)
	v_sub_f32_e32 v35, v31, v35
	v_add_f32_e32 v34, v31, v33
	v_sub_f32_e32 v32, v33, v32
	s_delay_alu instid0(VALU_DEP_3) | instskip(NEXT) | instid1(VALU_DEP_2)
	v_sub_f32_e32 v28, v28, v35
	v_dual_sub_f32 v36, v34, v31 :: v_dual_sub_f32 v29, v29, v32
	s_delay_alu instid0(VALU_DEP_1) | instskip(NEXT) | instid1(VALU_DEP_2)
	v_sub_f32_e32 v37, v34, v36
	v_dual_sub_f32 v32, v33, v36 :: v_dual_add_f32 v33, v28, v29
	s_delay_alu instid0(VALU_DEP_2) | instskip(NEXT) | instid1(VALU_DEP_1)
	v_sub_f32_e32 v31, v31, v37
	v_dual_add_f32 v31, v32, v31 :: v_dual_sub_f32 v32, v33, v28
	s_delay_alu instid0(VALU_DEP_1) | instskip(NEXT) | instid1(VALU_DEP_2)
	v_add_f32_e32 v31, v33, v31
	v_sub_f32_e32 v33, v33, v32
	v_sub_f32_e32 v29, v29, v32
	s_delay_alu instid0(VALU_DEP_2) | instskip(NEXT) | instid1(VALU_DEP_1)
	v_dual_add_f32 v35, v34, v31 :: v_dual_sub_f32 v28, v28, v33
	v_sub_f32_e32 v32, v35, v34
	s_delay_alu instid0(VALU_DEP_2) | instskip(NEXT) | instid1(VALU_DEP_2)
	v_add_f32_e32 v28, v29, v28
	v_sub_f32_e32 v29, v31, v32
	s_delay_alu instid0(VALU_DEP_1) | instskip(NEXT) | instid1(VALU_DEP_1)
	v_add_f32_e32 v28, v28, v29
	v_add_f32_e32 v28, v35, v28
	s_delay_alu instid0(VALU_DEP_1) | instskip(NEXT) | instid1(VALU_DEP_1)
	v_cndmask_b32_e64 v28, v28, v30, s33
	v_add_f32_e32 v28, v25, v28
.LBB531_64:
	s_or_b32 exec_lo, exec_lo, s34
	s_delay_alu instid0(VALU_DEP_1) | instskip(SKIP_1) | instid1(VALU_DEP_2)
	v_bfe_u32 v25, v28, 16, 1
	v_cmp_o_f32_e64 s33, v28, v28
	v_add3_u32 v25, v28, v25, 0x7fff
	s_delay_alu instid0(VALU_DEP_1) | instskip(SKIP_1) | instid1(VALU_DEP_2)
	v_and_b32_e32 v29, 0xffff0000, v25
	v_lshlrev_b32_e32 v25, 16, v9
	v_cndmask_b32_e64 v30, 0x7fc00000, v29, s33
	s_delay_alu instid0(VALU_DEP_1) | instskip(SKIP_1) | instid1(VALU_DEP_2)
	v_dual_max_f32 v29, v25, v25 :: v_dual_max_f32 v28, v30, v30
	v_cmp_u_f32_e64 s33, v30, v30
	v_min_f32_e32 v31, v28, v29
	v_max_f32_e32 v28, v28, v29
	s_delay_alu instid0(VALU_DEP_2) | instskip(NEXT) | instid1(VALU_DEP_2)
	v_cndmask_b32_e64 v31, v31, v30, s33
	v_cndmask_b32_e64 v28, v28, v30, s33
	v_cmp_u_f32_e64 s33, v25, v25
	s_delay_alu instid0(VALU_DEP_1) | instskip(NEXT) | instid1(VALU_DEP_3)
	v_cndmask_b32_e64 v31, v31, v25, s33
	v_cndmask_b32_e64 v28, v28, v25, s33
	s_delay_alu instid0(VALU_DEP_2) | instskip(NEXT) | instid1(VALU_DEP_2)
	v_cmp_class_f32_e64 s35, v31, 0x1f8
	v_cmp_neq_f32_e64 s34, v31, v28
	s_delay_alu instid0(VALU_DEP_1) | instskip(NEXT) | instid1(SALU_CYCLE_1)
	s_or_b32 s34, s34, s35
	s_and_saveexec_b32 s35, s34
	s_cbranch_execz .LBB531_66
; %bb.65:
	v_sub_f32_e32 v30, v31, v28
	s_delay_alu instid0(VALU_DEP_1) | instskip(SKIP_1) | instid1(VALU_DEP_2)
	v_mul_f32_e32 v31, 0x3fb8aa3b, v30
	v_cmp_ngt_f32_e64 s34, 0xc2ce8ed0, v30
	v_fma_f32 v32, 0x3fb8aa3b, v30, -v31
	v_rndne_f32_e32 v33, v31
	s_delay_alu instid0(VALU_DEP_1) | instskip(NEXT) | instid1(VALU_DEP_1)
	v_dual_fmamk_f32 v32, v30, 0x32a5705f, v32 :: v_dual_sub_f32 v31, v31, v33
	v_add_f32_e32 v31, v31, v32
	v_cvt_i32_f32_e32 v32, v33
	s_delay_alu instid0(VALU_DEP_2) | instskip(SKIP_2) | instid1(VALU_DEP_1)
	v_exp_f32_e32 v31, v31
	s_waitcnt_depctr 0xfff
	v_ldexp_f32 v31, v31, v32
	v_cndmask_b32_e64 v31, 0, v31, s34
	v_cmp_nlt_f32_e64 s34, 0x42b17218, v30
	s_delay_alu instid0(VALU_DEP_1) | instskip(NEXT) | instid1(VALU_DEP_1)
	v_cndmask_b32_e64 v32, 0x7f800000, v31, s34
	v_add_f32_e32 v33, 1.0, v32
	v_cmp_gt_f32_e64 s36, 0x33800000, |v32|
	s_delay_alu instid0(VALU_DEP_2) | instskip(NEXT) | instid1(VALU_DEP_1)
	v_cvt_f64_f32_e32 v[30:31], v33
	v_frexp_exp_i32_f64_e32 v30, v[30:31]
	v_frexp_mant_f32_e32 v31, v33
	s_delay_alu instid0(VALU_DEP_1) | instskip(SKIP_1) | instid1(VALU_DEP_1)
	v_cmp_gt_f32_e64 s34, 0x3f2aaaab, v31
	v_add_f32_e32 v31, -1.0, v33
	v_sub_f32_e32 v35, v31, v33
	v_sub_f32_e32 v31, v32, v31
	s_delay_alu instid0(VALU_DEP_4) | instskip(SKIP_1) | instid1(VALU_DEP_1)
	v_subrev_co_ci_u32_e64 v30, s34, 0, v30, s34
	s_mov_b32 s34, 0x3e9b6dac
	v_sub_nc_u32_e32 v34, 0, v30
	v_cvt_f32_i32_e32 v30, v30
	s_delay_alu instid0(VALU_DEP_2) | instskip(NEXT) | instid1(VALU_DEP_1)
	v_ldexp_f32 v33, v33, v34
	v_dual_add_f32 v36, 1.0, v33 :: v_dual_add_f32 v35, 1.0, v35
	s_delay_alu instid0(VALU_DEP_1) | instskip(NEXT) | instid1(VALU_DEP_2)
	v_add_f32_e32 v31, v31, v35
	v_add_f32_e32 v35, -1.0, v36
	s_delay_alu instid0(VALU_DEP_2) | instskip(NEXT) | instid1(VALU_DEP_2)
	v_ldexp_f32 v31, v31, v34
	v_dual_add_f32 v34, -1.0, v33 :: v_dual_sub_f32 v35, v33, v35
	s_delay_alu instid0(VALU_DEP_1) | instskip(NEXT) | instid1(VALU_DEP_2)
	v_add_f32_e32 v37, 1.0, v34
	v_add_f32_e32 v35, v31, v35
	s_delay_alu instid0(VALU_DEP_2) | instskip(NEXT) | instid1(VALU_DEP_2)
	v_sub_f32_e32 v33, v33, v37
	v_add_f32_e32 v37, v36, v35
	s_delay_alu instid0(VALU_DEP_2) | instskip(NEXT) | instid1(VALU_DEP_2)
	v_add_f32_e32 v31, v31, v33
	v_rcp_f32_e32 v33, v37
	v_sub_f32_e32 v36, v36, v37
	s_delay_alu instid0(VALU_DEP_1) | instskip(NEXT) | instid1(VALU_DEP_1)
	v_dual_add_f32 v38, v34, v31 :: v_dual_add_f32 v35, v35, v36
	v_sub_f32_e32 v34, v34, v38
	s_waitcnt_depctr 0xfff
	v_mul_f32_e32 v39, v38, v33
	s_delay_alu instid0(VALU_DEP_1) | instskip(NEXT) | instid1(VALU_DEP_1)
	v_dual_add_f32 v31, v31, v34 :: v_dual_mul_f32 v40, v37, v39
	v_fma_f32 v36, v39, v37, -v40
	s_delay_alu instid0(VALU_DEP_1) | instskip(NEXT) | instid1(VALU_DEP_1)
	v_fmac_f32_e32 v36, v39, v35
	v_add_f32_e32 v41, v40, v36
	s_delay_alu instid0(VALU_DEP_1) | instskip(NEXT) | instid1(VALU_DEP_1)
	v_dual_sub_f32 v43, v38, v41 :: v_dual_sub_f32 v34, v41, v40
	v_sub_f32_e32 v38, v38, v43
	s_delay_alu instid0(VALU_DEP_2) | instskip(NEXT) | instid1(VALU_DEP_2)
	v_sub_f32_e32 v34, v34, v36
	v_sub_f32_e32 v38, v38, v41
	s_delay_alu instid0(VALU_DEP_1) | instskip(NEXT) | instid1(VALU_DEP_1)
	v_add_f32_e32 v31, v31, v38
	v_add_f32_e32 v31, v34, v31
	s_delay_alu instid0(VALU_DEP_1) | instskip(NEXT) | instid1(VALU_DEP_1)
	v_add_f32_e32 v34, v43, v31
	v_mul_f32_e32 v36, v33, v34
	s_delay_alu instid0(VALU_DEP_1) | instskip(NEXT) | instid1(VALU_DEP_1)
	v_dual_sub_f32 v41, v43, v34 :: v_dual_mul_f32 v38, v37, v36
	v_add_f32_e32 v31, v31, v41
	s_delay_alu instid0(VALU_DEP_2) | instskip(NEXT) | instid1(VALU_DEP_1)
	v_fma_f32 v37, v36, v37, -v38
	v_fmac_f32_e32 v37, v36, v35
	s_delay_alu instid0(VALU_DEP_1) | instskip(NEXT) | instid1(VALU_DEP_1)
	v_add_f32_e32 v35, v38, v37
	v_sub_f32_e32 v40, v34, v35
	v_sub_f32_e32 v38, v35, v38
	s_delay_alu instid0(VALU_DEP_2) | instskip(NEXT) | instid1(VALU_DEP_1)
	v_sub_f32_e32 v34, v34, v40
	v_sub_f32_e32 v34, v34, v35
	s_delay_alu instid0(VALU_DEP_3) | instskip(NEXT) | instid1(VALU_DEP_2)
	v_sub_f32_e32 v35, v38, v37
	v_add_f32_e32 v31, v31, v34
	v_add_f32_e32 v34, v39, v36
	s_delay_alu instid0(VALU_DEP_2) | instskip(NEXT) | instid1(VALU_DEP_2)
	v_add_f32_e32 v31, v35, v31
	v_sub_f32_e32 v35, v34, v39
	s_delay_alu instid0(VALU_DEP_2) | instskip(NEXT) | instid1(VALU_DEP_2)
	v_add_f32_e32 v31, v40, v31
	v_sub_f32_e32 v35, v36, v35
	s_delay_alu instid0(VALU_DEP_2) | instskip(NEXT) | instid1(VALU_DEP_1)
	v_mul_f32_e32 v31, v33, v31
	v_add_f32_e32 v31, v35, v31
	s_delay_alu instid0(VALU_DEP_1) | instskip(NEXT) | instid1(VALU_DEP_1)
	v_add_f32_e32 v33, v34, v31
	v_mul_f32_e32 v35, v33, v33
	s_delay_alu instid0(VALU_DEP_1) | instskip(SKIP_2) | instid1(VALU_DEP_3)
	v_fmaak_f32 v36, s34, v35, 0x3ecc95a3
	v_mul_f32_e32 v37, v33, v35
	v_cmp_eq_f32_e64 s34, 0x7f800000, v32
	v_fmaak_f32 v35, v35, v36, 0x3f2aaada
	v_ldexp_f32 v36, v33, 1
	v_sub_f32_e32 v33, v33, v34
	s_delay_alu instid0(VALU_DEP_4) | instskip(NEXT) | instid1(VALU_DEP_3)
	s_or_b32 s34, s34, s36
	v_mul_f32_e32 v35, v37, v35
	v_mul_f32_e32 v37, 0x3f317218, v30
	s_delay_alu instid0(VALU_DEP_2) | instskip(NEXT) | instid1(VALU_DEP_1)
	v_dual_sub_f32 v31, v31, v33 :: v_dual_add_f32 v34, v36, v35
	v_ldexp_f32 v31, v31, 1
	s_delay_alu instid0(VALU_DEP_2) | instskip(NEXT) | instid1(VALU_DEP_4)
	v_sub_f32_e32 v33, v34, v36
	v_fma_f32 v36, 0x3f317218, v30, -v37
	s_delay_alu instid0(VALU_DEP_1) | instskip(NEXT) | instid1(VALU_DEP_1)
	v_dual_sub_f32 v33, v35, v33 :: v_dual_fmamk_f32 v30, v30, 0xb102e308, v36
	v_add_f32_e32 v31, v31, v33
	s_delay_alu instid0(VALU_DEP_2) | instskip(NEXT) | instid1(VALU_DEP_2)
	v_add_f32_e32 v33, v37, v30
	v_add_f32_e32 v35, v34, v31
	s_delay_alu instid0(VALU_DEP_2) | instskip(NEXT) | instid1(VALU_DEP_2)
	v_sub_f32_e32 v37, v33, v37
	v_add_f32_e32 v36, v33, v35
	v_sub_f32_e32 v34, v35, v34
	s_delay_alu instid0(VALU_DEP_3) | instskip(NEXT) | instid1(VALU_DEP_2)
	v_sub_f32_e32 v30, v30, v37
	v_dual_sub_f32 v38, v36, v33 :: v_dual_sub_f32 v31, v31, v34
	s_delay_alu instid0(VALU_DEP_1) | instskip(NEXT) | instid1(VALU_DEP_2)
	v_sub_f32_e32 v39, v36, v38
	v_dual_sub_f32 v34, v35, v38 :: v_dual_add_f32 v35, v30, v31
	s_delay_alu instid0(VALU_DEP_2) | instskip(NEXT) | instid1(VALU_DEP_1)
	v_sub_f32_e32 v33, v33, v39
	v_dual_add_f32 v33, v34, v33 :: v_dual_sub_f32 v34, v35, v30
	s_delay_alu instid0(VALU_DEP_1) | instskip(NEXT) | instid1(VALU_DEP_2)
	v_add_f32_e32 v33, v35, v33
	v_sub_f32_e32 v35, v35, v34
	v_sub_f32_e32 v31, v31, v34
	s_delay_alu instid0(VALU_DEP_2) | instskip(NEXT) | instid1(VALU_DEP_1)
	v_dual_add_f32 v37, v36, v33 :: v_dual_sub_f32 v30, v30, v35
	v_sub_f32_e32 v34, v37, v36
	s_delay_alu instid0(VALU_DEP_2) | instskip(NEXT) | instid1(VALU_DEP_2)
	v_add_f32_e32 v30, v31, v30
	v_sub_f32_e32 v31, v33, v34
	s_delay_alu instid0(VALU_DEP_1) | instskip(NEXT) | instid1(VALU_DEP_1)
	v_add_f32_e32 v30, v30, v31
	v_add_f32_e32 v30, v37, v30
	s_delay_alu instid0(VALU_DEP_1) | instskip(NEXT) | instid1(VALU_DEP_1)
	v_cndmask_b32_e64 v30, v30, v32, s34
	v_add_f32_e32 v30, v28, v30
.LBB531_66:
	s_or_b32 exec_lo, exec_lo, s35
	s_delay_alu instid0(VALU_DEP_1) | instskip(SKIP_1) | instid1(VALU_DEP_2)
	v_bfe_u32 v28, v30, 16, 1
	v_cmp_o_f32_e64 s34, v30, v30
	v_add3_u32 v28, v30, v28, 0x7fff
	s_delay_alu instid0(VALU_DEP_1) | instskip(NEXT) | instid1(VALU_DEP_1)
	v_and_b32_e32 v28, 0xffff0000, v28
	v_cndmask_b32_e64 v31, 0x7fc00000, v28, s34
	s_delay_alu instid0(VALU_DEP_1) | instskip(NEXT) | instid1(VALU_DEP_1)
	v_dual_max_f32 v28, v31, v31 :: v_dual_and_b32 v9, 0xffff0000, v9
	v_max_f32_e32 v30, v9, v9
	v_cmp_u_f32_e64 s34, v31, v31
	s_delay_alu instid0(VALU_DEP_2) | instskip(SKIP_1) | instid1(VALU_DEP_2)
	v_min_f32_e32 v32, v28, v30
	v_max_f32_e32 v28, v28, v30
	v_cndmask_b32_e64 v32, v32, v31, s34
	s_delay_alu instid0(VALU_DEP_2) | instskip(SKIP_1) | instid1(VALU_DEP_1)
	v_cndmask_b32_e64 v28, v28, v31, s34
	v_cmp_u_f32_e64 s34, v9, v9
	v_cndmask_b32_e64 v32, v32, v9, s34
	s_delay_alu instid0(VALU_DEP_3) | instskip(NEXT) | instid1(VALU_DEP_2)
	v_cndmask_b32_e64 v28, v28, v9, s34
	v_cmp_class_f32_e64 s36, v32, 0x1f8
	s_delay_alu instid0(VALU_DEP_2) | instskip(NEXT) | instid1(VALU_DEP_1)
	v_cmp_neq_f32_e64 s35, v32, v28
	s_or_b32 s35, s35, s36
	s_delay_alu instid0(SALU_CYCLE_1)
	s_and_saveexec_b32 s36, s35
	s_cbranch_execz .LBB531_68
; %bb.67:
	v_sub_f32_e32 v31, v32, v28
	s_delay_alu instid0(VALU_DEP_1) | instskip(SKIP_1) | instid1(VALU_DEP_2)
	v_mul_f32_e32 v32, 0x3fb8aa3b, v31
	v_cmp_ngt_f32_e64 s35, 0xc2ce8ed0, v31
	v_fma_f32 v33, 0x3fb8aa3b, v31, -v32
	v_rndne_f32_e32 v34, v32
	s_delay_alu instid0(VALU_DEP_1) | instskip(NEXT) | instid1(VALU_DEP_1)
	v_dual_fmamk_f32 v33, v31, 0x32a5705f, v33 :: v_dual_sub_f32 v32, v32, v34
	v_add_f32_e32 v32, v32, v33
	v_cvt_i32_f32_e32 v33, v34
	s_delay_alu instid0(VALU_DEP_2) | instskip(SKIP_2) | instid1(VALU_DEP_1)
	v_exp_f32_e32 v32, v32
	s_waitcnt_depctr 0xfff
	v_ldexp_f32 v32, v32, v33
	v_cndmask_b32_e64 v32, 0, v32, s35
	v_cmp_nlt_f32_e64 s35, 0x42b17218, v31
	s_delay_alu instid0(VALU_DEP_1) | instskip(NEXT) | instid1(VALU_DEP_1)
	v_cndmask_b32_e64 v33, 0x7f800000, v32, s35
	v_add_f32_e32 v34, 1.0, v33
	v_cmp_gt_f32_e64 s37, 0x33800000, |v33|
	s_delay_alu instid0(VALU_DEP_2) | instskip(NEXT) | instid1(VALU_DEP_1)
	v_cvt_f64_f32_e32 v[31:32], v34
	v_frexp_exp_i32_f64_e32 v31, v[31:32]
	v_frexp_mant_f32_e32 v32, v34
	s_delay_alu instid0(VALU_DEP_1) | instskip(SKIP_1) | instid1(VALU_DEP_1)
	v_cmp_gt_f32_e64 s35, 0x3f2aaaab, v32
	v_add_f32_e32 v32, -1.0, v34
	v_sub_f32_e32 v36, v32, v34
	v_sub_f32_e32 v32, v33, v32
	s_delay_alu instid0(VALU_DEP_4) | instskip(SKIP_1) | instid1(VALU_DEP_1)
	v_subrev_co_ci_u32_e64 v31, s35, 0, v31, s35
	s_mov_b32 s35, 0x3e9b6dac
	v_sub_nc_u32_e32 v35, 0, v31
	v_cvt_f32_i32_e32 v31, v31
	s_delay_alu instid0(VALU_DEP_2) | instskip(NEXT) | instid1(VALU_DEP_1)
	v_ldexp_f32 v34, v34, v35
	v_dual_add_f32 v37, 1.0, v34 :: v_dual_add_f32 v36, 1.0, v36
	s_delay_alu instid0(VALU_DEP_1) | instskip(NEXT) | instid1(VALU_DEP_2)
	v_add_f32_e32 v32, v32, v36
	v_add_f32_e32 v36, -1.0, v37
	s_delay_alu instid0(VALU_DEP_2) | instskip(NEXT) | instid1(VALU_DEP_2)
	v_ldexp_f32 v32, v32, v35
	v_dual_add_f32 v35, -1.0, v34 :: v_dual_sub_f32 v36, v34, v36
	s_delay_alu instid0(VALU_DEP_1) | instskip(NEXT) | instid1(VALU_DEP_2)
	v_add_f32_e32 v38, 1.0, v35
	v_add_f32_e32 v36, v32, v36
	s_delay_alu instid0(VALU_DEP_2) | instskip(NEXT) | instid1(VALU_DEP_2)
	v_sub_f32_e32 v34, v34, v38
	v_add_f32_e32 v38, v37, v36
	s_delay_alu instid0(VALU_DEP_2) | instskip(NEXT) | instid1(VALU_DEP_2)
	v_add_f32_e32 v32, v32, v34
	v_rcp_f32_e32 v34, v38
	v_sub_f32_e32 v37, v37, v38
	s_delay_alu instid0(VALU_DEP_1) | instskip(NEXT) | instid1(VALU_DEP_1)
	v_dual_add_f32 v39, v35, v32 :: v_dual_add_f32 v36, v36, v37
	v_sub_f32_e32 v35, v35, v39
	s_waitcnt_depctr 0xfff
	v_mul_f32_e32 v40, v39, v34
	s_delay_alu instid0(VALU_DEP_1) | instskip(NEXT) | instid1(VALU_DEP_1)
	v_dual_add_f32 v32, v32, v35 :: v_dual_mul_f32 v41, v38, v40
	v_fma_f32 v37, v40, v38, -v41
	s_delay_alu instid0(VALU_DEP_1) | instskip(NEXT) | instid1(VALU_DEP_1)
	v_fmac_f32_e32 v37, v40, v36
	v_add_f32_e32 v43, v41, v37
	s_delay_alu instid0(VALU_DEP_1) | instskip(SKIP_1) | instid1(VALU_DEP_2)
	v_sub_f32_e32 v44, v39, v43
	v_sub_f32_e32 v35, v43, v41
	;; [unrolled: 1-line block ×3, first 2 shown]
	s_delay_alu instid0(VALU_DEP_2) | instskip(NEXT) | instid1(VALU_DEP_2)
	v_sub_f32_e32 v35, v35, v37
	v_sub_f32_e32 v39, v39, v43
	s_delay_alu instid0(VALU_DEP_1) | instskip(NEXT) | instid1(VALU_DEP_1)
	v_add_f32_e32 v32, v32, v39
	v_add_f32_e32 v32, v35, v32
	s_delay_alu instid0(VALU_DEP_1) | instskip(NEXT) | instid1(VALU_DEP_1)
	v_add_f32_e32 v35, v44, v32
	v_sub_f32_e32 v43, v44, v35
	v_mul_f32_e32 v37, v34, v35
	s_delay_alu instid0(VALU_DEP_1) | instskip(NEXT) | instid1(VALU_DEP_1)
	v_mul_f32_e32 v39, v38, v37
	v_fma_f32 v38, v37, v38, -v39
	s_delay_alu instid0(VALU_DEP_1) | instskip(NEXT) | instid1(VALU_DEP_1)
	v_fmac_f32_e32 v38, v37, v36
	v_add_f32_e32 v36, v39, v38
	s_delay_alu instid0(VALU_DEP_1) | instskip(SKIP_1) | instid1(VALU_DEP_2)
	v_sub_f32_e32 v41, v35, v36
	v_sub_f32_e32 v39, v36, v39
	v_dual_sub_f32 v35, v35, v41 :: v_dual_add_f32 v32, v32, v43
	s_delay_alu instid0(VALU_DEP_1) | instskip(NEXT) | instid1(VALU_DEP_3)
	v_sub_f32_e32 v35, v35, v36
	v_sub_f32_e32 v36, v39, v38
	s_delay_alu instid0(VALU_DEP_2) | instskip(SKIP_1) | instid1(VALU_DEP_2)
	v_add_f32_e32 v32, v32, v35
	v_add_f32_e32 v35, v40, v37
	;; [unrolled: 1-line block ×3, first 2 shown]
	s_delay_alu instid0(VALU_DEP_2) | instskip(NEXT) | instid1(VALU_DEP_2)
	v_sub_f32_e32 v36, v35, v40
	v_add_f32_e32 v32, v41, v32
	s_delay_alu instid0(VALU_DEP_2) | instskip(NEXT) | instid1(VALU_DEP_2)
	v_sub_f32_e32 v36, v37, v36
	v_mul_f32_e32 v32, v34, v32
	s_delay_alu instid0(VALU_DEP_1) | instskip(NEXT) | instid1(VALU_DEP_1)
	v_add_f32_e32 v32, v36, v32
	v_add_f32_e32 v34, v35, v32
	s_delay_alu instid0(VALU_DEP_1) | instskip(NEXT) | instid1(VALU_DEP_1)
	v_mul_f32_e32 v36, v34, v34
	v_fmaak_f32 v37, s35, v36, 0x3ecc95a3
	v_mul_f32_e32 v38, v34, v36
	v_cmp_eq_f32_e64 s35, 0x7f800000, v33
	s_delay_alu instid0(VALU_DEP_3) | instskip(SKIP_1) | instid1(VALU_DEP_3)
	v_fmaak_f32 v36, v36, v37, 0x3f2aaada
	v_ldexp_f32 v37, v34, 1
	s_or_b32 s35, s35, s37
	s_delay_alu instid0(VALU_DEP_2) | instskip(NEXT) | instid1(VALU_DEP_1)
	v_mul_f32_e32 v36, v38, v36
	v_dual_sub_f32 v34, v34, v35 :: v_dual_add_f32 v35, v37, v36
	s_delay_alu instid0(VALU_DEP_1) | instskip(NEXT) | instid1(VALU_DEP_2)
	v_sub_f32_e32 v32, v32, v34
	v_sub_f32_e32 v34, v35, v37
	s_delay_alu instid0(VALU_DEP_2) | instskip(NEXT) | instid1(VALU_DEP_2)
	v_ldexp_f32 v32, v32, 1
	v_sub_f32_e32 v34, v36, v34
	s_delay_alu instid0(VALU_DEP_1) | instskip(NEXT) | instid1(VALU_DEP_1)
	v_add_f32_e32 v32, v32, v34
	v_add_f32_e32 v36, v35, v32
	v_mul_f32_e32 v38, 0x3f317218, v31
	s_delay_alu instid0(VALU_DEP_2) | instskip(NEXT) | instid1(VALU_DEP_2)
	v_sub_f32_e32 v35, v36, v35
	v_fma_f32 v37, 0x3f317218, v31, -v38
	s_delay_alu instid0(VALU_DEP_1) | instskip(NEXT) | instid1(VALU_DEP_1)
	v_dual_sub_f32 v32, v32, v35 :: v_dual_fmamk_f32 v31, v31, 0xb102e308, v37
	v_add_f32_e32 v34, v38, v31
	s_delay_alu instid0(VALU_DEP_1) | instskip(SKIP_1) | instid1(VALU_DEP_2)
	v_add_f32_e32 v37, v34, v36
	v_sub_f32_e32 v38, v34, v38
	v_sub_f32_e32 v39, v37, v34
	s_delay_alu instid0(VALU_DEP_1) | instskip(NEXT) | instid1(VALU_DEP_1)
	v_dual_sub_f32 v31, v31, v38 :: v_dual_sub_f32 v40, v37, v39
	v_dual_sub_f32 v35, v36, v39 :: v_dual_add_f32 v36, v31, v32
	s_delay_alu instid0(VALU_DEP_2) | instskip(NEXT) | instid1(VALU_DEP_1)
	v_sub_f32_e32 v34, v34, v40
	v_dual_add_f32 v34, v35, v34 :: v_dual_sub_f32 v35, v36, v31
	s_delay_alu instid0(VALU_DEP_1) | instskip(NEXT) | instid1(VALU_DEP_2)
	v_add_f32_e32 v34, v36, v34
	v_sub_f32_e32 v36, v36, v35
	v_sub_f32_e32 v32, v32, v35
	s_delay_alu instid0(VALU_DEP_2) | instskip(NEXT) | instid1(VALU_DEP_1)
	v_dual_add_f32 v38, v37, v34 :: v_dual_sub_f32 v31, v31, v36
	v_sub_f32_e32 v35, v38, v37
	s_delay_alu instid0(VALU_DEP_2) | instskip(NEXT) | instid1(VALU_DEP_2)
	v_add_f32_e32 v31, v32, v31
	v_sub_f32_e32 v32, v34, v35
	s_delay_alu instid0(VALU_DEP_1) | instskip(NEXT) | instid1(VALU_DEP_1)
	v_add_f32_e32 v31, v31, v32
	v_add_f32_e32 v31, v38, v31
	s_delay_alu instid0(VALU_DEP_1) | instskip(NEXT) | instid1(VALU_DEP_1)
	v_cndmask_b32_e64 v31, v31, v33, s35
	v_add_f32_e32 v31, v28, v31
.LBB531_68:
	s_or_b32 exec_lo, exec_lo, s36
	s_delay_alu instid0(VALU_DEP_1) | instskip(SKIP_1) | instid1(VALU_DEP_2)
	v_bfe_u32 v28, v31, 16, 1
	v_cmp_o_f32_e64 s35, v31, v31
	v_add3_u32 v28, v31, v28, 0x7fff
	s_delay_alu instid0(VALU_DEP_1) | instskip(NEXT) | instid1(VALU_DEP_1)
	v_and_b32_e32 v32, 0xffff0000, v28
	v_cndmask_b32_e64 v33, 0x7fc00000, v32, s35
	s_delay_alu instid0(VALU_DEP_1) | instskip(SKIP_1) | instid1(VALU_DEP_2)
	v_dual_max_f32 v31, v33, v33 :: v_dual_lshlrev_b32 v28, 16, v6
	v_cmp_u_f32_e64 s35, v33, v33
	v_max_f32_e32 v32, v28, v28
	s_delay_alu instid0(VALU_DEP_1) | instskip(SKIP_1) | instid1(VALU_DEP_2)
	v_min_f32_e32 v34, v31, v32
	v_max_f32_e32 v31, v31, v32
	v_cndmask_b32_e64 v34, v34, v33, s35
	s_delay_alu instid0(VALU_DEP_2) | instskip(SKIP_1) | instid1(VALU_DEP_1)
	v_cndmask_b32_e64 v31, v31, v33, s35
	v_cmp_u_f32_e64 s35, v28, v28
	v_cndmask_b32_e64 v34, v34, v28, s35
	s_delay_alu instid0(VALU_DEP_3) | instskip(NEXT) | instid1(VALU_DEP_2)
	v_cndmask_b32_e64 v31, v31, v28, s35
	v_cmp_class_f32_e64 s37, v34, 0x1f8
	s_delay_alu instid0(VALU_DEP_2) | instskip(NEXT) | instid1(VALU_DEP_1)
	v_cmp_neq_f32_e64 s36, v34, v31
	s_or_b32 s36, s36, s37
	s_delay_alu instid0(SALU_CYCLE_1)
	s_and_saveexec_b32 s37, s36
	s_cbranch_execz .LBB531_70
; %bb.69:
	v_sub_f32_e32 v33, v34, v31
	s_delay_alu instid0(VALU_DEP_1) | instskip(SKIP_1) | instid1(VALU_DEP_2)
	v_mul_f32_e32 v34, 0x3fb8aa3b, v33
	v_cmp_ngt_f32_e64 s36, 0xc2ce8ed0, v33
	v_fma_f32 v35, 0x3fb8aa3b, v33, -v34
	v_rndne_f32_e32 v36, v34
	s_delay_alu instid0(VALU_DEP_1) | instskip(NEXT) | instid1(VALU_DEP_1)
	v_dual_fmamk_f32 v35, v33, 0x32a5705f, v35 :: v_dual_sub_f32 v34, v34, v36
	v_add_f32_e32 v34, v34, v35
	v_cvt_i32_f32_e32 v35, v36
	s_delay_alu instid0(VALU_DEP_2) | instskip(SKIP_2) | instid1(VALU_DEP_1)
	v_exp_f32_e32 v34, v34
	s_waitcnt_depctr 0xfff
	v_ldexp_f32 v34, v34, v35
	v_cndmask_b32_e64 v34, 0, v34, s36
	v_cmp_nlt_f32_e64 s36, 0x42b17218, v33
	s_delay_alu instid0(VALU_DEP_1) | instskip(NEXT) | instid1(VALU_DEP_1)
	v_cndmask_b32_e64 v35, 0x7f800000, v34, s36
	v_add_f32_e32 v36, 1.0, v35
	v_cmp_gt_f32_e64 s38, 0x33800000, |v35|
	s_delay_alu instid0(VALU_DEP_2) | instskip(NEXT) | instid1(VALU_DEP_1)
	v_cvt_f64_f32_e32 v[33:34], v36
	v_frexp_exp_i32_f64_e32 v33, v[33:34]
	v_frexp_mant_f32_e32 v34, v36
	s_delay_alu instid0(VALU_DEP_1) | instskip(SKIP_1) | instid1(VALU_DEP_1)
	v_cmp_gt_f32_e64 s36, 0x3f2aaaab, v34
	v_add_f32_e32 v34, -1.0, v36
	v_sub_f32_e32 v38, v34, v36
	v_sub_f32_e32 v34, v35, v34
	s_delay_alu instid0(VALU_DEP_4) | instskip(SKIP_1) | instid1(VALU_DEP_1)
	v_subrev_co_ci_u32_e64 v33, s36, 0, v33, s36
	s_mov_b32 s36, 0x3e9b6dac
	v_sub_nc_u32_e32 v37, 0, v33
	v_cvt_f32_i32_e32 v33, v33
	s_delay_alu instid0(VALU_DEP_2) | instskip(NEXT) | instid1(VALU_DEP_1)
	v_ldexp_f32 v36, v36, v37
	v_dual_add_f32 v39, 1.0, v36 :: v_dual_add_f32 v38, 1.0, v38
	s_delay_alu instid0(VALU_DEP_1) | instskip(NEXT) | instid1(VALU_DEP_2)
	v_add_f32_e32 v34, v34, v38
	v_add_f32_e32 v38, -1.0, v39
	s_delay_alu instid0(VALU_DEP_2) | instskip(NEXT) | instid1(VALU_DEP_2)
	v_ldexp_f32 v34, v34, v37
	v_dual_add_f32 v37, -1.0, v36 :: v_dual_sub_f32 v38, v36, v38
	s_delay_alu instid0(VALU_DEP_1) | instskip(NEXT) | instid1(VALU_DEP_2)
	v_add_f32_e32 v40, 1.0, v37
	v_add_f32_e32 v38, v34, v38
	s_delay_alu instid0(VALU_DEP_2) | instskip(NEXT) | instid1(VALU_DEP_2)
	v_sub_f32_e32 v36, v36, v40
	v_add_f32_e32 v40, v39, v38
	s_delay_alu instid0(VALU_DEP_2) | instskip(NEXT) | instid1(VALU_DEP_2)
	v_add_f32_e32 v34, v34, v36
	v_rcp_f32_e32 v36, v40
	v_sub_f32_e32 v39, v39, v40
	s_delay_alu instid0(VALU_DEP_1) | instskip(NEXT) | instid1(VALU_DEP_1)
	v_dual_add_f32 v41, v37, v34 :: v_dual_add_f32 v38, v38, v39
	v_sub_f32_e32 v37, v37, v41
	s_waitcnt_depctr 0xfff
	v_dual_mul_f32 v43, v41, v36 :: v_dual_add_f32 v34, v34, v37
	s_delay_alu instid0(VALU_DEP_1) | instskip(NEXT) | instid1(VALU_DEP_1)
	v_mul_f32_e32 v44, v40, v43
	v_fma_f32 v39, v43, v40, -v44
	s_delay_alu instid0(VALU_DEP_1) | instskip(NEXT) | instid1(VALU_DEP_1)
	v_fmac_f32_e32 v39, v43, v38
	v_add_f32_e32 v45, v44, v39
	s_delay_alu instid0(VALU_DEP_1) | instskip(SKIP_1) | instid1(VALU_DEP_2)
	v_sub_f32_e32 v50, v41, v45
	v_sub_f32_e32 v37, v45, v44
	;; [unrolled: 1-line block ×3, first 2 shown]
	s_delay_alu instid0(VALU_DEP_2) | instskip(NEXT) | instid1(VALU_DEP_2)
	v_sub_f32_e32 v37, v37, v39
	v_sub_f32_e32 v41, v41, v45
	s_delay_alu instid0(VALU_DEP_1) | instskip(NEXT) | instid1(VALU_DEP_1)
	v_add_f32_e32 v34, v34, v41
	v_add_f32_e32 v34, v37, v34
	s_delay_alu instid0(VALU_DEP_1) | instskip(NEXT) | instid1(VALU_DEP_1)
	v_add_f32_e32 v37, v50, v34
	v_sub_f32_e32 v45, v50, v37
	v_mul_f32_e32 v39, v36, v37
	s_delay_alu instid0(VALU_DEP_1) | instskip(NEXT) | instid1(VALU_DEP_1)
	v_dual_add_f32 v34, v34, v45 :: v_dual_mul_f32 v41, v40, v39
	v_fma_f32 v40, v39, v40, -v41
	s_delay_alu instid0(VALU_DEP_1) | instskip(NEXT) | instid1(VALU_DEP_1)
	v_fmac_f32_e32 v40, v39, v38
	v_add_f32_e32 v38, v41, v40
	s_delay_alu instid0(VALU_DEP_1) | instskip(NEXT) | instid1(VALU_DEP_1)
	v_dual_sub_f32 v44, v37, v38 :: v_dual_sub_f32 v41, v38, v41
	v_sub_f32_e32 v37, v37, v44
	s_delay_alu instid0(VALU_DEP_1) | instskip(NEXT) | instid1(VALU_DEP_3)
	v_sub_f32_e32 v37, v37, v38
	v_sub_f32_e32 v38, v41, v40
	s_delay_alu instid0(VALU_DEP_2) | instskip(NEXT) | instid1(VALU_DEP_1)
	v_dual_add_f32 v34, v34, v37 :: v_dual_add_f32 v37, v43, v39
	v_add_f32_e32 v34, v38, v34
	s_delay_alu instid0(VALU_DEP_2) | instskip(NEXT) | instid1(VALU_DEP_2)
	v_sub_f32_e32 v38, v37, v43
	v_add_f32_e32 v34, v44, v34
	s_delay_alu instid0(VALU_DEP_2) | instskip(NEXT) | instid1(VALU_DEP_2)
	v_sub_f32_e32 v38, v39, v38
	v_mul_f32_e32 v34, v36, v34
	s_delay_alu instid0(VALU_DEP_1) | instskip(NEXT) | instid1(VALU_DEP_1)
	v_add_f32_e32 v34, v38, v34
	v_add_f32_e32 v36, v37, v34
	s_delay_alu instid0(VALU_DEP_1) | instskip(NEXT) | instid1(VALU_DEP_1)
	v_mul_f32_e32 v38, v36, v36
	v_fmaak_f32 v39, s36, v38, 0x3ecc95a3
	v_mul_f32_e32 v40, v36, v38
	v_cmp_eq_f32_e64 s36, 0x7f800000, v35
	s_delay_alu instid0(VALU_DEP_3) | instskip(SKIP_2) | instid1(VALU_DEP_4)
	v_fmaak_f32 v38, v38, v39, 0x3f2aaada
	v_ldexp_f32 v39, v36, 1
	v_sub_f32_e32 v36, v36, v37
	s_or_b32 s36, s36, s38
	s_delay_alu instid0(VALU_DEP_3) | instskip(NEXT) | instid1(VALU_DEP_1)
	v_mul_f32_e32 v38, v40, v38
	v_dual_sub_f32 v34, v34, v36 :: v_dual_add_f32 v37, v39, v38
	s_delay_alu instid0(VALU_DEP_1) | instskip(NEXT) | instid1(VALU_DEP_2)
	v_ldexp_f32 v34, v34, 1
	v_sub_f32_e32 v36, v37, v39
	s_delay_alu instid0(VALU_DEP_1) | instskip(NEXT) | instid1(VALU_DEP_1)
	v_sub_f32_e32 v36, v38, v36
	v_add_f32_e32 v34, v34, v36
	s_delay_alu instid0(VALU_DEP_1) | instskip(SKIP_1) | instid1(VALU_DEP_2)
	v_add_f32_e32 v38, v37, v34
	v_mul_f32_e32 v40, 0x3f317218, v33
	v_sub_f32_e32 v37, v38, v37
	s_delay_alu instid0(VALU_DEP_2) | instskip(NEXT) | instid1(VALU_DEP_1)
	v_fma_f32 v39, 0x3f317218, v33, -v40
	v_dual_sub_f32 v34, v34, v37 :: v_dual_fmamk_f32 v33, v33, 0xb102e308, v39
	s_delay_alu instid0(VALU_DEP_1) | instskip(NEXT) | instid1(VALU_DEP_1)
	v_add_f32_e32 v36, v40, v33
	v_add_f32_e32 v39, v36, v38
	v_sub_f32_e32 v40, v36, v40
	s_delay_alu instid0(VALU_DEP_2) | instskip(NEXT) | instid1(VALU_DEP_2)
	v_sub_f32_e32 v41, v39, v36
	v_sub_f32_e32 v33, v33, v40
	s_delay_alu instid0(VALU_DEP_2) | instskip(NEXT) | instid1(VALU_DEP_2)
	v_sub_f32_e32 v43, v39, v41
	v_dual_sub_f32 v37, v38, v41 :: v_dual_add_f32 v38, v33, v34
	s_delay_alu instid0(VALU_DEP_2) | instskip(NEXT) | instid1(VALU_DEP_1)
	v_sub_f32_e32 v36, v36, v43
	v_dual_add_f32 v36, v37, v36 :: v_dual_sub_f32 v37, v38, v33
	s_delay_alu instid0(VALU_DEP_1) | instskip(NEXT) | instid1(VALU_DEP_2)
	v_add_f32_e32 v36, v38, v36
	v_sub_f32_e32 v38, v38, v37
	v_sub_f32_e32 v34, v34, v37
	s_delay_alu instid0(VALU_DEP_2) | instskip(NEXT) | instid1(VALU_DEP_1)
	v_dual_add_f32 v40, v39, v36 :: v_dual_sub_f32 v33, v33, v38
	v_sub_f32_e32 v37, v40, v39
	s_delay_alu instid0(VALU_DEP_2) | instskip(NEXT) | instid1(VALU_DEP_2)
	v_add_f32_e32 v33, v34, v33
	v_sub_f32_e32 v34, v36, v37
	s_delay_alu instid0(VALU_DEP_1) | instskip(NEXT) | instid1(VALU_DEP_1)
	v_add_f32_e32 v33, v33, v34
	v_add_f32_e32 v33, v40, v33
	s_delay_alu instid0(VALU_DEP_1) | instskip(NEXT) | instid1(VALU_DEP_1)
	v_cndmask_b32_e64 v33, v33, v35, s36
	v_add_f32_e32 v33, v31, v33
.LBB531_70:
	s_or_b32 exec_lo, exec_lo, s37
	s_delay_alu instid0(VALU_DEP_1) | instskip(SKIP_1) | instid1(VALU_DEP_2)
	v_bfe_u32 v31, v33, 16, 1
	v_cmp_o_f32_e64 s36, v33, v33
	v_add3_u32 v31, v33, v31, 0x7fff
	s_delay_alu instid0(VALU_DEP_1) | instskip(NEXT) | instid1(VALU_DEP_1)
	v_and_b32_e32 v31, 0xffff0000, v31
	v_cndmask_b32_e64 v34, 0x7fc00000, v31, s36
	s_delay_alu instid0(VALU_DEP_1) | instskip(SKIP_2) | instid1(VALU_DEP_2)
	v_max_f32_e32 v31, v34, v34
	v_and_b32_e32 v6, 0xffff0000, v6
	v_cmp_u_f32_e64 s36, v34, v34
	v_max_f32_e32 v33, v6, v6
	s_delay_alu instid0(VALU_DEP_1) | instskip(SKIP_1) | instid1(VALU_DEP_2)
	v_min_f32_e32 v35, v31, v33
	v_max_f32_e32 v31, v31, v33
	v_cndmask_b32_e64 v35, v35, v34, s36
	s_delay_alu instid0(VALU_DEP_2) | instskip(SKIP_1) | instid1(VALU_DEP_1)
	v_cndmask_b32_e64 v31, v31, v34, s36
	v_cmp_u_f32_e64 s36, v6, v6
	v_cndmask_b32_e64 v35, v35, v6, s36
	s_delay_alu instid0(VALU_DEP_3) | instskip(NEXT) | instid1(VALU_DEP_2)
	v_cndmask_b32_e64 v31, v31, v6, s36
	v_cmp_class_f32_e64 s38, v35, 0x1f8
	s_delay_alu instid0(VALU_DEP_2) | instskip(NEXT) | instid1(VALU_DEP_1)
	v_cmp_neq_f32_e64 s37, v35, v31
	s_or_b32 s37, s37, s38
	s_delay_alu instid0(SALU_CYCLE_1)
	s_and_saveexec_b32 s38, s37
	s_cbranch_execz .LBB531_72
; %bb.71:
	v_sub_f32_e32 v34, v35, v31
	s_delay_alu instid0(VALU_DEP_1) | instskip(SKIP_1) | instid1(VALU_DEP_2)
	v_mul_f32_e32 v35, 0x3fb8aa3b, v34
	v_cmp_ngt_f32_e64 s37, 0xc2ce8ed0, v34
	v_fma_f32 v36, 0x3fb8aa3b, v34, -v35
	v_rndne_f32_e32 v37, v35
	s_delay_alu instid0(VALU_DEP_1) | instskip(NEXT) | instid1(VALU_DEP_1)
	v_dual_fmamk_f32 v36, v34, 0x32a5705f, v36 :: v_dual_sub_f32 v35, v35, v37
	v_add_f32_e32 v35, v35, v36
	v_cvt_i32_f32_e32 v36, v37
	s_delay_alu instid0(VALU_DEP_2) | instskip(SKIP_2) | instid1(VALU_DEP_1)
	v_exp_f32_e32 v35, v35
	s_waitcnt_depctr 0xfff
	v_ldexp_f32 v35, v35, v36
	v_cndmask_b32_e64 v35, 0, v35, s37
	v_cmp_nlt_f32_e64 s37, 0x42b17218, v34
	s_delay_alu instid0(VALU_DEP_1) | instskip(NEXT) | instid1(VALU_DEP_1)
	v_cndmask_b32_e64 v36, 0x7f800000, v35, s37
	v_add_f32_e32 v37, 1.0, v36
	v_cmp_gt_f32_e64 s39, 0x33800000, |v36|
	s_delay_alu instid0(VALU_DEP_2) | instskip(NEXT) | instid1(VALU_DEP_1)
	v_cvt_f64_f32_e32 v[34:35], v37
	v_frexp_exp_i32_f64_e32 v34, v[34:35]
	v_frexp_mant_f32_e32 v35, v37
	s_delay_alu instid0(VALU_DEP_1) | instskip(SKIP_1) | instid1(VALU_DEP_1)
	v_cmp_gt_f32_e64 s37, 0x3f2aaaab, v35
	v_add_f32_e32 v35, -1.0, v37
	v_sub_f32_e32 v39, v35, v37
	v_sub_f32_e32 v35, v36, v35
	s_delay_alu instid0(VALU_DEP_4) | instskip(SKIP_1) | instid1(VALU_DEP_1)
	v_subrev_co_ci_u32_e64 v34, s37, 0, v34, s37
	s_mov_b32 s37, 0x3e9b6dac
	v_sub_nc_u32_e32 v38, 0, v34
	v_cvt_f32_i32_e32 v34, v34
	s_delay_alu instid0(VALU_DEP_2) | instskip(NEXT) | instid1(VALU_DEP_1)
	v_ldexp_f32 v37, v37, v38
	v_dual_add_f32 v40, 1.0, v37 :: v_dual_add_f32 v39, 1.0, v39
	s_delay_alu instid0(VALU_DEP_1) | instskip(NEXT) | instid1(VALU_DEP_1)
	v_add_f32_e32 v35, v35, v39
	v_ldexp_f32 v35, v35, v38
	s_delay_alu instid0(VALU_DEP_3) | instskip(NEXT) | instid1(VALU_DEP_1)
	v_dual_add_f32 v38, -1.0, v37 :: v_dual_add_f32 v39, -1.0, v40
	v_add_f32_e32 v41, 1.0, v38
	s_delay_alu instid0(VALU_DEP_2) | instskip(NEXT) | instid1(VALU_DEP_2)
	v_sub_f32_e32 v39, v37, v39
	v_sub_f32_e32 v37, v37, v41
	s_delay_alu instid0(VALU_DEP_2) | instskip(NEXT) | instid1(VALU_DEP_2)
	v_add_f32_e32 v39, v35, v39
	v_add_f32_e32 v35, v35, v37
	s_delay_alu instid0(VALU_DEP_2) | instskip(NEXT) | instid1(VALU_DEP_2)
	v_add_f32_e32 v41, v40, v39
	v_add_f32_e32 v43, v38, v35
	s_delay_alu instid0(VALU_DEP_2) | instskip(SKIP_1) | instid1(VALU_DEP_1)
	v_rcp_f32_e32 v37, v41
	v_sub_f32_e32 v40, v40, v41
	v_dual_sub_f32 v38, v38, v43 :: v_dual_add_f32 v39, v39, v40
	s_delay_alu instid0(VALU_DEP_1) | instskip(SKIP_2) | instid1(VALU_DEP_1)
	v_add_f32_e32 v35, v35, v38
	s_waitcnt_depctr 0xfff
	v_mul_f32_e32 v44, v43, v37
	v_mul_f32_e32 v45, v41, v44
	s_delay_alu instid0(VALU_DEP_1) | instskip(NEXT) | instid1(VALU_DEP_1)
	v_fma_f32 v40, v44, v41, -v45
	v_fmac_f32_e32 v40, v44, v39
	s_delay_alu instid0(VALU_DEP_1) | instskip(NEXT) | instid1(VALU_DEP_1)
	v_add_f32_e32 v50, v45, v40
	v_dual_sub_f32 v51, v43, v50 :: v_dual_sub_f32 v38, v50, v45
	s_delay_alu instid0(VALU_DEP_1) | instskip(NEXT) | instid1(VALU_DEP_1)
	v_dual_sub_f32 v43, v43, v51 :: v_dual_sub_f32 v38, v38, v40
	v_sub_f32_e32 v43, v43, v50
	s_delay_alu instid0(VALU_DEP_1) | instskip(NEXT) | instid1(VALU_DEP_1)
	v_add_f32_e32 v35, v35, v43
	v_add_f32_e32 v35, v38, v35
	s_delay_alu instid0(VALU_DEP_1) | instskip(NEXT) | instid1(VALU_DEP_1)
	v_add_f32_e32 v38, v51, v35
	v_mul_f32_e32 v40, v37, v38
	s_delay_alu instid0(VALU_DEP_1) | instskip(NEXT) | instid1(VALU_DEP_1)
	v_dual_sub_f32 v50, v51, v38 :: v_dual_mul_f32 v43, v41, v40
	v_add_f32_e32 v35, v35, v50
	s_delay_alu instid0(VALU_DEP_2) | instskip(NEXT) | instid1(VALU_DEP_1)
	v_fma_f32 v41, v40, v41, -v43
	v_fmac_f32_e32 v41, v40, v39
	s_delay_alu instid0(VALU_DEP_1) | instskip(NEXT) | instid1(VALU_DEP_1)
	v_add_f32_e32 v39, v43, v41
	v_sub_f32_e32 v45, v38, v39
	s_delay_alu instid0(VALU_DEP_1) | instskip(NEXT) | instid1(VALU_DEP_1)
	v_dual_sub_f32 v43, v39, v43 :: v_dual_sub_f32 v38, v38, v45
	v_dual_sub_f32 v38, v38, v39 :: v_dual_sub_f32 v39, v43, v41
	s_delay_alu instid0(VALU_DEP_1) | instskip(NEXT) | instid1(VALU_DEP_1)
	v_dual_add_f32 v35, v35, v38 :: v_dual_add_f32 v38, v44, v40
	v_add_f32_e32 v35, v39, v35
	s_delay_alu instid0(VALU_DEP_2) | instskip(NEXT) | instid1(VALU_DEP_2)
	v_sub_f32_e32 v39, v38, v44
	v_add_f32_e32 v35, v45, v35
	s_delay_alu instid0(VALU_DEP_2) | instskip(NEXT) | instid1(VALU_DEP_2)
	v_sub_f32_e32 v39, v40, v39
	v_mul_f32_e32 v35, v37, v35
	s_delay_alu instid0(VALU_DEP_1) | instskip(NEXT) | instid1(VALU_DEP_1)
	v_add_f32_e32 v35, v39, v35
	v_add_f32_e32 v37, v38, v35
	s_delay_alu instid0(VALU_DEP_1) | instskip(NEXT) | instid1(VALU_DEP_1)
	v_mul_f32_e32 v39, v37, v37
	v_fmaak_f32 v40, s37, v39, 0x3ecc95a3
	v_mul_f32_e32 v41, v37, v39
	v_cmp_eq_f32_e64 s37, 0x7f800000, v36
	s_delay_alu instid0(VALU_DEP_3) | instskip(SKIP_2) | instid1(VALU_DEP_4)
	v_fmaak_f32 v39, v39, v40, 0x3f2aaada
	v_ldexp_f32 v40, v37, 1
	v_sub_f32_e32 v37, v37, v38
	s_or_b32 s37, s37, s39
	s_delay_alu instid0(VALU_DEP_3) | instskip(SKIP_1) | instid1(VALU_DEP_2)
	v_mul_f32_e32 v39, v41, v39
	v_mul_f32_e32 v41, 0x3f317218, v34
	v_dual_sub_f32 v35, v35, v37 :: v_dual_add_f32 v38, v40, v39
	s_delay_alu instid0(VALU_DEP_1) | instskip(NEXT) | instid1(VALU_DEP_2)
	v_ldexp_f32 v35, v35, 1
	v_sub_f32_e32 v37, v38, v40
	s_delay_alu instid0(VALU_DEP_4) | instskip(NEXT) | instid1(VALU_DEP_1)
	v_fma_f32 v40, 0x3f317218, v34, -v41
	v_dual_sub_f32 v37, v39, v37 :: v_dual_fmamk_f32 v34, v34, 0xb102e308, v40
	s_delay_alu instid0(VALU_DEP_1) | instskip(NEXT) | instid1(VALU_DEP_2)
	v_add_f32_e32 v35, v35, v37
	v_add_f32_e32 v37, v41, v34
	s_delay_alu instid0(VALU_DEP_2) | instskip(NEXT) | instid1(VALU_DEP_2)
	v_add_f32_e32 v39, v38, v35
	v_sub_f32_e32 v41, v37, v41
	s_delay_alu instid0(VALU_DEP_2) | instskip(SKIP_1) | instid1(VALU_DEP_3)
	v_add_f32_e32 v40, v37, v39
	v_sub_f32_e32 v38, v39, v38
	v_sub_f32_e32 v34, v34, v41
	s_delay_alu instid0(VALU_DEP_3) | instskip(NEXT) | instid1(VALU_DEP_3)
	v_sub_f32_e32 v43, v40, v37
	v_sub_f32_e32 v35, v35, v38
	s_delay_alu instid0(VALU_DEP_2) | instskip(SKIP_1) | instid1(VALU_DEP_3)
	v_sub_f32_e32 v38, v39, v43
	v_sub_f32_e32 v44, v40, v43
	v_add_f32_e32 v39, v34, v35
	s_delay_alu instid0(VALU_DEP_2) | instskip(NEXT) | instid1(VALU_DEP_1)
	v_sub_f32_e32 v37, v37, v44
	v_dual_add_f32 v37, v38, v37 :: v_dual_sub_f32 v38, v39, v34
	s_delay_alu instid0(VALU_DEP_1) | instskip(NEXT) | instid1(VALU_DEP_2)
	v_add_f32_e32 v37, v39, v37
	v_sub_f32_e32 v39, v39, v38
	v_sub_f32_e32 v35, v35, v38
	s_delay_alu instid0(VALU_DEP_2) | instskip(NEXT) | instid1(VALU_DEP_1)
	v_dual_add_f32 v41, v40, v37 :: v_dual_sub_f32 v34, v34, v39
	v_sub_f32_e32 v38, v41, v40
	s_delay_alu instid0(VALU_DEP_2) | instskip(NEXT) | instid1(VALU_DEP_2)
	v_add_f32_e32 v34, v35, v34
	v_sub_f32_e32 v35, v37, v38
	s_delay_alu instid0(VALU_DEP_1) | instskip(NEXT) | instid1(VALU_DEP_1)
	v_add_f32_e32 v34, v34, v35
	v_add_f32_e32 v34, v41, v34
	s_delay_alu instid0(VALU_DEP_1) | instskip(NEXT) | instid1(VALU_DEP_1)
	v_cndmask_b32_e64 v34, v34, v36, s37
	v_add_f32_e32 v34, v31, v34
.LBB531_72:
	s_or_b32 exec_lo, exec_lo, s38
	s_delay_alu instid0(VALU_DEP_1) | instskip(SKIP_1) | instid1(VALU_DEP_2)
	v_bfe_u32 v31, v34, 16, 1
	v_cmp_o_f32_e64 s37, v34, v34
	v_add3_u32 v31, v34, v31, 0x7fff
	s_delay_alu instid0(VALU_DEP_1) | instskip(SKIP_1) | instid1(VALU_DEP_2)
	v_and_b32_e32 v35, 0xffff0000, v31
	v_lshlrev_b32_e32 v31, 16, v7
	v_cndmask_b32_e64 v36, 0x7fc00000, v35, s37
	s_delay_alu instid0(VALU_DEP_1) | instskip(SKIP_1) | instid1(VALU_DEP_2)
	v_dual_max_f32 v35, v31, v31 :: v_dual_max_f32 v34, v36, v36
	v_cmp_u_f32_e64 s37, v36, v36
	v_min_f32_e32 v37, v34, v35
	v_max_f32_e32 v34, v34, v35
	s_delay_alu instid0(VALU_DEP_2) | instskip(NEXT) | instid1(VALU_DEP_2)
	v_cndmask_b32_e64 v37, v37, v36, s37
	v_cndmask_b32_e64 v34, v34, v36, s37
	v_cmp_u_f32_e64 s37, v31, v31
	s_delay_alu instid0(VALU_DEP_1) | instskip(NEXT) | instid1(VALU_DEP_3)
	v_cndmask_b32_e64 v37, v37, v31, s37
	v_cndmask_b32_e64 v34, v34, v31, s37
	s_delay_alu instid0(VALU_DEP_2) | instskip(NEXT) | instid1(VALU_DEP_2)
	v_cmp_class_f32_e64 s39, v37, 0x1f8
	v_cmp_neq_f32_e64 s38, v37, v34
	s_delay_alu instid0(VALU_DEP_1) | instskip(NEXT) | instid1(SALU_CYCLE_1)
	s_or_b32 s38, s38, s39
	s_and_saveexec_b32 s39, s38
	s_cbranch_execz .LBB531_74
; %bb.73:
	v_sub_f32_e32 v36, v37, v34
	s_delay_alu instid0(VALU_DEP_1) | instskip(SKIP_1) | instid1(VALU_DEP_2)
	v_mul_f32_e32 v37, 0x3fb8aa3b, v36
	v_cmp_ngt_f32_e64 s38, 0xc2ce8ed0, v36
	v_fma_f32 v38, 0x3fb8aa3b, v36, -v37
	v_rndne_f32_e32 v39, v37
	s_delay_alu instid0(VALU_DEP_1) | instskip(NEXT) | instid1(VALU_DEP_1)
	v_dual_fmamk_f32 v38, v36, 0x32a5705f, v38 :: v_dual_sub_f32 v37, v37, v39
	v_add_f32_e32 v37, v37, v38
	v_cvt_i32_f32_e32 v38, v39
	s_delay_alu instid0(VALU_DEP_2) | instskip(SKIP_2) | instid1(VALU_DEP_1)
	v_exp_f32_e32 v37, v37
	s_waitcnt_depctr 0xfff
	v_ldexp_f32 v37, v37, v38
	v_cndmask_b32_e64 v37, 0, v37, s38
	v_cmp_nlt_f32_e64 s38, 0x42b17218, v36
	s_delay_alu instid0(VALU_DEP_1) | instskip(NEXT) | instid1(VALU_DEP_1)
	v_cndmask_b32_e64 v38, 0x7f800000, v37, s38
	v_add_f32_e32 v39, 1.0, v38
	v_cmp_gt_f32_e64 s40, 0x33800000, |v38|
	s_delay_alu instid0(VALU_DEP_2) | instskip(NEXT) | instid1(VALU_DEP_1)
	v_cvt_f64_f32_e32 v[36:37], v39
	v_frexp_exp_i32_f64_e32 v36, v[36:37]
	v_frexp_mant_f32_e32 v37, v39
	s_delay_alu instid0(VALU_DEP_1) | instskip(SKIP_1) | instid1(VALU_DEP_1)
	v_cmp_gt_f32_e64 s38, 0x3f2aaaab, v37
	v_add_f32_e32 v37, -1.0, v39
	v_sub_f32_e32 v41, v37, v39
	v_sub_f32_e32 v37, v38, v37
	s_delay_alu instid0(VALU_DEP_2) | instskip(NEXT) | instid1(VALU_DEP_1)
	v_add_f32_e32 v41, 1.0, v41
	v_add_f32_e32 v37, v37, v41
	v_subrev_co_ci_u32_e64 v36, s38, 0, v36, s38
	s_mov_b32 s38, 0x3e9b6dac
	s_delay_alu instid0(VALU_DEP_1) | instskip(SKIP_1) | instid1(VALU_DEP_2)
	v_sub_nc_u32_e32 v40, 0, v36
	v_cvt_f32_i32_e32 v36, v36
	v_ldexp_f32 v39, v39, v40
	v_ldexp_f32 v37, v37, v40
	s_delay_alu instid0(VALU_DEP_2) | instskip(SKIP_1) | instid1(VALU_DEP_1)
	v_add_f32_e32 v43, 1.0, v39
	v_add_f32_e32 v40, -1.0, v39
	v_dual_add_f32 v41, -1.0, v43 :: v_dual_add_f32 v44, 1.0, v40
	s_delay_alu instid0(VALU_DEP_1) | instskip(NEXT) | instid1(VALU_DEP_2)
	v_sub_f32_e32 v41, v39, v41
	v_sub_f32_e32 v39, v39, v44
	s_delay_alu instid0(VALU_DEP_2) | instskip(NEXT) | instid1(VALU_DEP_1)
	v_add_f32_e32 v41, v37, v41
	v_add_f32_e32 v44, v43, v41
	s_delay_alu instid0(VALU_DEP_1) | instskip(NEXT) | instid1(VALU_DEP_1)
	v_sub_f32_e32 v43, v43, v44
	v_add_f32_e32 v41, v41, v43
	v_add_f32_e32 v37, v37, v39
	v_rcp_f32_e32 v39, v44
	s_delay_alu instid0(VALU_DEP_1) | instskip(NEXT) | instid1(VALU_DEP_1)
	v_add_f32_e32 v45, v40, v37
	v_sub_f32_e32 v40, v40, v45
	s_waitcnt_depctr 0xfff
	v_mul_f32_e32 v50, v45, v39
	v_add_f32_e32 v37, v37, v40
	s_delay_alu instid0(VALU_DEP_2) | instskip(NEXT) | instid1(VALU_DEP_1)
	v_mul_f32_e32 v51, v44, v50
	v_fma_f32 v43, v50, v44, -v51
	s_delay_alu instid0(VALU_DEP_1) | instskip(NEXT) | instid1(VALU_DEP_1)
	v_fmac_f32_e32 v43, v50, v41
	v_add_f32_e32 v52, v51, v43
	s_delay_alu instid0(VALU_DEP_1) | instskip(NEXT) | instid1(VALU_DEP_1)
	v_dual_sub_f32 v53, v45, v52 :: v_dual_sub_f32 v40, v52, v51
	v_dual_sub_f32 v45, v45, v53 :: v_dual_sub_f32 v40, v40, v43
	s_delay_alu instid0(VALU_DEP_1) | instskip(NEXT) | instid1(VALU_DEP_1)
	v_sub_f32_e32 v45, v45, v52
	v_add_f32_e32 v37, v37, v45
	s_delay_alu instid0(VALU_DEP_1) | instskip(NEXT) | instid1(VALU_DEP_1)
	v_add_f32_e32 v37, v40, v37
	v_add_f32_e32 v40, v53, v37
	s_delay_alu instid0(VALU_DEP_1) | instskip(NEXT) | instid1(VALU_DEP_1)
	v_mul_f32_e32 v43, v39, v40
	v_dual_sub_f32 v52, v53, v40 :: v_dual_mul_f32 v45, v44, v43
	s_delay_alu instid0(VALU_DEP_1) | instskip(NEXT) | instid1(VALU_DEP_2)
	v_add_f32_e32 v37, v37, v52
	v_fma_f32 v44, v43, v44, -v45
	s_delay_alu instid0(VALU_DEP_1) | instskip(NEXT) | instid1(VALU_DEP_1)
	v_fmac_f32_e32 v44, v43, v41
	v_add_f32_e32 v41, v45, v44
	s_delay_alu instid0(VALU_DEP_1) | instskip(NEXT) | instid1(VALU_DEP_1)
	v_sub_f32_e32 v51, v40, v41
	v_dual_sub_f32 v45, v41, v45 :: v_dual_sub_f32 v40, v40, v51
	s_delay_alu instid0(VALU_DEP_1) | instskip(NEXT) | instid1(VALU_DEP_1)
	v_dual_sub_f32 v40, v40, v41 :: v_dual_sub_f32 v41, v45, v44
	v_dual_add_f32 v37, v37, v40 :: v_dual_add_f32 v40, v50, v43
	s_delay_alu instid0(VALU_DEP_1) | instskip(NEXT) | instid1(VALU_DEP_2)
	v_add_f32_e32 v37, v41, v37
	v_sub_f32_e32 v41, v40, v50
	s_delay_alu instid0(VALU_DEP_2) | instskip(NEXT) | instid1(VALU_DEP_2)
	v_add_f32_e32 v37, v51, v37
	v_sub_f32_e32 v41, v43, v41
	s_delay_alu instid0(VALU_DEP_2) | instskip(NEXT) | instid1(VALU_DEP_1)
	v_mul_f32_e32 v37, v39, v37
	v_add_f32_e32 v37, v41, v37
	s_delay_alu instid0(VALU_DEP_1) | instskip(NEXT) | instid1(VALU_DEP_1)
	v_add_f32_e32 v39, v40, v37
	v_mul_f32_e32 v41, v39, v39
	s_delay_alu instid0(VALU_DEP_1) | instskip(SKIP_2) | instid1(VALU_DEP_3)
	v_fmaak_f32 v43, s38, v41, 0x3ecc95a3
	v_mul_f32_e32 v44, v39, v41
	v_cmp_eq_f32_e64 s38, 0x7f800000, v38
	v_fmaak_f32 v41, v41, v43, 0x3f2aaada
	v_ldexp_f32 v43, v39, 1
	v_sub_f32_e32 v39, v39, v40
	s_delay_alu instid0(VALU_DEP_4) | instskip(NEXT) | instid1(VALU_DEP_3)
	s_or_b32 s38, s38, s40
	v_dual_mul_f32 v41, v44, v41 :: v_dual_mul_f32 v44, 0x3f317218, v36
	s_delay_alu instid0(VALU_DEP_1) | instskip(NEXT) | instid1(VALU_DEP_1)
	v_dual_sub_f32 v37, v37, v39 :: v_dual_add_f32 v40, v43, v41
	v_ldexp_f32 v37, v37, 1
	s_delay_alu instid0(VALU_DEP_2) | instskip(NEXT) | instid1(VALU_DEP_4)
	v_sub_f32_e32 v39, v40, v43
	v_fma_f32 v43, 0x3f317218, v36, -v44
	s_delay_alu instid0(VALU_DEP_1) | instskip(NEXT) | instid1(VALU_DEP_1)
	v_dual_sub_f32 v39, v41, v39 :: v_dual_fmamk_f32 v36, v36, 0xb102e308, v43
	v_add_f32_e32 v37, v37, v39
	s_delay_alu instid0(VALU_DEP_2) | instskip(NEXT) | instid1(VALU_DEP_1)
	v_add_f32_e32 v39, v44, v36
	v_dual_add_f32 v41, v40, v37 :: v_dual_sub_f32 v44, v39, v44
	s_delay_alu instid0(VALU_DEP_1) | instskip(NEXT) | instid1(VALU_DEP_1)
	v_dual_add_f32 v43, v39, v41 :: v_dual_sub_f32 v40, v41, v40
	v_dual_sub_f32 v36, v36, v44 :: v_dual_sub_f32 v45, v43, v39
	s_delay_alu instid0(VALU_DEP_1) | instskip(SKIP_1) | instid1(VALU_DEP_2)
	v_dual_sub_f32 v37, v37, v40 :: v_dual_sub_f32 v50, v43, v45
	v_sub_f32_e32 v40, v41, v45
	v_add_f32_e32 v41, v36, v37
	s_delay_alu instid0(VALU_DEP_3) | instskip(NEXT) | instid1(VALU_DEP_1)
	v_sub_f32_e32 v39, v39, v50
	v_dual_add_f32 v39, v40, v39 :: v_dual_sub_f32 v40, v41, v36
	s_delay_alu instid0(VALU_DEP_1) | instskip(NEXT) | instid1(VALU_DEP_2)
	v_add_f32_e32 v39, v41, v39
	v_sub_f32_e32 v41, v41, v40
	s_delay_alu instid0(VALU_DEP_2) | instskip(NEXT) | instid1(VALU_DEP_2)
	v_dual_sub_f32 v37, v37, v40 :: v_dual_add_f32 v44, v43, v39
	v_sub_f32_e32 v36, v36, v41
	s_delay_alu instid0(VALU_DEP_2) | instskip(NEXT) | instid1(VALU_DEP_2)
	v_sub_f32_e32 v40, v44, v43
	v_add_f32_e32 v36, v37, v36
	s_delay_alu instid0(VALU_DEP_2) | instskip(NEXT) | instid1(VALU_DEP_1)
	v_sub_f32_e32 v37, v39, v40
	v_add_f32_e32 v36, v36, v37
	s_delay_alu instid0(VALU_DEP_1) | instskip(NEXT) | instid1(VALU_DEP_1)
	v_add_f32_e32 v36, v44, v36
	v_cndmask_b32_e64 v36, v36, v38, s38
	s_delay_alu instid0(VALU_DEP_1)
	v_add_f32_e32 v36, v34, v36
.LBB531_74:
	s_or_b32 exec_lo, exec_lo, s39
	s_delay_alu instid0(VALU_DEP_1) | instskip(SKIP_1) | instid1(VALU_DEP_2)
	v_bfe_u32 v34, v36, 16, 1
	v_cmp_o_f32_e64 s38, v36, v36
	v_add3_u32 v34, v36, v34, 0x7fff
	s_delay_alu instid0(VALU_DEP_1) | instskip(NEXT) | instid1(VALU_DEP_1)
	v_and_b32_e32 v34, 0xffff0000, v34
	v_cndmask_b32_e64 v37, 0x7fc00000, v34, s38
	s_delay_alu instid0(VALU_DEP_1) | instskip(NEXT) | instid1(VALU_DEP_1)
	v_dual_max_f32 v34, v37, v37 :: v_dual_and_b32 v7, 0xffff0000, v7
	v_max_f32_e32 v36, v7, v7
	v_cmp_u_f32_e64 s38, v37, v37
	s_delay_alu instid0(VALU_DEP_2) | instskip(SKIP_1) | instid1(VALU_DEP_2)
	v_min_f32_e32 v38, v34, v36
	v_max_f32_e32 v34, v34, v36
	v_cndmask_b32_e64 v38, v38, v37, s38
	s_delay_alu instid0(VALU_DEP_2) | instskip(SKIP_1) | instid1(VALU_DEP_1)
	v_cndmask_b32_e64 v34, v34, v37, s38
	v_cmp_u_f32_e64 s38, v7, v7
	v_cndmask_b32_e64 v38, v38, v7, s38
	s_delay_alu instid0(VALU_DEP_3) | instskip(NEXT) | instid1(VALU_DEP_2)
	v_cndmask_b32_e64 v34, v34, v7, s38
	v_cmp_class_f32_e64 s40, v38, 0x1f8
	s_delay_alu instid0(VALU_DEP_2) | instskip(NEXT) | instid1(VALU_DEP_1)
	v_cmp_neq_f32_e64 s39, v38, v34
	s_or_b32 s39, s39, s40
	s_delay_alu instid0(SALU_CYCLE_1)
	s_and_saveexec_b32 s40, s39
	s_cbranch_execz .LBB531_76
; %bb.75:
	v_sub_f32_e32 v37, v38, v34
	s_delay_alu instid0(VALU_DEP_1) | instskip(SKIP_1) | instid1(VALU_DEP_2)
	v_mul_f32_e32 v38, 0x3fb8aa3b, v37
	v_cmp_ngt_f32_e64 s39, 0xc2ce8ed0, v37
	v_fma_f32 v39, 0x3fb8aa3b, v37, -v38
	v_rndne_f32_e32 v40, v38
	s_delay_alu instid0(VALU_DEP_1) | instskip(NEXT) | instid1(VALU_DEP_1)
	v_dual_fmamk_f32 v39, v37, 0x32a5705f, v39 :: v_dual_sub_f32 v38, v38, v40
	v_add_f32_e32 v38, v38, v39
	v_cvt_i32_f32_e32 v39, v40
	s_delay_alu instid0(VALU_DEP_2) | instskip(SKIP_2) | instid1(VALU_DEP_1)
	v_exp_f32_e32 v38, v38
	s_waitcnt_depctr 0xfff
	v_ldexp_f32 v38, v38, v39
	v_cndmask_b32_e64 v38, 0, v38, s39
	v_cmp_nlt_f32_e64 s39, 0x42b17218, v37
	s_delay_alu instid0(VALU_DEP_1) | instskip(NEXT) | instid1(VALU_DEP_1)
	v_cndmask_b32_e64 v39, 0x7f800000, v38, s39
	v_add_f32_e32 v40, 1.0, v39
	v_cmp_gt_f32_e64 s41, 0x33800000, |v39|
	s_delay_alu instid0(VALU_DEP_2) | instskip(NEXT) | instid1(VALU_DEP_1)
	v_cvt_f64_f32_e32 v[37:38], v40
	v_frexp_exp_i32_f64_e32 v37, v[37:38]
	v_frexp_mant_f32_e32 v38, v40
	s_delay_alu instid0(VALU_DEP_1) | instskip(SKIP_1) | instid1(VALU_DEP_1)
	v_cmp_gt_f32_e64 s39, 0x3f2aaaab, v38
	v_add_f32_e32 v38, -1.0, v40
	v_dual_sub_f32 v43, v38, v40 :: v_dual_sub_f32 v38, v39, v38
	s_delay_alu instid0(VALU_DEP_1) | instskip(NEXT) | instid1(VALU_DEP_4)
	v_add_f32_e32 v43, 1.0, v43
	v_subrev_co_ci_u32_e64 v37, s39, 0, v37, s39
	s_mov_b32 s39, 0x3e9b6dac
	s_delay_alu instid0(VALU_DEP_1) | instskip(SKIP_1) | instid1(VALU_DEP_2)
	v_sub_nc_u32_e32 v41, 0, v37
	v_cvt_f32_i32_e32 v37, v37
	v_ldexp_f32 v40, v40, v41
	v_add_f32_e32 v38, v38, v43
	s_delay_alu instid0(VALU_DEP_1) | instskip(NEXT) | instid1(VALU_DEP_3)
	v_ldexp_f32 v38, v38, v41
	v_add_f32_e32 v41, -1.0, v40
	s_delay_alu instid0(VALU_DEP_1) | instskip(NEXT) | instid1(VALU_DEP_1)
	v_dual_add_f32 v44, 1.0, v40 :: v_dual_add_f32 v45, 1.0, v41
	v_add_f32_e32 v43, -1.0, v44
	s_delay_alu instid0(VALU_DEP_1) | instskip(NEXT) | instid1(VALU_DEP_1)
	v_sub_f32_e32 v43, v40, v43
	v_dual_sub_f32 v40, v40, v45 :: v_dual_add_f32 v43, v38, v43
	s_delay_alu instid0(VALU_DEP_1) | instskip(NEXT) | instid1(VALU_DEP_1)
	v_dual_add_f32 v38, v38, v40 :: v_dual_add_f32 v45, v44, v43
	v_rcp_f32_e32 v40, v45
	v_sub_f32_e32 v44, v44, v45
	s_delay_alu instid0(VALU_DEP_1) | instskip(NEXT) | instid1(VALU_DEP_1)
	v_dual_add_f32 v50, v41, v38 :: v_dual_add_f32 v43, v43, v44
	v_sub_f32_e32 v41, v41, v50
	s_waitcnt_depctr 0xfff
	v_mul_f32_e32 v51, v50, v40
	v_add_f32_e32 v38, v38, v41
	s_delay_alu instid0(VALU_DEP_2) | instskip(NEXT) | instid1(VALU_DEP_1)
	v_mul_f32_e32 v52, v45, v51
	v_fma_f32 v44, v51, v45, -v52
	s_delay_alu instid0(VALU_DEP_1) | instskip(NEXT) | instid1(VALU_DEP_1)
	v_fmac_f32_e32 v44, v51, v43
	v_add_f32_e32 v53, v52, v44
	s_delay_alu instid0(VALU_DEP_1) | instskip(NEXT) | instid1(VALU_DEP_1)
	v_sub_f32_e32 v54, v50, v53
	v_dual_sub_f32 v50, v50, v54 :: v_dual_sub_f32 v41, v53, v52
	s_delay_alu instid0(VALU_DEP_1) | instskip(NEXT) | instid1(VALU_DEP_1)
	v_dual_sub_f32 v50, v50, v53 :: v_dual_sub_f32 v41, v41, v44
	v_add_f32_e32 v38, v38, v50
	s_delay_alu instid0(VALU_DEP_1) | instskip(NEXT) | instid1(VALU_DEP_1)
	v_add_f32_e32 v38, v41, v38
	v_add_f32_e32 v41, v54, v38
	s_delay_alu instid0(VALU_DEP_1) | instskip(NEXT) | instid1(VALU_DEP_1)
	v_mul_f32_e32 v44, v40, v41
	v_dual_sub_f32 v53, v54, v41 :: v_dual_mul_f32 v50, v45, v44
	s_delay_alu instid0(VALU_DEP_1) | instskip(NEXT) | instid1(VALU_DEP_2)
	v_add_f32_e32 v38, v38, v53
	v_fma_f32 v45, v44, v45, -v50
	s_delay_alu instid0(VALU_DEP_1) | instskip(NEXT) | instid1(VALU_DEP_1)
	v_fmac_f32_e32 v45, v44, v43
	v_add_f32_e32 v43, v50, v45
	s_delay_alu instid0(VALU_DEP_1) | instskip(SKIP_1) | instid1(VALU_DEP_1)
	v_sub_f32_e32 v50, v43, v50
	v_sub_f32_e32 v52, v41, v43
	;; [unrolled: 1-line block ×3, first 2 shown]
	s_delay_alu instid0(VALU_DEP_1) | instskip(NEXT) | instid1(VALU_DEP_4)
	v_sub_f32_e32 v41, v41, v43
	v_sub_f32_e32 v43, v50, v45
	s_delay_alu instid0(VALU_DEP_2) | instskip(NEXT) | instid1(VALU_DEP_1)
	v_dual_add_f32 v38, v38, v41 :: v_dual_add_f32 v41, v51, v44
	v_dual_add_f32 v38, v43, v38 :: v_dual_sub_f32 v43, v41, v51
	s_delay_alu instid0(VALU_DEP_1) | instskip(NEXT) | instid1(VALU_DEP_2)
	v_add_f32_e32 v38, v52, v38
	v_sub_f32_e32 v43, v44, v43
	s_delay_alu instid0(VALU_DEP_2) | instskip(NEXT) | instid1(VALU_DEP_1)
	v_mul_f32_e32 v38, v40, v38
	v_add_f32_e32 v38, v43, v38
	s_delay_alu instid0(VALU_DEP_1) | instskip(NEXT) | instid1(VALU_DEP_1)
	v_add_f32_e32 v40, v41, v38
	v_mul_f32_e32 v43, v40, v40
	s_delay_alu instid0(VALU_DEP_1) | instskip(SKIP_2) | instid1(VALU_DEP_3)
	v_fmaak_f32 v44, s39, v43, 0x3ecc95a3
	v_mul_f32_e32 v45, v40, v43
	v_cmp_eq_f32_e64 s39, 0x7f800000, v39
	v_fmaak_f32 v43, v43, v44, 0x3f2aaada
	v_ldexp_f32 v44, v40, 1
	v_sub_f32_e32 v40, v40, v41
	s_delay_alu instid0(VALU_DEP_4) | instskip(NEXT) | instid1(VALU_DEP_3)
	s_or_b32 s39, s39, s41
	v_mul_f32_e32 v43, v45, v43
	s_delay_alu instid0(VALU_DEP_2) | instskip(NEXT) | instid1(VALU_DEP_2)
	v_dual_mul_f32 v45, 0x3f317218, v37 :: v_dual_sub_f32 v38, v38, v40
	v_add_f32_e32 v41, v44, v43
	s_delay_alu instid0(VALU_DEP_2) | instskip(NEXT) | instid1(VALU_DEP_2)
	v_ldexp_f32 v38, v38, 1
	v_sub_f32_e32 v40, v41, v44
	s_delay_alu instid0(VALU_DEP_4) | instskip(NEXT) | instid1(VALU_DEP_1)
	v_fma_f32 v44, 0x3f317218, v37, -v45
	v_dual_sub_f32 v40, v43, v40 :: v_dual_fmamk_f32 v37, v37, 0xb102e308, v44
	s_delay_alu instid0(VALU_DEP_1) | instskip(NEXT) | instid1(VALU_DEP_2)
	v_add_f32_e32 v38, v38, v40
	v_add_f32_e32 v40, v45, v37
	s_delay_alu instid0(VALU_DEP_1) | instskip(NEXT) | instid1(VALU_DEP_3)
	v_sub_f32_e32 v45, v40, v45
	v_add_f32_e32 v43, v41, v38
	s_delay_alu instid0(VALU_DEP_1) | instskip(SKIP_1) | instid1(VALU_DEP_1)
	v_dual_sub_f32 v37, v37, v45 :: v_dual_add_f32 v44, v40, v43
	v_sub_f32_e32 v41, v43, v41
	v_sub_f32_e32 v38, v38, v41
	s_delay_alu instid0(VALU_DEP_3) | instskip(NEXT) | instid1(VALU_DEP_1)
	v_sub_f32_e32 v50, v44, v40
	v_sub_f32_e32 v41, v43, v50
	s_delay_alu instid0(VALU_DEP_3) | instskip(SKIP_1) | instid1(VALU_DEP_1)
	v_add_f32_e32 v43, v37, v38
	v_sub_f32_e32 v51, v44, v50
	v_sub_f32_e32 v40, v40, v51
	s_delay_alu instid0(VALU_DEP_1) | instskip(NEXT) | instid1(VALU_DEP_1)
	v_dual_add_f32 v40, v41, v40 :: v_dual_sub_f32 v41, v43, v37
	v_add_f32_e32 v40, v43, v40
	s_delay_alu instid0(VALU_DEP_2) | instskip(NEXT) | instid1(VALU_DEP_1)
	v_sub_f32_e32 v43, v43, v41
	v_sub_f32_e32 v37, v37, v43
	s_delay_alu instid0(VALU_DEP_3) | instskip(NEXT) | instid1(VALU_DEP_1)
	v_dual_add_f32 v45, v44, v40 :: v_dual_sub_f32 v38, v38, v41
	v_sub_f32_e32 v41, v45, v44
	s_delay_alu instid0(VALU_DEP_2) | instskip(NEXT) | instid1(VALU_DEP_2)
	v_add_f32_e32 v37, v38, v37
	v_sub_f32_e32 v38, v40, v41
	s_delay_alu instid0(VALU_DEP_1) | instskip(NEXT) | instid1(VALU_DEP_1)
	v_add_f32_e32 v37, v37, v38
	v_add_f32_e32 v37, v45, v37
	s_delay_alu instid0(VALU_DEP_1) | instskip(NEXT) | instid1(VALU_DEP_1)
	v_cndmask_b32_e64 v37, v37, v39, s39
	v_add_f32_e32 v37, v34, v37
.LBB531_76:
	s_or_b32 exec_lo, exec_lo, s40
	s_delay_alu instid0(VALU_DEP_1) | instskip(SKIP_1) | instid1(VALU_DEP_2)
	v_bfe_u32 v34, v37, 16, 1
	v_cmp_o_f32_e64 s39, v37, v37
	v_add3_u32 v34, v37, v34, 0x7fff
	s_delay_alu instid0(VALU_DEP_1) | instskip(NEXT) | instid1(VALU_DEP_1)
	v_and_b32_e32 v38, 0xffff0000, v34
	v_cndmask_b32_e64 v39, 0x7fc00000, v38, s39
	s_delay_alu instid0(VALU_DEP_1) | instskip(SKIP_1) | instid1(VALU_DEP_2)
	v_dual_max_f32 v37, v39, v39 :: v_dual_lshlrev_b32 v34, 16, v4
	v_cmp_u_f32_e64 s39, v39, v39
	v_max_f32_e32 v38, v34, v34
	s_delay_alu instid0(VALU_DEP_1) | instskip(SKIP_1) | instid1(VALU_DEP_2)
	v_min_f32_e32 v40, v37, v38
	v_max_f32_e32 v37, v37, v38
	v_cndmask_b32_e64 v40, v40, v39, s39
	s_delay_alu instid0(VALU_DEP_2) | instskip(SKIP_1) | instid1(VALU_DEP_1)
	v_cndmask_b32_e64 v37, v37, v39, s39
	v_cmp_u_f32_e64 s39, v34, v34
	v_cndmask_b32_e64 v40, v40, v34, s39
	s_delay_alu instid0(VALU_DEP_3) | instskip(NEXT) | instid1(VALU_DEP_2)
	v_cndmask_b32_e64 v37, v37, v34, s39
	v_cmp_class_f32_e64 s41, v40, 0x1f8
	s_delay_alu instid0(VALU_DEP_2) | instskip(NEXT) | instid1(VALU_DEP_1)
	v_cmp_neq_f32_e64 s40, v40, v37
	s_or_b32 s40, s40, s41
	s_delay_alu instid0(SALU_CYCLE_1)
	s_and_saveexec_b32 s41, s40
	s_cbranch_execz .LBB531_78
; %bb.77:
	v_sub_f32_e32 v39, v40, v37
	s_delay_alu instid0(VALU_DEP_1) | instskip(SKIP_1) | instid1(VALU_DEP_2)
	v_mul_f32_e32 v40, 0x3fb8aa3b, v39
	v_cmp_ngt_f32_e64 s40, 0xc2ce8ed0, v39
	v_fma_f32 v41, 0x3fb8aa3b, v39, -v40
	v_rndne_f32_e32 v43, v40
	s_delay_alu instid0(VALU_DEP_1) | instskip(NEXT) | instid1(VALU_DEP_1)
	v_dual_fmamk_f32 v41, v39, 0x32a5705f, v41 :: v_dual_sub_f32 v40, v40, v43
	v_add_f32_e32 v40, v40, v41
	v_cvt_i32_f32_e32 v41, v43
	s_delay_alu instid0(VALU_DEP_2) | instskip(SKIP_2) | instid1(VALU_DEP_1)
	v_exp_f32_e32 v40, v40
	s_waitcnt_depctr 0xfff
	v_ldexp_f32 v40, v40, v41
	v_cndmask_b32_e64 v40, 0, v40, s40
	v_cmp_nlt_f32_e64 s40, 0x42b17218, v39
	s_delay_alu instid0(VALU_DEP_1) | instskip(NEXT) | instid1(VALU_DEP_1)
	v_cndmask_b32_e64 v41, 0x7f800000, v40, s40
	v_add_f32_e32 v43, 1.0, v41
	v_cmp_gt_f32_e64 s42, 0x33800000, |v41|
	s_delay_alu instid0(VALU_DEP_2) | instskip(NEXT) | instid1(VALU_DEP_1)
	v_cvt_f64_f32_e32 v[39:40], v43
	v_frexp_exp_i32_f64_e32 v39, v[39:40]
	v_frexp_mant_f32_e32 v40, v43
	s_delay_alu instid0(VALU_DEP_1) | instskip(SKIP_1) | instid1(VALU_DEP_1)
	v_cmp_gt_f32_e64 s40, 0x3f2aaaab, v40
	v_add_f32_e32 v40, -1.0, v43
	v_dual_sub_f32 v45, v40, v43 :: v_dual_sub_f32 v40, v41, v40
	s_delay_alu instid0(VALU_DEP_3) | instskip(SKIP_1) | instid1(VALU_DEP_1)
	v_subrev_co_ci_u32_e64 v39, s40, 0, v39, s40
	s_mov_b32 s40, 0x3e9b6dac
	v_sub_nc_u32_e32 v44, 0, v39
	v_cvt_f32_i32_e32 v39, v39
	s_delay_alu instid0(VALU_DEP_2) | instskip(NEXT) | instid1(VALU_DEP_1)
	v_ldexp_f32 v43, v43, v44
	v_dual_add_f32 v45, 1.0, v45 :: v_dual_add_f32 v50, 1.0, v43
	s_delay_alu instid0(VALU_DEP_1) | instskip(NEXT) | instid1(VALU_DEP_1)
	v_dual_add_f32 v40, v40, v45 :: v_dual_add_f32 v45, -1.0, v50
	v_ldexp_f32 v40, v40, v44
	s_delay_alu instid0(VALU_DEP_2) | instskip(NEXT) | instid1(VALU_DEP_1)
	v_dual_add_f32 v44, -1.0, v43 :: v_dual_sub_f32 v45, v43, v45
	v_add_f32_e32 v51, 1.0, v44
	s_delay_alu instid0(VALU_DEP_2) | instskip(NEXT) | instid1(VALU_DEP_2)
	v_add_f32_e32 v45, v40, v45
	v_sub_f32_e32 v43, v43, v51
	s_delay_alu instid0(VALU_DEP_1) | instskip(NEXT) | instid1(VALU_DEP_1)
	v_dual_add_f32 v51, v50, v45 :: v_dual_add_f32 v40, v40, v43
	v_rcp_f32_e32 v43, v51
	v_sub_f32_e32 v50, v50, v51
	s_delay_alu instid0(VALU_DEP_1) | instskip(NEXT) | instid1(VALU_DEP_1)
	v_dual_add_f32 v52, v44, v40 :: v_dual_add_f32 v45, v45, v50
	v_sub_f32_e32 v44, v44, v52
	s_waitcnt_depctr 0xfff
	v_mul_f32_e32 v53, v52, v43
	v_add_f32_e32 v40, v40, v44
	s_delay_alu instid0(VALU_DEP_2) | instskip(NEXT) | instid1(VALU_DEP_1)
	v_mul_f32_e32 v54, v51, v53
	v_fma_f32 v50, v53, v51, -v54
	s_delay_alu instid0(VALU_DEP_1) | instskip(NEXT) | instid1(VALU_DEP_1)
	v_fmac_f32_e32 v50, v53, v45
	v_add_f32_e32 v55, v54, v50
	s_delay_alu instid0(VALU_DEP_1) | instskip(SKIP_1) | instid1(VALU_DEP_2)
	v_sub_f32_e32 v56, v52, v55
	v_sub_f32_e32 v44, v55, v54
	;; [unrolled: 1-line block ×3, first 2 shown]
	s_delay_alu instid0(VALU_DEP_2) | instskip(NEXT) | instid1(VALU_DEP_2)
	v_sub_f32_e32 v44, v44, v50
	v_sub_f32_e32 v52, v52, v55
	s_delay_alu instid0(VALU_DEP_1) | instskip(NEXT) | instid1(VALU_DEP_1)
	v_add_f32_e32 v40, v40, v52
	v_add_f32_e32 v40, v44, v40
	s_delay_alu instid0(VALU_DEP_1) | instskip(NEXT) | instid1(VALU_DEP_1)
	v_add_f32_e32 v44, v56, v40
	v_mul_f32_e32 v50, v43, v44
	s_delay_alu instid0(VALU_DEP_1) | instskip(NEXT) | instid1(VALU_DEP_1)
	v_mul_f32_e32 v52, v51, v50
	v_fma_f32 v51, v50, v51, -v52
	s_delay_alu instid0(VALU_DEP_1) | instskip(SKIP_1) | instid1(VALU_DEP_2)
	v_fmac_f32_e32 v51, v50, v45
	v_sub_f32_e32 v55, v56, v44
	v_add_f32_e32 v45, v52, v51
	s_delay_alu instid0(VALU_DEP_2) | instskip(NEXT) | instid1(VALU_DEP_2)
	v_add_f32_e32 v40, v40, v55
	v_sub_f32_e32 v54, v44, v45
	v_sub_f32_e32 v52, v45, v52
	s_delay_alu instid0(VALU_DEP_2) | instskip(NEXT) | instid1(VALU_DEP_1)
	v_sub_f32_e32 v44, v44, v54
	v_sub_f32_e32 v44, v44, v45
	s_delay_alu instid0(VALU_DEP_3) | instskip(NEXT) | instid1(VALU_DEP_2)
	v_sub_f32_e32 v45, v52, v51
	v_add_f32_e32 v40, v40, v44
	v_add_f32_e32 v44, v53, v50
	s_delay_alu instid0(VALU_DEP_1) | instskip(NEXT) | instid1(VALU_DEP_1)
	v_dual_add_f32 v40, v45, v40 :: v_dual_sub_f32 v45, v44, v53
	v_add_f32_e32 v40, v54, v40
	s_delay_alu instid0(VALU_DEP_1) | instskip(NEXT) | instid1(VALU_DEP_1)
	v_dual_sub_f32 v45, v50, v45 :: v_dual_mul_f32 v40, v43, v40
	v_add_f32_e32 v40, v45, v40
	s_delay_alu instid0(VALU_DEP_1) | instskip(NEXT) | instid1(VALU_DEP_1)
	v_add_f32_e32 v43, v44, v40
	v_mul_f32_e32 v45, v43, v43
	s_delay_alu instid0(VALU_DEP_1) | instskip(SKIP_2) | instid1(VALU_DEP_3)
	v_fmaak_f32 v50, s40, v45, 0x3ecc95a3
	v_mul_f32_e32 v51, v43, v45
	v_cmp_eq_f32_e64 s40, 0x7f800000, v41
	v_fmaak_f32 v45, v45, v50, 0x3f2aaada
	v_ldexp_f32 v50, v43, 1
	v_sub_f32_e32 v43, v43, v44
	s_delay_alu instid0(VALU_DEP_4) | instskip(NEXT) | instid1(VALU_DEP_3)
	s_or_b32 s40, s40, s42
	v_mul_f32_e32 v45, v51, v45
	v_mul_f32_e32 v51, 0x3f317218, v39
	s_delay_alu instid0(VALU_DEP_3) | instskip(NEXT) | instid1(VALU_DEP_3)
	v_sub_f32_e32 v40, v40, v43
	v_add_f32_e32 v44, v50, v45
	s_delay_alu instid0(VALU_DEP_2) | instskip(NEXT) | instid1(VALU_DEP_2)
	v_ldexp_f32 v40, v40, 1
	v_sub_f32_e32 v43, v44, v50
	v_fma_f32 v50, 0x3f317218, v39, -v51
	s_delay_alu instid0(VALU_DEP_2) | instskip(NEXT) | instid1(VALU_DEP_1)
	v_sub_f32_e32 v43, v45, v43
	v_dual_fmamk_f32 v39, v39, 0xb102e308, v50 :: v_dual_add_f32 v40, v40, v43
	s_delay_alu instid0(VALU_DEP_1) | instskip(NEXT) | instid1(VALU_DEP_2)
	v_add_f32_e32 v43, v51, v39
	v_add_f32_e32 v45, v44, v40
	s_delay_alu instid0(VALU_DEP_2) | instskip(NEXT) | instid1(VALU_DEP_2)
	v_sub_f32_e32 v51, v43, v51
	v_add_f32_e32 v50, v43, v45
	s_delay_alu instid0(VALU_DEP_2) | instskip(NEXT) | instid1(VALU_DEP_2)
	v_sub_f32_e32 v39, v39, v51
	v_sub_f32_e32 v52, v50, v43
	v_sub_f32_e32 v44, v45, v44
	s_delay_alu instid0(VALU_DEP_2) | instskip(NEXT) | instid1(VALU_DEP_2)
	v_sub_f32_e32 v53, v50, v52
	v_sub_f32_e32 v40, v40, v44
	s_delay_alu instid0(VALU_DEP_2) | instskip(NEXT) | instid1(VALU_DEP_2)
	v_dual_sub_f32 v44, v45, v52 :: v_dual_sub_f32 v43, v43, v53
	v_add_f32_e32 v45, v39, v40
	s_delay_alu instid0(VALU_DEP_2) | instskip(NEXT) | instid1(VALU_DEP_2)
	v_add_f32_e32 v43, v44, v43
	v_sub_f32_e32 v44, v45, v39
	s_delay_alu instid0(VALU_DEP_2) | instskip(NEXT) | instid1(VALU_DEP_2)
	v_add_f32_e32 v43, v45, v43
	v_sub_f32_e32 v45, v45, v44
	s_delay_alu instid0(VALU_DEP_2) | instskip(NEXT) | instid1(VALU_DEP_2)
	v_dual_sub_f32 v40, v40, v44 :: v_dual_add_f32 v51, v50, v43
	v_sub_f32_e32 v39, v39, v45
	s_delay_alu instid0(VALU_DEP_1) | instskip(NEXT) | instid1(VALU_DEP_1)
	v_dual_sub_f32 v44, v51, v50 :: v_dual_add_f32 v39, v40, v39
	v_sub_f32_e32 v40, v43, v44
	s_delay_alu instid0(VALU_DEP_1) | instskip(NEXT) | instid1(VALU_DEP_1)
	v_add_f32_e32 v39, v39, v40
	v_add_f32_e32 v39, v51, v39
	s_delay_alu instid0(VALU_DEP_1) | instskip(NEXT) | instid1(VALU_DEP_1)
	v_cndmask_b32_e64 v39, v39, v41, s40
	v_add_f32_e32 v39, v37, v39
.LBB531_78:
	s_or_b32 exec_lo, exec_lo, s41
	s_delay_alu instid0(VALU_DEP_1) | instskip(SKIP_1) | instid1(VALU_DEP_2)
	v_bfe_u32 v37, v39, 16, 1
	v_cmp_o_f32_e64 s40, v39, v39
	v_add3_u32 v37, v39, v37, 0x7fff
	s_delay_alu instid0(VALU_DEP_1) | instskip(NEXT) | instid1(VALU_DEP_1)
	v_and_b32_e32 v37, 0xffff0000, v37
	v_cndmask_b32_e64 v40, 0x7fc00000, v37, s40
	s_delay_alu instid0(VALU_DEP_1) | instskip(SKIP_2) | instid1(VALU_DEP_2)
	v_max_f32_e32 v37, v40, v40
	v_and_b32_e32 v4, 0xffff0000, v4
	v_cmp_u_f32_e64 s40, v40, v40
	v_max_f32_e32 v39, v4, v4
	s_delay_alu instid0(VALU_DEP_1) | instskip(SKIP_1) | instid1(VALU_DEP_2)
	v_min_f32_e32 v41, v37, v39
	v_max_f32_e32 v37, v37, v39
	v_cndmask_b32_e64 v41, v41, v40, s40
	s_delay_alu instid0(VALU_DEP_2) | instskip(SKIP_1) | instid1(VALU_DEP_1)
	v_cndmask_b32_e64 v37, v37, v40, s40
	v_cmp_u_f32_e64 s40, v4, v4
	v_cndmask_b32_e64 v41, v41, v4, s40
	s_delay_alu instid0(VALU_DEP_3) | instskip(NEXT) | instid1(VALU_DEP_2)
	v_cndmask_b32_e64 v37, v37, v4, s40
	v_cmp_class_f32_e64 s42, v41, 0x1f8
	s_delay_alu instid0(VALU_DEP_2) | instskip(NEXT) | instid1(VALU_DEP_1)
	v_cmp_neq_f32_e64 s41, v41, v37
	s_or_b32 s41, s41, s42
	s_delay_alu instid0(SALU_CYCLE_1)
	s_and_saveexec_b32 s42, s41
	s_cbranch_execz .LBB531_80
; %bb.79:
	v_sub_f32_e32 v40, v41, v37
	s_delay_alu instid0(VALU_DEP_1) | instskip(SKIP_1) | instid1(VALU_DEP_2)
	v_mul_f32_e32 v41, 0x3fb8aa3b, v40
	v_cmp_ngt_f32_e64 s41, 0xc2ce8ed0, v40
	v_fma_f32 v43, 0x3fb8aa3b, v40, -v41
	v_rndne_f32_e32 v44, v41
	s_delay_alu instid0(VALU_DEP_2) | instskip(NEXT) | instid1(VALU_DEP_2)
	v_fmamk_f32 v43, v40, 0x32a5705f, v43
	v_sub_f32_e32 v41, v41, v44
	s_delay_alu instid0(VALU_DEP_1) | instskip(SKIP_1) | instid1(VALU_DEP_2)
	v_add_f32_e32 v41, v41, v43
	v_cvt_i32_f32_e32 v43, v44
	v_exp_f32_e32 v41, v41
	s_waitcnt_depctr 0xfff
	v_ldexp_f32 v41, v41, v43
	s_delay_alu instid0(VALU_DEP_1) | instskip(SKIP_1) | instid1(VALU_DEP_1)
	v_cndmask_b32_e64 v41, 0, v41, s41
	v_cmp_nlt_f32_e64 s41, 0x42b17218, v40
	v_cndmask_b32_e64 v43, 0x7f800000, v41, s41
	s_delay_alu instid0(VALU_DEP_1) | instskip(SKIP_1) | instid1(VALU_DEP_2)
	v_add_f32_e32 v44, 1.0, v43
	v_cmp_gt_f32_e64 s43, 0x33800000, |v43|
	v_cvt_f64_f32_e32 v[40:41], v44
	s_delay_alu instid0(VALU_DEP_1) | instskip(SKIP_1) | instid1(VALU_DEP_1)
	v_frexp_exp_i32_f64_e32 v40, v[40:41]
	v_frexp_mant_f32_e32 v41, v44
	v_cmp_gt_f32_e64 s41, 0x3f2aaaab, v41
	v_add_f32_e32 v41, -1.0, v44
	s_delay_alu instid0(VALU_DEP_1) | instskip(NEXT) | instid1(VALU_DEP_1)
	v_sub_f32_e32 v50, v41, v44
	v_add_f32_e32 v50, 1.0, v50
	s_delay_alu instid0(VALU_DEP_4) | instskip(SKIP_1) | instid1(VALU_DEP_1)
	v_subrev_co_ci_u32_e64 v40, s41, 0, v40, s41
	s_mov_b32 s41, 0x3e9b6dac
	v_sub_nc_u32_e32 v45, 0, v40
	v_cvt_f32_i32_e32 v40, v40
	s_delay_alu instid0(VALU_DEP_2) | instskip(NEXT) | instid1(VALU_DEP_1)
	v_ldexp_f32 v44, v44, v45
	v_add_f32_e32 v51, 1.0, v44
	v_sub_f32_e32 v41, v43, v41
	s_delay_alu instid0(VALU_DEP_1) | instskip(NEXT) | instid1(VALU_DEP_1)
	v_add_f32_e32 v41, v41, v50
	v_ldexp_f32 v41, v41, v45
	v_add_f32_e32 v45, -1.0, v44
	s_delay_alu instid0(VALU_DEP_1) | instskip(SKIP_1) | instid1(VALU_DEP_1)
	v_add_f32_e32 v52, 1.0, v45
	v_add_f32_e32 v50, -1.0, v51
	v_sub_f32_e32 v50, v44, v50
	s_delay_alu instid0(VALU_DEP_3) | instskip(NEXT) | instid1(VALU_DEP_2)
	v_sub_f32_e32 v44, v44, v52
	v_add_f32_e32 v50, v41, v50
	s_delay_alu instid0(VALU_DEP_1) | instskip(NEXT) | instid1(VALU_DEP_1)
	v_dual_add_f32 v41, v41, v44 :: v_dual_add_f32 v52, v51, v50
	v_rcp_f32_e32 v44, v52
	v_sub_f32_e32 v51, v51, v52
	s_delay_alu instid0(VALU_DEP_1) | instskip(NEXT) | instid1(VALU_DEP_1)
	v_dual_add_f32 v53, v45, v41 :: v_dual_add_f32 v50, v50, v51
	v_sub_f32_e32 v45, v45, v53
	s_waitcnt_depctr 0xfff
	v_mul_f32_e32 v54, v53, v44
	v_add_f32_e32 v41, v41, v45
	s_delay_alu instid0(VALU_DEP_2) | instskip(NEXT) | instid1(VALU_DEP_1)
	v_mul_f32_e32 v55, v52, v54
	v_fma_f32 v51, v54, v52, -v55
	s_delay_alu instid0(VALU_DEP_1) | instskip(NEXT) | instid1(VALU_DEP_1)
	v_fmac_f32_e32 v51, v54, v50
	v_add_f32_e32 v56, v55, v51
	s_delay_alu instid0(VALU_DEP_1) | instskip(SKIP_1) | instid1(VALU_DEP_2)
	v_sub_f32_e32 v57, v53, v56
	v_sub_f32_e32 v45, v56, v55
	v_sub_f32_e32 v53, v53, v57
	s_delay_alu instid0(VALU_DEP_2) | instskip(NEXT) | instid1(VALU_DEP_2)
	v_sub_f32_e32 v45, v45, v51
	v_sub_f32_e32 v53, v53, v56
	s_delay_alu instid0(VALU_DEP_1) | instskip(NEXT) | instid1(VALU_DEP_1)
	v_add_f32_e32 v41, v41, v53
	v_add_f32_e32 v41, v45, v41
	s_delay_alu instid0(VALU_DEP_1) | instskip(NEXT) | instid1(VALU_DEP_1)
	v_add_f32_e32 v45, v57, v41
	v_mul_f32_e32 v51, v44, v45
	s_delay_alu instid0(VALU_DEP_1) | instskip(NEXT) | instid1(VALU_DEP_1)
	v_mul_f32_e32 v53, v52, v51
	v_fma_f32 v52, v51, v52, -v53
	s_delay_alu instid0(VALU_DEP_1) | instskip(SKIP_1) | instid1(VALU_DEP_2)
	v_fmac_f32_e32 v52, v51, v50
	v_sub_f32_e32 v56, v57, v45
	v_add_f32_e32 v50, v53, v52
	s_delay_alu instid0(VALU_DEP_2) | instskip(NEXT) | instid1(VALU_DEP_2)
	v_add_f32_e32 v41, v41, v56
	v_sub_f32_e32 v55, v45, v50
	v_sub_f32_e32 v53, v50, v53
	s_delay_alu instid0(VALU_DEP_2) | instskip(NEXT) | instid1(VALU_DEP_1)
	v_sub_f32_e32 v45, v45, v55
	v_sub_f32_e32 v45, v45, v50
	s_delay_alu instid0(VALU_DEP_3) | instskip(NEXT) | instid1(VALU_DEP_2)
	v_sub_f32_e32 v50, v53, v52
	v_add_f32_e32 v41, v41, v45
	v_add_f32_e32 v45, v54, v51
	s_delay_alu instid0(VALU_DEP_1) | instskip(NEXT) | instid1(VALU_DEP_1)
	v_dual_add_f32 v41, v50, v41 :: v_dual_sub_f32 v50, v45, v54
	v_add_f32_e32 v41, v55, v41
	s_delay_alu instid0(VALU_DEP_1) | instskip(NEXT) | instid1(VALU_DEP_1)
	v_dual_sub_f32 v50, v51, v50 :: v_dual_mul_f32 v41, v44, v41
	v_add_f32_e32 v41, v50, v41
	s_delay_alu instid0(VALU_DEP_1) | instskip(NEXT) | instid1(VALU_DEP_1)
	v_add_f32_e32 v44, v45, v41
	v_mul_f32_e32 v50, v44, v44
	s_delay_alu instid0(VALU_DEP_1) | instskip(SKIP_2) | instid1(VALU_DEP_3)
	v_fmaak_f32 v51, s41, v50, 0x3ecc95a3
	v_mul_f32_e32 v52, v44, v50
	v_cmp_eq_f32_e64 s41, 0x7f800000, v43
	v_fmaak_f32 v50, v50, v51, 0x3f2aaada
	v_ldexp_f32 v51, v44, 1
	v_sub_f32_e32 v44, v44, v45
	s_delay_alu instid0(VALU_DEP_4) | instskip(NEXT) | instid1(VALU_DEP_3)
	s_or_b32 s41, s41, s43
	v_mul_f32_e32 v50, v52, v50
	v_mul_f32_e32 v52, 0x3f317218, v40
	s_delay_alu instid0(VALU_DEP_3) | instskip(NEXT) | instid1(VALU_DEP_3)
	v_sub_f32_e32 v41, v41, v44
	v_add_f32_e32 v45, v51, v50
	s_delay_alu instid0(VALU_DEP_2) | instskip(NEXT) | instid1(VALU_DEP_2)
	v_ldexp_f32 v41, v41, 1
	v_sub_f32_e32 v44, v45, v51
	v_fma_f32 v51, 0x3f317218, v40, -v52
	s_delay_alu instid0(VALU_DEP_2) | instskip(NEXT) | instid1(VALU_DEP_1)
	v_sub_f32_e32 v44, v50, v44
	v_dual_fmamk_f32 v40, v40, 0xb102e308, v51 :: v_dual_add_f32 v41, v41, v44
	s_delay_alu instid0(VALU_DEP_1) | instskip(NEXT) | instid1(VALU_DEP_2)
	v_add_f32_e32 v44, v52, v40
	v_add_f32_e32 v50, v45, v41
	s_delay_alu instid0(VALU_DEP_2) | instskip(NEXT) | instid1(VALU_DEP_2)
	v_sub_f32_e32 v52, v44, v52
	v_add_f32_e32 v51, v44, v50
	s_delay_alu instid0(VALU_DEP_2) | instskip(NEXT) | instid1(VALU_DEP_2)
	v_dual_sub_f32 v45, v50, v45 :: v_dual_sub_f32 v40, v40, v52
	v_sub_f32_e32 v53, v51, v44
	s_delay_alu instid0(VALU_DEP_2) | instskip(NEXT) | instid1(VALU_DEP_2)
	v_sub_f32_e32 v41, v41, v45
	v_sub_f32_e32 v54, v51, v53
	;; [unrolled: 1-line block ×3, first 2 shown]
	s_delay_alu instid0(VALU_DEP_3) | instskip(NEXT) | instid1(VALU_DEP_3)
	v_add_f32_e32 v50, v40, v41
	v_sub_f32_e32 v44, v44, v54
	s_delay_alu instid0(VALU_DEP_1) | instskip(NEXT) | instid1(VALU_DEP_3)
	v_add_f32_e32 v44, v45, v44
	v_sub_f32_e32 v45, v50, v40
	s_delay_alu instid0(VALU_DEP_2) | instskip(NEXT) | instid1(VALU_DEP_2)
	v_add_f32_e32 v44, v50, v44
	v_sub_f32_e32 v50, v50, v45
	s_delay_alu instid0(VALU_DEP_1) | instskip(NEXT) | instid1(VALU_DEP_1)
	v_dual_sub_f32 v41, v41, v45 :: v_dual_sub_f32 v40, v40, v50
	v_add_f32_e32 v40, v41, v40
	s_delay_alu instid0(VALU_DEP_4) | instskip(NEXT) | instid1(VALU_DEP_1)
	v_add_f32_e32 v52, v51, v44
	v_sub_f32_e32 v45, v52, v51
	s_delay_alu instid0(VALU_DEP_1) | instskip(NEXT) | instid1(VALU_DEP_1)
	v_sub_f32_e32 v41, v44, v45
	v_add_f32_e32 v40, v40, v41
	s_delay_alu instid0(VALU_DEP_1) | instskip(NEXT) | instid1(VALU_DEP_1)
	v_add_f32_e32 v40, v52, v40
	v_cndmask_b32_e64 v40, v40, v43, s41
	s_delay_alu instid0(VALU_DEP_1)
	v_add_f32_e32 v40, v37, v40
.LBB531_80:
	s_or_b32 exec_lo, exec_lo, s42
	s_delay_alu instid0(VALU_DEP_1) | instskip(SKIP_1) | instid1(VALU_DEP_2)
	v_bfe_u32 v37, v40, 16, 1
	v_cmp_o_f32_e64 s41, v40, v40
	v_add3_u32 v37, v40, v37, 0x7fff
	s_delay_alu instid0(VALU_DEP_1) | instskip(SKIP_1) | instid1(VALU_DEP_2)
	v_and_b32_e32 v41, 0xffff0000, v37
	v_lshlrev_b32_e32 v37, 16, v5
	v_cndmask_b32_e64 v43, 0x7fc00000, v41, s41
	s_delay_alu instid0(VALU_DEP_1) | instskip(SKIP_1) | instid1(VALU_DEP_2)
	v_dual_max_f32 v41, v37, v37 :: v_dual_max_f32 v40, v43, v43
	v_cmp_u_f32_e64 s41, v43, v43
	v_min_f32_e32 v44, v40, v41
	v_max_f32_e32 v40, v40, v41
	s_delay_alu instid0(VALU_DEP_2) | instskip(NEXT) | instid1(VALU_DEP_2)
	v_cndmask_b32_e64 v44, v44, v43, s41
	v_cndmask_b32_e64 v40, v40, v43, s41
	v_cmp_u_f32_e64 s41, v37, v37
	s_delay_alu instid0(VALU_DEP_1) | instskip(NEXT) | instid1(VALU_DEP_3)
	v_cndmask_b32_e64 v44, v44, v37, s41
	v_cndmask_b32_e64 v40, v40, v37, s41
	s_delay_alu instid0(VALU_DEP_2) | instskip(NEXT) | instid1(VALU_DEP_2)
	v_cmp_class_f32_e64 s43, v44, 0x1f8
	v_cmp_neq_f32_e64 s42, v44, v40
	s_delay_alu instid0(VALU_DEP_1) | instskip(NEXT) | instid1(SALU_CYCLE_1)
	s_or_b32 s42, s42, s43
	s_and_saveexec_b32 s43, s42
	s_cbranch_execz .LBB531_82
; %bb.81:
	v_sub_f32_e32 v43, v44, v40
	s_delay_alu instid0(VALU_DEP_1) | instskip(SKIP_1) | instid1(VALU_DEP_2)
	v_mul_f32_e32 v44, 0x3fb8aa3b, v43
	v_cmp_ngt_f32_e64 s42, 0xc2ce8ed0, v43
	v_fma_f32 v45, 0x3fb8aa3b, v43, -v44
	v_rndne_f32_e32 v50, v44
	s_delay_alu instid0(VALU_DEP_1) | instskip(NEXT) | instid1(VALU_DEP_1)
	v_dual_fmamk_f32 v45, v43, 0x32a5705f, v45 :: v_dual_sub_f32 v44, v44, v50
	v_add_f32_e32 v44, v44, v45
	v_cvt_i32_f32_e32 v45, v50
	s_delay_alu instid0(VALU_DEP_2) | instskip(SKIP_2) | instid1(VALU_DEP_1)
	v_exp_f32_e32 v44, v44
	s_waitcnt_depctr 0xfff
	v_ldexp_f32 v44, v44, v45
	v_cndmask_b32_e64 v44, 0, v44, s42
	v_cmp_nlt_f32_e64 s42, 0x42b17218, v43
	s_delay_alu instid0(VALU_DEP_1) | instskip(NEXT) | instid1(VALU_DEP_1)
	v_cndmask_b32_e64 v45, 0x7f800000, v44, s42
	v_add_f32_e32 v50, 1.0, v45
	v_cmp_gt_f32_e64 s44, 0x33800000, |v45|
	s_delay_alu instid0(VALU_DEP_2) | instskip(NEXT) | instid1(VALU_DEP_1)
	v_cvt_f64_f32_e32 v[43:44], v50
	v_frexp_exp_i32_f64_e32 v43, v[43:44]
	v_frexp_mant_f32_e32 v44, v50
	s_delay_alu instid0(VALU_DEP_1) | instskip(SKIP_1) | instid1(VALU_DEP_1)
	v_cmp_gt_f32_e64 s42, 0x3f2aaaab, v44
	v_add_f32_e32 v44, -1.0, v50
	v_sub_f32_e32 v52, v44, v50
	v_sub_f32_e32 v44, v45, v44
	s_delay_alu instid0(VALU_DEP_4) | instskip(SKIP_1) | instid1(VALU_DEP_1)
	v_subrev_co_ci_u32_e64 v43, s42, 0, v43, s42
	s_mov_b32 s42, 0x3e9b6dac
	v_sub_nc_u32_e32 v51, 0, v43
	v_cvt_f32_i32_e32 v43, v43
	s_delay_alu instid0(VALU_DEP_2) | instskip(NEXT) | instid1(VALU_DEP_1)
	v_ldexp_f32 v50, v50, v51
	v_dual_add_f32 v53, 1.0, v50 :: v_dual_add_f32 v52, 1.0, v52
	s_delay_alu instid0(VALU_DEP_1) | instskip(NEXT) | instid1(VALU_DEP_2)
	v_add_f32_e32 v44, v44, v52
	v_add_f32_e32 v52, -1.0, v53
	s_delay_alu instid0(VALU_DEP_2) | instskip(NEXT) | instid1(VALU_DEP_2)
	v_ldexp_f32 v44, v44, v51
	v_dual_add_f32 v51, -1.0, v50 :: v_dual_sub_f32 v52, v50, v52
	s_delay_alu instid0(VALU_DEP_1) | instskip(NEXT) | instid1(VALU_DEP_2)
	v_add_f32_e32 v54, 1.0, v51
	v_add_f32_e32 v52, v44, v52
	s_delay_alu instid0(VALU_DEP_2) | instskip(NEXT) | instid1(VALU_DEP_2)
	v_sub_f32_e32 v50, v50, v54
	v_add_f32_e32 v54, v53, v52
	s_delay_alu instid0(VALU_DEP_2) | instskip(NEXT) | instid1(VALU_DEP_2)
	v_add_f32_e32 v44, v44, v50
	v_rcp_f32_e32 v50, v54
	v_sub_f32_e32 v53, v53, v54
	s_delay_alu instid0(VALU_DEP_1) | instskip(NEXT) | instid1(VALU_DEP_1)
	v_dual_add_f32 v55, v51, v44 :: v_dual_add_f32 v52, v52, v53
	v_sub_f32_e32 v51, v51, v55
	s_waitcnt_depctr 0xfff
	v_mul_f32_e32 v56, v55, v50
	s_delay_alu instid0(VALU_DEP_1) | instskip(NEXT) | instid1(VALU_DEP_1)
	v_dual_add_f32 v44, v44, v51 :: v_dual_mul_f32 v57, v54, v56
	v_fma_f32 v53, v56, v54, -v57
	s_delay_alu instid0(VALU_DEP_1) | instskip(NEXT) | instid1(VALU_DEP_1)
	v_fmac_f32_e32 v53, v56, v52
	v_add_f32_e32 v58, v57, v53
	s_delay_alu instid0(VALU_DEP_1) | instskip(SKIP_1) | instid1(VALU_DEP_2)
	v_sub_f32_e32 v59, v55, v58
	v_sub_f32_e32 v51, v58, v57
	;; [unrolled: 1-line block ×3, first 2 shown]
	s_delay_alu instid0(VALU_DEP_2) | instskip(NEXT) | instid1(VALU_DEP_2)
	v_sub_f32_e32 v51, v51, v53
	v_sub_f32_e32 v55, v55, v58
	s_delay_alu instid0(VALU_DEP_1) | instskip(NEXT) | instid1(VALU_DEP_1)
	v_add_f32_e32 v44, v44, v55
	v_add_f32_e32 v44, v51, v44
	s_delay_alu instid0(VALU_DEP_1) | instskip(NEXT) | instid1(VALU_DEP_1)
	v_add_f32_e32 v51, v59, v44
	v_mul_f32_e32 v53, v50, v51
	s_delay_alu instid0(VALU_DEP_1) | instskip(NEXT) | instid1(VALU_DEP_1)
	v_dual_sub_f32 v58, v59, v51 :: v_dual_mul_f32 v55, v54, v53
	v_add_f32_e32 v44, v44, v58
	s_delay_alu instid0(VALU_DEP_2) | instskip(NEXT) | instid1(VALU_DEP_1)
	v_fma_f32 v54, v53, v54, -v55
	v_fmac_f32_e32 v54, v53, v52
	s_delay_alu instid0(VALU_DEP_1) | instskip(NEXT) | instid1(VALU_DEP_1)
	v_add_f32_e32 v52, v55, v54
	v_sub_f32_e32 v57, v51, v52
	v_sub_f32_e32 v55, v52, v55
	s_delay_alu instid0(VALU_DEP_2) | instskip(NEXT) | instid1(VALU_DEP_1)
	v_sub_f32_e32 v51, v51, v57
	v_sub_f32_e32 v51, v51, v52
	s_delay_alu instid0(VALU_DEP_3) | instskip(NEXT) | instid1(VALU_DEP_2)
	v_sub_f32_e32 v52, v55, v54
	v_add_f32_e32 v44, v44, v51
	v_add_f32_e32 v51, v56, v53
	s_delay_alu instid0(VALU_DEP_2) | instskip(NEXT) | instid1(VALU_DEP_2)
	v_add_f32_e32 v44, v52, v44
	v_sub_f32_e32 v52, v51, v56
	s_delay_alu instid0(VALU_DEP_2) | instskip(NEXT) | instid1(VALU_DEP_2)
	v_add_f32_e32 v44, v57, v44
	v_sub_f32_e32 v52, v53, v52
	s_delay_alu instid0(VALU_DEP_2) | instskip(NEXT) | instid1(VALU_DEP_1)
	v_mul_f32_e32 v44, v50, v44
	v_add_f32_e32 v44, v52, v44
	s_delay_alu instid0(VALU_DEP_1) | instskip(NEXT) | instid1(VALU_DEP_1)
	v_add_f32_e32 v50, v51, v44
	v_mul_f32_e32 v52, v50, v50
	s_delay_alu instid0(VALU_DEP_1) | instskip(SKIP_2) | instid1(VALU_DEP_3)
	v_fmaak_f32 v53, s42, v52, 0x3ecc95a3
	v_mul_f32_e32 v54, v50, v52
	v_cmp_eq_f32_e64 s42, 0x7f800000, v45
	v_fmaak_f32 v52, v52, v53, 0x3f2aaada
	v_ldexp_f32 v53, v50, 1
	v_sub_f32_e32 v50, v50, v51
	s_delay_alu instid0(VALU_DEP_4) | instskip(NEXT) | instid1(VALU_DEP_3)
	s_or_b32 s42, s42, s44
	v_mul_f32_e32 v52, v54, v52
	v_mul_f32_e32 v54, 0x3f317218, v43
	s_delay_alu instid0(VALU_DEP_2) | instskip(NEXT) | instid1(VALU_DEP_1)
	v_dual_sub_f32 v44, v44, v50 :: v_dual_add_f32 v51, v53, v52
	v_ldexp_f32 v44, v44, 1
	s_delay_alu instid0(VALU_DEP_2) | instskip(NEXT) | instid1(VALU_DEP_4)
	v_sub_f32_e32 v50, v51, v53
	v_fma_f32 v53, 0x3f317218, v43, -v54
	s_delay_alu instid0(VALU_DEP_1) | instskip(NEXT) | instid1(VALU_DEP_1)
	v_dual_sub_f32 v50, v52, v50 :: v_dual_fmamk_f32 v43, v43, 0xb102e308, v53
	v_add_f32_e32 v44, v44, v50
	s_delay_alu instid0(VALU_DEP_2) | instskip(NEXT) | instid1(VALU_DEP_2)
	v_add_f32_e32 v50, v54, v43
	v_add_f32_e32 v52, v51, v44
	s_delay_alu instid0(VALU_DEP_2) | instskip(NEXT) | instid1(VALU_DEP_2)
	v_sub_f32_e32 v54, v50, v54
	v_add_f32_e32 v53, v50, v52
	v_sub_f32_e32 v51, v52, v51
	s_delay_alu instid0(VALU_DEP_3) | instskip(NEXT) | instid1(VALU_DEP_2)
	v_sub_f32_e32 v43, v43, v54
	v_dual_sub_f32 v55, v53, v50 :: v_dual_sub_f32 v44, v44, v51
	s_delay_alu instid0(VALU_DEP_1) | instskip(NEXT) | instid1(VALU_DEP_2)
	v_sub_f32_e32 v56, v53, v55
	v_dual_sub_f32 v51, v52, v55 :: v_dual_add_f32 v52, v43, v44
	s_delay_alu instid0(VALU_DEP_2) | instskip(NEXT) | instid1(VALU_DEP_1)
	v_sub_f32_e32 v50, v50, v56
	v_dual_add_f32 v50, v51, v50 :: v_dual_sub_f32 v51, v52, v43
	s_delay_alu instid0(VALU_DEP_1) | instskip(NEXT) | instid1(VALU_DEP_2)
	v_add_f32_e32 v50, v52, v50
	v_sub_f32_e32 v52, v52, v51
	v_sub_f32_e32 v44, v44, v51
	s_delay_alu instid0(VALU_DEP_2) | instskip(NEXT) | instid1(VALU_DEP_1)
	v_dual_add_f32 v54, v53, v50 :: v_dual_sub_f32 v43, v43, v52
	v_sub_f32_e32 v51, v54, v53
	s_delay_alu instid0(VALU_DEP_2) | instskip(NEXT) | instid1(VALU_DEP_2)
	v_add_f32_e32 v43, v44, v43
	v_sub_f32_e32 v44, v50, v51
	s_delay_alu instid0(VALU_DEP_1) | instskip(NEXT) | instid1(VALU_DEP_1)
	v_add_f32_e32 v43, v43, v44
	v_add_f32_e32 v43, v54, v43
	s_delay_alu instid0(VALU_DEP_1) | instskip(NEXT) | instid1(VALU_DEP_1)
	v_cndmask_b32_e64 v43, v43, v45, s42
	v_add_f32_e32 v43, v40, v43
.LBB531_82:
	s_or_b32 exec_lo, exec_lo, s43
	s_delay_alu instid0(VALU_DEP_1) | instskip(SKIP_2) | instid1(VALU_DEP_3)
	v_bfe_u32 v40, v43, 16, 1
	v_and_b32_e32 v5, 0xffff0000, v5
	v_cmp_o_f32_e64 s42, v43, v43
	v_add3_u32 v40, v43, v40, 0x7fff
	s_delay_alu instid0(VALU_DEP_1) | instskip(NEXT) | instid1(VALU_DEP_1)
	v_dual_max_f32 v43, v5, v5 :: v_dual_and_b32 v40, 0xffff0000, v40
	v_cndmask_b32_e64 v44, 0x7fc00000, v40, s42
	s_delay_alu instid0(VALU_DEP_1) | instskip(SKIP_1) | instid1(VALU_DEP_2)
	v_max_f32_e32 v40, v44, v44
	v_cmp_u_f32_e64 s42, v44, v44
	v_min_f32_e32 v45, v40, v43
	v_max_f32_e32 v40, v40, v43
	s_delay_alu instid0(VALU_DEP_2) | instskip(NEXT) | instid1(VALU_DEP_2)
	v_cndmask_b32_e64 v45, v45, v44, s42
	v_cndmask_b32_e64 v40, v40, v44, s42
	v_cmp_u_f32_e64 s42, v5, v5
	s_delay_alu instid0(VALU_DEP_1) | instskip(NEXT) | instid1(VALU_DEP_3)
	v_cndmask_b32_e64 v45, v45, v5, s42
	v_cndmask_b32_e64 v40, v40, v5, s42
	s_delay_alu instid0(VALU_DEP_2) | instskip(NEXT) | instid1(VALU_DEP_2)
	v_cmp_class_f32_e64 s44, v45, 0x1f8
	v_cmp_neq_f32_e64 s43, v45, v40
	s_delay_alu instid0(VALU_DEP_1) | instskip(NEXT) | instid1(SALU_CYCLE_1)
	s_or_b32 s43, s43, s44
	s_and_saveexec_b32 s44, s43
	s_cbranch_execz .LBB531_84
; %bb.83:
	v_sub_f32_e32 v44, v45, v40
	s_delay_alu instid0(VALU_DEP_1) | instskip(SKIP_1) | instid1(VALU_DEP_2)
	v_mul_f32_e32 v45, 0x3fb8aa3b, v44
	v_cmp_ngt_f32_e64 s43, 0xc2ce8ed0, v44
	v_fma_f32 v50, 0x3fb8aa3b, v44, -v45
	v_rndne_f32_e32 v51, v45
	s_delay_alu instid0(VALU_DEP_1) | instskip(NEXT) | instid1(VALU_DEP_1)
	v_dual_fmamk_f32 v50, v44, 0x32a5705f, v50 :: v_dual_sub_f32 v45, v45, v51
	v_add_f32_e32 v45, v45, v50
	v_cvt_i32_f32_e32 v50, v51
	s_delay_alu instid0(VALU_DEP_2) | instskip(SKIP_2) | instid1(VALU_DEP_1)
	v_exp_f32_e32 v45, v45
	s_waitcnt_depctr 0xfff
	v_ldexp_f32 v45, v45, v50
	v_cndmask_b32_e64 v45, 0, v45, s43
	v_cmp_nlt_f32_e64 s43, 0x42b17218, v44
	s_delay_alu instid0(VALU_DEP_1) | instskip(NEXT) | instid1(VALU_DEP_1)
	v_cndmask_b32_e64 v50, 0x7f800000, v45, s43
	v_add_f32_e32 v51, 1.0, v50
	v_cmp_gt_f32_e64 s46, 0x33800000, |v50|
	s_delay_alu instid0(VALU_DEP_2) | instskip(NEXT) | instid1(VALU_DEP_1)
	v_cvt_f64_f32_e32 v[44:45], v51
	v_frexp_exp_i32_f64_e32 v44, v[44:45]
	v_frexp_mant_f32_e32 v45, v51
	s_delay_alu instid0(VALU_DEP_1) | instskip(SKIP_1) | instid1(VALU_DEP_1)
	v_cmp_gt_f32_e64 s43, 0x3f2aaaab, v45
	v_add_f32_e32 v45, -1.0, v51
	v_sub_f32_e32 v53, v45, v51
	v_sub_f32_e32 v45, v50, v45
	s_delay_alu instid0(VALU_DEP_4) | instskip(SKIP_1) | instid1(VALU_DEP_1)
	v_subrev_co_ci_u32_e64 v44, s43, 0, v44, s43
	s_mov_b32 s43, 0x3e9b6dac
	v_sub_nc_u32_e32 v52, 0, v44
	v_cvt_f32_i32_e32 v44, v44
	s_delay_alu instid0(VALU_DEP_2) | instskip(NEXT) | instid1(VALU_DEP_1)
	v_ldexp_f32 v51, v51, v52
	v_dual_add_f32 v54, 1.0, v51 :: v_dual_add_f32 v53, 1.0, v53
	s_delay_alu instid0(VALU_DEP_1) | instskip(NEXT) | instid1(VALU_DEP_2)
	v_add_f32_e32 v45, v45, v53
	v_add_f32_e32 v53, -1.0, v54
	s_delay_alu instid0(VALU_DEP_2) | instskip(NEXT) | instid1(VALU_DEP_2)
	v_ldexp_f32 v45, v45, v52
	v_dual_add_f32 v52, -1.0, v51 :: v_dual_sub_f32 v53, v51, v53
	s_delay_alu instid0(VALU_DEP_1) | instskip(NEXT) | instid1(VALU_DEP_2)
	v_add_f32_e32 v55, 1.0, v52
	v_add_f32_e32 v53, v45, v53
	s_delay_alu instid0(VALU_DEP_2) | instskip(NEXT) | instid1(VALU_DEP_2)
	v_sub_f32_e32 v51, v51, v55
	v_add_f32_e32 v55, v54, v53
	s_delay_alu instid0(VALU_DEP_2) | instskip(NEXT) | instid1(VALU_DEP_2)
	v_add_f32_e32 v45, v45, v51
	v_rcp_f32_e32 v51, v55
	v_sub_f32_e32 v54, v54, v55
	s_delay_alu instid0(VALU_DEP_1) | instskip(NEXT) | instid1(VALU_DEP_1)
	v_dual_add_f32 v56, v52, v45 :: v_dual_add_f32 v53, v53, v54
	v_sub_f32_e32 v52, v52, v56
	s_waitcnt_depctr 0xfff
	v_mul_f32_e32 v57, v56, v51
	s_delay_alu instid0(VALU_DEP_1) | instskip(NEXT) | instid1(VALU_DEP_1)
	v_dual_add_f32 v45, v45, v52 :: v_dual_mul_f32 v58, v55, v57
	v_fma_f32 v54, v57, v55, -v58
	s_delay_alu instid0(VALU_DEP_1) | instskip(NEXT) | instid1(VALU_DEP_1)
	v_fmac_f32_e32 v54, v57, v53
	v_add_f32_e32 v59, v58, v54
	s_delay_alu instid0(VALU_DEP_1) | instskip(SKIP_1) | instid1(VALU_DEP_2)
	v_sub_f32_e32 v60, v56, v59
	v_sub_f32_e32 v52, v59, v58
	;; [unrolled: 1-line block ×3, first 2 shown]
	s_delay_alu instid0(VALU_DEP_2) | instskip(NEXT) | instid1(VALU_DEP_2)
	v_sub_f32_e32 v52, v52, v54
	v_sub_f32_e32 v56, v56, v59
	s_delay_alu instid0(VALU_DEP_1) | instskip(NEXT) | instid1(VALU_DEP_1)
	v_add_f32_e32 v45, v45, v56
	v_add_f32_e32 v45, v52, v45
	s_delay_alu instid0(VALU_DEP_1) | instskip(NEXT) | instid1(VALU_DEP_1)
	v_add_f32_e32 v52, v60, v45
	v_mul_f32_e32 v54, v51, v52
	s_delay_alu instid0(VALU_DEP_1) | instskip(NEXT) | instid1(VALU_DEP_1)
	v_dual_sub_f32 v59, v60, v52 :: v_dual_mul_f32 v56, v55, v54
	v_add_f32_e32 v45, v45, v59
	s_delay_alu instid0(VALU_DEP_2) | instskip(NEXT) | instid1(VALU_DEP_1)
	v_fma_f32 v55, v54, v55, -v56
	v_fmac_f32_e32 v55, v54, v53
	s_delay_alu instid0(VALU_DEP_1) | instskip(NEXT) | instid1(VALU_DEP_1)
	v_add_f32_e32 v53, v56, v55
	v_sub_f32_e32 v58, v52, v53
	v_sub_f32_e32 v56, v53, v56
	s_delay_alu instid0(VALU_DEP_2) | instskip(NEXT) | instid1(VALU_DEP_1)
	v_sub_f32_e32 v52, v52, v58
	v_sub_f32_e32 v52, v52, v53
	s_delay_alu instid0(VALU_DEP_3) | instskip(NEXT) | instid1(VALU_DEP_2)
	v_sub_f32_e32 v53, v56, v55
	v_add_f32_e32 v45, v45, v52
	v_add_f32_e32 v52, v57, v54
	s_delay_alu instid0(VALU_DEP_2) | instskip(NEXT) | instid1(VALU_DEP_2)
	v_add_f32_e32 v45, v53, v45
	v_sub_f32_e32 v53, v52, v57
	s_delay_alu instid0(VALU_DEP_2) | instskip(NEXT) | instid1(VALU_DEP_2)
	v_add_f32_e32 v45, v58, v45
	v_sub_f32_e32 v53, v54, v53
	s_delay_alu instid0(VALU_DEP_2) | instskip(NEXT) | instid1(VALU_DEP_1)
	v_mul_f32_e32 v45, v51, v45
	v_add_f32_e32 v45, v53, v45
	s_delay_alu instid0(VALU_DEP_1) | instskip(NEXT) | instid1(VALU_DEP_1)
	v_add_f32_e32 v51, v52, v45
	v_mul_f32_e32 v53, v51, v51
	s_delay_alu instid0(VALU_DEP_1) | instskip(SKIP_2) | instid1(VALU_DEP_3)
	v_fmaak_f32 v54, s43, v53, 0x3ecc95a3
	v_mul_f32_e32 v55, v51, v53
	v_cmp_eq_f32_e64 s43, 0x7f800000, v50
	v_fmaak_f32 v53, v53, v54, 0x3f2aaada
	v_ldexp_f32 v54, v51, 1
	v_sub_f32_e32 v51, v51, v52
	s_delay_alu instid0(VALU_DEP_4) | instskip(NEXT) | instid1(VALU_DEP_3)
	s_or_b32 s43, s43, s46
	v_mul_f32_e32 v53, v55, v53
	v_mul_f32_e32 v55, 0x3f317218, v44
	s_delay_alu instid0(VALU_DEP_2) | instskip(NEXT) | instid1(VALU_DEP_1)
	v_dual_sub_f32 v45, v45, v51 :: v_dual_add_f32 v52, v54, v53
	v_ldexp_f32 v45, v45, 1
	s_delay_alu instid0(VALU_DEP_2) | instskip(NEXT) | instid1(VALU_DEP_4)
	v_sub_f32_e32 v51, v52, v54
	v_fma_f32 v54, 0x3f317218, v44, -v55
	s_delay_alu instid0(VALU_DEP_1) | instskip(NEXT) | instid1(VALU_DEP_1)
	v_dual_sub_f32 v51, v53, v51 :: v_dual_fmamk_f32 v44, v44, 0xb102e308, v54
	v_add_f32_e32 v45, v45, v51
	s_delay_alu instid0(VALU_DEP_2) | instskip(NEXT) | instid1(VALU_DEP_2)
	v_add_f32_e32 v51, v55, v44
	v_add_f32_e32 v53, v52, v45
	s_delay_alu instid0(VALU_DEP_2) | instskip(NEXT) | instid1(VALU_DEP_2)
	v_sub_f32_e32 v55, v51, v55
	v_add_f32_e32 v54, v51, v53
	v_sub_f32_e32 v52, v53, v52
	s_delay_alu instid0(VALU_DEP_3) | instskip(NEXT) | instid1(VALU_DEP_2)
	v_sub_f32_e32 v44, v44, v55
	v_dual_sub_f32 v56, v54, v51 :: v_dual_sub_f32 v45, v45, v52
	s_delay_alu instid0(VALU_DEP_1) | instskip(NEXT) | instid1(VALU_DEP_2)
	v_sub_f32_e32 v57, v54, v56
	v_dual_sub_f32 v52, v53, v56 :: v_dual_add_f32 v53, v44, v45
	s_delay_alu instid0(VALU_DEP_2) | instskip(NEXT) | instid1(VALU_DEP_1)
	v_sub_f32_e32 v51, v51, v57
	v_dual_add_f32 v51, v52, v51 :: v_dual_sub_f32 v52, v53, v44
	s_delay_alu instid0(VALU_DEP_1) | instskip(NEXT) | instid1(VALU_DEP_2)
	v_add_f32_e32 v51, v53, v51
	v_sub_f32_e32 v53, v53, v52
	v_sub_f32_e32 v45, v45, v52
	s_delay_alu instid0(VALU_DEP_2) | instskip(NEXT) | instid1(VALU_DEP_1)
	v_dual_add_f32 v55, v54, v51 :: v_dual_sub_f32 v44, v44, v53
	v_sub_f32_e32 v52, v55, v54
	s_delay_alu instid0(VALU_DEP_2) | instskip(NEXT) | instid1(VALU_DEP_2)
	v_add_f32_e32 v44, v45, v44
	v_sub_f32_e32 v45, v51, v52
	s_delay_alu instid0(VALU_DEP_1) | instskip(NEXT) | instid1(VALU_DEP_1)
	v_add_f32_e32 v44, v44, v45
	v_add_f32_e32 v44, v55, v44
	s_delay_alu instid0(VALU_DEP_1) | instskip(NEXT) | instid1(VALU_DEP_1)
	v_cndmask_b32_e64 v44, v44, v50, s43
	v_add_f32_e32 v44, v40, v44
.LBB531_84:
	s_or_b32 exec_lo, exec_lo, s44
	s_delay_alu instid0(VALU_DEP_1) | instskip(SKIP_1) | instid1(VALU_DEP_2)
	v_bfe_u32 v40, v44, 16, 1
	v_cmp_o_f32_e64 s43, v44, v44
	v_add3_u32 v40, v44, v40, 0x7fff
	s_delay_alu instid0(VALU_DEP_1) | instskip(NEXT) | instid1(VALU_DEP_1)
	v_and_b32_e32 v45, 0xffff0000, v40
	v_cndmask_b32_e64 v50, 0x7fc00000, v45, s43
	s_delay_alu instid0(VALU_DEP_1) | instskip(SKIP_2) | instid1(VALU_DEP_2)
	v_max_f32_e32 v45, v50, v50
	v_lshlrev_b32_e32 v40, 16, v42
	v_cmp_u_f32_e64 s43, v50, v50
	v_max_f32_e32 v44, v40, v40
	s_delay_alu instid0(VALU_DEP_1) | instskip(SKIP_1) | instid1(VALU_DEP_2)
	v_min_f32_e32 v51, v45, v44
	v_max_f32_e32 v45, v45, v44
	v_cndmask_b32_e64 v51, v51, v50, s43
	s_delay_alu instid0(VALU_DEP_2) | instskip(SKIP_1) | instid1(VALU_DEP_1)
	v_cndmask_b32_e64 v45, v45, v50, s43
	v_cmp_u_f32_e64 s43, v40, v40
	v_cndmask_b32_e64 v51, v51, v40, s43
	s_delay_alu instid0(VALU_DEP_3) | instskip(NEXT) | instid1(VALU_DEP_2)
	v_cndmask_b32_e64 v45, v45, v40, s43
	v_cmp_class_f32_e64 s46, v51, 0x1f8
	s_delay_alu instid0(VALU_DEP_2) | instskip(NEXT) | instid1(VALU_DEP_1)
	v_cmp_neq_f32_e64 s44, v51, v45
	s_or_b32 s44, s44, s46
	s_delay_alu instid0(SALU_CYCLE_1)
	s_and_saveexec_b32 s46, s44
	s_cbranch_execz .LBB531_86
; %bb.85:
	v_sub_f32_e32 v50, v51, v45
	s_delay_alu instid0(VALU_DEP_1) | instskip(SKIP_1) | instid1(VALU_DEP_2)
	v_mul_f32_e32 v51, 0x3fb8aa3b, v50
	v_cmp_ngt_f32_e64 s44, 0xc2ce8ed0, v50
	v_fma_f32 v52, 0x3fb8aa3b, v50, -v51
	v_rndne_f32_e32 v53, v51
	s_delay_alu instid0(VALU_DEP_1) | instskip(NEXT) | instid1(VALU_DEP_1)
	v_dual_fmamk_f32 v52, v50, 0x32a5705f, v52 :: v_dual_sub_f32 v51, v51, v53
	v_add_f32_e32 v51, v51, v52
	v_cvt_i32_f32_e32 v52, v53
	s_delay_alu instid0(VALU_DEP_2) | instskip(SKIP_2) | instid1(VALU_DEP_1)
	v_exp_f32_e32 v51, v51
	s_waitcnt_depctr 0xfff
	v_ldexp_f32 v51, v51, v52
	v_cndmask_b32_e64 v51, 0, v51, s44
	v_cmp_nlt_f32_e64 s44, 0x42b17218, v50
	s_delay_alu instid0(VALU_DEP_1) | instskip(NEXT) | instid1(VALU_DEP_1)
	v_cndmask_b32_e64 v52, 0x7f800000, v51, s44
	v_add_f32_e32 v53, 1.0, v52
	v_cmp_gt_f32_e64 s47, 0x33800000, |v52|
	s_delay_alu instid0(VALU_DEP_2) | instskip(NEXT) | instid1(VALU_DEP_1)
	v_cvt_f64_f32_e32 v[50:51], v53
	v_frexp_exp_i32_f64_e32 v50, v[50:51]
	v_frexp_mant_f32_e32 v51, v53
	s_delay_alu instid0(VALU_DEP_1) | instskip(SKIP_1) | instid1(VALU_DEP_1)
	v_cmp_gt_f32_e64 s44, 0x3f2aaaab, v51
	v_add_f32_e32 v51, -1.0, v53
	v_sub_f32_e32 v55, v51, v53
	v_sub_f32_e32 v51, v52, v51
	s_delay_alu instid0(VALU_DEP_4) | instskip(SKIP_1) | instid1(VALU_DEP_1)
	v_subrev_co_ci_u32_e64 v50, s44, 0, v50, s44
	s_mov_b32 s44, 0x3e9b6dac
	v_sub_nc_u32_e32 v54, 0, v50
	v_cvt_f32_i32_e32 v50, v50
	s_delay_alu instid0(VALU_DEP_2) | instskip(NEXT) | instid1(VALU_DEP_1)
	v_ldexp_f32 v53, v53, v54
	v_dual_add_f32 v56, 1.0, v53 :: v_dual_add_f32 v55, 1.0, v55
	s_delay_alu instid0(VALU_DEP_1) | instskip(NEXT) | instid1(VALU_DEP_2)
	v_add_f32_e32 v51, v51, v55
	v_add_f32_e32 v55, -1.0, v56
	s_delay_alu instid0(VALU_DEP_2) | instskip(NEXT) | instid1(VALU_DEP_2)
	v_ldexp_f32 v51, v51, v54
	v_dual_add_f32 v54, -1.0, v53 :: v_dual_sub_f32 v55, v53, v55
	s_delay_alu instid0(VALU_DEP_1) | instskip(NEXT) | instid1(VALU_DEP_2)
	v_add_f32_e32 v57, 1.0, v54
	v_add_f32_e32 v55, v51, v55
	s_delay_alu instid0(VALU_DEP_2) | instskip(NEXT) | instid1(VALU_DEP_2)
	v_sub_f32_e32 v53, v53, v57
	v_add_f32_e32 v57, v56, v55
	s_delay_alu instid0(VALU_DEP_2) | instskip(NEXT) | instid1(VALU_DEP_2)
	v_add_f32_e32 v51, v51, v53
	v_rcp_f32_e32 v53, v57
	v_sub_f32_e32 v56, v56, v57
	s_delay_alu instid0(VALU_DEP_1) | instskip(NEXT) | instid1(VALU_DEP_1)
	v_dual_add_f32 v58, v54, v51 :: v_dual_add_f32 v55, v55, v56
	v_sub_f32_e32 v54, v54, v58
	s_waitcnt_depctr 0xfff
	v_mul_f32_e32 v59, v58, v53
	s_delay_alu instid0(VALU_DEP_1) | instskip(NEXT) | instid1(VALU_DEP_1)
	v_dual_add_f32 v51, v51, v54 :: v_dual_mul_f32 v60, v57, v59
	v_fma_f32 v56, v59, v57, -v60
	s_delay_alu instid0(VALU_DEP_1) | instskip(NEXT) | instid1(VALU_DEP_1)
	v_fmac_f32_e32 v56, v59, v55
	v_add_f32_e32 v61, v60, v56
	s_delay_alu instid0(VALU_DEP_1) | instskip(SKIP_1) | instid1(VALU_DEP_2)
	v_sub_f32_e32 v62, v58, v61
	v_sub_f32_e32 v54, v61, v60
	v_sub_f32_e32 v58, v58, v62
	s_delay_alu instid0(VALU_DEP_2) | instskip(NEXT) | instid1(VALU_DEP_2)
	v_sub_f32_e32 v54, v54, v56
	v_sub_f32_e32 v58, v58, v61
	s_delay_alu instid0(VALU_DEP_1) | instskip(NEXT) | instid1(VALU_DEP_1)
	v_add_f32_e32 v51, v51, v58
	v_add_f32_e32 v51, v54, v51
	s_delay_alu instid0(VALU_DEP_1) | instskip(NEXT) | instid1(VALU_DEP_1)
	v_add_f32_e32 v54, v62, v51
	v_mul_f32_e32 v56, v53, v54
	s_delay_alu instid0(VALU_DEP_1) | instskip(NEXT) | instid1(VALU_DEP_1)
	v_dual_sub_f32 v61, v62, v54 :: v_dual_mul_f32 v58, v57, v56
	v_add_f32_e32 v51, v51, v61
	s_delay_alu instid0(VALU_DEP_2) | instskip(NEXT) | instid1(VALU_DEP_1)
	v_fma_f32 v57, v56, v57, -v58
	v_fmac_f32_e32 v57, v56, v55
	s_delay_alu instid0(VALU_DEP_1) | instskip(NEXT) | instid1(VALU_DEP_1)
	v_add_f32_e32 v55, v58, v57
	v_sub_f32_e32 v60, v54, v55
	v_sub_f32_e32 v58, v55, v58
	s_delay_alu instid0(VALU_DEP_2) | instskip(NEXT) | instid1(VALU_DEP_1)
	v_sub_f32_e32 v54, v54, v60
	v_sub_f32_e32 v54, v54, v55
	s_delay_alu instid0(VALU_DEP_3) | instskip(NEXT) | instid1(VALU_DEP_2)
	v_sub_f32_e32 v55, v58, v57
	v_add_f32_e32 v51, v51, v54
	v_add_f32_e32 v54, v59, v56
	s_delay_alu instid0(VALU_DEP_2) | instskip(NEXT) | instid1(VALU_DEP_2)
	v_add_f32_e32 v51, v55, v51
	v_sub_f32_e32 v55, v54, v59
	s_delay_alu instid0(VALU_DEP_2) | instskip(NEXT) | instid1(VALU_DEP_2)
	v_add_f32_e32 v51, v60, v51
	v_sub_f32_e32 v55, v56, v55
	s_delay_alu instid0(VALU_DEP_2) | instskip(NEXT) | instid1(VALU_DEP_1)
	v_mul_f32_e32 v51, v53, v51
	v_add_f32_e32 v51, v55, v51
	s_delay_alu instid0(VALU_DEP_1) | instskip(NEXT) | instid1(VALU_DEP_1)
	v_add_f32_e32 v53, v54, v51
	v_mul_f32_e32 v55, v53, v53
	s_delay_alu instid0(VALU_DEP_1) | instskip(SKIP_2) | instid1(VALU_DEP_3)
	v_fmaak_f32 v56, s44, v55, 0x3ecc95a3
	v_mul_f32_e32 v57, v53, v55
	v_cmp_eq_f32_e64 s44, 0x7f800000, v52
	v_fmaak_f32 v55, v55, v56, 0x3f2aaada
	v_ldexp_f32 v56, v53, 1
	v_sub_f32_e32 v53, v53, v54
	s_delay_alu instid0(VALU_DEP_4) | instskip(NEXT) | instid1(VALU_DEP_3)
	s_or_b32 s44, s44, s47
	v_mul_f32_e32 v55, v57, v55
	v_mul_f32_e32 v57, 0x3f317218, v50
	s_delay_alu instid0(VALU_DEP_2) | instskip(NEXT) | instid1(VALU_DEP_1)
	v_dual_sub_f32 v51, v51, v53 :: v_dual_add_f32 v54, v56, v55
	v_ldexp_f32 v51, v51, 1
	s_delay_alu instid0(VALU_DEP_2) | instskip(NEXT) | instid1(VALU_DEP_4)
	v_sub_f32_e32 v53, v54, v56
	v_fma_f32 v56, 0x3f317218, v50, -v57
	s_delay_alu instid0(VALU_DEP_1) | instskip(NEXT) | instid1(VALU_DEP_1)
	v_dual_sub_f32 v53, v55, v53 :: v_dual_fmamk_f32 v50, v50, 0xb102e308, v56
	v_add_f32_e32 v51, v51, v53
	s_delay_alu instid0(VALU_DEP_2) | instskip(NEXT) | instid1(VALU_DEP_2)
	v_add_f32_e32 v53, v57, v50
	v_add_f32_e32 v55, v54, v51
	s_delay_alu instid0(VALU_DEP_2) | instskip(NEXT) | instid1(VALU_DEP_2)
	v_sub_f32_e32 v57, v53, v57
	v_add_f32_e32 v56, v53, v55
	v_sub_f32_e32 v54, v55, v54
	s_delay_alu instid0(VALU_DEP_3) | instskip(NEXT) | instid1(VALU_DEP_2)
	v_sub_f32_e32 v50, v50, v57
	v_dual_sub_f32 v58, v56, v53 :: v_dual_sub_f32 v51, v51, v54
	s_delay_alu instid0(VALU_DEP_1) | instskip(NEXT) | instid1(VALU_DEP_2)
	v_sub_f32_e32 v59, v56, v58
	v_dual_sub_f32 v54, v55, v58 :: v_dual_add_f32 v55, v50, v51
	s_delay_alu instid0(VALU_DEP_2) | instskip(NEXT) | instid1(VALU_DEP_1)
	v_sub_f32_e32 v53, v53, v59
	v_dual_add_f32 v53, v54, v53 :: v_dual_sub_f32 v54, v55, v50
	s_delay_alu instid0(VALU_DEP_1) | instskip(NEXT) | instid1(VALU_DEP_2)
	v_add_f32_e32 v53, v55, v53
	v_sub_f32_e32 v55, v55, v54
	v_sub_f32_e32 v51, v51, v54
	s_delay_alu instid0(VALU_DEP_2) | instskip(NEXT) | instid1(VALU_DEP_1)
	v_dual_add_f32 v57, v56, v53 :: v_dual_sub_f32 v50, v50, v55
	v_sub_f32_e32 v54, v57, v56
	s_delay_alu instid0(VALU_DEP_2) | instskip(NEXT) | instid1(VALU_DEP_2)
	v_add_f32_e32 v50, v51, v50
	v_sub_f32_e32 v51, v53, v54
	s_delay_alu instid0(VALU_DEP_1) | instskip(NEXT) | instid1(VALU_DEP_1)
	v_add_f32_e32 v50, v50, v51
	v_add_f32_e32 v50, v57, v50
	s_delay_alu instid0(VALU_DEP_1) | instskip(NEXT) | instid1(VALU_DEP_1)
	v_cndmask_b32_e64 v50, v50, v52, s44
	v_add_f32_e32 v50, v45, v50
.LBB531_86:
	s_or_b32 exec_lo, exec_lo, s46
	s_delay_alu instid0(VALU_DEP_1) | instskip(SKIP_2) | instid1(VALU_DEP_3)
	v_bfe_u32 v45, v50, 16, 1
	v_cmp_o_f32_e64 s44, v50, v50
	v_and_b32_e32 v42, 0xffff0000, v42
	v_add3_u32 v45, v50, v45, 0x7fff
	s_delay_alu instid0(VALU_DEP_1) | instskip(NEXT) | instid1(VALU_DEP_1)
	v_and_b32_e32 v45, 0xffff0000, v45
	v_cndmask_b32_e64 v51, 0x7fc00000, v45, s44
	s_delay_alu instid0(VALU_DEP_1) | instskip(SKIP_1) | instid1(VALU_DEP_2)
	v_dual_max_f32 v45, v42, v42 :: v_dual_max_f32 v50, v51, v51
	v_cmp_u_f32_e64 s44, v51, v51
	v_min_f32_e32 v52, v50, v45
	v_max_f32_e32 v50, v50, v45
	s_delay_alu instid0(VALU_DEP_2) | instskip(NEXT) | instid1(VALU_DEP_2)
	v_cndmask_b32_e64 v52, v52, v51, s44
	v_cndmask_b32_e64 v50, v50, v51, s44
	v_cmp_u_f32_e64 s44, v42, v42
	s_delay_alu instid0(VALU_DEP_1) | instskip(NEXT) | instid1(VALU_DEP_3)
	v_cndmask_b32_e64 v52, v52, v42, s44
	v_cndmask_b32_e64 v50, v50, v42, s44
	s_delay_alu instid0(VALU_DEP_2) | instskip(NEXT) | instid1(VALU_DEP_2)
	v_cmp_class_f32_e64 s47, v52, 0x1f8
	v_cmp_neq_f32_e64 s46, v52, v50
	s_delay_alu instid0(VALU_DEP_1) | instskip(NEXT) | instid1(SALU_CYCLE_1)
	s_or_b32 s46, s46, s47
	s_and_saveexec_b32 s47, s46
	s_cbranch_execz .LBB531_88
; %bb.87:
	v_sub_f32_e32 v51, v52, v50
	s_delay_alu instid0(VALU_DEP_1) | instskip(SKIP_1) | instid1(VALU_DEP_2)
	v_mul_f32_e32 v52, 0x3fb8aa3b, v51
	v_cmp_ngt_f32_e64 s46, 0xc2ce8ed0, v51
	v_fma_f32 v53, 0x3fb8aa3b, v51, -v52
	v_rndne_f32_e32 v54, v52
	s_delay_alu instid0(VALU_DEP_1) | instskip(NEXT) | instid1(VALU_DEP_1)
	v_dual_fmamk_f32 v53, v51, 0x32a5705f, v53 :: v_dual_sub_f32 v52, v52, v54
	v_add_f32_e32 v52, v52, v53
	v_cvt_i32_f32_e32 v53, v54
	s_delay_alu instid0(VALU_DEP_2) | instskip(SKIP_2) | instid1(VALU_DEP_1)
	v_exp_f32_e32 v52, v52
	s_waitcnt_depctr 0xfff
	v_ldexp_f32 v52, v52, v53
	v_cndmask_b32_e64 v52, 0, v52, s46
	v_cmp_nlt_f32_e64 s46, 0x42b17218, v51
	s_delay_alu instid0(VALU_DEP_1) | instskip(NEXT) | instid1(VALU_DEP_1)
	v_cndmask_b32_e64 v53, 0x7f800000, v52, s46
	v_add_f32_e32 v54, 1.0, v53
	v_cmp_gt_f32_e64 s48, 0x33800000, |v53|
	s_delay_alu instid0(VALU_DEP_2) | instskip(NEXT) | instid1(VALU_DEP_1)
	v_cvt_f64_f32_e32 v[51:52], v54
	v_frexp_exp_i32_f64_e32 v51, v[51:52]
	v_frexp_mant_f32_e32 v52, v54
	s_delay_alu instid0(VALU_DEP_1) | instskip(SKIP_1) | instid1(VALU_DEP_1)
	v_cmp_gt_f32_e64 s46, 0x3f2aaaab, v52
	v_add_f32_e32 v52, -1.0, v54
	v_sub_f32_e32 v56, v52, v54
	v_sub_f32_e32 v52, v53, v52
	s_delay_alu instid0(VALU_DEP_4) | instskip(SKIP_1) | instid1(VALU_DEP_1)
	v_subrev_co_ci_u32_e64 v51, s46, 0, v51, s46
	s_mov_b32 s46, 0x3e9b6dac
	v_sub_nc_u32_e32 v55, 0, v51
	v_cvt_f32_i32_e32 v51, v51
	s_delay_alu instid0(VALU_DEP_2) | instskip(NEXT) | instid1(VALU_DEP_1)
	v_ldexp_f32 v54, v54, v55
	v_dual_add_f32 v57, 1.0, v54 :: v_dual_add_f32 v56, 1.0, v56
	s_delay_alu instid0(VALU_DEP_1) | instskip(NEXT) | instid1(VALU_DEP_2)
	v_add_f32_e32 v52, v52, v56
	v_add_f32_e32 v56, -1.0, v57
	s_delay_alu instid0(VALU_DEP_2) | instskip(NEXT) | instid1(VALU_DEP_2)
	v_ldexp_f32 v52, v52, v55
	v_dual_add_f32 v55, -1.0, v54 :: v_dual_sub_f32 v56, v54, v56
	s_delay_alu instid0(VALU_DEP_1) | instskip(NEXT) | instid1(VALU_DEP_2)
	v_add_f32_e32 v58, 1.0, v55
	v_add_f32_e32 v56, v52, v56
	s_delay_alu instid0(VALU_DEP_2) | instskip(NEXT) | instid1(VALU_DEP_2)
	v_sub_f32_e32 v54, v54, v58
	v_add_f32_e32 v58, v57, v56
	s_delay_alu instid0(VALU_DEP_2) | instskip(NEXT) | instid1(VALU_DEP_2)
	v_add_f32_e32 v52, v52, v54
	v_rcp_f32_e32 v54, v58
	v_sub_f32_e32 v57, v57, v58
	s_delay_alu instid0(VALU_DEP_1) | instskip(NEXT) | instid1(VALU_DEP_1)
	v_dual_add_f32 v59, v55, v52 :: v_dual_add_f32 v56, v56, v57
	v_sub_f32_e32 v55, v55, v59
	s_waitcnt_depctr 0xfff
	v_mul_f32_e32 v60, v59, v54
	s_delay_alu instid0(VALU_DEP_1) | instskip(NEXT) | instid1(VALU_DEP_1)
	v_dual_add_f32 v52, v52, v55 :: v_dual_mul_f32 v61, v58, v60
	v_fma_f32 v57, v60, v58, -v61
	s_delay_alu instid0(VALU_DEP_1) | instskip(NEXT) | instid1(VALU_DEP_1)
	v_fmac_f32_e32 v57, v60, v56
	v_add_f32_e32 v62, v61, v57
	s_delay_alu instid0(VALU_DEP_1) | instskip(SKIP_1) | instid1(VALU_DEP_2)
	v_sub_f32_e32 v63, v59, v62
	v_sub_f32_e32 v55, v62, v61
	v_sub_f32_e32 v59, v59, v63
	s_delay_alu instid0(VALU_DEP_2) | instskip(NEXT) | instid1(VALU_DEP_2)
	v_sub_f32_e32 v55, v55, v57
	v_sub_f32_e32 v59, v59, v62
	s_delay_alu instid0(VALU_DEP_1) | instskip(NEXT) | instid1(VALU_DEP_1)
	v_add_f32_e32 v52, v52, v59
	v_add_f32_e32 v52, v55, v52
	s_delay_alu instid0(VALU_DEP_1) | instskip(NEXT) | instid1(VALU_DEP_1)
	v_add_f32_e32 v55, v63, v52
	v_mul_f32_e32 v57, v54, v55
	s_delay_alu instid0(VALU_DEP_1) | instskip(NEXT) | instid1(VALU_DEP_1)
	v_dual_sub_f32 v62, v63, v55 :: v_dual_mul_f32 v59, v58, v57
	v_add_f32_e32 v52, v52, v62
	s_delay_alu instid0(VALU_DEP_2) | instskip(NEXT) | instid1(VALU_DEP_1)
	v_fma_f32 v58, v57, v58, -v59
	v_fmac_f32_e32 v58, v57, v56
	s_delay_alu instid0(VALU_DEP_1) | instskip(NEXT) | instid1(VALU_DEP_1)
	v_add_f32_e32 v56, v59, v58
	v_sub_f32_e32 v61, v55, v56
	v_sub_f32_e32 v59, v56, v59
	s_delay_alu instid0(VALU_DEP_2) | instskip(NEXT) | instid1(VALU_DEP_1)
	v_sub_f32_e32 v55, v55, v61
	v_sub_f32_e32 v55, v55, v56
	s_delay_alu instid0(VALU_DEP_3) | instskip(NEXT) | instid1(VALU_DEP_2)
	v_sub_f32_e32 v56, v59, v58
	v_add_f32_e32 v52, v52, v55
	v_add_f32_e32 v55, v60, v57
	s_delay_alu instid0(VALU_DEP_2) | instskip(NEXT) | instid1(VALU_DEP_2)
	v_add_f32_e32 v52, v56, v52
	v_sub_f32_e32 v56, v55, v60
	s_delay_alu instid0(VALU_DEP_2) | instskip(NEXT) | instid1(VALU_DEP_2)
	v_add_f32_e32 v52, v61, v52
	v_sub_f32_e32 v56, v57, v56
	s_delay_alu instid0(VALU_DEP_2) | instskip(NEXT) | instid1(VALU_DEP_1)
	v_mul_f32_e32 v52, v54, v52
	v_add_f32_e32 v52, v56, v52
	s_delay_alu instid0(VALU_DEP_1) | instskip(NEXT) | instid1(VALU_DEP_1)
	v_add_f32_e32 v54, v55, v52
	v_mul_f32_e32 v56, v54, v54
	s_delay_alu instid0(VALU_DEP_1) | instskip(SKIP_2) | instid1(VALU_DEP_3)
	v_fmaak_f32 v57, s46, v56, 0x3ecc95a3
	v_mul_f32_e32 v58, v54, v56
	v_cmp_eq_f32_e64 s46, 0x7f800000, v53
	v_fmaak_f32 v56, v56, v57, 0x3f2aaada
	v_ldexp_f32 v57, v54, 1
	v_sub_f32_e32 v54, v54, v55
	s_delay_alu instid0(VALU_DEP_4) | instskip(NEXT) | instid1(VALU_DEP_3)
	s_or_b32 s46, s46, s48
	v_mul_f32_e32 v56, v58, v56
	v_mul_f32_e32 v58, 0x3f317218, v51
	s_delay_alu instid0(VALU_DEP_2) | instskip(NEXT) | instid1(VALU_DEP_1)
	v_dual_sub_f32 v52, v52, v54 :: v_dual_add_f32 v55, v57, v56
	v_ldexp_f32 v52, v52, 1
	s_delay_alu instid0(VALU_DEP_2) | instskip(NEXT) | instid1(VALU_DEP_4)
	v_sub_f32_e32 v54, v55, v57
	v_fma_f32 v57, 0x3f317218, v51, -v58
	s_delay_alu instid0(VALU_DEP_1) | instskip(NEXT) | instid1(VALU_DEP_1)
	v_dual_sub_f32 v54, v56, v54 :: v_dual_fmamk_f32 v51, v51, 0xb102e308, v57
	v_add_f32_e32 v52, v52, v54
	s_delay_alu instid0(VALU_DEP_2) | instskip(NEXT) | instid1(VALU_DEP_2)
	v_add_f32_e32 v54, v58, v51
	v_add_f32_e32 v56, v55, v52
	s_delay_alu instid0(VALU_DEP_2) | instskip(NEXT) | instid1(VALU_DEP_2)
	v_sub_f32_e32 v58, v54, v58
	v_add_f32_e32 v57, v54, v56
	v_sub_f32_e32 v55, v56, v55
	s_delay_alu instid0(VALU_DEP_3) | instskip(NEXT) | instid1(VALU_DEP_2)
	v_sub_f32_e32 v51, v51, v58
	v_dual_sub_f32 v59, v57, v54 :: v_dual_sub_f32 v52, v52, v55
	s_delay_alu instid0(VALU_DEP_1) | instskip(NEXT) | instid1(VALU_DEP_2)
	v_sub_f32_e32 v60, v57, v59
	v_dual_sub_f32 v55, v56, v59 :: v_dual_add_f32 v56, v51, v52
	s_delay_alu instid0(VALU_DEP_2) | instskip(NEXT) | instid1(VALU_DEP_1)
	v_sub_f32_e32 v54, v54, v60
	v_dual_add_f32 v54, v55, v54 :: v_dual_sub_f32 v55, v56, v51
	s_delay_alu instid0(VALU_DEP_1) | instskip(NEXT) | instid1(VALU_DEP_2)
	v_add_f32_e32 v54, v56, v54
	v_sub_f32_e32 v56, v56, v55
	v_sub_f32_e32 v52, v52, v55
	s_delay_alu instid0(VALU_DEP_2) | instskip(NEXT) | instid1(VALU_DEP_1)
	v_dual_add_f32 v58, v57, v54 :: v_dual_sub_f32 v51, v51, v56
	v_sub_f32_e32 v55, v58, v57
	s_delay_alu instid0(VALU_DEP_2) | instskip(NEXT) | instid1(VALU_DEP_2)
	v_add_f32_e32 v51, v52, v51
	v_sub_f32_e32 v52, v54, v55
	s_delay_alu instid0(VALU_DEP_1) | instskip(NEXT) | instid1(VALU_DEP_1)
	v_add_f32_e32 v51, v51, v52
	v_add_f32_e32 v51, v58, v51
	s_delay_alu instid0(VALU_DEP_1) | instskip(NEXT) | instid1(VALU_DEP_1)
	v_cndmask_b32_e64 v51, v51, v53, s46
	v_add_f32_e32 v51, v50, v51
.LBB531_88:
	s_or_b32 exec_lo, exec_lo, s47
	s_delay_alu instid0(VALU_DEP_1)
	v_bfe_u32 v50, v51, 16, 1
	s_load_b64 s[46:47], s[0:1], 0x18
	v_lshrrev_b32_e32 v52, 4, v0
	v_cmp_o_f32_e64 s0, v51, v51
	s_mov_b32 s48, exec_lo
	v_add3_u32 v50, v51, v50, 0x7fff
	s_delay_alu instid0(VALU_DEP_3) | instskip(NEXT) | instid1(VALU_DEP_2)
	v_and_b32_e32 v52, 2, v52
	v_lshrrev_b32_e32 v50, 16, v50
	s_delay_alu instid0(VALU_DEP_2) | instskip(NEXT) | instid1(VALU_DEP_2)
	v_add_nc_u32_e32 v52, v12, v52
	v_cndmask_b32_e64 v51, 0x7fc0, v50, s0
	ds_store_b16 v52, v51
	s_waitcnt lgkmcnt(0)
	s_barrier
	buffer_gl0_inv
	v_cmpx_gt_u32_e32 32, v0
	s_cbranch_execz .LBB531_116
; %bb.89:
	v_lshrrev_b32_e32 v50, 3, v0
	s_delay_alu instid0(VALU_DEP_1) | instskip(NEXT) | instid1(VALU_DEP_1)
	v_and_b32_e32 v50, 6, v50
	v_lshl_or_b32 v50, v0, 2, v50
	ds_load_u16 v52, v50 offset:2
	ds_load_u16 v53, v50
	s_waitcnt lgkmcnt(1)
	v_lshlrev_b32_e32 v54, 16, v52
	s_waitcnt lgkmcnt(0)
	s_delay_alu instid0(VALU_DEP_1) | instskip(NEXT) | instid1(VALU_DEP_1)
	v_dual_max_f32 v55, v54, v54 :: v_dual_lshlrev_b32 v52, 16, v53
	v_max_f32_e32 v53, v52, v52
	v_cmp_u_f32_e64 s0, v52, v52
	s_delay_alu instid0(VALU_DEP_2) | instskip(SKIP_2) | instid1(VALU_DEP_3)
	v_min_f32_e32 v56, v53, v55
	v_max_f32_e32 v55, v53, v55
	v_cmp_u_f32_e64 s1, v54, v54
	v_cndmask_b32_e64 v56, v56, v52, s0
	s_delay_alu instid0(VALU_DEP_3) | instskip(NEXT) | instid1(VALU_DEP_2)
	v_cndmask_b32_e64 v55, v55, v52, s0
	v_cndmask_b32_e64 v56, v56, v54, s1
	s_delay_alu instid0(VALU_DEP_2) | instskip(SKIP_1) | instid1(VALU_DEP_3)
	v_cndmask_b32_e64 v54, v55, v54, s1
	v_mov_b32_e32 v55, v52
	v_cmp_class_f32_e64 s49, v56, 0x1f8
	s_delay_alu instid0(VALU_DEP_3) | instskip(NEXT) | instid1(VALU_DEP_1)
	v_cmp_neq_f32_e64 s1, v56, v54
	s_or_b32 s1, s1, s49
	s_delay_alu instid0(SALU_CYCLE_1)
	s_and_saveexec_b32 s49, s1
	s_cbranch_execz .LBB531_91
; %bb.90:
	v_sub_f32_e32 v55, v56, v54
	s_delay_alu instid0(VALU_DEP_1) | instskip(SKIP_1) | instid1(VALU_DEP_2)
	v_mul_f32_e32 v56, 0x3fb8aa3b, v55
	v_cmp_ngt_f32_e64 s1, 0xc2ce8ed0, v55
	v_fma_f32 v57, 0x3fb8aa3b, v55, -v56
	v_rndne_f32_e32 v58, v56
	s_delay_alu instid0(VALU_DEP_1) | instskip(NEXT) | instid1(VALU_DEP_1)
	v_dual_fmamk_f32 v57, v55, 0x32a5705f, v57 :: v_dual_sub_f32 v56, v56, v58
	v_add_f32_e32 v56, v56, v57
	v_cvt_i32_f32_e32 v57, v58
	s_delay_alu instid0(VALU_DEP_2) | instskip(SKIP_2) | instid1(VALU_DEP_1)
	v_exp_f32_e32 v56, v56
	s_waitcnt_depctr 0xfff
	v_ldexp_f32 v56, v56, v57
	v_cndmask_b32_e64 v56, 0, v56, s1
	v_cmp_nlt_f32_e64 s1, 0x42b17218, v55
	s_delay_alu instid0(VALU_DEP_1) | instskip(NEXT) | instid1(VALU_DEP_1)
	v_cndmask_b32_e64 v57, 0x7f800000, v56, s1
	v_add_f32_e32 v58, 1.0, v57
	v_cmp_gt_f32_e64 s50, 0x33800000, |v57|
	s_delay_alu instid0(VALU_DEP_2) | instskip(NEXT) | instid1(VALU_DEP_1)
	v_cvt_f64_f32_e32 v[55:56], v58
	v_frexp_exp_i32_f64_e32 v55, v[55:56]
	v_frexp_mant_f32_e32 v56, v58
	s_delay_alu instid0(VALU_DEP_1) | instskip(SKIP_1) | instid1(VALU_DEP_1)
	v_cmp_gt_f32_e64 s1, 0x3f2aaaab, v56
	v_add_f32_e32 v56, -1.0, v58
	v_sub_f32_e32 v60, v56, v58
	v_sub_f32_e32 v56, v57, v56
	s_delay_alu instid0(VALU_DEP_4) | instskip(SKIP_1) | instid1(VALU_DEP_1)
	v_subrev_co_ci_u32_e64 v55, s1, 0, v55, s1
	s_mov_b32 s1, 0x3e9b6dac
	v_sub_nc_u32_e32 v59, 0, v55
	v_cvt_f32_i32_e32 v55, v55
	s_delay_alu instid0(VALU_DEP_2) | instskip(NEXT) | instid1(VALU_DEP_1)
	v_ldexp_f32 v58, v58, v59
	v_dual_add_f32 v61, 1.0, v58 :: v_dual_add_f32 v60, 1.0, v60
	s_delay_alu instid0(VALU_DEP_1) | instskip(NEXT) | instid1(VALU_DEP_2)
	v_add_f32_e32 v56, v56, v60
	v_add_f32_e32 v60, -1.0, v61
	s_delay_alu instid0(VALU_DEP_2) | instskip(NEXT) | instid1(VALU_DEP_2)
	v_ldexp_f32 v56, v56, v59
	v_dual_add_f32 v59, -1.0, v58 :: v_dual_sub_f32 v60, v58, v60
	s_delay_alu instid0(VALU_DEP_1) | instskip(NEXT) | instid1(VALU_DEP_2)
	v_add_f32_e32 v62, 1.0, v59
	v_add_f32_e32 v60, v56, v60
	s_delay_alu instid0(VALU_DEP_2) | instskip(NEXT) | instid1(VALU_DEP_2)
	v_sub_f32_e32 v58, v58, v62
	v_add_f32_e32 v62, v61, v60
	s_delay_alu instid0(VALU_DEP_2) | instskip(NEXT) | instid1(VALU_DEP_2)
	v_add_f32_e32 v56, v56, v58
	v_rcp_f32_e32 v58, v62
	v_sub_f32_e32 v61, v61, v62
	s_delay_alu instid0(VALU_DEP_1) | instskip(NEXT) | instid1(VALU_DEP_1)
	v_dual_add_f32 v63, v59, v56 :: v_dual_add_f32 v60, v60, v61
	v_sub_f32_e32 v59, v59, v63
	s_waitcnt_depctr 0xfff
	v_mul_f32_e32 v64, v63, v58
	s_delay_alu instid0(VALU_DEP_1) | instskip(NEXT) | instid1(VALU_DEP_1)
	v_dual_add_f32 v56, v56, v59 :: v_dual_mul_f32 v65, v62, v64
	v_fma_f32 v61, v64, v62, -v65
	s_delay_alu instid0(VALU_DEP_1) | instskip(NEXT) | instid1(VALU_DEP_1)
	v_fmac_f32_e32 v61, v64, v60
	v_add_f32_e32 v66, v65, v61
	s_delay_alu instid0(VALU_DEP_1) | instskip(SKIP_1) | instid1(VALU_DEP_2)
	v_sub_f32_e32 v67, v63, v66
	v_sub_f32_e32 v59, v66, v65
	;; [unrolled: 1-line block ×3, first 2 shown]
	s_delay_alu instid0(VALU_DEP_2) | instskip(NEXT) | instid1(VALU_DEP_2)
	v_sub_f32_e32 v59, v59, v61
	v_sub_f32_e32 v63, v63, v66
	s_delay_alu instid0(VALU_DEP_1) | instskip(NEXT) | instid1(VALU_DEP_1)
	v_add_f32_e32 v56, v56, v63
	v_add_f32_e32 v56, v59, v56
	s_delay_alu instid0(VALU_DEP_1) | instskip(NEXT) | instid1(VALU_DEP_1)
	v_add_f32_e32 v59, v67, v56
	v_mul_f32_e32 v61, v58, v59
	s_delay_alu instid0(VALU_DEP_1) | instskip(NEXT) | instid1(VALU_DEP_1)
	v_dual_sub_f32 v66, v67, v59 :: v_dual_mul_f32 v63, v62, v61
	v_add_f32_e32 v56, v56, v66
	s_delay_alu instid0(VALU_DEP_2) | instskip(NEXT) | instid1(VALU_DEP_1)
	v_fma_f32 v62, v61, v62, -v63
	v_fmac_f32_e32 v62, v61, v60
	s_delay_alu instid0(VALU_DEP_1) | instskip(NEXT) | instid1(VALU_DEP_1)
	v_add_f32_e32 v60, v63, v62
	v_sub_f32_e32 v65, v59, v60
	v_sub_f32_e32 v63, v60, v63
	s_delay_alu instid0(VALU_DEP_2) | instskip(NEXT) | instid1(VALU_DEP_1)
	v_sub_f32_e32 v59, v59, v65
	v_sub_f32_e32 v59, v59, v60
	s_delay_alu instid0(VALU_DEP_3) | instskip(NEXT) | instid1(VALU_DEP_2)
	v_sub_f32_e32 v60, v63, v62
	v_add_f32_e32 v56, v56, v59
	v_add_f32_e32 v59, v64, v61
	s_delay_alu instid0(VALU_DEP_2) | instskip(NEXT) | instid1(VALU_DEP_2)
	v_add_f32_e32 v56, v60, v56
	v_sub_f32_e32 v60, v59, v64
	s_delay_alu instid0(VALU_DEP_2) | instskip(NEXT) | instid1(VALU_DEP_2)
	v_add_f32_e32 v56, v65, v56
	v_sub_f32_e32 v60, v61, v60
	s_delay_alu instid0(VALU_DEP_2) | instskip(NEXT) | instid1(VALU_DEP_1)
	v_mul_f32_e32 v56, v58, v56
	v_add_f32_e32 v56, v60, v56
	s_delay_alu instid0(VALU_DEP_1) | instskip(NEXT) | instid1(VALU_DEP_1)
	v_add_f32_e32 v58, v59, v56
	v_mul_f32_e32 v60, v58, v58
	s_delay_alu instid0(VALU_DEP_1) | instskip(SKIP_2) | instid1(VALU_DEP_3)
	v_fmaak_f32 v61, s1, v60, 0x3ecc95a3
	v_mul_f32_e32 v62, v58, v60
	v_cmp_eq_f32_e64 s1, 0x7f800000, v57
	v_fmaak_f32 v60, v60, v61, 0x3f2aaada
	v_ldexp_f32 v61, v58, 1
	v_sub_f32_e32 v58, v58, v59
	s_delay_alu instid0(VALU_DEP_4) | instskip(NEXT) | instid1(VALU_DEP_3)
	s_or_b32 s1, s1, s50
	v_mul_f32_e32 v60, v62, v60
	v_mul_f32_e32 v62, 0x3f317218, v55
	s_delay_alu instid0(VALU_DEP_2) | instskip(NEXT) | instid1(VALU_DEP_1)
	v_dual_sub_f32 v56, v56, v58 :: v_dual_add_f32 v59, v61, v60
	v_ldexp_f32 v56, v56, 1
	s_delay_alu instid0(VALU_DEP_2) | instskip(NEXT) | instid1(VALU_DEP_4)
	v_sub_f32_e32 v58, v59, v61
	v_fma_f32 v61, 0x3f317218, v55, -v62
	s_delay_alu instid0(VALU_DEP_1) | instskip(NEXT) | instid1(VALU_DEP_1)
	v_dual_sub_f32 v58, v60, v58 :: v_dual_fmamk_f32 v55, v55, 0xb102e308, v61
	v_add_f32_e32 v56, v56, v58
	s_delay_alu instid0(VALU_DEP_2) | instskip(NEXT) | instid1(VALU_DEP_2)
	v_add_f32_e32 v58, v62, v55
	v_add_f32_e32 v60, v59, v56
	s_delay_alu instid0(VALU_DEP_2) | instskip(NEXT) | instid1(VALU_DEP_2)
	v_sub_f32_e32 v62, v58, v62
	v_add_f32_e32 v61, v58, v60
	v_sub_f32_e32 v59, v60, v59
	s_delay_alu instid0(VALU_DEP_3) | instskip(NEXT) | instid1(VALU_DEP_2)
	v_sub_f32_e32 v55, v55, v62
	v_dual_sub_f32 v63, v61, v58 :: v_dual_sub_f32 v56, v56, v59
	s_delay_alu instid0(VALU_DEP_1) | instskip(NEXT) | instid1(VALU_DEP_2)
	v_sub_f32_e32 v64, v61, v63
	v_dual_sub_f32 v59, v60, v63 :: v_dual_add_f32 v60, v55, v56
	s_delay_alu instid0(VALU_DEP_2) | instskip(NEXT) | instid1(VALU_DEP_1)
	v_sub_f32_e32 v58, v58, v64
	v_dual_add_f32 v58, v59, v58 :: v_dual_sub_f32 v59, v60, v55
	s_delay_alu instid0(VALU_DEP_1) | instskip(NEXT) | instid1(VALU_DEP_2)
	v_add_f32_e32 v58, v60, v58
	v_sub_f32_e32 v60, v60, v59
	v_sub_f32_e32 v56, v56, v59
	s_delay_alu instid0(VALU_DEP_2) | instskip(NEXT) | instid1(VALU_DEP_1)
	v_dual_add_f32 v62, v61, v58 :: v_dual_sub_f32 v55, v55, v60
	v_sub_f32_e32 v59, v62, v61
	s_delay_alu instid0(VALU_DEP_2) | instskip(NEXT) | instid1(VALU_DEP_2)
	v_add_f32_e32 v55, v56, v55
	v_sub_f32_e32 v56, v58, v59
	s_delay_alu instid0(VALU_DEP_1) | instskip(NEXT) | instid1(VALU_DEP_1)
	v_add_f32_e32 v55, v55, v56
	v_add_f32_e32 v55, v62, v55
	s_delay_alu instid0(VALU_DEP_1) | instskip(NEXT) | instid1(VALU_DEP_1)
	v_cndmask_b32_e64 v55, v55, v57, s1
	v_add_f32_e32 v55, v54, v55
.LBB531_91:
	s_or_b32 exec_lo, exec_lo, s49
	s_delay_alu instid0(VALU_DEP_1) | instskip(SKIP_2) | instid1(VALU_DEP_2)
	v_bfe_u32 v54, v55, 16, 1
	v_cmp_o_f32_e64 s1, v55, v55
	s_mov_b32 s49, exec_lo
	v_add3_u32 v54, v55, v54, 0x7fff
	s_delay_alu instid0(VALU_DEP_1) | instskip(NEXT) | instid1(VALU_DEP_1)
	v_lshrrev_b32_e32 v54, 16, v54
	v_cndmask_b32_e64 v56, 0x7fc0, v54, s1
	v_mbcnt_lo_u32_b32 v54, -1, 0
	s_delay_alu instid0(VALU_DEP_2) | instskip(NEXT) | instid1(VALU_DEP_2)
	v_and_b32_e32 v57, 0xffff, v56
	v_and_b32_e32 v55, 15, v54
	s_delay_alu instid0(VALU_DEP_2) | instskip(NEXT) | instid1(VALU_DEP_2)
	v_mov_b32_dpp v58, v57 row_shr:1 row_mask:0xf bank_mask:0xf
	v_cmpx_ne_u32_e32 0, v55
	s_cbranch_execz .LBB531_95
; %bb.92:
	v_lshlrev_b32_e32 v56, 16, v57
	s_delay_alu instid0(VALU_DEP_1) | instskip(NEXT) | instid1(VALU_DEP_1)
	v_dual_max_f32 v58, v56, v56 :: v_dual_lshlrev_b32 v57, 16, v58
	v_max_f32_e32 v59, v57, v57
	v_cmp_u_f32_e64 s1, v57, v57
	s_delay_alu instid0(VALU_DEP_2) | instskip(SKIP_1) | instid1(VALU_DEP_2)
	v_min_f32_e32 v60, v59, v58
	v_max_f32_e32 v58, v59, v58
	v_cndmask_b32_e64 v59, v60, v57, s1
	s_delay_alu instid0(VALU_DEP_2) | instskip(SKIP_1) | instid1(VALU_DEP_1)
	v_cndmask_b32_e64 v60, v58, v57, s1
	v_cmp_u_f32_e64 s1, v56, v56
	v_cndmask_b32_e64 v58, v59, v56, s1
	s_delay_alu instid0(VALU_DEP_3) | instskip(NEXT) | instid1(VALU_DEP_2)
	v_cndmask_b32_e64 v56, v60, v56, s1
	v_cmp_class_f32_e64 s50, v58, 0x1f8
	s_delay_alu instid0(VALU_DEP_2) | instskip(NEXT) | instid1(VALU_DEP_1)
	v_cmp_neq_f32_e64 s1, v58, v56
	s_or_b32 s1, s1, s50
	s_delay_alu instid0(SALU_CYCLE_1)
	s_and_saveexec_b32 s50, s1
	s_cbranch_execz .LBB531_94
; %bb.93:
	v_sub_f32_e32 v57, v58, v56
	s_delay_alu instid0(VALU_DEP_1) | instskip(SKIP_1) | instid1(VALU_DEP_2)
	v_mul_f32_e32 v58, 0x3fb8aa3b, v57
	v_cmp_ngt_f32_e64 s1, 0xc2ce8ed0, v57
	v_fma_f32 v59, 0x3fb8aa3b, v57, -v58
	v_rndne_f32_e32 v60, v58
	s_delay_alu instid0(VALU_DEP_1) | instskip(NEXT) | instid1(VALU_DEP_1)
	v_dual_fmamk_f32 v59, v57, 0x32a5705f, v59 :: v_dual_sub_f32 v58, v58, v60
	v_add_f32_e32 v58, v58, v59
	v_cvt_i32_f32_e32 v59, v60
	s_delay_alu instid0(VALU_DEP_2) | instskip(SKIP_2) | instid1(VALU_DEP_1)
	v_exp_f32_e32 v58, v58
	s_waitcnt_depctr 0xfff
	v_ldexp_f32 v58, v58, v59
	v_cndmask_b32_e64 v58, 0, v58, s1
	v_cmp_nlt_f32_e64 s1, 0x42b17218, v57
	s_delay_alu instid0(VALU_DEP_1) | instskip(NEXT) | instid1(VALU_DEP_1)
	v_cndmask_b32_e64 v59, 0x7f800000, v58, s1
	v_add_f32_e32 v60, 1.0, v59
	v_cmp_gt_f32_e64 s51, 0x33800000, |v59|
	s_delay_alu instid0(VALU_DEP_2) | instskip(NEXT) | instid1(VALU_DEP_1)
	v_cvt_f64_f32_e32 v[57:58], v60
	v_frexp_exp_i32_f64_e32 v57, v[57:58]
	v_frexp_mant_f32_e32 v58, v60
	s_delay_alu instid0(VALU_DEP_1) | instskip(SKIP_1) | instid1(VALU_DEP_1)
	v_cmp_gt_f32_e64 s1, 0x3f2aaaab, v58
	v_add_f32_e32 v58, -1.0, v60
	v_sub_f32_e32 v62, v58, v60
	v_sub_f32_e32 v58, v59, v58
	s_delay_alu instid0(VALU_DEP_4) | instskip(SKIP_1) | instid1(VALU_DEP_1)
	v_subrev_co_ci_u32_e64 v57, s1, 0, v57, s1
	s_mov_b32 s1, 0x3e9b6dac
	v_sub_nc_u32_e32 v61, 0, v57
	v_cvt_f32_i32_e32 v57, v57
	s_delay_alu instid0(VALU_DEP_2) | instskip(NEXT) | instid1(VALU_DEP_1)
	v_ldexp_f32 v60, v60, v61
	v_dual_add_f32 v63, 1.0, v60 :: v_dual_add_f32 v62, 1.0, v62
	s_delay_alu instid0(VALU_DEP_1) | instskip(NEXT) | instid1(VALU_DEP_2)
	v_add_f32_e32 v58, v58, v62
	v_add_f32_e32 v62, -1.0, v63
	s_delay_alu instid0(VALU_DEP_2) | instskip(NEXT) | instid1(VALU_DEP_2)
	v_ldexp_f32 v58, v58, v61
	v_dual_add_f32 v61, -1.0, v60 :: v_dual_sub_f32 v62, v60, v62
	s_delay_alu instid0(VALU_DEP_1) | instskip(NEXT) | instid1(VALU_DEP_2)
	v_add_f32_e32 v64, 1.0, v61
	v_add_f32_e32 v62, v58, v62
	s_delay_alu instid0(VALU_DEP_2) | instskip(NEXT) | instid1(VALU_DEP_2)
	v_sub_f32_e32 v60, v60, v64
	v_add_f32_e32 v64, v63, v62
	s_delay_alu instid0(VALU_DEP_2) | instskip(NEXT) | instid1(VALU_DEP_2)
	v_add_f32_e32 v58, v58, v60
	v_rcp_f32_e32 v60, v64
	v_sub_f32_e32 v63, v63, v64
	s_delay_alu instid0(VALU_DEP_1) | instskip(NEXT) | instid1(VALU_DEP_1)
	v_dual_add_f32 v65, v61, v58 :: v_dual_add_f32 v62, v62, v63
	v_sub_f32_e32 v61, v61, v65
	s_waitcnt_depctr 0xfff
	v_mul_f32_e32 v66, v65, v60
	s_delay_alu instid0(VALU_DEP_1) | instskip(NEXT) | instid1(VALU_DEP_1)
	v_dual_add_f32 v58, v58, v61 :: v_dual_mul_f32 v67, v64, v66
	v_fma_f32 v63, v66, v64, -v67
	s_delay_alu instid0(VALU_DEP_1) | instskip(NEXT) | instid1(VALU_DEP_1)
	v_fmac_f32_e32 v63, v66, v62
	v_add_f32_e32 v68, v67, v63
	s_delay_alu instid0(VALU_DEP_1) | instskip(SKIP_1) | instid1(VALU_DEP_2)
	v_sub_f32_e32 v69, v65, v68
	v_sub_f32_e32 v61, v68, v67
	;; [unrolled: 1-line block ×3, first 2 shown]
	s_delay_alu instid0(VALU_DEP_2) | instskip(NEXT) | instid1(VALU_DEP_2)
	v_sub_f32_e32 v61, v61, v63
	v_sub_f32_e32 v65, v65, v68
	s_delay_alu instid0(VALU_DEP_1) | instskip(NEXT) | instid1(VALU_DEP_1)
	v_add_f32_e32 v58, v58, v65
	v_add_f32_e32 v58, v61, v58
	s_delay_alu instid0(VALU_DEP_1) | instskip(NEXT) | instid1(VALU_DEP_1)
	v_add_f32_e32 v61, v69, v58
	v_mul_f32_e32 v63, v60, v61
	s_delay_alu instid0(VALU_DEP_1) | instskip(NEXT) | instid1(VALU_DEP_1)
	v_dual_sub_f32 v68, v69, v61 :: v_dual_mul_f32 v65, v64, v63
	v_add_f32_e32 v58, v58, v68
	s_delay_alu instid0(VALU_DEP_2) | instskip(NEXT) | instid1(VALU_DEP_1)
	v_fma_f32 v64, v63, v64, -v65
	v_fmac_f32_e32 v64, v63, v62
	s_delay_alu instid0(VALU_DEP_1) | instskip(NEXT) | instid1(VALU_DEP_1)
	v_add_f32_e32 v62, v65, v64
	v_sub_f32_e32 v67, v61, v62
	v_sub_f32_e32 v65, v62, v65
	s_delay_alu instid0(VALU_DEP_2) | instskip(NEXT) | instid1(VALU_DEP_1)
	v_sub_f32_e32 v61, v61, v67
	v_sub_f32_e32 v61, v61, v62
	s_delay_alu instid0(VALU_DEP_3) | instskip(NEXT) | instid1(VALU_DEP_2)
	v_sub_f32_e32 v62, v65, v64
	v_add_f32_e32 v58, v58, v61
	v_add_f32_e32 v61, v66, v63
	s_delay_alu instid0(VALU_DEP_2) | instskip(NEXT) | instid1(VALU_DEP_2)
	v_add_f32_e32 v58, v62, v58
	v_sub_f32_e32 v62, v61, v66
	s_delay_alu instid0(VALU_DEP_2) | instskip(NEXT) | instid1(VALU_DEP_2)
	v_add_f32_e32 v58, v67, v58
	v_sub_f32_e32 v62, v63, v62
	s_delay_alu instid0(VALU_DEP_2) | instskip(NEXT) | instid1(VALU_DEP_1)
	v_mul_f32_e32 v58, v60, v58
	v_add_f32_e32 v58, v62, v58
	s_delay_alu instid0(VALU_DEP_1) | instskip(NEXT) | instid1(VALU_DEP_1)
	v_add_f32_e32 v60, v61, v58
	v_mul_f32_e32 v62, v60, v60
	s_delay_alu instid0(VALU_DEP_1) | instskip(SKIP_2) | instid1(VALU_DEP_3)
	v_fmaak_f32 v63, s1, v62, 0x3ecc95a3
	v_mul_f32_e32 v64, v60, v62
	v_cmp_eq_f32_e64 s1, 0x7f800000, v59
	v_fmaak_f32 v62, v62, v63, 0x3f2aaada
	v_ldexp_f32 v63, v60, 1
	v_sub_f32_e32 v60, v60, v61
	s_delay_alu instid0(VALU_DEP_4) | instskip(NEXT) | instid1(VALU_DEP_3)
	s_or_b32 s1, s1, s51
	v_mul_f32_e32 v62, v64, v62
	v_mul_f32_e32 v64, 0x3f317218, v57
	s_delay_alu instid0(VALU_DEP_2) | instskip(NEXT) | instid1(VALU_DEP_1)
	v_dual_sub_f32 v58, v58, v60 :: v_dual_add_f32 v61, v63, v62
	v_ldexp_f32 v58, v58, 1
	s_delay_alu instid0(VALU_DEP_2) | instskip(NEXT) | instid1(VALU_DEP_4)
	v_sub_f32_e32 v60, v61, v63
	v_fma_f32 v63, 0x3f317218, v57, -v64
	s_delay_alu instid0(VALU_DEP_1) | instskip(NEXT) | instid1(VALU_DEP_1)
	v_dual_sub_f32 v60, v62, v60 :: v_dual_fmamk_f32 v57, v57, 0xb102e308, v63
	v_add_f32_e32 v58, v58, v60
	s_delay_alu instid0(VALU_DEP_2) | instskip(NEXT) | instid1(VALU_DEP_2)
	v_add_f32_e32 v60, v64, v57
	v_add_f32_e32 v62, v61, v58
	s_delay_alu instid0(VALU_DEP_2) | instskip(NEXT) | instid1(VALU_DEP_2)
	v_sub_f32_e32 v64, v60, v64
	v_add_f32_e32 v63, v60, v62
	v_sub_f32_e32 v61, v62, v61
	s_delay_alu instid0(VALU_DEP_3) | instskip(NEXT) | instid1(VALU_DEP_2)
	v_sub_f32_e32 v57, v57, v64
	v_dual_sub_f32 v65, v63, v60 :: v_dual_sub_f32 v58, v58, v61
	s_delay_alu instid0(VALU_DEP_1) | instskip(NEXT) | instid1(VALU_DEP_2)
	v_sub_f32_e32 v66, v63, v65
	v_dual_sub_f32 v61, v62, v65 :: v_dual_add_f32 v62, v57, v58
	s_delay_alu instid0(VALU_DEP_2) | instskip(NEXT) | instid1(VALU_DEP_1)
	v_sub_f32_e32 v60, v60, v66
	v_dual_add_f32 v60, v61, v60 :: v_dual_sub_f32 v61, v62, v57
	s_delay_alu instid0(VALU_DEP_1) | instskip(NEXT) | instid1(VALU_DEP_2)
	v_add_f32_e32 v60, v62, v60
	v_sub_f32_e32 v62, v62, v61
	v_sub_f32_e32 v58, v58, v61
	s_delay_alu instid0(VALU_DEP_2) | instskip(NEXT) | instid1(VALU_DEP_1)
	v_dual_add_f32 v64, v63, v60 :: v_dual_sub_f32 v57, v57, v62
	v_sub_f32_e32 v61, v64, v63
	s_delay_alu instid0(VALU_DEP_2) | instskip(NEXT) | instid1(VALU_DEP_2)
	v_add_f32_e32 v57, v58, v57
	v_sub_f32_e32 v58, v60, v61
	s_delay_alu instid0(VALU_DEP_1) | instskip(NEXT) | instid1(VALU_DEP_1)
	v_add_f32_e32 v57, v57, v58
	v_add_f32_e32 v57, v64, v57
	s_delay_alu instid0(VALU_DEP_1) | instskip(NEXT) | instid1(VALU_DEP_1)
	v_cndmask_b32_e64 v57, v57, v59, s1
	v_add_f32_e32 v57, v56, v57
.LBB531_94:
	s_or_b32 exec_lo, exec_lo, s50
	s_delay_alu instid0(VALU_DEP_1) | instskip(SKIP_1) | instid1(VALU_DEP_2)
	v_bfe_u32 v56, v57, 16, 1
	v_cmp_o_f32_e64 s1, v57, v57
	v_add3_u32 v56, v57, v56, 0x7fff
	s_delay_alu instid0(VALU_DEP_1) | instskip(NEXT) | instid1(VALU_DEP_1)
	v_lshrrev_b32_e32 v56, 16, v56
	v_cndmask_b32_e64 v56, 0x7fc0, v56, s1
	s_delay_alu instid0(VALU_DEP_1)
	v_and_b32_e32 v57, 0xffff, v56
.LBB531_95:
	s_or_b32 exec_lo, exec_lo, s49
	s_delay_alu instid0(VALU_DEP_1)
	v_mov_b32_dpp v58, v57 row_shr:2 row_mask:0xf bank_mask:0xf
	s_mov_b32 s49, exec_lo
	v_cmpx_lt_u32_e32 1, v55
	s_cbranch_execz .LBB531_99
; %bb.96:
	v_lshlrev_b32_e32 v56, 16, v57
	s_delay_alu instid0(VALU_DEP_1) | instskip(NEXT) | instid1(VALU_DEP_1)
	v_dual_max_f32 v58, v56, v56 :: v_dual_lshlrev_b32 v57, 16, v58
	v_max_f32_e32 v59, v57, v57
	v_cmp_u_f32_e64 s1, v57, v57
	s_delay_alu instid0(VALU_DEP_2) | instskip(SKIP_1) | instid1(VALU_DEP_2)
	v_min_f32_e32 v60, v59, v58
	v_max_f32_e32 v58, v59, v58
	v_cndmask_b32_e64 v59, v60, v57, s1
	s_delay_alu instid0(VALU_DEP_2) | instskip(SKIP_1) | instid1(VALU_DEP_1)
	v_cndmask_b32_e64 v60, v58, v57, s1
	v_cmp_u_f32_e64 s1, v56, v56
	v_cndmask_b32_e64 v58, v59, v56, s1
	s_delay_alu instid0(VALU_DEP_3) | instskip(NEXT) | instid1(VALU_DEP_2)
	v_cndmask_b32_e64 v56, v60, v56, s1
	v_cmp_class_f32_e64 s50, v58, 0x1f8
	s_delay_alu instid0(VALU_DEP_2) | instskip(NEXT) | instid1(VALU_DEP_1)
	v_cmp_neq_f32_e64 s1, v58, v56
	s_or_b32 s1, s1, s50
	s_delay_alu instid0(SALU_CYCLE_1)
	s_and_saveexec_b32 s50, s1
	s_cbranch_execz .LBB531_98
; %bb.97:
	v_sub_f32_e32 v57, v58, v56
	s_delay_alu instid0(VALU_DEP_1) | instskip(SKIP_1) | instid1(VALU_DEP_2)
	v_mul_f32_e32 v58, 0x3fb8aa3b, v57
	v_cmp_ngt_f32_e64 s1, 0xc2ce8ed0, v57
	v_fma_f32 v59, 0x3fb8aa3b, v57, -v58
	v_rndne_f32_e32 v60, v58
	s_delay_alu instid0(VALU_DEP_1) | instskip(NEXT) | instid1(VALU_DEP_1)
	v_dual_fmamk_f32 v59, v57, 0x32a5705f, v59 :: v_dual_sub_f32 v58, v58, v60
	v_add_f32_e32 v58, v58, v59
	v_cvt_i32_f32_e32 v59, v60
	s_delay_alu instid0(VALU_DEP_2) | instskip(SKIP_2) | instid1(VALU_DEP_1)
	v_exp_f32_e32 v58, v58
	s_waitcnt_depctr 0xfff
	v_ldexp_f32 v58, v58, v59
	v_cndmask_b32_e64 v58, 0, v58, s1
	v_cmp_nlt_f32_e64 s1, 0x42b17218, v57
	s_delay_alu instid0(VALU_DEP_1) | instskip(NEXT) | instid1(VALU_DEP_1)
	v_cndmask_b32_e64 v59, 0x7f800000, v58, s1
	v_add_f32_e32 v60, 1.0, v59
	v_cmp_gt_f32_e64 s51, 0x33800000, |v59|
	s_delay_alu instid0(VALU_DEP_2) | instskip(NEXT) | instid1(VALU_DEP_1)
	v_cvt_f64_f32_e32 v[57:58], v60
	v_frexp_exp_i32_f64_e32 v57, v[57:58]
	v_frexp_mant_f32_e32 v58, v60
	s_delay_alu instid0(VALU_DEP_1) | instskip(SKIP_1) | instid1(VALU_DEP_1)
	v_cmp_gt_f32_e64 s1, 0x3f2aaaab, v58
	v_add_f32_e32 v58, -1.0, v60
	v_sub_f32_e32 v62, v58, v60
	v_sub_f32_e32 v58, v59, v58
	s_delay_alu instid0(VALU_DEP_4) | instskip(SKIP_1) | instid1(VALU_DEP_1)
	v_subrev_co_ci_u32_e64 v57, s1, 0, v57, s1
	s_mov_b32 s1, 0x3e9b6dac
	v_sub_nc_u32_e32 v61, 0, v57
	v_cvt_f32_i32_e32 v57, v57
	s_delay_alu instid0(VALU_DEP_2) | instskip(NEXT) | instid1(VALU_DEP_1)
	v_ldexp_f32 v60, v60, v61
	v_dual_add_f32 v63, 1.0, v60 :: v_dual_add_f32 v62, 1.0, v62
	s_delay_alu instid0(VALU_DEP_1) | instskip(NEXT) | instid1(VALU_DEP_2)
	v_add_f32_e32 v58, v58, v62
	v_add_f32_e32 v62, -1.0, v63
	s_delay_alu instid0(VALU_DEP_2) | instskip(NEXT) | instid1(VALU_DEP_2)
	v_ldexp_f32 v58, v58, v61
	v_dual_add_f32 v61, -1.0, v60 :: v_dual_sub_f32 v62, v60, v62
	s_delay_alu instid0(VALU_DEP_1) | instskip(NEXT) | instid1(VALU_DEP_2)
	v_add_f32_e32 v64, 1.0, v61
	v_add_f32_e32 v62, v58, v62
	s_delay_alu instid0(VALU_DEP_2) | instskip(NEXT) | instid1(VALU_DEP_2)
	v_sub_f32_e32 v60, v60, v64
	v_add_f32_e32 v64, v63, v62
	s_delay_alu instid0(VALU_DEP_2) | instskip(NEXT) | instid1(VALU_DEP_2)
	v_add_f32_e32 v58, v58, v60
	v_rcp_f32_e32 v60, v64
	v_sub_f32_e32 v63, v63, v64
	s_delay_alu instid0(VALU_DEP_1) | instskip(NEXT) | instid1(VALU_DEP_1)
	v_dual_add_f32 v65, v61, v58 :: v_dual_add_f32 v62, v62, v63
	v_sub_f32_e32 v61, v61, v65
	s_waitcnt_depctr 0xfff
	v_mul_f32_e32 v66, v65, v60
	s_delay_alu instid0(VALU_DEP_1) | instskip(NEXT) | instid1(VALU_DEP_1)
	v_dual_add_f32 v58, v58, v61 :: v_dual_mul_f32 v67, v64, v66
	v_fma_f32 v63, v66, v64, -v67
	s_delay_alu instid0(VALU_DEP_1) | instskip(NEXT) | instid1(VALU_DEP_1)
	v_fmac_f32_e32 v63, v66, v62
	v_add_f32_e32 v68, v67, v63
	s_delay_alu instid0(VALU_DEP_1) | instskip(SKIP_1) | instid1(VALU_DEP_2)
	v_sub_f32_e32 v69, v65, v68
	v_sub_f32_e32 v61, v68, v67
	;; [unrolled: 1-line block ×3, first 2 shown]
	s_delay_alu instid0(VALU_DEP_2) | instskip(NEXT) | instid1(VALU_DEP_2)
	v_sub_f32_e32 v61, v61, v63
	v_sub_f32_e32 v65, v65, v68
	s_delay_alu instid0(VALU_DEP_1) | instskip(NEXT) | instid1(VALU_DEP_1)
	v_add_f32_e32 v58, v58, v65
	v_add_f32_e32 v58, v61, v58
	s_delay_alu instid0(VALU_DEP_1) | instskip(NEXT) | instid1(VALU_DEP_1)
	v_add_f32_e32 v61, v69, v58
	v_mul_f32_e32 v63, v60, v61
	s_delay_alu instid0(VALU_DEP_1) | instskip(NEXT) | instid1(VALU_DEP_1)
	v_dual_sub_f32 v68, v69, v61 :: v_dual_mul_f32 v65, v64, v63
	v_add_f32_e32 v58, v58, v68
	s_delay_alu instid0(VALU_DEP_2) | instskip(NEXT) | instid1(VALU_DEP_1)
	v_fma_f32 v64, v63, v64, -v65
	v_fmac_f32_e32 v64, v63, v62
	s_delay_alu instid0(VALU_DEP_1) | instskip(NEXT) | instid1(VALU_DEP_1)
	v_add_f32_e32 v62, v65, v64
	v_sub_f32_e32 v67, v61, v62
	v_sub_f32_e32 v65, v62, v65
	s_delay_alu instid0(VALU_DEP_2) | instskip(NEXT) | instid1(VALU_DEP_1)
	v_sub_f32_e32 v61, v61, v67
	v_sub_f32_e32 v61, v61, v62
	s_delay_alu instid0(VALU_DEP_3) | instskip(NEXT) | instid1(VALU_DEP_2)
	v_sub_f32_e32 v62, v65, v64
	v_add_f32_e32 v58, v58, v61
	v_add_f32_e32 v61, v66, v63
	s_delay_alu instid0(VALU_DEP_2) | instskip(NEXT) | instid1(VALU_DEP_2)
	v_add_f32_e32 v58, v62, v58
	v_sub_f32_e32 v62, v61, v66
	s_delay_alu instid0(VALU_DEP_2) | instskip(NEXT) | instid1(VALU_DEP_2)
	v_add_f32_e32 v58, v67, v58
	v_sub_f32_e32 v62, v63, v62
	s_delay_alu instid0(VALU_DEP_2) | instskip(NEXT) | instid1(VALU_DEP_1)
	v_mul_f32_e32 v58, v60, v58
	v_add_f32_e32 v58, v62, v58
	s_delay_alu instid0(VALU_DEP_1) | instskip(NEXT) | instid1(VALU_DEP_1)
	v_add_f32_e32 v60, v61, v58
	v_mul_f32_e32 v62, v60, v60
	s_delay_alu instid0(VALU_DEP_1) | instskip(SKIP_2) | instid1(VALU_DEP_3)
	v_fmaak_f32 v63, s1, v62, 0x3ecc95a3
	v_mul_f32_e32 v64, v60, v62
	v_cmp_eq_f32_e64 s1, 0x7f800000, v59
	v_fmaak_f32 v62, v62, v63, 0x3f2aaada
	v_ldexp_f32 v63, v60, 1
	v_sub_f32_e32 v60, v60, v61
	s_delay_alu instid0(VALU_DEP_4) | instskip(NEXT) | instid1(VALU_DEP_3)
	s_or_b32 s1, s1, s51
	v_mul_f32_e32 v62, v64, v62
	v_mul_f32_e32 v64, 0x3f317218, v57
	s_delay_alu instid0(VALU_DEP_2) | instskip(NEXT) | instid1(VALU_DEP_1)
	v_dual_sub_f32 v58, v58, v60 :: v_dual_add_f32 v61, v63, v62
	v_ldexp_f32 v58, v58, 1
	s_delay_alu instid0(VALU_DEP_2) | instskip(NEXT) | instid1(VALU_DEP_4)
	v_sub_f32_e32 v60, v61, v63
	v_fma_f32 v63, 0x3f317218, v57, -v64
	s_delay_alu instid0(VALU_DEP_1) | instskip(NEXT) | instid1(VALU_DEP_1)
	v_dual_sub_f32 v60, v62, v60 :: v_dual_fmamk_f32 v57, v57, 0xb102e308, v63
	v_add_f32_e32 v58, v58, v60
	s_delay_alu instid0(VALU_DEP_2) | instskip(NEXT) | instid1(VALU_DEP_2)
	v_add_f32_e32 v60, v64, v57
	v_add_f32_e32 v62, v61, v58
	s_delay_alu instid0(VALU_DEP_2) | instskip(NEXT) | instid1(VALU_DEP_2)
	v_sub_f32_e32 v64, v60, v64
	v_add_f32_e32 v63, v60, v62
	v_sub_f32_e32 v61, v62, v61
	s_delay_alu instid0(VALU_DEP_3) | instskip(NEXT) | instid1(VALU_DEP_2)
	v_sub_f32_e32 v57, v57, v64
	v_dual_sub_f32 v65, v63, v60 :: v_dual_sub_f32 v58, v58, v61
	s_delay_alu instid0(VALU_DEP_1) | instskip(NEXT) | instid1(VALU_DEP_2)
	v_sub_f32_e32 v66, v63, v65
	v_dual_sub_f32 v61, v62, v65 :: v_dual_add_f32 v62, v57, v58
	s_delay_alu instid0(VALU_DEP_2) | instskip(NEXT) | instid1(VALU_DEP_1)
	v_sub_f32_e32 v60, v60, v66
	v_dual_add_f32 v60, v61, v60 :: v_dual_sub_f32 v61, v62, v57
	s_delay_alu instid0(VALU_DEP_1) | instskip(NEXT) | instid1(VALU_DEP_2)
	v_add_f32_e32 v60, v62, v60
	v_sub_f32_e32 v62, v62, v61
	v_sub_f32_e32 v58, v58, v61
	s_delay_alu instid0(VALU_DEP_2) | instskip(NEXT) | instid1(VALU_DEP_1)
	v_dual_add_f32 v64, v63, v60 :: v_dual_sub_f32 v57, v57, v62
	v_sub_f32_e32 v61, v64, v63
	s_delay_alu instid0(VALU_DEP_2) | instskip(NEXT) | instid1(VALU_DEP_2)
	v_add_f32_e32 v57, v58, v57
	v_sub_f32_e32 v58, v60, v61
	s_delay_alu instid0(VALU_DEP_1) | instskip(NEXT) | instid1(VALU_DEP_1)
	v_add_f32_e32 v57, v57, v58
	v_add_f32_e32 v57, v64, v57
	s_delay_alu instid0(VALU_DEP_1) | instskip(NEXT) | instid1(VALU_DEP_1)
	v_cndmask_b32_e64 v57, v57, v59, s1
	v_add_f32_e32 v57, v56, v57
.LBB531_98:
	s_or_b32 exec_lo, exec_lo, s50
	s_delay_alu instid0(VALU_DEP_1) | instskip(SKIP_1) | instid1(VALU_DEP_2)
	v_bfe_u32 v56, v57, 16, 1
	v_cmp_o_f32_e64 s1, v57, v57
	v_add3_u32 v56, v57, v56, 0x7fff
	s_delay_alu instid0(VALU_DEP_1) | instskip(NEXT) | instid1(VALU_DEP_1)
	v_lshrrev_b32_e32 v56, 16, v56
	v_cndmask_b32_e64 v56, 0x7fc0, v56, s1
	s_delay_alu instid0(VALU_DEP_1)
	v_and_b32_e32 v57, 0xffff, v56
.LBB531_99:
	s_or_b32 exec_lo, exec_lo, s49
	s_delay_alu instid0(VALU_DEP_1)
	v_mov_b32_dpp v58, v57 row_shr:4 row_mask:0xf bank_mask:0xf
	s_mov_b32 s49, exec_lo
	v_cmpx_lt_u32_e32 3, v55
	s_cbranch_execz .LBB531_103
; %bb.100:
	v_lshlrev_b32_e32 v56, 16, v57
	s_delay_alu instid0(VALU_DEP_1) | instskip(NEXT) | instid1(VALU_DEP_1)
	v_dual_max_f32 v58, v56, v56 :: v_dual_lshlrev_b32 v57, 16, v58
	v_max_f32_e32 v59, v57, v57
	v_cmp_u_f32_e64 s1, v57, v57
	s_delay_alu instid0(VALU_DEP_2) | instskip(SKIP_1) | instid1(VALU_DEP_2)
	v_min_f32_e32 v60, v59, v58
	v_max_f32_e32 v58, v59, v58
	v_cndmask_b32_e64 v59, v60, v57, s1
	s_delay_alu instid0(VALU_DEP_2) | instskip(SKIP_1) | instid1(VALU_DEP_1)
	v_cndmask_b32_e64 v60, v58, v57, s1
	v_cmp_u_f32_e64 s1, v56, v56
	v_cndmask_b32_e64 v58, v59, v56, s1
	s_delay_alu instid0(VALU_DEP_3) | instskip(NEXT) | instid1(VALU_DEP_2)
	v_cndmask_b32_e64 v56, v60, v56, s1
	v_cmp_class_f32_e64 s50, v58, 0x1f8
	s_delay_alu instid0(VALU_DEP_2) | instskip(NEXT) | instid1(VALU_DEP_1)
	v_cmp_neq_f32_e64 s1, v58, v56
	s_or_b32 s1, s1, s50
	s_delay_alu instid0(SALU_CYCLE_1)
	s_and_saveexec_b32 s50, s1
	s_cbranch_execz .LBB531_102
; %bb.101:
	v_sub_f32_e32 v57, v58, v56
	s_delay_alu instid0(VALU_DEP_1) | instskip(SKIP_1) | instid1(VALU_DEP_2)
	v_mul_f32_e32 v58, 0x3fb8aa3b, v57
	v_cmp_ngt_f32_e64 s1, 0xc2ce8ed0, v57
	v_fma_f32 v59, 0x3fb8aa3b, v57, -v58
	v_rndne_f32_e32 v60, v58
	s_delay_alu instid0(VALU_DEP_1) | instskip(NEXT) | instid1(VALU_DEP_1)
	v_dual_fmamk_f32 v59, v57, 0x32a5705f, v59 :: v_dual_sub_f32 v58, v58, v60
	v_add_f32_e32 v58, v58, v59
	v_cvt_i32_f32_e32 v59, v60
	s_delay_alu instid0(VALU_DEP_2) | instskip(SKIP_2) | instid1(VALU_DEP_1)
	v_exp_f32_e32 v58, v58
	s_waitcnt_depctr 0xfff
	v_ldexp_f32 v58, v58, v59
	v_cndmask_b32_e64 v58, 0, v58, s1
	v_cmp_nlt_f32_e64 s1, 0x42b17218, v57
	s_delay_alu instid0(VALU_DEP_1) | instskip(NEXT) | instid1(VALU_DEP_1)
	v_cndmask_b32_e64 v59, 0x7f800000, v58, s1
	v_add_f32_e32 v60, 1.0, v59
	v_cmp_gt_f32_e64 s51, 0x33800000, |v59|
	s_delay_alu instid0(VALU_DEP_2) | instskip(NEXT) | instid1(VALU_DEP_1)
	v_cvt_f64_f32_e32 v[57:58], v60
	v_frexp_exp_i32_f64_e32 v57, v[57:58]
	v_frexp_mant_f32_e32 v58, v60
	s_delay_alu instid0(VALU_DEP_1) | instskip(SKIP_1) | instid1(VALU_DEP_1)
	v_cmp_gt_f32_e64 s1, 0x3f2aaaab, v58
	v_add_f32_e32 v58, -1.0, v60
	v_sub_f32_e32 v62, v58, v60
	v_sub_f32_e32 v58, v59, v58
	s_delay_alu instid0(VALU_DEP_4) | instskip(SKIP_1) | instid1(VALU_DEP_1)
	v_subrev_co_ci_u32_e64 v57, s1, 0, v57, s1
	s_mov_b32 s1, 0x3e9b6dac
	v_sub_nc_u32_e32 v61, 0, v57
	v_cvt_f32_i32_e32 v57, v57
	s_delay_alu instid0(VALU_DEP_2) | instskip(NEXT) | instid1(VALU_DEP_1)
	v_ldexp_f32 v60, v60, v61
	v_dual_add_f32 v63, 1.0, v60 :: v_dual_add_f32 v62, 1.0, v62
	s_delay_alu instid0(VALU_DEP_1) | instskip(NEXT) | instid1(VALU_DEP_2)
	v_add_f32_e32 v58, v58, v62
	v_add_f32_e32 v62, -1.0, v63
	s_delay_alu instid0(VALU_DEP_2) | instskip(NEXT) | instid1(VALU_DEP_2)
	v_ldexp_f32 v58, v58, v61
	v_dual_add_f32 v61, -1.0, v60 :: v_dual_sub_f32 v62, v60, v62
	s_delay_alu instid0(VALU_DEP_1) | instskip(NEXT) | instid1(VALU_DEP_2)
	v_add_f32_e32 v64, 1.0, v61
	v_add_f32_e32 v62, v58, v62
	s_delay_alu instid0(VALU_DEP_2) | instskip(NEXT) | instid1(VALU_DEP_2)
	v_sub_f32_e32 v60, v60, v64
	v_add_f32_e32 v64, v63, v62
	s_delay_alu instid0(VALU_DEP_2) | instskip(NEXT) | instid1(VALU_DEP_2)
	v_add_f32_e32 v58, v58, v60
	v_rcp_f32_e32 v60, v64
	v_sub_f32_e32 v63, v63, v64
	s_delay_alu instid0(VALU_DEP_1) | instskip(NEXT) | instid1(VALU_DEP_1)
	v_dual_add_f32 v65, v61, v58 :: v_dual_add_f32 v62, v62, v63
	v_sub_f32_e32 v61, v61, v65
	s_waitcnt_depctr 0xfff
	v_mul_f32_e32 v66, v65, v60
	s_delay_alu instid0(VALU_DEP_1) | instskip(NEXT) | instid1(VALU_DEP_1)
	v_dual_add_f32 v58, v58, v61 :: v_dual_mul_f32 v67, v64, v66
	v_fma_f32 v63, v66, v64, -v67
	s_delay_alu instid0(VALU_DEP_1) | instskip(NEXT) | instid1(VALU_DEP_1)
	v_fmac_f32_e32 v63, v66, v62
	v_add_f32_e32 v68, v67, v63
	s_delay_alu instid0(VALU_DEP_1) | instskip(SKIP_1) | instid1(VALU_DEP_2)
	v_sub_f32_e32 v69, v65, v68
	v_sub_f32_e32 v61, v68, v67
	;; [unrolled: 1-line block ×3, first 2 shown]
	s_delay_alu instid0(VALU_DEP_2) | instskip(NEXT) | instid1(VALU_DEP_2)
	v_sub_f32_e32 v61, v61, v63
	v_sub_f32_e32 v65, v65, v68
	s_delay_alu instid0(VALU_DEP_1) | instskip(NEXT) | instid1(VALU_DEP_1)
	v_add_f32_e32 v58, v58, v65
	v_add_f32_e32 v58, v61, v58
	s_delay_alu instid0(VALU_DEP_1) | instskip(NEXT) | instid1(VALU_DEP_1)
	v_add_f32_e32 v61, v69, v58
	v_mul_f32_e32 v63, v60, v61
	s_delay_alu instid0(VALU_DEP_1) | instskip(NEXT) | instid1(VALU_DEP_1)
	v_dual_sub_f32 v68, v69, v61 :: v_dual_mul_f32 v65, v64, v63
	v_add_f32_e32 v58, v58, v68
	s_delay_alu instid0(VALU_DEP_2) | instskip(NEXT) | instid1(VALU_DEP_1)
	v_fma_f32 v64, v63, v64, -v65
	v_fmac_f32_e32 v64, v63, v62
	s_delay_alu instid0(VALU_DEP_1) | instskip(NEXT) | instid1(VALU_DEP_1)
	v_add_f32_e32 v62, v65, v64
	v_sub_f32_e32 v67, v61, v62
	v_sub_f32_e32 v65, v62, v65
	s_delay_alu instid0(VALU_DEP_2) | instskip(NEXT) | instid1(VALU_DEP_1)
	v_sub_f32_e32 v61, v61, v67
	v_sub_f32_e32 v61, v61, v62
	s_delay_alu instid0(VALU_DEP_3) | instskip(NEXT) | instid1(VALU_DEP_2)
	v_sub_f32_e32 v62, v65, v64
	v_add_f32_e32 v58, v58, v61
	v_add_f32_e32 v61, v66, v63
	s_delay_alu instid0(VALU_DEP_2) | instskip(NEXT) | instid1(VALU_DEP_2)
	v_add_f32_e32 v58, v62, v58
	v_sub_f32_e32 v62, v61, v66
	s_delay_alu instid0(VALU_DEP_2) | instskip(NEXT) | instid1(VALU_DEP_2)
	v_add_f32_e32 v58, v67, v58
	v_sub_f32_e32 v62, v63, v62
	s_delay_alu instid0(VALU_DEP_2) | instskip(NEXT) | instid1(VALU_DEP_1)
	v_mul_f32_e32 v58, v60, v58
	v_add_f32_e32 v58, v62, v58
	s_delay_alu instid0(VALU_DEP_1) | instskip(NEXT) | instid1(VALU_DEP_1)
	v_add_f32_e32 v60, v61, v58
	v_mul_f32_e32 v62, v60, v60
	s_delay_alu instid0(VALU_DEP_1) | instskip(SKIP_2) | instid1(VALU_DEP_3)
	v_fmaak_f32 v63, s1, v62, 0x3ecc95a3
	v_mul_f32_e32 v64, v60, v62
	v_cmp_eq_f32_e64 s1, 0x7f800000, v59
	v_fmaak_f32 v62, v62, v63, 0x3f2aaada
	v_ldexp_f32 v63, v60, 1
	v_sub_f32_e32 v60, v60, v61
	s_delay_alu instid0(VALU_DEP_4) | instskip(NEXT) | instid1(VALU_DEP_3)
	s_or_b32 s1, s1, s51
	v_mul_f32_e32 v62, v64, v62
	v_mul_f32_e32 v64, 0x3f317218, v57
	s_delay_alu instid0(VALU_DEP_2) | instskip(NEXT) | instid1(VALU_DEP_1)
	v_dual_sub_f32 v58, v58, v60 :: v_dual_add_f32 v61, v63, v62
	v_ldexp_f32 v58, v58, 1
	s_delay_alu instid0(VALU_DEP_2) | instskip(NEXT) | instid1(VALU_DEP_4)
	v_sub_f32_e32 v60, v61, v63
	v_fma_f32 v63, 0x3f317218, v57, -v64
	s_delay_alu instid0(VALU_DEP_1) | instskip(NEXT) | instid1(VALU_DEP_1)
	v_dual_sub_f32 v60, v62, v60 :: v_dual_fmamk_f32 v57, v57, 0xb102e308, v63
	v_add_f32_e32 v58, v58, v60
	s_delay_alu instid0(VALU_DEP_2) | instskip(NEXT) | instid1(VALU_DEP_2)
	v_add_f32_e32 v60, v64, v57
	v_add_f32_e32 v62, v61, v58
	s_delay_alu instid0(VALU_DEP_2) | instskip(NEXT) | instid1(VALU_DEP_2)
	v_sub_f32_e32 v64, v60, v64
	v_add_f32_e32 v63, v60, v62
	v_sub_f32_e32 v61, v62, v61
	s_delay_alu instid0(VALU_DEP_3) | instskip(NEXT) | instid1(VALU_DEP_2)
	v_sub_f32_e32 v57, v57, v64
	v_dual_sub_f32 v65, v63, v60 :: v_dual_sub_f32 v58, v58, v61
	s_delay_alu instid0(VALU_DEP_1) | instskip(NEXT) | instid1(VALU_DEP_2)
	v_sub_f32_e32 v66, v63, v65
	v_dual_sub_f32 v61, v62, v65 :: v_dual_add_f32 v62, v57, v58
	s_delay_alu instid0(VALU_DEP_2) | instskip(NEXT) | instid1(VALU_DEP_1)
	v_sub_f32_e32 v60, v60, v66
	v_dual_add_f32 v60, v61, v60 :: v_dual_sub_f32 v61, v62, v57
	s_delay_alu instid0(VALU_DEP_1) | instskip(NEXT) | instid1(VALU_DEP_2)
	v_add_f32_e32 v60, v62, v60
	v_sub_f32_e32 v62, v62, v61
	v_sub_f32_e32 v58, v58, v61
	s_delay_alu instid0(VALU_DEP_2) | instskip(NEXT) | instid1(VALU_DEP_1)
	v_dual_add_f32 v64, v63, v60 :: v_dual_sub_f32 v57, v57, v62
	v_sub_f32_e32 v61, v64, v63
	s_delay_alu instid0(VALU_DEP_2) | instskip(NEXT) | instid1(VALU_DEP_2)
	v_add_f32_e32 v57, v58, v57
	v_sub_f32_e32 v58, v60, v61
	s_delay_alu instid0(VALU_DEP_1) | instskip(NEXT) | instid1(VALU_DEP_1)
	v_add_f32_e32 v57, v57, v58
	v_add_f32_e32 v57, v64, v57
	s_delay_alu instid0(VALU_DEP_1) | instskip(NEXT) | instid1(VALU_DEP_1)
	v_cndmask_b32_e64 v57, v57, v59, s1
	v_add_f32_e32 v57, v56, v57
.LBB531_102:
	s_or_b32 exec_lo, exec_lo, s50
	s_delay_alu instid0(VALU_DEP_1) | instskip(SKIP_1) | instid1(VALU_DEP_2)
	v_bfe_u32 v56, v57, 16, 1
	v_cmp_o_f32_e64 s1, v57, v57
	v_add3_u32 v56, v57, v56, 0x7fff
	s_delay_alu instid0(VALU_DEP_1) | instskip(NEXT) | instid1(VALU_DEP_1)
	v_lshrrev_b32_e32 v56, 16, v56
	v_cndmask_b32_e64 v56, 0x7fc0, v56, s1
	s_delay_alu instid0(VALU_DEP_1)
	v_and_b32_e32 v57, 0xffff, v56
.LBB531_103:
	s_or_b32 exec_lo, exec_lo, s49
	s_delay_alu instid0(VALU_DEP_1)
	v_mov_b32_dpp v58, v57 row_shr:8 row_mask:0xf bank_mask:0xf
	s_mov_b32 s49, exec_lo
	v_cmpx_lt_u32_e32 7, v55
	s_cbranch_execz .LBB531_107
; %bb.104:
	s_delay_alu instid0(VALU_DEP_2) | instskip(NEXT) | instid1(VALU_DEP_1)
	v_lshlrev_b32_e32 v56, 16, v58
	v_dual_max_f32 v58, v56, v56 :: v_dual_lshlrev_b32 v55, 16, v57
	s_delay_alu instid0(VALU_DEP_1) | instskip(SKIP_1) | instid1(VALU_DEP_2)
	v_max_f32_e32 v57, v55, v55
	v_cmp_u_f32_e64 s1, v56, v56
	v_min_f32_e32 v59, v58, v57
	v_max_f32_e32 v57, v58, v57
	s_delay_alu instid0(VALU_DEP_2) | instskip(NEXT) | instid1(VALU_DEP_2)
	v_cndmask_b32_e64 v58, v59, v56, s1
	v_cndmask_b32_e64 v59, v57, v56, s1
	v_cmp_u_f32_e64 s1, v55, v55
	s_delay_alu instid0(VALU_DEP_1) | instskip(NEXT) | instid1(VALU_DEP_3)
	v_cndmask_b32_e64 v57, v58, v55, s1
	v_cndmask_b32_e64 v55, v59, v55, s1
	s_delay_alu instid0(VALU_DEP_2) | instskip(NEXT) | instid1(VALU_DEP_2)
	v_cmp_class_f32_e64 s50, v57, 0x1f8
	v_cmp_neq_f32_e64 s1, v57, v55
	s_delay_alu instid0(VALU_DEP_1) | instskip(NEXT) | instid1(SALU_CYCLE_1)
	s_or_b32 s1, s1, s50
	s_and_saveexec_b32 s50, s1
	s_cbranch_execz .LBB531_106
; %bb.105:
	v_sub_f32_e32 v56, v57, v55
	s_delay_alu instid0(VALU_DEP_1) | instskip(SKIP_1) | instid1(VALU_DEP_2)
	v_mul_f32_e32 v57, 0x3fb8aa3b, v56
	v_cmp_ngt_f32_e64 s1, 0xc2ce8ed0, v56
	v_fma_f32 v58, 0x3fb8aa3b, v56, -v57
	v_rndne_f32_e32 v59, v57
	s_delay_alu instid0(VALU_DEP_1) | instskip(NEXT) | instid1(VALU_DEP_1)
	v_dual_fmamk_f32 v58, v56, 0x32a5705f, v58 :: v_dual_sub_f32 v57, v57, v59
	v_add_f32_e32 v57, v57, v58
	v_cvt_i32_f32_e32 v58, v59
	s_delay_alu instid0(VALU_DEP_2) | instskip(SKIP_2) | instid1(VALU_DEP_1)
	v_exp_f32_e32 v57, v57
	s_waitcnt_depctr 0xfff
	v_ldexp_f32 v57, v57, v58
	v_cndmask_b32_e64 v57, 0, v57, s1
	v_cmp_nlt_f32_e64 s1, 0x42b17218, v56
	s_delay_alu instid0(VALU_DEP_1) | instskip(NEXT) | instid1(VALU_DEP_1)
	v_cndmask_b32_e64 v58, 0x7f800000, v57, s1
	v_add_f32_e32 v59, 1.0, v58
	v_cmp_gt_f32_e64 s51, 0x33800000, |v58|
	s_delay_alu instid0(VALU_DEP_2) | instskip(NEXT) | instid1(VALU_DEP_1)
	v_cvt_f64_f32_e32 v[56:57], v59
	v_frexp_exp_i32_f64_e32 v56, v[56:57]
	v_frexp_mant_f32_e32 v57, v59
	s_delay_alu instid0(VALU_DEP_1) | instskip(SKIP_1) | instid1(VALU_DEP_1)
	v_cmp_gt_f32_e64 s1, 0x3f2aaaab, v57
	v_add_f32_e32 v57, -1.0, v59
	v_sub_f32_e32 v61, v57, v59
	v_sub_f32_e32 v57, v58, v57
	s_delay_alu instid0(VALU_DEP_4) | instskip(SKIP_1) | instid1(VALU_DEP_1)
	v_subrev_co_ci_u32_e64 v56, s1, 0, v56, s1
	s_mov_b32 s1, 0x3e9b6dac
	v_sub_nc_u32_e32 v60, 0, v56
	v_cvt_f32_i32_e32 v56, v56
	s_delay_alu instid0(VALU_DEP_2) | instskip(NEXT) | instid1(VALU_DEP_1)
	v_ldexp_f32 v59, v59, v60
	v_dual_add_f32 v62, 1.0, v59 :: v_dual_add_f32 v61, 1.0, v61
	s_delay_alu instid0(VALU_DEP_1) | instskip(NEXT) | instid1(VALU_DEP_2)
	v_add_f32_e32 v57, v57, v61
	v_add_f32_e32 v61, -1.0, v62
	s_delay_alu instid0(VALU_DEP_2) | instskip(NEXT) | instid1(VALU_DEP_2)
	v_ldexp_f32 v57, v57, v60
	v_dual_add_f32 v60, -1.0, v59 :: v_dual_sub_f32 v61, v59, v61
	s_delay_alu instid0(VALU_DEP_1) | instskip(NEXT) | instid1(VALU_DEP_2)
	v_add_f32_e32 v63, 1.0, v60
	v_add_f32_e32 v61, v57, v61
	s_delay_alu instid0(VALU_DEP_2) | instskip(NEXT) | instid1(VALU_DEP_2)
	v_sub_f32_e32 v59, v59, v63
	v_add_f32_e32 v63, v62, v61
	s_delay_alu instid0(VALU_DEP_2) | instskip(NEXT) | instid1(VALU_DEP_2)
	v_add_f32_e32 v57, v57, v59
	v_rcp_f32_e32 v59, v63
	v_sub_f32_e32 v62, v62, v63
	s_delay_alu instid0(VALU_DEP_1) | instskip(NEXT) | instid1(VALU_DEP_1)
	v_dual_add_f32 v64, v60, v57 :: v_dual_add_f32 v61, v61, v62
	v_sub_f32_e32 v60, v60, v64
	s_waitcnt_depctr 0xfff
	v_mul_f32_e32 v65, v64, v59
	s_delay_alu instid0(VALU_DEP_1) | instskip(NEXT) | instid1(VALU_DEP_1)
	v_dual_add_f32 v57, v57, v60 :: v_dual_mul_f32 v66, v63, v65
	v_fma_f32 v62, v65, v63, -v66
	s_delay_alu instid0(VALU_DEP_1) | instskip(NEXT) | instid1(VALU_DEP_1)
	v_fmac_f32_e32 v62, v65, v61
	v_add_f32_e32 v67, v66, v62
	s_delay_alu instid0(VALU_DEP_1) | instskip(SKIP_1) | instid1(VALU_DEP_2)
	v_sub_f32_e32 v68, v64, v67
	v_sub_f32_e32 v60, v67, v66
	;; [unrolled: 1-line block ×3, first 2 shown]
	s_delay_alu instid0(VALU_DEP_2) | instskip(NEXT) | instid1(VALU_DEP_2)
	v_sub_f32_e32 v60, v60, v62
	v_sub_f32_e32 v64, v64, v67
	s_delay_alu instid0(VALU_DEP_1) | instskip(NEXT) | instid1(VALU_DEP_1)
	v_add_f32_e32 v57, v57, v64
	v_add_f32_e32 v57, v60, v57
	s_delay_alu instid0(VALU_DEP_1) | instskip(NEXT) | instid1(VALU_DEP_1)
	v_add_f32_e32 v60, v68, v57
	v_mul_f32_e32 v62, v59, v60
	s_delay_alu instid0(VALU_DEP_1) | instskip(NEXT) | instid1(VALU_DEP_1)
	v_dual_sub_f32 v67, v68, v60 :: v_dual_mul_f32 v64, v63, v62
	v_add_f32_e32 v57, v57, v67
	s_delay_alu instid0(VALU_DEP_2) | instskip(NEXT) | instid1(VALU_DEP_1)
	v_fma_f32 v63, v62, v63, -v64
	v_fmac_f32_e32 v63, v62, v61
	s_delay_alu instid0(VALU_DEP_1) | instskip(NEXT) | instid1(VALU_DEP_1)
	v_add_f32_e32 v61, v64, v63
	v_sub_f32_e32 v66, v60, v61
	v_sub_f32_e32 v64, v61, v64
	s_delay_alu instid0(VALU_DEP_2) | instskip(NEXT) | instid1(VALU_DEP_1)
	v_sub_f32_e32 v60, v60, v66
	v_sub_f32_e32 v60, v60, v61
	s_delay_alu instid0(VALU_DEP_3) | instskip(NEXT) | instid1(VALU_DEP_2)
	v_sub_f32_e32 v61, v64, v63
	v_add_f32_e32 v57, v57, v60
	v_add_f32_e32 v60, v65, v62
	s_delay_alu instid0(VALU_DEP_2) | instskip(NEXT) | instid1(VALU_DEP_2)
	v_add_f32_e32 v57, v61, v57
	v_sub_f32_e32 v61, v60, v65
	s_delay_alu instid0(VALU_DEP_2) | instskip(NEXT) | instid1(VALU_DEP_2)
	v_add_f32_e32 v57, v66, v57
	v_sub_f32_e32 v61, v62, v61
	s_delay_alu instid0(VALU_DEP_2) | instskip(NEXT) | instid1(VALU_DEP_1)
	v_mul_f32_e32 v57, v59, v57
	v_add_f32_e32 v57, v61, v57
	s_delay_alu instid0(VALU_DEP_1) | instskip(NEXT) | instid1(VALU_DEP_1)
	v_add_f32_e32 v59, v60, v57
	v_mul_f32_e32 v61, v59, v59
	s_delay_alu instid0(VALU_DEP_1) | instskip(SKIP_2) | instid1(VALU_DEP_3)
	v_fmaak_f32 v62, s1, v61, 0x3ecc95a3
	v_mul_f32_e32 v63, v59, v61
	v_cmp_eq_f32_e64 s1, 0x7f800000, v58
	v_fmaak_f32 v61, v61, v62, 0x3f2aaada
	v_ldexp_f32 v62, v59, 1
	v_sub_f32_e32 v59, v59, v60
	s_delay_alu instid0(VALU_DEP_4) | instskip(NEXT) | instid1(VALU_DEP_3)
	s_or_b32 s1, s1, s51
	v_mul_f32_e32 v61, v63, v61
	v_mul_f32_e32 v63, 0x3f317218, v56
	s_delay_alu instid0(VALU_DEP_2) | instskip(NEXT) | instid1(VALU_DEP_1)
	v_dual_sub_f32 v57, v57, v59 :: v_dual_add_f32 v60, v62, v61
	v_ldexp_f32 v57, v57, 1
	s_delay_alu instid0(VALU_DEP_2) | instskip(NEXT) | instid1(VALU_DEP_4)
	v_sub_f32_e32 v59, v60, v62
	v_fma_f32 v62, 0x3f317218, v56, -v63
	s_delay_alu instid0(VALU_DEP_1) | instskip(NEXT) | instid1(VALU_DEP_1)
	v_dual_sub_f32 v59, v61, v59 :: v_dual_fmamk_f32 v56, v56, 0xb102e308, v62
	v_add_f32_e32 v57, v57, v59
	s_delay_alu instid0(VALU_DEP_2) | instskip(NEXT) | instid1(VALU_DEP_2)
	v_add_f32_e32 v59, v63, v56
	v_add_f32_e32 v61, v60, v57
	s_delay_alu instid0(VALU_DEP_2) | instskip(NEXT) | instid1(VALU_DEP_2)
	v_sub_f32_e32 v63, v59, v63
	v_add_f32_e32 v62, v59, v61
	v_sub_f32_e32 v60, v61, v60
	s_delay_alu instid0(VALU_DEP_3) | instskip(NEXT) | instid1(VALU_DEP_2)
	v_sub_f32_e32 v56, v56, v63
	v_dual_sub_f32 v64, v62, v59 :: v_dual_sub_f32 v57, v57, v60
	s_delay_alu instid0(VALU_DEP_1) | instskip(NEXT) | instid1(VALU_DEP_2)
	v_sub_f32_e32 v65, v62, v64
	v_dual_sub_f32 v60, v61, v64 :: v_dual_add_f32 v61, v56, v57
	s_delay_alu instid0(VALU_DEP_2) | instskip(NEXT) | instid1(VALU_DEP_1)
	v_sub_f32_e32 v59, v59, v65
	v_dual_add_f32 v59, v60, v59 :: v_dual_sub_f32 v60, v61, v56
	s_delay_alu instid0(VALU_DEP_1) | instskip(NEXT) | instid1(VALU_DEP_2)
	v_add_f32_e32 v59, v61, v59
	v_sub_f32_e32 v61, v61, v60
	v_sub_f32_e32 v57, v57, v60
	s_delay_alu instid0(VALU_DEP_2) | instskip(NEXT) | instid1(VALU_DEP_1)
	v_dual_add_f32 v63, v62, v59 :: v_dual_sub_f32 v56, v56, v61
	v_sub_f32_e32 v60, v63, v62
	s_delay_alu instid0(VALU_DEP_2) | instskip(NEXT) | instid1(VALU_DEP_2)
	v_add_f32_e32 v56, v57, v56
	v_sub_f32_e32 v57, v59, v60
	s_delay_alu instid0(VALU_DEP_1) | instskip(NEXT) | instid1(VALU_DEP_1)
	v_add_f32_e32 v56, v56, v57
	v_add_f32_e32 v56, v63, v56
	s_delay_alu instid0(VALU_DEP_1) | instskip(NEXT) | instid1(VALU_DEP_1)
	v_cndmask_b32_e64 v56, v56, v58, s1
	v_add_f32_e32 v56, v55, v56
.LBB531_106:
	s_or_b32 exec_lo, exec_lo, s50
	s_delay_alu instid0(VALU_DEP_1) | instskip(SKIP_1) | instid1(VALU_DEP_2)
	v_bfe_u32 v55, v56, 16, 1
	v_cmp_o_f32_e64 s1, v56, v56
	v_add3_u32 v55, v56, v55, 0x7fff
	s_delay_alu instid0(VALU_DEP_1) | instskip(NEXT) | instid1(VALU_DEP_1)
	v_lshrrev_b32_e32 v55, 16, v55
	v_cndmask_b32_e64 v56, 0x7fc0, v55, s1
	s_delay_alu instid0(VALU_DEP_1)
	v_and_b32_e32 v57, 0xffff, v56
.LBB531_107:
	s_or_b32 exec_lo, exec_lo, s49
	ds_swizzle_b32 v55, v57 offset:swizzle(BROADCAST,32,15)
	v_and_b32_e32 v58, 16, v54
	s_mov_b32 s49, exec_lo
	s_delay_alu instid0(VALU_DEP_1)
	v_cmpx_ne_u32_e32 0, v58
	s_cbranch_execz .LBB531_111
; %bb.108:
	s_waitcnt lgkmcnt(0)
	v_lshlrev_b32_e32 v56, 16, v55
	s_delay_alu instid0(VALU_DEP_1) | instskip(NEXT) | instid1(VALU_DEP_1)
	v_dual_max_f32 v57, v56, v56 :: v_dual_lshlrev_b32 v58, 16, v57
	v_max_f32_e32 v55, v58, v58
	v_cmp_u_f32_e64 s1, v56, v56
	s_delay_alu instid0(VALU_DEP_2) | instskip(SKIP_1) | instid1(VALU_DEP_2)
	v_min_f32_e32 v59, v57, v55
	v_max_f32_e32 v55, v57, v55
	v_cndmask_b32_e64 v57, v59, v56, s1
	s_delay_alu instid0(VALU_DEP_2) | instskip(SKIP_1) | instid1(VALU_DEP_1)
	v_cndmask_b32_e64 v55, v55, v56, s1
	v_cmp_u_f32_e64 s1, v58, v58
	v_cndmask_b32_e64 v57, v57, v58, s1
	s_delay_alu instid0(VALU_DEP_3) | instskip(NEXT) | instid1(VALU_DEP_2)
	v_cndmask_b32_e64 v55, v55, v58, s1
	v_cmp_class_f32_e64 s50, v57, 0x1f8
	s_delay_alu instid0(VALU_DEP_2) | instskip(NEXT) | instid1(VALU_DEP_1)
	v_cmp_neq_f32_e64 s1, v57, v55
	s_or_b32 s1, s1, s50
	s_delay_alu instid0(SALU_CYCLE_1)
	s_and_saveexec_b32 s50, s1
	s_cbranch_execz .LBB531_110
; %bb.109:
	v_sub_f32_e32 v56, v57, v55
	s_delay_alu instid0(VALU_DEP_1) | instskip(SKIP_1) | instid1(VALU_DEP_2)
	v_mul_f32_e32 v57, 0x3fb8aa3b, v56
	v_cmp_ngt_f32_e64 s1, 0xc2ce8ed0, v56
	v_fma_f32 v58, 0x3fb8aa3b, v56, -v57
	v_rndne_f32_e32 v59, v57
	s_delay_alu instid0(VALU_DEP_1) | instskip(NEXT) | instid1(VALU_DEP_1)
	v_dual_fmamk_f32 v58, v56, 0x32a5705f, v58 :: v_dual_sub_f32 v57, v57, v59
	v_add_f32_e32 v57, v57, v58
	v_cvt_i32_f32_e32 v58, v59
	s_delay_alu instid0(VALU_DEP_2) | instskip(SKIP_2) | instid1(VALU_DEP_1)
	v_exp_f32_e32 v57, v57
	s_waitcnt_depctr 0xfff
	v_ldexp_f32 v57, v57, v58
	v_cndmask_b32_e64 v57, 0, v57, s1
	v_cmp_nlt_f32_e64 s1, 0x42b17218, v56
	s_delay_alu instid0(VALU_DEP_1) | instskip(NEXT) | instid1(VALU_DEP_1)
	v_cndmask_b32_e64 v58, 0x7f800000, v57, s1
	v_add_f32_e32 v59, 1.0, v58
	v_cmp_gt_f32_e64 s51, 0x33800000, |v58|
	s_delay_alu instid0(VALU_DEP_2) | instskip(NEXT) | instid1(VALU_DEP_1)
	v_cvt_f64_f32_e32 v[56:57], v59
	v_frexp_exp_i32_f64_e32 v56, v[56:57]
	v_frexp_mant_f32_e32 v57, v59
	s_delay_alu instid0(VALU_DEP_1) | instskip(SKIP_1) | instid1(VALU_DEP_1)
	v_cmp_gt_f32_e64 s1, 0x3f2aaaab, v57
	v_add_f32_e32 v57, -1.0, v59
	v_sub_f32_e32 v61, v57, v59
	v_sub_f32_e32 v57, v58, v57
	s_delay_alu instid0(VALU_DEP_4) | instskip(SKIP_1) | instid1(VALU_DEP_1)
	v_subrev_co_ci_u32_e64 v56, s1, 0, v56, s1
	s_mov_b32 s1, 0x3e9b6dac
	v_sub_nc_u32_e32 v60, 0, v56
	v_cvt_f32_i32_e32 v56, v56
	s_delay_alu instid0(VALU_DEP_2) | instskip(NEXT) | instid1(VALU_DEP_1)
	v_ldexp_f32 v59, v59, v60
	v_dual_add_f32 v62, 1.0, v59 :: v_dual_add_f32 v61, 1.0, v61
	s_delay_alu instid0(VALU_DEP_1) | instskip(NEXT) | instid1(VALU_DEP_2)
	v_add_f32_e32 v57, v57, v61
	v_add_f32_e32 v61, -1.0, v62
	s_delay_alu instid0(VALU_DEP_2) | instskip(NEXT) | instid1(VALU_DEP_2)
	v_ldexp_f32 v57, v57, v60
	v_dual_add_f32 v60, -1.0, v59 :: v_dual_sub_f32 v61, v59, v61
	s_delay_alu instid0(VALU_DEP_1) | instskip(NEXT) | instid1(VALU_DEP_2)
	v_add_f32_e32 v63, 1.0, v60
	v_add_f32_e32 v61, v57, v61
	s_delay_alu instid0(VALU_DEP_2) | instskip(NEXT) | instid1(VALU_DEP_2)
	v_sub_f32_e32 v59, v59, v63
	v_add_f32_e32 v63, v62, v61
	s_delay_alu instid0(VALU_DEP_2) | instskip(NEXT) | instid1(VALU_DEP_2)
	v_add_f32_e32 v57, v57, v59
	v_rcp_f32_e32 v59, v63
	v_sub_f32_e32 v62, v62, v63
	s_delay_alu instid0(VALU_DEP_1) | instskip(NEXT) | instid1(VALU_DEP_1)
	v_dual_add_f32 v64, v60, v57 :: v_dual_add_f32 v61, v61, v62
	v_sub_f32_e32 v60, v60, v64
	s_waitcnt_depctr 0xfff
	v_mul_f32_e32 v65, v64, v59
	s_delay_alu instid0(VALU_DEP_1) | instskip(NEXT) | instid1(VALU_DEP_1)
	v_dual_add_f32 v57, v57, v60 :: v_dual_mul_f32 v66, v63, v65
	v_fma_f32 v62, v65, v63, -v66
	s_delay_alu instid0(VALU_DEP_1) | instskip(NEXT) | instid1(VALU_DEP_1)
	v_fmac_f32_e32 v62, v65, v61
	v_add_f32_e32 v67, v66, v62
	s_delay_alu instid0(VALU_DEP_1) | instskip(SKIP_1) | instid1(VALU_DEP_2)
	v_sub_f32_e32 v68, v64, v67
	v_sub_f32_e32 v60, v67, v66
	;; [unrolled: 1-line block ×3, first 2 shown]
	s_delay_alu instid0(VALU_DEP_2) | instskip(NEXT) | instid1(VALU_DEP_2)
	v_sub_f32_e32 v60, v60, v62
	v_sub_f32_e32 v64, v64, v67
	s_delay_alu instid0(VALU_DEP_1) | instskip(NEXT) | instid1(VALU_DEP_1)
	v_add_f32_e32 v57, v57, v64
	v_add_f32_e32 v57, v60, v57
	s_delay_alu instid0(VALU_DEP_1) | instskip(NEXT) | instid1(VALU_DEP_1)
	v_add_f32_e32 v60, v68, v57
	v_mul_f32_e32 v62, v59, v60
	s_delay_alu instid0(VALU_DEP_1) | instskip(NEXT) | instid1(VALU_DEP_1)
	v_dual_sub_f32 v67, v68, v60 :: v_dual_mul_f32 v64, v63, v62
	v_add_f32_e32 v57, v57, v67
	s_delay_alu instid0(VALU_DEP_2) | instskip(NEXT) | instid1(VALU_DEP_1)
	v_fma_f32 v63, v62, v63, -v64
	v_fmac_f32_e32 v63, v62, v61
	s_delay_alu instid0(VALU_DEP_1) | instskip(NEXT) | instid1(VALU_DEP_1)
	v_add_f32_e32 v61, v64, v63
	v_sub_f32_e32 v66, v60, v61
	v_sub_f32_e32 v64, v61, v64
	s_delay_alu instid0(VALU_DEP_2) | instskip(NEXT) | instid1(VALU_DEP_1)
	v_sub_f32_e32 v60, v60, v66
	v_sub_f32_e32 v60, v60, v61
	s_delay_alu instid0(VALU_DEP_3) | instskip(NEXT) | instid1(VALU_DEP_2)
	v_sub_f32_e32 v61, v64, v63
	v_add_f32_e32 v57, v57, v60
	v_add_f32_e32 v60, v65, v62
	s_delay_alu instid0(VALU_DEP_2) | instskip(NEXT) | instid1(VALU_DEP_2)
	v_add_f32_e32 v57, v61, v57
	v_sub_f32_e32 v61, v60, v65
	s_delay_alu instid0(VALU_DEP_2) | instskip(NEXT) | instid1(VALU_DEP_2)
	v_add_f32_e32 v57, v66, v57
	v_sub_f32_e32 v61, v62, v61
	s_delay_alu instid0(VALU_DEP_2) | instskip(NEXT) | instid1(VALU_DEP_1)
	v_mul_f32_e32 v57, v59, v57
	v_add_f32_e32 v57, v61, v57
	s_delay_alu instid0(VALU_DEP_1) | instskip(NEXT) | instid1(VALU_DEP_1)
	v_add_f32_e32 v59, v60, v57
	v_mul_f32_e32 v61, v59, v59
	s_delay_alu instid0(VALU_DEP_1) | instskip(SKIP_2) | instid1(VALU_DEP_3)
	v_fmaak_f32 v62, s1, v61, 0x3ecc95a3
	v_mul_f32_e32 v63, v59, v61
	v_cmp_eq_f32_e64 s1, 0x7f800000, v58
	v_fmaak_f32 v61, v61, v62, 0x3f2aaada
	v_ldexp_f32 v62, v59, 1
	v_sub_f32_e32 v59, v59, v60
	s_delay_alu instid0(VALU_DEP_4) | instskip(NEXT) | instid1(VALU_DEP_3)
	s_or_b32 s1, s1, s51
	v_mul_f32_e32 v61, v63, v61
	v_mul_f32_e32 v63, 0x3f317218, v56
	s_delay_alu instid0(VALU_DEP_2) | instskip(NEXT) | instid1(VALU_DEP_1)
	v_dual_sub_f32 v57, v57, v59 :: v_dual_add_f32 v60, v62, v61
	v_ldexp_f32 v57, v57, 1
	s_delay_alu instid0(VALU_DEP_2) | instskip(NEXT) | instid1(VALU_DEP_4)
	v_sub_f32_e32 v59, v60, v62
	v_fma_f32 v62, 0x3f317218, v56, -v63
	s_delay_alu instid0(VALU_DEP_1) | instskip(NEXT) | instid1(VALU_DEP_1)
	v_dual_sub_f32 v59, v61, v59 :: v_dual_fmamk_f32 v56, v56, 0xb102e308, v62
	v_add_f32_e32 v57, v57, v59
	s_delay_alu instid0(VALU_DEP_2) | instskip(NEXT) | instid1(VALU_DEP_2)
	v_add_f32_e32 v59, v63, v56
	v_add_f32_e32 v61, v60, v57
	s_delay_alu instid0(VALU_DEP_2) | instskip(NEXT) | instid1(VALU_DEP_2)
	v_sub_f32_e32 v63, v59, v63
	v_add_f32_e32 v62, v59, v61
	v_sub_f32_e32 v60, v61, v60
	s_delay_alu instid0(VALU_DEP_3) | instskip(NEXT) | instid1(VALU_DEP_2)
	v_sub_f32_e32 v56, v56, v63
	v_dual_sub_f32 v64, v62, v59 :: v_dual_sub_f32 v57, v57, v60
	s_delay_alu instid0(VALU_DEP_1) | instskip(NEXT) | instid1(VALU_DEP_2)
	v_sub_f32_e32 v65, v62, v64
	v_dual_sub_f32 v60, v61, v64 :: v_dual_add_f32 v61, v56, v57
	s_delay_alu instid0(VALU_DEP_2) | instskip(NEXT) | instid1(VALU_DEP_1)
	v_sub_f32_e32 v59, v59, v65
	v_dual_add_f32 v59, v60, v59 :: v_dual_sub_f32 v60, v61, v56
	s_delay_alu instid0(VALU_DEP_1) | instskip(NEXT) | instid1(VALU_DEP_2)
	v_add_f32_e32 v59, v61, v59
	v_sub_f32_e32 v61, v61, v60
	v_sub_f32_e32 v57, v57, v60
	s_delay_alu instid0(VALU_DEP_2) | instskip(NEXT) | instid1(VALU_DEP_1)
	v_dual_add_f32 v63, v62, v59 :: v_dual_sub_f32 v56, v56, v61
	v_sub_f32_e32 v60, v63, v62
	s_delay_alu instid0(VALU_DEP_2) | instskip(NEXT) | instid1(VALU_DEP_2)
	v_add_f32_e32 v56, v57, v56
	v_sub_f32_e32 v57, v59, v60
	s_delay_alu instid0(VALU_DEP_1) | instskip(NEXT) | instid1(VALU_DEP_1)
	v_add_f32_e32 v56, v56, v57
	v_add_f32_e32 v56, v63, v56
	s_delay_alu instid0(VALU_DEP_1) | instskip(NEXT) | instid1(VALU_DEP_1)
	v_cndmask_b32_e64 v56, v56, v58, s1
	v_add_f32_e32 v56, v55, v56
.LBB531_110:
	s_or_b32 exec_lo, exec_lo, s50
	s_delay_alu instid0(VALU_DEP_1) | instskip(SKIP_1) | instid1(VALU_DEP_2)
	v_bfe_u32 v55, v56, 16, 1
	v_cmp_o_f32_e64 s1, v56, v56
	v_add3_u32 v55, v56, v55, 0x7fff
	s_delay_alu instid0(VALU_DEP_1) | instskip(NEXT) | instid1(VALU_DEP_1)
	v_lshrrev_b32_e32 v55, 16, v55
	v_cndmask_b32_e64 v56, 0x7fc0, v55, s1
.LBB531_111:
	s_or_b32 exec_lo, exec_lo, s49
	s_waitcnt lgkmcnt(0)
	v_add_nc_u32_e32 v55, -1, v54
	s_delay_alu instid0(VALU_DEP_1) | instskip(NEXT) | instid1(VALU_DEP_1)
	v_cmp_gt_i32_e64 s1, 0, v55
	v_cndmask_b32_e64 v54, v55, v54, s1
	v_and_b32_e32 v55, 0xffff, v56
	s_delay_alu instid0(VALU_DEP_2) | instskip(SKIP_3) | instid1(VALU_DEP_1)
	v_lshlrev_b32_e32 v54, 2, v54
	ds_bpermute_b32 v54, v54, v55
	s_waitcnt lgkmcnt(0)
	v_lshlrev_b32_e32 v54, 16, v54
	v_max_f32_e32 v55, v54, v54
	v_cmp_u_f32_e64 s1, v54, v54
	s_delay_alu instid0(VALU_DEP_2) | instskip(SKIP_1) | instid1(VALU_DEP_2)
	v_min_f32_e32 v56, v55, v53
	v_max_f32_e32 v53, v55, v53
	v_cndmask_b32_e64 v55, v56, v54, s1
	s_delay_alu instid0(VALU_DEP_2) | instskip(NEXT) | instid1(VALU_DEP_2)
	v_cndmask_b32_e64 v56, v53, v54, s1
	v_cndmask_b32_e64 v53, v55, v52, s0
	s_delay_alu instid0(VALU_DEP_2) | instskip(NEXT) | instid1(VALU_DEP_2)
	v_cndmask_b32_e64 v52, v56, v52, s0
	v_cmp_class_f32_e64 s1, v53, 0x1f8
	s_delay_alu instid0(VALU_DEP_2) | instskip(NEXT) | instid1(VALU_DEP_1)
	v_cmp_neq_f32_e64 s0, v53, v52
	s_or_b32 s0, s0, s1
	s_delay_alu instid0(SALU_CYCLE_1)
	s_and_saveexec_b32 s1, s0
	s_cbranch_execz .LBB531_113
; %bb.112:
	v_sub_f32_e32 v53, v53, v52
	s_delay_alu instid0(VALU_DEP_1) | instskip(NEXT) | instid1(VALU_DEP_1)
	v_mul_f32_e32 v54, 0x3fb8aa3b, v53
	v_fma_f32 v55, 0x3fb8aa3b, v53, -v54
	v_rndne_f32_e32 v56, v54
	s_delay_alu instid0(VALU_DEP_1) | instskip(NEXT) | instid1(VALU_DEP_1)
	v_dual_fmamk_f32 v55, v53, 0x32a5705f, v55 :: v_dual_sub_f32 v54, v54, v56
	v_add_f32_e32 v54, v54, v55
	v_cvt_i32_f32_e32 v55, v56
	v_cmp_ngt_f32_e64 s0, 0xc2ce8ed0, v53
	s_delay_alu instid0(VALU_DEP_3) | instskip(SKIP_2) | instid1(VALU_DEP_1)
	v_exp_f32_e32 v54, v54
	s_waitcnt_depctr 0xfff
	v_ldexp_f32 v54, v54, v55
	v_cndmask_b32_e64 v54, 0, v54, s0
	v_cmp_nlt_f32_e64 s0, 0x42b17218, v53
	s_delay_alu instid0(VALU_DEP_1) | instskip(NEXT) | instid1(VALU_DEP_1)
	v_cndmask_b32_e64 v55, 0x7f800000, v54, s0
	v_add_f32_e32 v56, 1.0, v55
	v_cmp_gt_f32_e64 s49, 0x33800000, |v55|
	s_delay_alu instid0(VALU_DEP_2) | instskip(NEXT) | instid1(VALU_DEP_1)
	v_cvt_f64_f32_e32 v[53:54], v56
	v_frexp_exp_i32_f64_e32 v53, v[53:54]
	v_frexp_mant_f32_e32 v54, v56
	s_delay_alu instid0(VALU_DEP_1) | instskip(SKIP_1) | instid1(VALU_DEP_1)
	v_cmp_gt_f32_e64 s0, 0x3f2aaaab, v54
	v_add_f32_e32 v54, -1.0, v56
	v_sub_f32_e32 v58, v54, v56
	s_delay_alu instid0(VALU_DEP_3) | instskip(SKIP_1) | instid1(VALU_DEP_1)
	v_subrev_co_ci_u32_e64 v53, s0, 0, v53, s0
	s_mov_b32 s0, 0x3e9b6dac
	v_sub_nc_u32_e32 v57, 0, v53
	v_cvt_f32_i32_e32 v53, v53
	s_delay_alu instid0(VALU_DEP_2) | instskip(NEXT) | instid1(VALU_DEP_1)
	v_ldexp_f32 v56, v56, v57
	v_dual_sub_f32 v54, v55, v54 :: v_dual_add_f32 v59, 1.0, v56
	v_add_f32_e32 v58, 1.0, v58
	s_delay_alu instid0(VALU_DEP_1) | instskip(NEXT) | instid1(VALU_DEP_3)
	v_add_f32_e32 v54, v54, v58
	v_add_f32_e32 v58, -1.0, v59
	s_delay_alu instid0(VALU_DEP_2) | instskip(NEXT) | instid1(VALU_DEP_2)
	v_ldexp_f32 v54, v54, v57
	v_dual_add_f32 v57, -1.0, v56 :: v_dual_sub_f32 v58, v56, v58
	s_delay_alu instid0(VALU_DEP_1) | instskip(NEXT) | instid1(VALU_DEP_2)
	v_add_f32_e32 v60, 1.0, v57
	v_add_f32_e32 v58, v54, v58
	s_delay_alu instid0(VALU_DEP_2) | instskip(NEXT) | instid1(VALU_DEP_2)
	v_sub_f32_e32 v56, v56, v60
	v_add_f32_e32 v60, v59, v58
	s_delay_alu instid0(VALU_DEP_2) | instskip(NEXT) | instid1(VALU_DEP_2)
	v_add_f32_e32 v54, v54, v56
	v_rcp_f32_e32 v56, v60
	v_sub_f32_e32 v59, v59, v60
	s_delay_alu instid0(VALU_DEP_1) | instskip(NEXT) | instid1(VALU_DEP_1)
	v_dual_add_f32 v61, v57, v54 :: v_dual_add_f32 v58, v58, v59
	v_sub_f32_e32 v57, v57, v61
	s_waitcnt_depctr 0xfff
	v_mul_f32_e32 v62, v61, v56
	s_delay_alu instid0(VALU_DEP_1) | instskip(NEXT) | instid1(VALU_DEP_1)
	v_dual_add_f32 v54, v54, v57 :: v_dual_mul_f32 v63, v60, v62
	v_fma_f32 v59, v62, v60, -v63
	s_delay_alu instid0(VALU_DEP_1) | instskip(NEXT) | instid1(VALU_DEP_1)
	v_fmac_f32_e32 v59, v62, v58
	v_add_f32_e32 v64, v63, v59
	s_delay_alu instid0(VALU_DEP_1) | instskip(SKIP_1) | instid1(VALU_DEP_2)
	v_sub_f32_e32 v65, v61, v64
	v_sub_f32_e32 v57, v64, v63
	;; [unrolled: 1-line block ×3, first 2 shown]
	s_delay_alu instid0(VALU_DEP_2) | instskip(NEXT) | instid1(VALU_DEP_2)
	v_sub_f32_e32 v57, v57, v59
	v_sub_f32_e32 v61, v61, v64
	s_delay_alu instid0(VALU_DEP_1) | instskip(NEXT) | instid1(VALU_DEP_1)
	v_add_f32_e32 v54, v54, v61
	v_add_f32_e32 v54, v57, v54
	s_delay_alu instid0(VALU_DEP_1) | instskip(NEXT) | instid1(VALU_DEP_1)
	v_add_f32_e32 v57, v65, v54
	v_mul_f32_e32 v59, v56, v57
	s_delay_alu instid0(VALU_DEP_1) | instskip(NEXT) | instid1(VALU_DEP_1)
	v_dual_sub_f32 v64, v65, v57 :: v_dual_mul_f32 v61, v60, v59
	v_add_f32_e32 v54, v54, v64
	s_delay_alu instid0(VALU_DEP_2) | instskip(NEXT) | instid1(VALU_DEP_1)
	v_fma_f32 v60, v59, v60, -v61
	v_fmac_f32_e32 v60, v59, v58
	s_delay_alu instid0(VALU_DEP_1) | instskip(NEXT) | instid1(VALU_DEP_1)
	v_add_f32_e32 v58, v61, v60
	v_sub_f32_e32 v63, v57, v58
	v_sub_f32_e32 v61, v58, v61
	s_delay_alu instid0(VALU_DEP_2) | instskip(NEXT) | instid1(VALU_DEP_1)
	v_sub_f32_e32 v57, v57, v63
	v_sub_f32_e32 v57, v57, v58
	s_delay_alu instid0(VALU_DEP_3) | instskip(NEXT) | instid1(VALU_DEP_2)
	v_sub_f32_e32 v58, v61, v60
	v_add_f32_e32 v54, v54, v57
	v_add_f32_e32 v57, v62, v59
	s_delay_alu instid0(VALU_DEP_2) | instskip(NEXT) | instid1(VALU_DEP_2)
	v_add_f32_e32 v54, v58, v54
	v_sub_f32_e32 v58, v57, v62
	s_delay_alu instid0(VALU_DEP_2) | instskip(NEXT) | instid1(VALU_DEP_2)
	v_add_f32_e32 v54, v63, v54
	v_sub_f32_e32 v58, v59, v58
	s_delay_alu instid0(VALU_DEP_2) | instskip(NEXT) | instid1(VALU_DEP_1)
	v_mul_f32_e32 v54, v56, v54
	v_add_f32_e32 v54, v58, v54
	s_delay_alu instid0(VALU_DEP_1) | instskip(NEXT) | instid1(VALU_DEP_1)
	v_add_f32_e32 v56, v57, v54
	v_mul_f32_e32 v58, v56, v56
	s_delay_alu instid0(VALU_DEP_1) | instskip(SKIP_2) | instid1(VALU_DEP_3)
	v_fmaak_f32 v59, s0, v58, 0x3ecc95a3
	v_mul_f32_e32 v60, v56, v58
	v_cmp_eq_f32_e64 s0, 0x7f800000, v55
	v_fmaak_f32 v58, v58, v59, 0x3f2aaada
	v_ldexp_f32 v59, v56, 1
	v_sub_f32_e32 v56, v56, v57
	s_delay_alu instid0(VALU_DEP_4) | instskip(NEXT) | instid1(VALU_DEP_3)
	s_or_b32 s0, s0, s49
	v_mul_f32_e32 v58, v60, v58
	v_mul_f32_e32 v60, 0x3f317218, v53
	s_delay_alu instid0(VALU_DEP_2) | instskip(NEXT) | instid1(VALU_DEP_1)
	v_dual_sub_f32 v54, v54, v56 :: v_dual_add_f32 v57, v59, v58
	v_ldexp_f32 v54, v54, 1
	s_delay_alu instid0(VALU_DEP_2) | instskip(NEXT) | instid1(VALU_DEP_4)
	v_sub_f32_e32 v56, v57, v59
	v_fma_f32 v59, 0x3f317218, v53, -v60
	s_delay_alu instid0(VALU_DEP_1) | instskip(NEXT) | instid1(VALU_DEP_1)
	v_dual_sub_f32 v56, v58, v56 :: v_dual_fmamk_f32 v53, v53, 0xb102e308, v59
	v_add_f32_e32 v54, v54, v56
	s_delay_alu instid0(VALU_DEP_2) | instskip(NEXT) | instid1(VALU_DEP_2)
	v_add_f32_e32 v56, v60, v53
	v_add_f32_e32 v58, v57, v54
	s_delay_alu instid0(VALU_DEP_2) | instskip(NEXT) | instid1(VALU_DEP_2)
	v_sub_f32_e32 v60, v56, v60
	v_add_f32_e32 v59, v56, v58
	v_sub_f32_e32 v57, v58, v57
	s_delay_alu instid0(VALU_DEP_3) | instskip(NEXT) | instid1(VALU_DEP_2)
	v_sub_f32_e32 v53, v53, v60
	v_dual_sub_f32 v61, v59, v56 :: v_dual_sub_f32 v54, v54, v57
	s_delay_alu instid0(VALU_DEP_1) | instskip(NEXT) | instid1(VALU_DEP_2)
	v_sub_f32_e32 v62, v59, v61
	v_dual_sub_f32 v57, v58, v61 :: v_dual_add_f32 v58, v53, v54
	s_delay_alu instid0(VALU_DEP_2) | instskip(NEXT) | instid1(VALU_DEP_1)
	v_sub_f32_e32 v56, v56, v62
	v_dual_add_f32 v56, v57, v56 :: v_dual_sub_f32 v57, v58, v53
	s_delay_alu instid0(VALU_DEP_1) | instskip(NEXT) | instid1(VALU_DEP_2)
	v_add_f32_e32 v56, v58, v56
	v_sub_f32_e32 v58, v58, v57
	v_sub_f32_e32 v54, v54, v57
	s_delay_alu instid0(VALU_DEP_2) | instskip(NEXT) | instid1(VALU_DEP_1)
	v_dual_add_f32 v60, v59, v56 :: v_dual_sub_f32 v53, v53, v58
	v_sub_f32_e32 v57, v60, v59
	s_delay_alu instid0(VALU_DEP_2) | instskip(NEXT) | instid1(VALU_DEP_2)
	v_add_f32_e32 v53, v54, v53
	v_sub_f32_e32 v54, v56, v57
	s_delay_alu instid0(VALU_DEP_1) | instskip(NEXT) | instid1(VALU_DEP_1)
	v_add_f32_e32 v53, v53, v54
	v_add_f32_e32 v53, v60, v53
	s_delay_alu instid0(VALU_DEP_1) | instskip(NEXT) | instid1(VALU_DEP_1)
	v_cndmask_b32_e64 v53, v53, v55, s0
	v_add_f32_e32 v54, v52, v53
.LBB531_113:
	s_or_b32 exec_lo, exec_lo, s1
	s_delay_alu instid0(VALU_DEP_1) | instskip(SKIP_1) | instid1(VALU_DEP_2)
	v_bfe_u32 v52, v54, 16, 1
	v_cmp_o_f32_e64 s0, v54, v54
	; wave barrier
	v_add3_u32 v52, v54, v52, 0x7fff
	s_delay_alu instid0(VALU_DEP_1) | instskip(NEXT) | instid1(VALU_DEP_1)
	v_lshrrev_b32_e32 v52, 16, v52
	v_cndmask_b32_e64 v52, 0x7fc0, v52, s0
	v_cmp_eq_u32_e64 s0, 0, v0
	s_delay_alu instid0(VALU_DEP_1)
	v_cndmask_b32_e64 v52, v52, v51, s0
	ds_store_b16 v50, v52
	; wave barrier
	ds_load_u16 v54, v50 offset:2
	v_lshlrev_b32_e32 v53, 16, v52
	s_waitcnt lgkmcnt(0)
	v_lshlrev_b32_e32 v52, 16, v54
	s_delay_alu instid0(VALU_DEP_1) | instskip(NEXT) | instid1(VALU_DEP_1)
	v_dual_max_f32 v54, v53, v53 :: v_dual_max_f32 v55, v52, v52
	v_min_f32_e32 v56, v54, v55
	v_max_f32_e32 v54, v54, v55
	v_cmp_u_f32_e64 s0, v53, v53
	s_delay_alu instid0(VALU_DEP_1) | instskip(NEXT) | instid1(VALU_DEP_3)
	v_cndmask_b32_e64 v55, v56, v53, s0
	v_cndmask_b32_e64 v56, v54, v53, s0
	v_cmp_u_f32_e64 s0, v52, v52
	s_delay_alu instid0(VALU_DEP_1) | instskip(NEXT) | instid1(VALU_DEP_3)
	v_cndmask_b32_e64 v54, v55, v52, s0
	v_cndmask_b32_e64 v52, v56, v52, s0
	s_delay_alu instid0(VALU_DEP_2) | instskip(NEXT) | instid1(VALU_DEP_2)
	v_cmp_class_f32_e64 s1, v54, 0x1f8
	v_cmp_neq_f32_e64 s0, v54, v52
	s_delay_alu instid0(VALU_DEP_1) | instskip(NEXT) | instid1(SALU_CYCLE_1)
	s_or_b32 s0, s0, s1
	s_and_saveexec_b32 s1, s0
	s_cbranch_execz .LBB531_115
; %bb.114:
	v_sub_f32_e32 v53, v54, v52
	s_delay_alu instid0(VALU_DEP_1) | instskip(SKIP_1) | instid1(VALU_DEP_2)
	v_mul_f32_e32 v54, 0x3fb8aa3b, v53
	v_cmp_ngt_f32_e64 s0, 0xc2ce8ed0, v53
	v_fma_f32 v55, 0x3fb8aa3b, v53, -v54
	v_rndne_f32_e32 v56, v54
	s_delay_alu instid0(VALU_DEP_1) | instskip(NEXT) | instid1(VALU_DEP_1)
	v_dual_fmamk_f32 v55, v53, 0x32a5705f, v55 :: v_dual_sub_f32 v54, v54, v56
	v_add_f32_e32 v54, v54, v55
	v_cvt_i32_f32_e32 v55, v56
	s_delay_alu instid0(VALU_DEP_2) | instskip(SKIP_2) | instid1(VALU_DEP_1)
	v_exp_f32_e32 v54, v54
	s_waitcnt_depctr 0xfff
	v_ldexp_f32 v54, v54, v55
	v_cndmask_b32_e64 v54, 0, v54, s0
	v_cmp_nlt_f32_e64 s0, 0x42b17218, v53
	s_delay_alu instid0(VALU_DEP_1) | instskip(NEXT) | instid1(VALU_DEP_1)
	v_cndmask_b32_e64 v55, 0x7f800000, v54, s0
	v_add_f32_e32 v56, 1.0, v55
	v_cmp_gt_f32_e64 s49, 0x33800000, |v55|
	s_delay_alu instid0(VALU_DEP_2) | instskip(NEXT) | instid1(VALU_DEP_1)
	v_cvt_f64_f32_e32 v[53:54], v56
	v_frexp_exp_i32_f64_e32 v53, v[53:54]
	v_frexp_mant_f32_e32 v54, v56
	s_delay_alu instid0(VALU_DEP_1) | instskip(SKIP_1) | instid1(VALU_DEP_1)
	v_cmp_gt_f32_e64 s0, 0x3f2aaaab, v54
	v_add_f32_e32 v54, -1.0, v56
	v_sub_f32_e32 v58, v54, v56
	v_sub_f32_e32 v54, v55, v54
	s_delay_alu instid0(VALU_DEP_4) | instskip(SKIP_1) | instid1(VALU_DEP_1)
	v_subrev_co_ci_u32_e64 v53, s0, 0, v53, s0
	s_mov_b32 s0, 0x3e9b6dac
	v_sub_nc_u32_e32 v57, 0, v53
	v_cvt_f32_i32_e32 v53, v53
	s_delay_alu instid0(VALU_DEP_2) | instskip(NEXT) | instid1(VALU_DEP_1)
	v_ldexp_f32 v56, v56, v57
	v_dual_add_f32 v59, 1.0, v56 :: v_dual_add_f32 v58, 1.0, v58
	s_delay_alu instid0(VALU_DEP_1) | instskip(NEXT) | instid1(VALU_DEP_2)
	v_add_f32_e32 v54, v54, v58
	v_add_f32_e32 v58, -1.0, v59
	s_delay_alu instid0(VALU_DEP_2) | instskip(NEXT) | instid1(VALU_DEP_2)
	v_ldexp_f32 v54, v54, v57
	v_dual_add_f32 v57, -1.0, v56 :: v_dual_sub_f32 v58, v56, v58
	s_delay_alu instid0(VALU_DEP_1) | instskip(NEXT) | instid1(VALU_DEP_2)
	v_add_f32_e32 v60, 1.0, v57
	v_add_f32_e32 v58, v54, v58
	s_delay_alu instid0(VALU_DEP_2) | instskip(NEXT) | instid1(VALU_DEP_2)
	v_sub_f32_e32 v56, v56, v60
	v_add_f32_e32 v60, v59, v58
	s_delay_alu instid0(VALU_DEP_2) | instskip(NEXT) | instid1(VALU_DEP_2)
	v_add_f32_e32 v54, v54, v56
	v_rcp_f32_e32 v56, v60
	v_sub_f32_e32 v59, v59, v60
	s_delay_alu instid0(VALU_DEP_1) | instskip(NEXT) | instid1(VALU_DEP_1)
	v_dual_add_f32 v61, v57, v54 :: v_dual_add_f32 v58, v58, v59
	v_sub_f32_e32 v57, v57, v61
	s_waitcnt_depctr 0xfff
	v_mul_f32_e32 v62, v61, v56
	s_delay_alu instid0(VALU_DEP_1) | instskip(NEXT) | instid1(VALU_DEP_1)
	v_dual_add_f32 v54, v54, v57 :: v_dual_mul_f32 v63, v60, v62
	v_fma_f32 v59, v62, v60, -v63
	s_delay_alu instid0(VALU_DEP_1) | instskip(NEXT) | instid1(VALU_DEP_1)
	v_fmac_f32_e32 v59, v62, v58
	v_add_f32_e32 v64, v63, v59
	s_delay_alu instid0(VALU_DEP_1) | instskip(SKIP_1) | instid1(VALU_DEP_2)
	v_sub_f32_e32 v65, v61, v64
	v_sub_f32_e32 v57, v64, v63
	;; [unrolled: 1-line block ×3, first 2 shown]
	s_delay_alu instid0(VALU_DEP_2) | instskip(NEXT) | instid1(VALU_DEP_2)
	v_sub_f32_e32 v57, v57, v59
	v_sub_f32_e32 v61, v61, v64
	s_delay_alu instid0(VALU_DEP_1) | instskip(NEXT) | instid1(VALU_DEP_1)
	v_add_f32_e32 v54, v54, v61
	v_add_f32_e32 v54, v57, v54
	s_delay_alu instid0(VALU_DEP_1) | instskip(NEXT) | instid1(VALU_DEP_1)
	v_add_f32_e32 v57, v65, v54
	v_mul_f32_e32 v59, v56, v57
	s_delay_alu instid0(VALU_DEP_1) | instskip(NEXT) | instid1(VALU_DEP_1)
	v_dual_sub_f32 v64, v65, v57 :: v_dual_mul_f32 v61, v60, v59
	v_add_f32_e32 v54, v54, v64
	s_delay_alu instid0(VALU_DEP_2) | instskip(NEXT) | instid1(VALU_DEP_1)
	v_fma_f32 v60, v59, v60, -v61
	v_fmac_f32_e32 v60, v59, v58
	s_delay_alu instid0(VALU_DEP_1) | instskip(NEXT) | instid1(VALU_DEP_1)
	v_add_f32_e32 v58, v61, v60
	v_sub_f32_e32 v63, v57, v58
	v_sub_f32_e32 v61, v58, v61
	s_delay_alu instid0(VALU_DEP_2) | instskip(NEXT) | instid1(VALU_DEP_1)
	v_sub_f32_e32 v57, v57, v63
	v_sub_f32_e32 v57, v57, v58
	s_delay_alu instid0(VALU_DEP_3) | instskip(NEXT) | instid1(VALU_DEP_2)
	v_sub_f32_e32 v58, v61, v60
	v_add_f32_e32 v54, v54, v57
	v_add_f32_e32 v57, v62, v59
	s_delay_alu instid0(VALU_DEP_2) | instskip(NEXT) | instid1(VALU_DEP_2)
	v_add_f32_e32 v54, v58, v54
	v_sub_f32_e32 v58, v57, v62
	s_delay_alu instid0(VALU_DEP_2) | instskip(NEXT) | instid1(VALU_DEP_2)
	v_add_f32_e32 v54, v63, v54
	v_sub_f32_e32 v58, v59, v58
	s_delay_alu instid0(VALU_DEP_2) | instskip(NEXT) | instid1(VALU_DEP_1)
	v_mul_f32_e32 v54, v56, v54
	v_add_f32_e32 v54, v58, v54
	s_delay_alu instid0(VALU_DEP_1) | instskip(NEXT) | instid1(VALU_DEP_1)
	v_add_f32_e32 v56, v57, v54
	v_mul_f32_e32 v58, v56, v56
	s_delay_alu instid0(VALU_DEP_1) | instskip(SKIP_2) | instid1(VALU_DEP_3)
	v_fmaak_f32 v59, s0, v58, 0x3ecc95a3
	v_mul_f32_e32 v60, v56, v58
	v_cmp_eq_f32_e64 s0, 0x7f800000, v55
	v_fmaak_f32 v58, v58, v59, 0x3f2aaada
	v_ldexp_f32 v59, v56, 1
	v_sub_f32_e32 v56, v56, v57
	s_delay_alu instid0(VALU_DEP_4) | instskip(NEXT) | instid1(VALU_DEP_3)
	s_or_b32 s0, s0, s49
	v_mul_f32_e32 v58, v60, v58
	v_mul_f32_e32 v60, 0x3f317218, v53
	s_delay_alu instid0(VALU_DEP_2) | instskip(NEXT) | instid1(VALU_DEP_1)
	v_dual_sub_f32 v54, v54, v56 :: v_dual_add_f32 v57, v59, v58
	v_ldexp_f32 v54, v54, 1
	s_delay_alu instid0(VALU_DEP_2) | instskip(NEXT) | instid1(VALU_DEP_4)
	v_sub_f32_e32 v56, v57, v59
	v_fma_f32 v59, 0x3f317218, v53, -v60
	s_delay_alu instid0(VALU_DEP_1) | instskip(NEXT) | instid1(VALU_DEP_1)
	v_dual_sub_f32 v56, v58, v56 :: v_dual_fmamk_f32 v53, v53, 0xb102e308, v59
	v_add_f32_e32 v54, v54, v56
	s_delay_alu instid0(VALU_DEP_2) | instskip(NEXT) | instid1(VALU_DEP_2)
	v_add_f32_e32 v56, v60, v53
	v_add_f32_e32 v58, v57, v54
	s_delay_alu instid0(VALU_DEP_2) | instskip(NEXT) | instid1(VALU_DEP_2)
	v_sub_f32_e32 v60, v56, v60
	v_add_f32_e32 v59, v56, v58
	v_sub_f32_e32 v57, v58, v57
	s_delay_alu instid0(VALU_DEP_3) | instskip(NEXT) | instid1(VALU_DEP_2)
	v_sub_f32_e32 v53, v53, v60
	v_dual_sub_f32 v61, v59, v56 :: v_dual_sub_f32 v54, v54, v57
	s_delay_alu instid0(VALU_DEP_1) | instskip(NEXT) | instid1(VALU_DEP_2)
	v_sub_f32_e32 v62, v59, v61
	v_dual_sub_f32 v57, v58, v61 :: v_dual_add_f32 v58, v53, v54
	s_delay_alu instid0(VALU_DEP_2) | instskip(NEXT) | instid1(VALU_DEP_1)
	v_sub_f32_e32 v56, v56, v62
	v_dual_add_f32 v56, v57, v56 :: v_dual_sub_f32 v57, v58, v53
	s_delay_alu instid0(VALU_DEP_1) | instskip(NEXT) | instid1(VALU_DEP_2)
	v_add_f32_e32 v56, v58, v56
	v_sub_f32_e32 v58, v58, v57
	v_sub_f32_e32 v54, v54, v57
	s_delay_alu instid0(VALU_DEP_2) | instskip(NEXT) | instid1(VALU_DEP_1)
	v_dual_add_f32 v60, v59, v56 :: v_dual_sub_f32 v53, v53, v58
	v_sub_f32_e32 v57, v60, v59
	s_delay_alu instid0(VALU_DEP_2) | instskip(NEXT) | instid1(VALU_DEP_2)
	v_add_f32_e32 v53, v54, v53
	v_sub_f32_e32 v54, v56, v57
	s_delay_alu instid0(VALU_DEP_1) | instskip(NEXT) | instid1(VALU_DEP_1)
	v_add_f32_e32 v53, v53, v54
	v_add_f32_e32 v53, v60, v53
	s_delay_alu instid0(VALU_DEP_1) | instskip(NEXT) | instid1(VALU_DEP_1)
	v_cndmask_b32_e64 v53, v53, v55, s0
	v_add_f32_e32 v53, v52, v53
.LBB531_115:
	s_or_b32 exec_lo, exec_lo, s1
	s_delay_alu instid0(VALU_DEP_1) | instskip(SKIP_1) | instid1(VALU_DEP_2)
	v_bfe_u32 v52, v53, 16, 1
	v_cmp_o_f32_e64 s0, v53, v53
	v_add3_u32 v52, v53, v52, 0x7fff
	s_delay_alu instid0(VALU_DEP_1) | instskip(NEXT) | instid1(VALU_DEP_1)
	v_lshrrev_b32_e32 v52, 16, v52
	v_cndmask_b32_e64 v52, 0x7fc0, v52, s0
	ds_store_b16 v50, v52 offset:2
.LBB531_116:
	s_or_b32 exec_lo, exec_lo, s48
	v_mul_u32_u24_e32 v50, 42, v0
	v_cmp_ne_u32_e64 s0, 0, v0
	s_waitcnt lgkmcnt(0)
	s_barrier
	buffer_gl0_inv
	s_and_saveexec_b32 s1, s0
	s_cbranch_execz .LBB531_118
; %bb.117:
	v_add_nc_u32_e32 v51, -1, v0
	s_delay_alu instid0(VALU_DEP_1) | instskip(NEXT) | instid1(VALU_DEP_1)
	v_lshrrev_b32_e32 v52, 5, v51
	v_add_lshl_u32 v51, v52, v51, 1
	ds_load_u16 v51, v51
.LBB531_118:
	s_or_b32 exec_lo, exec_lo, s1
	s_and_saveexec_b32 s1, s0
	s_cbranch_execz .LBB531_122
; %bb.119:
	s_waitcnt lgkmcnt(0)
	v_lshlrev_b32_e32 v47, 16, v51
	s_delay_alu instid0(VALU_DEP_1) | instskip(NEXT) | instid1(VALU_DEP_1)
	v_max_f32_e32 v2, v47, v47
	v_min_f32_e32 v48, v2, v49
	v_max_f32_e32 v2, v2, v49
	v_cmp_u_f32_e64 s0, v47, v47
	s_delay_alu instid0(VALU_DEP_1) | instskip(NEXT) | instid1(VALU_DEP_3)
	v_cndmask_b32_e64 v48, v48, v47, s0
	v_cndmask_b32_e64 v2, v2, v47, s0
	s_delay_alu instid0(VALU_DEP_2) | instskip(NEXT) | instid1(VALU_DEP_2)
	v_cndmask_b32_e64 v48, v48, v46, s45
	v_cndmask_b32_e64 v2, v2, v46, s45
	s_delay_alu instid0(VALU_DEP_2) | instskip(NEXT) | instid1(VALU_DEP_2)
	v_cmp_class_f32_e64 s45, v48, 0x1f8
	v_cmp_neq_f32_e64 s0, v48, v2
	s_delay_alu instid0(VALU_DEP_1) | instskip(NEXT) | instid1(SALU_CYCLE_1)
	s_or_b32 s0, s0, s45
	s_and_saveexec_b32 s45, s0
	s_cbranch_execz .LBB531_121
; %bb.120:
	v_sub_f32_e32 v46, v48, v2
	s_delay_alu instid0(VALU_DEP_1) | instskip(NEXT) | instid1(VALU_DEP_1)
	v_mul_f32_e32 v47, 0x3fb8aa3b, v46
	v_fma_f32 v48, 0x3fb8aa3b, v46, -v47
	v_rndne_f32_e32 v49, v47
	s_delay_alu instid0(VALU_DEP_1) | instskip(SKIP_1) | instid1(VALU_DEP_2)
	v_dual_sub_f32 v47, v47, v49 :: v_dual_fmamk_f32 v48, v46, 0x32a5705f, v48
	v_cmp_ngt_f32_e64 s0, 0xc2ce8ed0, v46
	v_add_f32_e32 v47, v47, v48
	v_cvt_i32_f32_e32 v48, v49
	s_delay_alu instid0(VALU_DEP_2) | instskip(SKIP_2) | instid1(VALU_DEP_1)
	v_exp_f32_e32 v47, v47
	s_waitcnt_depctr 0xfff
	v_ldexp_f32 v47, v47, v48
	v_cndmask_b32_e64 v47, 0, v47, s0
	v_cmp_nlt_f32_e64 s0, 0x42b17218, v46
	s_delay_alu instid0(VALU_DEP_1) | instskip(NEXT) | instid1(VALU_DEP_1)
	v_cndmask_b32_e64 v48, 0x7f800000, v47, s0
	v_add_f32_e32 v49, 1.0, v48
	v_cmp_gt_f32_e64 s48, 0x33800000, |v48|
	s_delay_alu instid0(VALU_DEP_2) | instskip(NEXT) | instid1(VALU_DEP_1)
	v_cvt_f64_f32_e32 v[46:47], v49
	v_frexp_exp_i32_f64_e32 v46, v[46:47]
	v_frexp_mant_f32_e32 v47, v49
	s_delay_alu instid0(VALU_DEP_1) | instskip(SKIP_1) | instid1(VALU_DEP_1)
	v_cmp_gt_f32_e64 s0, 0x3f2aaaab, v47
	v_add_f32_e32 v47, -1.0, v49
	v_dual_sub_f32 v52, v47, v49 :: v_dual_sub_f32 v47, v48, v47
	s_delay_alu instid0(VALU_DEP_1) | instskip(NEXT) | instid1(VALU_DEP_1)
	v_add_f32_e32 v52, 1.0, v52
	v_add_f32_e32 v47, v47, v52
	v_subrev_co_ci_u32_e64 v46, s0, 0, v46, s0
	s_mov_b32 s0, 0x3e9b6dac
	s_delay_alu instid0(VALU_DEP_1) | instskip(SKIP_1) | instid1(VALU_DEP_2)
	v_sub_nc_u32_e32 v51, 0, v46
	v_cvt_f32_i32_e32 v46, v46
	v_ldexp_f32 v49, v49, v51
	v_ldexp_f32 v47, v47, v51
	s_delay_alu instid0(VALU_DEP_2) | instskip(NEXT) | instid1(VALU_DEP_1)
	v_add_f32_e32 v53, 1.0, v49
	v_add_f32_e32 v52, -1.0, v53
	s_delay_alu instid0(VALU_DEP_1) | instskip(NEXT) | instid1(VALU_DEP_1)
	v_dual_sub_f32 v52, v49, v52 :: v_dual_add_f32 v51, -1.0, v49
	v_add_f32_e32 v52, v47, v52
	s_delay_alu instid0(VALU_DEP_2) | instskip(NEXT) | instid1(VALU_DEP_1)
	v_add_f32_e32 v54, 1.0, v51
	v_sub_f32_e32 v49, v49, v54
	s_delay_alu instid0(VALU_DEP_1) | instskip(NEXT) | instid1(VALU_DEP_1)
	v_dual_add_f32 v54, v53, v52 :: v_dual_add_f32 v47, v47, v49
	v_rcp_f32_e32 v49, v54
	v_sub_f32_e32 v53, v53, v54
	s_delay_alu instid0(VALU_DEP_1) | instskip(SKIP_2) | instid1(VALU_DEP_1)
	v_dual_add_f32 v55, v51, v47 :: v_dual_add_f32 v52, v52, v53
	s_waitcnt_depctr 0xfff
	v_mul_f32_e32 v56, v55, v49
	v_mul_f32_e32 v57, v54, v56
	s_delay_alu instid0(VALU_DEP_1) | instskip(NEXT) | instid1(VALU_DEP_1)
	v_fma_f32 v53, v56, v54, -v57
	v_fmac_f32_e32 v53, v56, v52
	s_delay_alu instid0(VALU_DEP_1) | instskip(NEXT) | instid1(VALU_DEP_1)
	v_dual_add_f32 v58, v57, v53 :: v_dual_sub_f32 v51, v51, v55
	v_sub_f32_e32 v59, v55, v58
	s_delay_alu instid0(VALU_DEP_2) | instskip(SKIP_1) | instid1(VALU_DEP_3)
	v_add_f32_e32 v47, v47, v51
	v_sub_f32_e32 v51, v58, v57
	v_sub_f32_e32 v55, v55, v59
	s_delay_alu instid0(VALU_DEP_2) | instskip(NEXT) | instid1(VALU_DEP_2)
	v_sub_f32_e32 v51, v51, v53
	v_sub_f32_e32 v55, v55, v58
	s_delay_alu instid0(VALU_DEP_1) | instskip(NEXT) | instid1(VALU_DEP_1)
	v_add_f32_e32 v47, v47, v55
	v_add_f32_e32 v47, v51, v47
	s_delay_alu instid0(VALU_DEP_1) | instskip(NEXT) | instid1(VALU_DEP_1)
	v_add_f32_e32 v51, v59, v47
	v_mul_f32_e32 v53, v49, v51
	s_delay_alu instid0(VALU_DEP_1) | instskip(NEXT) | instid1(VALU_DEP_1)
	v_mul_f32_e32 v55, v54, v53
	v_fma_f32 v54, v53, v54, -v55
	s_delay_alu instid0(VALU_DEP_1) | instskip(SKIP_1) | instid1(VALU_DEP_2)
	v_fmac_f32_e32 v54, v53, v52
	v_sub_f32_e32 v58, v59, v51
	v_add_f32_e32 v52, v55, v54
	s_delay_alu instid0(VALU_DEP_2) | instskip(NEXT) | instid1(VALU_DEP_2)
	v_add_f32_e32 v47, v47, v58
	v_sub_f32_e32 v57, v51, v52
	v_sub_f32_e32 v55, v52, v55
	s_delay_alu instid0(VALU_DEP_2) | instskip(NEXT) | instid1(VALU_DEP_1)
	v_sub_f32_e32 v51, v51, v57
	v_sub_f32_e32 v51, v51, v52
	s_delay_alu instid0(VALU_DEP_3) | instskip(NEXT) | instid1(VALU_DEP_2)
	v_sub_f32_e32 v52, v55, v54
	v_add_f32_e32 v47, v47, v51
	v_add_f32_e32 v51, v56, v53
	s_delay_alu instid0(VALU_DEP_1) | instskip(NEXT) | instid1(VALU_DEP_1)
	v_dual_add_f32 v47, v52, v47 :: v_dual_sub_f32 v52, v51, v56
	v_add_f32_e32 v47, v57, v47
	s_delay_alu instid0(VALU_DEP_2) | instskip(NEXT) | instid1(VALU_DEP_2)
	v_sub_f32_e32 v52, v53, v52
	v_mul_f32_e32 v47, v49, v47
	s_delay_alu instid0(VALU_DEP_1) | instskip(NEXT) | instid1(VALU_DEP_1)
	v_add_f32_e32 v47, v52, v47
	v_add_f32_e32 v49, v51, v47
	s_delay_alu instid0(VALU_DEP_1) | instskip(NEXT) | instid1(VALU_DEP_1)
	v_mul_f32_e32 v52, v49, v49
	v_fmaak_f32 v53, s0, v52, 0x3ecc95a3
	v_mul_f32_e32 v54, v49, v52
	v_cmp_eq_f32_e64 s0, 0x7f800000, v48
	s_delay_alu instid0(VALU_DEP_3) | instskip(SKIP_2) | instid1(VALU_DEP_4)
	v_fmaak_f32 v52, v52, v53, 0x3f2aaada
	v_ldexp_f32 v53, v49, 1
	v_sub_f32_e32 v49, v49, v51
	s_or_b32 s0, s0, s48
	s_delay_alu instid0(VALU_DEP_3) | instskip(NEXT) | instid1(VALU_DEP_2)
	v_mul_f32_e32 v52, v54, v52
	v_dual_mul_f32 v54, 0x3f317218, v46 :: v_dual_sub_f32 v47, v47, v49
	s_delay_alu instid0(VALU_DEP_2) | instskip(NEXT) | instid1(VALU_DEP_2)
	v_add_f32_e32 v51, v53, v52
	v_ldexp_f32 v47, v47, 1
	s_delay_alu instid0(VALU_DEP_2) | instskip(NEXT) | instid1(VALU_DEP_4)
	v_sub_f32_e32 v49, v51, v53
	v_fma_f32 v53, 0x3f317218, v46, -v54
	s_delay_alu instid0(VALU_DEP_1) | instskip(NEXT) | instid1(VALU_DEP_1)
	v_dual_sub_f32 v49, v52, v49 :: v_dual_fmamk_f32 v46, v46, 0xb102e308, v53
	v_add_f32_e32 v47, v47, v49
	s_delay_alu instid0(VALU_DEP_1) | instskip(NEXT) | instid1(VALU_DEP_1)
	v_dual_add_f32 v49, v54, v46 :: v_dual_add_f32 v52, v51, v47
	v_sub_f32_e32 v54, v49, v54
	s_delay_alu instid0(VALU_DEP_2) | instskip(NEXT) | instid1(VALU_DEP_2)
	v_add_f32_e32 v53, v49, v52
	v_dual_sub_f32 v51, v52, v51 :: v_dual_sub_f32 v46, v46, v54
	s_delay_alu instid0(VALU_DEP_2) | instskip(NEXT) | instid1(VALU_DEP_2)
	v_sub_f32_e32 v55, v53, v49
	v_sub_f32_e32 v47, v47, v51
	s_delay_alu instid0(VALU_DEP_2) | instskip(SKIP_1) | instid1(VALU_DEP_2)
	v_sub_f32_e32 v56, v53, v55
	v_sub_f32_e32 v51, v52, v55
	v_dual_add_f32 v52, v46, v47 :: v_dual_sub_f32 v49, v49, v56
	s_delay_alu instid0(VALU_DEP_1) | instskip(NEXT) | instid1(VALU_DEP_2)
	v_add_f32_e32 v49, v51, v49
	v_sub_f32_e32 v51, v52, v46
	s_delay_alu instid0(VALU_DEP_2) | instskip(NEXT) | instid1(VALU_DEP_2)
	v_add_f32_e32 v49, v52, v49
	v_sub_f32_e32 v52, v52, v51
	s_delay_alu instid0(VALU_DEP_2) | instskip(NEXT) | instid1(VALU_DEP_2)
	v_dual_sub_f32 v47, v47, v51 :: v_dual_add_f32 v54, v53, v49
	v_sub_f32_e32 v46, v46, v52
	s_delay_alu instid0(VALU_DEP_1) | instskip(NEXT) | instid1(VALU_DEP_1)
	v_dual_sub_f32 v51, v54, v53 :: v_dual_add_f32 v46, v47, v46
	v_sub_f32_e32 v47, v49, v51
	s_delay_alu instid0(VALU_DEP_1) | instskip(NEXT) | instid1(VALU_DEP_1)
	v_add_f32_e32 v46, v46, v47
	v_add_f32_e32 v46, v54, v46
	s_delay_alu instid0(VALU_DEP_1) | instskip(NEXT) | instid1(VALU_DEP_1)
	v_cndmask_b32_e64 v46, v46, v48, s0
	v_add_f32_e32 v47, v2, v46
.LBB531_121:
	s_or_b32 exec_lo, exec_lo, s45
	s_delay_alu instid0(VALU_DEP_1) | instskip(SKIP_2) | instid1(VALU_DEP_2)
	v_bfe_u32 v2, v47, 16, 1
	v_cmp_o_f32_e64 s0, v47, v47
	;;#ASMSTART
	;;#ASMEND
	v_add3_u32 v2, v47, v2, 0x7fff
	s_delay_alu instid0(VALU_DEP_1) | instskip(NEXT) | instid1(VALU_DEP_1)
	v_lshrrev_b32_e32 v2, 16, v2
	v_cndmask_b32_e64 v2, 0x7fc0, v2, s0
	s_delay_alu instid0(VALU_DEP_1) | instskip(NEXT) | instid1(VALU_DEP_1)
	v_lshlrev_b32_e32 v46, 16, v2
	v_max_f32_e32 v48, v46, v46
	s_delay_alu instid0(VALU_DEP_1)
	v_min_f32_e32 v47, v48, v17
	v_max_f32_e32 v48, v48, v17
.LBB531_122:
	s_or_b32 exec_lo, exec_lo, s1
	v_cmp_u_f32_e64 s0, v46, v46
	s_delay_alu instid0(VALU_DEP_1) | instskip(NEXT) | instid1(VALU_DEP_3)
	v_cndmask_b32_e64 v17, v47, v46, s0
	v_cndmask_b32_e64 v47, v48, v46, s0
	s_delay_alu instid0(VALU_DEP_2) | instskip(NEXT) | instid1(VALU_DEP_2)
	v_cndmask_b32_e64 v17, v17, v13, s23
	v_cndmask_b32_e64 v13, v47, v13, s23
	s_delay_alu instid0(VALU_DEP_2) | instskip(NEXT) | instid1(VALU_DEP_2)
	v_cmp_class_f32_e64 s1, v17, 0x1f8
	v_cmp_neq_f32_e64 s0, v17, v13
	s_delay_alu instid0(VALU_DEP_1) | instskip(NEXT) | instid1(SALU_CYCLE_1)
	s_or_b32 s0, s0, s1
	s_and_saveexec_b32 s1, s0
	s_cbranch_execz .LBB531_124
; %bb.123:
	v_sub_f32_e32 v17, v17, v13
	s_delay_alu instid0(VALU_DEP_1) | instskip(NEXT) | instid1(VALU_DEP_1)
	v_mul_f32_e32 v46, 0x3fb8aa3b, v17
	v_fma_f32 v47, 0x3fb8aa3b, v17, -v46
	v_rndne_f32_e32 v48, v46
	s_delay_alu instid0(VALU_DEP_1) | instskip(SKIP_1) | instid1(VALU_DEP_2)
	v_dual_sub_f32 v46, v46, v48 :: v_dual_fmamk_f32 v47, v17, 0x32a5705f, v47
	v_cmp_ngt_f32_e64 s0, 0xc2ce8ed0, v17
	v_add_f32_e32 v46, v46, v47
	v_cvt_i32_f32_e32 v47, v48
	s_delay_alu instid0(VALU_DEP_2) | instskip(SKIP_2) | instid1(VALU_DEP_1)
	v_exp_f32_e32 v46, v46
	s_waitcnt_depctr 0xfff
	v_ldexp_f32 v46, v46, v47
	v_cndmask_b32_e64 v46, 0, v46, s0
	v_cmp_nlt_f32_e64 s0, 0x42b17218, v17
	s_delay_alu instid0(VALU_DEP_1) | instskip(NEXT) | instid1(VALU_DEP_1)
	v_cndmask_b32_e64 v17, 0x7f800000, v46, s0
	v_add_f32_e32 v48, 1.0, v17
	v_cmp_gt_f32_e64 s23, 0x33800000, |v17|
	s_delay_alu instid0(VALU_DEP_2) | instskip(NEXT) | instid1(VALU_DEP_1)
	v_cvt_f64_f32_e32 v[46:47], v48
	v_frexp_exp_i32_f64_e32 v46, v[46:47]
	v_frexp_mant_f32_e32 v47, v48
	s_delay_alu instid0(VALU_DEP_1) | instskip(SKIP_2) | instid1(VALU_DEP_1)
	v_cmp_gt_f32_e64 s0, 0x3f2aaaab, v47
	v_add_f32_e32 v47, -1.0, v48
	s_waitcnt lgkmcnt(0)
	v_sub_f32_e32 v51, v47, v48
	s_delay_alu instid0(VALU_DEP_3) | instskip(SKIP_1) | instid1(VALU_DEP_1)
	v_subrev_co_ci_u32_e64 v46, s0, 0, v46, s0
	s_mov_b32 s0, 0x3e9b6dac
	v_sub_nc_u32_e32 v49, 0, v46
	v_cvt_f32_i32_e32 v46, v46
	s_delay_alu instid0(VALU_DEP_2) | instskip(SKIP_1) | instid1(VALU_DEP_2)
	v_ldexp_f32 v48, v48, v49
	v_sub_f32_e32 v47, v17, v47
	v_dual_add_f32 v51, 1.0, v51 :: v_dual_add_f32 v52, 1.0, v48
	s_delay_alu instid0(VALU_DEP_1) | instskip(NEXT) | instid1(VALU_DEP_1)
	v_add_f32_e32 v47, v47, v51
	v_ldexp_f32 v47, v47, v49
	v_add_f32_e32 v49, -1.0, v48
	s_delay_alu instid0(VALU_DEP_4) | instskip(NEXT) | instid1(VALU_DEP_2)
	v_add_f32_e32 v51, -1.0, v52
	v_add_f32_e32 v53, 1.0, v49
	s_delay_alu instid0(VALU_DEP_2) | instskip(NEXT) | instid1(VALU_DEP_1)
	v_sub_f32_e32 v51, v48, v51
	v_dual_sub_f32 v48, v48, v53 :: v_dual_add_f32 v51, v47, v51
	s_delay_alu instid0(VALU_DEP_1) | instskip(NEXT) | instid1(VALU_DEP_2)
	v_add_f32_e32 v47, v47, v48
	v_add_f32_e32 v53, v52, v51
	s_delay_alu instid0(VALU_DEP_2) | instskip(NEXT) | instid1(VALU_DEP_2)
	v_add_f32_e32 v54, v49, v47
	v_rcp_f32_e32 v48, v53
	v_sub_f32_e32 v52, v52, v53
	s_delay_alu instid0(VALU_DEP_1) | instskip(SKIP_2) | instid1(VALU_DEP_1)
	v_add_f32_e32 v51, v51, v52
	s_waitcnt_depctr 0xfff
	v_mul_f32_e32 v55, v54, v48
	v_mul_f32_e32 v56, v53, v55
	v_sub_f32_e32 v49, v49, v54
	s_delay_alu instid0(VALU_DEP_2) | instskip(NEXT) | instid1(VALU_DEP_2)
	v_fma_f32 v52, v55, v53, -v56
	v_add_f32_e32 v47, v47, v49
	s_delay_alu instid0(VALU_DEP_2) | instskip(NEXT) | instid1(VALU_DEP_1)
	v_fmac_f32_e32 v52, v55, v51
	v_add_f32_e32 v57, v56, v52
	s_delay_alu instid0(VALU_DEP_1) | instskip(NEXT) | instid1(VALU_DEP_1)
	v_dual_sub_f32 v58, v54, v57 :: v_dual_sub_f32 v49, v57, v56
	v_dual_sub_f32 v54, v54, v58 :: v_dual_sub_f32 v49, v49, v52
	s_delay_alu instid0(VALU_DEP_1) | instskip(NEXT) | instid1(VALU_DEP_1)
	v_sub_f32_e32 v54, v54, v57
	v_add_f32_e32 v47, v47, v54
	s_delay_alu instid0(VALU_DEP_1) | instskip(NEXT) | instid1(VALU_DEP_1)
	v_add_f32_e32 v47, v49, v47
	v_add_f32_e32 v49, v58, v47
	s_delay_alu instid0(VALU_DEP_1) | instskip(NEXT) | instid1(VALU_DEP_1)
	v_mul_f32_e32 v52, v48, v49
	v_dual_sub_f32 v57, v58, v49 :: v_dual_mul_f32 v54, v53, v52
	s_delay_alu instid0(VALU_DEP_1) | instskip(NEXT) | instid1(VALU_DEP_2)
	v_add_f32_e32 v47, v47, v57
	v_fma_f32 v53, v52, v53, -v54
	s_delay_alu instid0(VALU_DEP_1) | instskip(NEXT) | instid1(VALU_DEP_1)
	v_fmac_f32_e32 v53, v52, v51
	v_add_f32_e32 v51, v54, v53
	s_delay_alu instid0(VALU_DEP_1) | instskip(NEXT) | instid1(VALU_DEP_1)
	v_sub_f32_e32 v56, v49, v51
	v_dual_sub_f32 v54, v51, v54 :: v_dual_sub_f32 v49, v49, v56
	s_delay_alu instid0(VALU_DEP_1) | instskip(NEXT) | instid1(VALU_DEP_2)
	v_sub_f32_e32 v49, v49, v51
	v_sub_f32_e32 v51, v54, v53
	s_delay_alu instid0(VALU_DEP_2) | instskip(SKIP_1) | instid1(VALU_DEP_2)
	v_add_f32_e32 v47, v47, v49
	v_add_f32_e32 v49, v55, v52
	;; [unrolled: 1-line block ×3, first 2 shown]
	s_delay_alu instid0(VALU_DEP_2) | instskip(NEXT) | instid1(VALU_DEP_2)
	v_sub_f32_e32 v51, v49, v55
	v_add_f32_e32 v47, v56, v47
	s_delay_alu instid0(VALU_DEP_2) | instskip(NEXT) | instid1(VALU_DEP_2)
	v_sub_f32_e32 v51, v52, v51
	v_mul_f32_e32 v47, v48, v47
	s_delay_alu instid0(VALU_DEP_1) | instskip(NEXT) | instid1(VALU_DEP_1)
	v_add_f32_e32 v47, v51, v47
	v_add_f32_e32 v48, v49, v47
	s_delay_alu instid0(VALU_DEP_1) | instskip(NEXT) | instid1(VALU_DEP_1)
	v_mul_f32_e32 v51, v48, v48
	v_fmaak_f32 v52, s0, v51, 0x3ecc95a3
	v_mul_f32_e32 v53, v48, v51
	v_cmp_eq_f32_e64 s0, 0x7f800000, v17
	s_delay_alu instid0(VALU_DEP_3) | instskip(SKIP_2) | instid1(VALU_DEP_4)
	v_fmaak_f32 v51, v51, v52, 0x3f2aaada
	v_ldexp_f32 v52, v48, 1
	v_sub_f32_e32 v48, v48, v49
	s_or_b32 s0, s0, s23
	s_delay_alu instid0(VALU_DEP_3) | instskip(SKIP_1) | instid1(VALU_DEP_3)
	v_mul_f32_e32 v51, v53, v51
	v_mul_f32_e32 v53, 0x3f317218, v46
	v_sub_f32_e32 v47, v47, v48
	s_delay_alu instid0(VALU_DEP_3) | instskip(NEXT) | instid1(VALU_DEP_2)
	v_add_f32_e32 v49, v52, v51
	v_ldexp_f32 v47, v47, 1
	s_delay_alu instid0(VALU_DEP_2) | instskip(SKIP_1) | instid1(VALU_DEP_2)
	v_sub_f32_e32 v48, v49, v52
	v_fma_f32 v52, 0x3f317218, v46, -v53
	v_sub_f32_e32 v48, v51, v48
	s_delay_alu instid0(VALU_DEP_1) | instskip(NEXT) | instid1(VALU_DEP_1)
	v_dual_fmamk_f32 v46, v46, 0xb102e308, v52 :: v_dual_add_f32 v47, v47, v48
	v_add_f32_e32 v48, v53, v46
	s_delay_alu instid0(VALU_DEP_2) | instskip(NEXT) | instid1(VALU_DEP_2)
	v_add_f32_e32 v51, v49, v47
	v_sub_f32_e32 v53, v48, v53
	s_delay_alu instid0(VALU_DEP_2) | instskip(NEXT) | instid1(VALU_DEP_2)
	v_dual_add_f32 v52, v48, v51 :: v_dual_sub_f32 v49, v51, v49
	v_sub_f32_e32 v46, v46, v53
	s_delay_alu instid0(VALU_DEP_2) | instskip(NEXT) | instid1(VALU_DEP_1)
	v_dual_sub_f32 v54, v52, v48 :: v_dual_sub_f32 v47, v47, v49
	v_sub_f32_e32 v55, v52, v54
	v_sub_f32_e32 v49, v51, v54
	s_delay_alu instid0(VALU_DEP_3) | instskip(NEXT) | instid1(VALU_DEP_3)
	v_add_f32_e32 v51, v46, v47
	v_sub_f32_e32 v48, v48, v55
	s_delay_alu instid0(VALU_DEP_1) | instskip(NEXT) | instid1(VALU_DEP_1)
	v_dual_add_f32 v48, v49, v48 :: v_dual_sub_f32 v49, v51, v46
	v_add_f32_e32 v48, v51, v48
	s_delay_alu instid0(VALU_DEP_2) | instskip(SKIP_1) | instid1(VALU_DEP_2)
	v_sub_f32_e32 v51, v51, v49
	v_sub_f32_e32 v47, v47, v49
	v_dual_add_f32 v53, v52, v48 :: v_dual_sub_f32 v46, v46, v51
	s_delay_alu instid0(VALU_DEP_1) | instskip(NEXT) | instid1(VALU_DEP_1)
	v_dual_sub_f32 v49, v53, v52 :: v_dual_add_f32 v46, v47, v46
	v_sub_f32_e32 v47, v48, v49
	s_delay_alu instid0(VALU_DEP_1) | instskip(NEXT) | instid1(VALU_DEP_1)
	v_add_f32_e32 v46, v46, v47
	v_add_f32_e32 v46, v53, v46
	s_delay_alu instid0(VALU_DEP_1) | instskip(NEXT) | instid1(VALU_DEP_1)
	v_cndmask_b32_e64 v17, v46, v17, s0
	v_add_f32_e32 v46, v13, v17
.LBB531_124:
	s_or_b32 exec_lo, exec_lo, s1
	s_delay_alu instid0(VALU_DEP_1) | instskip(SKIP_1) | instid1(VALU_DEP_2)
	v_bfe_u32 v13, v46, 16, 1
	v_cmp_o_f32_e64 s0, v46, v46
	v_add3_u32 v13, v46, v13, 0x7fff
	s_delay_alu instid0(VALU_DEP_1) | instskip(NEXT) | instid1(VALU_DEP_1)
	v_lshrrev_b32_e32 v13, 16, v13
	v_cndmask_b32_e64 v13, 0x7fc0, v13, s0
	s_delay_alu instid0(VALU_DEP_1) | instskip(NEXT) | instid1(VALU_DEP_1)
	v_lshlrev_b32_e32 v17, 16, v13
	v_max_f32_e32 v46, v17, v17
	s_delay_alu instid0(VALU_DEP_1) | instskip(SKIP_2) | instid1(VALU_DEP_1)
	v_min_f32_e32 v47, v46, v16
	v_max_f32_e32 v16, v46, v16
	v_cmp_u_f32_e64 s0, v17, v17
	v_cndmask_b32_e64 v46, v47, v17, s0
	s_delay_alu instid0(VALU_DEP_3) | instskip(NEXT) | instid1(VALU_DEP_2)
	v_cndmask_b32_e64 v47, v16, v17, s0
	v_cndmask_b32_e64 v16, v46, v14, s24
	s_delay_alu instid0(VALU_DEP_2) | instskip(NEXT) | instid1(VALU_DEP_2)
	v_cndmask_b32_e64 v14, v47, v14, s24
	v_cmp_class_f32_e64 s1, v16, 0x1f8
	s_delay_alu instid0(VALU_DEP_2) | instskip(NEXT) | instid1(VALU_DEP_1)
	v_cmp_neq_f32_e64 s0, v16, v14
	s_or_b32 s0, s0, s1
	s_delay_alu instid0(SALU_CYCLE_1)
	s_and_saveexec_b32 s1, s0
	s_cbranch_execz .LBB531_126
; %bb.125:
	v_sub_f32_e32 v16, v16, v14
	s_delay_alu instid0(VALU_DEP_1) | instskip(NEXT) | instid1(VALU_DEP_1)
	v_mul_f32_e32 v17, 0x3fb8aa3b, v16
	v_fma_f32 v46, 0x3fb8aa3b, v16, -v17
	v_rndne_f32_e32 v47, v17
	s_delay_alu instid0(VALU_DEP_1) | instskip(SKIP_1) | instid1(VALU_DEP_2)
	v_dual_sub_f32 v17, v17, v47 :: v_dual_fmamk_f32 v46, v16, 0x32a5705f, v46
	v_cmp_ngt_f32_e64 s0, 0xc2ce8ed0, v16
	v_add_f32_e32 v17, v17, v46
	v_cvt_i32_f32_e32 v46, v47
	s_delay_alu instid0(VALU_DEP_2) | instskip(SKIP_2) | instid1(VALU_DEP_1)
	v_exp_f32_e32 v17, v17
	s_waitcnt_depctr 0xfff
	v_ldexp_f32 v17, v17, v46
	v_cndmask_b32_e64 v17, 0, v17, s0
	v_cmp_nlt_f32_e64 s0, 0x42b17218, v16
	s_delay_alu instid0(VALU_DEP_1) | instskip(NEXT) | instid1(VALU_DEP_1)
	v_cndmask_b32_e64 v46, 0x7f800000, v17, s0
	v_add_f32_e32 v47, 1.0, v46
	v_cmp_gt_f32_e64 s23, 0x33800000, |v46|
	s_delay_alu instid0(VALU_DEP_2) | instskip(NEXT) | instid1(VALU_DEP_1)
	v_cvt_f64_f32_e32 v[16:17], v47
	v_frexp_exp_i32_f64_e32 v16, v[16:17]
	v_frexp_mant_f32_e32 v17, v47
	s_delay_alu instid0(VALU_DEP_1) | instskip(SKIP_1) | instid1(VALU_DEP_1)
	v_cmp_gt_f32_e64 s0, 0x3f2aaaab, v17
	v_add_f32_e32 v17, -1.0, v47
	v_sub_f32_e32 v49, v17, v47
	v_sub_f32_e32 v17, v46, v17
	s_delay_alu instid0(VALU_DEP_2) | instskip(NEXT) | instid1(VALU_DEP_1)
	v_add_f32_e32 v49, 1.0, v49
	v_add_f32_e32 v17, v17, v49
	v_subrev_co_ci_u32_e64 v16, s0, 0, v16, s0
	s_mov_b32 s0, 0x3e9b6dac
	s_delay_alu instid0(VALU_DEP_1) | instskip(SKIP_1) | instid1(VALU_DEP_2)
	v_sub_nc_u32_e32 v48, 0, v16
	v_cvt_f32_i32_e32 v16, v16
	v_ldexp_f32 v47, v47, v48
	v_ldexp_f32 v17, v17, v48
	s_waitcnt lgkmcnt(0)
	s_delay_alu instid0(VALU_DEP_2) | instskip(SKIP_1) | instid1(VALU_DEP_1)
	v_add_f32_e32 v51, 1.0, v47
	v_add_f32_e32 v48, -1.0, v47
	v_dual_add_f32 v49, -1.0, v51 :: v_dual_add_f32 v52, 1.0, v48
	s_delay_alu instid0(VALU_DEP_1) | instskip(NEXT) | instid1(VALU_DEP_2)
	v_sub_f32_e32 v49, v47, v49
	v_sub_f32_e32 v47, v47, v52
	s_delay_alu instid0(VALU_DEP_2) | instskip(NEXT) | instid1(VALU_DEP_1)
	v_add_f32_e32 v49, v17, v49
	v_add_f32_e32 v52, v51, v49
	s_delay_alu instid0(VALU_DEP_1) | instskip(NEXT) | instid1(VALU_DEP_1)
	v_sub_f32_e32 v51, v51, v52
	v_add_f32_e32 v49, v49, v51
	v_add_f32_e32 v17, v17, v47
	v_rcp_f32_e32 v47, v52
	s_delay_alu instid0(VALU_DEP_1) | instskip(NEXT) | instid1(VALU_DEP_1)
	v_add_f32_e32 v53, v48, v17
	v_sub_f32_e32 v48, v48, v53
	s_waitcnt_depctr 0xfff
	v_mul_f32_e32 v54, v53, v47
	v_add_f32_e32 v17, v17, v48
	s_delay_alu instid0(VALU_DEP_2) | instskip(NEXT) | instid1(VALU_DEP_1)
	v_mul_f32_e32 v55, v52, v54
	v_fma_f32 v51, v54, v52, -v55
	s_delay_alu instid0(VALU_DEP_1) | instskip(NEXT) | instid1(VALU_DEP_1)
	v_fmac_f32_e32 v51, v54, v49
	v_add_f32_e32 v56, v55, v51
	s_delay_alu instid0(VALU_DEP_1) | instskip(NEXT) | instid1(VALU_DEP_1)
	v_dual_sub_f32 v57, v53, v56 :: v_dual_sub_f32 v48, v56, v55
	v_dual_sub_f32 v53, v53, v57 :: v_dual_sub_f32 v48, v48, v51
	s_delay_alu instid0(VALU_DEP_1) | instskip(NEXT) | instid1(VALU_DEP_1)
	v_sub_f32_e32 v53, v53, v56
	v_add_f32_e32 v17, v17, v53
	s_delay_alu instid0(VALU_DEP_1) | instskip(NEXT) | instid1(VALU_DEP_1)
	v_add_f32_e32 v17, v48, v17
	v_add_f32_e32 v48, v57, v17
	s_delay_alu instid0(VALU_DEP_1) | instskip(NEXT) | instid1(VALU_DEP_1)
	v_mul_f32_e32 v51, v47, v48
	v_dual_sub_f32 v56, v57, v48 :: v_dual_mul_f32 v53, v52, v51
	s_delay_alu instid0(VALU_DEP_1) | instskip(NEXT) | instid1(VALU_DEP_2)
	v_add_f32_e32 v17, v17, v56
	v_fma_f32 v52, v51, v52, -v53
	s_delay_alu instid0(VALU_DEP_1) | instskip(NEXT) | instid1(VALU_DEP_1)
	v_fmac_f32_e32 v52, v51, v49
	v_add_f32_e32 v49, v53, v52
	s_delay_alu instid0(VALU_DEP_1) | instskip(NEXT) | instid1(VALU_DEP_1)
	v_sub_f32_e32 v55, v48, v49
	v_dual_sub_f32 v53, v49, v53 :: v_dual_sub_f32 v48, v48, v55
	s_delay_alu instid0(VALU_DEP_1) | instskip(NEXT) | instid1(VALU_DEP_1)
	v_dual_sub_f32 v48, v48, v49 :: v_dual_sub_f32 v49, v53, v52
	v_dual_add_f32 v17, v17, v48 :: v_dual_add_f32 v48, v54, v51
	s_delay_alu instid0(VALU_DEP_1) | instskip(NEXT) | instid1(VALU_DEP_2)
	v_add_f32_e32 v17, v49, v17
	v_sub_f32_e32 v49, v48, v54
	s_delay_alu instid0(VALU_DEP_2) | instskip(NEXT) | instid1(VALU_DEP_2)
	v_add_f32_e32 v17, v55, v17
	v_sub_f32_e32 v49, v51, v49
	s_delay_alu instid0(VALU_DEP_2) | instskip(NEXT) | instid1(VALU_DEP_1)
	v_mul_f32_e32 v17, v47, v17
	v_add_f32_e32 v17, v49, v17
	s_delay_alu instid0(VALU_DEP_1) | instskip(NEXT) | instid1(VALU_DEP_1)
	v_add_f32_e32 v47, v48, v17
	v_mul_f32_e32 v49, v47, v47
	s_delay_alu instid0(VALU_DEP_1) | instskip(SKIP_2) | instid1(VALU_DEP_3)
	v_fmaak_f32 v51, s0, v49, 0x3ecc95a3
	v_mul_f32_e32 v52, v47, v49
	v_cmp_eq_f32_e64 s0, 0x7f800000, v46
	v_fmaak_f32 v49, v49, v51, 0x3f2aaada
	v_ldexp_f32 v51, v47, 1
	v_sub_f32_e32 v47, v47, v48
	s_delay_alu instid0(VALU_DEP_4) | instskip(NEXT) | instid1(VALU_DEP_3)
	s_or_b32 s0, s0, s23
	v_dual_mul_f32 v49, v52, v49 :: v_dual_mul_f32 v52, 0x3f317218, v16
	s_delay_alu instid0(VALU_DEP_1) | instskip(NEXT) | instid1(VALU_DEP_1)
	v_dual_sub_f32 v17, v17, v47 :: v_dual_add_f32 v48, v51, v49
	v_ldexp_f32 v17, v17, 1
	s_delay_alu instid0(VALU_DEP_2) | instskip(NEXT) | instid1(VALU_DEP_4)
	v_sub_f32_e32 v47, v48, v51
	v_fma_f32 v51, 0x3f317218, v16, -v52
	s_delay_alu instid0(VALU_DEP_1) | instskip(NEXT) | instid1(VALU_DEP_1)
	v_dual_sub_f32 v47, v49, v47 :: v_dual_fmamk_f32 v16, v16, 0xb102e308, v51
	v_add_f32_e32 v17, v17, v47
	s_delay_alu instid0(VALU_DEP_2) | instskip(NEXT) | instid1(VALU_DEP_1)
	v_add_f32_e32 v47, v52, v16
	v_dual_add_f32 v49, v48, v17 :: v_dual_sub_f32 v52, v47, v52
	s_delay_alu instid0(VALU_DEP_1) | instskip(NEXT) | instid1(VALU_DEP_1)
	v_dual_add_f32 v51, v47, v49 :: v_dual_sub_f32 v48, v49, v48
	v_dual_sub_f32 v16, v16, v52 :: v_dual_sub_f32 v53, v51, v47
	s_delay_alu instid0(VALU_DEP_1) | instskip(SKIP_1) | instid1(VALU_DEP_2)
	v_dual_sub_f32 v17, v17, v48 :: v_dual_sub_f32 v54, v51, v53
	v_sub_f32_e32 v48, v49, v53
	v_add_f32_e32 v49, v16, v17
	s_delay_alu instid0(VALU_DEP_3) | instskip(NEXT) | instid1(VALU_DEP_1)
	v_sub_f32_e32 v47, v47, v54
	v_dual_add_f32 v47, v48, v47 :: v_dual_sub_f32 v48, v49, v16
	s_delay_alu instid0(VALU_DEP_1) | instskip(NEXT) | instid1(VALU_DEP_2)
	v_add_f32_e32 v47, v49, v47
	v_sub_f32_e32 v49, v49, v48
	s_delay_alu instid0(VALU_DEP_2) | instskip(NEXT) | instid1(VALU_DEP_2)
	v_dual_sub_f32 v17, v17, v48 :: v_dual_add_f32 v52, v51, v47
	v_sub_f32_e32 v16, v16, v49
	s_delay_alu instid0(VALU_DEP_2) | instskip(NEXT) | instid1(VALU_DEP_2)
	v_sub_f32_e32 v48, v52, v51
	v_add_f32_e32 v16, v17, v16
	s_delay_alu instid0(VALU_DEP_2) | instskip(NEXT) | instid1(VALU_DEP_1)
	v_sub_f32_e32 v17, v47, v48
	v_add_f32_e32 v16, v16, v17
	s_delay_alu instid0(VALU_DEP_1) | instskip(NEXT) | instid1(VALU_DEP_1)
	v_add_f32_e32 v16, v52, v16
	v_cndmask_b32_e64 v16, v16, v46, s0
	s_delay_alu instid0(VALU_DEP_1)
	v_add_f32_e32 v17, v14, v16
.LBB531_126:
	s_or_b32 exec_lo, exec_lo, s1
	s_delay_alu instid0(VALU_DEP_1) | instskip(SKIP_1) | instid1(VALU_DEP_2)
	v_bfe_u32 v14, v17, 16, 1
	v_cmp_o_f32_e64 s0, v17, v17
	v_add3_u32 v14, v17, v14, 0x7fff
	s_delay_alu instid0(VALU_DEP_1) | instskip(NEXT) | instid1(VALU_DEP_1)
	v_lshrrev_b32_e32 v14, 16, v14
	v_cndmask_b32_e64 v14, 0x7fc0, v14, s0
	s_delay_alu instid0(VALU_DEP_1) | instskip(NEXT) | instid1(VALU_DEP_1)
	v_lshlrev_b32_e32 v16, 16, v14
	v_max_f32_e32 v17, v16, v16
	v_cmp_u_f32_e64 s0, v16, v16
	s_delay_alu instid0(VALU_DEP_2) | instskip(SKIP_1) | instid1(VALU_DEP_2)
	v_min_f32_e32 v46, v17, v18
	v_max_f32_e32 v17, v17, v18
	v_cndmask_b32_e64 v18, v46, v16, s0
	s_delay_alu instid0(VALU_DEP_2) | instskip(NEXT) | instid1(VALU_DEP_2)
	v_cndmask_b32_e64 v46, v17, v16, s0
	v_cndmask_b32_e64 v17, v18, v3, s25
	s_delay_alu instid0(VALU_DEP_2) | instskip(NEXT) | instid1(VALU_DEP_2)
	v_cndmask_b32_e64 v3, v46, v3, s25
	v_cmp_class_f32_e64 s1, v17, 0x1f8
	s_delay_alu instid0(VALU_DEP_2) | instskip(NEXT) | instid1(VALU_DEP_1)
	v_cmp_neq_f32_e64 s0, v17, v3
	s_or_b32 s0, s0, s1
	s_delay_alu instid0(SALU_CYCLE_1)
	s_and_saveexec_b32 s1, s0
	s_cbranch_execz .LBB531_128
; %bb.127:
	v_sub_f32_e32 v16, v17, v3
	s_delay_alu instid0(VALU_DEP_1) | instskip(SKIP_1) | instid1(VALU_DEP_2)
	v_mul_f32_e32 v17, 0x3fb8aa3b, v16
	v_cmp_ngt_f32_e64 s0, 0xc2ce8ed0, v16
	v_fma_f32 v18, 0x3fb8aa3b, v16, -v17
	v_rndne_f32_e32 v46, v17
	s_delay_alu instid0(VALU_DEP_1) | instskip(NEXT) | instid1(VALU_DEP_1)
	v_dual_fmamk_f32 v18, v16, 0x32a5705f, v18 :: v_dual_sub_f32 v17, v17, v46
	v_add_f32_e32 v17, v17, v18
	v_cvt_i32_f32_e32 v18, v46
	s_delay_alu instid0(VALU_DEP_2) | instskip(SKIP_2) | instid1(VALU_DEP_1)
	v_exp_f32_e32 v17, v17
	s_waitcnt_depctr 0xfff
	v_ldexp_f32 v17, v17, v18
	v_cndmask_b32_e64 v17, 0, v17, s0
	v_cmp_nlt_f32_e64 s0, 0x42b17218, v16
	s_delay_alu instid0(VALU_DEP_1) | instskip(NEXT) | instid1(VALU_DEP_1)
	v_cndmask_b32_e64 v18, 0x7f800000, v17, s0
	v_add_f32_e32 v46, 1.0, v18
	v_cmp_gt_f32_e64 s23, 0x33800000, |v18|
	s_delay_alu instid0(VALU_DEP_2) | instskip(NEXT) | instid1(VALU_DEP_1)
	v_cvt_f64_f32_e32 v[16:17], v46
	v_frexp_exp_i32_f64_e32 v16, v[16:17]
	v_frexp_mant_f32_e32 v17, v46
	s_delay_alu instid0(VALU_DEP_1) | instskip(SKIP_1) | instid1(VALU_DEP_1)
	v_cmp_gt_f32_e64 s0, 0x3f2aaaab, v17
	v_add_f32_e32 v17, -1.0, v46
	v_dual_sub_f32 v48, v17, v46 :: v_dual_sub_f32 v17, v18, v17
	s_delay_alu instid0(VALU_DEP_1) | instskip(NEXT) | instid1(VALU_DEP_4)
	v_add_f32_e32 v48, 1.0, v48
	v_subrev_co_ci_u32_e64 v16, s0, 0, v16, s0
	s_mov_b32 s0, 0x3e9b6dac
	s_delay_alu instid0(VALU_DEP_1) | instskip(SKIP_1) | instid1(VALU_DEP_2)
	v_sub_nc_u32_e32 v47, 0, v16
	v_cvt_f32_i32_e32 v16, v16
	v_ldexp_f32 v46, v46, v47
	s_delay_alu instid0(VALU_DEP_1) | instskip(NEXT) | instid1(VALU_DEP_1)
	v_add_f32_e32 v49, 1.0, v46
	v_dual_add_f32 v17, v17, v48 :: v_dual_add_f32 v48, -1.0, v49
	s_delay_alu instid0(VALU_DEP_1) | instskip(NEXT) | instid1(VALU_DEP_2)
	v_ldexp_f32 v17, v17, v47
	v_dual_sub_f32 v48, v46, v48 :: v_dual_add_f32 v47, -1.0, v46
	s_waitcnt lgkmcnt(0)
	s_delay_alu instid0(VALU_DEP_1) | instskip(NEXT) | instid1(VALU_DEP_1)
	v_dual_add_f32 v48, v17, v48 :: v_dual_add_f32 v51, 1.0, v47
	v_dual_sub_f32 v46, v46, v51 :: v_dual_add_f32 v51, v49, v48
	s_delay_alu instid0(VALU_DEP_1) | instskip(NEXT) | instid1(VALU_DEP_2)
	v_add_f32_e32 v17, v17, v46
	v_rcp_f32_e32 v46, v51
	s_delay_alu instid0(VALU_DEP_1) | instskip(NEXT) | instid1(VALU_DEP_1)
	v_dual_add_f32 v52, v47, v17 :: v_dual_sub_f32 v49, v49, v51
	v_sub_f32_e32 v47, v47, v52
	s_waitcnt_depctr 0xfff
	v_mul_f32_e32 v53, v52, v46
	v_add_f32_e32 v48, v48, v49
	s_delay_alu instid0(VALU_DEP_2) | instskip(NEXT) | instid1(VALU_DEP_1)
	v_dual_mul_f32 v54, v51, v53 :: v_dual_add_f32 v17, v17, v47
	v_fma_f32 v49, v53, v51, -v54
	s_delay_alu instid0(VALU_DEP_1) | instskip(NEXT) | instid1(VALU_DEP_1)
	v_fmac_f32_e32 v49, v53, v48
	v_add_f32_e32 v55, v54, v49
	s_delay_alu instid0(VALU_DEP_1) | instskip(NEXT) | instid1(VALU_DEP_1)
	v_sub_f32_e32 v56, v52, v55
	v_dual_sub_f32 v52, v52, v56 :: v_dual_sub_f32 v47, v55, v54
	s_delay_alu instid0(VALU_DEP_1) | instskip(NEXT) | instid1(VALU_DEP_1)
	v_dual_sub_f32 v52, v52, v55 :: v_dual_sub_f32 v47, v47, v49
	v_add_f32_e32 v17, v17, v52
	s_delay_alu instid0(VALU_DEP_1) | instskip(NEXT) | instid1(VALU_DEP_1)
	v_add_f32_e32 v17, v47, v17
	v_add_f32_e32 v47, v56, v17
	s_delay_alu instid0(VALU_DEP_1) | instskip(NEXT) | instid1(VALU_DEP_1)
	v_mul_f32_e32 v49, v46, v47
	v_dual_sub_f32 v55, v56, v47 :: v_dual_mul_f32 v52, v51, v49
	s_delay_alu instid0(VALU_DEP_1) | instskip(NEXT) | instid1(VALU_DEP_2)
	v_add_f32_e32 v17, v17, v55
	v_fma_f32 v51, v49, v51, -v52
	s_delay_alu instid0(VALU_DEP_1) | instskip(NEXT) | instid1(VALU_DEP_1)
	v_fmac_f32_e32 v51, v49, v48
	v_add_f32_e32 v48, v52, v51
	s_delay_alu instid0(VALU_DEP_1) | instskip(NEXT) | instid1(VALU_DEP_1)
	v_sub_f32_e32 v54, v47, v48
	v_dual_sub_f32 v52, v48, v52 :: v_dual_sub_f32 v47, v47, v54
	s_delay_alu instid0(VALU_DEP_1) | instskip(NEXT) | instid1(VALU_DEP_1)
	v_dual_sub_f32 v47, v47, v48 :: v_dual_sub_f32 v48, v52, v51
	v_add_f32_e32 v17, v17, v47
	v_add_f32_e32 v47, v53, v49
	s_delay_alu instid0(VALU_DEP_2) | instskip(NEXT) | instid1(VALU_DEP_2)
	v_add_f32_e32 v17, v48, v17
	v_sub_f32_e32 v48, v47, v53
	s_delay_alu instid0(VALU_DEP_1) | instskip(NEXT) | instid1(VALU_DEP_1)
	v_dual_add_f32 v17, v54, v17 :: v_dual_sub_f32 v48, v49, v48
	v_mul_f32_e32 v17, v46, v17
	s_delay_alu instid0(VALU_DEP_1) | instskip(NEXT) | instid1(VALU_DEP_1)
	v_add_f32_e32 v17, v48, v17
	v_add_f32_e32 v46, v47, v17
	s_delay_alu instid0(VALU_DEP_1) | instskip(NEXT) | instid1(VALU_DEP_1)
	v_mul_f32_e32 v48, v46, v46
	v_fmaak_f32 v49, s0, v48, 0x3ecc95a3
	v_mul_f32_e32 v51, v46, v48
	v_cmp_eq_f32_e64 s0, 0x7f800000, v18
	s_delay_alu instid0(VALU_DEP_3) | instskip(SKIP_2) | instid1(VALU_DEP_4)
	v_fmaak_f32 v48, v48, v49, 0x3f2aaada
	v_ldexp_f32 v49, v46, 1
	v_sub_f32_e32 v46, v46, v47
	s_or_b32 s0, s0, s23
	s_delay_alu instid0(VALU_DEP_3) | instskip(SKIP_1) | instid1(VALU_DEP_3)
	v_mul_f32_e32 v48, v51, v48
	v_mul_f32_e32 v51, 0x3f317218, v16
	v_sub_f32_e32 v17, v17, v46
	s_delay_alu instid0(VALU_DEP_3) | instskip(NEXT) | instid1(VALU_DEP_2)
	v_add_f32_e32 v47, v49, v48
	v_ldexp_f32 v17, v17, 1
	s_delay_alu instid0(VALU_DEP_2) | instskip(SKIP_1) | instid1(VALU_DEP_2)
	v_sub_f32_e32 v46, v47, v49
	v_fma_f32 v49, 0x3f317218, v16, -v51
	v_sub_f32_e32 v46, v48, v46
	s_delay_alu instid0(VALU_DEP_1) | instskip(NEXT) | instid1(VALU_DEP_1)
	v_dual_fmamk_f32 v16, v16, 0xb102e308, v49 :: v_dual_add_f32 v17, v17, v46
	v_add_f32_e32 v46, v51, v16
	s_delay_alu instid0(VALU_DEP_1) | instskip(NEXT) | instid1(VALU_DEP_1)
	v_dual_add_f32 v48, v47, v17 :: v_dual_sub_f32 v51, v46, v51
	v_dual_add_f32 v49, v46, v48 :: v_dual_sub_f32 v16, v16, v51
	s_delay_alu instid0(VALU_DEP_1) | instskip(NEXT) | instid1(VALU_DEP_1)
	v_sub_f32_e32 v52, v49, v46
	v_sub_f32_e32 v53, v49, v52
	s_delay_alu instid0(VALU_DEP_1) | instskip(NEXT) | instid1(VALU_DEP_1)
	v_dual_sub_f32 v46, v46, v53 :: v_dual_sub_f32 v47, v48, v47
	v_sub_f32_e32 v17, v17, v47
	v_sub_f32_e32 v47, v48, v52
	s_delay_alu instid0(VALU_DEP_2) | instskip(NEXT) | instid1(VALU_DEP_1)
	v_add_f32_e32 v48, v16, v17
	v_dual_add_f32 v46, v47, v46 :: v_dual_sub_f32 v47, v48, v16
	s_delay_alu instid0(VALU_DEP_1) | instskip(NEXT) | instid1(VALU_DEP_1)
	v_add_f32_e32 v46, v48, v46
	v_dual_sub_f32 v48, v48, v47 :: v_dual_add_f32 v51, v49, v46
	s_delay_alu instid0(VALU_DEP_1) | instskip(NEXT) | instid1(VALU_DEP_1)
	v_dual_sub_f32 v17, v17, v47 :: v_dual_sub_f32 v16, v16, v48
	v_dual_sub_f32 v47, v51, v49 :: v_dual_add_f32 v16, v17, v16
	s_delay_alu instid0(VALU_DEP_1) | instskip(NEXT) | instid1(VALU_DEP_1)
	v_sub_f32_e32 v17, v46, v47
	v_add_f32_e32 v16, v16, v17
	s_delay_alu instid0(VALU_DEP_1) | instskip(NEXT) | instid1(VALU_DEP_1)
	v_add_f32_e32 v16, v51, v16
	v_cndmask_b32_e64 v16, v16, v18, s0
	s_delay_alu instid0(VALU_DEP_1)
	v_add_f32_e32 v16, v3, v16
.LBB531_128:
	s_or_b32 exec_lo, exec_lo, s1
	s_delay_alu instid0(VALU_DEP_1) | instskip(SKIP_1) | instid1(VALU_DEP_2)
	v_bfe_u32 v3, v16, 16, 1
	v_cmp_o_f32_e64 s0, v16, v16
	v_add3_u32 v3, v16, v3, 0x7fff
	s_delay_alu instid0(VALU_DEP_1) | instskip(NEXT) | instid1(VALU_DEP_1)
	v_lshrrev_b32_e32 v3, 16, v3
	v_cndmask_b32_e64 v3, 0x7fc0, v3, s0
	s_delay_alu instid0(VALU_DEP_1) | instskip(NEXT) | instid1(VALU_DEP_1)
	v_lshlrev_b32_e32 v16, 16, v3
	v_max_f32_e32 v17, v16, v16
	s_delay_alu instid0(VALU_DEP_1) | instskip(SKIP_2) | instid1(VALU_DEP_1)
	v_min_f32_e32 v18, v17, v20
	v_max_f32_e32 v17, v17, v20
	v_cmp_u_f32_e64 s0, v16, v16
	v_cndmask_b32_e64 v18, v18, v16, s0
	s_delay_alu instid0(VALU_DEP_3) | instskip(NEXT) | instid1(VALU_DEP_2)
	v_cndmask_b32_e64 v20, v17, v16, s0
	v_cndmask_b32_e64 v17, v18, v15, s26
	s_delay_alu instid0(VALU_DEP_2) | instskip(NEXT) | instid1(VALU_DEP_2)
	v_cndmask_b32_e64 v15, v20, v15, s26
	v_cmp_class_f32_e64 s1, v17, 0x1f8
	s_delay_alu instid0(VALU_DEP_2) | instskip(NEXT) | instid1(VALU_DEP_1)
	v_cmp_neq_f32_e64 s0, v17, v15
	s_or_b32 s0, s0, s1
	s_delay_alu instid0(SALU_CYCLE_1)
	s_and_saveexec_b32 s1, s0
	s_cbranch_execz .LBB531_130
; %bb.129:
	v_sub_f32_e32 v16, v17, v15
	s_delay_alu instid0(VALU_DEP_1) | instskip(SKIP_1) | instid1(VALU_DEP_2)
	v_mul_f32_e32 v17, 0x3fb8aa3b, v16
	v_cmp_ngt_f32_e64 s0, 0xc2ce8ed0, v16
	v_fma_f32 v18, 0x3fb8aa3b, v16, -v17
	v_rndne_f32_e32 v20, v17
	s_delay_alu instid0(VALU_DEP_1) | instskip(NEXT) | instid1(VALU_DEP_1)
	v_dual_fmamk_f32 v18, v16, 0x32a5705f, v18 :: v_dual_sub_f32 v17, v17, v20
	v_add_f32_e32 v17, v17, v18
	v_cvt_i32_f32_e32 v18, v20
	s_delay_alu instid0(VALU_DEP_2) | instskip(SKIP_2) | instid1(VALU_DEP_1)
	v_exp_f32_e32 v17, v17
	s_waitcnt_depctr 0xfff
	v_ldexp_f32 v17, v17, v18
	v_cndmask_b32_e64 v17, 0, v17, s0
	v_cmp_nlt_f32_e64 s0, 0x42b17218, v16
	s_delay_alu instid0(VALU_DEP_1) | instskip(NEXT) | instid1(VALU_DEP_1)
	v_cndmask_b32_e64 v18, 0x7f800000, v17, s0
	v_add_f32_e32 v20, 1.0, v18
	v_cmp_gt_f32_e64 s23, 0x33800000, |v18|
	s_delay_alu instid0(VALU_DEP_2) | instskip(NEXT) | instid1(VALU_DEP_1)
	v_cvt_f64_f32_e32 v[16:17], v20
	v_frexp_exp_i32_f64_e32 v16, v[16:17]
	v_frexp_mant_f32_e32 v17, v20
	s_delay_alu instid0(VALU_DEP_1) | instskip(SKIP_1) | instid1(VALU_DEP_1)
	v_cmp_gt_f32_e64 s0, 0x3f2aaaab, v17
	v_add_f32_e32 v17, -1.0, v20
	v_sub_f32_e32 v47, v17, v20
	s_delay_alu instid0(VALU_DEP_1) | instskip(NEXT) | instid1(VALU_DEP_4)
	v_add_f32_e32 v47, 1.0, v47
	v_subrev_co_ci_u32_e64 v16, s0, 0, v16, s0
	s_mov_b32 s0, 0x3e9b6dac
	s_delay_alu instid0(VALU_DEP_1) | instskip(SKIP_1) | instid1(VALU_DEP_2)
	v_sub_nc_u32_e32 v46, 0, v16
	v_cvt_f32_i32_e32 v16, v16
	v_ldexp_f32 v20, v20, v46
	s_delay_alu instid0(VALU_DEP_1) | instskip(NEXT) | instid1(VALU_DEP_1)
	v_dual_sub_f32 v17, v18, v17 :: v_dual_add_f32 v48, 1.0, v20
	v_add_f32_e32 v17, v17, v47
	s_delay_alu instid0(VALU_DEP_1) | instskip(SKIP_1) | instid1(VALU_DEP_4)
	v_ldexp_f32 v17, v17, v46
	v_add_f32_e32 v46, -1.0, v20
	v_add_f32_e32 v47, -1.0, v48
	s_delay_alu instid0(VALU_DEP_2) | instskip(NEXT) | instid1(VALU_DEP_2)
	v_add_f32_e32 v49, 1.0, v46
	v_sub_f32_e32 v47, v20, v47
	s_delay_alu instid0(VALU_DEP_1) | instskip(NEXT) | instid1(VALU_DEP_1)
	v_dual_sub_f32 v20, v20, v49 :: v_dual_add_f32 v47, v17, v47
	v_add_f32_e32 v17, v17, v20
	s_delay_alu instid0(VALU_DEP_2) | instskip(SKIP_1) | instid1(VALU_DEP_2)
	v_add_f32_e32 v49, v48, v47
	s_waitcnt lgkmcnt(0)
	v_add_f32_e32 v51, v46, v17
	s_delay_alu instid0(VALU_DEP_2) | instskip(SKIP_1) | instid1(VALU_DEP_1)
	v_rcp_f32_e32 v20, v49
	v_sub_f32_e32 v48, v48, v49
	v_dual_sub_f32 v46, v46, v51 :: v_dual_add_f32 v47, v47, v48
	s_waitcnt_depctr 0xfff
	v_dual_add_f32 v17, v17, v46 :: v_dual_mul_f32 v52, v51, v20
	s_delay_alu instid0(VALU_DEP_1) | instskip(NEXT) | instid1(VALU_DEP_1)
	v_mul_f32_e32 v53, v49, v52
	v_fma_f32 v48, v52, v49, -v53
	s_delay_alu instid0(VALU_DEP_1) | instskip(NEXT) | instid1(VALU_DEP_1)
	v_fmac_f32_e32 v48, v52, v47
	v_add_f32_e32 v54, v53, v48
	s_delay_alu instid0(VALU_DEP_1) | instskip(NEXT) | instid1(VALU_DEP_1)
	v_dual_sub_f32 v55, v51, v54 :: v_dual_sub_f32 v46, v54, v53
	v_dual_sub_f32 v51, v51, v55 :: v_dual_sub_f32 v46, v46, v48
	s_delay_alu instid0(VALU_DEP_1) | instskip(NEXT) | instid1(VALU_DEP_1)
	v_sub_f32_e32 v51, v51, v54
	v_add_f32_e32 v17, v17, v51
	s_delay_alu instid0(VALU_DEP_1) | instskip(NEXT) | instid1(VALU_DEP_1)
	v_add_f32_e32 v17, v46, v17
	v_add_f32_e32 v46, v55, v17
	s_delay_alu instid0(VALU_DEP_1) | instskip(NEXT) | instid1(VALU_DEP_1)
	v_mul_f32_e32 v48, v20, v46
	v_dual_sub_f32 v54, v55, v46 :: v_dual_mul_f32 v51, v49, v48
	s_delay_alu instid0(VALU_DEP_1) | instskip(NEXT) | instid1(VALU_DEP_2)
	v_add_f32_e32 v17, v17, v54
	v_fma_f32 v49, v48, v49, -v51
	s_delay_alu instid0(VALU_DEP_1) | instskip(NEXT) | instid1(VALU_DEP_1)
	v_fmac_f32_e32 v49, v48, v47
	v_add_f32_e32 v47, v51, v49
	s_delay_alu instid0(VALU_DEP_1) | instskip(NEXT) | instid1(VALU_DEP_1)
	v_sub_f32_e32 v53, v46, v47
	v_dual_sub_f32 v51, v47, v51 :: v_dual_sub_f32 v46, v46, v53
	s_delay_alu instid0(VALU_DEP_1) | instskip(NEXT) | instid1(VALU_DEP_1)
	v_dual_sub_f32 v46, v46, v47 :: v_dual_sub_f32 v47, v51, v49
	v_dual_add_f32 v17, v17, v46 :: v_dual_add_f32 v46, v52, v48
	s_delay_alu instid0(VALU_DEP_1) | instskip(NEXT) | instid1(VALU_DEP_2)
	v_add_f32_e32 v17, v47, v17
	v_sub_f32_e32 v47, v46, v52
	s_delay_alu instid0(VALU_DEP_2) | instskip(NEXT) | instid1(VALU_DEP_2)
	v_add_f32_e32 v17, v53, v17
	v_sub_f32_e32 v47, v48, v47
	s_delay_alu instid0(VALU_DEP_2) | instskip(NEXT) | instid1(VALU_DEP_1)
	v_mul_f32_e32 v17, v20, v17
	v_add_f32_e32 v17, v47, v17
	s_delay_alu instid0(VALU_DEP_1) | instskip(NEXT) | instid1(VALU_DEP_1)
	v_add_f32_e32 v20, v46, v17
	v_mul_f32_e32 v47, v20, v20
	s_delay_alu instid0(VALU_DEP_1) | instskip(SKIP_2) | instid1(VALU_DEP_3)
	v_fmaak_f32 v48, s0, v47, 0x3ecc95a3
	v_mul_f32_e32 v49, v20, v47
	v_cmp_eq_f32_e64 s0, 0x7f800000, v18
	v_fmaak_f32 v47, v47, v48, 0x3f2aaada
	v_ldexp_f32 v48, v20, 1
	v_sub_f32_e32 v20, v20, v46
	s_delay_alu instid0(VALU_DEP_4) | instskip(NEXT) | instid1(VALU_DEP_3)
	s_or_b32 s0, s0, s23
	v_mul_f32_e32 v47, v49, v47
	v_mul_f32_e32 v49, 0x3f317218, v16
	s_delay_alu instid0(VALU_DEP_2) | instskip(NEXT) | instid1(VALU_DEP_1)
	v_dual_sub_f32 v17, v17, v20 :: v_dual_add_f32 v46, v48, v47
	v_ldexp_f32 v17, v17, 1
	s_delay_alu instid0(VALU_DEP_2) | instskip(NEXT) | instid1(VALU_DEP_4)
	v_sub_f32_e32 v20, v46, v48
	v_fma_f32 v48, 0x3f317218, v16, -v49
	s_delay_alu instid0(VALU_DEP_2) | instskip(NEXT) | instid1(VALU_DEP_1)
	v_sub_f32_e32 v20, v47, v20
	v_dual_fmamk_f32 v16, v16, 0xb102e308, v48 :: v_dual_add_f32 v17, v17, v20
	s_delay_alu instid0(VALU_DEP_1) | instskip(NEXT) | instid1(VALU_DEP_1)
	v_dual_add_f32 v20, v49, v16 :: v_dual_add_f32 v47, v46, v17
	v_sub_f32_e32 v49, v20, v49
	s_delay_alu instid0(VALU_DEP_2) | instskip(SKIP_1) | instid1(VALU_DEP_3)
	v_add_f32_e32 v48, v20, v47
	v_sub_f32_e32 v46, v47, v46
	v_sub_f32_e32 v16, v16, v49
	s_delay_alu instid0(VALU_DEP_3) | instskip(NEXT) | instid1(VALU_DEP_1)
	v_sub_f32_e32 v51, v48, v20
	v_dual_sub_f32 v17, v17, v46 :: v_dual_sub_f32 v52, v48, v51
	s_delay_alu instid0(VALU_DEP_1) | instskip(NEXT) | instid1(VALU_DEP_2)
	v_dual_sub_f32 v46, v47, v51 :: v_dual_add_f32 v47, v16, v17
	v_sub_f32_e32 v20, v20, v52
	s_delay_alu instid0(VALU_DEP_1) | instskip(NEXT) | instid1(VALU_DEP_3)
	v_add_f32_e32 v20, v46, v20
	v_sub_f32_e32 v46, v47, v16
	s_delay_alu instid0(VALU_DEP_2) | instskip(NEXT) | instid1(VALU_DEP_2)
	v_add_f32_e32 v20, v47, v20
	v_sub_f32_e32 v47, v47, v46
	v_sub_f32_e32 v17, v17, v46
	s_delay_alu instid0(VALU_DEP_3) | instskip(NEXT) | instid1(VALU_DEP_3)
	v_add_f32_e32 v49, v48, v20
	v_sub_f32_e32 v16, v16, v47
	s_delay_alu instid0(VALU_DEP_2) | instskip(NEXT) | instid1(VALU_DEP_1)
	v_sub_f32_e32 v46, v49, v48
	v_dual_add_f32 v16, v17, v16 :: v_dual_sub_f32 v17, v20, v46
	s_delay_alu instid0(VALU_DEP_1) | instskip(NEXT) | instid1(VALU_DEP_1)
	v_add_f32_e32 v16, v16, v17
	v_add_f32_e32 v16, v49, v16
	s_delay_alu instid0(VALU_DEP_1) | instskip(NEXT) | instid1(VALU_DEP_1)
	v_cndmask_b32_e64 v16, v16, v18, s0
	v_add_f32_e32 v16, v15, v16
.LBB531_130:
	s_or_b32 exec_lo, exec_lo, s1
	s_delay_alu instid0(VALU_DEP_1) | instskip(SKIP_1) | instid1(VALU_DEP_2)
	v_bfe_u32 v15, v16, 16, 1
	v_cmp_o_f32_e64 s0, v16, v16
	v_add3_u32 v15, v16, v15, 0x7fff
	s_delay_alu instid0(VALU_DEP_1) | instskip(NEXT) | instid1(VALU_DEP_1)
	v_lshrrev_b32_e32 v15, 16, v15
	v_cndmask_b32_e64 v15, 0x7fc0, v15, s0
	s_delay_alu instid0(VALU_DEP_1) | instskip(NEXT) | instid1(VALU_DEP_1)
	v_lshlrev_b32_e32 v16, 16, v15
	v_max_f32_e32 v17, v16, v16
	s_delay_alu instid0(VALU_DEP_1) | instskip(SKIP_2) | instid1(VALU_DEP_1)
	v_min_f32_e32 v18, v17, v21
	v_max_f32_e32 v17, v17, v21
	v_cmp_u_f32_e64 s0, v16, v16
	v_cndmask_b32_e64 v18, v18, v16, s0
	s_delay_alu instid0(VALU_DEP_3) | instskip(NEXT) | instid1(VALU_DEP_2)
	v_cndmask_b32_e64 v20, v17, v16, s0
	v_cndmask_b32_e64 v17, v18, v10, s27
	s_delay_alu instid0(VALU_DEP_2) | instskip(NEXT) | instid1(VALU_DEP_2)
	v_cndmask_b32_e64 v10, v20, v10, s27
	v_cmp_class_f32_e64 s1, v17, 0x1f8
	s_delay_alu instid0(VALU_DEP_2) | instskip(NEXT) | instid1(VALU_DEP_1)
	v_cmp_neq_f32_e64 s0, v17, v10
	s_or_b32 s0, s0, s1
	s_delay_alu instid0(SALU_CYCLE_1)
	s_and_saveexec_b32 s1, s0
	s_cbranch_execz .LBB531_132
; %bb.131:
	v_sub_f32_e32 v16, v17, v10
	s_delay_alu instid0(VALU_DEP_1) | instskip(SKIP_1) | instid1(VALU_DEP_2)
	v_mul_f32_e32 v17, 0x3fb8aa3b, v16
	v_cmp_ngt_f32_e64 s0, 0xc2ce8ed0, v16
	v_fma_f32 v18, 0x3fb8aa3b, v16, -v17
	v_rndne_f32_e32 v20, v17
	s_delay_alu instid0(VALU_DEP_1) | instskip(NEXT) | instid1(VALU_DEP_1)
	v_dual_fmamk_f32 v18, v16, 0x32a5705f, v18 :: v_dual_sub_f32 v17, v17, v20
	v_add_f32_e32 v17, v17, v18
	v_cvt_i32_f32_e32 v18, v20
	s_delay_alu instid0(VALU_DEP_2) | instskip(SKIP_2) | instid1(VALU_DEP_1)
	v_exp_f32_e32 v17, v17
	s_waitcnt_depctr 0xfff
	v_ldexp_f32 v17, v17, v18
	v_cndmask_b32_e64 v17, 0, v17, s0
	v_cmp_nlt_f32_e64 s0, 0x42b17218, v16
	s_delay_alu instid0(VALU_DEP_1) | instskip(NEXT) | instid1(VALU_DEP_1)
	v_cndmask_b32_e64 v18, 0x7f800000, v17, s0
	v_add_f32_e32 v20, 1.0, v18
	v_cmp_gt_f32_e64 s23, 0x33800000, |v18|
	s_delay_alu instid0(VALU_DEP_2) | instskip(NEXT) | instid1(VALU_DEP_1)
	v_cvt_f64_f32_e32 v[16:17], v20
	v_frexp_exp_i32_f64_e32 v16, v[16:17]
	v_frexp_mant_f32_e32 v17, v20
	s_delay_alu instid0(VALU_DEP_1) | instskip(SKIP_1) | instid1(VALU_DEP_1)
	v_cmp_gt_f32_e64 s0, 0x3f2aaaab, v17
	v_add_f32_e32 v17, -1.0, v20
	v_dual_sub_f32 v46, v17, v20 :: v_dual_sub_f32 v17, v18, v17
	s_delay_alu instid0(VALU_DEP_3) | instskip(SKIP_1) | instid1(VALU_DEP_1)
	v_subrev_co_ci_u32_e64 v16, s0, 0, v16, s0
	s_mov_b32 s0, 0x3e9b6dac
	v_sub_nc_u32_e32 v21, 0, v16
	v_cvt_f32_i32_e32 v16, v16
	s_delay_alu instid0(VALU_DEP_2) | instskip(NEXT) | instid1(VALU_DEP_1)
	v_ldexp_f32 v20, v20, v21
	v_dual_add_f32 v46, 1.0, v46 :: v_dual_add_f32 v47, 1.0, v20
	s_delay_alu instid0(VALU_DEP_1) | instskip(NEXT) | instid1(VALU_DEP_1)
	v_dual_add_f32 v17, v17, v46 :: v_dual_add_f32 v46, -1.0, v47
	v_ldexp_f32 v17, v17, v21
	s_delay_alu instid0(VALU_DEP_2) | instskip(NEXT) | instid1(VALU_DEP_1)
	v_dual_add_f32 v21, -1.0, v20 :: v_dual_sub_f32 v46, v20, v46
	v_add_f32_e32 v48, 1.0, v21
	s_delay_alu instid0(VALU_DEP_2) | instskip(NEXT) | instid1(VALU_DEP_2)
	v_add_f32_e32 v46, v17, v46
	v_sub_f32_e32 v20, v20, v48
	s_delay_alu instid0(VALU_DEP_1) | instskip(NEXT) | instid1(VALU_DEP_1)
	v_dual_add_f32 v48, v47, v46 :: v_dual_add_f32 v17, v17, v20
	v_rcp_f32_e32 v20, v48
	v_sub_f32_e32 v47, v47, v48
	s_delay_alu instid0(VALU_DEP_1) | instskip(NEXT) | instid1(VALU_DEP_1)
	v_dual_add_f32 v49, v21, v17 :: v_dual_add_f32 v46, v46, v47
	v_sub_f32_e32 v21, v21, v49
	s_waitcnt lgkmcnt(0)
	s_waitcnt_depctr 0xfff
	v_mul_f32_e32 v51, v49, v20
	s_delay_alu instid0(VALU_DEP_1) | instskip(NEXT) | instid1(VALU_DEP_1)
	v_dual_add_f32 v17, v17, v21 :: v_dual_mul_f32 v52, v48, v51
	v_fma_f32 v47, v51, v48, -v52
	s_delay_alu instid0(VALU_DEP_1) | instskip(NEXT) | instid1(VALU_DEP_1)
	v_fmac_f32_e32 v47, v51, v46
	v_add_f32_e32 v53, v52, v47
	s_delay_alu instid0(VALU_DEP_1) | instskip(SKIP_1) | instid1(VALU_DEP_2)
	v_sub_f32_e32 v54, v49, v53
	v_sub_f32_e32 v21, v53, v52
	;; [unrolled: 1-line block ×3, first 2 shown]
	s_delay_alu instid0(VALU_DEP_2) | instskip(NEXT) | instid1(VALU_DEP_2)
	v_sub_f32_e32 v21, v21, v47
	v_sub_f32_e32 v49, v49, v53
	s_delay_alu instid0(VALU_DEP_1) | instskip(NEXT) | instid1(VALU_DEP_1)
	v_add_f32_e32 v17, v17, v49
	v_add_f32_e32 v17, v21, v17
	s_delay_alu instid0(VALU_DEP_1) | instskip(NEXT) | instid1(VALU_DEP_1)
	v_add_f32_e32 v21, v54, v17
	v_mul_f32_e32 v47, v20, v21
	s_delay_alu instid0(VALU_DEP_1) | instskip(NEXT) | instid1(VALU_DEP_1)
	v_mul_f32_e32 v49, v48, v47
	v_fma_f32 v48, v47, v48, -v49
	s_delay_alu instid0(VALU_DEP_1) | instskip(NEXT) | instid1(VALU_DEP_1)
	v_fmac_f32_e32 v48, v47, v46
	v_add_f32_e32 v46, v49, v48
	s_delay_alu instid0(VALU_DEP_1) | instskip(SKIP_1) | instid1(VALU_DEP_2)
	v_dual_sub_f32 v52, v21, v46 :: v_dual_sub_f32 v49, v46, v49
	v_sub_f32_e32 v53, v54, v21
	v_sub_f32_e32 v21, v21, v52
	s_delay_alu instid0(VALU_DEP_1) | instskip(NEXT) | instid1(VALU_DEP_4)
	v_sub_f32_e32 v21, v21, v46
	v_sub_f32_e32 v46, v49, v48
	s_delay_alu instid0(VALU_DEP_4) | instskip(NEXT) | instid1(VALU_DEP_1)
	v_add_f32_e32 v17, v17, v53
	v_add_f32_e32 v17, v17, v21
	;; [unrolled: 1-line block ×3, first 2 shown]
	s_delay_alu instid0(VALU_DEP_1) | instskip(NEXT) | instid1(VALU_DEP_1)
	v_dual_add_f32 v17, v46, v17 :: v_dual_sub_f32 v46, v21, v51
	v_dual_add_f32 v17, v52, v17 :: v_dual_sub_f32 v46, v47, v46
	s_delay_alu instid0(VALU_DEP_1) | instskip(NEXT) | instid1(VALU_DEP_1)
	v_mul_f32_e32 v17, v20, v17
	v_add_f32_e32 v17, v46, v17
	s_delay_alu instid0(VALU_DEP_1) | instskip(NEXT) | instid1(VALU_DEP_1)
	v_add_f32_e32 v20, v21, v17
	v_mul_f32_e32 v46, v20, v20
	s_delay_alu instid0(VALU_DEP_1) | instskip(SKIP_2) | instid1(VALU_DEP_3)
	v_fmaak_f32 v47, s0, v46, 0x3ecc95a3
	v_mul_f32_e32 v48, v20, v46
	v_cmp_eq_f32_e64 s0, 0x7f800000, v18
	v_fmaak_f32 v46, v46, v47, 0x3f2aaada
	v_ldexp_f32 v47, v20, 1
	s_delay_alu instid0(VALU_DEP_3) | instskip(NEXT) | instid1(VALU_DEP_2)
	s_or_b32 s0, s0, s23
	v_mul_f32_e32 v46, v48, v46
	v_sub_f32_e32 v20, v20, v21
	s_delay_alu instid0(VALU_DEP_2) | instskip(NEXT) | instid1(VALU_DEP_2)
	v_dual_mul_f32 v48, 0x3f317218, v16 :: v_dual_add_f32 v21, v47, v46
	v_sub_f32_e32 v17, v17, v20
	s_delay_alu instid0(VALU_DEP_2) | instskip(NEXT) | instid1(VALU_DEP_3)
	v_sub_f32_e32 v20, v21, v47
	v_fma_f32 v47, 0x3f317218, v16, -v48
	s_delay_alu instid0(VALU_DEP_3) | instskip(NEXT) | instid1(VALU_DEP_3)
	v_ldexp_f32 v17, v17, 1
	v_sub_f32_e32 v20, v46, v20
	s_delay_alu instid0(VALU_DEP_1) | instskip(NEXT) | instid1(VALU_DEP_1)
	v_dual_fmamk_f32 v16, v16, 0xb102e308, v47 :: v_dual_add_f32 v17, v17, v20
	v_add_f32_e32 v20, v48, v16
	s_delay_alu instid0(VALU_DEP_2) | instskip(NEXT) | instid1(VALU_DEP_2)
	v_add_f32_e32 v46, v21, v17
	v_sub_f32_e32 v48, v20, v48
	s_delay_alu instid0(VALU_DEP_2) | instskip(NEXT) | instid1(VALU_DEP_2)
	v_add_f32_e32 v47, v20, v46
	v_sub_f32_e32 v16, v16, v48
	s_delay_alu instid0(VALU_DEP_2) | instskip(SKIP_1) | instid1(VALU_DEP_2)
	v_sub_f32_e32 v49, v47, v20
	v_sub_f32_e32 v21, v46, v21
	;; [unrolled: 1-line block ×3, first 2 shown]
	s_delay_alu instid0(VALU_DEP_2) | instskip(NEXT) | instid1(VALU_DEP_2)
	v_sub_f32_e32 v17, v17, v21
	v_dual_sub_f32 v21, v46, v49 :: v_dual_sub_f32 v20, v20, v51
	s_delay_alu instid0(VALU_DEP_2) | instskip(NEXT) | instid1(VALU_DEP_2)
	v_add_f32_e32 v46, v16, v17
	v_add_f32_e32 v20, v21, v20
	s_delay_alu instid0(VALU_DEP_2) | instskip(NEXT) | instid1(VALU_DEP_2)
	v_sub_f32_e32 v21, v46, v16
	v_add_f32_e32 v20, v46, v20
	s_delay_alu instid0(VALU_DEP_2) | instskip(NEXT) | instid1(VALU_DEP_1)
	v_sub_f32_e32 v46, v46, v21
	v_dual_sub_f32 v17, v17, v21 :: v_dual_sub_f32 v16, v16, v46
	s_delay_alu instid0(VALU_DEP_1) | instskip(NEXT) | instid1(VALU_DEP_4)
	v_add_f32_e32 v16, v17, v16
	v_add_f32_e32 v48, v47, v20
	s_delay_alu instid0(VALU_DEP_1) | instskip(NEXT) | instid1(VALU_DEP_1)
	v_sub_f32_e32 v21, v48, v47
	v_sub_f32_e32 v17, v20, v21
	s_delay_alu instid0(VALU_DEP_1) | instskip(NEXT) | instid1(VALU_DEP_1)
	v_add_f32_e32 v16, v16, v17
	v_add_f32_e32 v16, v48, v16
	s_delay_alu instid0(VALU_DEP_1) | instskip(NEXT) | instid1(VALU_DEP_1)
	v_cndmask_b32_e64 v16, v16, v18, s0
	v_add_f32_e32 v16, v10, v16
.LBB531_132:
	s_or_b32 exec_lo, exec_lo, s1
	s_delay_alu instid0(VALU_DEP_1) | instskip(SKIP_1) | instid1(VALU_DEP_2)
	v_bfe_u32 v10, v16, 16, 1
	v_cmp_o_f32_e64 s0, v16, v16
	v_add3_u32 v10, v16, v10, 0x7fff
	s_delay_alu instid0(VALU_DEP_1) | instskip(NEXT) | instid1(VALU_DEP_1)
	v_lshrrev_b32_e32 v10, 16, v10
	v_cndmask_b32_e64 v10, 0x7fc0, v10, s0
	s_delay_alu instid0(VALU_DEP_1) | instskip(NEXT) | instid1(VALU_DEP_1)
	v_lshlrev_b32_e32 v17, 16, v10
	v_max_f32_e32 v16, v17, v17
	s_delay_alu instid0(VALU_DEP_1) | instskip(SKIP_2) | instid1(VALU_DEP_1)
	v_min_f32_e32 v18, v16, v23
	v_max_f32_e32 v16, v16, v23
	v_cmp_u_f32_e64 s0, v17, v17
	v_cndmask_b32_e64 v18, v18, v17, s0
	s_delay_alu instid0(VALU_DEP_3) | instskip(NEXT) | instid1(VALU_DEP_2)
	v_cndmask_b32_e64 v16, v16, v17, s0
	v_cndmask_b32_e64 v18, v18, v19, s28
	s_delay_alu instid0(VALU_DEP_2) | instskip(NEXT) | instid1(VALU_DEP_2)
	v_cndmask_b32_e64 v16, v16, v19, s28
	v_cmp_class_f32_e64 s1, v18, 0x1f8
	s_delay_alu instid0(VALU_DEP_2) | instskip(NEXT) | instid1(VALU_DEP_1)
	v_cmp_neq_f32_e64 s0, v18, v16
	s_or_b32 s0, s0, s1
	s_delay_alu instid0(SALU_CYCLE_1)
	s_and_saveexec_b32 s1, s0
	s_cbranch_execz .LBB531_134
; %bb.133:
	v_sub_f32_e32 v17, v18, v16
	s_delay_alu instid0(VALU_DEP_1) | instskip(SKIP_1) | instid1(VALU_DEP_2)
	v_mul_f32_e32 v18, 0x3fb8aa3b, v17
	v_cmp_ngt_f32_e64 s0, 0xc2ce8ed0, v17
	v_fma_f32 v19, 0x3fb8aa3b, v17, -v18
	v_rndne_f32_e32 v20, v18
	s_delay_alu instid0(VALU_DEP_1) | instskip(NEXT) | instid1(VALU_DEP_1)
	v_dual_fmamk_f32 v19, v17, 0x32a5705f, v19 :: v_dual_sub_f32 v18, v18, v20
	v_add_f32_e32 v18, v18, v19
	v_cvt_i32_f32_e32 v19, v20
	s_delay_alu instid0(VALU_DEP_2) | instskip(SKIP_2) | instid1(VALU_DEP_1)
	v_exp_f32_e32 v18, v18
	s_waitcnt_depctr 0xfff
	v_ldexp_f32 v18, v18, v19
	v_cndmask_b32_e64 v18, 0, v18, s0
	v_cmp_nlt_f32_e64 s0, 0x42b17218, v17
	s_delay_alu instid0(VALU_DEP_1) | instskip(NEXT) | instid1(VALU_DEP_1)
	v_cndmask_b32_e64 v19, 0x7f800000, v18, s0
	v_add_f32_e32 v20, 1.0, v19
	v_cmp_gt_f32_e64 s23, 0x33800000, |v19|
	s_delay_alu instid0(VALU_DEP_2) | instskip(NEXT) | instid1(VALU_DEP_1)
	v_cvt_f64_f32_e32 v[17:18], v20
	v_frexp_exp_i32_f64_e32 v17, v[17:18]
	v_frexp_mant_f32_e32 v18, v20
	s_delay_alu instid0(VALU_DEP_1) | instskip(SKIP_1) | instid1(VALU_DEP_1)
	v_cmp_gt_f32_e64 s0, 0x3f2aaaab, v18
	v_add_f32_e32 v18, -1.0, v20
	v_dual_sub_f32 v23, v18, v20 :: v_dual_sub_f32 v18, v19, v18
	s_delay_alu instid0(VALU_DEP_1) | instskip(NEXT) | instid1(VALU_DEP_4)
	v_add_f32_e32 v23, 1.0, v23
	v_subrev_co_ci_u32_e64 v17, s0, 0, v17, s0
	s_mov_b32 s0, 0x3e9b6dac
	s_delay_alu instid0(VALU_DEP_1) | instskip(SKIP_1) | instid1(VALU_DEP_2)
	v_sub_nc_u32_e32 v21, 0, v17
	v_cvt_f32_i32_e32 v17, v17
	v_ldexp_f32 v20, v20, v21
	v_add_f32_e32 v18, v18, v23
	s_delay_alu instid0(VALU_DEP_1) | instskip(NEXT) | instid1(VALU_DEP_3)
	v_ldexp_f32 v18, v18, v21
	v_add_f32_e32 v21, -1.0, v20
	s_delay_alu instid0(VALU_DEP_1) | instskip(NEXT) | instid1(VALU_DEP_1)
	v_dual_add_f32 v46, 1.0, v20 :: v_dual_add_f32 v47, 1.0, v21
	v_add_f32_e32 v23, -1.0, v46
	s_delay_alu instid0(VALU_DEP_1) | instskip(NEXT) | instid1(VALU_DEP_3)
	v_sub_f32_e32 v23, v20, v23
	v_sub_f32_e32 v20, v20, v47
	s_delay_alu instid0(VALU_DEP_2) | instskip(NEXT) | instid1(VALU_DEP_2)
	v_add_f32_e32 v23, v18, v23
	v_add_f32_e32 v18, v18, v20
	s_delay_alu instid0(VALU_DEP_1) | instskip(NEXT) | instid1(VALU_DEP_1)
	v_dual_add_f32 v48, v21, v18 :: v_dual_add_f32 v47, v46, v23
	v_rcp_f32_e32 v20, v47
	v_sub_f32_e32 v46, v46, v47
	s_delay_alu instid0(VALU_DEP_1) | instskip(SKIP_3) | instid1(VALU_DEP_1)
	v_add_f32_e32 v23, v23, v46
	s_waitcnt_depctr 0xfff
	v_mul_f32_e32 v49, v48, v20
	s_waitcnt lgkmcnt(0)
	v_mul_f32_e32 v51, v47, v49
	s_delay_alu instid0(VALU_DEP_1) | instskip(NEXT) | instid1(VALU_DEP_1)
	v_fma_f32 v46, v49, v47, -v51
	v_fmac_f32_e32 v46, v49, v23
	s_delay_alu instid0(VALU_DEP_1) | instskip(NEXT) | instid1(VALU_DEP_1)
	v_add_f32_e32 v52, v51, v46
	v_sub_f32_e32 v53, v48, v52
	s_delay_alu instid0(VALU_DEP_1) | instskip(NEXT) | instid1(VALU_DEP_1)
	v_dual_sub_f32 v21, v21, v48 :: v_dual_sub_f32 v48, v48, v53
	v_dual_add_f32 v18, v18, v21 :: v_dual_sub_f32 v21, v52, v51
	s_delay_alu instid0(VALU_DEP_1) | instskip(NEXT) | instid1(VALU_DEP_1)
	v_dual_sub_f32 v48, v48, v52 :: v_dual_sub_f32 v21, v21, v46
	v_add_f32_e32 v18, v18, v48
	s_delay_alu instid0(VALU_DEP_1) | instskip(NEXT) | instid1(VALU_DEP_1)
	v_add_f32_e32 v18, v21, v18
	v_add_f32_e32 v21, v53, v18
	s_delay_alu instid0(VALU_DEP_1) | instskip(NEXT) | instid1(VALU_DEP_1)
	v_mul_f32_e32 v46, v20, v21
	v_mul_f32_e32 v48, v47, v46
	s_delay_alu instid0(VALU_DEP_1) | instskip(NEXT) | instid1(VALU_DEP_1)
	v_fma_f32 v47, v46, v47, -v48
	v_dual_fmac_f32 v47, v46, v23 :: v_dual_sub_f32 v52, v53, v21
	s_delay_alu instid0(VALU_DEP_1) | instskip(NEXT) | instid1(VALU_DEP_1)
	v_dual_add_f32 v23, v48, v47 :: v_dual_add_f32 v18, v18, v52
	v_sub_f32_e32 v51, v21, v23
	s_delay_alu instid0(VALU_DEP_1) | instskip(NEXT) | instid1(VALU_DEP_1)
	v_dual_sub_f32 v21, v21, v51 :: v_dual_sub_f32 v48, v23, v48
	v_sub_f32_e32 v21, v21, v23
	s_delay_alu instid0(VALU_DEP_1) | instskip(SKIP_1) | instid1(VALU_DEP_1)
	v_dual_sub_f32 v23, v48, v47 :: v_dual_add_f32 v18, v18, v21
	v_add_f32_e32 v21, v49, v46
	v_dual_add_f32 v18, v23, v18 :: v_dual_sub_f32 v23, v21, v49
	s_delay_alu instid0(VALU_DEP_1) | instskip(NEXT) | instid1(VALU_DEP_1)
	v_dual_add_f32 v18, v51, v18 :: v_dual_sub_f32 v23, v46, v23
	v_mul_f32_e32 v18, v20, v18
	s_delay_alu instid0(VALU_DEP_1) | instskip(NEXT) | instid1(VALU_DEP_1)
	v_add_f32_e32 v18, v23, v18
	v_add_f32_e32 v20, v21, v18
	s_delay_alu instid0(VALU_DEP_1) | instskip(NEXT) | instid1(VALU_DEP_1)
	v_mul_f32_e32 v23, v20, v20
	v_fmaak_f32 v46, s0, v23, 0x3ecc95a3
	v_mul_f32_e32 v47, v20, v23
	v_cmp_eq_f32_e64 s0, 0x7f800000, v19
	s_delay_alu instid0(VALU_DEP_3) | instskip(SKIP_2) | instid1(VALU_DEP_4)
	v_fmaak_f32 v23, v23, v46, 0x3f2aaada
	v_ldexp_f32 v46, v20, 1
	v_sub_f32_e32 v20, v20, v21
	s_or_b32 s0, s0, s23
	s_delay_alu instid0(VALU_DEP_1) | instskip(NEXT) | instid1(VALU_DEP_1)
	v_dual_sub_f32 v18, v18, v20 :: v_dual_mul_f32 v23, v47, v23
	v_ldexp_f32 v18, v18, 1
	s_delay_alu instid0(VALU_DEP_2) | instskip(NEXT) | instid1(VALU_DEP_1)
	v_add_f32_e32 v21, v46, v23
	v_dual_mul_f32 v47, 0x3f317218, v17 :: v_dual_sub_f32 v20, v21, v46
	s_delay_alu instid0(VALU_DEP_1) | instskip(NEXT) | instid1(VALU_DEP_1)
	v_fma_f32 v46, 0x3f317218, v17, -v47
	v_dual_sub_f32 v20, v23, v20 :: v_dual_fmamk_f32 v17, v17, 0xb102e308, v46
	s_delay_alu instid0(VALU_DEP_1) | instskip(NEXT) | instid1(VALU_DEP_2)
	v_add_f32_e32 v18, v18, v20
	v_add_f32_e32 v20, v47, v17
	s_delay_alu instid0(VALU_DEP_1) | instskip(NEXT) | instid1(VALU_DEP_3)
	v_sub_f32_e32 v47, v20, v47
	v_add_f32_e32 v23, v21, v18
	s_delay_alu instid0(VALU_DEP_2) | instskip(NEXT) | instid1(VALU_DEP_2)
	v_sub_f32_e32 v17, v17, v47
	v_dual_add_f32 v46, v20, v23 :: v_dual_sub_f32 v21, v23, v21
	s_delay_alu instid0(VALU_DEP_1) | instskip(NEXT) | instid1(VALU_DEP_1)
	v_sub_f32_e32 v48, v46, v20
	v_dual_sub_f32 v18, v18, v21 :: v_dual_sub_f32 v21, v23, v48
	v_sub_f32_e32 v49, v46, v48
	s_delay_alu instid0(VALU_DEP_1) | instskip(NEXT) | instid1(VALU_DEP_1)
	v_dual_add_f32 v23, v17, v18 :: v_dual_sub_f32 v20, v20, v49
	v_dual_add_f32 v20, v21, v20 :: v_dual_sub_f32 v21, v23, v17
	s_delay_alu instid0(VALU_DEP_1) | instskip(NEXT) | instid1(VALU_DEP_2)
	v_add_f32_e32 v20, v23, v20
	v_sub_f32_e32 v23, v23, v21
	s_delay_alu instid0(VALU_DEP_1) | instskip(NEXT) | instid1(VALU_DEP_3)
	v_sub_f32_e32 v17, v17, v23
	v_add_f32_e32 v47, v46, v20
	s_delay_alu instid0(VALU_DEP_1) | instskip(NEXT) | instid1(VALU_DEP_1)
	v_dual_sub_f32 v18, v18, v21 :: v_dual_sub_f32 v21, v47, v46
	v_add_f32_e32 v17, v18, v17
	s_delay_alu instid0(VALU_DEP_2) | instskip(NEXT) | instid1(VALU_DEP_1)
	v_sub_f32_e32 v18, v20, v21
	v_add_f32_e32 v17, v17, v18
	s_delay_alu instid0(VALU_DEP_1) | instskip(NEXT) | instid1(VALU_DEP_1)
	v_add_f32_e32 v17, v47, v17
	v_cndmask_b32_e64 v17, v17, v19, s0
	s_delay_alu instid0(VALU_DEP_1)
	v_add_f32_e32 v17, v16, v17
.LBB531_134:
	s_or_b32 exec_lo, exec_lo, s1
	s_delay_alu instid0(VALU_DEP_1) | instskip(SKIP_1) | instid1(VALU_DEP_2)
	v_bfe_u32 v16, v17, 16, 1
	v_cmp_o_f32_e64 s0, v17, v17
	v_add3_u32 v16, v17, v16, 0x7fff
	s_delay_alu instid0(VALU_DEP_1) | instskip(NEXT) | instid1(VALU_DEP_1)
	v_lshrrev_b32_e32 v16, 16, v16
	v_cndmask_b32_e64 v16, 0x7fc0, v16, s0
	s_delay_alu instid0(VALU_DEP_1) | instskip(NEXT) | instid1(VALU_DEP_1)
	v_lshlrev_b32_e32 v17, 16, v16
	v_max_f32_e32 v18, v17, v17
	v_cmp_u_f32_e64 s0, v17, v17
	s_delay_alu instid0(VALU_DEP_2) | instskip(SKIP_1) | instid1(VALU_DEP_2)
	v_min_f32_e32 v19, v18, v24
	v_max_f32_e32 v18, v18, v24
	v_cndmask_b32_e64 v19, v19, v17, s0
	s_delay_alu instid0(VALU_DEP_2) | instskip(NEXT) | instid1(VALU_DEP_2)
	v_cndmask_b32_e64 v20, v18, v17, s0
	v_cndmask_b32_e64 v18, v19, v11, s29
	s_delay_alu instid0(VALU_DEP_2) | instskip(NEXT) | instid1(VALU_DEP_2)
	v_cndmask_b32_e64 v11, v20, v11, s29
	v_cmp_class_f32_e64 s1, v18, 0x1f8
	s_delay_alu instid0(VALU_DEP_2) | instskip(NEXT) | instid1(VALU_DEP_1)
	v_cmp_neq_f32_e64 s0, v18, v11
	s_or_b32 s0, s0, s1
	s_delay_alu instid0(SALU_CYCLE_1)
	s_and_saveexec_b32 s1, s0
	s_cbranch_execz .LBB531_136
; %bb.135:
	v_sub_f32_e32 v17, v18, v11
	s_delay_alu instid0(VALU_DEP_1) | instskip(SKIP_1) | instid1(VALU_DEP_2)
	v_mul_f32_e32 v18, 0x3fb8aa3b, v17
	v_cmp_ngt_f32_e64 s0, 0xc2ce8ed0, v17
	v_fma_f32 v19, 0x3fb8aa3b, v17, -v18
	v_rndne_f32_e32 v20, v18
	s_delay_alu instid0(VALU_DEP_1) | instskip(NEXT) | instid1(VALU_DEP_1)
	v_dual_fmamk_f32 v19, v17, 0x32a5705f, v19 :: v_dual_sub_f32 v18, v18, v20
	v_add_f32_e32 v18, v18, v19
	v_cvt_i32_f32_e32 v19, v20
	s_delay_alu instid0(VALU_DEP_2) | instskip(SKIP_2) | instid1(VALU_DEP_1)
	v_exp_f32_e32 v18, v18
	s_waitcnt_depctr 0xfff
	v_ldexp_f32 v18, v18, v19
	v_cndmask_b32_e64 v18, 0, v18, s0
	v_cmp_nlt_f32_e64 s0, 0x42b17218, v17
	s_delay_alu instid0(VALU_DEP_1) | instskip(NEXT) | instid1(VALU_DEP_1)
	v_cndmask_b32_e64 v19, 0x7f800000, v18, s0
	v_add_f32_e32 v20, 1.0, v19
	v_cmp_gt_f32_e64 s23, 0x33800000, |v19|
	s_delay_alu instid0(VALU_DEP_2) | instskip(NEXT) | instid1(VALU_DEP_1)
	v_cvt_f64_f32_e32 v[17:18], v20
	v_frexp_exp_i32_f64_e32 v17, v[17:18]
	v_frexp_mant_f32_e32 v18, v20
	s_delay_alu instid0(VALU_DEP_1) | instskip(SKIP_1) | instid1(VALU_DEP_1)
	v_cmp_gt_f32_e64 s0, 0x3f2aaaab, v18
	v_add_f32_e32 v18, -1.0, v20
	v_dual_sub_f32 v23, v18, v20 :: v_dual_sub_f32 v18, v19, v18
	s_delay_alu instid0(VALU_DEP_1) | instskip(NEXT) | instid1(VALU_DEP_4)
	v_add_f32_e32 v23, 1.0, v23
	v_subrev_co_ci_u32_e64 v17, s0, 0, v17, s0
	s_mov_b32 s0, 0x3e9b6dac
	s_delay_alu instid0(VALU_DEP_1) | instskip(SKIP_1) | instid1(VALU_DEP_2)
	v_sub_nc_u32_e32 v21, 0, v17
	v_cvt_f32_i32_e32 v17, v17
	v_ldexp_f32 v20, v20, v21
	v_add_f32_e32 v18, v18, v23
	s_delay_alu instid0(VALU_DEP_2) | instskip(NEXT) | instid1(VALU_DEP_2)
	v_add_f32_e32 v24, 1.0, v20
	v_ldexp_f32 v18, v18, v21
	v_add_f32_e32 v21, -1.0, v20
	s_delay_alu instid0(VALU_DEP_3) | instskip(NEXT) | instid1(VALU_DEP_1)
	v_add_f32_e32 v23, -1.0, v24
	v_dual_sub_f32 v23, v20, v23 :: v_dual_add_f32 v46, 1.0, v21
	s_delay_alu instid0(VALU_DEP_1) | instskip(NEXT) | instid1(VALU_DEP_1)
	v_dual_add_f32 v23, v18, v23 :: v_dual_sub_f32 v20, v20, v46
	v_add_f32_e32 v46, v24, v23
	s_delay_alu instid0(VALU_DEP_2) | instskip(NEXT) | instid1(VALU_DEP_1)
	v_add_f32_e32 v18, v18, v20
	v_add_f32_e32 v47, v21, v18
	s_delay_alu instid0(VALU_DEP_1) | instskip(NEXT) | instid1(VALU_DEP_1)
	v_dual_sub_f32 v24, v24, v46 :: v_dual_sub_f32 v21, v21, v47
	v_add_f32_e32 v23, v23, v24
	v_rcp_f32_e32 v20, v46
	s_delay_alu instid0(VALU_DEP_2) | instskip(SKIP_2) | instid1(VALU_DEP_1)
	v_add_f32_e32 v18, v18, v21
	s_waitcnt_depctr 0xfff
	v_mul_f32_e32 v48, v47, v20
	v_mul_f32_e32 v49, v46, v48
	s_delay_alu instid0(VALU_DEP_1) | instskip(NEXT) | instid1(VALU_DEP_1)
	v_fma_f32 v24, v48, v46, -v49
	v_fmac_f32_e32 v24, v48, v23
	s_waitcnt lgkmcnt(0)
	s_delay_alu instid0(VALU_DEP_1) | instskip(NEXT) | instid1(VALU_DEP_1)
	v_add_f32_e32 v51, v49, v24
	v_sub_f32_e32 v21, v51, v49
	s_delay_alu instid0(VALU_DEP_1) | instskip(NEXT) | instid1(VALU_DEP_1)
	v_dual_sub_f32 v52, v47, v51 :: v_dual_sub_f32 v21, v21, v24
	v_sub_f32_e32 v47, v47, v52
	s_delay_alu instid0(VALU_DEP_1) | instskip(NEXT) | instid1(VALU_DEP_1)
	v_sub_f32_e32 v47, v47, v51
	v_add_f32_e32 v18, v18, v47
	s_delay_alu instid0(VALU_DEP_1) | instskip(NEXT) | instid1(VALU_DEP_1)
	v_add_f32_e32 v18, v21, v18
	v_add_f32_e32 v21, v52, v18
	s_delay_alu instid0(VALU_DEP_1) | instskip(SKIP_1) | instid1(VALU_DEP_2)
	v_mul_f32_e32 v24, v20, v21
	v_sub_f32_e32 v51, v52, v21
	v_mul_f32_e32 v47, v46, v24
	s_delay_alu instid0(VALU_DEP_2) | instskip(NEXT) | instid1(VALU_DEP_2)
	v_add_f32_e32 v18, v18, v51
	v_fma_f32 v46, v24, v46, -v47
	s_delay_alu instid0(VALU_DEP_1) | instskip(NEXT) | instid1(VALU_DEP_1)
	v_fmac_f32_e32 v46, v24, v23
	v_add_f32_e32 v23, v47, v46
	s_delay_alu instid0(VALU_DEP_1) | instskip(NEXT) | instid1(VALU_DEP_1)
	v_sub_f32_e32 v49, v21, v23
	v_sub_f32_e32 v21, v21, v49
	s_delay_alu instid0(VALU_DEP_1) | instskip(NEXT) | instid1(VALU_DEP_1)
	v_sub_f32_e32 v21, v21, v23
	v_dual_sub_f32 v47, v23, v47 :: v_dual_add_f32 v18, v18, v21
	v_add_f32_e32 v21, v48, v24
	s_delay_alu instid0(VALU_DEP_2) | instskip(NEXT) | instid1(VALU_DEP_1)
	v_sub_f32_e32 v23, v47, v46
	v_add_f32_e32 v18, v23, v18
	s_delay_alu instid0(VALU_DEP_1) | instskip(NEXT) | instid1(VALU_DEP_1)
	v_add_f32_e32 v18, v49, v18
	v_dual_sub_f32 v23, v21, v48 :: v_dual_mul_f32 v18, v20, v18
	s_delay_alu instid0(VALU_DEP_1) | instskip(NEXT) | instid1(VALU_DEP_1)
	v_sub_f32_e32 v23, v24, v23
	v_add_f32_e32 v18, v23, v18
	s_delay_alu instid0(VALU_DEP_1) | instskip(NEXT) | instid1(VALU_DEP_1)
	v_add_f32_e32 v20, v21, v18
	v_mul_f32_e32 v23, v20, v20
	s_delay_alu instid0(VALU_DEP_1) | instskip(SKIP_2) | instid1(VALU_DEP_3)
	v_fmaak_f32 v24, s0, v23, 0x3ecc95a3
	v_mul_f32_e32 v46, v20, v23
	v_cmp_eq_f32_e64 s0, 0x7f800000, v19
	v_fmaak_f32 v23, v23, v24, 0x3f2aaada
	v_ldexp_f32 v24, v20, 1
	v_sub_f32_e32 v20, v20, v21
	s_delay_alu instid0(VALU_DEP_4) | instskip(NEXT) | instid1(VALU_DEP_3)
	s_or_b32 s0, s0, s23
	v_dual_mul_f32 v23, v46, v23 :: v_dual_mul_f32 v46, 0x3f317218, v17
	s_delay_alu instid0(VALU_DEP_1) | instskip(NEXT) | instid1(VALU_DEP_1)
	v_dual_sub_f32 v18, v18, v20 :: v_dual_add_f32 v21, v24, v23
	v_ldexp_f32 v18, v18, 1
	s_delay_alu instid0(VALU_DEP_2) | instskip(NEXT) | instid1(VALU_DEP_4)
	v_sub_f32_e32 v20, v21, v24
	v_fma_f32 v24, 0x3f317218, v17, -v46
	s_delay_alu instid0(VALU_DEP_1) | instskip(NEXT) | instid1(VALU_DEP_1)
	v_dual_sub_f32 v20, v23, v20 :: v_dual_fmamk_f32 v17, v17, 0xb102e308, v24
	v_add_f32_e32 v18, v18, v20
	s_delay_alu instid0(VALU_DEP_1) | instskip(NEXT) | instid1(VALU_DEP_1)
	v_dual_add_f32 v20, v46, v17 :: v_dual_add_f32 v23, v21, v18
	v_dual_sub_f32 v46, v20, v46 :: v_dual_sub_f32 v21, v23, v21
	s_delay_alu instid0(VALU_DEP_1) | instskip(SKIP_1) | instid1(VALU_DEP_1)
	v_dual_sub_f32 v17, v17, v46 :: v_dual_sub_f32 v18, v18, v21
	v_add_f32_e32 v24, v20, v23
	v_sub_f32_e32 v47, v24, v20
	s_delay_alu instid0(VALU_DEP_1) | instskip(NEXT) | instid1(VALU_DEP_4)
	v_sub_f32_e32 v21, v23, v47
	v_dual_add_f32 v23, v17, v18 :: v_dual_sub_f32 v48, v24, v47
	s_delay_alu instid0(VALU_DEP_1) | instskip(NEXT) | instid1(VALU_DEP_1)
	v_sub_f32_e32 v20, v20, v48
	v_dual_add_f32 v20, v21, v20 :: v_dual_sub_f32 v21, v23, v17
	s_delay_alu instid0(VALU_DEP_1) | instskip(NEXT) | instid1(VALU_DEP_1)
	v_add_f32_e32 v20, v23, v20
	v_dual_sub_f32 v23, v23, v21 :: v_dual_add_f32 v46, v24, v20
	s_delay_alu instid0(VALU_DEP_1) | instskip(NEXT) | instid1(VALU_DEP_2)
	v_dual_sub_f32 v17, v17, v23 :: v_dual_sub_f32 v18, v18, v21
	v_sub_f32_e32 v21, v46, v24
	s_delay_alu instid0(VALU_DEP_2) | instskip(NEXT) | instid1(VALU_DEP_2)
	v_add_f32_e32 v17, v18, v17
	v_sub_f32_e32 v18, v20, v21
	s_delay_alu instid0(VALU_DEP_1) | instskip(NEXT) | instid1(VALU_DEP_1)
	v_add_f32_e32 v17, v17, v18
	v_add_f32_e32 v17, v46, v17
	s_delay_alu instid0(VALU_DEP_1) | instskip(NEXT) | instid1(VALU_DEP_1)
	v_cndmask_b32_e64 v17, v17, v19, s0
	v_add_f32_e32 v17, v11, v17
.LBB531_136:
	s_or_b32 exec_lo, exec_lo, s1
	s_delay_alu instid0(VALU_DEP_1) | instskip(SKIP_1) | instid1(VALU_DEP_2)
	v_bfe_u32 v11, v17, 16, 1
	v_cmp_o_f32_e64 s0, v17, v17
	v_add3_u32 v11, v17, v11, 0x7fff
	s_delay_alu instid0(VALU_DEP_1) | instskip(NEXT) | instid1(VALU_DEP_1)
	v_lshrrev_b32_e32 v11, 16, v11
	v_cndmask_b32_e64 v11, 0x7fc0, v11, s0
	s_delay_alu instid0(VALU_DEP_1) | instskip(NEXT) | instid1(VALU_DEP_1)
	v_lshlrev_b32_e32 v18, 16, v11
	v_max_f32_e32 v17, v18, v18
	s_delay_alu instid0(VALU_DEP_1) | instskip(SKIP_2) | instid1(VALU_DEP_1)
	v_min_f32_e32 v19, v17, v26
	v_max_f32_e32 v17, v17, v26
	v_cmp_u_f32_e64 s0, v18, v18
	v_cndmask_b32_e64 v19, v19, v18, s0
	s_delay_alu instid0(VALU_DEP_3) | instskip(NEXT) | instid1(VALU_DEP_2)
	v_cndmask_b32_e64 v17, v17, v18, s0
	v_cndmask_b32_e64 v19, v19, v22, s30
	s_delay_alu instid0(VALU_DEP_2) | instskip(NEXT) | instid1(VALU_DEP_2)
	v_cndmask_b32_e64 v17, v17, v22, s30
	v_cmp_class_f32_e64 s1, v19, 0x1f8
	s_delay_alu instid0(VALU_DEP_2) | instskip(NEXT) | instid1(VALU_DEP_1)
	v_cmp_neq_f32_e64 s0, v19, v17
	s_or_b32 s0, s0, s1
	s_delay_alu instid0(SALU_CYCLE_1)
	s_and_saveexec_b32 s1, s0
	s_cbranch_execz .LBB531_138
; %bb.137:
	v_sub_f32_e32 v18, v19, v17
	s_delay_alu instid0(VALU_DEP_1) | instskip(SKIP_1) | instid1(VALU_DEP_2)
	v_mul_f32_e32 v19, 0x3fb8aa3b, v18
	v_cmp_ngt_f32_e64 s0, 0xc2ce8ed0, v18
	v_fma_f32 v20, 0x3fb8aa3b, v18, -v19
	v_rndne_f32_e32 v21, v19
	s_delay_alu instid0(VALU_DEP_1) | instskip(NEXT) | instid1(VALU_DEP_1)
	v_dual_fmamk_f32 v20, v18, 0x32a5705f, v20 :: v_dual_sub_f32 v19, v19, v21
	v_add_f32_e32 v19, v19, v20
	v_cvt_i32_f32_e32 v20, v21
	s_delay_alu instid0(VALU_DEP_2) | instskip(SKIP_2) | instid1(VALU_DEP_1)
	v_exp_f32_e32 v19, v19
	s_waitcnt_depctr 0xfff
	v_ldexp_f32 v19, v19, v20
	v_cndmask_b32_e64 v19, 0, v19, s0
	v_cmp_nlt_f32_e64 s0, 0x42b17218, v18
	s_delay_alu instid0(VALU_DEP_1) | instskip(NEXT) | instid1(VALU_DEP_1)
	v_cndmask_b32_e64 v20, 0x7f800000, v19, s0
	v_add_f32_e32 v21, 1.0, v20
	v_cmp_gt_f32_e64 s23, 0x33800000, |v20|
	s_delay_alu instid0(VALU_DEP_2) | instskip(NEXT) | instid1(VALU_DEP_1)
	v_cvt_f64_f32_e32 v[18:19], v21
	v_frexp_exp_i32_f64_e32 v18, v[18:19]
	v_frexp_mant_f32_e32 v19, v21
	s_delay_alu instid0(VALU_DEP_1) | instskip(SKIP_1) | instid1(VALU_DEP_1)
	v_cmp_gt_f32_e64 s0, 0x3f2aaaab, v19
	v_add_f32_e32 v19, -1.0, v21
	v_sub_f32_e32 v23, v19, v21
	v_sub_f32_e32 v19, v20, v19
	s_delay_alu instid0(VALU_DEP_4) | instskip(SKIP_1) | instid1(VALU_DEP_1)
	v_subrev_co_ci_u32_e64 v18, s0, 0, v18, s0
	s_mov_b32 s0, 0x3e9b6dac
	v_sub_nc_u32_e32 v22, 0, v18
	v_cvt_f32_i32_e32 v18, v18
	s_delay_alu instid0(VALU_DEP_2) | instskip(NEXT) | instid1(VALU_DEP_1)
	v_ldexp_f32 v21, v21, v22
	v_dual_add_f32 v24, 1.0, v21 :: v_dual_add_f32 v23, 1.0, v23
	s_delay_alu instid0(VALU_DEP_1) | instskip(NEXT) | instid1(VALU_DEP_2)
	v_add_f32_e32 v19, v19, v23
	v_add_f32_e32 v23, -1.0, v24
	s_delay_alu instid0(VALU_DEP_2) | instskip(NEXT) | instid1(VALU_DEP_2)
	v_ldexp_f32 v19, v19, v22
	v_dual_add_f32 v22, -1.0, v21 :: v_dual_sub_f32 v23, v21, v23
	s_delay_alu instid0(VALU_DEP_1) | instskip(NEXT) | instid1(VALU_DEP_1)
	v_dual_add_f32 v26, 1.0, v22 :: v_dual_add_f32 v23, v19, v23
	v_dual_sub_f32 v21, v21, v26 :: v_dual_add_f32 v26, v24, v23
	s_delay_alu instid0(VALU_DEP_1) | instskip(NEXT) | instid1(VALU_DEP_2)
	v_add_f32_e32 v19, v19, v21
	v_rcp_f32_e32 v21, v26
	v_sub_f32_e32 v24, v24, v26
	s_delay_alu instid0(VALU_DEP_1) | instskip(NEXT) | instid1(VALU_DEP_1)
	v_dual_add_f32 v46, v22, v19 :: v_dual_add_f32 v23, v23, v24
	v_sub_f32_e32 v22, v22, v46
	s_waitcnt_depctr 0xfff
	v_mul_f32_e32 v47, v46, v21
	s_delay_alu instid0(VALU_DEP_1) | instskip(NEXT) | instid1(VALU_DEP_1)
	v_mul_f32_e32 v48, v26, v47
	v_fma_f32 v24, v47, v26, -v48
	s_delay_alu instid0(VALU_DEP_1) | instskip(NEXT) | instid1(VALU_DEP_1)
	v_fmac_f32_e32 v24, v47, v23
	v_add_f32_e32 v49, v48, v24
	s_waitcnt lgkmcnt(0)
	s_delay_alu instid0(VALU_DEP_1) | instskip(NEXT) | instid1(VALU_DEP_1)
	v_sub_f32_e32 v51, v46, v49
	v_dual_sub_f32 v46, v46, v51 :: v_dual_add_f32 v19, v19, v22
	v_sub_f32_e32 v22, v49, v48
	s_delay_alu instid0(VALU_DEP_2) | instskip(NEXT) | instid1(VALU_DEP_1)
	v_sub_f32_e32 v46, v46, v49
	v_dual_sub_f32 v22, v22, v24 :: v_dual_add_f32 v19, v19, v46
	s_delay_alu instid0(VALU_DEP_1) | instskip(NEXT) | instid1(VALU_DEP_1)
	v_add_f32_e32 v19, v22, v19
	v_add_f32_e32 v22, v51, v19
	s_delay_alu instid0(VALU_DEP_1) | instskip(NEXT) | instid1(VALU_DEP_1)
	v_mul_f32_e32 v24, v21, v22
	v_mul_f32_e32 v46, v26, v24
	s_delay_alu instid0(VALU_DEP_1) | instskip(NEXT) | instid1(VALU_DEP_1)
	v_fma_f32 v26, v24, v26, -v46
	v_fmac_f32_e32 v26, v24, v23
	s_delay_alu instid0(VALU_DEP_1) | instskip(NEXT) | instid1(VALU_DEP_1)
	v_add_f32_e32 v23, v46, v26
	v_dual_sub_f32 v48, v22, v23 :: v_dual_sub_f32 v49, v51, v22
	v_sub_f32_e32 v46, v23, v46
	s_delay_alu instid0(VALU_DEP_2) | instskip(NEXT) | instid1(VALU_DEP_1)
	v_dual_sub_f32 v22, v22, v48 :: v_dual_add_f32 v19, v19, v49
	v_sub_f32_e32 v22, v22, v23
	s_delay_alu instid0(VALU_DEP_3) | instskip(NEXT) | instid1(VALU_DEP_2)
	v_sub_f32_e32 v23, v46, v26
	v_add_f32_e32 v19, v19, v22
	v_add_f32_e32 v22, v47, v24
	s_delay_alu instid0(VALU_DEP_2) | instskip(NEXT) | instid1(VALU_DEP_2)
	v_add_f32_e32 v19, v23, v19
	v_sub_f32_e32 v23, v22, v47
	s_delay_alu instid0(VALU_DEP_2) | instskip(NEXT) | instid1(VALU_DEP_2)
	v_add_f32_e32 v19, v48, v19
	v_sub_f32_e32 v23, v24, v23
	s_delay_alu instid0(VALU_DEP_2) | instskip(NEXT) | instid1(VALU_DEP_1)
	v_mul_f32_e32 v19, v21, v19
	v_add_f32_e32 v19, v23, v19
	s_delay_alu instid0(VALU_DEP_1) | instskip(NEXT) | instid1(VALU_DEP_1)
	v_add_f32_e32 v21, v22, v19
	v_mul_f32_e32 v23, v21, v21
	s_delay_alu instid0(VALU_DEP_1) | instskip(SKIP_2) | instid1(VALU_DEP_3)
	v_fmaak_f32 v24, s0, v23, 0x3ecc95a3
	v_mul_f32_e32 v26, v21, v23
	v_cmp_eq_f32_e64 s0, 0x7f800000, v20
	v_fmaak_f32 v23, v23, v24, 0x3f2aaada
	v_ldexp_f32 v24, v21, 1
	s_delay_alu instid0(VALU_DEP_3) | instskip(NEXT) | instid1(VALU_DEP_2)
	s_or_b32 s0, s0, s23
	v_mul_f32_e32 v23, v26, v23
	v_sub_f32_e32 v21, v21, v22
	v_mul_f32_e32 v26, 0x3f317218, v18
	s_delay_alu instid0(VALU_DEP_2) | instskip(NEXT) | instid1(VALU_DEP_1)
	v_dual_add_f32 v22, v24, v23 :: v_dual_sub_f32 v19, v19, v21
	v_sub_f32_e32 v21, v22, v24
	s_delay_alu instid0(VALU_DEP_3) | instskip(NEXT) | instid1(VALU_DEP_3)
	v_fma_f32 v24, 0x3f317218, v18, -v26
	v_ldexp_f32 v19, v19, 1
	s_delay_alu instid0(VALU_DEP_2) | instskip(NEXT) | instid1(VALU_DEP_1)
	v_dual_sub_f32 v21, v23, v21 :: v_dual_fmamk_f32 v18, v18, 0xb102e308, v24
	v_add_f32_e32 v19, v19, v21
	s_delay_alu instid0(VALU_DEP_2) | instskip(NEXT) | instid1(VALU_DEP_1)
	v_add_f32_e32 v21, v26, v18
	v_dual_add_f32 v23, v22, v19 :: v_dual_sub_f32 v26, v21, v26
	s_delay_alu instid0(VALU_DEP_1) | instskip(SKIP_1) | instid1(VALU_DEP_3)
	v_add_f32_e32 v24, v21, v23
	v_sub_f32_e32 v22, v23, v22
	v_sub_f32_e32 v18, v18, v26
	s_delay_alu instid0(VALU_DEP_2) | instskip(NEXT) | instid1(VALU_DEP_1)
	v_dual_sub_f32 v46, v24, v21 :: v_dual_sub_f32 v19, v19, v22
	v_sub_f32_e32 v47, v24, v46
	s_delay_alu instid0(VALU_DEP_2) | instskip(NEXT) | instid1(VALU_DEP_2)
	v_dual_sub_f32 v22, v23, v46 :: v_dual_add_f32 v23, v18, v19
	v_sub_f32_e32 v21, v21, v47
	s_delay_alu instid0(VALU_DEP_1) | instskip(NEXT) | instid1(VALU_DEP_1)
	v_dual_add_f32 v21, v22, v21 :: v_dual_sub_f32 v22, v23, v18
	v_add_f32_e32 v21, v23, v21
	s_delay_alu instid0(VALU_DEP_2) | instskip(NEXT) | instid1(VALU_DEP_2)
	v_sub_f32_e32 v23, v23, v22
	v_dual_sub_f32 v19, v19, v22 :: v_dual_add_f32 v26, v24, v21
	s_delay_alu instid0(VALU_DEP_2) | instskip(NEXT) | instid1(VALU_DEP_2)
	v_sub_f32_e32 v18, v18, v23
	v_sub_f32_e32 v22, v26, v24
	s_delay_alu instid0(VALU_DEP_2) | instskip(NEXT) | instid1(VALU_DEP_2)
	v_add_f32_e32 v18, v19, v18
	v_sub_f32_e32 v19, v21, v22
	s_delay_alu instid0(VALU_DEP_1) | instskip(NEXT) | instid1(VALU_DEP_1)
	v_add_f32_e32 v18, v18, v19
	v_add_f32_e32 v18, v26, v18
	s_delay_alu instid0(VALU_DEP_1) | instskip(NEXT) | instid1(VALU_DEP_1)
	v_cndmask_b32_e64 v18, v18, v20, s0
	v_add_f32_e32 v18, v17, v18
.LBB531_138:
	s_or_b32 exec_lo, exec_lo, s1
	s_delay_alu instid0(VALU_DEP_1) | instskip(SKIP_1) | instid1(VALU_DEP_2)
	v_bfe_u32 v17, v18, 16, 1
	v_cmp_o_f32_e64 s0, v18, v18
	v_add3_u32 v17, v18, v17, 0x7fff
	s_delay_alu instid0(VALU_DEP_1) | instskip(NEXT) | instid1(VALU_DEP_1)
	v_lshrrev_b32_e32 v17, 16, v17
	v_cndmask_b32_e64 v17, 0x7fc0, v17, s0
	s_delay_alu instid0(VALU_DEP_1) | instskip(NEXT) | instid1(VALU_DEP_1)
	v_lshlrev_b32_e32 v18, 16, v17
	v_max_f32_e32 v19, v18, v18
	s_delay_alu instid0(VALU_DEP_1) | instskip(SKIP_2) | instid1(VALU_DEP_1)
	v_min_f32_e32 v20, v19, v27
	v_max_f32_e32 v19, v19, v27
	v_cmp_u_f32_e64 s0, v18, v18
	v_cndmask_b32_e64 v20, v20, v18, s0
	s_delay_alu instid0(VALU_DEP_3) | instskip(NEXT) | instid1(VALU_DEP_2)
	v_cndmask_b32_e64 v21, v19, v18, s0
	v_cndmask_b32_e64 v19, v20, v8, s31
	s_delay_alu instid0(VALU_DEP_2) | instskip(NEXT) | instid1(VALU_DEP_2)
	v_cndmask_b32_e64 v8, v21, v8, s31
	v_cmp_class_f32_e64 s1, v19, 0x1f8
	s_delay_alu instid0(VALU_DEP_2) | instskip(NEXT) | instid1(VALU_DEP_1)
	v_cmp_neq_f32_e64 s0, v19, v8
	s_or_b32 s0, s0, s1
	s_delay_alu instid0(SALU_CYCLE_1)
	s_and_saveexec_b32 s1, s0
	s_cbranch_execz .LBB531_140
; %bb.139:
	v_sub_f32_e32 v18, v19, v8
	s_delay_alu instid0(VALU_DEP_1) | instskip(SKIP_1) | instid1(VALU_DEP_2)
	v_mul_f32_e32 v19, 0x3fb8aa3b, v18
	v_cmp_ngt_f32_e64 s0, 0xc2ce8ed0, v18
	v_fma_f32 v20, 0x3fb8aa3b, v18, -v19
	v_rndne_f32_e32 v21, v19
	s_delay_alu instid0(VALU_DEP_1) | instskip(NEXT) | instid1(VALU_DEP_1)
	v_dual_fmamk_f32 v20, v18, 0x32a5705f, v20 :: v_dual_sub_f32 v19, v19, v21
	v_add_f32_e32 v19, v19, v20
	v_cvt_i32_f32_e32 v20, v21
	s_delay_alu instid0(VALU_DEP_2) | instskip(SKIP_2) | instid1(VALU_DEP_1)
	v_exp_f32_e32 v19, v19
	s_waitcnt_depctr 0xfff
	v_ldexp_f32 v19, v19, v20
	v_cndmask_b32_e64 v19, 0, v19, s0
	v_cmp_nlt_f32_e64 s0, 0x42b17218, v18
	s_delay_alu instid0(VALU_DEP_1) | instskip(NEXT) | instid1(VALU_DEP_1)
	v_cndmask_b32_e64 v20, 0x7f800000, v19, s0
	v_add_f32_e32 v21, 1.0, v20
	v_cmp_gt_f32_e64 s23, 0x33800000, |v20|
	s_delay_alu instid0(VALU_DEP_2) | instskip(NEXT) | instid1(VALU_DEP_1)
	v_cvt_f64_f32_e32 v[18:19], v21
	v_frexp_exp_i32_f64_e32 v18, v[18:19]
	v_frexp_mant_f32_e32 v19, v21
	s_delay_alu instid0(VALU_DEP_1) | instskip(SKIP_1) | instid1(VALU_DEP_1)
	v_cmp_gt_f32_e64 s0, 0x3f2aaaab, v19
	v_add_f32_e32 v19, -1.0, v21
	v_sub_f32_e32 v23, v19, v21
	v_sub_f32_e32 v19, v20, v19
	s_delay_alu instid0(VALU_DEP_2) | instskip(NEXT) | instid1(VALU_DEP_1)
	v_add_f32_e32 v23, 1.0, v23
	v_add_f32_e32 v19, v19, v23
	v_subrev_co_ci_u32_e64 v18, s0, 0, v18, s0
	s_mov_b32 s0, 0x3e9b6dac
	s_delay_alu instid0(VALU_DEP_1) | instskip(SKIP_1) | instid1(VALU_DEP_2)
	v_sub_nc_u32_e32 v22, 0, v18
	v_cvt_f32_i32_e32 v18, v18
	v_ldexp_f32 v21, v21, v22
	v_ldexp_f32 v19, v19, v22
	s_delay_alu instid0(VALU_DEP_2) | instskip(NEXT) | instid1(VALU_DEP_1)
	v_add_f32_e32 v24, 1.0, v21
	v_dual_add_f32 v22, -1.0, v21 :: v_dual_add_f32 v23, -1.0, v24
	s_delay_alu instid0(VALU_DEP_1) | instskip(NEXT) | instid1(VALU_DEP_1)
	v_dual_add_f32 v26, 1.0, v22 :: v_dual_sub_f32 v23, v21, v23
	v_add_f32_e32 v23, v19, v23
	s_delay_alu instid0(VALU_DEP_1) | instskip(NEXT) | instid1(VALU_DEP_1)
	v_dual_sub_f32 v21, v21, v26 :: v_dual_add_f32 v26, v24, v23
	v_sub_f32_e32 v24, v24, v26
	s_delay_alu instid0(VALU_DEP_1) | instskip(NEXT) | instid1(VALU_DEP_3)
	v_add_f32_e32 v23, v23, v24
	v_add_f32_e32 v19, v19, v21
	v_rcp_f32_e32 v21, v26
	s_delay_alu instid0(VALU_DEP_1) | instskip(NEXT) | instid1(VALU_DEP_1)
	v_add_f32_e32 v27, v22, v19
	v_sub_f32_e32 v22, v22, v27
	s_waitcnt_depctr 0xfff
	v_mul_f32_e32 v46, v27, v21
	s_delay_alu instid0(VALU_DEP_1) | instskip(NEXT) | instid1(VALU_DEP_1)
	v_mul_f32_e32 v47, v26, v46
	v_fma_f32 v24, v46, v26, -v47
	s_delay_alu instid0(VALU_DEP_1) | instskip(NEXT) | instid1(VALU_DEP_1)
	v_dual_fmac_f32 v24, v46, v23 :: v_dual_add_f32 v19, v19, v22
	v_add_f32_e32 v48, v47, v24
	s_delay_alu instid0(VALU_DEP_1) | instskip(NEXT) | instid1(VALU_DEP_1)
	v_dual_sub_f32 v22, v48, v47 :: v_dual_sub_f32 v49, v27, v48
	v_dual_sub_f32 v22, v22, v24 :: v_dual_sub_f32 v27, v27, v49
	s_delay_alu instid0(VALU_DEP_1) | instskip(NEXT) | instid1(VALU_DEP_1)
	v_sub_f32_e32 v27, v27, v48
	v_add_f32_e32 v19, v19, v27
	s_delay_alu instid0(VALU_DEP_1) | instskip(NEXT) | instid1(VALU_DEP_1)
	v_add_f32_e32 v19, v22, v19
	v_add_f32_e32 v22, v49, v19
	s_delay_alu instid0(VALU_DEP_1) | instskip(NEXT) | instid1(VALU_DEP_1)
	v_mul_f32_e32 v24, v21, v22
	v_mul_f32_e32 v27, v26, v24
	s_delay_alu instid0(VALU_DEP_1) | instskip(NEXT) | instid1(VALU_DEP_1)
	v_fma_f32 v26, v24, v26, -v27
	v_fmac_f32_e32 v26, v24, v23
	v_sub_f32_e32 v48, v49, v22
	s_delay_alu instid0(VALU_DEP_2) | instskip(NEXT) | instid1(VALU_DEP_2)
	v_add_f32_e32 v23, v27, v26
	v_add_f32_e32 v19, v19, v48
	s_delay_alu instid0(VALU_DEP_2) | instskip(SKIP_1) | instid1(VALU_DEP_2)
	v_sub_f32_e32 v47, v22, v23
	v_sub_f32_e32 v27, v23, v27
	;; [unrolled: 1-line block ×3, first 2 shown]
	s_delay_alu instid0(VALU_DEP_1) | instskip(NEXT) | instid1(VALU_DEP_1)
	v_dual_sub_f32 v22, v22, v23 :: v_dual_sub_f32 v23, v27, v26
	v_dual_add_f32 v19, v19, v22 :: v_dual_add_f32 v22, v46, v24
	s_delay_alu instid0(VALU_DEP_1) | instskip(NEXT) | instid1(VALU_DEP_2)
	v_add_f32_e32 v19, v23, v19
	v_sub_f32_e32 v23, v22, v46
	s_delay_alu instid0(VALU_DEP_2) | instskip(NEXT) | instid1(VALU_DEP_2)
	v_add_f32_e32 v19, v47, v19
	v_sub_f32_e32 v23, v24, v23
	s_delay_alu instid0(VALU_DEP_2) | instskip(NEXT) | instid1(VALU_DEP_1)
	v_mul_f32_e32 v19, v21, v19
	v_add_f32_e32 v19, v23, v19
	s_delay_alu instid0(VALU_DEP_1) | instskip(NEXT) | instid1(VALU_DEP_1)
	v_add_f32_e32 v21, v22, v19
	v_mul_f32_e32 v23, v21, v21
	s_delay_alu instid0(VALU_DEP_1) | instskip(SKIP_2) | instid1(VALU_DEP_3)
	v_fmaak_f32 v24, s0, v23, 0x3ecc95a3
	v_mul_f32_e32 v26, v21, v23
	v_cmp_eq_f32_e64 s0, 0x7f800000, v20
	v_fmaak_f32 v23, v23, v24, 0x3f2aaada
	v_ldexp_f32 v24, v21, 1
	v_sub_f32_e32 v21, v21, v22
	s_delay_alu instid0(VALU_DEP_4) | instskip(NEXT) | instid1(VALU_DEP_3)
	s_or_b32 s0, s0, s23
	v_dual_mul_f32 v23, v26, v23 :: v_dual_mul_f32 v26, 0x3f317218, v18
	s_delay_alu instid0(VALU_DEP_1) | instskip(NEXT) | instid1(VALU_DEP_1)
	v_dual_sub_f32 v19, v19, v21 :: v_dual_add_f32 v22, v24, v23
	v_ldexp_f32 v19, v19, 1
	s_delay_alu instid0(VALU_DEP_2) | instskip(NEXT) | instid1(VALU_DEP_4)
	v_sub_f32_e32 v21, v22, v24
	v_fma_f32 v24, 0x3f317218, v18, -v26
	s_delay_alu instid0(VALU_DEP_1) | instskip(NEXT) | instid1(VALU_DEP_1)
	v_dual_sub_f32 v21, v23, v21 :: v_dual_fmamk_f32 v18, v18, 0xb102e308, v24
	v_add_f32_e32 v19, v19, v21
	s_delay_alu instid0(VALU_DEP_2) | instskip(NEXT) | instid1(VALU_DEP_1)
	v_add_f32_e32 v21, v26, v18
	v_dual_add_f32 v23, v22, v19 :: v_dual_sub_f32 v26, v21, v26
	s_delay_alu instid0(VALU_DEP_1) | instskip(SKIP_1) | instid1(VALU_DEP_2)
	v_add_f32_e32 v24, v21, v23
	v_sub_f32_e32 v22, v23, v22
	v_dual_sub_f32 v18, v18, v26 :: v_dual_sub_f32 v27, v24, v21
	s_delay_alu instid0(VALU_DEP_1) | instskip(SKIP_1) | instid1(VALU_DEP_2)
	v_dual_sub_f32 v19, v19, v22 :: v_dual_sub_f32 v46, v24, v27
	v_sub_f32_e32 v22, v23, v27
	v_add_f32_e32 v23, v18, v19
	s_delay_alu instid0(VALU_DEP_3) | instskip(NEXT) | instid1(VALU_DEP_1)
	v_sub_f32_e32 v21, v21, v46
	v_dual_add_f32 v21, v22, v21 :: v_dual_sub_f32 v22, v23, v18
	s_delay_alu instid0(VALU_DEP_1) | instskip(NEXT) | instid1(VALU_DEP_2)
	v_add_f32_e32 v21, v23, v21
	v_sub_f32_e32 v23, v23, v22
	s_delay_alu instid0(VALU_DEP_2) | instskip(NEXT) | instid1(VALU_DEP_2)
	v_dual_sub_f32 v19, v19, v22 :: v_dual_add_f32 v26, v24, v21
	v_sub_f32_e32 v18, v18, v23
	s_delay_alu instid0(VALU_DEP_2) | instskip(NEXT) | instid1(VALU_DEP_2)
	v_sub_f32_e32 v22, v26, v24
	v_add_f32_e32 v18, v19, v18
	s_delay_alu instid0(VALU_DEP_2) | instskip(NEXT) | instid1(VALU_DEP_1)
	v_sub_f32_e32 v19, v21, v22
	v_add_f32_e32 v18, v18, v19
	s_delay_alu instid0(VALU_DEP_1) | instskip(NEXT) | instid1(VALU_DEP_1)
	v_add_f32_e32 v18, v26, v18
	v_cndmask_b32_e64 v18, v18, v20, s0
	s_delay_alu instid0(VALU_DEP_1)
	v_add_f32_e32 v18, v8, v18
.LBB531_140:
	s_or_b32 exec_lo, exec_lo, s1
	s_delay_alu instid0(VALU_DEP_1) | instskip(SKIP_1) | instid1(VALU_DEP_2)
	v_bfe_u32 v8, v18, 16, 1
	v_cmp_o_f32_e64 s0, v18, v18
	v_add3_u32 v8, v18, v8, 0x7fff
	s_delay_alu instid0(VALU_DEP_1) | instskip(NEXT) | instid1(VALU_DEP_1)
	v_lshrrev_b32_e32 v8, 16, v8
	v_cndmask_b32_e64 v8, 0x7fc0, v8, s0
	s_delay_alu instid0(VALU_DEP_1) | instskip(NEXT) | instid1(VALU_DEP_1)
	v_lshlrev_b32_e32 v19, 16, v8
	v_max_f32_e32 v18, v19, v19
	s_delay_alu instid0(VALU_DEP_1) | instskip(SKIP_2) | instid1(VALU_DEP_1)
	v_min_f32_e32 v20, v18, v29
	v_max_f32_e32 v18, v18, v29
	v_cmp_u_f32_e64 s0, v19, v19
	v_cndmask_b32_e64 v20, v20, v19, s0
	s_delay_alu instid0(VALU_DEP_3) | instskip(NEXT) | instid1(VALU_DEP_2)
	v_cndmask_b32_e64 v18, v18, v19, s0
	v_cndmask_b32_e64 v20, v20, v25, s33
	s_delay_alu instid0(VALU_DEP_2) | instskip(NEXT) | instid1(VALU_DEP_2)
	v_cndmask_b32_e64 v18, v18, v25, s33
	v_cmp_class_f32_e64 s1, v20, 0x1f8
	s_delay_alu instid0(VALU_DEP_2) | instskip(NEXT) | instid1(VALU_DEP_1)
	v_cmp_neq_f32_e64 s0, v20, v18
	s_or_b32 s0, s0, s1
	s_delay_alu instid0(SALU_CYCLE_1)
	s_and_saveexec_b32 s1, s0
	s_cbranch_execz .LBB531_142
; %bb.141:
	v_sub_f32_e32 v19, v20, v18
	s_delay_alu instid0(VALU_DEP_1) | instskip(SKIP_1) | instid1(VALU_DEP_2)
	v_mul_f32_e32 v20, 0x3fb8aa3b, v19
	v_cmp_ngt_f32_e64 s0, 0xc2ce8ed0, v19
	v_fma_f32 v21, 0x3fb8aa3b, v19, -v20
	v_rndne_f32_e32 v22, v20
	s_delay_alu instid0(VALU_DEP_1) | instskip(NEXT) | instid1(VALU_DEP_1)
	v_dual_fmamk_f32 v21, v19, 0x32a5705f, v21 :: v_dual_sub_f32 v20, v20, v22
	v_add_f32_e32 v20, v20, v21
	v_cvt_i32_f32_e32 v21, v22
	s_delay_alu instid0(VALU_DEP_2) | instskip(SKIP_2) | instid1(VALU_DEP_1)
	v_exp_f32_e32 v20, v20
	s_waitcnt_depctr 0xfff
	v_ldexp_f32 v20, v20, v21
	v_cndmask_b32_e64 v20, 0, v20, s0
	v_cmp_nlt_f32_e64 s0, 0x42b17218, v19
	s_delay_alu instid0(VALU_DEP_1) | instskip(NEXT) | instid1(VALU_DEP_1)
	v_cndmask_b32_e64 v21, 0x7f800000, v20, s0
	v_add_f32_e32 v22, 1.0, v21
	v_cmp_gt_f32_e64 s23, 0x33800000, |v21|
	s_delay_alu instid0(VALU_DEP_2) | instskip(NEXT) | instid1(VALU_DEP_1)
	v_cvt_f64_f32_e32 v[19:20], v22
	v_frexp_exp_i32_f64_e32 v19, v[19:20]
	v_frexp_mant_f32_e32 v20, v22
	s_delay_alu instid0(VALU_DEP_1) | instskip(SKIP_1) | instid1(VALU_DEP_1)
	v_cmp_gt_f32_e64 s0, 0x3f2aaaab, v20
	v_add_f32_e32 v20, -1.0, v22
	v_sub_f32_e32 v24, v20, v22
	v_sub_f32_e32 v20, v21, v20
	s_delay_alu instid0(VALU_DEP_4) | instskip(SKIP_1) | instid1(VALU_DEP_1)
	v_subrev_co_ci_u32_e64 v19, s0, 0, v19, s0
	s_mov_b32 s0, 0x3e9b6dac
	v_sub_nc_u32_e32 v23, 0, v19
	v_cvt_f32_i32_e32 v19, v19
	s_delay_alu instid0(VALU_DEP_2) | instskip(NEXT) | instid1(VALU_DEP_1)
	v_ldexp_f32 v22, v22, v23
	v_dual_add_f32 v25, 1.0, v22 :: v_dual_add_f32 v24, 1.0, v24
	s_delay_alu instid0(VALU_DEP_1) | instskip(NEXT) | instid1(VALU_DEP_1)
	v_add_f32_e32 v20, v20, v24
	v_ldexp_f32 v20, v20, v23
	s_delay_alu instid0(VALU_DEP_3) | instskip(NEXT) | instid1(VALU_DEP_1)
	v_dual_add_f32 v23, -1.0, v22 :: v_dual_add_f32 v24, -1.0, v25
	v_add_f32_e32 v26, 1.0, v23
	s_delay_alu instid0(VALU_DEP_2) | instskip(NEXT) | instid1(VALU_DEP_2)
	v_sub_f32_e32 v24, v22, v24
	v_sub_f32_e32 v22, v22, v26
	s_delay_alu instid0(VALU_DEP_2) | instskip(NEXT) | instid1(VALU_DEP_1)
	v_add_f32_e32 v24, v20, v24
	v_add_f32_e32 v26, v25, v24
	s_delay_alu instid0(VALU_DEP_3) | instskip(NEXT) | instid1(VALU_DEP_2)
	v_add_f32_e32 v20, v20, v22
	v_rcp_f32_e32 v22, v26
	s_delay_alu instid0(VALU_DEP_1) | instskip(SKIP_1) | instid1(VALU_DEP_1)
	v_add_f32_e32 v27, v23, v20
	v_sub_f32_e32 v25, v25, v26
	v_dual_sub_f32 v23, v23, v27 :: v_dual_add_f32 v24, v24, v25
	s_waitcnt_depctr 0xfff
	v_dual_mul_f32 v29, v27, v22 :: v_dual_add_f32 v20, v20, v23
	s_delay_alu instid0(VALU_DEP_1) | instskip(NEXT) | instid1(VALU_DEP_1)
	v_mul_f32_e32 v46, v26, v29
	v_fma_f32 v25, v29, v26, -v46
	s_delay_alu instid0(VALU_DEP_1) | instskip(NEXT) | instid1(VALU_DEP_1)
	v_fmac_f32_e32 v25, v29, v24
	v_add_f32_e32 v47, v46, v25
	s_delay_alu instid0(VALU_DEP_1) | instskip(SKIP_1) | instid1(VALU_DEP_2)
	v_sub_f32_e32 v48, v27, v47
	v_sub_f32_e32 v23, v47, v46
	v_sub_f32_e32 v27, v27, v48
	s_delay_alu instid0(VALU_DEP_2) | instskip(NEXT) | instid1(VALU_DEP_2)
	v_sub_f32_e32 v23, v23, v25
	v_sub_f32_e32 v27, v27, v47
	s_delay_alu instid0(VALU_DEP_1) | instskip(NEXT) | instid1(VALU_DEP_1)
	v_add_f32_e32 v20, v20, v27
	v_add_f32_e32 v20, v23, v20
	s_delay_alu instid0(VALU_DEP_1) | instskip(NEXT) | instid1(VALU_DEP_1)
	v_add_f32_e32 v23, v48, v20
	v_sub_f32_e32 v47, v48, v23
	v_mul_f32_e32 v25, v22, v23
	s_delay_alu instid0(VALU_DEP_1) | instskip(NEXT) | instid1(VALU_DEP_1)
	v_dual_add_f32 v20, v20, v47 :: v_dual_mul_f32 v27, v26, v25
	v_fma_f32 v26, v25, v26, -v27
	s_delay_alu instid0(VALU_DEP_1) | instskip(NEXT) | instid1(VALU_DEP_1)
	v_fmac_f32_e32 v26, v25, v24
	v_add_f32_e32 v24, v27, v26
	s_delay_alu instid0(VALU_DEP_1) | instskip(NEXT) | instid1(VALU_DEP_1)
	v_dual_sub_f32 v46, v23, v24 :: v_dual_sub_f32 v27, v24, v27
	v_sub_f32_e32 v23, v23, v46
	s_delay_alu instid0(VALU_DEP_1) | instskip(NEXT) | instid1(VALU_DEP_3)
	v_sub_f32_e32 v23, v23, v24
	v_sub_f32_e32 v24, v27, v26
	s_delay_alu instid0(VALU_DEP_2) | instskip(NEXT) | instid1(VALU_DEP_1)
	v_dual_add_f32 v20, v20, v23 :: v_dual_add_f32 v23, v29, v25
	v_add_f32_e32 v20, v24, v20
	s_delay_alu instid0(VALU_DEP_2) | instskip(NEXT) | instid1(VALU_DEP_2)
	v_sub_f32_e32 v24, v23, v29
	v_add_f32_e32 v20, v46, v20
	s_delay_alu instid0(VALU_DEP_2) | instskip(NEXT) | instid1(VALU_DEP_2)
	v_sub_f32_e32 v24, v25, v24
	v_mul_f32_e32 v20, v22, v20
	s_delay_alu instid0(VALU_DEP_1) | instskip(NEXT) | instid1(VALU_DEP_1)
	v_add_f32_e32 v20, v24, v20
	v_add_f32_e32 v22, v23, v20
	s_delay_alu instid0(VALU_DEP_1) | instskip(NEXT) | instid1(VALU_DEP_1)
	v_mul_f32_e32 v24, v22, v22
	v_fmaak_f32 v25, s0, v24, 0x3ecc95a3
	v_mul_f32_e32 v26, v22, v24
	v_cmp_eq_f32_e64 s0, 0x7f800000, v21
	s_delay_alu instid0(VALU_DEP_3) | instskip(SKIP_2) | instid1(VALU_DEP_4)
	v_fmaak_f32 v24, v24, v25, 0x3f2aaada
	v_ldexp_f32 v25, v22, 1
	v_sub_f32_e32 v22, v22, v23
	s_or_b32 s0, s0, s23
	s_delay_alu instid0(VALU_DEP_3) | instskip(NEXT) | instid1(VALU_DEP_1)
	v_mul_f32_e32 v24, v26, v24
	v_dual_sub_f32 v20, v20, v22 :: v_dual_add_f32 v23, v25, v24
	s_delay_alu instid0(VALU_DEP_1) | instskip(NEXT) | instid1(VALU_DEP_2)
	v_ldexp_f32 v20, v20, 1
	v_sub_f32_e32 v22, v23, v25
	s_delay_alu instid0(VALU_DEP_1) | instskip(NEXT) | instid1(VALU_DEP_1)
	v_sub_f32_e32 v22, v24, v22
	v_add_f32_e32 v20, v20, v22
	s_delay_alu instid0(VALU_DEP_1) | instskip(SKIP_1) | instid1(VALU_DEP_2)
	v_add_f32_e32 v24, v23, v20
	v_mul_f32_e32 v26, 0x3f317218, v19
	v_sub_f32_e32 v23, v24, v23
	s_delay_alu instid0(VALU_DEP_2) | instskip(NEXT) | instid1(VALU_DEP_1)
	v_fma_f32 v25, 0x3f317218, v19, -v26
	v_dual_sub_f32 v20, v20, v23 :: v_dual_fmamk_f32 v19, v19, 0xb102e308, v25
	s_delay_alu instid0(VALU_DEP_1) | instskip(NEXT) | instid1(VALU_DEP_1)
	v_add_f32_e32 v22, v26, v19
	v_add_f32_e32 v25, v22, v24
	v_sub_f32_e32 v26, v22, v26
	s_delay_alu instid0(VALU_DEP_2) | instskip(NEXT) | instid1(VALU_DEP_2)
	v_sub_f32_e32 v27, v25, v22
	v_sub_f32_e32 v19, v19, v26
	s_delay_alu instid0(VALU_DEP_2) | instskip(NEXT) | instid1(VALU_DEP_2)
	v_sub_f32_e32 v29, v25, v27
	v_dual_sub_f32 v23, v24, v27 :: v_dual_add_f32 v24, v19, v20
	s_delay_alu instid0(VALU_DEP_2) | instskip(NEXT) | instid1(VALU_DEP_1)
	v_sub_f32_e32 v22, v22, v29
	v_dual_add_f32 v22, v23, v22 :: v_dual_sub_f32 v23, v24, v19
	s_delay_alu instid0(VALU_DEP_1) | instskip(NEXT) | instid1(VALU_DEP_2)
	v_add_f32_e32 v22, v24, v22
	v_sub_f32_e32 v24, v24, v23
	v_sub_f32_e32 v20, v20, v23
	s_delay_alu instid0(VALU_DEP_2) | instskip(NEXT) | instid1(VALU_DEP_1)
	v_dual_add_f32 v26, v25, v22 :: v_dual_sub_f32 v19, v19, v24
	v_sub_f32_e32 v23, v26, v25
	s_delay_alu instid0(VALU_DEP_2) | instskip(NEXT) | instid1(VALU_DEP_2)
	v_add_f32_e32 v19, v20, v19
	v_sub_f32_e32 v20, v22, v23
	s_delay_alu instid0(VALU_DEP_1) | instskip(NEXT) | instid1(VALU_DEP_1)
	v_add_f32_e32 v19, v19, v20
	v_add_f32_e32 v19, v26, v19
	s_delay_alu instid0(VALU_DEP_1) | instskip(NEXT) | instid1(VALU_DEP_1)
	v_cndmask_b32_e64 v19, v19, v21, s0
	v_add_f32_e32 v19, v18, v19
.LBB531_142:
	s_or_b32 exec_lo, exec_lo, s1
	s_delay_alu instid0(VALU_DEP_1) | instskip(SKIP_1) | instid1(VALU_DEP_2)
	v_bfe_u32 v18, v19, 16, 1
	v_cmp_o_f32_e64 s0, v19, v19
	v_add3_u32 v18, v19, v18, 0x7fff
	s_delay_alu instid0(VALU_DEP_1) | instskip(NEXT) | instid1(VALU_DEP_1)
	v_lshrrev_b32_e32 v18, 16, v18
	v_cndmask_b32_e64 v18, 0x7fc0, v18, s0
	s_delay_alu instid0(VALU_DEP_1) | instskip(NEXT) | instid1(VALU_DEP_1)
	v_lshlrev_b32_e32 v19, 16, v18
	v_max_f32_e32 v20, v19, v19
	v_cmp_u_f32_e64 s0, v19, v19
	s_delay_alu instid0(VALU_DEP_2) | instskip(SKIP_1) | instid1(VALU_DEP_2)
	v_min_f32_e32 v21, v20, v30
	v_max_f32_e32 v20, v20, v30
	v_cndmask_b32_e64 v21, v21, v19, s0
	s_delay_alu instid0(VALU_DEP_2) | instskip(NEXT) | instid1(VALU_DEP_2)
	v_cndmask_b32_e64 v22, v20, v19, s0
	v_cndmask_b32_e64 v20, v21, v9, s34
	s_delay_alu instid0(VALU_DEP_2) | instskip(NEXT) | instid1(VALU_DEP_2)
	v_cndmask_b32_e64 v9, v22, v9, s34
	v_cmp_class_f32_e64 s1, v20, 0x1f8
	s_delay_alu instid0(VALU_DEP_2) | instskip(NEXT) | instid1(VALU_DEP_1)
	v_cmp_neq_f32_e64 s0, v20, v9
	s_or_b32 s0, s0, s1
	s_delay_alu instid0(SALU_CYCLE_1)
	s_and_saveexec_b32 s1, s0
	s_cbranch_execz .LBB531_144
; %bb.143:
	v_sub_f32_e32 v19, v20, v9
	s_delay_alu instid0(VALU_DEP_1) | instskip(SKIP_1) | instid1(VALU_DEP_2)
	v_mul_f32_e32 v20, 0x3fb8aa3b, v19
	v_cmp_ngt_f32_e64 s0, 0xc2ce8ed0, v19
	v_fma_f32 v21, 0x3fb8aa3b, v19, -v20
	v_rndne_f32_e32 v22, v20
	s_delay_alu instid0(VALU_DEP_1) | instskip(NEXT) | instid1(VALU_DEP_1)
	v_dual_fmamk_f32 v21, v19, 0x32a5705f, v21 :: v_dual_sub_f32 v20, v20, v22
	v_add_f32_e32 v20, v20, v21
	v_cvt_i32_f32_e32 v21, v22
	s_delay_alu instid0(VALU_DEP_2) | instskip(SKIP_2) | instid1(VALU_DEP_1)
	v_exp_f32_e32 v20, v20
	s_waitcnt_depctr 0xfff
	v_ldexp_f32 v20, v20, v21
	v_cndmask_b32_e64 v20, 0, v20, s0
	v_cmp_nlt_f32_e64 s0, 0x42b17218, v19
	s_delay_alu instid0(VALU_DEP_1) | instskip(NEXT) | instid1(VALU_DEP_1)
	v_cndmask_b32_e64 v21, 0x7f800000, v20, s0
	v_add_f32_e32 v22, 1.0, v21
	v_cmp_gt_f32_e64 s23, 0x33800000, |v21|
	s_delay_alu instid0(VALU_DEP_2) | instskip(NEXT) | instid1(VALU_DEP_1)
	v_cvt_f64_f32_e32 v[19:20], v22
	v_frexp_exp_i32_f64_e32 v19, v[19:20]
	v_frexp_mant_f32_e32 v20, v22
	s_delay_alu instid0(VALU_DEP_1) | instskip(SKIP_1) | instid1(VALU_DEP_1)
	v_cmp_gt_f32_e64 s0, 0x3f2aaaab, v20
	v_add_f32_e32 v20, -1.0, v22
	v_sub_f32_e32 v24, v20, v22
	v_sub_f32_e32 v20, v21, v20
	s_delay_alu instid0(VALU_DEP_4) | instskip(SKIP_1) | instid1(VALU_DEP_1)
	v_subrev_co_ci_u32_e64 v19, s0, 0, v19, s0
	s_mov_b32 s0, 0x3e9b6dac
	v_sub_nc_u32_e32 v23, 0, v19
	v_cvt_f32_i32_e32 v19, v19
	s_delay_alu instid0(VALU_DEP_2) | instskip(NEXT) | instid1(VALU_DEP_1)
	v_ldexp_f32 v22, v22, v23
	v_dual_add_f32 v25, 1.0, v22 :: v_dual_add_f32 v24, 1.0, v24
	s_delay_alu instid0(VALU_DEP_1) | instskip(NEXT) | instid1(VALU_DEP_2)
	v_add_f32_e32 v20, v20, v24
	v_add_f32_e32 v24, -1.0, v25
	s_delay_alu instid0(VALU_DEP_2) | instskip(NEXT) | instid1(VALU_DEP_2)
	v_ldexp_f32 v20, v20, v23
	v_dual_add_f32 v23, -1.0, v22 :: v_dual_sub_f32 v24, v22, v24
	s_delay_alu instid0(VALU_DEP_1) | instskip(NEXT) | instid1(VALU_DEP_2)
	v_add_f32_e32 v26, 1.0, v23
	v_add_f32_e32 v24, v20, v24
	s_delay_alu instid0(VALU_DEP_2) | instskip(NEXT) | instid1(VALU_DEP_2)
	v_sub_f32_e32 v22, v22, v26
	v_add_f32_e32 v26, v25, v24
	s_delay_alu instid0(VALU_DEP_2) | instskip(NEXT) | instid1(VALU_DEP_2)
	v_add_f32_e32 v20, v20, v22
	v_rcp_f32_e32 v22, v26
	v_sub_f32_e32 v25, v25, v26
	s_delay_alu instid0(VALU_DEP_1) | instskip(NEXT) | instid1(VALU_DEP_1)
	v_dual_add_f32 v27, v23, v20 :: v_dual_add_f32 v24, v24, v25
	v_sub_f32_e32 v23, v23, v27
	s_waitcnt_depctr 0xfff
	v_dual_mul_f32 v29, v27, v22 :: v_dual_add_f32 v20, v20, v23
	s_delay_alu instid0(VALU_DEP_1) | instskip(NEXT) | instid1(VALU_DEP_1)
	v_mul_f32_e32 v30, v26, v29
	v_fma_f32 v25, v29, v26, -v30
	s_delay_alu instid0(VALU_DEP_1) | instskip(NEXT) | instid1(VALU_DEP_1)
	v_fmac_f32_e32 v25, v29, v24
	v_add_f32_e32 v46, v30, v25
	s_delay_alu instid0(VALU_DEP_1) | instskip(SKIP_1) | instid1(VALU_DEP_2)
	v_sub_f32_e32 v47, v27, v46
	v_sub_f32_e32 v23, v46, v30
	;; [unrolled: 1-line block ×3, first 2 shown]
	s_delay_alu instid0(VALU_DEP_2) | instskip(NEXT) | instid1(VALU_DEP_2)
	v_sub_f32_e32 v23, v23, v25
	v_sub_f32_e32 v27, v27, v46
	s_delay_alu instid0(VALU_DEP_1) | instskip(NEXT) | instid1(VALU_DEP_1)
	v_add_f32_e32 v20, v20, v27
	v_add_f32_e32 v20, v23, v20
	s_delay_alu instid0(VALU_DEP_1) | instskip(NEXT) | instid1(VALU_DEP_1)
	v_add_f32_e32 v23, v47, v20
	v_mul_f32_e32 v25, v22, v23
	s_delay_alu instid0(VALU_DEP_1) | instskip(NEXT) | instid1(VALU_DEP_1)
	v_dual_sub_f32 v46, v47, v23 :: v_dual_mul_f32 v27, v26, v25
	v_add_f32_e32 v20, v20, v46
	s_delay_alu instid0(VALU_DEP_2) | instskip(NEXT) | instid1(VALU_DEP_1)
	v_fma_f32 v26, v25, v26, -v27
	v_fmac_f32_e32 v26, v25, v24
	s_delay_alu instid0(VALU_DEP_1) | instskip(NEXT) | instid1(VALU_DEP_1)
	v_add_f32_e32 v24, v27, v26
	v_dual_sub_f32 v30, v23, v24 :: v_dual_sub_f32 v27, v24, v27
	s_delay_alu instid0(VALU_DEP_1) | instskip(NEXT) | instid1(VALU_DEP_1)
	v_sub_f32_e32 v23, v23, v30
	v_sub_f32_e32 v23, v23, v24
	s_delay_alu instid0(VALU_DEP_3) | instskip(NEXT) | instid1(VALU_DEP_2)
	v_sub_f32_e32 v24, v27, v26
	v_dual_add_f32 v20, v20, v23 :: v_dual_add_f32 v23, v29, v25
	s_delay_alu instid0(VALU_DEP_1) | instskip(NEXT) | instid1(VALU_DEP_2)
	v_add_f32_e32 v20, v24, v20
	v_sub_f32_e32 v24, v23, v29
	s_delay_alu instid0(VALU_DEP_2) | instskip(NEXT) | instid1(VALU_DEP_2)
	v_add_f32_e32 v20, v30, v20
	v_sub_f32_e32 v24, v25, v24
	s_delay_alu instid0(VALU_DEP_2) | instskip(NEXT) | instid1(VALU_DEP_1)
	v_mul_f32_e32 v20, v22, v20
	v_add_f32_e32 v20, v24, v20
	s_delay_alu instid0(VALU_DEP_1) | instskip(NEXT) | instid1(VALU_DEP_1)
	v_add_f32_e32 v22, v23, v20
	v_mul_f32_e32 v24, v22, v22
	s_delay_alu instid0(VALU_DEP_1) | instskip(SKIP_2) | instid1(VALU_DEP_3)
	v_fmaak_f32 v25, s0, v24, 0x3ecc95a3
	v_mul_f32_e32 v26, v22, v24
	v_cmp_eq_f32_e64 s0, 0x7f800000, v21
	v_fmaak_f32 v24, v24, v25, 0x3f2aaada
	v_ldexp_f32 v25, v22, 1
	v_sub_f32_e32 v22, v22, v23
	s_delay_alu instid0(VALU_DEP_4) | instskip(NEXT) | instid1(VALU_DEP_3)
	s_or_b32 s0, s0, s23
	v_mul_f32_e32 v24, v26, v24
	v_mul_f32_e32 v26, 0x3f317218, v19
	s_delay_alu instid0(VALU_DEP_2) | instskip(NEXT) | instid1(VALU_DEP_1)
	v_dual_sub_f32 v20, v20, v22 :: v_dual_add_f32 v23, v25, v24
	v_ldexp_f32 v20, v20, 1
	s_delay_alu instid0(VALU_DEP_2) | instskip(NEXT) | instid1(VALU_DEP_4)
	v_sub_f32_e32 v22, v23, v25
	v_fma_f32 v25, 0x3f317218, v19, -v26
	s_delay_alu instid0(VALU_DEP_1) | instskip(NEXT) | instid1(VALU_DEP_1)
	v_dual_sub_f32 v22, v24, v22 :: v_dual_fmamk_f32 v19, v19, 0xb102e308, v25
	v_add_f32_e32 v20, v20, v22
	s_delay_alu instid0(VALU_DEP_2) | instskip(NEXT) | instid1(VALU_DEP_2)
	v_add_f32_e32 v22, v26, v19
	v_add_f32_e32 v24, v23, v20
	s_delay_alu instid0(VALU_DEP_2) | instskip(NEXT) | instid1(VALU_DEP_2)
	v_sub_f32_e32 v26, v22, v26
	v_add_f32_e32 v25, v22, v24
	v_sub_f32_e32 v23, v24, v23
	s_delay_alu instid0(VALU_DEP_3) | instskip(NEXT) | instid1(VALU_DEP_2)
	v_sub_f32_e32 v19, v19, v26
	v_dual_sub_f32 v27, v25, v22 :: v_dual_sub_f32 v20, v20, v23
	s_delay_alu instid0(VALU_DEP_1) | instskip(NEXT) | instid1(VALU_DEP_2)
	v_sub_f32_e32 v29, v25, v27
	v_dual_sub_f32 v23, v24, v27 :: v_dual_add_f32 v24, v19, v20
	s_delay_alu instid0(VALU_DEP_2) | instskip(NEXT) | instid1(VALU_DEP_1)
	v_sub_f32_e32 v22, v22, v29
	v_dual_add_f32 v22, v23, v22 :: v_dual_sub_f32 v23, v24, v19
	s_delay_alu instid0(VALU_DEP_1) | instskip(NEXT) | instid1(VALU_DEP_2)
	v_add_f32_e32 v22, v24, v22
	v_sub_f32_e32 v24, v24, v23
	v_sub_f32_e32 v20, v20, v23
	s_delay_alu instid0(VALU_DEP_2) | instskip(NEXT) | instid1(VALU_DEP_1)
	v_dual_add_f32 v26, v25, v22 :: v_dual_sub_f32 v19, v19, v24
	v_sub_f32_e32 v23, v26, v25
	s_delay_alu instid0(VALU_DEP_2) | instskip(NEXT) | instid1(VALU_DEP_2)
	v_add_f32_e32 v19, v20, v19
	v_sub_f32_e32 v20, v22, v23
	s_delay_alu instid0(VALU_DEP_1) | instskip(NEXT) | instid1(VALU_DEP_1)
	v_add_f32_e32 v19, v19, v20
	v_add_f32_e32 v19, v26, v19
	s_delay_alu instid0(VALU_DEP_1) | instskip(NEXT) | instid1(VALU_DEP_1)
	v_cndmask_b32_e64 v19, v19, v21, s0
	v_add_f32_e32 v19, v9, v19
.LBB531_144:
	s_or_b32 exec_lo, exec_lo, s1
	s_delay_alu instid0(VALU_DEP_1) | instskip(SKIP_1) | instid1(VALU_DEP_2)
	v_bfe_u32 v9, v19, 16, 1
	v_cmp_o_f32_e64 s0, v19, v19
	v_add3_u32 v9, v19, v9, 0x7fff
	s_delay_alu instid0(VALU_DEP_1) | instskip(NEXT) | instid1(VALU_DEP_1)
	v_lshrrev_b32_e32 v9, 16, v9
	v_cndmask_b32_e64 v9, 0x7fc0, v9, s0
	s_delay_alu instid0(VALU_DEP_1) | instskip(NEXT) | instid1(VALU_DEP_1)
	v_lshlrev_b32_e32 v20, 16, v9
	v_max_f32_e32 v19, v20, v20
	s_delay_alu instid0(VALU_DEP_1) | instskip(SKIP_2) | instid1(VALU_DEP_1)
	v_min_f32_e32 v21, v19, v32
	v_max_f32_e32 v19, v19, v32
	v_cmp_u_f32_e64 s0, v20, v20
	v_cndmask_b32_e64 v21, v21, v20, s0
	s_delay_alu instid0(VALU_DEP_3) | instskip(NEXT) | instid1(VALU_DEP_2)
	v_cndmask_b32_e64 v19, v19, v20, s0
	v_cndmask_b32_e64 v21, v21, v28, s35
	s_delay_alu instid0(VALU_DEP_2) | instskip(NEXT) | instid1(VALU_DEP_2)
	v_cndmask_b32_e64 v19, v19, v28, s35
	v_cmp_class_f32_e64 s1, v21, 0x1f8
	s_delay_alu instid0(VALU_DEP_2) | instskip(NEXT) | instid1(VALU_DEP_1)
	v_cmp_neq_f32_e64 s0, v21, v19
	s_or_b32 s0, s0, s1
	s_delay_alu instid0(SALU_CYCLE_1)
	s_and_saveexec_b32 s1, s0
	s_cbranch_execz .LBB531_146
; %bb.145:
	v_sub_f32_e32 v20, v21, v19
	s_delay_alu instid0(VALU_DEP_1) | instskip(SKIP_1) | instid1(VALU_DEP_2)
	v_mul_f32_e32 v21, 0x3fb8aa3b, v20
	v_cmp_ngt_f32_e64 s0, 0xc2ce8ed0, v20
	v_fma_f32 v22, 0x3fb8aa3b, v20, -v21
	v_rndne_f32_e32 v23, v21
	s_delay_alu instid0(VALU_DEP_1) | instskip(NEXT) | instid1(VALU_DEP_1)
	v_dual_fmamk_f32 v22, v20, 0x32a5705f, v22 :: v_dual_sub_f32 v21, v21, v23
	v_add_f32_e32 v21, v21, v22
	v_cvt_i32_f32_e32 v22, v23
	s_delay_alu instid0(VALU_DEP_2) | instskip(SKIP_2) | instid1(VALU_DEP_1)
	v_exp_f32_e32 v21, v21
	s_waitcnt_depctr 0xfff
	v_ldexp_f32 v21, v21, v22
	v_cndmask_b32_e64 v21, 0, v21, s0
	v_cmp_nlt_f32_e64 s0, 0x42b17218, v20
	s_delay_alu instid0(VALU_DEP_1) | instskip(NEXT) | instid1(VALU_DEP_1)
	v_cndmask_b32_e64 v22, 0x7f800000, v21, s0
	v_add_f32_e32 v23, 1.0, v22
	v_cmp_gt_f32_e64 s23, 0x33800000, |v22|
	s_delay_alu instid0(VALU_DEP_2) | instskip(NEXT) | instid1(VALU_DEP_1)
	v_cvt_f64_f32_e32 v[20:21], v23
	v_frexp_exp_i32_f64_e32 v20, v[20:21]
	v_frexp_mant_f32_e32 v21, v23
	s_delay_alu instid0(VALU_DEP_1) | instskip(SKIP_1) | instid1(VALU_DEP_1)
	v_cmp_gt_f32_e64 s0, 0x3f2aaaab, v21
	v_add_f32_e32 v21, -1.0, v23
	v_sub_f32_e32 v25, v21, v23
	v_sub_f32_e32 v21, v22, v21
	s_delay_alu instid0(VALU_DEP_4) | instskip(SKIP_1) | instid1(VALU_DEP_1)
	v_subrev_co_ci_u32_e64 v20, s0, 0, v20, s0
	s_mov_b32 s0, 0x3e9b6dac
	v_sub_nc_u32_e32 v24, 0, v20
	v_cvt_f32_i32_e32 v20, v20
	s_delay_alu instid0(VALU_DEP_2) | instskip(NEXT) | instid1(VALU_DEP_1)
	v_ldexp_f32 v23, v23, v24
	v_dual_add_f32 v26, 1.0, v23 :: v_dual_add_f32 v25, 1.0, v25
	s_delay_alu instid0(VALU_DEP_1) | instskip(NEXT) | instid1(VALU_DEP_1)
	v_add_f32_e32 v21, v21, v25
	v_ldexp_f32 v21, v21, v24
	s_delay_alu instid0(VALU_DEP_3) | instskip(NEXT) | instid1(VALU_DEP_1)
	v_dual_add_f32 v24, -1.0, v23 :: v_dual_add_f32 v25, -1.0, v26
	v_add_f32_e32 v27, 1.0, v24
	s_delay_alu instid0(VALU_DEP_2) | instskip(NEXT) | instid1(VALU_DEP_2)
	v_sub_f32_e32 v25, v23, v25
	v_sub_f32_e32 v23, v23, v27
	s_delay_alu instid0(VALU_DEP_2) | instskip(NEXT) | instid1(VALU_DEP_2)
	v_add_f32_e32 v25, v21, v25
	v_add_f32_e32 v21, v21, v23
	s_delay_alu instid0(VALU_DEP_2) | instskip(NEXT) | instid1(VALU_DEP_2)
	v_add_f32_e32 v27, v26, v25
	v_add_f32_e32 v28, v24, v21
	s_delay_alu instid0(VALU_DEP_2) | instskip(SKIP_1) | instid1(VALU_DEP_1)
	v_rcp_f32_e32 v23, v27
	v_sub_f32_e32 v26, v26, v27
	v_dual_sub_f32 v24, v24, v28 :: v_dual_add_f32 v25, v25, v26
	s_delay_alu instid0(VALU_DEP_1) | instskip(SKIP_2) | instid1(VALU_DEP_1)
	v_add_f32_e32 v21, v21, v24
	s_waitcnt_depctr 0xfff
	v_mul_f32_e32 v29, v28, v23
	v_mul_f32_e32 v30, v27, v29
	s_delay_alu instid0(VALU_DEP_1) | instskip(NEXT) | instid1(VALU_DEP_1)
	v_fma_f32 v26, v29, v27, -v30
	v_fmac_f32_e32 v26, v29, v25
	s_delay_alu instid0(VALU_DEP_1) | instskip(NEXT) | instid1(VALU_DEP_1)
	v_add_f32_e32 v32, v30, v26
	v_sub_f32_e32 v46, v28, v32
	v_sub_f32_e32 v24, v32, v30
	s_delay_alu instid0(VALU_DEP_2) | instskip(NEXT) | instid1(VALU_DEP_2)
	v_sub_f32_e32 v28, v28, v46
	v_sub_f32_e32 v24, v24, v26
	s_delay_alu instid0(VALU_DEP_2) | instskip(NEXT) | instid1(VALU_DEP_1)
	v_sub_f32_e32 v28, v28, v32
	v_add_f32_e32 v21, v21, v28
	s_delay_alu instid0(VALU_DEP_1) | instskip(NEXT) | instid1(VALU_DEP_1)
	v_add_f32_e32 v21, v24, v21
	v_add_f32_e32 v24, v46, v21
	s_delay_alu instid0(VALU_DEP_1) | instskip(SKIP_1) | instid1(VALU_DEP_2)
	v_mul_f32_e32 v26, v23, v24
	v_sub_f32_e32 v32, v46, v24
	v_mul_f32_e32 v28, v27, v26
	s_delay_alu instid0(VALU_DEP_1) | instskip(NEXT) | instid1(VALU_DEP_1)
	v_fma_f32 v27, v26, v27, -v28
	v_fmac_f32_e32 v27, v26, v25
	s_delay_alu instid0(VALU_DEP_1) | instskip(NEXT) | instid1(VALU_DEP_1)
	v_add_f32_e32 v25, v28, v27
	v_sub_f32_e32 v30, v24, v25
	v_sub_f32_e32 v28, v25, v28
	s_delay_alu instid0(VALU_DEP_2) | instskip(NEXT) | instid1(VALU_DEP_1)
	v_dual_sub_f32 v24, v24, v30 :: v_dual_add_f32 v21, v21, v32
	v_sub_f32_e32 v24, v24, v25
	s_delay_alu instid0(VALU_DEP_3) | instskip(NEXT) | instid1(VALU_DEP_2)
	v_sub_f32_e32 v25, v28, v27
	v_add_f32_e32 v21, v21, v24
	v_add_f32_e32 v24, v29, v26
	s_delay_alu instid0(VALU_DEP_2) | instskip(NEXT) | instid1(VALU_DEP_2)
	v_add_f32_e32 v21, v25, v21
	v_sub_f32_e32 v25, v24, v29
	s_delay_alu instid0(VALU_DEP_2) | instskip(NEXT) | instid1(VALU_DEP_2)
	v_add_f32_e32 v21, v30, v21
	v_sub_f32_e32 v25, v26, v25
	s_delay_alu instid0(VALU_DEP_2) | instskip(NEXT) | instid1(VALU_DEP_1)
	v_mul_f32_e32 v21, v23, v21
	v_add_f32_e32 v21, v25, v21
	s_delay_alu instid0(VALU_DEP_1) | instskip(NEXT) | instid1(VALU_DEP_1)
	v_add_f32_e32 v23, v24, v21
	v_mul_f32_e32 v25, v23, v23
	s_delay_alu instid0(VALU_DEP_1) | instskip(SKIP_2) | instid1(VALU_DEP_3)
	v_fmaak_f32 v26, s0, v25, 0x3ecc95a3
	v_mul_f32_e32 v27, v23, v25
	v_cmp_eq_f32_e64 s0, 0x7f800000, v22
	v_fmaak_f32 v25, v25, v26, 0x3f2aaada
	v_ldexp_f32 v26, v23, 1
	s_delay_alu instid0(VALU_DEP_3) | instskip(NEXT) | instid1(VALU_DEP_2)
	s_or_b32 s0, s0, s23
	v_mul_f32_e32 v25, v27, v25
	s_delay_alu instid0(VALU_DEP_1) | instskip(NEXT) | instid1(VALU_DEP_1)
	v_dual_sub_f32 v23, v23, v24 :: v_dual_add_f32 v24, v26, v25
	v_sub_f32_e32 v21, v21, v23
	s_delay_alu instid0(VALU_DEP_2) | instskip(NEXT) | instid1(VALU_DEP_2)
	v_sub_f32_e32 v23, v24, v26
	v_ldexp_f32 v21, v21, 1
	s_delay_alu instid0(VALU_DEP_2) | instskip(NEXT) | instid1(VALU_DEP_1)
	v_sub_f32_e32 v23, v25, v23
	v_add_f32_e32 v21, v21, v23
	s_delay_alu instid0(VALU_DEP_1) | instskip(SKIP_1) | instid1(VALU_DEP_2)
	v_add_f32_e32 v25, v24, v21
	v_mul_f32_e32 v27, 0x3f317218, v20
	v_sub_f32_e32 v24, v25, v24
	s_delay_alu instid0(VALU_DEP_2) | instskip(NEXT) | instid1(VALU_DEP_1)
	v_fma_f32 v26, 0x3f317218, v20, -v27
	v_dual_sub_f32 v21, v21, v24 :: v_dual_fmamk_f32 v20, v20, 0xb102e308, v26
	s_delay_alu instid0(VALU_DEP_1) | instskip(NEXT) | instid1(VALU_DEP_1)
	v_add_f32_e32 v23, v27, v20
	v_add_f32_e32 v26, v23, v25
	v_sub_f32_e32 v27, v23, v27
	s_delay_alu instid0(VALU_DEP_2) | instskip(NEXT) | instid1(VALU_DEP_1)
	v_sub_f32_e32 v28, v26, v23
	v_dual_sub_f32 v20, v20, v27 :: v_dual_sub_f32 v29, v26, v28
	s_delay_alu instid0(VALU_DEP_1) | instskip(NEXT) | instid1(VALU_DEP_2)
	v_dual_sub_f32 v24, v25, v28 :: v_dual_add_f32 v25, v20, v21
	v_sub_f32_e32 v23, v23, v29
	s_delay_alu instid0(VALU_DEP_1) | instskip(NEXT) | instid1(VALU_DEP_1)
	v_dual_add_f32 v23, v24, v23 :: v_dual_sub_f32 v24, v25, v20
	v_add_f32_e32 v23, v25, v23
	s_delay_alu instid0(VALU_DEP_2) | instskip(SKIP_1) | instid1(VALU_DEP_2)
	v_sub_f32_e32 v25, v25, v24
	v_sub_f32_e32 v21, v21, v24
	v_dual_add_f32 v27, v26, v23 :: v_dual_sub_f32 v20, v20, v25
	s_delay_alu instid0(VALU_DEP_1) | instskip(NEXT) | instid1(VALU_DEP_2)
	v_sub_f32_e32 v24, v27, v26
	v_add_f32_e32 v20, v21, v20
	s_delay_alu instid0(VALU_DEP_2) | instskip(NEXT) | instid1(VALU_DEP_1)
	v_sub_f32_e32 v21, v23, v24
	v_add_f32_e32 v20, v20, v21
	s_delay_alu instid0(VALU_DEP_1) | instskip(NEXT) | instid1(VALU_DEP_1)
	v_add_f32_e32 v20, v27, v20
	v_cndmask_b32_e64 v20, v20, v22, s0
	s_delay_alu instid0(VALU_DEP_1)
	v_add_f32_e32 v20, v19, v20
.LBB531_146:
	s_or_b32 exec_lo, exec_lo, s1
	s_delay_alu instid0(VALU_DEP_1) | instskip(SKIP_1) | instid1(VALU_DEP_2)
	v_bfe_u32 v19, v20, 16, 1
	v_cmp_o_f32_e64 s0, v20, v20
	v_add3_u32 v19, v20, v19, 0x7fff
	s_delay_alu instid0(VALU_DEP_1) | instskip(NEXT) | instid1(VALU_DEP_1)
	v_lshrrev_b32_e32 v19, 16, v19
	v_cndmask_b32_e64 v19, 0x7fc0, v19, s0
	s_delay_alu instid0(VALU_DEP_1) | instskip(NEXT) | instid1(VALU_DEP_1)
	v_lshlrev_b32_e32 v20, 16, v19
	v_max_f32_e32 v21, v20, v20
	s_delay_alu instid0(VALU_DEP_1) | instskip(SKIP_2) | instid1(VALU_DEP_1)
	v_min_f32_e32 v22, v21, v33
	v_max_f32_e32 v21, v21, v33
	v_cmp_u_f32_e64 s0, v20, v20
	v_cndmask_b32_e64 v22, v22, v20, s0
	s_delay_alu instid0(VALU_DEP_3) | instskip(NEXT) | instid1(VALU_DEP_2)
	v_cndmask_b32_e64 v23, v21, v20, s0
	v_cndmask_b32_e64 v21, v22, v6, s36
	s_delay_alu instid0(VALU_DEP_2) | instskip(NEXT) | instid1(VALU_DEP_2)
	v_cndmask_b32_e64 v6, v23, v6, s36
	v_cmp_class_f32_e64 s1, v21, 0x1f8
	s_delay_alu instid0(VALU_DEP_2) | instskip(NEXT) | instid1(VALU_DEP_1)
	v_cmp_neq_f32_e64 s0, v21, v6
	s_or_b32 s0, s0, s1
	s_delay_alu instid0(SALU_CYCLE_1)
	s_and_saveexec_b32 s1, s0
	s_cbranch_execz .LBB531_148
; %bb.147:
	v_sub_f32_e32 v20, v21, v6
	s_delay_alu instid0(VALU_DEP_1) | instskip(SKIP_1) | instid1(VALU_DEP_2)
	v_mul_f32_e32 v21, 0x3fb8aa3b, v20
	v_cmp_ngt_f32_e64 s0, 0xc2ce8ed0, v20
	v_fma_f32 v22, 0x3fb8aa3b, v20, -v21
	v_rndne_f32_e32 v23, v21
	s_delay_alu instid0(VALU_DEP_1) | instskip(NEXT) | instid1(VALU_DEP_1)
	v_dual_fmamk_f32 v22, v20, 0x32a5705f, v22 :: v_dual_sub_f32 v21, v21, v23
	v_add_f32_e32 v21, v21, v22
	v_cvt_i32_f32_e32 v22, v23
	s_delay_alu instid0(VALU_DEP_2) | instskip(SKIP_2) | instid1(VALU_DEP_1)
	v_exp_f32_e32 v21, v21
	s_waitcnt_depctr 0xfff
	v_ldexp_f32 v21, v21, v22
	v_cndmask_b32_e64 v21, 0, v21, s0
	v_cmp_nlt_f32_e64 s0, 0x42b17218, v20
	s_delay_alu instid0(VALU_DEP_1) | instskip(NEXT) | instid1(VALU_DEP_1)
	v_cndmask_b32_e64 v22, 0x7f800000, v21, s0
	v_add_f32_e32 v23, 1.0, v22
	v_cmp_gt_f32_e64 s23, 0x33800000, |v22|
	s_delay_alu instid0(VALU_DEP_2) | instskip(NEXT) | instid1(VALU_DEP_1)
	v_cvt_f64_f32_e32 v[20:21], v23
	v_frexp_exp_i32_f64_e32 v20, v[20:21]
	v_frexp_mant_f32_e32 v21, v23
	s_delay_alu instid0(VALU_DEP_1) | instskip(SKIP_1) | instid1(VALU_DEP_1)
	v_cmp_gt_f32_e64 s0, 0x3f2aaaab, v21
	v_add_f32_e32 v21, -1.0, v23
	v_sub_f32_e32 v25, v21, v23
	v_sub_f32_e32 v21, v22, v21
	s_delay_alu instid0(VALU_DEP_4) | instskip(SKIP_1) | instid1(VALU_DEP_1)
	v_subrev_co_ci_u32_e64 v20, s0, 0, v20, s0
	s_mov_b32 s0, 0x3e9b6dac
	v_sub_nc_u32_e32 v24, 0, v20
	v_cvt_f32_i32_e32 v20, v20
	s_delay_alu instid0(VALU_DEP_2) | instskip(NEXT) | instid1(VALU_DEP_1)
	v_ldexp_f32 v23, v23, v24
	v_dual_add_f32 v26, 1.0, v23 :: v_dual_add_f32 v25, 1.0, v25
	s_delay_alu instid0(VALU_DEP_1) | instskip(NEXT) | instid1(VALU_DEP_2)
	v_add_f32_e32 v21, v21, v25
	v_add_f32_e32 v25, -1.0, v26
	s_delay_alu instid0(VALU_DEP_2) | instskip(NEXT) | instid1(VALU_DEP_2)
	v_ldexp_f32 v21, v21, v24
	v_dual_add_f32 v24, -1.0, v23 :: v_dual_sub_f32 v25, v23, v25
	s_delay_alu instid0(VALU_DEP_1) | instskip(NEXT) | instid1(VALU_DEP_2)
	v_add_f32_e32 v27, 1.0, v24
	v_add_f32_e32 v25, v21, v25
	s_delay_alu instid0(VALU_DEP_2) | instskip(NEXT) | instid1(VALU_DEP_2)
	v_sub_f32_e32 v23, v23, v27
	v_add_f32_e32 v27, v26, v25
	s_delay_alu instid0(VALU_DEP_2) | instskip(NEXT) | instid1(VALU_DEP_2)
	v_add_f32_e32 v21, v21, v23
	v_rcp_f32_e32 v23, v27
	v_sub_f32_e32 v26, v26, v27
	s_delay_alu instid0(VALU_DEP_1) | instskip(NEXT) | instid1(VALU_DEP_1)
	v_dual_add_f32 v28, v24, v21 :: v_dual_add_f32 v25, v25, v26
	v_sub_f32_e32 v24, v24, v28
	s_waitcnt_depctr 0xfff
	v_mul_f32_e32 v29, v28, v23
	s_delay_alu instid0(VALU_DEP_1) | instskip(NEXT) | instid1(VALU_DEP_1)
	v_dual_add_f32 v21, v21, v24 :: v_dual_mul_f32 v30, v27, v29
	v_fma_f32 v26, v29, v27, -v30
	s_delay_alu instid0(VALU_DEP_1) | instskip(NEXT) | instid1(VALU_DEP_1)
	v_fmac_f32_e32 v26, v29, v25
	v_add_f32_e32 v32, v30, v26
	s_delay_alu instid0(VALU_DEP_1) | instskip(SKIP_1) | instid1(VALU_DEP_2)
	v_sub_f32_e32 v33, v28, v32
	v_sub_f32_e32 v24, v32, v30
	;; [unrolled: 1-line block ×3, first 2 shown]
	s_delay_alu instid0(VALU_DEP_2) | instskip(NEXT) | instid1(VALU_DEP_2)
	v_sub_f32_e32 v24, v24, v26
	v_sub_f32_e32 v28, v28, v32
	s_delay_alu instid0(VALU_DEP_1) | instskip(NEXT) | instid1(VALU_DEP_1)
	v_add_f32_e32 v21, v21, v28
	v_add_f32_e32 v21, v24, v21
	s_delay_alu instid0(VALU_DEP_1) | instskip(NEXT) | instid1(VALU_DEP_1)
	v_add_f32_e32 v24, v33, v21
	v_sub_f32_e32 v32, v33, v24
	v_mul_f32_e32 v26, v23, v24
	s_delay_alu instid0(VALU_DEP_1) | instskip(NEXT) | instid1(VALU_DEP_1)
	v_mul_f32_e32 v28, v27, v26
	v_fma_f32 v27, v26, v27, -v28
	s_delay_alu instid0(VALU_DEP_1) | instskip(NEXT) | instid1(VALU_DEP_1)
	v_fmac_f32_e32 v27, v26, v25
	v_add_f32_e32 v25, v28, v27
	s_delay_alu instid0(VALU_DEP_1) | instskip(SKIP_1) | instid1(VALU_DEP_2)
	v_sub_f32_e32 v30, v24, v25
	v_sub_f32_e32 v28, v25, v28
	v_dual_sub_f32 v24, v24, v30 :: v_dual_add_f32 v21, v21, v32
	s_delay_alu instid0(VALU_DEP_1) | instskip(NEXT) | instid1(VALU_DEP_3)
	v_sub_f32_e32 v24, v24, v25
	v_sub_f32_e32 v25, v28, v27
	s_delay_alu instid0(VALU_DEP_2) | instskip(SKIP_1) | instid1(VALU_DEP_2)
	v_add_f32_e32 v21, v21, v24
	v_add_f32_e32 v24, v29, v26
	;; [unrolled: 1-line block ×3, first 2 shown]
	s_delay_alu instid0(VALU_DEP_2) | instskip(NEXT) | instid1(VALU_DEP_2)
	v_sub_f32_e32 v25, v24, v29
	v_add_f32_e32 v21, v30, v21
	s_delay_alu instid0(VALU_DEP_2) | instskip(NEXT) | instid1(VALU_DEP_2)
	v_sub_f32_e32 v25, v26, v25
	v_mul_f32_e32 v21, v23, v21
	s_delay_alu instid0(VALU_DEP_1) | instskip(NEXT) | instid1(VALU_DEP_1)
	v_add_f32_e32 v21, v25, v21
	v_add_f32_e32 v23, v24, v21
	s_delay_alu instid0(VALU_DEP_1) | instskip(NEXT) | instid1(VALU_DEP_1)
	v_mul_f32_e32 v25, v23, v23
	v_fmaak_f32 v26, s0, v25, 0x3ecc95a3
	v_mul_f32_e32 v27, v23, v25
	v_cmp_eq_f32_e64 s0, 0x7f800000, v22
	s_delay_alu instid0(VALU_DEP_3) | instskip(SKIP_1) | instid1(VALU_DEP_3)
	v_fmaak_f32 v25, v25, v26, 0x3f2aaada
	v_ldexp_f32 v26, v23, 1
	s_or_b32 s0, s0, s23
	s_delay_alu instid0(VALU_DEP_2) | instskip(NEXT) | instid1(VALU_DEP_1)
	v_mul_f32_e32 v25, v27, v25
	v_dual_sub_f32 v23, v23, v24 :: v_dual_add_f32 v24, v26, v25
	s_delay_alu instid0(VALU_DEP_1) | instskip(NEXT) | instid1(VALU_DEP_2)
	v_sub_f32_e32 v21, v21, v23
	v_sub_f32_e32 v23, v24, v26
	s_delay_alu instid0(VALU_DEP_2) | instskip(NEXT) | instid1(VALU_DEP_2)
	v_ldexp_f32 v21, v21, 1
	v_sub_f32_e32 v23, v25, v23
	s_delay_alu instid0(VALU_DEP_1) | instskip(NEXT) | instid1(VALU_DEP_1)
	v_add_f32_e32 v21, v21, v23
	v_add_f32_e32 v25, v24, v21
	v_mul_f32_e32 v27, 0x3f317218, v20
	s_delay_alu instid0(VALU_DEP_2) | instskip(NEXT) | instid1(VALU_DEP_2)
	v_sub_f32_e32 v24, v25, v24
	v_fma_f32 v26, 0x3f317218, v20, -v27
	s_delay_alu instid0(VALU_DEP_1) | instskip(NEXT) | instid1(VALU_DEP_1)
	v_dual_sub_f32 v21, v21, v24 :: v_dual_fmamk_f32 v20, v20, 0xb102e308, v26
	v_add_f32_e32 v23, v27, v20
	s_delay_alu instid0(VALU_DEP_1) | instskip(SKIP_1) | instid1(VALU_DEP_2)
	v_add_f32_e32 v26, v23, v25
	v_sub_f32_e32 v27, v23, v27
	v_sub_f32_e32 v28, v26, v23
	s_delay_alu instid0(VALU_DEP_1) | instskip(NEXT) | instid1(VALU_DEP_1)
	v_dual_sub_f32 v20, v20, v27 :: v_dual_sub_f32 v29, v26, v28
	v_dual_sub_f32 v24, v25, v28 :: v_dual_add_f32 v25, v20, v21
	s_delay_alu instid0(VALU_DEP_2) | instskip(NEXT) | instid1(VALU_DEP_1)
	v_sub_f32_e32 v23, v23, v29
	v_dual_add_f32 v23, v24, v23 :: v_dual_sub_f32 v24, v25, v20
	s_delay_alu instid0(VALU_DEP_1) | instskip(NEXT) | instid1(VALU_DEP_2)
	v_add_f32_e32 v23, v25, v23
	v_sub_f32_e32 v25, v25, v24
	v_sub_f32_e32 v21, v21, v24
	s_delay_alu instid0(VALU_DEP_2) | instskip(NEXT) | instid1(VALU_DEP_1)
	v_dual_add_f32 v27, v26, v23 :: v_dual_sub_f32 v20, v20, v25
	v_sub_f32_e32 v24, v27, v26
	s_delay_alu instid0(VALU_DEP_2) | instskip(NEXT) | instid1(VALU_DEP_2)
	v_add_f32_e32 v20, v21, v20
	v_sub_f32_e32 v21, v23, v24
	s_delay_alu instid0(VALU_DEP_1) | instskip(NEXT) | instid1(VALU_DEP_1)
	v_add_f32_e32 v20, v20, v21
	v_add_f32_e32 v20, v27, v20
	s_delay_alu instid0(VALU_DEP_1) | instskip(NEXT) | instid1(VALU_DEP_1)
	v_cndmask_b32_e64 v20, v20, v22, s0
	v_add_f32_e32 v20, v6, v20
.LBB531_148:
	s_or_b32 exec_lo, exec_lo, s1
	s_delay_alu instid0(VALU_DEP_1) | instskip(SKIP_1) | instid1(VALU_DEP_2)
	v_bfe_u32 v6, v20, 16, 1
	v_cmp_o_f32_e64 s0, v20, v20
	v_add3_u32 v6, v20, v6, 0x7fff
	s_delay_alu instid0(VALU_DEP_1) | instskip(NEXT) | instid1(VALU_DEP_1)
	v_lshrrev_b32_e32 v6, 16, v6
	v_cndmask_b32_e64 v6, 0x7fc0, v6, s0
	s_delay_alu instid0(VALU_DEP_1) | instskip(NEXT) | instid1(VALU_DEP_1)
	v_lshlrev_b32_e32 v21, 16, v6
	v_max_f32_e32 v20, v21, v21
	s_delay_alu instid0(VALU_DEP_1) | instskip(SKIP_2) | instid1(VALU_DEP_1)
	v_min_f32_e32 v22, v20, v35
	v_max_f32_e32 v20, v20, v35
	v_cmp_u_f32_e64 s0, v21, v21
	v_cndmask_b32_e64 v22, v22, v21, s0
	s_delay_alu instid0(VALU_DEP_3) | instskip(NEXT) | instid1(VALU_DEP_2)
	v_cndmask_b32_e64 v20, v20, v21, s0
	v_cndmask_b32_e64 v22, v22, v31, s37
	s_delay_alu instid0(VALU_DEP_2) | instskip(NEXT) | instid1(VALU_DEP_2)
	v_cndmask_b32_e64 v20, v20, v31, s37
	v_cmp_class_f32_e64 s1, v22, 0x1f8
	s_delay_alu instid0(VALU_DEP_2) | instskip(NEXT) | instid1(VALU_DEP_1)
	v_cmp_neq_f32_e64 s0, v22, v20
	s_or_b32 s0, s0, s1
	s_delay_alu instid0(SALU_CYCLE_1)
	s_and_saveexec_b32 s1, s0
	s_cbranch_execz .LBB531_150
; %bb.149:
	v_sub_f32_e32 v21, v22, v20
	s_delay_alu instid0(VALU_DEP_1) | instskip(SKIP_1) | instid1(VALU_DEP_2)
	v_mul_f32_e32 v22, 0x3fb8aa3b, v21
	v_cmp_ngt_f32_e64 s0, 0xc2ce8ed0, v21
	v_fma_f32 v23, 0x3fb8aa3b, v21, -v22
	v_rndne_f32_e32 v24, v22
	s_delay_alu instid0(VALU_DEP_1) | instskip(NEXT) | instid1(VALU_DEP_1)
	v_dual_fmamk_f32 v23, v21, 0x32a5705f, v23 :: v_dual_sub_f32 v22, v22, v24
	v_add_f32_e32 v22, v22, v23
	v_cvt_i32_f32_e32 v23, v24
	s_delay_alu instid0(VALU_DEP_2) | instskip(SKIP_2) | instid1(VALU_DEP_1)
	v_exp_f32_e32 v22, v22
	s_waitcnt_depctr 0xfff
	v_ldexp_f32 v22, v22, v23
	v_cndmask_b32_e64 v22, 0, v22, s0
	v_cmp_nlt_f32_e64 s0, 0x42b17218, v21
	s_delay_alu instid0(VALU_DEP_1) | instskip(NEXT) | instid1(VALU_DEP_1)
	v_cndmask_b32_e64 v23, 0x7f800000, v22, s0
	v_add_f32_e32 v24, 1.0, v23
	v_cmp_gt_f32_e64 s23, 0x33800000, |v23|
	s_delay_alu instid0(VALU_DEP_2) | instskip(NEXT) | instid1(VALU_DEP_1)
	v_cvt_f64_f32_e32 v[21:22], v24
	v_frexp_exp_i32_f64_e32 v21, v[21:22]
	v_frexp_mant_f32_e32 v22, v24
	s_delay_alu instid0(VALU_DEP_1) | instskip(SKIP_1) | instid1(VALU_DEP_1)
	v_cmp_gt_f32_e64 s0, 0x3f2aaaab, v22
	v_add_f32_e32 v22, -1.0, v24
	v_sub_f32_e32 v26, v22, v24
	v_sub_f32_e32 v22, v23, v22
	s_delay_alu instid0(VALU_DEP_4) | instskip(SKIP_1) | instid1(VALU_DEP_1)
	v_subrev_co_ci_u32_e64 v21, s0, 0, v21, s0
	s_mov_b32 s0, 0x3e9b6dac
	v_sub_nc_u32_e32 v25, 0, v21
	v_cvt_f32_i32_e32 v21, v21
	s_delay_alu instid0(VALU_DEP_2) | instskip(NEXT) | instid1(VALU_DEP_1)
	v_ldexp_f32 v24, v24, v25
	v_dual_add_f32 v27, 1.0, v24 :: v_dual_add_f32 v26, 1.0, v26
	s_delay_alu instid0(VALU_DEP_1) | instskip(NEXT) | instid1(VALU_DEP_2)
	v_add_f32_e32 v22, v22, v26
	v_add_f32_e32 v26, -1.0, v27
	s_delay_alu instid0(VALU_DEP_2) | instskip(NEXT) | instid1(VALU_DEP_2)
	v_ldexp_f32 v22, v22, v25
	v_dual_add_f32 v25, -1.0, v24 :: v_dual_sub_f32 v26, v24, v26
	s_delay_alu instid0(VALU_DEP_1) | instskip(NEXT) | instid1(VALU_DEP_2)
	v_add_f32_e32 v28, 1.0, v25
	v_add_f32_e32 v26, v22, v26
	s_delay_alu instid0(VALU_DEP_2) | instskip(NEXT) | instid1(VALU_DEP_2)
	v_sub_f32_e32 v24, v24, v28
	v_add_f32_e32 v28, v27, v26
	s_delay_alu instid0(VALU_DEP_2) | instskip(NEXT) | instid1(VALU_DEP_2)
	v_add_f32_e32 v22, v22, v24
	v_rcp_f32_e32 v24, v28
	v_sub_f32_e32 v27, v27, v28
	s_delay_alu instid0(VALU_DEP_1) | instskip(NEXT) | instid1(VALU_DEP_1)
	v_dual_add_f32 v29, v25, v22 :: v_dual_add_f32 v26, v26, v27
	v_sub_f32_e32 v25, v25, v29
	s_waitcnt_depctr 0xfff
	v_mul_f32_e32 v30, v29, v24
	s_delay_alu instid0(VALU_DEP_1) | instskip(NEXT) | instid1(VALU_DEP_1)
	v_dual_add_f32 v22, v22, v25 :: v_dual_mul_f32 v31, v28, v30
	v_fma_f32 v27, v30, v28, -v31
	s_delay_alu instid0(VALU_DEP_1) | instskip(NEXT) | instid1(VALU_DEP_1)
	v_fmac_f32_e32 v27, v30, v26
	v_add_f32_e32 v32, v31, v27
	s_delay_alu instid0(VALU_DEP_1) | instskip(SKIP_1) | instid1(VALU_DEP_2)
	v_sub_f32_e32 v33, v29, v32
	v_sub_f32_e32 v25, v32, v31
	;; [unrolled: 1-line block ×3, first 2 shown]
	s_delay_alu instid0(VALU_DEP_2) | instskip(NEXT) | instid1(VALU_DEP_2)
	v_sub_f32_e32 v25, v25, v27
	v_sub_f32_e32 v29, v29, v32
	s_delay_alu instid0(VALU_DEP_1) | instskip(NEXT) | instid1(VALU_DEP_1)
	v_add_f32_e32 v22, v22, v29
	v_add_f32_e32 v22, v25, v22
	s_delay_alu instid0(VALU_DEP_1) | instskip(NEXT) | instid1(VALU_DEP_1)
	v_add_f32_e32 v25, v33, v22
	v_mul_f32_e32 v27, v24, v25
	s_delay_alu instid0(VALU_DEP_1) | instskip(NEXT) | instid1(VALU_DEP_1)
	v_dual_sub_f32 v32, v33, v25 :: v_dual_mul_f32 v29, v28, v27
	v_add_f32_e32 v22, v22, v32
	s_delay_alu instid0(VALU_DEP_2) | instskip(NEXT) | instid1(VALU_DEP_1)
	v_fma_f32 v28, v27, v28, -v29
	v_fmac_f32_e32 v28, v27, v26
	s_delay_alu instid0(VALU_DEP_1) | instskip(NEXT) | instid1(VALU_DEP_1)
	v_add_f32_e32 v26, v29, v28
	v_sub_f32_e32 v31, v25, v26
	v_sub_f32_e32 v29, v26, v29
	s_delay_alu instid0(VALU_DEP_2) | instskip(NEXT) | instid1(VALU_DEP_1)
	v_sub_f32_e32 v25, v25, v31
	v_sub_f32_e32 v25, v25, v26
	s_delay_alu instid0(VALU_DEP_3) | instskip(NEXT) | instid1(VALU_DEP_2)
	v_sub_f32_e32 v26, v29, v28
	v_add_f32_e32 v22, v22, v25
	v_add_f32_e32 v25, v30, v27
	s_delay_alu instid0(VALU_DEP_2) | instskip(NEXT) | instid1(VALU_DEP_2)
	v_add_f32_e32 v22, v26, v22
	v_sub_f32_e32 v26, v25, v30
	s_delay_alu instid0(VALU_DEP_2) | instskip(NEXT) | instid1(VALU_DEP_2)
	v_add_f32_e32 v22, v31, v22
	v_sub_f32_e32 v26, v27, v26
	s_delay_alu instid0(VALU_DEP_2) | instskip(NEXT) | instid1(VALU_DEP_1)
	v_mul_f32_e32 v22, v24, v22
	v_add_f32_e32 v22, v26, v22
	s_delay_alu instid0(VALU_DEP_1) | instskip(NEXT) | instid1(VALU_DEP_1)
	v_add_f32_e32 v24, v25, v22
	v_mul_f32_e32 v26, v24, v24
	s_delay_alu instid0(VALU_DEP_1) | instskip(SKIP_2) | instid1(VALU_DEP_3)
	v_fmaak_f32 v27, s0, v26, 0x3ecc95a3
	v_mul_f32_e32 v28, v24, v26
	v_cmp_eq_f32_e64 s0, 0x7f800000, v23
	v_fmaak_f32 v26, v26, v27, 0x3f2aaada
	v_ldexp_f32 v27, v24, 1
	v_sub_f32_e32 v24, v24, v25
	s_delay_alu instid0(VALU_DEP_4) | instskip(NEXT) | instid1(VALU_DEP_3)
	s_or_b32 s0, s0, s23
	v_mul_f32_e32 v26, v28, v26
	v_mul_f32_e32 v28, 0x3f317218, v21
	s_delay_alu instid0(VALU_DEP_2) | instskip(NEXT) | instid1(VALU_DEP_1)
	v_dual_sub_f32 v22, v22, v24 :: v_dual_add_f32 v25, v27, v26
	v_ldexp_f32 v22, v22, 1
	s_delay_alu instid0(VALU_DEP_2) | instskip(NEXT) | instid1(VALU_DEP_4)
	v_sub_f32_e32 v24, v25, v27
	v_fma_f32 v27, 0x3f317218, v21, -v28
	s_delay_alu instid0(VALU_DEP_1) | instskip(NEXT) | instid1(VALU_DEP_1)
	v_dual_sub_f32 v24, v26, v24 :: v_dual_fmamk_f32 v21, v21, 0xb102e308, v27
	v_add_f32_e32 v22, v22, v24
	s_delay_alu instid0(VALU_DEP_2) | instskip(NEXT) | instid1(VALU_DEP_2)
	v_add_f32_e32 v24, v28, v21
	v_add_f32_e32 v26, v25, v22
	s_delay_alu instid0(VALU_DEP_2) | instskip(NEXT) | instid1(VALU_DEP_2)
	v_sub_f32_e32 v28, v24, v28
	v_add_f32_e32 v27, v24, v26
	v_sub_f32_e32 v25, v26, v25
	s_delay_alu instid0(VALU_DEP_3) | instskip(NEXT) | instid1(VALU_DEP_2)
	v_sub_f32_e32 v21, v21, v28
	v_dual_sub_f32 v29, v27, v24 :: v_dual_sub_f32 v22, v22, v25
	s_delay_alu instid0(VALU_DEP_1) | instskip(NEXT) | instid1(VALU_DEP_2)
	v_sub_f32_e32 v30, v27, v29
	v_dual_sub_f32 v25, v26, v29 :: v_dual_add_f32 v26, v21, v22
	s_delay_alu instid0(VALU_DEP_2) | instskip(NEXT) | instid1(VALU_DEP_1)
	v_sub_f32_e32 v24, v24, v30
	v_dual_add_f32 v24, v25, v24 :: v_dual_sub_f32 v25, v26, v21
	s_delay_alu instid0(VALU_DEP_1) | instskip(NEXT) | instid1(VALU_DEP_2)
	v_add_f32_e32 v24, v26, v24
	v_sub_f32_e32 v26, v26, v25
	v_sub_f32_e32 v22, v22, v25
	s_delay_alu instid0(VALU_DEP_2) | instskip(NEXT) | instid1(VALU_DEP_1)
	v_dual_add_f32 v28, v27, v24 :: v_dual_sub_f32 v21, v21, v26
	v_sub_f32_e32 v25, v28, v27
	s_delay_alu instid0(VALU_DEP_2) | instskip(NEXT) | instid1(VALU_DEP_2)
	v_add_f32_e32 v21, v22, v21
	v_sub_f32_e32 v22, v24, v25
	s_delay_alu instid0(VALU_DEP_1) | instskip(NEXT) | instid1(VALU_DEP_1)
	v_add_f32_e32 v21, v21, v22
	v_add_f32_e32 v21, v28, v21
	s_delay_alu instid0(VALU_DEP_1) | instskip(NEXT) | instid1(VALU_DEP_1)
	v_cndmask_b32_e64 v21, v21, v23, s0
	v_add_f32_e32 v21, v20, v21
.LBB531_150:
	s_or_b32 exec_lo, exec_lo, s1
	s_delay_alu instid0(VALU_DEP_1) | instskip(SKIP_1) | instid1(VALU_DEP_2)
	v_bfe_u32 v20, v21, 16, 1
	v_cmp_o_f32_e64 s0, v21, v21
	v_add3_u32 v20, v21, v20, 0x7fff
	s_delay_alu instid0(VALU_DEP_1) | instskip(NEXT) | instid1(VALU_DEP_1)
	v_lshrrev_b32_e32 v20, 16, v20
	v_cndmask_b32_e64 v20, 0x7fc0, v20, s0
	s_delay_alu instid0(VALU_DEP_1) | instskip(NEXT) | instid1(VALU_DEP_1)
	v_lshlrev_b32_e32 v21, 16, v20
	v_max_f32_e32 v22, v21, v21
	v_cmp_u_f32_e64 s0, v21, v21
	s_delay_alu instid0(VALU_DEP_2) | instskip(SKIP_1) | instid1(VALU_DEP_2)
	v_min_f32_e32 v23, v22, v36
	v_max_f32_e32 v22, v22, v36
	v_cndmask_b32_e64 v23, v23, v21, s0
	s_delay_alu instid0(VALU_DEP_2) | instskip(NEXT) | instid1(VALU_DEP_2)
	v_cndmask_b32_e64 v24, v22, v21, s0
	v_cndmask_b32_e64 v22, v23, v7, s38
	s_delay_alu instid0(VALU_DEP_2) | instskip(NEXT) | instid1(VALU_DEP_2)
	v_cndmask_b32_e64 v7, v24, v7, s38
	v_cmp_class_f32_e64 s1, v22, 0x1f8
	s_delay_alu instid0(VALU_DEP_2) | instskip(NEXT) | instid1(VALU_DEP_1)
	v_cmp_neq_f32_e64 s0, v22, v7
	s_or_b32 s0, s0, s1
	s_delay_alu instid0(SALU_CYCLE_1)
	s_and_saveexec_b32 s1, s0
	s_cbranch_execz .LBB531_152
; %bb.151:
	v_sub_f32_e32 v21, v22, v7
	s_delay_alu instid0(VALU_DEP_1) | instskip(SKIP_1) | instid1(VALU_DEP_2)
	v_mul_f32_e32 v22, 0x3fb8aa3b, v21
	v_cmp_ngt_f32_e64 s0, 0xc2ce8ed0, v21
	v_fma_f32 v23, 0x3fb8aa3b, v21, -v22
	v_rndne_f32_e32 v24, v22
	s_delay_alu instid0(VALU_DEP_1) | instskip(NEXT) | instid1(VALU_DEP_1)
	v_dual_fmamk_f32 v23, v21, 0x32a5705f, v23 :: v_dual_sub_f32 v22, v22, v24
	v_add_f32_e32 v22, v22, v23
	v_cvt_i32_f32_e32 v23, v24
	s_delay_alu instid0(VALU_DEP_2) | instskip(SKIP_2) | instid1(VALU_DEP_1)
	v_exp_f32_e32 v22, v22
	s_waitcnt_depctr 0xfff
	v_ldexp_f32 v22, v22, v23
	v_cndmask_b32_e64 v22, 0, v22, s0
	v_cmp_nlt_f32_e64 s0, 0x42b17218, v21
	s_delay_alu instid0(VALU_DEP_1) | instskip(NEXT) | instid1(VALU_DEP_1)
	v_cndmask_b32_e64 v23, 0x7f800000, v22, s0
	v_add_f32_e32 v24, 1.0, v23
	v_cmp_gt_f32_e64 s23, 0x33800000, |v23|
	s_delay_alu instid0(VALU_DEP_2) | instskip(NEXT) | instid1(VALU_DEP_1)
	v_cvt_f64_f32_e32 v[21:22], v24
	v_frexp_exp_i32_f64_e32 v21, v[21:22]
	v_frexp_mant_f32_e32 v22, v24
	s_delay_alu instid0(VALU_DEP_1) | instskip(SKIP_1) | instid1(VALU_DEP_1)
	v_cmp_gt_f32_e64 s0, 0x3f2aaaab, v22
	v_add_f32_e32 v22, -1.0, v24
	v_sub_f32_e32 v26, v22, v24
	v_sub_f32_e32 v22, v23, v22
	s_delay_alu instid0(VALU_DEP_4) | instskip(SKIP_1) | instid1(VALU_DEP_1)
	v_subrev_co_ci_u32_e64 v21, s0, 0, v21, s0
	s_mov_b32 s0, 0x3e9b6dac
	v_sub_nc_u32_e32 v25, 0, v21
	v_cvt_f32_i32_e32 v21, v21
	s_delay_alu instid0(VALU_DEP_2) | instskip(NEXT) | instid1(VALU_DEP_1)
	v_ldexp_f32 v24, v24, v25
	v_dual_add_f32 v27, 1.0, v24 :: v_dual_add_f32 v26, 1.0, v26
	s_delay_alu instid0(VALU_DEP_1) | instskip(NEXT) | instid1(VALU_DEP_2)
	v_add_f32_e32 v22, v22, v26
	v_add_f32_e32 v26, -1.0, v27
	s_delay_alu instid0(VALU_DEP_2) | instskip(NEXT) | instid1(VALU_DEP_2)
	v_ldexp_f32 v22, v22, v25
	v_dual_add_f32 v25, -1.0, v24 :: v_dual_sub_f32 v26, v24, v26
	s_delay_alu instid0(VALU_DEP_1) | instskip(NEXT) | instid1(VALU_DEP_2)
	v_add_f32_e32 v28, 1.0, v25
	v_add_f32_e32 v26, v22, v26
	s_delay_alu instid0(VALU_DEP_2) | instskip(NEXT) | instid1(VALU_DEP_2)
	v_sub_f32_e32 v24, v24, v28
	v_add_f32_e32 v28, v27, v26
	s_delay_alu instid0(VALU_DEP_2) | instskip(NEXT) | instid1(VALU_DEP_2)
	v_add_f32_e32 v22, v22, v24
	v_rcp_f32_e32 v24, v28
	v_sub_f32_e32 v27, v27, v28
	s_delay_alu instid0(VALU_DEP_1) | instskip(NEXT) | instid1(VALU_DEP_1)
	v_dual_add_f32 v29, v25, v22 :: v_dual_add_f32 v26, v26, v27
	v_sub_f32_e32 v25, v25, v29
	s_waitcnt_depctr 0xfff
	v_mul_f32_e32 v30, v29, v24
	s_delay_alu instid0(VALU_DEP_1) | instskip(NEXT) | instid1(VALU_DEP_1)
	v_dual_add_f32 v22, v22, v25 :: v_dual_mul_f32 v31, v28, v30
	v_fma_f32 v27, v30, v28, -v31
	s_delay_alu instid0(VALU_DEP_1) | instskip(NEXT) | instid1(VALU_DEP_1)
	v_fmac_f32_e32 v27, v30, v26
	v_add_f32_e32 v32, v31, v27
	s_delay_alu instid0(VALU_DEP_1) | instskip(SKIP_1) | instid1(VALU_DEP_2)
	v_sub_f32_e32 v33, v29, v32
	v_sub_f32_e32 v25, v32, v31
	;; [unrolled: 1-line block ×3, first 2 shown]
	s_delay_alu instid0(VALU_DEP_2) | instskip(NEXT) | instid1(VALU_DEP_2)
	v_sub_f32_e32 v25, v25, v27
	v_sub_f32_e32 v29, v29, v32
	s_delay_alu instid0(VALU_DEP_1) | instskip(NEXT) | instid1(VALU_DEP_1)
	v_add_f32_e32 v22, v22, v29
	v_add_f32_e32 v22, v25, v22
	s_delay_alu instid0(VALU_DEP_1) | instskip(NEXT) | instid1(VALU_DEP_1)
	v_add_f32_e32 v25, v33, v22
	v_mul_f32_e32 v27, v24, v25
	s_delay_alu instid0(VALU_DEP_1) | instskip(NEXT) | instid1(VALU_DEP_1)
	v_dual_sub_f32 v32, v33, v25 :: v_dual_mul_f32 v29, v28, v27
	v_add_f32_e32 v22, v22, v32
	s_delay_alu instid0(VALU_DEP_2) | instskip(NEXT) | instid1(VALU_DEP_1)
	v_fma_f32 v28, v27, v28, -v29
	v_fmac_f32_e32 v28, v27, v26
	s_delay_alu instid0(VALU_DEP_1) | instskip(NEXT) | instid1(VALU_DEP_1)
	v_add_f32_e32 v26, v29, v28
	v_sub_f32_e32 v31, v25, v26
	v_sub_f32_e32 v29, v26, v29
	s_delay_alu instid0(VALU_DEP_2) | instskip(NEXT) | instid1(VALU_DEP_1)
	v_sub_f32_e32 v25, v25, v31
	v_sub_f32_e32 v25, v25, v26
	s_delay_alu instid0(VALU_DEP_3) | instskip(NEXT) | instid1(VALU_DEP_2)
	v_sub_f32_e32 v26, v29, v28
	v_add_f32_e32 v22, v22, v25
	v_add_f32_e32 v25, v30, v27
	s_delay_alu instid0(VALU_DEP_2) | instskip(NEXT) | instid1(VALU_DEP_2)
	v_add_f32_e32 v22, v26, v22
	v_sub_f32_e32 v26, v25, v30
	s_delay_alu instid0(VALU_DEP_2) | instskip(NEXT) | instid1(VALU_DEP_2)
	v_add_f32_e32 v22, v31, v22
	v_sub_f32_e32 v26, v27, v26
	s_delay_alu instid0(VALU_DEP_2) | instskip(NEXT) | instid1(VALU_DEP_1)
	v_mul_f32_e32 v22, v24, v22
	v_add_f32_e32 v22, v26, v22
	s_delay_alu instid0(VALU_DEP_1) | instskip(NEXT) | instid1(VALU_DEP_1)
	v_add_f32_e32 v24, v25, v22
	v_mul_f32_e32 v26, v24, v24
	s_delay_alu instid0(VALU_DEP_1) | instskip(SKIP_2) | instid1(VALU_DEP_3)
	v_fmaak_f32 v27, s0, v26, 0x3ecc95a3
	v_mul_f32_e32 v28, v24, v26
	v_cmp_eq_f32_e64 s0, 0x7f800000, v23
	v_fmaak_f32 v26, v26, v27, 0x3f2aaada
	v_ldexp_f32 v27, v24, 1
	v_sub_f32_e32 v24, v24, v25
	s_delay_alu instid0(VALU_DEP_4) | instskip(NEXT) | instid1(VALU_DEP_3)
	s_or_b32 s0, s0, s23
	v_mul_f32_e32 v26, v28, v26
	v_mul_f32_e32 v28, 0x3f317218, v21
	s_delay_alu instid0(VALU_DEP_2) | instskip(NEXT) | instid1(VALU_DEP_1)
	v_dual_sub_f32 v22, v22, v24 :: v_dual_add_f32 v25, v27, v26
	v_ldexp_f32 v22, v22, 1
	s_delay_alu instid0(VALU_DEP_2) | instskip(NEXT) | instid1(VALU_DEP_4)
	v_sub_f32_e32 v24, v25, v27
	v_fma_f32 v27, 0x3f317218, v21, -v28
	s_delay_alu instid0(VALU_DEP_1) | instskip(NEXT) | instid1(VALU_DEP_1)
	v_dual_sub_f32 v24, v26, v24 :: v_dual_fmamk_f32 v21, v21, 0xb102e308, v27
	v_add_f32_e32 v22, v22, v24
	s_delay_alu instid0(VALU_DEP_2) | instskip(NEXT) | instid1(VALU_DEP_2)
	v_add_f32_e32 v24, v28, v21
	v_add_f32_e32 v26, v25, v22
	s_delay_alu instid0(VALU_DEP_2) | instskip(NEXT) | instid1(VALU_DEP_2)
	v_sub_f32_e32 v28, v24, v28
	v_add_f32_e32 v27, v24, v26
	v_sub_f32_e32 v25, v26, v25
	s_delay_alu instid0(VALU_DEP_3) | instskip(NEXT) | instid1(VALU_DEP_2)
	v_sub_f32_e32 v21, v21, v28
	v_dual_sub_f32 v29, v27, v24 :: v_dual_sub_f32 v22, v22, v25
	s_delay_alu instid0(VALU_DEP_1) | instskip(NEXT) | instid1(VALU_DEP_2)
	v_sub_f32_e32 v30, v27, v29
	v_dual_sub_f32 v25, v26, v29 :: v_dual_add_f32 v26, v21, v22
	s_delay_alu instid0(VALU_DEP_2) | instskip(NEXT) | instid1(VALU_DEP_1)
	v_sub_f32_e32 v24, v24, v30
	v_dual_add_f32 v24, v25, v24 :: v_dual_sub_f32 v25, v26, v21
	s_delay_alu instid0(VALU_DEP_1) | instskip(NEXT) | instid1(VALU_DEP_2)
	v_add_f32_e32 v24, v26, v24
	v_sub_f32_e32 v26, v26, v25
	v_sub_f32_e32 v22, v22, v25
	s_delay_alu instid0(VALU_DEP_2) | instskip(NEXT) | instid1(VALU_DEP_1)
	v_dual_add_f32 v28, v27, v24 :: v_dual_sub_f32 v21, v21, v26
	v_sub_f32_e32 v25, v28, v27
	s_delay_alu instid0(VALU_DEP_2) | instskip(NEXT) | instid1(VALU_DEP_2)
	v_add_f32_e32 v21, v22, v21
	v_sub_f32_e32 v22, v24, v25
	s_delay_alu instid0(VALU_DEP_1) | instskip(NEXT) | instid1(VALU_DEP_1)
	v_add_f32_e32 v21, v21, v22
	v_add_f32_e32 v21, v28, v21
	s_delay_alu instid0(VALU_DEP_1) | instskip(NEXT) | instid1(VALU_DEP_1)
	v_cndmask_b32_e64 v21, v21, v23, s0
	v_add_f32_e32 v21, v7, v21
.LBB531_152:
	s_or_b32 exec_lo, exec_lo, s1
	s_delay_alu instid0(VALU_DEP_1) | instskip(SKIP_1) | instid1(VALU_DEP_2)
	v_bfe_u32 v7, v21, 16, 1
	v_cmp_o_f32_e64 s0, v21, v21
	v_add3_u32 v7, v21, v7, 0x7fff
	s_delay_alu instid0(VALU_DEP_1) | instskip(NEXT) | instid1(VALU_DEP_1)
	v_lshrrev_b32_e32 v7, 16, v7
	v_cndmask_b32_e64 v7, 0x7fc0, v7, s0
	s_delay_alu instid0(VALU_DEP_1) | instskip(NEXT) | instid1(VALU_DEP_1)
	v_lshlrev_b32_e32 v22, 16, v7
	v_max_f32_e32 v21, v22, v22
	s_delay_alu instid0(VALU_DEP_1) | instskip(SKIP_2) | instid1(VALU_DEP_1)
	v_min_f32_e32 v23, v21, v38
	v_max_f32_e32 v21, v21, v38
	v_cmp_u_f32_e64 s0, v22, v22
	v_cndmask_b32_e64 v23, v23, v22, s0
	s_delay_alu instid0(VALU_DEP_3) | instskip(NEXT) | instid1(VALU_DEP_2)
	v_cndmask_b32_e64 v21, v21, v22, s0
	v_cndmask_b32_e64 v23, v23, v34, s39
	s_delay_alu instid0(VALU_DEP_2) | instskip(NEXT) | instid1(VALU_DEP_2)
	v_cndmask_b32_e64 v21, v21, v34, s39
	v_cmp_class_f32_e64 s1, v23, 0x1f8
	s_delay_alu instid0(VALU_DEP_2) | instskip(NEXT) | instid1(VALU_DEP_1)
	v_cmp_neq_f32_e64 s0, v23, v21
	s_or_b32 s0, s0, s1
	s_delay_alu instid0(SALU_CYCLE_1)
	s_and_saveexec_b32 s1, s0
	s_cbranch_execz .LBB531_154
; %bb.153:
	v_sub_f32_e32 v22, v23, v21
	s_delay_alu instid0(VALU_DEP_1) | instskip(SKIP_1) | instid1(VALU_DEP_2)
	v_mul_f32_e32 v23, 0x3fb8aa3b, v22
	v_cmp_ngt_f32_e64 s0, 0xc2ce8ed0, v22
	v_fma_f32 v24, 0x3fb8aa3b, v22, -v23
	v_rndne_f32_e32 v25, v23
	s_delay_alu instid0(VALU_DEP_1) | instskip(NEXT) | instid1(VALU_DEP_1)
	v_dual_fmamk_f32 v24, v22, 0x32a5705f, v24 :: v_dual_sub_f32 v23, v23, v25
	v_add_f32_e32 v23, v23, v24
	v_cvt_i32_f32_e32 v24, v25
	s_delay_alu instid0(VALU_DEP_2) | instskip(SKIP_2) | instid1(VALU_DEP_1)
	v_exp_f32_e32 v23, v23
	s_waitcnt_depctr 0xfff
	v_ldexp_f32 v23, v23, v24
	v_cndmask_b32_e64 v23, 0, v23, s0
	v_cmp_nlt_f32_e64 s0, 0x42b17218, v22
	s_delay_alu instid0(VALU_DEP_1) | instskip(NEXT) | instid1(VALU_DEP_1)
	v_cndmask_b32_e64 v24, 0x7f800000, v23, s0
	v_add_f32_e32 v25, 1.0, v24
	v_cmp_gt_f32_e64 s23, 0x33800000, |v24|
	s_delay_alu instid0(VALU_DEP_2) | instskip(NEXT) | instid1(VALU_DEP_1)
	v_cvt_f64_f32_e32 v[22:23], v25
	v_frexp_exp_i32_f64_e32 v22, v[22:23]
	v_frexp_mant_f32_e32 v23, v25
	s_delay_alu instid0(VALU_DEP_1) | instskip(SKIP_1) | instid1(VALU_DEP_1)
	v_cmp_gt_f32_e64 s0, 0x3f2aaaab, v23
	v_add_f32_e32 v23, -1.0, v25
	v_sub_f32_e32 v27, v23, v25
	v_sub_f32_e32 v23, v24, v23
	s_delay_alu instid0(VALU_DEP_4) | instskip(SKIP_1) | instid1(VALU_DEP_1)
	v_subrev_co_ci_u32_e64 v22, s0, 0, v22, s0
	s_mov_b32 s0, 0x3e9b6dac
	v_sub_nc_u32_e32 v26, 0, v22
	v_cvt_f32_i32_e32 v22, v22
	s_delay_alu instid0(VALU_DEP_2) | instskip(NEXT) | instid1(VALU_DEP_1)
	v_ldexp_f32 v25, v25, v26
	v_dual_add_f32 v28, 1.0, v25 :: v_dual_add_f32 v27, 1.0, v27
	s_delay_alu instid0(VALU_DEP_1) | instskip(NEXT) | instid1(VALU_DEP_2)
	v_add_f32_e32 v23, v23, v27
	v_add_f32_e32 v27, -1.0, v28
	s_delay_alu instid0(VALU_DEP_2) | instskip(NEXT) | instid1(VALU_DEP_2)
	v_ldexp_f32 v23, v23, v26
	v_dual_add_f32 v26, -1.0, v25 :: v_dual_sub_f32 v27, v25, v27
	s_delay_alu instid0(VALU_DEP_1) | instskip(NEXT) | instid1(VALU_DEP_2)
	v_add_f32_e32 v29, 1.0, v26
	v_add_f32_e32 v27, v23, v27
	s_delay_alu instid0(VALU_DEP_2) | instskip(NEXT) | instid1(VALU_DEP_2)
	v_sub_f32_e32 v25, v25, v29
	v_add_f32_e32 v29, v28, v27
	s_delay_alu instid0(VALU_DEP_2) | instskip(NEXT) | instid1(VALU_DEP_2)
	v_add_f32_e32 v23, v23, v25
	v_rcp_f32_e32 v25, v29
	v_sub_f32_e32 v28, v28, v29
	s_delay_alu instid0(VALU_DEP_1) | instskip(NEXT) | instid1(VALU_DEP_1)
	v_dual_add_f32 v30, v26, v23 :: v_dual_add_f32 v27, v27, v28
	v_sub_f32_e32 v26, v26, v30
	s_waitcnt_depctr 0xfff
	v_mul_f32_e32 v31, v30, v25
	s_delay_alu instid0(VALU_DEP_1) | instskip(NEXT) | instid1(VALU_DEP_1)
	v_dual_add_f32 v23, v23, v26 :: v_dual_mul_f32 v32, v29, v31
	v_fma_f32 v28, v31, v29, -v32
	s_delay_alu instid0(VALU_DEP_1) | instskip(NEXT) | instid1(VALU_DEP_1)
	v_fmac_f32_e32 v28, v31, v27
	v_add_f32_e32 v33, v32, v28
	s_delay_alu instid0(VALU_DEP_1) | instskip(SKIP_1) | instid1(VALU_DEP_2)
	v_sub_f32_e32 v34, v30, v33
	v_sub_f32_e32 v26, v33, v32
	;; [unrolled: 1-line block ×3, first 2 shown]
	s_delay_alu instid0(VALU_DEP_2) | instskip(NEXT) | instid1(VALU_DEP_2)
	v_sub_f32_e32 v26, v26, v28
	v_sub_f32_e32 v30, v30, v33
	s_delay_alu instid0(VALU_DEP_1) | instskip(NEXT) | instid1(VALU_DEP_1)
	v_add_f32_e32 v23, v23, v30
	v_add_f32_e32 v23, v26, v23
	s_delay_alu instid0(VALU_DEP_1) | instskip(NEXT) | instid1(VALU_DEP_1)
	v_add_f32_e32 v26, v34, v23
	v_mul_f32_e32 v28, v25, v26
	s_delay_alu instid0(VALU_DEP_1) | instskip(NEXT) | instid1(VALU_DEP_1)
	v_dual_sub_f32 v33, v34, v26 :: v_dual_mul_f32 v30, v29, v28
	v_add_f32_e32 v23, v23, v33
	s_delay_alu instid0(VALU_DEP_2) | instskip(NEXT) | instid1(VALU_DEP_1)
	v_fma_f32 v29, v28, v29, -v30
	v_fmac_f32_e32 v29, v28, v27
	s_delay_alu instid0(VALU_DEP_1) | instskip(NEXT) | instid1(VALU_DEP_1)
	v_add_f32_e32 v27, v30, v29
	v_sub_f32_e32 v32, v26, v27
	v_sub_f32_e32 v30, v27, v30
	s_delay_alu instid0(VALU_DEP_2) | instskip(NEXT) | instid1(VALU_DEP_1)
	v_sub_f32_e32 v26, v26, v32
	v_sub_f32_e32 v26, v26, v27
	s_delay_alu instid0(VALU_DEP_3) | instskip(NEXT) | instid1(VALU_DEP_2)
	v_sub_f32_e32 v27, v30, v29
	v_add_f32_e32 v23, v23, v26
	v_add_f32_e32 v26, v31, v28
	s_delay_alu instid0(VALU_DEP_2) | instskip(NEXT) | instid1(VALU_DEP_2)
	v_add_f32_e32 v23, v27, v23
	v_sub_f32_e32 v27, v26, v31
	s_delay_alu instid0(VALU_DEP_2) | instskip(NEXT) | instid1(VALU_DEP_2)
	v_add_f32_e32 v23, v32, v23
	v_sub_f32_e32 v27, v28, v27
	s_delay_alu instid0(VALU_DEP_2) | instskip(NEXT) | instid1(VALU_DEP_1)
	v_mul_f32_e32 v23, v25, v23
	v_add_f32_e32 v23, v27, v23
	s_delay_alu instid0(VALU_DEP_1) | instskip(NEXT) | instid1(VALU_DEP_1)
	v_add_f32_e32 v25, v26, v23
	v_mul_f32_e32 v27, v25, v25
	s_delay_alu instid0(VALU_DEP_1) | instskip(SKIP_2) | instid1(VALU_DEP_3)
	v_fmaak_f32 v28, s0, v27, 0x3ecc95a3
	v_mul_f32_e32 v29, v25, v27
	v_cmp_eq_f32_e64 s0, 0x7f800000, v24
	v_fmaak_f32 v27, v27, v28, 0x3f2aaada
	v_ldexp_f32 v28, v25, 1
	v_sub_f32_e32 v25, v25, v26
	s_delay_alu instid0(VALU_DEP_4) | instskip(NEXT) | instid1(VALU_DEP_3)
	s_or_b32 s0, s0, s23
	v_mul_f32_e32 v27, v29, v27
	v_mul_f32_e32 v29, 0x3f317218, v22
	s_delay_alu instid0(VALU_DEP_2) | instskip(NEXT) | instid1(VALU_DEP_1)
	v_dual_sub_f32 v23, v23, v25 :: v_dual_add_f32 v26, v28, v27
	v_ldexp_f32 v23, v23, 1
	s_delay_alu instid0(VALU_DEP_2) | instskip(NEXT) | instid1(VALU_DEP_4)
	v_sub_f32_e32 v25, v26, v28
	v_fma_f32 v28, 0x3f317218, v22, -v29
	s_delay_alu instid0(VALU_DEP_1) | instskip(NEXT) | instid1(VALU_DEP_1)
	v_dual_sub_f32 v25, v27, v25 :: v_dual_fmamk_f32 v22, v22, 0xb102e308, v28
	v_add_f32_e32 v23, v23, v25
	s_delay_alu instid0(VALU_DEP_2) | instskip(NEXT) | instid1(VALU_DEP_2)
	v_add_f32_e32 v25, v29, v22
	v_add_f32_e32 v27, v26, v23
	s_delay_alu instid0(VALU_DEP_2) | instskip(NEXT) | instid1(VALU_DEP_2)
	v_sub_f32_e32 v29, v25, v29
	v_add_f32_e32 v28, v25, v27
	v_sub_f32_e32 v26, v27, v26
	s_delay_alu instid0(VALU_DEP_3) | instskip(NEXT) | instid1(VALU_DEP_2)
	v_sub_f32_e32 v22, v22, v29
	v_dual_sub_f32 v30, v28, v25 :: v_dual_sub_f32 v23, v23, v26
	s_delay_alu instid0(VALU_DEP_1) | instskip(NEXT) | instid1(VALU_DEP_2)
	v_sub_f32_e32 v31, v28, v30
	v_dual_sub_f32 v26, v27, v30 :: v_dual_add_f32 v27, v22, v23
	s_delay_alu instid0(VALU_DEP_2) | instskip(NEXT) | instid1(VALU_DEP_1)
	v_sub_f32_e32 v25, v25, v31
	v_dual_add_f32 v25, v26, v25 :: v_dual_sub_f32 v26, v27, v22
	s_delay_alu instid0(VALU_DEP_1) | instskip(NEXT) | instid1(VALU_DEP_2)
	v_add_f32_e32 v25, v27, v25
	v_sub_f32_e32 v27, v27, v26
	v_sub_f32_e32 v23, v23, v26
	s_delay_alu instid0(VALU_DEP_2) | instskip(NEXT) | instid1(VALU_DEP_1)
	v_dual_add_f32 v29, v28, v25 :: v_dual_sub_f32 v22, v22, v27
	v_sub_f32_e32 v26, v29, v28
	s_delay_alu instid0(VALU_DEP_2) | instskip(NEXT) | instid1(VALU_DEP_2)
	v_add_f32_e32 v22, v23, v22
	v_sub_f32_e32 v23, v25, v26
	s_delay_alu instid0(VALU_DEP_1) | instskip(NEXT) | instid1(VALU_DEP_1)
	v_add_f32_e32 v22, v22, v23
	v_add_f32_e32 v22, v29, v22
	s_delay_alu instid0(VALU_DEP_1) | instskip(NEXT) | instid1(VALU_DEP_1)
	v_cndmask_b32_e64 v22, v22, v24, s0
	v_add_f32_e32 v22, v21, v22
.LBB531_154:
	s_or_b32 exec_lo, exec_lo, s1
	s_delay_alu instid0(VALU_DEP_1) | instskip(SKIP_1) | instid1(VALU_DEP_2)
	v_bfe_u32 v21, v22, 16, 1
	v_cmp_o_f32_e64 s0, v22, v22
	v_add3_u32 v21, v22, v21, 0x7fff
	s_delay_alu instid0(VALU_DEP_1) | instskip(NEXT) | instid1(VALU_DEP_1)
	v_lshrrev_b32_e32 v21, 16, v21
	v_cndmask_b32_e64 v21, 0x7fc0, v21, s0
	s_delay_alu instid0(VALU_DEP_1) | instskip(NEXT) | instid1(VALU_DEP_1)
	v_lshlrev_b32_e32 v22, 16, v21
	v_max_f32_e32 v23, v22, v22
	s_delay_alu instid0(VALU_DEP_1) | instskip(SKIP_2) | instid1(VALU_DEP_1)
	v_min_f32_e32 v24, v23, v39
	v_max_f32_e32 v23, v23, v39
	v_cmp_u_f32_e64 s0, v22, v22
	v_cndmask_b32_e64 v24, v24, v22, s0
	s_delay_alu instid0(VALU_DEP_3) | instskip(NEXT) | instid1(VALU_DEP_2)
	v_cndmask_b32_e64 v25, v23, v22, s0
	v_cndmask_b32_e64 v23, v24, v4, s40
	s_delay_alu instid0(VALU_DEP_2) | instskip(NEXT) | instid1(VALU_DEP_2)
	v_cndmask_b32_e64 v4, v25, v4, s40
	v_cmp_class_f32_e64 s1, v23, 0x1f8
	s_delay_alu instid0(VALU_DEP_2) | instskip(NEXT) | instid1(VALU_DEP_1)
	v_cmp_neq_f32_e64 s0, v23, v4
	s_or_b32 s0, s0, s1
	s_delay_alu instid0(SALU_CYCLE_1)
	s_and_saveexec_b32 s1, s0
	s_cbranch_execz .LBB531_156
; %bb.155:
	v_sub_f32_e32 v22, v23, v4
	s_delay_alu instid0(VALU_DEP_1) | instskip(SKIP_1) | instid1(VALU_DEP_2)
	v_mul_f32_e32 v23, 0x3fb8aa3b, v22
	v_cmp_ngt_f32_e64 s0, 0xc2ce8ed0, v22
	v_fma_f32 v24, 0x3fb8aa3b, v22, -v23
	v_rndne_f32_e32 v25, v23
	s_delay_alu instid0(VALU_DEP_1) | instskip(NEXT) | instid1(VALU_DEP_1)
	v_dual_fmamk_f32 v24, v22, 0x32a5705f, v24 :: v_dual_sub_f32 v23, v23, v25
	v_add_f32_e32 v23, v23, v24
	v_cvt_i32_f32_e32 v24, v25
	s_delay_alu instid0(VALU_DEP_2) | instskip(SKIP_2) | instid1(VALU_DEP_1)
	v_exp_f32_e32 v23, v23
	s_waitcnt_depctr 0xfff
	v_ldexp_f32 v23, v23, v24
	v_cndmask_b32_e64 v23, 0, v23, s0
	v_cmp_nlt_f32_e64 s0, 0x42b17218, v22
	s_delay_alu instid0(VALU_DEP_1) | instskip(NEXT) | instid1(VALU_DEP_1)
	v_cndmask_b32_e64 v24, 0x7f800000, v23, s0
	v_add_f32_e32 v25, 1.0, v24
	v_cmp_gt_f32_e64 s23, 0x33800000, |v24|
	s_delay_alu instid0(VALU_DEP_2) | instskip(NEXT) | instid1(VALU_DEP_1)
	v_cvt_f64_f32_e32 v[22:23], v25
	v_frexp_exp_i32_f64_e32 v22, v[22:23]
	v_frexp_mant_f32_e32 v23, v25
	s_delay_alu instid0(VALU_DEP_1) | instskip(SKIP_1) | instid1(VALU_DEP_1)
	v_cmp_gt_f32_e64 s0, 0x3f2aaaab, v23
	v_add_f32_e32 v23, -1.0, v25
	v_sub_f32_e32 v27, v23, v25
	v_sub_f32_e32 v23, v24, v23
	s_delay_alu instid0(VALU_DEP_4) | instskip(SKIP_1) | instid1(VALU_DEP_1)
	v_subrev_co_ci_u32_e64 v22, s0, 0, v22, s0
	s_mov_b32 s0, 0x3e9b6dac
	v_sub_nc_u32_e32 v26, 0, v22
	v_cvt_f32_i32_e32 v22, v22
	s_delay_alu instid0(VALU_DEP_2) | instskip(NEXT) | instid1(VALU_DEP_1)
	v_ldexp_f32 v25, v25, v26
	v_dual_add_f32 v28, 1.0, v25 :: v_dual_add_f32 v27, 1.0, v27
	s_delay_alu instid0(VALU_DEP_1) | instskip(NEXT) | instid1(VALU_DEP_2)
	v_add_f32_e32 v23, v23, v27
	v_add_f32_e32 v27, -1.0, v28
	s_delay_alu instid0(VALU_DEP_2) | instskip(NEXT) | instid1(VALU_DEP_2)
	v_ldexp_f32 v23, v23, v26
	v_dual_add_f32 v26, -1.0, v25 :: v_dual_sub_f32 v27, v25, v27
	s_delay_alu instid0(VALU_DEP_1) | instskip(NEXT) | instid1(VALU_DEP_2)
	v_add_f32_e32 v29, 1.0, v26
	v_add_f32_e32 v27, v23, v27
	s_delay_alu instid0(VALU_DEP_2) | instskip(NEXT) | instid1(VALU_DEP_2)
	v_sub_f32_e32 v25, v25, v29
	v_add_f32_e32 v29, v28, v27
	s_delay_alu instid0(VALU_DEP_2) | instskip(NEXT) | instid1(VALU_DEP_2)
	v_add_f32_e32 v23, v23, v25
	v_rcp_f32_e32 v25, v29
	v_sub_f32_e32 v28, v28, v29
	s_delay_alu instid0(VALU_DEP_1) | instskip(NEXT) | instid1(VALU_DEP_1)
	v_dual_add_f32 v30, v26, v23 :: v_dual_add_f32 v27, v27, v28
	v_sub_f32_e32 v26, v26, v30
	s_waitcnt_depctr 0xfff
	v_mul_f32_e32 v31, v30, v25
	s_delay_alu instid0(VALU_DEP_1) | instskip(NEXT) | instid1(VALU_DEP_1)
	v_dual_add_f32 v23, v23, v26 :: v_dual_mul_f32 v32, v29, v31
	v_fma_f32 v28, v31, v29, -v32
	s_delay_alu instid0(VALU_DEP_1) | instskip(NEXT) | instid1(VALU_DEP_1)
	v_fmac_f32_e32 v28, v31, v27
	v_add_f32_e32 v33, v32, v28
	s_delay_alu instid0(VALU_DEP_1) | instskip(SKIP_1) | instid1(VALU_DEP_2)
	v_sub_f32_e32 v34, v30, v33
	v_sub_f32_e32 v26, v33, v32
	;; [unrolled: 1-line block ×3, first 2 shown]
	s_delay_alu instid0(VALU_DEP_2) | instskip(NEXT) | instid1(VALU_DEP_2)
	v_sub_f32_e32 v26, v26, v28
	v_sub_f32_e32 v30, v30, v33
	s_delay_alu instid0(VALU_DEP_1) | instskip(NEXT) | instid1(VALU_DEP_1)
	v_add_f32_e32 v23, v23, v30
	v_add_f32_e32 v23, v26, v23
	s_delay_alu instid0(VALU_DEP_1) | instskip(NEXT) | instid1(VALU_DEP_1)
	v_add_f32_e32 v26, v34, v23
	v_mul_f32_e32 v28, v25, v26
	s_delay_alu instid0(VALU_DEP_1) | instskip(NEXT) | instid1(VALU_DEP_1)
	v_dual_sub_f32 v33, v34, v26 :: v_dual_mul_f32 v30, v29, v28
	v_add_f32_e32 v23, v23, v33
	s_delay_alu instid0(VALU_DEP_2) | instskip(NEXT) | instid1(VALU_DEP_1)
	v_fma_f32 v29, v28, v29, -v30
	v_fmac_f32_e32 v29, v28, v27
	s_delay_alu instid0(VALU_DEP_1) | instskip(NEXT) | instid1(VALU_DEP_1)
	v_add_f32_e32 v27, v30, v29
	v_sub_f32_e32 v32, v26, v27
	v_sub_f32_e32 v30, v27, v30
	s_delay_alu instid0(VALU_DEP_2) | instskip(NEXT) | instid1(VALU_DEP_1)
	v_sub_f32_e32 v26, v26, v32
	v_sub_f32_e32 v26, v26, v27
	s_delay_alu instid0(VALU_DEP_3) | instskip(NEXT) | instid1(VALU_DEP_2)
	v_sub_f32_e32 v27, v30, v29
	v_add_f32_e32 v23, v23, v26
	v_add_f32_e32 v26, v31, v28
	s_delay_alu instid0(VALU_DEP_2) | instskip(NEXT) | instid1(VALU_DEP_2)
	v_add_f32_e32 v23, v27, v23
	v_sub_f32_e32 v27, v26, v31
	s_delay_alu instid0(VALU_DEP_2) | instskip(NEXT) | instid1(VALU_DEP_2)
	v_add_f32_e32 v23, v32, v23
	v_sub_f32_e32 v27, v28, v27
	s_delay_alu instid0(VALU_DEP_2) | instskip(NEXT) | instid1(VALU_DEP_1)
	v_mul_f32_e32 v23, v25, v23
	v_add_f32_e32 v23, v27, v23
	s_delay_alu instid0(VALU_DEP_1) | instskip(NEXT) | instid1(VALU_DEP_1)
	v_add_f32_e32 v25, v26, v23
	v_mul_f32_e32 v27, v25, v25
	s_delay_alu instid0(VALU_DEP_1) | instskip(SKIP_2) | instid1(VALU_DEP_3)
	v_fmaak_f32 v28, s0, v27, 0x3ecc95a3
	v_mul_f32_e32 v29, v25, v27
	v_cmp_eq_f32_e64 s0, 0x7f800000, v24
	v_fmaak_f32 v27, v27, v28, 0x3f2aaada
	v_ldexp_f32 v28, v25, 1
	v_sub_f32_e32 v25, v25, v26
	s_delay_alu instid0(VALU_DEP_4) | instskip(NEXT) | instid1(VALU_DEP_3)
	s_or_b32 s0, s0, s23
	v_mul_f32_e32 v27, v29, v27
	v_mul_f32_e32 v29, 0x3f317218, v22
	s_delay_alu instid0(VALU_DEP_2) | instskip(NEXT) | instid1(VALU_DEP_1)
	v_dual_sub_f32 v23, v23, v25 :: v_dual_add_f32 v26, v28, v27
	v_ldexp_f32 v23, v23, 1
	s_delay_alu instid0(VALU_DEP_2) | instskip(NEXT) | instid1(VALU_DEP_4)
	v_sub_f32_e32 v25, v26, v28
	v_fma_f32 v28, 0x3f317218, v22, -v29
	s_delay_alu instid0(VALU_DEP_1) | instskip(NEXT) | instid1(VALU_DEP_1)
	v_dual_sub_f32 v25, v27, v25 :: v_dual_fmamk_f32 v22, v22, 0xb102e308, v28
	v_add_f32_e32 v23, v23, v25
	s_delay_alu instid0(VALU_DEP_2) | instskip(NEXT) | instid1(VALU_DEP_2)
	v_add_f32_e32 v25, v29, v22
	v_add_f32_e32 v27, v26, v23
	s_delay_alu instid0(VALU_DEP_2) | instskip(NEXT) | instid1(VALU_DEP_2)
	v_sub_f32_e32 v29, v25, v29
	v_add_f32_e32 v28, v25, v27
	v_sub_f32_e32 v26, v27, v26
	s_delay_alu instid0(VALU_DEP_3) | instskip(NEXT) | instid1(VALU_DEP_2)
	v_sub_f32_e32 v22, v22, v29
	v_dual_sub_f32 v30, v28, v25 :: v_dual_sub_f32 v23, v23, v26
	s_delay_alu instid0(VALU_DEP_1) | instskip(NEXT) | instid1(VALU_DEP_2)
	v_sub_f32_e32 v31, v28, v30
	v_dual_sub_f32 v26, v27, v30 :: v_dual_add_f32 v27, v22, v23
	s_delay_alu instid0(VALU_DEP_2) | instskip(NEXT) | instid1(VALU_DEP_1)
	v_sub_f32_e32 v25, v25, v31
	v_dual_add_f32 v25, v26, v25 :: v_dual_sub_f32 v26, v27, v22
	s_delay_alu instid0(VALU_DEP_1) | instskip(NEXT) | instid1(VALU_DEP_2)
	v_add_f32_e32 v25, v27, v25
	v_sub_f32_e32 v27, v27, v26
	v_sub_f32_e32 v23, v23, v26
	s_delay_alu instid0(VALU_DEP_2) | instskip(NEXT) | instid1(VALU_DEP_1)
	v_dual_add_f32 v29, v28, v25 :: v_dual_sub_f32 v22, v22, v27
	v_sub_f32_e32 v26, v29, v28
	s_delay_alu instid0(VALU_DEP_2) | instskip(NEXT) | instid1(VALU_DEP_2)
	v_add_f32_e32 v22, v23, v22
	v_sub_f32_e32 v23, v25, v26
	s_delay_alu instid0(VALU_DEP_1) | instskip(NEXT) | instid1(VALU_DEP_1)
	v_add_f32_e32 v22, v22, v23
	v_add_f32_e32 v22, v29, v22
	s_delay_alu instid0(VALU_DEP_1) | instskip(NEXT) | instid1(VALU_DEP_1)
	v_cndmask_b32_e64 v22, v22, v24, s0
	v_add_f32_e32 v22, v4, v22
.LBB531_156:
	s_or_b32 exec_lo, exec_lo, s1
	s_delay_alu instid0(VALU_DEP_1) | instskip(SKIP_1) | instid1(VALU_DEP_2)
	v_bfe_u32 v4, v22, 16, 1
	v_cmp_o_f32_e64 s0, v22, v22
	v_add3_u32 v4, v22, v4, 0x7fff
	s_delay_alu instid0(VALU_DEP_1) | instskip(NEXT) | instid1(VALU_DEP_1)
	v_lshrrev_b32_e32 v4, 16, v4
	v_cndmask_b32_e64 v4, 0x7fc0, v4, s0
	s_delay_alu instid0(VALU_DEP_1) | instskip(NEXT) | instid1(VALU_DEP_1)
	v_lshlrev_b32_e32 v23, 16, v4
	v_max_f32_e32 v22, v23, v23
	s_delay_alu instid0(VALU_DEP_1) | instskip(SKIP_2) | instid1(VALU_DEP_1)
	v_min_f32_e32 v24, v22, v41
	v_max_f32_e32 v22, v22, v41
	v_cmp_u_f32_e64 s0, v23, v23
	v_cndmask_b32_e64 v24, v24, v23, s0
	s_delay_alu instid0(VALU_DEP_3) | instskip(NEXT) | instid1(VALU_DEP_2)
	v_cndmask_b32_e64 v22, v22, v23, s0
	v_cndmask_b32_e64 v24, v24, v37, s41
	s_delay_alu instid0(VALU_DEP_2) | instskip(NEXT) | instid1(VALU_DEP_2)
	v_cndmask_b32_e64 v22, v22, v37, s41
	v_cmp_class_f32_e64 s1, v24, 0x1f8
	s_delay_alu instid0(VALU_DEP_2) | instskip(NEXT) | instid1(VALU_DEP_1)
	v_cmp_neq_f32_e64 s0, v24, v22
	s_or_b32 s0, s0, s1
	s_delay_alu instid0(SALU_CYCLE_1)
	s_and_saveexec_b32 s1, s0
	s_cbranch_execz .LBB531_158
; %bb.157:
	v_sub_f32_e32 v23, v24, v22
	s_delay_alu instid0(VALU_DEP_1) | instskip(SKIP_1) | instid1(VALU_DEP_2)
	v_mul_f32_e32 v24, 0x3fb8aa3b, v23
	v_cmp_ngt_f32_e64 s0, 0xc2ce8ed0, v23
	v_fma_f32 v25, 0x3fb8aa3b, v23, -v24
	v_rndne_f32_e32 v26, v24
	s_delay_alu instid0(VALU_DEP_1) | instskip(NEXT) | instid1(VALU_DEP_1)
	v_dual_fmamk_f32 v25, v23, 0x32a5705f, v25 :: v_dual_sub_f32 v24, v24, v26
	v_add_f32_e32 v24, v24, v25
	v_cvt_i32_f32_e32 v25, v26
	s_delay_alu instid0(VALU_DEP_2) | instskip(SKIP_2) | instid1(VALU_DEP_1)
	v_exp_f32_e32 v24, v24
	s_waitcnt_depctr 0xfff
	v_ldexp_f32 v24, v24, v25
	v_cndmask_b32_e64 v24, 0, v24, s0
	v_cmp_nlt_f32_e64 s0, 0x42b17218, v23
	s_delay_alu instid0(VALU_DEP_1) | instskip(NEXT) | instid1(VALU_DEP_1)
	v_cndmask_b32_e64 v25, 0x7f800000, v24, s0
	v_add_f32_e32 v26, 1.0, v25
	v_cmp_gt_f32_e64 s23, 0x33800000, |v25|
	s_delay_alu instid0(VALU_DEP_2) | instskip(NEXT) | instid1(VALU_DEP_1)
	v_cvt_f64_f32_e32 v[23:24], v26
	v_frexp_exp_i32_f64_e32 v23, v[23:24]
	v_frexp_mant_f32_e32 v24, v26
	s_delay_alu instid0(VALU_DEP_1) | instskip(SKIP_1) | instid1(VALU_DEP_1)
	v_cmp_gt_f32_e64 s0, 0x3f2aaaab, v24
	v_add_f32_e32 v24, -1.0, v26
	v_sub_f32_e32 v28, v24, v26
	v_sub_f32_e32 v24, v25, v24
	s_delay_alu instid0(VALU_DEP_4) | instskip(SKIP_1) | instid1(VALU_DEP_1)
	v_subrev_co_ci_u32_e64 v23, s0, 0, v23, s0
	s_mov_b32 s0, 0x3e9b6dac
	v_sub_nc_u32_e32 v27, 0, v23
	v_cvt_f32_i32_e32 v23, v23
	s_delay_alu instid0(VALU_DEP_2) | instskip(NEXT) | instid1(VALU_DEP_1)
	v_ldexp_f32 v26, v26, v27
	v_dual_add_f32 v29, 1.0, v26 :: v_dual_add_f32 v28, 1.0, v28
	s_delay_alu instid0(VALU_DEP_1) | instskip(NEXT) | instid1(VALU_DEP_2)
	v_add_f32_e32 v24, v24, v28
	v_add_f32_e32 v28, -1.0, v29
	s_delay_alu instid0(VALU_DEP_2) | instskip(NEXT) | instid1(VALU_DEP_2)
	v_ldexp_f32 v24, v24, v27
	v_dual_add_f32 v27, -1.0, v26 :: v_dual_sub_f32 v28, v26, v28
	s_delay_alu instid0(VALU_DEP_1) | instskip(NEXT) | instid1(VALU_DEP_2)
	v_add_f32_e32 v30, 1.0, v27
	v_add_f32_e32 v28, v24, v28
	s_delay_alu instid0(VALU_DEP_2) | instskip(NEXT) | instid1(VALU_DEP_2)
	v_sub_f32_e32 v26, v26, v30
	v_add_f32_e32 v30, v29, v28
	s_delay_alu instid0(VALU_DEP_2) | instskip(NEXT) | instid1(VALU_DEP_2)
	v_add_f32_e32 v24, v24, v26
	v_rcp_f32_e32 v26, v30
	v_sub_f32_e32 v29, v29, v30
	s_delay_alu instid0(VALU_DEP_1) | instskip(NEXT) | instid1(VALU_DEP_1)
	v_dual_add_f32 v31, v27, v24 :: v_dual_add_f32 v28, v28, v29
	v_sub_f32_e32 v27, v27, v31
	s_waitcnt_depctr 0xfff
	v_mul_f32_e32 v32, v31, v26
	s_delay_alu instid0(VALU_DEP_1) | instskip(NEXT) | instid1(VALU_DEP_1)
	v_dual_add_f32 v24, v24, v27 :: v_dual_mul_f32 v33, v30, v32
	v_fma_f32 v29, v32, v30, -v33
	s_delay_alu instid0(VALU_DEP_1) | instskip(NEXT) | instid1(VALU_DEP_1)
	v_fmac_f32_e32 v29, v32, v28
	v_add_f32_e32 v34, v33, v29
	s_delay_alu instid0(VALU_DEP_1) | instskip(SKIP_1) | instid1(VALU_DEP_2)
	v_sub_f32_e32 v35, v31, v34
	v_sub_f32_e32 v27, v34, v33
	;; [unrolled: 1-line block ×3, first 2 shown]
	s_delay_alu instid0(VALU_DEP_2) | instskip(NEXT) | instid1(VALU_DEP_2)
	v_sub_f32_e32 v27, v27, v29
	v_sub_f32_e32 v31, v31, v34
	s_delay_alu instid0(VALU_DEP_1) | instskip(NEXT) | instid1(VALU_DEP_1)
	v_add_f32_e32 v24, v24, v31
	v_add_f32_e32 v24, v27, v24
	s_delay_alu instid0(VALU_DEP_1) | instskip(NEXT) | instid1(VALU_DEP_1)
	v_add_f32_e32 v27, v35, v24
	v_mul_f32_e32 v29, v26, v27
	s_delay_alu instid0(VALU_DEP_1) | instskip(NEXT) | instid1(VALU_DEP_1)
	v_dual_sub_f32 v34, v35, v27 :: v_dual_mul_f32 v31, v30, v29
	v_add_f32_e32 v24, v24, v34
	s_delay_alu instid0(VALU_DEP_2) | instskip(NEXT) | instid1(VALU_DEP_1)
	v_fma_f32 v30, v29, v30, -v31
	v_fmac_f32_e32 v30, v29, v28
	s_delay_alu instid0(VALU_DEP_1) | instskip(NEXT) | instid1(VALU_DEP_1)
	v_add_f32_e32 v28, v31, v30
	v_sub_f32_e32 v33, v27, v28
	v_sub_f32_e32 v31, v28, v31
	s_delay_alu instid0(VALU_DEP_2) | instskip(NEXT) | instid1(VALU_DEP_1)
	v_sub_f32_e32 v27, v27, v33
	v_sub_f32_e32 v27, v27, v28
	s_delay_alu instid0(VALU_DEP_3) | instskip(NEXT) | instid1(VALU_DEP_2)
	v_sub_f32_e32 v28, v31, v30
	v_add_f32_e32 v24, v24, v27
	v_add_f32_e32 v27, v32, v29
	s_delay_alu instid0(VALU_DEP_2) | instskip(NEXT) | instid1(VALU_DEP_2)
	v_add_f32_e32 v24, v28, v24
	v_sub_f32_e32 v28, v27, v32
	s_delay_alu instid0(VALU_DEP_2) | instskip(NEXT) | instid1(VALU_DEP_2)
	v_add_f32_e32 v24, v33, v24
	v_sub_f32_e32 v28, v29, v28
	s_delay_alu instid0(VALU_DEP_2) | instskip(NEXT) | instid1(VALU_DEP_1)
	v_mul_f32_e32 v24, v26, v24
	v_add_f32_e32 v24, v28, v24
	s_delay_alu instid0(VALU_DEP_1) | instskip(NEXT) | instid1(VALU_DEP_1)
	v_add_f32_e32 v26, v27, v24
	v_mul_f32_e32 v28, v26, v26
	s_delay_alu instid0(VALU_DEP_1) | instskip(SKIP_2) | instid1(VALU_DEP_3)
	v_fmaak_f32 v29, s0, v28, 0x3ecc95a3
	v_mul_f32_e32 v30, v26, v28
	v_cmp_eq_f32_e64 s0, 0x7f800000, v25
	v_fmaak_f32 v28, v28, v29, 0x3f2aaada
	v_ldexp_f32 v29, v26, 1
	v_sub_f32_e32 v26, v26, v27
	s_delay_alu instid0(VALU_DEP_4) | instskip(NEXT) | instid1(VALU_DEP_3)
	s_or_b32 s0, s0, s23
	v_mul_f32_e32 v28, v30, v28
	v_mul_f32_e32 v30, 0x3f317218, v23
	s_delay_alu instid0(VALU_DEP_2) | instskip(NEXT) | instid1(VALU_DEP_1)
	v_dual_sub_f32 v24, v24, v26 :: v_dual_add_f32 v27, v29, v28
	v_ldexp_f32 v24, v24, 1
	s_delay_alu instid0(VALU_DEP_2) | instskip(NEXT) | instid1(VALU_DEP_4)
	v_sub_f32_e32 v26, v27, v29
	v_fma_f32 v29, 0x3f317218, v23, -v30
	s_delay_alu instid0(VALU_DEP_1) | instskip(NEXT) | instid1(VALU_DEP_1)
	v_dual_sub_f32 v26, v28, v26 :: v_dual_fmamk_f32 v23, v23, 0xb102e308, v29
	v_add_f32_e32 v24, v24, v26
	s_delay_alu instid0(VALU_DEP_2) | instskip(NEXT) | instid1(VALU_DEP_2)
	v_add_f32_e32 v26, v30, v23
	v_add_f32_e32 v28, v27, v24
	s_delay_alu instid0(VALU_DEP_2) | instskip(NEXT) | instid1(VALU_DEP_2)
	v_sub_f32_e32 v30, v26, v30
	v_add_f32_e32 v29, v26, v28
	v_sub_f32_e32 v27, v28, v27
	s_delay_alu instid0(VALU_DEP_3) | instskip(NEXT) | instid1(VALU_DEP_2)
	v_sub_f32_e32 v23, v23, v30
	v_dual_sub_f32 v31, v29, v26 :: v_dual_sub_f32 v24, v24, v27
	s_delay_alu instid0(VALU_DEP_1) | instskip(NEXT) | instid1(VALU_DEP_2)
	v_sub_f32_e32 v32, v29, v31
	v_dual_sub_f32 v27, v28, v31 :: v_dual_add_f32 v28, v23, v24
	s_delay_alu instid0(VALU_DEP_2) | instskip(NEXT) | instid1(VALU_DEP_1)
	v_sub_f32_e32 v26, v26, v32
	v_dual_add_f32 v26, v27, v26 :: v_dual_sub_f32 v27, v28, v23
	s_delay_alu instid0(VALU_DEP_1) | instskip(NEXT) | instid1(VALU_DEP_2)
	v_add_f32_e32 v26, v28, v26
	v_sub_f32_e32 v28, v28, v27
	v_sub_f32_e32 v24, v24, v27
	s_delay_alu instid0(VALU_DEP_2) | instskip(NEXT) | instid1(VALU_DEP_1)
	v_dual_add_f32 v30, v29, v26 :: v_dual_sub_f32 v23, v23, v28
	v_sub_f32_e32 v27, v30, v29
	s_delay_alu instid0(VALU_DEP_2) | instskip(NEXT) | instid1(VALU_DEP_2)
	v_add_f32_e32 v23, v24, v23
	v_sub_f32_e32 v24, v26, v27
	s_delay_alu instid0(VALU_DEP_1) | instskip(NEXT) | instid1(VALU_DEP_1)
	v_add_f32_e32 v23, v23, v24
	v_add_f32_e32 v23, v30, v23
	s_delay_alu instid0(VALU_DEP_1) | instskip(NEXT) | instid1(VALU_DEP_1)
	v_cndmask_b32_e64 v23, v23, v25, s0
	v_add_f32_e32 v23, v22, v23
.LBB531_158:
	s_or_b32 exec_lo, exec_lo, s1
	s_delay_alu instid0(VALU_DEP_1) | instskip(SKIP_1) | instid1(VALU_DEP_2)
	v_bfe_u32 v22, v23, 16, 1
	v_cmp_o_f32_e64 s0, v23, v23
	v_add3_u32 v22, v23, v22, 0x7fff
	s_delay_alu instid0(VALU_DEP_1) | instskip(NEXT) | instid1(VALU_DEP_1)
	v_lshrrev_b32_e32 v22, 16, v22
	v_cndmask_b32_e64 v22, 0x7fc0, v22, s0
	s_delay_alu instid0(VALU_DEP_1) | instskip(NEXT) | instid1(VALU_DEP_1)
	v_lshlrev_b32_e32 v23, 16, v22
	v_max_f32_e32 v24, v23, v23
	s_delay_alu instid0(VALU_DEP_1) | instskip(SKIP_2) | instid1(VALU_DEP_1)
	v_min_f32_e32 v25, v24, v43
	v_max_f32_e32 v24, v24, v43
	v_cmp_u_f32_e64 s0, v23, v23
	v_cndmask_b32_e64 v25, v25, v23, s0
	s_delay_alu instid0(VALU_DEP_3) | instskip(NEXT) | instid1(VALU_DEP_2)
	v_cndmask_b32_e64 v26, v24, v23, s0
	v_cndmask_b32_e64 v24, v25, v5, s42
	s_delay_alu instid0(VALU_DEP_2) | instskip(NEXT) | instid1(VALU_DEP_2)
	v_cndmask_b32_e64 v5, v26, v5, s42
	v_cmp_class_f32_e64 s1, v24, 0x1f8
	s_delay_alu instid0(VALU_DEP_2) | instskip(NEXT) | instid1(VALU_DEP_1)
	v_cmp_neq_f32_e64 s0, v24, v5
	s_or_b32 s0, s0, s1
	s_delay_alu instid0(SALU_CYCLE_1)
	s_and_saveexec_b32 s1, s0
	s_cbranch_execz .LBB531_160
; %bb.159:
	v_sub_f32_e32 v23, v24, v5
	s_delay_alu instid0(VALU_DEP_1) | instskip(SKIP_1) | instid1(VALU_DEP_2)
	v_mul_f32_e32 v24, 0x3fb8aa3b, v23
	v_cmp_ngt_f32_e64 s0, 0xc2ce8ed0, v23
	v_fma_f32 v25, 0x3fb8aa3b, v23, -v24
	v_rndne_f32_e32 v26, v24
	s_delay_alu instid0(VALU_DEP_1) | instskip(NEXT) | instid1(VALU_DEP_1)
	v_dual_fmamk_f32 v25, v23, 0x32a5705f, v25 :: v_dual_sub_f32 v24, v24, v26
	v_add_f32_e32 v24, v24, v25
	v_cvt_i32_f32_e32 v25, v26
	s_delay_alu instid0(VALU_DEP_2) | instskip(SKIP_2) | instid1(VALU_DEP_1)
	v_exp_f32_e32 v24, v24
	s_waitcnt_depctr 0xfff
	v_ldexp_f32 v24, v24, v25
	v_cndmask_b32_e64 v24, 0, v24, s0
	v_cmp_nlt_f32_e64 s0, 0x42b17218, v23
	s_delay_alu instid0(VALU_DEP_1) | instskip(NEXT) | instid1(VALU_DEP_1)
	v_cndmask_b32_e64 v25, 0x7f800000, v24, s0
	v_add_f32_e32 v26, 1.0, v25
	v_cmp_gt_f32_e64 s23, 0x33800000, |v25|
	s_delay_alu instid0(VALU_DEP_2) | instskip(NEXT) | instid1(VALU_DEP_1)
	v_cvt_f64_f32_e32 v[23:24], v26
	v_frexp_exp_i32_f64_e32 v23, v[23:24]
	v_frexp_mant_f32_e32 v24, v26
	s_delay_alu instid0(VALU_DEP_1) | instskip(SKIP_1) | instid1(VALU_DEP_1)
	v_cmp_gt_f32_e64 s0, 0x3f2aaaab, v24
	v_add_f32_e32 v24, -1.0, v26
	v_sub_f32_e32 v28, v24, v26
	v_sub_f32_e32 v24, v25, v24
	s_delay_alu instid0(VALU_DEP_4) | instskip(SKIP_1) | instid1(VALU_DEP_1)
	v_subrev_co_ci_u32_e64 v23, s0, 0, v23, s0
	s_mov_b32 s0, 0x3e9b6dac
	v_sub_nc_u32_e32 v27, 0, v23
	v_cvt_f32_i32_e32 v23, v23
	s_delay_alu instid0(VALU_DEP_2) | instskip(NEXT) | instid1(VALU_DEP_1)
	v_ldexp_f32 v26, v26, v27
	v_dual_add_f32 v29, 1.0, v26 :: v_dual_add_f32 v28, 1.0, v28
	s_delay_alu instid0(VALU_DEP_1) | instskip(NEXT) | instid1(VALU_DEP_2)
	v_add_f32_e32 v24, v24, v28
	v_add_f32_e32 v28, -1.0, v29
	s_delay_alu instid0(VALU_DEP_2) | instskip(NEXT) | instid1(VALU_DEP_2)
	v_ldexp_f32 v24, v24, v27
	v_dual_add_f32 v27, -1.0, v26 :: v_dual_sub_f32 v28, v26, v28
	s_delay_alu instid0(VALU_DEP_1) | instskip(NEXT) | instid1(VALU_DEP_2)
	v_add_f32_e32 v30, 1.0, v27
	v_add_f32_e32 v28, v24, v28
	s_delay_alu instid0(VALU_DEP_2) | instskip(NEXT) | instid1(VALU_DEP_2)
	v_sub_f32_e32 v26, v26, v30
	v_add_f32_e32 v30, v29, v28
	s_delay_alu instid0(VALU_DEP_2) | instskip(NEXT) | instid1(VALU_DEP_2)
	v_add_f32_e32 v24, v24, v26
	v_rcp_f32_e32 v26, v30
	v_sub_f32_e32 v29, v29, v30
	s_delay_alu instid0(VALU_DEP_1) | instskip(NEXT) | instid1(VALU_DEP_1)
	v_dual_add_f32 v31, v27, v24 :: v_dual_add_f32 v28, v28, v29
	v_sub_f32_e32 v27, v27, v31
	s_waitcnt_depctr 0xfff
	v_mul_f32_e32 v32, v31, v26
	s_delay_alu instid0(VALU_DEP_1) | instskip(NEXT) | instid1(VALU_DEP_1)
	v_dual_add_f32 v24, v24, v27 :: v_dual_mul_f32 v33, v30, v32
	v_fma_f32 v29, v32, v30, -v33
	s_delay_alu instid0(VALU_DEP_1) | instskip(NEXT) | instid1(VALU_DEP_1)
	v_fmac_f32_e32 v29, v32, v28
	v_add_f32_e32 v34, v33, v29
	s_delay_alu instid0(VALU_DEP_1) | instskip(SKIP_1) | instid1(VALU_DEP_2)
	v_sub_f32_e32 v35, v31, v34
	v_sub_f32_e32 v27, v34, v33
	;; [unrolled: 1-line block ×3, first 2 shown]
	s_delay_alu instid0(VALU_DEP_2) | instskip(NEXT) | instid1(VALU_DEP_2)
	v_sub_f32_e32 v27, v27, v29
	v_sub_f32_e32 v31, v31, v34
	s_delay_alu instid0(VALU_DEP_1) | instskip(NEXT) | instid1(VALU_DEP_1)
	v_add_f32_e32 v24, v24, v31
	v_add_f32_e32 v24, v27, v24
	s_delay_alu instid0(VALU_DEP_1) | instskip(NEXT) | instid1(VALU_DEP_1)
	v_add_f32_e32 v27, v35, v24
	v_mul_f32_e32 v29, v26, v27
	s_delay_alu instid0(VALU_DEP_1) | instskip(NEXT) | instid1(VALU_DEP_1)
	v_dual_sub_f32 v34, v35, v27 :: v_dual_mul_f32 v31, v30, v29
	v_add_f32_e32 v24, v24, v34
	s_delay_alu instid0(VALU_DEP_2) | instskip(NEXT) | instid1(VALU_DEP_1)
	v_fma_f32 v30, v29, v30, -v31
	v_fmac_f32_e32 v30, v29, v28
	s_delay_alu instid0(VALU_DEP_1) | instskip(NEXT) | instid1(VALU_DEP_1)
	v_add_f32_e32 v28, v31, v30
	v_sub_f32_e32 v33, v27, v28
	v_sub_f32_e32 v31, v28, v31
	s_delay_alu instid0(VALU_DEP_2) | instskip(NEXT) | instid1(VALU_DEP_1)
	v_sub_f32_e32 v27, v27, v33
	v_sub_f32_e32 v27, v27, v28
	s_delay_alu instid0(VALU_DEP_3) | instskip(NEXT) | instid1(VALU_DEP_2)
	v_sub_f32_e32 v28, v31, v30
	v_add_f32_e32 v24, v24, v27
	v_add_f32_e32 v27, v32, v29
	s_delay_alu instid0(VALU_DEP_2) | instskip(NEXT) | instid1(VALU_DEP_2)
	v_add_f32_e32 v24, v28, v24
	v_sub_f32_e32 v28, v27, v32
	s_delay_alu instid0(VALU_DEP_2) | instskip(NEXT) | instid1(VALU_DEP_2)
	v_add_f32_e32 v24, v33, v24
	v_sub_f32_e32 v28, v29, v28
	s_delay_alu instid0(VALU_DEP_2) | instskip(NEXT) | instid1(VALU_DEP_1)
	v_mul_f32_e32 v24, v26, v24
	v_add_f32_e32 v24, v28, v24
	s_delay_alu instid0(VALU_DEP_1) | instskip(NEXT) | instid1(VALU_DEP_1)
	v_add_f32_e32 v26, v27, v24
	v_mul_f32_e32 v28, v26, v26
	s_delay_alu instid0(VALU_DEP_1) | instskip(SKIP_2) | instid1(VALU_DEP_3)
	v_fmaak_f32 v29, s0, v28, 0x3ecc95a3
	v_mul_f32_e32 v30, v26, v28
	v_cmp_eq_f32_e64 s0, 0x7f800000, v25
	v_fmaak_f32 v28, v28, v29, 0x3f2aaada
	v_ldexp_f32 v29, v26, 1
	v_sub_f32_e32 v26, v26, v27
	s_delay_alu instid0(VALU_DEP_4) | instskip(NEXT) | instid1(VALU_DEP_3)
	s_or_b32 s0, s0, s23
	v_mul_f32_e32 v28, v30, v28
	v_mul_f32_e32 v30, 0x3f317218, v23
	s_delay_alu instid0(VALU_DEP_2) | instskip(NEXT) | instid1(VALU_DEP_1)
	v_dual_sub_f32 v24, v24, v26 :: v_dual_add_f32 v27, v29, v28
	v_ldexp_f32 v24, v24, 1
	s_delay_alu instid0(VALU_DEP_2) | instskip(NEXT) | instid1(VALU_DEP_4)
	v_sub_f32_e32 v26, v27, v29
	v_fma_f32 v29, 0x3f317218, v23, -v30
	s_delay_alu instid0(VALU_DEP_1) | instskip(NEXT) | instid1(VALU_DEP_1)
	v_dual_sub_f32 v26, v28, v26 :: v_dual_fmamk_f32 v23, v23, 0xb102e308, v29
	v_add_f32_e32 v24, v24, v26
	s_delay_alu instid0(VALU_DEP_2) | instskip(NEXT) | instid1(VALU_DEP_2)
	v_add_f32_e32 v26, v30, v23
	v_add_f32_e32 v28, v27, v24
	s_delay_alu instid0(VALU_DEP_2) | instskip(NEXT) | instid1(VALU_DEP_2)
	v_sub_f32_e32 v30, v26, v30
	v_add_f32_e32 v29, v26, v28
	v_sub_f32_e32 v27, v28, v27
	s_delay_alu instid0(VALU_DEP_3) | instskip(NEXT) | instid1(VALU_DEP_2)
	v_sub_f32_e32 v23, v23, v30
	v_dual_sub_f32 v31, v29, v26 :: v_dual_sub_f32 v24, v24, v27
	s_delay_alu instid0(VALU_DEP_1) | instskip(NEXT) | instid1(VALU_DEP_2)
	v_sub_f32_e32 v32, v29, v31
	v_dual_sub_f32 v27, v28, v31 :: v_dual_add_f32 v28, v23, v24
	s_delay_alu instid0(VALU_DEP_2) | instskip(NEXT) | instid1(VALU_DEP_1)
	v_sub_f32_e32 v26, v26, v32
	v_dual_add_f32 v26, v27, v26 :: v_dual_sub_f32 v27, v28, v23
	s_delay_alu instid0(VALU_DEP_1) | instskip(NEXT) | instid1(VALU_DEP_2)
	v_add_f32_e32 v26, v28, v26
	v_sub_f32_e32 v28, v28, v27
	v_sub_f32_e32 v24, v24, v27
	s_delay_alu instid0(VALU_DEP_2) | instskip(NEXT) | instid1(VALU_DEP_1)
	v_dual_add_f32 v30, v29, v26 :: v_dual_sub_f32 v23, v23, v28
	v_sub_f32_e32 v27, v30, v29
	s_delay_alu instid0(VALU_DEP_2) | instskip(NEXT) | instid1(VALU_DEP_2)
	v_add_f32_e32 v23, v24, v23
	v_sub_f32_e32 v24, v26, v27
	s_delay_alu instid0(VALU_DEP_1) | instskip(NEXT) | instid1(VALU_DEP_1)
	v_add_f32_e32 v23, v23, v24
	v_add_f32_e32 v23, v30, v23
	s_delay_alu instid0(VALU_DEP_1) | instskip(NEXT) | instid1(VALU_DEP_1)
	v_cndmask_b32_e64 v23, v23, v25, s0
	v_add_f32_e32 v23, v5, v23
.LBB531_160:
	s_or_b32 exec_lo, exec_lo, s1
	s_delay_alu instid0(VALU_DEP_1) | instskip(SKIP_1) | instid1(VALU_DEP_2)
	v_bfe_u32 v5, v23, 16, 1
	v_cmp_o_f32_e64 s0, v23, v23
	v_add3_u32 v5, v23, v5, 0x7fff
	s_delay_alu instid0(VALU_DEP_1) | instskip(NEXT) | instid1(VALU_DEP_1)
	v_lshrrev_b32_e32 v5, 16, v5
	v_cndmask_b32_e64 v5, 0x7fc0, v5, s0
	s_delay_alu instid0(VALU_DEP_1) | instskip(NEXT) | instid1(VALU_DEP_1)
	v_lshlrev_b32_e32 v24, 16, v5
	v_max_f32_e32 v23, v24, v24
	s_delay_alu instid0(VALU_DEP_1) | instskip(SKIP_2) | instid1(VALU_DEP_1)
	v_min_f32_e32 v25, v23, v44
	v_max_f32_e32 v23, v23, v44
	v_cmp_u_f32_e64 s0, v24, v24
	v_cndmask_b32_e64 v25, v25, v24, s0
	s_delay_alu instid0(VALU_DEP_3) | instskip(NEXT) | instid1(VALU_DEP_2)
	v_cndmask_b32_e64 v23, v23, v24, s0
	v_cndmask_b32_e64 v25, v25, v40, s43
	s_delay_alu instid0(VALU_DEP_2) | instskip(NEXT) | instid1(VALU_DEP_2)
	v_cndmask_b32_e64 v23, v23, v40, s43
	v_cmp_class_f32_e64 s1, v25, 0x1f8
	s_delay_alu instid0(VALU_DEP_2) | instskip(NEXT) | instid1(VALU_DEP_1)
	v_cmp_neq_f32_e64 s0, v25, v23
	s_or_b32 s0, s0, s1
	s_delay_alu instid0(SALU_CYCLE_1)
	s_and_saveexec_b32 s1, s0
	s_cbranch_execz .LBB531_162
; %bb.161:
	v_sub_f32_e32 v24, v25, v23
	s_delay_alu instid0(VALU_DEP_1) | instskip(SKIP_1) | instid1(VALU_DEP_2)
	v_mul_f32_e32 v25, 0x3fb8aa3b, v24
	v_cmp_ngt_f32_e64 s0, 0xc2ce8ed0, v24
	v_fma_f32 v26, 0x3fb8aa3b, v24, -v25
	v_rndne_f32_e32 v27, v25
	s_delay_alu instid0(VALU_DEP_1) | instskip(NEXT) | instid1(VALU_DEP_1)
	v_dual_fmamk_f32 v26, v24, 0x32a5705f, v26 :: v_dual_sub_f32 v25, v25, v27
	v_add_f32_e32 v25, v25, v26
	v_cvt_i32_f32_e32 v26, v27
	s_delay_alu instid0(VALU_DEP_2) | instskip(SKIP_2) | instid1(VALU_DEP_1)
	v_exp_f32_e32 v25, v25
	s_waitcnt_depctr 0xfff
	v_ldexp_f32 v25, v25, v26
	v_cndmask_b32_e64 v25, 0, v25, s0
	v_cmp_nlt_f32_e64 s0, 0x42b17218, v24
	s_delay_alu instid0(VALU_DEP_1) | instskip(NEXT) | instid1(VALU_DEP_1)
	v_cndmask_b32_e64 v26, 0x7f800000, v25, s0
	v_add_f32_e32 v27, 1.0, v26
	v_cmp_gt_f32_e64 s23, 0x33800000, |v26|
	s_delay_alu instid0(VALU_DEP_2) | instskip(NEXT) | instid1(VALU_DEP_1)
	v_cvt_f64_f32_e32 v[24:25], v27
	v_frexp_exp_i32_f64_e32 v24, v[24:25]
	v_frexp_mant_f32_e32 v25, v27
	s_delay_alu instid0(VALU_DEP_1) | instskip(SKIP_1) | instid1(VALU_DEP_1)
	v_cmp_gt_f32_e64 s0, 0x3f2aaaab, v25
	v_add_f32_e32 v25, -1.0, v27
	v_sub_f32_e32 v29, v25, v27
	v_sub_f32_e32 v25, v26, v25
	s_delay_alu instid0(VALU_DEP_4) | instskip(SKIP_1) | instid1(VALU_DEP_1)
	v_subrev_co_ci_u32_e64 v24, s0, 0, v24, s0
	s_mov_b32 s0, 0x3e9b6dac
	v_sub_nc_u32_e32 v28, 0, v24
	v_cvt_f32_i32_e32 v24, v24
	s_delay_alu instid0(VALU_DEP_2) | instskip(NEXT) | instid1(VALU_DEP_1)
	v_ldexp_f32 v27, v27, v28
	v_dual_add_f32 v30, 1.0, v27 :: v_dual_add_f32 v29, 1.0, v29
	s_delay_alu instid0(VALU_DEP_1) | instskip(NEXT) | instid1(VALU_DEP_2)
	v_add_f32_e32 v25, v25, v29
	v_add_f32_e32 v29, -1.0, v30
	s_delay_alu instid0(VALU_DEP_2) | instskip(NEXT) | instid1(VALU_DEP_2)
	v_ldexp_f32 v25, v25, v28
	v_dual_add_f32 v28, -1.0, v27 :: v_dual_sub_f32 v29, v27, v29
	s_delay_alu instid0(VALU_DEP_1) | instskip(NEXT) | instid1(VALU_DEP_2)
	v_add_f32_e32 v31, 1.0, v28
	v_add_f32_e32 v29, v25, v29
	s_delay_alu instid0(VALU_DEP_2) | instskip(NEXT) | instid1(VALU_DEP_2)
	v_sub_f32_e32 v27, v27, v31
	v_add_f32_e32 v31, v30, v29
	s_delay_alu instid0(VALU_DEP_2) | instskip(NEXT) | instid1(VALU_DEP_2)
	v_add_f32_e32 v25, v25, v27
	v_rcp_f32_e32 v27, v31
	v_sub_f32_e32 v30, v30, v31
	s_delay_alu instid0(VALU_DEP_1) | instskip(NEXT) | instid1(VALU_DEP_1)
	v_dual_add_f32 v32, v28, v25 :: v_dual_add_f32 v29, v29, v30
	v_sub_f32_e32 v28, v28, v32
	s_waitcnt_depctr 0xfff
	v_mul_f32_e32 v33, v32, v27
	s_delay_alu instid0(VALU_DEP_1) | instskip(NEXT) | instid1(VALU_DEP_1)
	v_dual_add_f32 v25, v25, v28 :: v_dual_mul_f32 v34, v31, v33
	v_fma_f32 v30, v33, v31, -v34
	s_delay_alu instid0(VALU_DEP_1) | instskip(NEXT) | instid1(VALU_DEP_1)
	v_fmac_f32_e32 v30, v33, v29
	v_add_f32_e32 v35, v34, v30
	s_delay_alu instid0(VALU_DEP_1) | instskip(SKIP_1) | instid1(VALU_DEP_2)
	v_sub_f32_e32 v36, v32, v35
	v_sub_f32_e32 v28, v35, v34
	;; [unrolled: 1-line block ×3, first 2 shown]
	s_delay_alu instid0(VALU_DEP_2) | instskip(NEXT) | instid1(VALU_DEP_2)
	v_sub_f32_e32 v28, v28, v30
	v_sub_f32_e32 v32, v32, v35
	s_delay_alu instid0(VALU_DEP_1) | instskip(NEXT) | instid1(VALU_DEP_1)
	v_add_f32_e32 v25, v25, v32
	v_add_f32_e32 v25, v28, v25
	s_delay_alu instid0(VALU_DEP_1) | instskip(NEXT) | instid1(VALU_DEP_1)
	v_add_f32_e32 v28, v36, v25
	v_mul_f32_e32 v30, v27, v28
	s_delay_alu instid0(VALU_DEP_1) | instskip(NEXT) | instid1(VALU_DEP_1)
	v_dual_sub_f32 v35, v36, v28 :: v_dual_mul_f32 v32, v31, v30
	v_add_f32_e32 v25, v25, v35
	s_delay_alu instid0(VALU_DEP_2) | instskip(NEXT) | instid1(VALU_DEP_1)
	v_fma_f32 v31, v30, v31, -v32
	v_fmac_f32_e32 v31, v30, v29
	s_delay_alu instid0(VALU_DEP_1) | instskip(NEXT) | instid1(VALU_DEP_1)
	v_add_f32_e32 v29, v32, v31
	v_sub_f32_e32 v34, v28, v29
	v_sub_f32_e32 v32, v29, v32
	s_delay_alu instid0(VALU_DEP_2) | instskip(NEXT) | instid1(VALU_DEP_1)
	v_sub_f32_e32 v28, v28, v34
	v_sub_f32_e32 v28, v28, v29
	s_delay_alu instid0(VALU_DEP_3) | instskip(NEXT) | instid1(VALU_DEP_2)
	v_sub_f32_e32 v29, v32, v31
	v_add_f32_e32 v25, v25, v28
	v_add_f32_e32 v28, v33, v30
	s_delay_alu instid0(VALU_DEP_2) | instskip(NEXT) | instid1(VALU_DEP_2)
	v_add_f32_e32 v25, v29, v25
	v_sub_f32_e32 v29, v28, v33
	s_delay_alu instid0(VALU_DEP_2) | instskip(NEXT) | instid1(VALU_DEP_2)
	v_add_f32_e32 v25, v34, v25
	v_sub_f32_e32 v29, v30, v29
	s_delay_alu instid0(VALU_DEP_2) | instskip(NEXT) | instid1(VALU_DEP_1)
	v_mul_f32_e32 v25, v27, v25
	v_add_f32_e32 v25, v29, v25
	s_delay_alu instid0(VALU_DEP_1) | instskip(NEXT) | instid1(VALU_DEP_1)
	v_add_f32_e32 v27, v28, v25
	v_mul_f32_e32 v29, v27, v27
	s_delay_alu instid0(VALU_DEP_1) | instskip(SKIP_2) | instid1(VALU_DEP_3)
	v_fmaak_f32 v30, s0, v29, 0x3ecc95a3
	v_mul_f32_e32 v31, v27, v29
	v_cmp_eq_f32_e64 s0, 0x7f800000, v26
	v_fmaak_f32 v29, v29, v30, 0x3f2aaada
	v_ldexp_f32 v30, v27, 1
	v_sub_f32_e32 v27, v27, v28
	s_delay_alu instid0(VALU_DEP_4) | instskip(NEXT) | instid1(VALU_DEP_3)
	s_or_b32 s0, s0, s23
	v_mul_f32_e32 v29, v31, v29
	v_mul_f32_e32 v31, 0x3f317218, v24
	s_delay_alu instid0(VALU_DEP_2) | instskip(NEXT) | instid1(VALU_DEP_1)
	v_dual_sub_f32 v25, v25, v27 :: v_dual_add_f32 v28, v30, v29
	v_ldexp_f32 v25, v25, 1
	s_delay_alu instid0(VALU_DEP_2) | instskip(NEXT) | instid1(VALU_DEP_4)
	v_sub_f32_e32 v27, v28, v30
	v_fma_f32 v30, 0x3f317218, v24, -v31
	s_delay_alu instid0(VALU_DEP_1) | instskip(NEXT) | instid1(VALU_DEP_1)
	v_dual_sub_f32 v27, v29, v27 :: v_dual_fmamk_f32 v24, v24, 0xb102e308, v30
	v_add_f32_e32 v25, v25, v27
	s_delay_alu instid0(VALU_DEP_2) | instskip(NEXT) | instid1(VALU_DEP_2)
	v_add_f32_e32 v27, v31, v24
	v_add_f32_e32 v29, v28, v25
	s_delay_alu instid0(VALU_DEP_2) | instskip(NEXT) | instid1(VALU_DEP_2)
	v_sub_f32_e32 v31, v27, v31
	v_add_f32_e32 v30, v27, v29
	v_sub_f32_e32 v28, v29, v28
	s_delay_alu instid0(VALU_DEP_3) | instskip(NEXT) | instid1(VALU_DEP_2)
	v_sub_f32_e32 v24, v24, v31
	v_dual_sub_f32 v32, v30, v27 :: v_dual_sub_f32 v25, v25, v28
	s_delay_alu instid0(VALU_DEP_1) | instskip(NEXT) | instid1(VALU_DEP_2)
	v_sub_f32_e32 v33, v30, v32
	v_dual_sub_f32 v28, v29, v32 :: v_dual_add_f32 v29, v24, v25
	s_delay_alu instid0(VALU_DEP_2) | instskip(NEXT) | instid1(VALU_DEP_1)
	v_sub_f32_e32 v27, v27, v33
	v_dual_add_f32 v27, v28, v27 :: v_dual_sub_f32 v28, v29, v24
	s_delay_alu instid0(VALU_DEP_1) | instskip(NEXT) | instid1(VALU_DEP_2)
	v_add_f32_e32 v27, v29, v27
	v_sub_f32_e32 v29, v29, v28
	v_sub_f32_e32 v25, v25, v28
	s_delay_alu instid0(VALU_DEP_2) | instskip(NEXT) | instid1(VALU_DEP_1)
	v_dual_add_f32 v31, v30, v27 :: v_dual_sub_f32 v24, v24, v29
	v_sub_f32_e32 v28, v31, v30
	s_delay_alu instid0(VALU_DEP_2) | instskip(NEXT) | instid1(VALU_DEP_2)
	v_add_f32_e32 v24, v25, v24
	v_sub_f32_e32 v25, v27, v28
	s_delay_alu instid0(VALU_DEP_1) | instskip(NEXT) | instid1(VALU_DEP_1)
	v_add_f32_e32 v24, v24, v25
	v_add_f32_e32 v24, v31, v24
	s_delay_alu instid0(VALU_DEP_1) | instskip(NEXT) | instid1(VALU_DEP_1)
	v_cndmask_b32_e64 v24, v24, v26, s0
	v_add_f32_e32 v24, v23, v24
.LBB531_162:
	s_or_b32 exec_lo, exec_lo, s1
	s_delay_alu instid0(VALU_DEP_1) | instskip(SKIP_1) | instid1(VALU_DEP_2)
	v_bfe_u32 v23, v24, 16, 1
	v_cmp_o_f32_e64 s0, v24, v24
	v_add3_u32 v23, v24, v23, 0x7fff
	s_delay_alu instid0(VALU_DEP_1) | instskip(NEXT) | instid1(VALU_DEP_1)
	v_lshrrev_b32_e32 v23, 16, v23
	v_cndmask_b32_e64 v23, 0x7fc0, v23, s0
	s_delay_alu instid0(VALU_DEP_1) | instskip(NEXT) | instid1(VALU_DEP_1)
	v_lshlrev_b32_e32 v25, 16, v23
	v_max_f32_e32 v24, v25, v25
	s_delay_alu instid0(VALU_DEP_1) | instskip(SKIP_2) | instid1(VALU_DEP_1)
	v_min_f32_e32 v26, v24, v45
	v_max_f32_e32 v24, v24, v45
	v_cmp_u_f32_e64 s0, v25, v25
	v_cndmask_b32_e64 v26, v26, v25, s0
	s_delay_alu instid0(VALU_DEP_3) | instskip(NEXT) | instid1(VALU_DEP_2)
	v_cndmask_b32_e64 v24, v24, v25, s0
	v_cndmask_b32_e64 v26, v26, v42, s44
	s_delay_alu instid0(VALU_DEP_2) | instskip(NEXT) | instid1(VALU_DEP_2)
	v_cndmask_b32_e64 v24, v24, v42, s44
	v_cmp_class_f32_e64 s1, v26, 0x1f8
	s_delay_alu instid0(VALU_DEP_2) | instskip(NEXT) | instid1(VALU_DEP_1)
	v_cmp_neq_f32_e64 s0, v26, v24
	s_or_b32 s0, s0, s1
	s_delay_alu instid0(SALU_CYCLE_1)
	s_and_saveexec_b32 s1, s0
	s_cbranch_execz .LBB531_164
; %bb.163:
	v_sub_f32_e32 v25, v26, v24
	s_delay_alu instid0(VALU_DEP_1) | instskip(SKIP_1) | instid1(VALU_DEP_2)
	v_mul_f32_e32 v26, 0x3fb8aa3b, v25
	v_cmp_ngt_f32_e64 s0, 0xc2ce8ed0, v25
	v_fma_f32 v27, 0x3fb8aa3b, v25, -v26
	v_rndne_f32_e32 v28, v26
	s_delay_alu instid0(VALU_DEP_1) | instskip(NEXT) | instid1(VALU_DEP_1)
	v_dual_fmamk_f32 v27, v25, 0x32a5705f, v27 :: v_dual_sub_f32 v26, v26, v28
	v_add_f32_e32 v26, v26, v27
	v_cvt_i32_f32_e32 v27, v28
	s_delay_alu instid0(VALU_DEP_2) | instskip(SKIP_2) | instid1(VALU_DEP_1)
	v_exp_f32_e32 v26, v26
	s_waitcnt_depctr 0xfff
	v_ldexp_f32 v26, v26, v27
	v_cndmask_b32_e64 v26, 0, v26, s0
	v_cmp_nlt_f32_e64 s0, 0x42b17218, v25
	s_delay_alu instid0(VALU_DEP_1) | instskip(NEXT) | instid1(VALU_DEP_1)
	v_cndmask_b32_e64 v27, 0x7f800000, v26, s0
	v_add_f32_e32 v28, 1.0, v27
	v_cmp_gt_f32_e64 s23, 0x33800000, |v27|
	s_delay_alu instid0(VALU_DEP_2) | instskip(NEXT) | instid1(VALU_DEP_1)
	v_cvt_f64_f32_e32 v[25:26], v28
	v_frexp_exp_i32_f64_e32 v25, v[25:26]
	v_frexp_mant_f32_e32 v26, v28
	s_delay_alu instid0(VALU_DEP_1) | instskip(SKIP_1) | instid1(VALU_DEP_1)
	v_cmp_gt_f32_e64 s0, 0x3f2aaaab, v26
	v_add_f32_e32 v26, -1.0, v28
	v_sub_f32_e32 v30, v26, v28
	v_sub_f32_e32 v26, v27, v26
	s_delay_alu instid0(VALU_DEP_4) | instskip(SKIP_1) | instid1(VALU_DEP_1)
	v_subrev_co_ci_u32_e64 v25, s0, 0, v25, s0
	s_mov_b32 s0, 0x3e9b6dac
	v_sub_nc_u32_e32 v29, 0, v25
	v_cvt_f32_i32_e32 v25, v25
	s_delay_alu instid0(VALU_DEP_2) | instskip(NEXT) | instid1(VALU_DEP_1)
	v_ldexp_f32 v28, v28, v29
	v_dual_add_f32 v31, 1.0, v28 :: v_dual_add_f32 v30, 1.0, v30
	s_delay_alu instid0(VALU_DEP_1) | instskip(NEXT) | instid1(VALU_DEP_2)
	v_add_f32_e32 v26, v26, v30
	v_add_f32_e32 v30, -1.0, v31
	s_delay_alu instid0(VALU_DEP_2) | instskip(NEXT) | instid1(VALU_DEP_2)
	v_ldexp_f32 v26, v26, v29
	v_dual_add_f32 v29, -1.0, v28 :: v_dual_sub_f32 v30, v28, v30
	s_delay_alu instid0(VALU_DEP_1) | instskip(NEXT) | instid1(VALU_DEP_2)
	v_add_f32_e32 v32, 1.0, v29
	v_add_f32_e32 v30, v26, v30
	s_delay_alu instid0(VALU_DEP_2) | instskip(NEXT) | instid1(VALU_DEP_2)
	v_sub_f32_e32 v28, v28, v32
	v_add_f32_e32 v32, v31, v30
	s_delay_alu instid0(VALU_DEP_2) | instskip(NEXT) | instid1(VALU_DEP_2)
	v_add_f32_e32 v26, v26, v28
	v_rcp_f32_e32 v28, v32
	v_sub_f32_e32 v31, v31, v32
	s_delay_alu instid0(VALU_DEP_1) | instskip(NEXT) | instid1(VALU_DEP_1)
	v_dual_add_f32 v33, v29, v26 :: v_dual_add_f32 v30, v30, v31
	v_sub_f32_e32 v29, v29, v33
	s_waitcnt_depctr 0xfff
	v_mul_f32_e32 v34, v33, v28
	s_delay_alu instid0(VALU_DEP_1) | instskip(NEXT) | instid1(VALU_DEP_1)
	v_dual_add_f32 v26, v26, v29 :: v_dual_mul_f32 v35, v32, v34
	v_fma_f32 v31, v34, v32, -v35
	s_delay_alu instid0(VALU_DEP_1) | instskip(NEXT) | instid1(VALU_DEP_1)
	v_fmac_f32_e32 v31, v34, v30
	v_add_f32_e32 v36, v35, v31
	s_delay_alu instid0(VALU_DEP_1) | instskip(SKIP_1) | instid1(VALU_DEP_2)
	v_sub_f32_e32 v37, v33, v36
	v_sub_f32_e32 v29, v36, v35
	;; [unrolled: 1-line block ×3, first 2 shown]
	s_delay_alu instid0(VALU_DEP_2) | instskip(NEXT) | instid1(VALU_DEP_2)
	v_sub_f32_e32 v29, v29, v31
	v_sub_f32_e32 v33, v33, v36
	s_delay_alu instid0(VALU_DEP_1) | instskip(NEXT) | instid1(VALU_DEP_1)
	v_add_f32_e32 v26, v26, v33
	v_add_f32_e32 v26, v29, v26
	s_delay_alu instid0(VALU_DEP_1) | instskip(NEXT) | instid1(VALU_DEP_1)
	v_add_f32_e32 v29, v37, v26
	v_mul_f32_e32 v31, v28, v29
	s_delay_alu instid0(VALU_DEP_1) | instskip(NEXT) | instid1(VALU_DEP_1)
	v_dual_sub_f32 v36, v37, v29 :: v_dual_mul_f32 v33, v32, v31
	v_add_f32_e32 v26, v26, v36
	s_delay_alu instid0(VALU_DEP_2) | instskip(NEXT) | instid1(VALU_DEP_1)
	v_fma_f32 v32, v31, v32, -v33
	v_fmac_f32_e32 v32, v31, v30
	s_delay_alu instid0(VALU_DEP_1) | instskip(NEXT) | instid1(VALU_DEP_1)
	v_add_f32_e32 v30, v33, v32
	v_sub_f32_e32 v35, v29, v30
	v_sub_f32_e32 v33, v30, v33
	s_delay_alu instid0(VALU_DEP_2) | instskip(NEXT) | instid1(VALU_DEP_1)
	v_sub_f32_e32 v29, v29, v35
	v_sub_f32_e32 v29, v29, v30
	s_delay_alu instid0(VALU_DEP_3) | instskip(NEXT) | instid1(VALU_DEP_2)
	v_sub_f32_e32 v30, v33, v32
	v_add_f32_e32 v26, v26, v29
	v_add_f32_e32 v29, v34, v31
	s_delay_alu instid0(VALU_DEP_2) | instskip(NEXT) | instid1(VALU_DEP_2)
	v_add_f32_e32 v26, v30, v26
	v_sub_f32_e32 v30, v29, v34
	s_delay_alu instid0(VALU_DEP_2) | instskip(NEXT) | instid1(VALU_DEP_2)
	v_add_f32_e32 v26, v35, v26
	v_sub_f32_e32 v30, v31, v30
	s_delay_alu instid0(VALU_DEP_2) | instskip(NEXT) | instid1(VALU_DEP_1)
	v_mul_f32_e32 v26, v28, v26
	v_add_f32_e32 v26, v30, v26
	s_delay_alu instid0(VALU_DEP_1) | instskip(NEXT) | instid1(VALU_DEP_1)
	v_add_f32_e32 v28, v29, v26
	v_mul_f32_e32 v30, v28, v28
	s_delay_alu instid0(VALU_DEP_1) | instskip(SKIP_2) | instid1(VALU_DEP_3)
	v_fmaak_f32 v31, s0, v30, 0x3ecc95a3
	v_mul_f32_e32 v32, v28, v30
	v_cmp_eq_f32_e64 s0, 0x7f800000, v27
	v_fmaak_f32 v30, v30, v31, 0x3f2aaada
	v_ldexp_f32 v31, v28, 1
	v_sub_f32_e32 v28, v28, v29
	s_delay_alu instid0(VALU_DEP_4) | instskip(NEXT) | instid1(VALU_DEP_3)
	s_or_b32 s0, s0, s23
	v_mul_f32_e32 v30, v32, v30
	v_mul_f32_e32 v32, 0x3f317218, v25
	s_delay_alu instid0(VALU_DEP_2) | instskip(NEXT) | instid1(VALU_DEP_1)
	v_dual_sub_f32 v26, v26, v28 :: v_dual_add_f32 v29, v31, v30
	v_ldexp_f32 v26, v26, 1
	s_delay_alu instid0(VALU_DEP_2) | instskip(NEXT) | instid1(VALU_DEP_4)
	v_sub_f32_e32 v28, v29, v31
	v_fma_f32 v31, 0x3f317218, v25, -v32
	s_delay_alu instid0(VALU_DEP_1) | instskip(NEXT) | instid1(VALU_DEP_1)
	v_dual_sub_f32 v28, v30, v28 :: v_dual_fmamk_f32 v25, v25, 0xb102e308, v31
	v_add_f32_e32 v26, v26, v28
	s_delay_alu instid0(VALU_DEP_2) | instskip(NEXT) | instid1(VALU_DEP_2)
	v_add_f32_e32 v28, v32, v25
	v_add_f32_e32 v30, v29, v26
	s_delay_alu instid0(VALU_DEP_2) | instskip(NEXT) | instid1(VALU_DEP_2)
	v_sub_f32_e32 v32, v28, v32
	v_add_f32_e32 v31, v28, v30
	v_sub_f32_e32 v29, v30, v29
	s_delay_alu instid0(VALU_DEP_3) | instskip(NEXT) | instid1(VALU_DEP_2)
	v_sub_f32_e32 v25, v25, v32
	v_dual_sub_f32 v33, v31, v28 :: v_dual_sub_f32 v26, v26, v29
	s_delay_alu instid0(VALU_DEP_1) | instskip(NEXT) | instid1(VALU_DEP_2)
	v_sub_f32_e32 v34, v31, v33
	v_dual_sub_f32 v29, v30, v33 :: v_dual_add_f32 v30, v25, v26
	s_delay_alu instid0(VALU_DEP_2) | instskip(NEXT) | instid1(VALU_DEP_1)
	v_sub_f32_e32 v28, v28, v34
	v_dual_add_f32 v28, v29, v28 :: v_dual_sub_f32 v29, v30, v25
	s_delay_alu instid0(VALU_DEP_1) | instskip(NEXT) | instid1(VALU_DEP_2)
	v_add_f32_e32 v28, v30, v28
	v_sub_f32_e32 v30, v30, v29
	v_sub_f32_e32 v26, v26, v29
	s_delay_alu instid0(VALU_DEP_2) | instskip(NEXT) | instid1(VALU_DEP_1)
	v_dual_add_f32 v32, v31, v28 :: v_dual_sub_f32 v25, v25, v30
	v_sub_f32_e32 v29, v32, v31
	s_delay_alu instid0(VALU_DEP_2) | instskip(NEXT) | instid1(VALU_DEP_2)
	v_add_f32_e32 v25, v26, v25
	v_sub_f32_e32 v26, v28, v29
	s_delay_alu instid0(VALU_DEP_1) | instskip(NEXT) | instid1(VALU_DEP_1)
	v_add_f32_e32 v25, v25, v26
	v_add_f32_e32 v25, v32, v25
	s_delay_alu instid0(VALU_DEP_1) | instskip(NEXT) | instid1(VALU_DEP_1)
	v_cndmask_b32_e64 v25, v25, v27, s0
	v_add_f32_e32 v25, v24, v25
.LBB531_164:
	s_or_b32 exec_lo, exec_lo, s1
	s_delay_alu instid0(VALU_DEP_1)
	v_bfe_u32 v24, v25, 16, 1
	v_perm_b32 v2, v13, v2, 0x5040100
	v_cmp_o_f32_e64 s0, v25, v25
	v_add_nc_u32_e32 v26, v12, v50
	v_perm_b32 v3, v3, v14, 0x5040100
	v_add3_u32 v24, v25, v24, 0x7fff
	v_perm_b32 v11, v11, v16, 0x5040100
	v_perm_b32 v10, v10, v15, 0x5040100
	;; [unrolled: 1-line block ×4, first 2 shown]
	v_lshrrev_b32_e32 v13, 16, v24
	v_perm_b32 v7, v7, v20, 0x5040100
	v_perm_b32 v6, v6, v19, 0x5040100
	v_perm_b32 v5, v5, v22, 0x5040100
	v_perm_b32 v4, v4, v21, 0x5040100
	v_cndmask_b32_e64 v13, 0x7fc0, v13, s0
	s_waitcnt lgkmcnt(0)
	s_barrier
	buffer_gl0_inv
	v_lshlrev_b64 v[0:1], 1, v[0:1]
	v_perm_b32 v13, v13, v23, 0x5040100
	ds_store_2addr_b32 v26, v2, v3 offset1:1
	ds_store_2addr_b32 v26, v10, v11 offset0:2 offset1:3
	ds_store_2addr_b32 v26, v8, v9 offset0:4 offset1:5
	;; [unrolled: 1-line block ×4, first 2 shown]
	ds_store_b32 v26, v13 offset:40
	s_waitcnt lgkmcnt(0)
	s_barrier
	buffer_gl0_inv
	ds_load_u16 v23, v12 offset:128
	ds_load_u16 v22, v12 offset:256
	;; [unrolled: 1-line block ×21, first 2 shown]
	v_add_co_u32 v0, s0, s46, v0
	s_delay_alu instid0(VALU_DEP_1)
	v_add_co_ci_u32_e64 v1, s0, s47, v1, s0
	s_and_saveexec_b32 s0, vcc_lo
	s_cbranch_execnz .LBB531_187
; %bb.165:
	s_or_b32 exec_lo, exec_lo, s0
	s_and_saveexec_b32 s0, s2
	s_cbranch_execnz .LBB531_188
.LBB531_166:
	s_or_b32 exec_lo, exec_lo, s0
	s_and_saveexec_b32 s0, s3
	s_cbranch_execnz .LBB531_189
.LBB531_167:
	s_or_b32 exec_lo, exec_lo, s0
	s_and_saveexec_b32 s0, s4
	s_cbranch_execnz .LBB531_190
.LBB531_168:
	s_or_b32 exec_lo, exec_lo, s0
	s_and_saveexec_b32 s0, s5
	s_cbranch_execnz .LBB531_191
.LBB531_169:
	s_or_b32 exec_lo, exec_lo, s0
	s_and_saveexec_b32 s0, s6
	s_cbranch_execnz .LBB531_192
.LBB531_170:
	s_or_b32 exec_lo, exec_lo, s0
	s_and_saveexec_b32 s0, s7
	s_cbranch_execnz .LBB531_193
.LBB531_171:
	s_or_b32 exec_lo, exec_lo, s0
	s_and_saveexec_b32 s0, s8
	s_cbranch_execnz .LBB531_194
.LBB531_172:
	s_or_b32 exec_lo, exec_lo, s0
	s_and_saveexec_b32 s0, s9
	s_cbranch_execnz .LBB531_195
.LBB531_173:
	s_or_b32 exec_lo, exec_lo, s0
	s_and_saveexec_b32 s0, s10
	s_cbranch_execnz .LBB531_196
.LBB531_174:
	s_or_b32 exec_lo, exec_lo, s0
	s_and_saveexec_b32 s0, s11
	s_cbranch_execnz .LBB531_197
.LBB531_175:
	s_or_b32 exec_lo, exec_lo, s0
	s_and_saveexec_b32 s0, s12
	s_cbranch_execnz .LBB531_198
.LBB531_176:
	s_or_b32 exec_lo, exec_lo, s0
	s_and_saveexec_b32 s0, s13
	s_cbranch_execnz .LBB531_199
.LBB531_177:
	s_or_b32 exec_lo, exec_lo, s0
	s_and_saveexec_b32 s0, s14
	s_cbranch_execnz .LBB531_200
.LBB531_178:
	s_or_b32 exec_lo, exec_lo, s0
	s_and_saveexec_b32 s0, s15
	s_cbranch_execnz .LBB531_201
.LBB531_179:
	s_or_b32 exec_lo, exec_lo, s0
	s_and_saveexec_b32 s0, s16
	s_cbranch_execnz .LBB531_202
.LBB531_180:
	s_or_b32 exec_lo, exec_lo, s0
	s_and_saveexec_b32 s0, s17
	s_cbranch_execnz .LBB531_203
.LBB531_181:
	s_or_b32 exec_lo, exec_lo, s0
	s_and_saveexec_b32 s0, s18
	s_cbranch_execnz .LBB531_204
.LBB531_182:
	s_or_b32 exec_lo, exec_lo, s0
	s_and_saveexec_b32 s0, s19
	s_cbranch_execnz .LBB531_205
.LBB531_183:
	s_or_b32 exec_lo, exec_lo, s0
	s_and_saveexec_b32 s0, s20
	s_cbranch_execnz .LBB531_206
.LBB531_184:
	s_or_b32 exec_lo, exec_lo, s0
	s_and_saveexec_b32 s0, s21
	s_cbranch_execnz .LBB531_207
.LBB531_185:
	s_or_b32 exec_lo, exec_lo, s0
	s_and_saveexec_b32 s0, s22
	s_cbranch_execnz .LBB531_208
.LBB531_186:
	s_nop 0
	s_sendmsg sendmsg(MSG_DEALLOC_VGPRS)
	s_endpgm
.LBB531_187:
	ds_load_u16 v12, v12
	s_waitcnt lgkmcnt(0)
	global_store_b16 v[0:1], v12, off
	s_or_b32 exec_lo, exec_lo, s0
	s_and_saveexec_b32 s0, s2
	s_cbranch_execz .LBB531_166
.LBB531_188:
	s_waitcnt lgkmcnt(20)
	global_store_b16 v[0:1], v23, off offset:128
	s_or_b32 exec_lo, exec_lo, s0
	s_and_saveexec_b32 s0, s3
	s_cbranch_execz .LBB531_167
.LBB531_189:
	s_waitcnt lgkmcnt(19)
	global_store_b16 v[0:1], v22, off offset:256
	s_or_b32 exec_lo, exec_lo, s0
	s_and_saveexec_b32 s0, s4
	s_cbranch_execz .LBB531_168
.LBB531_190:
	s_waitcnt lgkmcnt(18)
	global_store_b16 v[0:1], v21, off offset:384
	s_or_b32 exec_lo, exec_lo, s0
	s_and_saveexec_b32 s0, s5
	s_cbranch_execz .LBB531_169
.LBB531_191:
	s_waitcnt lgkmcnt(17)
	global_store_b16 v[0:1], v20, off offset:512
	s_or_b32 exec_lo, exec_lo, s0
	s_and_saveexec_b32 s0, s6
	s_cbranch_execz .LBB531_170
.LBB531_192:
	s_waitcnt lgkmcnt(16)
	global_store_b16 v[0:1], v19, off offset:640
	s_or_b32 exec_lo, exec_lo, s0
	s_and_saveexec_b32 s0, s7
	s_cbranch_execz .LBB531_171
.LBB531_193:
	s_waitcnt lgkmcnt(15)
	global_store_b16 v[0:1], v18, off offset:768
	s_or_b32 exec_lo, exec_lo, s0
	s_and_saveexec_b32 s0, s8
	s_cbranch_execz .LBB531_172
.LBB531_194:
	s_waitcnt lgkmcnt(14)
	global_store_b16 v[0:1], v17, off offset:896
	s_or_b32 exec_lo, exec_lo, s0
	s_and_saveexec_b32 s0, s9
	s_cbranch_execz .LBB531_173
.LBB531_195:
	s_waitcnt lgkmcnt(13)
	global_store_b16 v[0:1], v16, off offset:1024
	s_or_b32 exec_lo, exec_lo, s0
	s_and_saveexec_b32 s0, s10
	s_cbranch_execz .LBB531_174
.LBB531_196:
	s_waitcnt lgkmcnt(12)
	global_store_b16 v[0:1], v15, off offset:1152
	s_or_b32 exec_lo, exec_lo, s0
	s_and_saveexec_b32 s0, s11
	s_cbranch_execz .LBB531_175
.LBB531_197:
	s_waitcnt lgkmcnt(11)
	global_store_b16 v[0:1], v14, off offset:1280
	s_or_b32 exec_lo, exec_lo, s0
	s_and_saveexec_b32 s0, s12
	s_cbranch_execz .LBB531_176
.LBB531_198:
	s_waitcnt lgkmcnt(10)
	global_store_b16 v[0:1], v13, off offset:1408
	s_or_b32 exec_lo, exec_lo, s0
	s_and_saveexec_b32 s0, s13
	s_cbranch_execz .LBB531_177
.LBB531_199:
	s_waitcnt lgkmcnt(9)
	global_store_b16 v[0:1], v11, off offset:1536
	s_or_b32 exec_lo, exec_lo, s0
	s_and_saveexec_b32 s0, s14
	s_cbranch_execz .LBB531_178
.LBB531_200:
	s_waitcnt lgkmcnt(8)
	global_store_b16 v[0:1], v10, off offset:1664
	s_or_b32 exec_lo, exec_lo, s0
	s_and_saveexec_b32 s0, s15
	s_cbranch_execz .LBB531_179
.LBB531_201:
	s_waitcnt lgkmcnt(7)
	global_store_b16 v[0:1], v9, off offset:1792
	s_or_b32 exec_lo, exec_lo, s0
	s_and_saveexec_b32 s0, s16
	s_cbranch_execz .LBB531_180
.LBB531_202:
	s_waitcnt lgkmcnt(6)
	global_store_b16 v[0:1], v8, off offset:1920
	s_or_b32 exec_lo, exec_lo, s0
	s_and_saveexec_b32 s0, s17
	s_cbranch_execz .LBB531_181
.LBB531_203:
	s_waitcnt lgkmcnt(5)
	global_store_b16 v[0:1], v7, off offset:2048
	s_or_b32 exec_lo, exec_lo, s0
	s_and_saveexec_b32 s0, s18
	s_cbranch_execz .LBB531_182
.LBB531_204:
	s_waitcnt lgkmcnt(4)
	global_store_b16 v[0:1], v6, off offset:2176
	s_or_b32 exec_lo, exec_lo, s0
	s_and_saveexec_b32 s0, s19
	s_cbranch_execz .LBB531_183
.LBB531_205:
	s_waitcnt lgkmcnt(3)
	global_store_b16 v[0:1], v5, off offset:2304
	s_or_b32 exec_lo, exec_lo, s0
	s_and_saveexec_b32 s0, s20
	s_cbranch_execz .LBB531_184
.LBB531_206:
	s_waitcnt lgkmcnt(2)
	global_store_b16 v[0:1], v4, off offset:2432
	s_or_b32 exec_lo, exec_lo, s0
	s_and_saveexec_b32 s0, s21
	s_cbranch_execz .LBB531_185
.LBB531_207:
	s_waitcnt lgkmcnt(1)
	global_store_b16 v[0:1], v3, off offset:2560
	s_or_b32 exec_lo, exec_lo, s0
	s_and_saveexec_b32 s0, s22
	s_cbranch_execz .LBB531_186
.LBB531_208:
	s_waitcnt lgkmcnt(0)
	global_store_b16 v[0:1], v2, off offset:2688
	s_nop 0
	s_sendmsg sendmsg(MSG_DEALLOC_VGPRS)
	s_endpgm
	.section	.rodata,"a",@progbits
	.p2align	6, 0x0
	.amdhsa_kernel _ZN7rocprim17ROCPRIM_400000_NS6detail17trampoline_kernelINS0_14default_configENS1_20scan_config_selectorIN3c108BFloat16EEEZZNS1_9scan_implILNS1_25lookback_scan_determinismE0ELb0ELb0ES3_PKS6_PS6_S6_ZZZN2at6native31launch_logcumsumexp_cuda_kernelERKNSD_10TensorBaseESH_lENKUlvE_clEvENKUlvE4_clEvEUlS6_S6_E_S6_EEDaPvRmT3_T4_T5_mT6_P12ihipStream_tbENKUlT_T0_E_clISt17integral_constantIbLb0EESX_IbLb1EEEEDaST_SU_EUlST_E0_NS1_11comp_targetILNS1_3genE9ELNS1_11target_archE1100ELNS1_3gpuE3ELNS1_3repE0EEENS1_30default_config_static_selectorELNS0_4arch9wavefront6targetE0EEEvT1_
		.amdhsa_group_segment_fixed_size 2816
		.amdhsa_private_segment_fixed_size 0
		.amdhsa_kernarg_size 32
		.amdhsa_user_sgpr_count 15
		.amdhsa_user_sgpr_dispatch_ptr 0
		.amdhsa_user_sgpr_queue_ptr 0
		.amdhsa_user_sgpr_kernarg_segment_ptr 1
		.amdhsa_user_sgpr_dispatch_id 0
		.amdhsa_user_sgpr_private_segment_size 0
		.amdhsa_wavefront_size32 1
		.amdhsa_uses_dynamic_stack 0
		.amdhsa_enable_private_segment 0
		.amdhsa_system_sgpr_workgroup_id_x 1
		.amdhsa_system_sgpr_workgroup_id_y 0
		.amdhsa_system_sgpr_workgroup_id_z 0
		.amdhsa_system_sgpr_workgroup_info 0
		.amdhsa_system_vgpr_workitem_id 0
		.amdhsa_next_free_vgpr 70
		.amdhsa_next_free_sgpr 52
		.amdhsa_reserve_vcc 1
		.amdhsa_float_round_mode_32 0
		.amdhsa_float_round_mode_16_64 0
		.amdhsa_float_denorm_mode_32 3
		.amdhsa_float_denorm_mode_16_64 3
		.amdhsa_dx10_clamp 1
		.amdhsa_ieee_mode 1
		.amdhsa_fp16_overflow 0
		.amdhsa_workgroup_processor_mode 1
		.amdhsa_memory_ordered 1
		.amdhsa_forward_progress 0
		.amdhsa_shared_vgpr_count 0
		.amdhsa_exception_fp_ieee_invalid_op 0
		.amdhsa_exception_fp_denorm_src 0
		.amdhsa_exception_fp_ieee_div_zero 0
		.amdhsa_exception_fp_ieee_overflow 0
		.amdhsa_exception_fp_ieee_underflow 0
		.amdhsa_exception_fp_ieee_inexact 0
		.amdhsa_exception_int_div_zero 0
	.end_amdhsa_kernel
	.section	.text._ZN7rocprim17ROCPRIM_400000_NS6detail17trampoline_kernelINS0_14default_configENS1_20scan_config_selectorIN3c108BFloat16EEEZZNS1_9scan_implILNS1_25lookback_scan_determinismE0ELb0ELb0ES3_PKS6_PS6_S6_ZZZN2at6native31launch_logcumsumexp_cuda_kernelERKNSD_10TensorBaseESH_lENKUlvE_clEvENKUlvE4_clEvEUlS6_S6_E_S6_EEDaPvRmT3_T4_T5_mT6_P12ihipStream_tbENKUlT_T0_E_clISt17integral_constantIbLb0EESX_IbLb1EEEEDaST_SU_EUlST_E0_NS1_11comp_targetILNS1_3genE9ELNS1_11target_archE1100ELNS1_3gpuE3ELNS1_3repE0EEENS1_30default_config_static_selectorELNS0_4arch9wavefront6targetE0EEEvT1_,"axG",@progbits,_ZN7rocprim17ROCPRIM_400000_NS6detail17trampoline_kernelINS0_14default_configENS1_20scan_config_selectorIN3c108BFloat16EEEZZNS1_9scan_implILNS1_25lookback_scan_determinismE0ELb0ELb0ES3_PKS6_PS6_S6_ZZZN2at6native31launch_logcumsumexp_cuda_kernelERKNSD_10TensorBaseESH_lENKUlvE_clEvENKUlvE4_clEvEUlS6_S6_E_S6_EEDaPvRmT3_T4_T5_mT6_P12ihipStream_tbENKUlT_T0_E_clISt17integral_constantIbLb0EESX_IbLb1EEEEDaST_SU_EUlST_E0_NS1_11comp_targetILNS1_3genE9ELNS1_11target_archE1100ELNS1_3gpuE3ELNS1_3repE0EEENS1_30default_config_static_selectorELNS0_4arch9wavefront6targetE0EEEvT1_,comdat
.Lfunc_end531:
	.size	_ZN7rocprim17ROCPRIM_400000_NS6detail17trampoline_kernelINS0_14default_configENS1_20scan_config_selectorIN3c108BFloat16EEEZZNS1_9scan_implILNS1_25lookback_scan_determinismE0ELb0ELb0ES3_PKS6_PS6_S6_ZZZN2at6native31launch_logcumsumexp_cuda_kernelERKNSD_10TensorBaseESH_lENKUlvE_clEvENKUlvE4_clEvEUlS6_S6_E_S6_EEDaPvRmT3_T4_T5_mT6_P12ihipStream_tbENKUlT_T0_E_clISt17integral_constantIbLb0EESX_IbLb1EEEEDaST_SU_EUlST_E0_NS1_11comp_targetILNS1_3genE9ELNS1_11target_archE1100ELNS1_3gpuE3ELNS1_3repE0EEENS1_30default_config_static_selectorELNS0_4arch9wavefront6targetE0EEEvT1_, .Lfunc_end531-_ZN7rocprim17ROCPRIM_400000_NS6detail17trampoline_kernelINS0_14default_configENS1_20scan_config_selectorIN3c108BFloat16EEEZZNS1_9scan_implILNS1_25lookback_scan_determinismE0ELb0ELb0ES3_PKS6_PS6_S6_ZZZN2at6native31launch_logcumsumexp_cuda_kernelERKNSD_10TensorBaseESH_lENKUlvE_clEvENKUlvE4_clEvEUlS6_S6_E_S6_EEDaPvRmT3_T4_T5_mT6_P12ihipStream_tbENKUlT_T0_E_clISt17integral_constantIbLb0EESX_IbLb1EEEEDaST_SU_EUlST_E0_NS1_11comp_targetILNS1_3genE9ELNS1_11target_archE1100ELNS1_3gpuE3ELNS1_3repE0EEENS1_30default_config_static_selectorELNS0_4arch9wavefront6targetE0EEEvT1_
                                        ; -- End function
	.section	.AMDGPU.csdata,"",@progbits
; Kernel info:
; codeLenInByte = 53412
; NumSgprs: 54
; NumVgprs: 70
; ScratchSize: 0
; MemoryBound: 0
; FloatMode: 240
; IeeeMode: 1
; LDSByteSize: 2816 bytes/workgroup (compile time only)
; SGPRBlocks: 6
; VGPRBlocks: 8
; NumSGPRsForWavesPerEU: 54
; NumVGPRsForWavesPerEU: 70
; Occupancy: 16
; WaveLimiterHint : 0
; COMPUTE_PGM_RSRC2:SCRATCH_EN: 0
; COMPUTE_PGM_RSRC2:USER_SGPR: 15
; COMPUTE_PGM_RSRC2:TRAP_HANDLER: 0
; COMPUTE_PGM_RSRC2:TGID_X_EN: 1
; COMPUTE_PGM_RSRC2:TGID_Y_EN: 0
; COMPUTE_PGM_RSRC2:TGID_Z_EN: 0
; COMPUTE_PGM_RSRC2:TIDIG_COMP_CNT: 0
	.section	.text._ZN7rocprim17ROCPRIM_400000_NS6detail17trampoline_kernelINS0_14default_configENS1_20scan_config_selectorIN3c108BFloat16EEEZZNS1_9scan_implILNS1_25lookback_scan_determinismE0ELb0ELb0ES3_PKS6_PS6_S6_ZZZN2at6native31launch_logcumsumexp_cuda_kernelERKNSD_10TensorBaseESH_lENKUlvE_clEvENKUlvE4_clEvEUlS6_S6_E_S6_EEDaPvRmT3_T4_T5_mT6_P12ihipStream_tbENKUlT_T0_E_clISt17integral_constantIbLb0EESX_IbLb1EEEEDaST_SU_EUlST_E0_NS1_11comp_targetILNS1_3genE8ELNS1_11target_archE1030ELNS1_3gpuE2ELNS1_3repE0EEENS1_30default_config_static_selectorELNS0_4arch9wavefront6targetE0EEEvT1_,"axG",@progbits,_ZN7rocprim17ROCPRIM_400000_NS6detail17trampoline_kernelINS0_14default_configENS1_20scan_config_selectorIN3c108BFloat16EEEZZNS1_9scan_implILNS1_25lookback_scan_determinismE0ELb0ELb0ES3_PKS6_PS6_S6_ZZZN2at6native31launch_logcumsumexp_cuda_kernelERKNSD_10TensorBaseESH_lENKUlvE_clEvENKUlvE4_clEvEUlS6_S6_E_S6_EEDaPvRmT3_T4_T5_mT6_P12ihipStream_tbENKUlT_T0_E_clISt17integral_constantIbLb0EESX_IbLb1EEEEDaST_SU_EUlST_E0_NS1_11comp_targetILNS1_3genE8ELNS1_11target_archE1030ELNS1_3gpuE2ELNS1_3repE0EEENS1_30default_config_static_selectorELNS0_4arch9wavefront6targetE0EEEvT1_,comdat
	.globl	_ZN7rocprim17ROCPRIM_400000_NS6detail17trampoline_kernelINS0_14default_configENS1_20scan_config_selectorIN3c108BFloat16EEEZZNS1_9scan_implILNS1_25lookback_scan_determinismE0ELb0ELb0ES3_PKS6_PS6_S6_ZZZN2at6native31launch_logcumsumexp_cuda_kernelERKNSD_10TensorBaseESH_lENKUlvE_clEvENKUlvE4_clEvEUlS6_S6_E_S6_EEDaPvRmT3_T4_T5_mT6_P12ihipStream_tbENKUlT_T0_E_clISt17integral_constantIbLb0EESX_IbLb1EEEEDaST_SU_EUlST_E0_NS1_11comp_targetILNS1_3genE8ELNS1_11target_archE1030ELNS1_3gpuE2ELNS1_3repE0EEENS1_30default_config_static_selectorELNS0_4arch9wavefront6targetE0EEEvT1_ ; -- Begin function _ZN7rocprim17ROCPRIM_400000_NS6detail17trampoline_kernelINS0_14default_configENS1_20scan_config_selectorIN3c108BFloat16EEEZZNS1_9scan_implILNS1_25lookback_scan_determinismE0ELb0ELb0ES3_PKS6_PS6_S6_ZZZN2at6native31launch_logcumsumexp_cuda_kernelERKNSD_10TensorBaseESH_lENKUlvE_clEvENKUlvE4_clEvEUlS6_S6_E_S6_EEDaPvRmT3_T4_T5_mT6_P12ihipStream_tbENKUlT_T0_E_clISt17integral_constantIbLb0EESX_IbLb1EEEEDaST_SU_EUlST_E0_NS1_11comp_targetILNS1_3genE8ELNS1_11target_archE1030ELNS1_3gpuE2ELNS1_3repE0EEENS1_30default_config_static_selectorELNS0_4arch9wavefront6targetE0EEEvT1_
	.p2align	8
	.type	_ZN7rocprim17ROCPRIM_400000_NS6detail17trampoline_kernelINS0_14default_configENS1_20scan_config_selectorIN3c108BFloat16EEEZZNS1_9scan_implILNS1_25lookback_scan_determinismE0ELb0ELb0ES3_PKS6_PS6_S6_ZZZN2at6native31launch_logcumsumexp_cuda_kernelERKNSD_10TensorBaseESH_lENKUlvE_clEvENKUlvE4_clEvEUlS6_S6_E_S6_EEDaPvRmT3_T4_T5_mT6_P12ihipStream_tbENKUlT_T0_E_clISt17integral_constantIbLb0EESX_IbLb1EEEEDaST_SU_EUlST_E0_NS1_11comp_targetILNS1_3genE8ELNS1_11target_archE1030ELNS1_3gpuE2ELNS1_3repE0EEENS1_30default_config_static_selectorELNS0_4arch9wavefront6targetE0EEEvT1_,@function
_ZN7rocprim17ROCPRIM_400000_NS6detail17trampoline_kernelINS0_14default_configENS1_20scan_config_selectorIN3c108BFloat16EEEZZNS1_9scan_implILNS1_25lookback_scan_determinismE0ELb0ELb0ES3_PKS6_PS6_S6_ZZZN2at6native31launch_logcumsumexp_cuda_kernelERKNSD_10TensorBaseESH_lENKUlvE_clEvENKUlvE4_clEvEUlS6_S6_E_S6_EEDaPvRmT3_T4_T5_mT6_P12ihipStream_tbENKUlT_T0_E_clISt17integral_constantIbLb0EESX_IbLb1EEEEDaST_SU_EUlST_E0_NS1_11comp_targetILNS1_3genE8ELNS1_11target_archE1030ELNS1_3gpuE2ELNS1_3repE0EEENS1_30default_config_static_selectorELNS0_4arch9wavefront6targetE0EEEvT1_: ; @_ZN7rocprim17ROCPRIM_400000_NS6detail17trampoline_kernelINS0_14default_configENS1_20scan_config_selectorIN3c108BFloat16EEEZZNS1_9scan_implILNS1_25lookback_scan_determinismE0ELb0ELb0ES3_PKS6_PS6_S6_ZZZN2at6native31launch_logcumsumexp_cuda_kernelERKNSD_10TensorBaseESH_lENKUlvE_clEvENKUlvE4_clEvEUlS6_S6_E_S6_EEDaPvRmT3_T4_T5_mT6_P12ihipStream_tbENKUlT_T0_E_clISt17integral_constantIbLb0EESX_IbLb1EEEEDaST_SU_EUlST_E0_NS1_11comp_targetILNS1_3genE8ELNS1_11target_archE1030ELNS1_3gpuE2ELNS1_3repE0EEENS1_30default_config_static_selectorELNS0_4arch9wavefront6targetE0EEEvT1_
; %bb.0:
	.section	.rodata,"a",@progbits
	.p2align	6, 0x0
	.amdhsa_kernel _ZN7rocprim17ROCPRIM_400000_NS6detail17trampoline_kernelINS0_14default_configENS1_20scan_config_selectorIN3c108BFloat16EEEZZNS1_9scan_implILNS1_25lookback_scan_determinismE0ELb0ELb0ES3_PKS6_PS6_S6_ZZZN2at6native31launch_logcumsumexp_cuda_kernelERKNSD_10TensorBaseESH_lENKUlvE_clEvENKUlvE4_clEvEUlS6_S6_E_S6_EEDaPvRmT3_T4_T5_mT6_P12ihipStream_tbENKUlT_T0_E_clISt17integral_constantIbLb0EESX_IbLb1EEEEDaST_SU_EUlST_E0_NS1_11comp_targetILNS1_3genE8ELNS1_11target_archE1030ELNS1_3gpuE2ELNS1_3repE0EEENS1_30default_config_static_selectorELNS0_4arch9wavefront6targetE0EEEvT1_
		.amdhsa_group_segment_fixed_size 0
		.amdhsa_private_segment_fixed_size 0
		.amdhsa_kernarg_size 32
		.amdhsa_user_sgpr_count 15
		.amdhsa_user_sgpr_dispatch_ptr 0
		.amdhsa_user_sgpr_queue_ptr 0
		.amdhsa_user_sgpr_kernarg_segment_ptr 1
		.amdhsa_user_sgpr_dispatch_id 0
		.amdhsa_user_sgpr_private_segment_size 0
		.amdhsa_wavefront_size32 1
		.amdhsa_uses_dynamic_stack 0
		.amdhsa_enable_private_segment 0
		.amdhsa_system_sgpr_workgroup_id_x 1
		.amdhsa_system_sgpr_workgroup_id_y 0
		.amdhsa_system_sgpr_workgroup_id_z 0
		.amdhsa_system_sgpr_workgroup_info 0
		.amdhsa_system_vgpr_workitem_id 0
		.amdhsa_next_free_vgpr 1
		.amdhsa_next_free_sgpr 1
		.amdhsa_reserve_vcc 0
		.amdhsa_float_round_mode_32 0
		.amdhsa_float_round_mode_16_64 0
		.amdhsa_float_denorm_mode_32 3
		.amdhsa_float_denorm_mode_16_64 3
		.amdhsa_dx10_clamp 1
		.amdhsa_ieee_mode 1
		.amdhsa_fp16_overflow 0
		.amdhsa_workgroup_processor_mode 1
		.amdhsa_memory_ordered 1
		.amdhsa_forward_progress 0
		.amdhsa_shared_vgpr_count 0
		.amdhsa_exception_fp_ieee_invalid_op 0
		.amdhsa_exception_fp_denorm_src 0
		.amdhsa_exception_fp_ieee_div_zero 0
		.amdhsa_exception_fp_ieee_overflow 0
		.amdhsa_exception_fp_ieee_underflow 0
		.amdhsa_exception_fp_ieee_inexact 0
		.amdhsa_exception_int_div_zero 0
	.end_amdhsa_kernel
	.section	.text._ZN7rocprim17ROCPRIM_400000_NS6detail17trampoline_kernelINS0_14default_configENS1_20scan_config_selectorIN3c108BFloat16EEEZZNS1_9scan_implILNS1_25lookback_scan_determinismE0ELb0ELb0ES3_PKS6_PS6_S6_ZZZN2at6native31launch_logcumsumexp_cuda_kernelERKNSD_10TensorBaseESH_lENKUlvE_clEvENKUlvE4_clEvEUlS6_S6_E_S6_EEDaPvRmT3_T4_T5_mT6_P12ihipStream_tbENKUlT_T0_E_clISt17integral_constantIbLb0EESX_IbLb1EEEEDaST_SU_EUlST_E0_NS1_11comp_targetILNS1_3genE8ELNS1_11target_archE1030ELNS1_3gpuE2ELNS1_3repE0EEENS1_30default_config_static_selectorELNS0_4arch9wavefront6targetE0EEEvT1_,"axG",@progbits,_ZN7rocprim17ROCPRIM_400000_NS6detail17trampoline_kernelINS0_14default_configENS1_20scan_config_selectorIN3c108BFloat16EEEZZNS1_9scan_implILNS1_25lookback_scan_determinismE0ELb0ELb0ES3_PKS6_PS6_S6_ZZZN2at6native31launch_logcumsumexp_cuda_kernelERKNSD_10TensorBaseESH_lENKUlvE_clEvENKUlvE4_clEvEUlS6_S6_E_S6_EEDaPvRmT3_T4_T5_mT6_P12ihipStream_tbENKUlT_T0_E_clISt17integral_constantIbLb0EESX_IbLb1EEEEDaST_SU_EUlST_E0_NS1_11comp_targetILNS1_3genE8ELNS1_11target_archE1030ELNS1_3gpuE2ELNS1_3repE0EEENS1_30default_config_static_selectorELNS0_4arch9wavefront6targetE0EEEvT1_,comdat
.Lfunc_end532:
	.size	_ZN7rocprim17ROCPRIM_400000_NS6detail17trampoline_kernelINS0_14default_configENS1_20scan_config_selectorIN3c108BFloat16EEEZZNS1_9scan_implILNS1_25lookback_scan_determinismE0ELb0ELb0ES3_PKS6_PS6_S6_ZZZN2at6native31launch_logcumsumexp_cuda_kernelERKNSD_10TensorBaseESH_lENKUlvE_clEvENKUlvE4_clEvEUlS6_S6_E_S6_EEDaPvRmT3_T4_T5_mT6_P12ihipStream_tbENKUlT_T0_E_clISt17integral_constantIbLb0EESX_IbLb1EEEEDaST_SU_EUlST_E0_NS1_11comp_targetILNS1_3genE8ELNS1_11target_archE1030ELNS1_3gpuE2ELNS1_3repE0EEENS1_30default_config_static_selectorELNS0_4arch9wavefront6targetE0EEEvT1_, .Lfunc_end532-_ZN7rocprim17ROCPRIM_400000_NS6detail17trampoline_kernelINS0_14default_configENS1_20scan_config_selectorIN3c108BFloat16EEEZZNS1_9scan_implILNS1_25lookback_scan_determinismE0ELb0ELb0ES3_PKS6_PS6_S6_ZZZN2at6native31launch_logcumsumexp_cuda_kernelERKNSD_10TensorBaseESH_lENKUlvE_clEvENKUlvE4_clEvEUlS6_S6_E_S6_EEDaPvRmT3_T4_T5_mT6_P12ihipStream_tbENKUlT_T0_E_clISt17integral_constantIbLb0EESX_IbLb1EEEEDaST_SU_EUlST_E0_NS1_11comp_targetILNS1_3genE8ELNS1_11target_archE1030ELNS1_3gpuE2ELNS1_3repE0EEENS1_30default_config_static_selectorELNS0_4arch9wavefront6targetE0EEEvT1_
                                        ; -- End function
	.section	.AMDGPU.csdata,"",@progbits
; Kernel info:
; codeLenInByte = 0
; NumSgprs: 0
; NumVgprs: 0
; ScratchSize: 0
; MemoryBound: 0
; FloatMode: 240
; IeeeMode: 1
; LDSByteSize: 0 bytes/workgroup (compile time only)
; SGPRBlocks: 0
; VGPRBlocks: 0
; NumSGPRsForWavesPerEU: 1
; NumVGPRsForWavesPerEU: 1
; Occupancy: 16
; WaveLimiterHint : 0
; COMPUTE_PGM_RSRC2:SCRATCH_EN: 0
; COMPUTE_PGM_RSRC2:USER_SGPR: 15
; COMPUTE_PGM_RSRC2:TRAP_HANDLER: 0
; COMPUTE_PGM_RSRC2:TGID_X_EN: 1
; COMPUTE_PGM_RSRC2:TGID_Y_EN: 0
; COMPUTE_PGM_RSRC2:TGID_Z_EN: 0
; COMPUTE_PGM_RSRC2:TIDIG_COMP_CNT: 0
	.section	.text._ZN2at6native32tensor_kernel_scan_innermost_dimIN3c108BFloat16EZZZNS0_31launch_logcumsumexp_cuda_kernelERKNS_10TensorBaseES6_lENKUlvE_clEvENKUlvE4_clEvEUlS3_S3_E_EEvPT_PKSA_jjjSA_T0_,"axG",@progbits,_ZN2at6native32tensor_kernel_scan_innermost_dimIN3c108BFloat16EZZZNS0_31launch_logcumsumexp_cuda_kernelERKNS_10TensorBaseES6_lENKUlvE_clEvENKUlvE4_clEvEUlS3_S3_E_EEvPT_PKSA_jjjSA_T0_,comdat
	.globl	_ZN2at6native32tensor_kernel_scan_innermost_dimIN3c108BFloat16EZZZNS0_31launch_logcumsumexp_cuda_kernelERKNS_10TensorBaseES6_lENKUlvE_clEvENKUlvE4_clEvEUlS3_S3_E_EEvPT_PKSA_jjjSA_T0_ ; -- Begin function _ZN2at6native32tensor_kernel_scan_innermost_dimIN3c108BFloat16EZZZNS0_31launch_logcumsumexp_cuda_kernelERKNS_10TensorBaseES6_lENKUlvE_clEvENKUlvE4_clEvEUlS3_S3_E_EEvPT_PKSA_jjjSA_T0_
	.p2align	8
	.type	_ZN2at6native32tensor_kernel_scan_innermost_dimIN3c108BFloat16EZZZNS0_31launch_logcumsumexp_cuda_kernelERKNS_10TensorBaseES6_lENKUlvE_clEvENKUlvE4_clEvEUlS3_S3_E_EEvPT_PKSA_jjjSA_T0_,@function
_ZN2at6native32tensor_kernel_scan_innermost_dimIN3c108BFloat16EZZZNS0_31launch_logcumsumexp_cuda_kernelERKNS_10TensorBaseES6_lENKUlvE_clEvENKUlvE4_clEvEUlS3_S3_E_EEvPT_PKSA_jjjSA_T0_: ; @_ZN2at6native32tensor_kernel_scan_innermost_dimIN3c108BFloat16EZZZNS0_31launch_logcumsumexp_cuda_kernelERKNS_10TensorBaseES6_lENKUlvE_clEvENKUlvE4_clEvEUlS3_S3_E_EEvPT_PKSA_jjjSA_T0_
; %bb.0:
	s_load_b256 s[16:23], s[0:1], 0x0
	v_bfe_u32 v9, v0, 10, 10
	s_waitcnt lgkmcnt(0)
	s_lshl_b32 s5, 2, s22
	s_mul_hi_u32 s2, s20, s21
	s_delay_alu instid0(VALU_DEP_1) | instskip(SKIP_3) | instid1(VALU_DEP_1)
	v_mul_lo_u32 v1, s5, v9
	s_mov_b32 s6, s20
	s_cmp_lg_u32 s2, 0
	s_mov_b32 s2, -1
	v_lshl_add_u32 v10, v1, 1, 0
	s_cbranch_scc1 .LBB533_30
; %bb.1:
	s_load_b32 s4, s[0:1], 0x2c
	s_add_u32 s2, s0, 32
	s_addc_u32 s3, s1, 0
	s_waitcnt lgkmcnt(0)
	s_lshr_b32 s4, s4, 16
	s_delay_alu instid0(SALU_CYCLE_1) | instskip(NEXT) | instid1(SALU_CYCLE_1)
	s_mul_i32 s7, s15, s4
	s_cmp_ge_u32 s7, s20
	s_cbranch_scc1 .LBB533_29
; %bb.2:
	s_load_b32 s11, s[2:3], 0x0
	v_dual_mov_b32 v2, 0 :: v_dual_and_b32 v5, 0x3ff, v0
	v_add_nc_u32_e32 v6, -2, v10
	s_lshl_b32 s8, 1, s22
	s_cmp_lg_u32 s21, 0
	s_delay_alu instid0(VALU_DEP_2)
	v_lshl_add_u32 v7, v5, 1, v10
	v_cmp_eq_u32_e64 s2, 0, v5
	v_lshl_add_u32 v8, s5, 1, v6
	s_cselect_b32 s9, -1, 0
	s_add_i32 s10, s22, 1
	v_lshl_add_u32 v11, s8, 1, v7
	s_mov_b32 s12, 0x3e9b6dac
	s_waitcnt lgkmcnt(0)
	s_mul_i32 s11, s11, s4
	s_branch .LBB533_4
.LBB533_3:                              ;   in Loop: Header=BB533_4 Depth=1
	s_add_i32 s7, s7, s11
	s_delay_alu instid0(SALU_CYCLE_1)
	s_cmp_ge_u32 s7, s20
	s_cbranch_scc1 .LBB533_29
.LBB533_4:                              ; =>This Loop Header: Depth=1
                                        ;     Child Loop BB533_7 Depth 2
                                        ;       Child Loop BB533_19 Depth 3
	s_and_not1_b32 vcc_lo, exec_lo, s9
	s_cbranch_vccnz .LBB533_3
; %bb.5:                                ;   in Loop: Header=BB533_4 Depth=1
	v_add_nc_u32_e32 v12, s7, v9
	v_mov_b32_e32 v16, s23
	s_mov_b32 s13, 0
	s_delay_alu instid0(VALU_DEP_2) | instskip(SKIP_2) | instid1(VALU_DEP_3)
	v_mul_lo_u32 v1, v12, s21
	v_cmp_gt_u32_e32 vcc_lo, s20, v12
	v_cmp_le_u32_e64 s3, s20, v12
	v_lshlrev_b64 v[3:4], 1, v[1:2]
	s_delay_alu instid0(VALU_DEP_1) | instskip(NEXT) | instid1(VALU_DEP_1)
	v_add_co_u32 v12, s4, s18, v3
	v_add_co_ci_u32_e64 v13, s4, s19, v4, s4
	v_add_co_u32 v14, s4, s16, v3
	s_delay_alu instid0(VALU_DEP_1)
	v_add_co_ci_u32_e64 v15, s4, s17, v4, s4
	s_branch .LBB533_7
.LBB533_6:                              ;   in Loop: Header=BB533_7 Depth=2
	s_or_b32 exec_lo, exec_lo, s14
	ds_load_u16 v16, v8
	s_add_i32 s13, s13, s5
	s_waitcnt lgkmcnt(0)
	s_waitcnt_vscnt null, 0x0
	s_cmp_ge_u32 s13, s21
	s_barrier
	buffer_gl0_inv
	s_cbranch_scc1 .LBB533_3
.LBB533_7:                              ;   Parent Loop BB533_4 Depth=1
                                        ; =>  This Loop Header: Depth=2
                                        ;       Child Loop BB533_19 Depth 3
	v_add_nc_u32_e32 v1, s13, v5
	s_delay_alu instid0(VALU_DEP_1)
	v_add_nc_u32_e32 v3, s8, v1
	s_and_saveexec_b32 s14, vcc_lo
	s_cbranch_execz .LBB533_16
; %bb.8:                                ;   in Loop: Header=BB533_7 Depth=2
	v_mov_b32_e32 v4, s23
	s_mov_b32 s24, exec_lo
	v_cmpx_gt_u32_e64 s21, v1
	s_cbranch_execz .LBB533_10
; %bb.9:                                ;   in Loop: Header=BB533_7 Depth=2
	v_lshlrev_b64 v[17:18], 1, v[1:2]
	s_delay_alu instid0(VALU_DEP_1) | instskip(NEXT) | instid1(VALU_DEP_1)
	v_add_co_u32 v17, s4, v12, v17
	v_add_co_ci_u32_e64 v18, s4, v13, v18, s4
	global_load_u16 v4, v[17:18], off
.LBB533_10:                             ;   in Loop: Header=BB533_7 Depth=2
	s_or_b32 exec_lo, exec_lo, s24
	v_mov_b32_e32 v17, s23
	s_mov_b32 s24, exec_lo
	s_waitcnt vmcnt(0)
	ds_store_b16 v7, v4
	v_cmpx_gt_u32_e64 s21, v3
	s_cbranch_execz .LBB533_12
; %bb.11:                               ;   in Loop: Header=BB533_7 Depth=2
	v_mov_b32_e32 v4, v2
	s_delay_alu instid0(VALU_DEP_1) | instskip(NEXT) | instid1(VALU_DEP_1)
	v_lshlrev_b64 v[17:18], 1, v[3:4]
	v_add_co_u32 v17, s4, v12, v17
	s_delay_alu instid0(VALU_DEP_1)
	v_add_co_ci_u32_e64 v18, s4, v13, v18, s4
	global_load_u16 v17, v[17:18], off
.LBB533_12:                             ;   in Loop: Header=BB533_7 Depth=2
	s_or_b32 exec_lo, exec_lo, s24
	s_waitcnt vmcnt(0)
	ds_store_b16 v11, v17
	s_and_b32 exec_lo, exec_lo, s2
	s_cbranch_execz .LBB533_16
; %bb.13:                               ;   in Loop: Header=BB533_7 Depth=2
	ds_load_u16 v4, v10
	v_lshlrev_b32_e32 v18, 16, v16
	s_waitcnt lgkmcnt(0)
	v_lshlrev_b32_e32 v16, 16, v4
	s_delay_alu instid0(VALU_DEP_1) | instskip(SKIP_1) | instid1(VALU_DEP_2)
	v_dual_max_f32 v4, v18, v18 :: v_dual_max_f32 v17, v16, v16
	v_cmp_u_f32_e64 s4, v16, v16
	v_min_f32_e32 v19, v17, v4
	v_max_f32_e32 v4, v17, v4
	s_delay_alu instid0(VALU_DEP_2) | instskip(NEXT) | instid1(VALU_DEP_2)
	v_cndmask_b32_e64 v17, v19, v16, s4
	v_cndmask_b32_e64 v4, v4, v16, s4
	v_cmp_u_f32_e64 s4, v18, v18
	s_delay_alu instid0(VALU_DEP_1) | instskip(NEXT) | instid1(VALU_DEP_3)
	v_cndmask_b32_e64 v17, v17, v18, s4
	v_cndmask_b32_e64 v4, v4, v18, s4
	s_delay_alu instid0(VALU_DEP_2) | instskip(NEXT) | instid1(VALU_DEP_2)
	v_cmp_class_f32_e64 s24, v17, 0x1f8
	v_cmp_neq_f32_e64 s4, v17, v4
	s_delay_alu instid0(VALU_DEP_1) | instskip(NEXT) | instid1(SALU_CYCLE_1)
	s_or_b32 s4, s4, s24
	s_and_saveexec_b32 s24, s4
	s_cbranch_execz .LBB533_15
; %bb.14:                               ;   in Loop: Header=BB533_7 Depth=2
	v_sub_f32_e32 v16, v17, v4
	s_delay_alu instid0(VALU_DEP_1) | instskip(SKIP_1) | instid1(VALU_DEP_2)
	v_mul_f32_e32 v17, 0x3fb8aa3b, v16
	v_cmp_ngt_f32_e64 s4, 0xc2ce8ed0, v16
	v_fma_f32 v18, 0x3fb8aa3b, v16, -v17
	v_rndne_f32_e32 v19, v17
	s_delay_alu instid0(VALU_DEP_1) | instskip(NEXT) | instid1(VALU_DEP_1)
	v_dual_fmac_f32 v18, 0x32a5705f, v16 :: v_dual_sub_f32 v17, v17, v19
	v_add_f32_e32 v17, v17, v18
	v_cvt_i32_f32_e32 v18, v19
	s_delay_alu instid0(VALU_DEP_2) | instskip(SKIP_2) | instid1(VALU_DEP_1)
	v_exp_f32_e32 v17, v17
	s_waitcnt_depctr 0xfff
	v_ldexp_f32 v17, v17, v18
	v_cndmask_b32_e64 v17, 0, v17, s4
	v_cmp_nlt_f32_e64 s4, 0x42b17218, v16
	s_delay_alu instid0(VALU_DEP_1) | instskip(NEXT) | instid1(VALU_DEP_1)
	v_cndmask_b32_e64 v18, 0x7f800000, v17, s4
	v_add_f32_e32 v19, 1.0, v18
	v_cmp_gt_f32_e64 s25, 0x33800000, |v18|
	s_delay_alu instid0(VALU_DEP_2) | instskip(NEXT) | instid1(VALU_DEP_1)
	v_cvt_f64_f32_e32 v[16:17], v19
	v_frexp_exp_i32_f64_e32 v16, v[16:17]
	v_frexp_mant_f32_e32 v17, v19
	s_delay_alu instid0(VALU_DEP_1) | instskip(SKIP_1) | instid1(VALU_DEP_1)
	v_cmp_gt_f32_e64 s4, 0x3f2aaaab, v17
	v_add_f32_e32 v17, -1.0, v19
	v_sub_f32_e32 v21, v17, v19
	v_sub_f32_e32 v17, v18, v17
	s_delay_alu instid0(VALU_DEP_4) | instskip(SKIP_1) | instid1(VALU_DEP_2)
	v_subrev_co_ci_u32_e64 v16, s4, 0, v16, s4
	v_cmp_eq_f32_e64 s4, 0x7f800000, v18
	v_sub_nc_u32_e32 v20, 0, v16
	v_cvt_f32_i32_e32 v16, v16
	s_delay_alu instid0(VALU_DEP_3) | instskip(NEXT) | instid1(VALU_DEP_2)
	s_or_b32 s4, s4, s25
	v_ldexp_f32 v19, v19, v20
	s_delay_alu instid0(VALU_DEP_1) | instskip(NEXT) | instid1(VALU_DEP_1)
	v_dual_add_f32 v22, 1.0, v19 :: v_dual_add_f32 v21, 1.0, v21
	v_add_f32_e32 v17, v17, v21
	s_delay_alu instid0(VALU_DEP_2) | instskip(NEXT) | instid1(VALU_DEP_2)
	v_add_f32_e32 v21, -1.0, v22
	v_ldexp_f32 v17, v17, v20
	s_delay_alu instid0(VALU_DEP_2) | instskip(NEXT) | instid1(VALU_DEP_1)
	v_dual_add_f32 v20, -1.0, v19 :: v_dual_sub_f32 v21, v19, v21
	v_add_f32_e32 v23, 1.0, v20
	s_delay_alu instid0(VALU_DEP_2) | instskip(NEXT) | instid1(VALU_DEP_2)
	v_add_f32_e32 v21, v17, v21
	v_sub_f32_e32 v19, v19, v23
	s_delay_alu instid0(VALU_DEP_2) | instskip(NEXT) | instid1(VALU_DEP_2)
	v_add_f32_e32 v23, v22, v21
	v_add_f32_e32 v17, v17, v19
	s_delay_alu instid0(VALU_DEP_2) | instskip(SKIP_1) | instid1(VALU_DEP_1)
	v_rcp_f32_e32 v19, v23
	v_sub_f32_e32 v22, v22, v23
	v_dual_add_f32 v24, v20, v17 :: v_dual_add_f32 v21, v21, v22
	s_delay_alu instid0(VALU_DEP_1) | instskip(SKIP_2) | instid1(VALU_DEP_1)
	v_sub_f32_e32 v20, v20, v24
	s_waitcnt_depctr 0xfff
	v_mul_f32_e32 v25, v24, v19
	v_dual_add_f32 v17, v17, v20 :: v_dual_mul_f32 v26, v23, v25
	s_delay_alu instid0(VALU_DEP_1) | instskip(NEXT) | instid1(VALU_DEP_1)
	v_fma_f32 v22, v25, v23, -v26
	v_fmac_f32_e32 v22, v25, v21
	s_delay_alu instid0(VALU_DEP_1) | instskip(NEXT) | instid1(VALU_DEP_1)
	v_add_f32_e32 v27, v26, v22
	v_sub_f32_e32 v28, v24, v27
	v_sub_f32_e32 v20, v27, v26
	s_delay_alu instid0(VALU_DEP_2) | instskip(NEXT) | instid1(VALU_DEP_2)
	v_sub_f32_e32 v24, v24, v28
	v_sub_f32_e32 v20, v20, v22
	s_delay_alu instid0(VALU_DEP_2) | instskip(NEXT) | instid1(VALU_DEP_1)
	v_sub_f32_e32 v24, v24, v27
	v_add_f32_e32 v17, v17, v24
	s_delay_alu instid0(VALU_DEP_1) | instskip(NEXT) | instid1(VALU_DEP_1)
	v_add_f32_e32 v17, v20, v17
	v_add_f32_e32 v20, v28, v17
	s_delay_alu instid0(VALU_DEP_1) | instskip(NEXT) | instid1(VALU_DEP_1)
	v_mul_f32_e32 v22, v19, v20
	v_dual_sub_f32 v27, v28, v20 :: v_dual_mul_f32 v24, v23, v22
	s_delay_alu instid0(VALU_DEP_1) | instskip(NEXT) | instid1(VALU_DEP_2)
	v_add_f32_e32 v17, v17, v27
	v_fma_f32 v23, v22, v23, -v24
	s_delay_alu instid0(VALU_DEP_1) | instskip(NEXT) | instid1(VALU_DEP_1)
	v_fmac_f32_e32 v23, v22, v21
	v_add_f32_e32 v21, v24, v23
	s_delay_alu instid0(VALU_DEP_1) | instskip(SKIP_1) | instid1(VALU_DEP_2)
	v_sub_f32_e32 v26, v20, v21
	v_sub_f32_e32 v24, v21, v24
	;; [unrolled: 1-line block ×3, first 2 shown]
	s_delay_alu instid0(VALU_DEP_1) | instskip(NEXT) | instid1(VALU_DEP_3)
	v_sub_f32_e32 v20, v20, v21
	v_sub_f32_e32 v21, v24, v23
	s_delay_alu instid0(VALU_DEP_2) | instskip(SKIP_1) | instid1(VALU_DEP_2)
	v_add_f32_e32 v17, v17, v20
	v_add_f32_e32 v20, v25, v22
	;; [unrolled: 1-line block ×3, first 2 shown]
	s_delay_alu instid0(VALU_DEP_2) | instskip(NEXT) | instid1(VALU_DEP_2)
	v_sub_f32_e32 v21, v20, v25
	v_add_f32_e32 v17, v26, v17
	s_delay_alu instid0(VALU_DEP_2) | instskip(NEXT) | instid1(VALU_DEP_2)
	v_sub_f32_e32 v21, v22, v21
	v_mul_f32_e32 v17, v19, v17
	s_delay_alu instid0(VALU_DEP_1) | instskip(NEXT) | instid1(VALU_DEP_1)
	v_add_f32_e32 v17, v21, v17
	v_add_f32_e32 v19, v20, v17
	s_delay_alu instid0(VALU_DEP_1) | instskip(NEXT) | instid1(VALU_DEP_1)
	v_mul_f32_e32 v21, v19, v19
	v_fmaak_f32 v22, s12, v21, 0x3ecc95a3
	v_mul_f32_e32 v23, v19, v21
	s_delay_alu instid0(VALU_DEP_2) | instskip(SKIP_2) | instid1(VALU_DEP_3)
	v_fmaak_f32 v21, v21, v22, 0x3f2aaada
	v_ldexp_f32 v22, v19, 1
	v_sub_f32_e32 v19, v19, v20
	v_mul_f32_e32 v21, v23, v21
	v_mul_f32_e32 v23, 0x3f317218, v16
	s_delay_alu instid0(VALU_DEP_2) | instskip(NEXT) | instid1(VALU_DEP_1)
	v_dual_sub_f32 v17, v17, v19 :: v_dual_add_f32 v20, v22, v21
	v_ldexp_f32 v17, v17, 1
	s_delay_alu instid0(VALU_DEP_2) | instskip(NEXT) | instid1(VALU_DEP_4)
	v_sub_f32_e32 v19, v20, v22
	v_fma_f32 v22, 0x3f317218, v16, -v23
	s_delay_alu instid0(VALU_DEP_1) | instskip(NEXT) | instid1(VALU_DEP_1)
	v_dual_sub_f32 v19, v21, v19 :: v_dual_fmac_f32 v22, 0xb102e308, v16
	v_dual_add_f32 v16, v17, v19 :: v_dual_add_f32 v17, v23, v22
	s_delay_alu instid0(VALU_DEP_1) | instskip(NEXT) | instid1(VALU_DEP_2)
	v_add_f32_e32 v19, v20, v16
	v_sub_f32_e32 v23, v17, v23
	s_delay_alu instid0(VALU_DEP_2) | instskip(NEXT) | instid1(VALU_DEP_2)
	v_dual_add_f32 v21, v17, v19 :: v_dual_sub_f32 v20, v19, v20
	v_sub_f32_e32 v22, v22, v23
	s_delay_alu instid0(VALU_DEP_2) | instskip(NEXT) | instid1(VALU_DEP_3)
	v_sub_f32_e32 v24, v21, v17
	v_sub_f32_e32 v16, v16, v20
	s_delay_alu instid0(VALU_DEP_2) | instskip(SKIP_1) | instid1(VALU_DEP_2)
	v_sub_f32_e32 v25, v21, v24
	v_sub_f32_e32 v19, v19, v24
	v_dual_add_f32 v20, v22, v16 :: v_dual_sub_f32 v17, v17, v25
	s_delay_alu instid0(VALU_DEP_1) | instskip(NEXT) | instid1(VALU_DEP_2)
	v_add_f32_e32 v17, v19, v17
	v_sub_f32_e32 v19, v20, v22
	s_delay_alu instid0(VALU_DEP_2) | instskip(NEXT) | instid1(VALU_DEP_2)
	v_add_f32_e32 v17, v20, v17
	v_sub_f32_e32 v20, v20, v19
	s_delay_alu instid0(VALU_DEP_2) | instskip(NEXT) | instid1(VALU_DEP_1)
	v_dual_sub_f32 v16, v16, v19 :: v_dual_add_f32 v23, v21, v17
	v_dual_sub_f32 v20, v22, v20 :: v_dual_sub_f32 v19, v23, v21
	s_delay_alu instid0(VALU_DEP_1) | instskip(NEXT) | instid1(VALU_DEP_1)
	v_dual_add_f32 v16, v16, v20 :: v_dual_sub_f32 v17, v17, v19
	v_add_f32_e32 v16, v16, v17
	s_delay_alu instid0(VALU_DEP_1) | instskip(NEXT) | instid1(VALU_DEP_1)
	v_add_f32_e32 v16, v23, v16
	v_cndmask_b32_e64 v16, v16, v18, s4
	s_delay_alu instid0(VALU_DEP_1)
	v_add_f32_e32 v16, v4, v16
.LBB533_15:                             ;   in Loop: Header=BB533_7 Depth=2
	s_or_b32 exec_lo, exec_lo, s24
	s_delay_alu instid0(VALU_DEP_1) | instskip(SKIP_1) | instid1(VALU_DEP_2)
	v_bfe_u32 v4, v16, 16, 1
	v_cmp_o_f32_e64 s4, v16, v16
	v_add3_u32 v4, v16, v4, 0x7fff
	s_delay_alu instid0(VALU_DEP_1) | instskip(NEXT) | instid1(VALU_DEP_1)
	v_lshrrev_b32_e32 v4, 16, v4
	v_cndmask_b32_e64 v4, 0x7fc0, v4, s4
	ds_store_b16 v10, v4
.LBB533_16:                             ;   in Loop: Header=BB533_7 Depth=2
	s_or_b32 exec_lo, exec_lo, s14
	v_mov_b32_e32 v16, 0
	s_mov_b32 s14, 0
	s_waitcnt lgkmcnt(0)
	s_barrier
	buffer_gl0_inv
	s_branch .LBB533_19
.LBB533_17:                             ;   in Loop: Header=BB533_19 Depth=3
	s_or_b32 exec_lo, exec_lo, s25
	s_delay_alu instid0(VALU_DEP_1) | instskip(SKIP_1) | instid1(VALU_DEP_2)
	v_bfe_u32 v17, v18, 16, 1
	v_cmp_o_f32_e64 s4, v18, v18
	v_add3_u32 v17, v18, v17, 0x7fff
	s_delay_alu instid0(VALU_DEP_1) | instskip(NEXT) | instid1(VALU_DEP_1)
	v_lshrrev_b32_e32 v17, 16, v17
	v_cndmask_b32_e64 v17, 0x7fc0, v17, s4
	ds_store_b16 v16, v17
.LBB533_18:                             ;   in Loop: Header=BB533_19 Depth=3
	s_or_b32 exec_lo, exec_lo, s24
	s_delay_alu instid0(VALU_DEP_1)
	v_cmp_eq_u32_e64 s4, s10, v4
	v_mov_b32_e32 v16, v4
	s_waitcnt lgkmcnt(0)
	s_barrier
	buffer_gl0_inv
	s_or_b32 s14, s4, s14
	s_delay_alu instid0(SALU_CYCLE_1)
	s_and_not1_b32 exec_lo, exec_lo, s14
	s_cbranch_execz .LBB533_24
.LBB533_19:                             ;   Parent Loop BB533_4 Depth=1
                                        ;     Parent Loop BB533_7 Depth=2
                                        ; =>    This Inner Loop Header: Depth=3
	v_add_nc_u32_e32 v4, 1, v16
	s_and_saveexec_b32 s4, s3
	s_delay_alu instid0(SALU_CYCLE_1)
	s_xor_b32 s4, exec_lo, s4
; %bb.20:                               ;   in Loop: Header=BB533_19 Depth=3
	v_add_nc_u32_e32 v4, 1, v16
                                        ; implicit-def: $vgpr16
; %bb.21:                               ;   in Loop: Header=BB533_19 Depth=3
	s_and_not1_saveexec_b32 s24, s4
	s_cbranch_execz .LBB533_18
; %bb.22:                               ;   in Loop: Header=BB533_19 Depth=3
	v_lshlrev_b32_e64 v17, v16, 1
	v_lshrrev_b32_e32 v18, v16, v5
	v_bfm_b32 v16, v16, 0
	s_delay_alu instid0(VALU_DEP_2) | instskip(NEXT) | instid1(VALU_DEP_2)
	v_lshl_or_b32 v17, v18, v4, v17
	v_and_b32_e32 v16, v16, v5
	s_delay_alu instid0(VALU_DEP_2) | instskip(NEXT) | instid1(VALU_DEP_2)
	v_lshlrev_b32_e32 v17, 1, v17
	v_lshlrev_b32_e32 v16, 1, v16
	s_delay_alu instid0(VALU_DEP_2) | instskip(NEXT) | instid1(VALU_DEP_2)
	v_add_nc_u32_e32 v18, v6, v17
	v_add3_u32 v16, v10, v17, v16
	ds_load_u16 v17, v18
	ds_load_u16 v18, v16
	s_waitcnt lgkmcnt(1)
	v_lshlrev_b32_e32 v17, 16, v17
	s_waitcnt lgkmcnt(0)
	s_delay_alu instid0(VALU_DEP_1) | instskip(NEXT) | instid1(VALU_DEP_1)
	v_dual_max_f32 v19, v17, v17 :: v_dual_lshlrev_b32 v18, 16, v18
	v_max_f32_e32 v20, v18, v18
	s_delay_alu instid0(VALU_DEP_1) | instskip(SKIP_2) | instid1(VALU_DEP_1)
	v_min_f32_e32 v21, v20, v19
	v_max_f32_e32 v19, v20, v19
	v_cmp_u_f32_e64 s4, v18, v18
	v_cndmask_b32_e64 v20, v21, v18, s4
	s_delay_alu instid0(VALU_DEP_3) | instskip(SKIP_1) | instid1(VALU_DEP_1)
	v_cndmask_b32_e64 v21, v19, v18, s4
	v_cmp_u_f32_e64 s4, v17, v17
	v_cndmask_b32_e64 v19, v20, v17, s4
	s_delay_alu instid0(VALU_DEP_3) | instskip(NEXT) | instid1(VALU_DEP_2)
	v_cndmask_b32_e64 v17, v21, v17, s4
	v_cmp_class_f32_e64 s25, v19, 0x1f8
	s_delay_alu instid0(VALU_DEP_2) | instskip(NEXT) | instid1(VALU_DEP_1)
	v_cmp_neq_f32_e64 s4, v19, v17
	s_or_b32 s4, s4, s25
	s_delay_alu instid0(SALU_CYCLE_1)
	s_and_saveexec_b32 s25, s4
	s_cbranch_execz .LBB533_17
; %bb.23:                               ;   in Loop: Header=BB533_19 Depth=3
	v_sub_f32_e32 v18, v19, v17
	s_delay_alu instid0(VALU_DEP_1) | instskip(SKIP_1) | instid1(VALU_DEP_2)
	v_mul_f32_e32 v19, 0x3fb8aa3b, v18
	v_cmp_ngt_f32_e64 s4, 0xc2ce8ed0, v18
	v_fma_f32 v20, 0x3fb8aa3b, v18, -v19
	v_rndne_f32_e32 v21, v19
	s_delay_alu instid0(VALU_DEP_1) | instskip(NEXT) | instid1(VALU_DEP_1)
	v_dual_fmac_f32 v20, 0x32a5705f, v18 :: v_dual_sub_f32 v19, v19, v21
	v_add_f32_e32 v19, v19, v20
	v_cvt_i32_f32_e32 v20, v21
	s_delay_alu instid0(VALU_DEP_2) | instskip(SKIP_2) | instid1(VALU_DEP_1)
	v_exp_f32_e32 v19, v19
	s_waitcnt_depctr 0xfff
	v_ldexp_f32 v19, v19, v20
	v_cndmask_b32_e64 v19, 0, v19, s4
	v_cmp_nlt_f32_e64 s4, 0x42b17218, v18
	s_delay_alu instid0(VALU_DEP_1) | instskip(NEXT) | instid1(VALU_DEP_1)
	v_cndmask_b32_e64 v20, 0x7f800000, v19, s4
	v_add_f32_e32 v21, 1.0, v20
	v_cmp_gt_f32_e64 s26, 0x33800000, |v20|
	s_delay_alu instid0(VALU_DEP_2) | instskip(NEXT) | instid1(VALU_DEP_1)
	v_cvt_f64_f32_e32 v[18:19], v21
	v_frexp_exp_i32_f64_e32 v18, v[18:19]
	v_frexp_mant_f32_e32 v19, v21
	s_delay_alu instid0(VALU_DEP_1) | instskip(SKIP_1) | instid1(VALU_DEP_1)
	v_cmp_gt_f32_e64 s4, 0x3f2aaaab, v19
	v_add_f32_e32 v19, -1.0, v21
	v_sub_f32_e32 v23, v19, v21
	v_sub_f32_e32 v19, v20, v19
	s_delay_alu instid0(VALU_DEP_4) | instskip(SKIP_1) | instid1(VALU_DEP_2)
	v_subrev_co_ci_u32_e64 v18, s4, 0, v18, s4
	v_cmp_eq_f32_e64 s4, 0x7f800000, v20
	v_sub_nc_u32_e32 v22, 0, v18
	v_cvt_f32_i32_e32 v18, v18
	s_delay_alu instid0(VALU_DEP_3) | instskip(NEXT) | instid1(VALU_DEP_2)
	s_or_b32 s4, s4, s26
	v_ldexp_f32 v21, v21, v22
	s_delay_alu instid0(VALU_DEP_1) | instskip(NEXT) | instid1(VALU_DEP_1)
	v_dual_add_f32 v24, 1.0, v21 :: v_dual_add_f32 v23, 1.0, v23
	v_add_f32_e32 v19, v19, v23
	s_delay_alu instid0(VALU_DEP_2) | instskip(NEXT) | instid1(VALU_DEP_2)
	v_add_f32_e32 v23, -1.0, v24
	v_ldexp_f32 v19, v19, v22
	s_delay_alu instid0(VALU_DEP_2) | instskip(NEXT) | instid1(VALU_DEP_1)
	v_dual_add_f32 v22, -1.0, v21 :: v_dual_sub_f32 v23, v21, v23
	v_add_f32_e32 v25, 1.0, v22
	s_delay_alu instid0(VALU_DEP_2) | instskip(NEXT) | instid1(VALU_DEP_2)
	v_add_f32_e32 v23, v19, v23
	v_sub_f32_e32 v21, v21, v25
	s_delay_alu instid0(VALU_DEP_2) | instskip(NEXT) | instid1(VALU_DEP_2)
	v_add_f32_e32 v25, v24, v23
	v_add_f32_e32 v19, v19, v21
	s_delay_alu instid0(VALU_DEP_2) | instskip(SKIP_1) | instid1(VALU_DEP_1)
	v_rcp_f32_e32 v21, v25
	v_sub_f32_e32 v24, v24, v25
	v_dual_add_f32 v26, v22, v19 :: v_dual_add_f32 v23, v23, v24
	s_delay_alu instid0(VALU_DEP_1) | instskip(SKIP_2) | instid1(VALU_DEP_1)
	v_sub_f32_e32 v22, v22, v26
	s_waitcnt_depctr 0xfff
	v_mul_f32_e32 v27, v26, v21
	v_dual_add_f32 v19, v19, v22 :: v_dual_mul_f32 v28, v25, v27
	s_delay_alu instid0(VALU_DEP_1) | instskip(NEXT) | instid1(VALU_DEP_1)
	v_fma_f32 v24, v27, v25, -v28
	v_fmac_f32_e32 v24, v27, v23
	s_delay_alu instid0(VALU_DEP_1) | instskip(NEXT) | instid1(VALU_DEP_1)
	v_add_f32_e32 v29, v28, v24
	v_sub_f32_e32 v30, v26, v29
	v_sub_f32_e32 v22, v29, v28
	s_delay_alu instid0(VALU_DEP_2) | instskip(NEXT) | instid1(VALU_DEP_2)
	v_sub_f32_e32 v26, v26, v30
	v_sub_f32_e32 v22, v22, v24
	s_delay_alu instid0(VALU_DEP_2) | instskip(NEXT) | instid1(VALU_DEP_1)
	v_sub_f32_e32 v26, v26, v29
	v_add_f32_e32 v19, v19, v26
	s_delay_alu instid0(VALU_DEP_1) | instskip(NEXT) | instid1(VALU_DEP_1)
	v_add_f32_e32 v19, v22, v19
	v_add_f32_e32 v22, v30, v19
	s_delay_alu instid0(VALU_DEP_1) | instskip(NEXT) | instid1(VALU_DEP_1)
	v_mul_f32_e32 v24, v21, v22
	v_dual_sub_f32 v29, v30, v22 :: v_dual_mul_f32 v26, v25, v24
	s_delay_alu instid0(VALU_DEP_1) | instskip(NEXT) | instid1(VALU_DEP_2)
	v_add_f32_e32 v19, v19, v29
	v_fma_f32 v25, v24, v25, -v26
	s_delay_alu instid0(VALU_DEP_1) | instskip(NEXT) | instid1(VALU_DEP_1)
	v_fmac_f32_e32 v25, v24, v23
	v_add_f32_e32 v23, v26, v25
	s_delay_alu instid0(VALU_DEP_1) | instskip(SKIP_1) | instid1(VALU_DEP_2)
	v_sub_f32_e32 v28, v22, v23
	v_sub_f32_e32 v26, v23, v26
	;; [unrolled: 1-line block ×3, first 2 shown]
	s_delay_alu instid0(VALU_DEP_1) | instskip(NEXT) | instid1(VALU_DEP_3)
	v_sub_f32_e32 v22, v22, v23
	v_sub_f32_e32 v23, v26, v25
	s_delay_alu instid0(VALU_DEP_2) | instskip(SKIP_1) | instid1(VALU_DEP_2)
	v_add_f32_e32 v19, v19, v22
	v_add_f32_e32 v22, v27, v24
	;; [unrolled: 1-line block ×3, first 2 shown]
	s_delay_alu instid0(VALU_DEP_2) | instskip(NEXT) | instid1(VALU_DEP_2)
	v_sub_f32_e32 v23, v22, v27
	v_add_f32_e32 v19, v28, v19
	s_delay_alu instid0(VALU_DEP_2) | instskip(NEXT) | instid1(VALU_DEP_2)
	v_sub_f32_e32 v23, v24, v23
	v_mul_f32_e32 v19, v21, v19
	s_delay_alu instid0(VALU_DEP_1) | instskip(NEXT) | instid1(VALU_DEP_1)
	v_add_f32_e32 v19, v23, v19
	v_add_f32_e32 v21, v22, v19
	s_delay_alu instid0(VALU_DEP_1) | instskip(NEXT) | instid1(VALU_DEP_1)
	v_mul_f32_e32 v23, v21, v21
	v_fmaak_f32 v24, s12, v23, 0x3ecc95a3
	v_mul_f32_e32 v25, v21, v23
	s_delay_alu instid0(VALU_DEP_2) | instskip(SKIP_2) | instid1(VALU_DEP_3)
	v_fmaak_f32 v23, v23, v24, 0x3f2aaada
	v_ldexp_f32 v24, v21, 1
	v_sub_f32_e32 v21, v21, v22
	v_mul_f32_e32 v23, v25, v23
	v_mul_f32_e32 v25, 0x3f317218, v18
	s_delay_alu instid0(VALU_DEP_2) | instskip(NEXT) | instid1(VALU_DEP_1)
	v_dual_sub_f32 v19, v19, v21 :: v_dual_add_f32 v22, v24, v23
	v_ldexp_f32 v19, v19, 1
	s_delay_alu instid0(VALU_DEP_2) | instskip(NEXT) | instid1(VALU_DEP_4)
	v_sub_f32_e32 v21, v22, v24
	v_fma_f32 v24, 0x3f317218, v18, -v25
	s_delay_alu instid0(VALU_DEP_1) | instskip(NEXT) | instid1(VALU_DEP_1)
	v_dual_sub_f32 v21, v23, v21 :: v_dual_fmac_f32 v24, 0xb102e308, v18
	v_dual_add_f32 v18, v19, v21 :: v_dual_add_f32 v19, v25, v24
	s_delay_alu instid0(VALU_DEP_1) | instskip(NEXT) | instid1(VALU_DEP_2)
	v_add_f32_e32 v21, v22, v18
	v_sub_f32_e32 v25, v19, v25
	s_delay_alu instid0(VALU_DEP_2) | instskip(NEXT) | instid1(VALU_DEP_2)
	v_dual_add_f32 v23, v19, v21 :: v_dual_sub_f32 v22, v21, v22
	v_sub_f32_e32 v24, v24, v25
	s_delay_alu instid0(VALU_DEP_2) | instskip(NEXT) | instid1(VALU_DEP_3)
	v_sub_f32_e32 v26, v23, v19
	v_sub_f32_e32 v18, v18, v22
	s_delay_alu instid0(VALU_DEP_2) | instskip(SKIP_1) | instid1(VALU_DEP_2)
	v_sub_f32_e32 v27, v23, v26
	v_sub_f32_e32 v21, v21, v26
	v_dual_add_f32 v22, v24, v18 :: v_dual_sub_f32 v19, v19, v27
	s_delay_alu instid0(VALU_DEP_1) | instskip(NEXT) | instid1(VALU_DEP_2)
	v_add_f32_e32 v19, v21, v19
	v_sub_f32_e32 v21, v22, v24
	s_delay_alu instid0(VALU_DEP_2) | instskip(NEXT) | instid1(VALU_DEP_2)
	v_add_f32_e32 v19, v22, v19
	v_sub_f32_e32 v22, v22, v21
	s_delay_alu instid0(VALU_DEP_2) | instskip(NEXT) | instid1(VALU_DEP_1)
	v_dual_sub_f32 v18, v18, v21 :: v_dual_add_f32 v25, v23, v19
	v_dual_sub_f32 v22, v24, v22 :: v_dual_sub_f32 v21, v25, v23
	s_delay_alu instid0(VALU_DEP_1) | instskip(NEXT) | instid1(VALU_DEP_1)
	v_dual_add_f32 v18, v18, v22 :: v_dual_sub_f32 v19, v19, v21
	v_add_f32_e32 v18, v18, v19
	s_delay_alu instid0(VALU_DEP_1) | instskip(NEXT) | instid1(VALU_DEP_1)
	v_add_f32_e32 v18, v25, v18
	v_cndmask_b32_e64 v18, v18, v20, s4
	s_delay_alu instid0(VALU_DEP_1)
	v_add_f32_e32 v18, v17, v18
	s_branch .LBB533_17
.LBB533_24:                             ;   in Loop: Header=BB533_7 Depth=2
	s_or_b32 exec_lo, exec_lo, s14
	s_and_saveexec_b32 s14, vcc_lo
	s_cbranch_execz .LBB533_6
; %bb.25:                               ;   in Loop: Header=BB533_7 Depth=2
	s_mov_b32 s24, exec_lo
	v_cmpx_gt_u32_e64 s21, v1
	s_cbranch_execz .LBB533_27
; %bb.26:                               ;   in Loop: Header=BB533_7 Depth=2
	ds_load_u16 v4, v7
	v_lshlrev_b64 v[16:17], 1, v[1:2]
	s_delay_alu instid0(VALU_DEP_1) | instskip(NEXT) | instid1(VALU_DEP_1)
	v_add_co_u32 v16, s4, v14, v16
	v_add_co_ci_u32_e64 v17, s4, v15, v17, s4
	s_waitcnt lgkmcnt(0)
	global_store_b16 v[16:17], v4, off
.LBB533_27:                             ;   in Loop: Header=BB533_7 Depth=2
	s_or_b32 exec_lo, exec_lo, s24
	v_cmp_gt_u32_e64 s4, s21, v3
	s_delay_alu instid0(VALU_DEP_1)
	s_and_b32 exec_lo, exec_lo, s4
	s_cbranch_execz .LBB533_6
; %bb.28:                               ;   in Loop: Header=BB533_7 Depth=2
	ds_load_u16 v1, v11
	v_mov_b32_e32 v4, v2
	s_delay_alu instid0(VALU_DEP_1) | instskip(NEXT) | instid1(VALU_DEP_1)
	v_lshlrev_b64 v[3:4], 1, v[3:4]
	v_add_co_u32 v3, s4, v14, v3
	s_delay_alu instid0(VALU_DEP_1)
	v_add_co_ci_u32_e64 v4, s4, v15, v4, s4
	s_waitcnt lgkmcnt(0)
	global_store_b16 v[3:4], v1, off
	s_branch .LBB533_6
.LBB533_29:
	s_mov_b32 s2, 0
.LBB533_30:
	s_delay_alu instid0(SALU_CYCLE_1)
	s_and_not1_b32 vcc_lo, exec_lo, s2
	s_cbranch_vccnz .LBB533_61
; %bb.31:
	s_load_b32 s2, s[0:1], 0x2c
	s_add_u32 s0, s0, 32
	s_addc_u32 s1, s1, 0
	s_mov_b32 s7, 0
	s_waitcnt lgkmcnt(0)
	s_lshr_b32 s2, s2, 16
	s_delay_alu instid0(SALU_CYCLE_1) | instskip(SKIP_1) | instid1(SALU_CYCLE_1)
	s_mul_hi_u32 s5, s2, s15
	s_mul_i32 s4, s2, s15
	v_cmp_ge_u64_e64 s3, s[4:5], s[6:7]
	s_delay_alu instid0(VALU_DEP_1)
	s_and_b32 vcc_lo, exec_lo, s3
	s_cbranch_vccnz .LBB533_61
; %bb.32:
	s_load_b32 s1, s[0:1], 0x0
	v_dual_mov_b32 v1, 0 :: v_dual_and_b32 v0, 0x3ff, v0
	s_lshl_b32 s8, 1, s22
	s_and_b32 s2, 0xffff, s2
	s_ashr_i32 s9, s8, 31
	s_cmp_lg_u32 s21, 0
	v_lshl_add_u32 v11, v0, 1, v10
	s_cselect_b32 s3, -1, 0
	s_lshl_b64 s[12:13], s[8:9], 1
	v_cmp_eq_u32_e64 s0, 0, v0
	s_lshl_b32 s14, s12, 1
	v_lshl_add_u32 v13, s8, 1, v11
	v_add3_u32 v12, v10, s14, -2
	s_mov_b32 s10, s21
	s_mov_b32 s11, s7
	s_add_i32 s20, s22, 1
	s_mov_b32 s22, 0x3e9b6dac
	s_waitcnt lgkmcnt(0)
	s_mul_i32 s21, s1, s2
	s_branch .LBB533_34
.LBB533_33:                             ;   in Loop: Header=BB533_34 Depth=1
	s_add_u32 s4, s4, s21
	s_addc_u32 s5, s5, 0
	s_delay_alu instid0(SALU_CYCLE_1) | instskip(NEXT) | instid1(VALU_DEP_1)
	v_cmp_ge_u64_e64 s1, s[4:5], s[6:7]
	s_and_b32 vcc_lo, exec_lo, s1
	s_cbranch_vccnz .LBB533_61
.LBB533_34:                             ; =>This Loop Header: Depth=1
                                        ;     Child Loop BB533_37 Depth 2
                                        ;       Child Loop BB533_49 Depth 3
	s_and_not1_b32 vcc_lo, exec_lo, s3
	s_cbranch_vccnz .LBB533_33
; %bb.35:                               ;   in Loop: Header=BB533_34 Depth=1
	v_add_co_u32 v2, s1, s4, v9
	s_delay_alu instid0(VALU_DEP_1) | instskip(SKIP_1) | instid1(VALU_DEP_2)
	v_add_co_ci_u32_e64 v3, null, s5, 0, s1
	s_mov_b64 s[14:15], 0
	v_mad_u64_u32 v[4:5], null, v2, s10, 0
	s_delay_alu instid0(VALU_DEP_2) | instskip(SKIP_1) | instid1(VALU_DEP_3)
	v_cmp_gt_u64_e64 s1, s[6:7], v[2:3]
	v_cmp_le_u64_e64 s2, s[6:7], v[2:3]
	v_mad_u64_u32 v[6:7], null, v3, s10, v[5:6]
	s_delay_alu instid0(VALU_DEP_1) | instskip(NEXT) | instid1(VALU_DEP_1)
	v_dual_mov_b32 v5, v6 :: v_dual_mov_b32 v6, s23
	v_lshlrev_b64 v[4:5], 1, v[4:5]
	s_delay_alu instid0(VALU_DEP_1) | instskip(NEXT) | instid1(VALU_DEP_2)
	v_add_co_u32 v14, vcc_lo, s18, v4
	v_add_co_ci_u32_e32 v15, vcc_lo, s19, v5, vcc_lo
	v_add_co_u32 v16, vcc_lo, s16, v4
	v_add_co_ci_u32_e32 v17, vcc_lo, s17, v5, vcc_lo
	s_branch .LBB533_37
.LBB533_36:                             ;   in Loop: Header=BB533_37 Depth=2
	s_or_b32 exec_lo, exec_lo, s24
	ds_load_u16 v6, v12
	s_add_u32 s14, s14, s12
	s_addc_u32 s15, s15, s13
	s_waitcnt lgkmcnt(0)
	s_waitcnt_vscnt null, 0x0
	v_cmp_ge_u64_e64 s24, s[14:15], s[10:11]
	s_barrier
	buffer_gl0_inv
	s_and_b32 vcc_lo, exec_lo, s24
	s_cbranch_vccnz .LBB533_33
.LBB533_37:                             ;   Parent Loop BB533_34 Depth=1
                                        ; =>  This Loop Header: Depth=2
                                        ;       Child Loop BB533_49 Depth 3
	v_add_co_u32 v4, s24, s14, v0
	s_delay_alu instid0(VALU_DEP_1) | instskip(NEXT) | instid1(VALU_DEP_2)
	v_add_co_ci_u32_e64 v5, null, s15, 0, s24
	v_add_co_u32 v2, vcc_lo, v4, s8
	s_delay_alu instid0(VALU_DEP_2)
	v_add_co_ci_u32_e32 v3, vcc_lo, s9, v5, vcc_lo
	s_and_saveexec_b32 s24, s1
	s_cbranch_execz .LBB533_46
; %bb.38:                               ;   in Loop: Header=BB533_37 Depth=2
	v_mov_b32_e32 v7, s23
	s_mov_b32 s25, exec_lo
	v_cmpx_gt_u64_e64 s[10:11], v[4:5]
	s_cbranch_execz .LBB533_40
; %bb.39:                               ;   in Loop: Header=BB533_37 Depth=2
	v_lshlrev_b64 v[7:8], 1, v[4:5]
	s_delay_alu instid0(VALU_DEP_1) | instskip(NEXT) | instid1(VALU_DEP_2)
	v_add_co_u32 v7, vcc_lo, v14, v7
	v_add_co_ci_u32_e32 v8, vcc_lo, v15, v8, vcc_lo
	global_load_u16 v7, v[7:8], off
.LBB533_40:                             ;   in Loop: Header=BB533_37 Depth=2
	s_or_b32 exec_lo, exec_lo, s25
	v_mov_b32_e32 v8, s23
	s_mov_b32 s25, exec_lo
	s_waitcnt vmcnt(0)
	ds_store_b16 v11, v7
	v_cmpx_gt_u64_e64 s[10:11], v[2:3]
	s_cbranch_execz .LBB533_42
; %bb.41:                               ;   in Loop: Header=BB533_37 Depth=2
	v_lshlrev_b64 v[7:8], 1, v[2:3]
	s_delay_alu instid0(VALU_DEP_1) | instskip(NEXT) | instid1(VALU_DEP_2)
	v_add_co_u32 v7, vcc_lo, v14, v7
	v_add_co_ci_u32_e32 v8, vcc_lo, v15, v8, vcc_lo
	global_load_u16 v8, v[7:8], off
.LBB533_42:                             ;   in Loop: Header=BB533_37 Depth=2
	s_or_b32 exec_lo, exec_lo, s25
	s_waitcnt vmcnt(0)
	ds_store_b16 v13, v8
	s_and_b32 exec_lo, exec_lo, s0
	s_cbranch_execz .LBB533_46
; %bb.43:                               ;   in Loop: Header=BB533_37 Depth=2
	ds_load_u16 v7, v10
	s_waitcnt lgkmcnt(0)
	v_lshlrev_b32_e32 v7, 16, v7
	s_delay_alu instid0(VALU_DEP_1) | instskip(SKIP_1) | instid1(VALU_DEP_1)
	v_max_f32_e32 v18, v7, v7
	v_lshlrev_b32_e32 v6, 16, v6
	v_max_f32_e32 v8, v6, v6
	v_cmp_u_f32_e32 vcc_lo, v7, v7
	s_delay_alu instid0(VALU_DEP_2) | instskip(SKIP_1) | instid1(VALU_DEP_2)
	v_min_f32_e32 v19, v18, v8
	v_max_f32_e32 v8, v18, v8
	v_cndmask_b32_e32 v18, v19, v7, vcc_lo
	s_delay_alu instid0(VALU_DEP_2) | instskip(SKIP_1) | instid1(VALU_DEP_3)
	v_cndmask_b32_e32 v19, v8, v7, vcc_lo
	v_cmp_u_f32_e32 vcc_lo, v6, v6
	v_cndmask_b32_e32 v8, v18, v6, vcc_lo
	s_delay_alu instid0(VALU_DEP_3) | instskip(NEXT) | instid1(VALU_DEP_2)
	v_cndmask_b32_e32 v6, v19, v6, vcc_lo
	v_cmp_class_f32_e64 s25, v8, 0x1f8
	s_delay_alu instid0(VALU_DEP_2) | instskip(NEXT) | instid1(VALU_DEP_2)
	v_cmp_neq_f32_e32 vcc_lo, v8, v6
	s_or_b32 s26, vcc_lo, s25
	s_delay_alu instid0(SALU_CYCLE_1)
	s_and_saveexec_b32 s25, s26
	s_cbranch_execz .LBB533_45
; %bb.44:                               ;   in Loop: Header=BB533_37 Depth=2
	v_sub_f32_e32 v7, v8, v6
	s_delay_alu instid0(VALU_DEP_1) | instskip(SKIP_1) | instid1(VALU_DEP_2)
	v_mul_f32_e32 v8, 0x3fb8aa3b, v7
	v_cmp_ngt_f32_e32 vcc_lo, 0xc2ce8ed0, v7
	v_fma_f32 v18, 0x3fb8aa3b, v7, -v8
	v_rndne_f32_e32 v19, v8
	s_delay_alu instid0(VALU_DEP_2) | instskip(NEXT) | instid1(VALU_DEP_2)
	v_fmac_f32_e32 v18, 0x32a5705f, v7
	v_sub_f32_e32 v8, v8, v19
	s_delay_alu instid0(VALU_DEP_1) | instskip(SKIP_1) | instid1(VALU_DEP_2)
	v_add_f32_e32 v8, v8, v18
	v_cvt_i32_f32_e32 v18, v19
	v_exp_f32_e32 v8, v8
	s_waitcnt_depctr 0xfff
	v_ldexp_f32 v8, v8, v18
	s_delay_alu instid0(VALU_DEP_1) | instskip(SKIP_1) | instid1(VALU_DEP_2)
	v_cndmask_b32_e32 v8, 0, v8, vcc_lo
	v_cmp_nlt_f32_e32 vcc_lo, 0x42b17218, v7
	v_cndmask_b32_e32 v18, 0x7f800000, v8, vcc_lo
	s_delay_alu instid0(VALU_DEP_1) | instskip(NEXT) | instid1(VALU_DEP_1)
	v_add_f32_e32 v19, 1.0, v18
	v_cvt_f64_f32_e32 v[7:8], v19
	s_delay_alu instid0(VALU_DEP_1) | instskip(SKIP_1) | instid1(VALU_DEP_1)
	v_frexp_exp_i32_f64_e32 v7, v[7:8]
	v_frexp_mant_f32_e32 v8, v19
	v_cmp_gt_f32_e32 vcc_lo, 0x3f2aaaab, v8
	v_add_f32_e32 v8, -1.0, v19
	s_delay_alu instid0(VALU_DEP_1) | instskip(SKIP_1) | instid1(VALU_DEP_2)
	v_sub_f32_e32 v21, v8, v19
	v_cmp_gt_f32_e64 s26, 0x33800000, |v18|
	v_add_f32_e32 v21, 1.0, v21
	v_subrev_co_ci_u32_e32 v7, vcc_lo, 0, v7, vcc_lo
	v_cmp_eq_f32_e32 vcc_lo, 0x7f800000, v18
	s_delay_alu instid0(VALU_DEP_2) | instskip(SKIP_2) | instid1(VALU_DEP_2)
	v_sub_nc_u32_e32 v20, 0, v7
	v_cvt_f32_i32_e32 v7, v7
	s_or_b32 vcc_lo, vcc_lo, s26
	v_ldexp_f32 v19, v19, v20
	v_sub_f32_e32 v8, v18, v8
	s_delay_alu instid0(VALU_DEP_1) | instskip(NEXT) | instid1(VALU_DEP_1)
	v_add_f32_e32 v8, v8, v21
	v_ldexp_f32 v8, v8, v20
	s_delay_alu instid0(VALU_DEP_4) | instskip(NEXT) | instid1(VALU_DEP_1)
	v_add_f32_e32 v22, 1.0, v19
	v_add_f32_e32 v21, -1.0, v22
	s_delay_alu instid0(VALU_DEP_1) | instskip(NEXT) | instid1(VALU_DEP_1)
	v_sub_f32_e32 v21, v19, v21
	v_dual_add_f32 v21, v8, v21 :: v_dual_add_f32 v20, -1.0, v19
	s_delay_alu instid0(VALU_DEP_1) | instskip(NEXT) | instid1(VALU_DEP_1)
	v_add_f32_e32 v23, 1.0, v20
	v_sub_f32_e32 v19, v19, v23
	s_delay_alu instid0(VALU_DEP_1) | instskip(NEXT) | instid1(VALU_DEP_1)
	v_dual_add_f32 v23, v22, v21 :: v_dual_add_f32 v8, v8, v19
	v_rcp_f32_e32 v19, v23
	v_sub_f32_e32 v22, v22, v23
	s_delay_alu instid0(VALU_DEP_1) | instskip(SKIP_3) | instid1(VALU_DEP_2)
	v_dual_add_f32 v21, v21, v22 :: v_dual_add_f32 v24, v20, v8
	s_waitcnt_depctr 0xfff
	v_mul_f32_e32 v25, v24, v19
	v_sub_f32_e32 v20, v20, v24
	v_mul_f32_e32 v26, v23, v25
	s_delay_alu instid0(VALU_DEP_1) | instskip(NEXT) | instid1(VALU_DEP_1)
	v_fma_f32 v22, v25, v23, -v26
	v_fmac_f32_e32 v22, v25, v21
	s_delay_alu instid0(VALU_DEP_1) | instskip(NEXT) | instid1(VALU_DEP_1)
	v_dual_add_f32 v27, v26, v22 :: v_dual_add_f32 v8, v8, v20
	v_sub_f32_e32 v28, v24, v27
	v_sub_f32_e32 v20, v27, v26
	s_delay_alu instid0(VALU_DEP_2) | instskip(NEXT) | instid1(VALU_DEP_2)
	v_sub_f32_e32 v24, v24, v28
	v_sub_f32_e32 v20, v20, v22
	s_delay_alu instid0(VALU_DEP_2) | instskip(NEXT) | instid1(VALU_DEP_1)
	v_sub_f32_e32 v24, v24, v27
	v_add_f32_e32 v8, v8, v24
	s_delay_alu instid0(VALU_DEP_1) | instskip(NEXT) | instid1(VALU_DEP_1)
	v_add_f32_e32 v8, v20, v8
	v_add_f32_e32 v20, v28, v8
	s_delay_alu instid0(VALU_DEP_1) | instskip(NEXT) | instid1(VALU_DEP_1)
	v_mul_f32_e32 v22, v19, v20
	v_dual_sub_f32 v27, v28, v20 :: v_dual_mul_f32 v24, v23, v22
	s_delay_alu instid0(VALU_DEP_1) | instskip(NEXT) | instid1(VALU_DEP_2)
	v_add_f32_e32 v8, v8, v27
	v_fma_f32 v23, v22, v23, -v24
	s_delay_alu instid0(VALU_DEP_1) | instskip(NEXT) | instid1(VALU_DEP_1)
	v_fmac_f32_e32 v23, v22, v21
	v_add_f32_e32 v21, v24, v23
	s_delay_alu instid0(VALU_DEP_1) | instskip(SKIP_1) | instid1(VALU_DEP_2)
	v_sub_f32_e32 v26, v20, v21
	v_sub_f32_e32 v24, v21, v24
	;; [unrolled: 1-line block ×3, first 2 shown]
	s_delay_alu instid0(VALU_DEP_1) | instskip(NEXT) | instid1(VALU_DEP_3)
	v_sub_f32_e32 v20, v20, v21
	v_sub_f32_e32 v21, v24, v23
	s_delay_alu instid0(VALU_DEP_2) | instskip(SKIP_1) | instid1(VALU_DEP_1)
	v_add_f32_e32 v8, v8, v20
	v_add_f32_e32 v20, v25, v22
	v_dual_add_f32 v8, v21, v8 :: v_dual_sub_f32 v21, v20, v25
	s_delay_alu instid0(VALU_DEP_1) | instskip(NEXT) | instid1(VALU_DEP_1)
	v_add_f32_e32 v8, v26, v8
	v_dual_sub_f32 v21, v22, v21 :: v_dual_mul_f32 v8, v19, v8
	s_delay_alu instid0(VALU_DEP_1) | instskip(NEXT) | instid1(VALU_DEP_1)
	v_add_f32_e32 v8, v21, v8
	v_add_f32_e32 v19, v20, v8
	s_delay_alu instid0(VALU_DEP_1) | instskip(NEXT) | instid1(VALU_DEP_1)
	v_mul_f32_e32 v21, v19, v19
	v_fmaak_f32 v22, s22, v21, 0x3ecc95a3
	v_mul_f32_e32 v23, v19, v21
	s_delay_alu instid0(VALU_DEP_2) | instskip(SKIP_2) | instid1(VALU_DEP_3)
	v_fmaak_f32 v21, v21, v22, 0x3f2aaada
	v_ldexp_f32 v22, v19, 1
	v_sub_f32_e32 v19, v19, v20
	v_mul_f32_e32 v21, v23, v21
	v_mul_f32_e32 v23, 0x3f317218, v7
	s_delay_alu instid0(VALU_DEP_3) | instskip(NEXT) | instid1(VALU_DEP_3)
	v_sub_f32_e32 v8, v8, v19
	v_add_f32_e32 v20, v22, v21
	s_delay_alu instid0(VALU_DEP_2) | instskip(NEXT) | instid1(VALU_DEP_2)
	v_ldexp_f32 v8, v8, 1
	v_sub_f32_e32 v19, v20, v22
	v_fma_f32 v22, 0x3f317218, v7, -v23
	s_delay_alu instid0(VALU_DEP_2) | instskip(NEXT) | instid1(VALU_DEP_2)
	v_sub_f32_e32 v19, v21, v19
	v_fmac_f32_e32 v22, 0xb102e308, v7
	s_delay_alu instid0(VALU_DEP_1) | instskip(NEXT) | instid1(VALU_DEP_1)
	v_dual_add_f32 v7, v8, v19 :: v_dual_add_f32 v8, v23, v22
	v_sub_f32_e32 v23, v8, v23
	s_delay_alu instid0(VALU_DEP_2) | instskip(NEXT) | instid1(VALU_DEP_2)
	v_add_f32_e32 v19, v20, v7
	v_sub_f32_e32 v22, v22, v23
	s_delay_alu instid0(VALU_DEP_2) | instskip(NEXT) | instid1(VALU_DEP_1)
	v_dual_add_f32 v21, v8, v19 :: v_dual_sub_f32 v20, v19, v20
	v_sub_f32_e32 v24, v21, v8
	s_delay_alu instid0(VALU_DEP_2) | instskip(NEXT) | instid1(VALU_DEP_2)
	v_sub_f32_e32 v7, v7, v20
	v_sub_f32_e32 v25, v21, v24
	s_delay_alu instid0(VALU_DEP_2) | instskip(NEXT) | instid1(VALU_DEP_2)
	v_dual_sub_f32 v19, v19, v24 :: v_dual_add_f32 v20, v22, v7
	v_sub_f32_e32 v8, v8, v25
	s_delay_alu instid0(VALU_DEP_1) | instskip(NEXT) | instid1(VALU_DEP_1)
	v_dual_add_f32 v8, v19, v8 :: v_dual_sub_f32 v19, v20, v22
	v_add_f32_e32 v8, v20, v8
	s_delay_alu instid0(VALU_DEP_2) | instskip(SKIP_1) | instid1(VALU_DEP_3)
	v_sub_f32_e32 v20, v20, v19
	v_sub_f32_e32 v7, v7, v19
	v_add_f32_e32 v23, v21, v8
	s_delay_alu instid0(VALU_DEP_1) | instskip(NEXT) | instid1(VALU_DEP_1)
	v_dual_sub_f32 v20, v22, v20 :: v_dual_sub_f32 v19, v23, v21
	v_dual_add_f32 v7, v7, v20 :: v_dual_sub_f32 v8, v8, v19
	s_delay_alu instid0(VALU_DEP_1) | instskip(NEXT) | instid1(VALU_DEP_1)
	v_add_f32_e32 v7, v7, v8
	v_add_f32_e32 v7, v23, v7
	s_delay_alu instid0(VALU_DEP_1) | instskip(NEXT) | instid1(VALU_DEP_1)
	v_cndmask_b32_e32 v7, v7, v18, vcc_lo
	v_add_f32_e32 v7, v6, v7
.LBB533_45:                             ;   in Loop: Header=BB533_37 Depth=2
	s_or_b32 exec_lo, exec_lo, s25
	s_delay_alu instid0(VALU_DEP_1) | instskip(SKIP_1) | instid1(VALU_DEP_2)
	v_bfe_u32 v6, v7, 16, 1
	v_cmp_o_f32_e32 vcc_lo, v7, v7
	v_add3_u32 v6, v7, v6, 0x7fff
	s_delay_alu instid0(VALU_DEP_1) | instskip(NEXT) | instid1(VALU_DEP_1)
	v_lshrrev_b32_e32 v6, 16, v6
	v_cndmask_b32_e32 v6, 0x7fc0, v6, vcc_lo
	ds_store_b16 v10, v6
.LBB533_46:                             ;   in Loop: Header=BB533_37 Depth=2
	s_or_b32 exec_lo, exec_lo, s24
	v_mov_b32_e32 v19, 0
	s_mov_b32 s24, 0
	s_waitcnt lgkmcnt(0)
	s_barrier
	buffer_gl0_inv
	s_branch .LBB533_49
.LBB533_47:                             ;   in Loop: Header=BB533_49 Depth=3
	s_or_b32 exec_lo, exec_lo, s26
	s_delay_alu instid0(VALU_DEP_1) | instskip(SKIP_1) | instid1(VALU_DEP_2)
	v_bfe_u32 v7, v8, 16, 1
	v_cmp_o_f32_e32 vcc_lo, v8, v8
	v_add3_u32 v7, v8, v7, 0x7fff
	s_delay_alu instid0(VALU_DEP_1) | instskip(NEXT) | instid1(VALU_DEP_1)
	v_lshrrev_b32_e32 v7, 16, v7
	v_cndmask_b32_e32 v7, 0x7fc0, v7, vcc_lo
	ds_store_b16 v6, v7
.LBB533_48:                             ;   in Loop: Header=BB533_49 Depth=3
	s_or_b32 exec_lo, exec_lo, s25
	s_delay_alu instid0(VALU_DEP_1)
	v_cmp_eq_u32_e32 vcc_lo, s20, v18
	v_mov_b32_e32 v19, v18
	s_waitcnt lgkmcnt(0)
	s_barrier
	buffer_gl0_inv
	s_or_b32 s24, vcc_lo, s24
	s_delay_alu instid0(SALU_CYCLE_1)
	s_and_not1_b32 exec_lo, exec_lo, s24
	s_cbranch_execz .LBB533_56
.LBB533_49:                             ;   Parent Loop BB533_34 Depth=1
                                        ;     Parent Loop BB533_37 Depth=2
                                        ; =>    This Inner Loop Header: Depth=3
	v_add_nc_u32_e32 v18, 1, v19
	s_and_saveexec_b32 s25, s2
	s_delay_alu instid0(SALU_CYCLE_1)
	s_xor_b32 s25, exec_lo, s25
; %bb.50:                               ;   in Loop: Header=BB533_49 Depth=3
	v_add_nc_u32_e32 v18, 1, v19
                                        ; implicit-def: $vgpr19
; %bb.51:                               ;   in Loop: Header=BB533_49 Depth=3
	s_and_not1_saveexec_b32 s25, s25
	s_cbranch_execz .LBB533_48
; %bb.52:                               ;   in Loop: Header=BB533_49 Depth=3
	v_lshlrev_b32_e64 v6, v19, 1
	s_delay_alu instid0(VALU_DEP_1) | instskip(NEXT) | instid1(VALU_DEP_1)
	v_ashrrev_i32_e32 v7, 31, v6
	v_cmp_ge_u64_e32 vcc_lo, v[0:1], v[6:7]
	v_dual_mov_b32 v8, v1 :: v_dual_mov_b32 v7, v0
	s_and_saveexec_b32 s26, vcc_lo
	s_cbranch_execz .LBB533_54
; %bb.53:                               ;   in Loop: Header=BB533_49 Depth=3
	v_cvt_f32_u32_e32 v7, v6
	v_sub_nc_u32_e32 v8, 0, v6
	s_delay_alu instid0(VALU_DEP_2) | instskip(SKIP_2) | instid1(VALU_DEP_1)
	v_rcp_iflag_f32_e32 v7, v7
	s_waitcnt_depctr 0xfff
	v_mul_f32_e32 v7, 0x4f7ffffe, v7
	v_cvt_u32_f32_e32 v7, v7
	s_delay_alu instid0(VALU_DEP_1) | instskip(NEXT) | instid1(VALU_DEP_1)
	v_mul_lo_u32 v8, v8, v7
	v_mul_hi_u32 v8, v7, v8
	s_delay_alu instid0(VALU_DEP_1) | instskip(NEXT) | instid1(VALU_DEP_1)
	v_add_nc_u32_e32 v7, v7, v8
	v_mul_hi_u32 v7, v0, v7
	s_delay_alu instid0(VALU_DEP_1) | instskip(NEXT) | instid1(VALU_DEP_1)
	v_mul_lo_u32 v7, v7, v6
	v_sub_nc_u32_e32 v7, v0, v7
	s_delay_alu instid0(VALU_DEP_1) | instskip(SKIP_1) | instid1(VALU_DEP_2)
	v_sub_nc_u32_e32 v8, v7, v6
	v_cmp_ge_u32_e32 vcc_lo, v7, v6
	v_cndmask_b32_e32 v7, v7, v8, vcc_lo
	s_delay_alu instid0(VALU_DEP_1) | instskip(SKIP_1) | instid1(VALU_DEP_2)
	v_sub_nc_u32_e32 v8, v7, v6
	v_cmp_ge_u32_e32 vcc_lo, v7, v6
	v_cndmask_b32_e32 v7, v7, v8, vcc_lo
.LBB533_54:                             ;   in Loop: Header=BB533_49 Depth=3
	s_or_b32 exec_lo, exec_lo, s26
	v_lshrrev_b32_e32 v8, v19, v0
	s_delay_alu instid0(VALU_DEP_1) | instskip(NEXT) | instid1(VALU_DEP_1)
	v_lshl_or_b32 v6, v8, v18, v6
	v_lshl_add_u32 v6, v6, 1, v10
	s_delay_alu instid0(VALU_DEP_1)
	v_add_nc_u32_e32 v8, -2, v6
	v_lshl_add_u32 v6, v7, 1, v6
	ds_load_u16 v7, v8
	ds_load_u16 v8, v6
	s_waitcnt lgkmcnt(0)
	v_lshlrev_b32_e32 v8, 16, v8
	s_delay_alu instid0(VALU_DEP_1) | instskip(NEXT) | instid1(VALU_DEP_1)
	v_dual_max_f32 v20, v8, v8 :: v_dual_lshlrev_b32 v7, 16, v7
	v_max_f32_e32 v19, v7, v7
	s_delay_alu instid0(VALU_DEP_1) | instskip(SKIP_1) | instid1(VALU_DEP_2)
	v_min_f32_e32 v21, v20, v19
	v_cmp_u_f32_e32 vcc_lo, v8, v8
	v_dual_max_f32 v19, v20, v19 :: v_dual_cndmask_b32 v20, v21, v8
	s_delay_alu instid0(VALU_DEP_1) | instskip(SKIP_1) | instid1(VALU_DEP_3)
	v_cndmask_b32_e32 v21, v19, v8, vcc_lo
	v_cmp_u_f32_e32 vcc_lo, v7, v7
	v_cndmask_b32_e32 v19, v20, v7, vcc_lo
	s_delay_alu instid0(VALU_DEP_3) | instskip(NEXT) | instid1(VALU_DEP_2)
	v_cndmask_b32_e32 v7, v21, v7, vcc_lo
	v_cmp_class_f32_e64 s26, v19, 0x1f8
	s_delay_alu instid0(VALU_DEP_2) | instskip(NEXT) | instid1(VALU_DEP_2)
	v_cmp_neq_f32_e32 vcc_lo, v19, v7
	s_or_b32 s27, vcc_lo, s26
	s_delay_alu instid0(SALU_CYCLE_1)
	s_and_saveexec_b32 s26, s27
	s_cbranch_execz .LBB533_47
; %bb.55:                               ;   in Loop: Header=BB533_49 Depth=3
	v_sub_f32_e32 v8, v19, v7
	s_delay_alu instid0(VALU_DEP_1) | instskip(SKIP_1) | instid1(VALU_DEP_2)
	v_mul_f32_e32 v19, 0x3fb8aa3b, v8
	v_cmp_ngt_f32_e32 vcc_lo, 0xc2ce8ed0, v8
	v_fma_f32 v20, 0x3fb8aa3b, v8, -v19
	v_rndne_f32_e32 v21, v19
	s_delay_alu instid0(VALU_DEP_1) | instskip(NEXT) | instid1(VALU_DEP_1)
	v_dual_fmac_f32 v20, 0x32a5705f, v8 :: v_dual_sub_f32 v19, v19, v21
	v_add_f32_e32 v19, v19, v20
	v_cvt_i32_f32_e32 v20, v21
	s_delay_alu instid0(VALU_DEP_2) | instskip(SKIP_2) | instid1(VALU_DEP_1)
	v_exp_f32_e32 v19, v19
	s_waitcnt_depctr 0xfff
	v_ldexp_f32 v19, v19, v20
	v_cndmask_b32_e32 v19, 0, v19, vcc_lo
	v_cmp_nlt_f32_e32 vcc_lo, 0x42b17218, v8
	s_delay_alu instid0(VALU_DEP_2) | instskip(NEXT) | instid1(VALU_DEP_1)
	v_cndmask_b32_e32 v8, 0x7f800000, v19, vcc_lo
	v_add_f32_e32 v21, 1.0, v8
	s_delay_alu instid0(VALU_DEP_1) | instskip(NEXT) | instid1(VALU_DEP_1)
	v_cvt_f64_f32_e32 v[19:20], v21
	v_frexp_exp_i32_f64_e32 v19, v[19:20]
	v_frexp_mant_f32_e32 v20, v21
	s_delay_alu instid0(VALU_DEP_1) | instskip(SKIP_1) | instid1(VALU_DEP_1)
	v_cmp_gt_f32_e32 vcc_lo, 0x3f2aaaab, v20
	v_add_f32_e32 v20, -1.0, v21
	v_sub_f32_e32 v23, v20, v21
	s_delay_alu instid0(VALU_DEP_1) | instskip(NEXT) | instid1(VALU_DEP_1)
	v_dual_sub_f32 v20, v8, v20 :: v_dual_add_f32 v23, 1.0, v23
	v_add_f32_e32 v20, v20, v23
	v_subrev_co_ci_u32_e32 v19, vcc_lo, 0, v19, vcc_lo
	s_delay_alu instid0(VALU_DEP_1) | instskip(SKIP_1) | instid1(VALU_DEP_2)
	v_sub_nc_u32_e32 v22, 0, v19
	v_cvt_f32_i32_e32 v19, v19
	v_ldexp_f32 v21, v21, v22
	v_ldexp_f32 v20, v20, v22
	s_delay_alu instid0(VALU_DEP_2) | instskip(NEXT) | instid1(VALU_DEP_1)
	v_add_f32_e32 v22, -1.0, v21
	v_dual_add_f32 v24, 1.0, v21 :: v_dual_add_f32 v25, 1.0, v22
	s_delay_alu instid0(VALU_DEP_1) | instskip(SKIP_2) | instid1(VALU_DEP_3)
	v_add_f32_e32 v23, -1.0, v24
	v_cmp_eq_f32_e32 vcc_lo, 0x7f800000, v8
	v_cmp_gt_f32_e64 s27, 0x33800000, |v8|
	v_sub_f32_e32 v23, v21, v23
	v_sub_f32_e32 v21, v21, v25
	s_delay_alu instid0(VALU_DEP_3) | instskip(NEXT) | instid1(VALU_DEP_2)
	s_or_b32 vcc_lo, vcc_lo, s27
	v_add_f32_e32 v23, v20, v23
	s_delay_alu instid0(VALU_DEP_2) | instskip(NEXT) | instid1(VALU_DEP_1)
	v_add_f32_e32 v20, v20, v21
	v_dual_add_f32 v26, v22, v20 :: v_dual_add_f32 v25, v24, v23
	s_delay_alu instid0(VALU_DEP_1) | instskip(NEXT) | instid1(VALU_DEP_2)
	v_sub_f32_e32 v22, v22, v26
	v_rcp_f32_e32 v21, v25
	v_sub_f32_e32 v24, v24, v25
	s_delay_alu instid0(VALU_DEP_1) | instskip(SKIP_2) | instid1(VALU_DEP_1)
	v_dual_add_f32 v20, v20, v22 :: v_dual_add_f32 v23, v23, v24
	s_waitcnt_depctr 0xfff
	v_mul_f32_e32 v27, v26, v21
	v_mul_f32_e32 v28, v25, v27
	s_delay_alu instid0(VALU_DEP_1) | instskip(NEXT) | instid1(VALU_DEP_1)
	v_fma_f32 v24, v27, v25, -v28
	v_fmac_f32_e32 v24, v27, v23
	s_delay_alu instid0(VALU_DEP_1) | instskip(NEXT) | instid1(VALU_DEP_1)
	v_add_f32_e32 v29, v28, v24
	v_sub_f32_e32 v30, v26, v29
	s_delay_alu instid0(VALU_DEP_1) | instskip(SKIP_1) | instid1(VALU_DEP_2)
	v_sub_f32_e32 v26, v26, v30
	v_sub_f32_e32 v22, v29, v28
	;; [unrolled: 1-line block ×3, first 2 shown]
	s_delay_alu instid0(VALU_DEP_2) | instskip(NEXT) | instid1(VALU_DEP_2)
	v_sub_f32_e32 v22, v22, v24
	v_add_f32_e32 v20, v20, v26
	s_delay_alu instid0(VALU_DEP_1) | instskip(NEXT) | instid1(VALU_DEP_1)
	v_add_f32_e32 v20, v22, v20
	v_add_f32_e32 v22, v30, v20
	s_delay_alu instid0(VALU_DEP_1) | instskip(NEXT) | instid1(VALU_DEP_1)
	v_mul_f32_e32 v24, v21, v22
	v_dual_sub_f32 v29, v30, v22 :: v_dual_mul_f32 v26, v25, v24
	s_delay_alu instid0(VALU_DEP_1) | instskip(NEXT) | instid1(VALU_DEP_2)
	v_add_f32_e32 v20, v20, v29
	v_fma_f32 v25, v24, v25, -v26
	s_delay_alu instid0(VALU_DEP_1) | instskip(NEXT) | instid1(VALU_DEP_1)
	v_fmac_f32_e32 v25, v24, v23
	v_add_f32_e32 v23, v26, v25
	s_delay_alu instid0(VALU_DEP_1) | instskip(SKIP_1) | instid1(VALU_DEP_2)
	v_sub_f32_e32 v28, v22, v23
	v_sub_f32_e32 v26, v23, v26
	;; [unrolled: 1-line block ×3, first 2 shown]
	s_delay_alu instid0(VALU_DEP_1) | instskip(NEXT) | instid1(VALU_DEP_1)
	v_sub_f32_e32 v22, v22, v23
	v_dual_sub_f32 v23, v26, v25 :: v_dual_add_f32 v20, v20, v22
	v_add_f32_e32 v22, v27, v24
	s_delay_alu instid0(VALU_DEP_1) | instskip(NEXT) | instid1(VALU_DEP_1)
	v_dual_add_f32 v20, v23, v20 :: v_dual_sub_f32 v23, v22, v27
	v_add_f32_e32 v20, v28, v20
	s_delay_alu instid0(VALU_DEP_1) | instskip(NEXT) | instid1(VALU_DEP_1)
	v_dual_sub_f32 v23, v24, v23 :: v_dual_mul_f32 v20, v21, v20
	v_add_f32_e32 v20, v23, v20
	s_delay_alu instid0(VALU_DEP_1) | instskip(NEXT) | instid1(VALU_DEP_1)
	v_add_f32_e32 v21, v22, v20
	v_mul_f32_e32 v23, v21, v21
	s_delay_alu instid0(VALU_DEP_1) | instskip(SKIP_1) | instid1(VALU_DEP_2)
	v_fmaak_f32 v24, s22, v23, 0x3ecc95a3
	v_mul_f32_e32 v25, v21, v23
	v_fmaak_f32 v23, v23, v24, 0x3f2aaada
	v_ldexp_f32 v24, v21, 1
	v_sub_f32_e32 v21, v21, v22
	s_delay_alu instid0(VALU_DEP_3) | instskip(NEXT) | instid1(VALU_DEP_2)
	v_mul_f32_e32 v23, v25, v23
	v_dual_mul_f32 v25, 0x3f317218, v19 :: v_dual_sub_f32 v20, v20, v21
	s_delay_alu instid0(VALU_DEP_2) | instskip(NEXT) | instid1(VALU_DEP_2)
	v_add_f32_e32 v22, v24, v23
	v_ldexp_f32 v20, v20, 1
	s_delay_alu instid0(VALU_DEP_2) | instskip(NEXT) | instid1(VALU_DEP_4)
	v_sub_f32_e32 v21, v22, v24
	v_fma_f32 v24, 0x3f317218, v19, -v25
	s_delay_alu instid0(VALU_DEP_1) | instskip(NEXT) | instid1(VALU_DEP_1)
	v_dual_sub_f32 v21, v23, v21 :: v_dual_fmac_f32 v24, 0xb102e308, v19
	v_add_f32_e32 v19, v20, v21
	s_delay_alu instid0(VALU_DEP_1) | instskip(NEXT) | instid1(VALU_DEP_1)
	v_add_f32_e32 v21, v22, v19
	v_sub_f32_e32 v22, v21, v22
	s_delay_alu instid0(VALU_DEP_1) | instskip(NEXT) | instid1(VALU_DEP_1)
	v_dual_sub_f32 v19, v19, v22 :: v_dual_add_f32 v20, v25, v24
	v_add_f32_e32 v23, v20, v21
	s_delay_alu instid0(VALU_DEP_1) | instskip(NEXT) | instid1(VALU_DEP_1)
	v_dual_sub_f32 v25, v20, v25 :: v_dual_sub_f32 v26, v23, v20
	v_dual_sub_f32 v24, v24, v25 :: v_dual_sub_f32 v27, v23, v26
	s_delay_alu instid0(VALU_DEP_1) | instskip(NEXT) | instid1(VALU_DEP_2)
	v_dual_sub_f32 v21, v21, v26 :: v_dual_add_f32 v22, v24, v19
	v_sub_f32_e32 v20, v20, v27
	s_delay_alu instid0(VALU_DEP_1) | instskip(NEXT) | instid1(VALU_DEP_3)
	v_add_f32_e32 v20, v21, v20
	v_sub_f32_e32 v21, v22, v24
	s_delay_alu instid0(VALU_DEP_2) | instskip(NEXT) | instid1(VALU_DEP_2)
	v_add_f32_e32 v20, v22, v20
	v_sub_f32_e32 v22, v22, v21
	v_sub_f32_e32 v19, v19, v21
	s_delay_alu instid0(VALU_DEP_2) | instskip(NEXT) | instid1(VALU_DEP_1)
	v_dual_add_f32 v25, v23, v20 :: v_dual_sub_f32 v22, v24, v22
	v_sub_f32_e32 v21, v25, v23
	s_delay_alu instid0(VALU_DEP_1) | instskip(NEXT) | instid1(VALU_DEP_1)
	v_dual_add_f32 v19, v19, v22 :: v_dual_sub_f32 v20, v20, v21
	v_add_f32_e32 v19, v19, v20
	s_delay_alu instid0(VALU_DEP_1) | instskip(NEXT) | instid1(VALU_DEP_1)
	v_add_f32_e32 v19, v25, v19
	v_cndmask_b32_e32 v8, v19, v8, vcc_lo
	s_delay_alu instid0(VALU_DEP_1)
	v_add_f32_e32 v8, v7, v8
	s_branch .LBB533_47
.LBB533_56:                             ;   in Loop: Header=BB533_37 Depth=2
	s_or_b32 exec_lo, exec_lo, s24
	s_and_saveexec_b32 s24, s1
	s_cbranch_execz .LBB533_36
; %bb.57:                               ;   in Loop: Header=BB533_37 Depth=2
	s_mov_b32 s25, exec_lo
	v_cmpx_gt_u64_e64 s[10:11], v[4:5]
	s_cbranch_execz .LBB533_59
; %bb.58:                               ;   in Loop: Header=BB533_37 Depth=2
	ds_load_u16 v6, v11
	v_lshlrev_b64 v[4:5], 1, v[4:5]
	s_delay_alu instid0(VALU_DEP_1) | instskip(NEXT) | instid1(VALU_DEP_2)
	v_add_co_u32 v4, vcc_lo, v16, v4
	v_add_co_ci_u32_e32 v5, vcc_lo, v17, v5, vcc_lo
	s_waitcnt lgkmcnt(0)
	global_store_b16 v[4:5], v6, off
.LBB533_59:                             ;   in Loop: Header=BB533_37 Depth=2
	s_or_b32 exec_lo, exec_lo, s25
	v_cmp_gt_u64_e32 vcc_lo, s[10:11], v[2:3]
	s_and_b32 exec_lo, exec_lo, vcc_lo
	s_cbranch_execz .LBB533_36
; %bb.60:                               ;   in Loop: Header=BB533_37 Depth=2
	ds_load_u16 v4, v13
	v_lshlrev_b64 v[2:3], 1, v[2:3]
	s_delay_alu instid0(VALU_DEP_1) | instskip(NEXT) | instid1(VALU_DEP_2)
	v_add_co_u32 v2, vcc_lo, v16, v2
	v_add_co_ci_u32_e32 v3, vcc_lo, v17, v3, vcc_lo
	s_waitcnt lgkmcnt(0)
	global_store_b16 v[2:3], v4, off
	s_branch .LBB533_36
.LBB533_61:
	s_endpgm
	.section	.rodata,"a",@progbits
	.p2align	6, 0x0
	.amdhsa_kernel _ZN2at6native32tensor_kernel_scan_innermost_dimIN3c108BFloat16EZZZNS0_31launch_logcumsumexp_cuda_kernelERKNS_10TensorBaseES6_lENKUlvE_clEvENKUlvE4_clEvEUlS3_S3_E_EEvPT_PKSA_jjjSA_T0_
		.amdhsa_group_segment_fixed_size 0
		.amdhsa_private_segment_fixed_size 0
		.amdhsa_kernarg_size 288
		.amdhsa_user_sgpr_count 15
		.amdhsa_user_sgpr_dispatch_ptr 0
		.amdhsa_user_sgpr_queue_ptr 0
		.amdhsa_user_sgpr_kernarg_segment_ptr 1
		.amdhsa_user_sgpr_dispatch_id 0
		.amdhsa_user_sgpr_private_segment_size 0
		.amdhsa_wavefront_size32 1
		.amdhsa_uses_dynamic_stack 0
		.amdhsa_enable_private_segment 0
		.amdhsa_system_sgpr_workgroup_id_x 1
		.amdhsa_system_sgpr_workgroup_id_y 0
		.amdhsa_system_sgpr_workgroup_id_z 0
		.amdhsa_system_sgpr_workgroup_info 0
		.amdhsa_system_vgpr_workitem_id 1
		.amdhsa_next_free_vgpr 31
		.amdhsa_next_free_sgpr 28
		.amdhsa_reserve_vcc 1
		.amdhsa_float_round_mode_32 0
		.amdhsa_float_round_mode_16_64 0
		.amdhsa_float_denorm_mode_32 3
		.amdhsa_float_denorm_mode_16_64 3
		.amdhsa_dx10_clamp 1
		.amdhsa_ieee_mode 1
		.amdhsa_fp16_overflow 0
		.amdhsa_workgroup_processor_mode 1
		.amdhsa_memory_ordered 1
		.amdhsa_forward_progress 0
		.amdhsa_shared_vgpr_count 0
		.amdhsa_exception_fp_ieee_invalid_op 0
		.amdhsa_exception_fp_denorm_src 0
		.amdhsa_exception_fp_ieee_div_zero 0
		.amdhsa_exception_fp_ieee_overflow 0
		.amdhsa_exception_fp_ieee_underflow 0
		.amdhsa_exception_fp_ieee_inexact 0
		.amdhsa_exception_int_div_zero 0
	.end_amdhsa_kernel
	.section	.text._ZN2at6native32tensor_kernel_scan_innermost_dimIN3c108BFloat16EZZZNS0_31launch_logcumsumexp_cuda_kernelERKNS_10TensorBaseES6_lENKUlvE_clEvENKUlvE4_clEvEUlS3_S3_E_EEvPT_PKSA_jjjSA_T0_,"axG",@progbits,_ZN2at6native32tensor_kernel_scan_innermost_dimIN3c108BFloat16EZZZNS0_31launch_logcumsumexp_cuda_kernelERKNS_10TensorBaseES6_lENKUlvE_clEvENKUlvE4_clEvEUlS3_S3_E_EEvPT_PKSA_jjjSA_T0_,comdat
.Lfunc_end533:
	.size	_ZN2at6native32tensor_kernel_scan_innermost_dimIN3c108BFloat16EZZZNS0_31launch_logcumsumexp_cuda_kernelERKNS_10TensorBaseES6_lENKUlvE_clEvENKUlvE4_clEvEUlS3_S3_E_EEvPT_PKSA_jjjSA_T0_, .Lfunc_end533-_ZN2at6native32tensor_kernel_scan_innermost_dimIN3c108BFloat16EZZZNS0_31launch_logcumsumexp_cuda_kernelERKNS_10TensorBaseES6_lENKUlvE_clEvENKUlvE4_clEvEUlS3_S3_E_EEvPT_PKSA_jjjSA_T0_
                                        ; -- End function
	.section	.AMDGPU.csdata,"",@progbits
; Kernel info:
; codeLenInByte = 5804
; NumSgprs: 30
; NumVgprs: 31
; ScratchSize: 0
; MemoryBound: 0
; FloatMode: 240
; IeeeMode: 1
; LDSByteSize: 0 bytes/workgroup (compile time only)
; SGPRBlocks: 3
; VGPRBlocks: 3
; NumSGPRsForWavesPerEU: 30
; NumVGPRsForWavesPerEU: 31
; Occupancy: 16
; WaveLimiterHint : 0
; COMPUTE_PGM_RSRC2:SCRATCH_EN: 0
; COMPUTE_PGM_RSRC2:USER_SGPR: 15
; COMPUTE_PGM_RSRC2:TRAP_HANDLER: 0
; COMPUTE_PGM_RSRC2:TGID_X_EN: 1
; COMPUTE_PGM_RSRC2:TGID_Y_EN: 0
; COMPUTE_PGM_RSRC2:TGID_Z_EN: 0
; COMPUTE_PGM_RSRC2:TIDIG_COMP_CNT: 1
	.section	.text._ZN2at6native28tensor_kernel_scan_outer_dimIN3c108BFloat16EjZZZNS0_31launch_logcumsumexp_cuda_kernelERKNS_10TensorBaseES6_lENKUlvE_clEvENKUlvE4_clEvEUlS3_S3_E_EEvPT_PKSA_jjjSA_T1_,"axG",@progbits,_ZN2at6native28tensor_kernel_scan_outer_dimIN3c108BFloat16EjZZZNS0_31launch_logcumsumexp_cuda_kernelERKNS_10TensorBaseES6_lENKUlvE_clEvENKUlvE4_clEvEUlS3_S3_E_EEvPT_PKSA_jjjSA_T1_,comdat
	.globl	_ZN2at6native28tensor_kernel_scan_outer_dimIN3c108BFloat16EjZZZNS0_31launch_logcumsumexp_cuda_kernelERKNS_10TensorBaseES6_lENKUlvE_clEvENKUlvE4_clEvEUlS3_S3_E_EEvPT_PKSA_jjjSA_T1_ ; -- Begin function _ZN2at6native28tensor_kernel_scan_outer_dimIN3c108BFloat16EjZZZNS0_31launch_logcumsumexp_cuda_kernelERKNS_10TensorBaseES6_lENKUlvE_clEvENKUlvE4_clEvEUlS3_S3_E_EEvPT_PKSA_jjjSA_T1_
	.p2align	8
	.type	_ZN2at6native28tensor_kernel_scan_outer_dimIN3c108BFloat16EjZZZNS0_31launch_logcumsumexp_cuda_kernelERKNS_10TensorBaseES6_lENKUlvE_clEvENKUlvE4_clEvEUlS3_S3_E_EEvPT_PKSA_jjjSA_T1_,@function
_ZN2at6native28tensor_kernel_scan_outer_dimIN3c108BFloat16EjZZZNS0_31launch_logcumsumexp_cuda_kernelERKNS_10TensorBaseES6_lENKUlvE_clEvENKUlvE4_clEvEUlS3_S3_E_EEvPT_PKSA_jjjSA_T1_: ; @_ZN2at6native28tensor_kernel_scan_outer_dimIN3c108BFloat16EjZZZNS0_31launch_logcumsumexp_cuda_kernelERKNS_10TensorBaseES6_lENKUlvE_clEvENKUlvE4_clEvEUlS3_S3_E_EEvPT_PKSA_jjjSA_T1_
; %bb.0:
	s_load_b128 s[4:7], s[0:1], 0x10
	s_waitcnt lgkmcnt(0)
	s_cmp_ge_u32 s14, s4
	s_cbranch_scc1 .LBB534_11
; %bb.1:
	s_clause 0x2
	s_load_b32 s12, s[0:1], 0x2c
	s_load_b32 s20, s[0:1], 0x20
	s_load_b128 s[8:11], s[0:1], 0x0
	s_add_u32 s2, s0, 32
	s_addc_u32 s3, s1, 0
	s_mul_i32 s0, s14, s6
	v_mov_b32_e32 v3, 0
	s_mul_i32 s18, s0, s5
	s_mov_b32 s13, 0
	s_mov_b32 s22, 0x3e9b6dac
	s_waitcnt lgkmcnt(0)
	s_and_b32 s1, s12, 0xffff
	s_mov_b32 s12, s5
	v_mad_u64_u32 v[1:2], null, s15, s1, v[0:1]
	s_mul_i32 s15, s20, s6
	s_cmp_lg_u32 s6, 0
	s_mul_i32 s15, s15, s5
	s_cselect_b32 s21, -1, 0
	s_lshl_b64 s[16:17], s[12:13], 1
	s_mov_b32 s12, s18
	s_delay_alu instid0(VALU_DEP_1)
	v_cmp_gt_u32_e64 s0, s5, v1
	s_branch .LBB534_3
.LBB534_2:                              ;   in Loop: Header=BB534_3 Depth=1
	s_or_b32 exec_lo, exec_lo, s23
	s_add_i32 s14, s20, s14
	s_add_i32 s12, s12, s15
	s_cmp_ge_u32 s14, s4
	s_cbranch_scc1 .LBB534_11
.LBB534_3:                              ; =>This Loop Header: Depth=1
                                        ;     Child Loop BB534_6 Depth 2
                                        ;       Child Loop BB534_9 Depth 3
	s_delay_alu instid0(VALU_DEP_1)
	s_and_saveexec_b32 s23, s0
	s_cbranch_execz .LBB534_2
; %bb.4:                                ;   in Loop: Header=BB534_3 Depth=1
	s_load_b32 s24, s[2:3], 0x4
	v_mov_b32_e32 v2, v1
	s_lshl_b64 s[18:19], s[12:13], 1
	s_mov_b32 s25, 0
	s_waitcnt lgkmcnt(0)
	s_mul_i32 s24, s24, s1
	s_branch .LBB534_6
.LBB534_5:                              ;   in Loop: Header=BB534_6 Depth=2
	v_add_nc_u32_e32 v2, s24, v2
	s_delay_alu instid0(VALU_DEP_1) | instskip(SKIP_1) | instid1(SALU_CYCLE_1)
	v_cmp_le_u32_e32 vcc_lo, s5, v2
	s_or_b32 s25, vcc_lo, s25
	s_and_not1_b32 exec_lo, exec_lo, s25
	s_cbranch_execz .LBB534_2
.LBB534_6:                              ;   Parent Loop BB534_3 Depth=1
                                        ; =>  This Loop Header: Depth=2
                                        ;       Child Loop BB534_9 Depth 3
	s_and_not1_b32 vcc_lo, exec_lo, s21
	s_cbranch_vccnz .LBB534_5
; %bb.7:                                ;   in Loop: Header=BB534_6 Depth=2
	v_lshlrev_b64 v[4:5], 1, v[2:3]
	s_mov_b32 s26, s6
	s_delay_alu instid0(VALU_DEP_1) | instskip(NEXT) | instid1(VALU_DEP_2)
	v_add_co_u32 v0, vcc_lo, s18, v4
	v_add_co_ci_u32_e32 v4, vcc_lo, s19, v5, vcc_lo
	v_mov_b32_e32 v5, s7
	s_branch .LBB534_9
.LBB534_8:                              ;   in Loop: Header=BB534_9 Depth=3
	s_or_b32 exec_lo, exec_lo, s27
	s_delay_alu instid0(VALU_DEP_1) | instskip(SKIP_2) | instid1(VALU_DEP_3)
	v_bfe_u32 v5, v6, 16, 1
	v_add_co_u32 v7, vcc_lo, s8, v0
	v_add_co_ci_u32_e32 v8, vcc_lo, s9, v4, vcc_lo
	v_add3_u32 v5, v6, v5, 0x7fff
	v_cmp_o_f32_e32 vcc_lo, v6, v6
	s_add_i32 s26, s26, -1
	s_delay_alu instid0(SALU_CYCLE_1) | instskip(NEXT) | instid1(VALU_DEP_2)
	s_cmp_eq_u32 s26, 0
	v_lshrrev_b32_e32 v5, 16, v5
	s_delay_alu instid0(VALU_DEP_1)
	v_cndmask_b32_e32 v5, 0x7fc0, v5, vcc_lo
	v_add_co_u32 v0, vcc_lo, v0, s16
	v_add_co_ci_u32_e32 v4, vcc_lo, s17, v4, vcc_lo
	global_store_b16 v[7:8], v5, off
	s_cbranch_scc1 .LBB534_5
.LBB534_9:                              ;   Parent Loop BB534_3 Depth=1
                                        ;     Parent Loop BB534_6 Depth=2
                                        ; =>    This Inner Loop Header: Depth=3
	s_delay_alu instid0(VALU_DEP_3) | instskip(NEXT) | instid1(VALU_DEP_3)
	v_add_co_u32 v6, vcc_lo, s10, v0
	v_add_co_ci_u32_e32 v7, vcc_lo, s11, v4, vcc_lo
	global_load_u16 v7, v[6:7], off
	v_lshlrev_b32_e32 v6, 16, v5
	s_waitcnt vmcnt(0)
	v_lshlrev_b32_e32 v5, 16, v7
	s_delay_alu instid0(VALU_DEP_1) | instskip(NEXT) | instid1(VALU_DEP_1)
	v_dual_max_f32 v7, v6, v6 :: v_dual_max_f32 v8, v5, v5
	v_min_f32_e32 v9, v7, v8
	v_max_f32_e32 v7, v7, v8
	v_cmp_u_f32_e32 vcc_lo, v6, v6
	s_delay_alu instid0(VALU_DEP_3) | instskip(NEXT) | instid1(VALU_DEP_3)
	v_cndmask_b32_e32 v8, v9, v6, vcc_lo
	v_cndmask_b32_e32 v9, v7, v6, vcc_lo
	v_cmp_u_f32_e32 vcc_lo, v5, v5
	s_delay_alu instid0(VALU_DEP_3) | instskip(NEXT) | instid1(VALU_DEP_3)
	v_cndmask_b32_e32 v7, v8, v5, vcc_lo
	v_cndmask_b32_e32 v5, v9, v5, vcc_lo
	s_delay_alu instid0(VALU_DEP_2) | instskip(NEXT) | instid1(VALU_DEP_2)
	v_cmp_class_f32_e64 s27, v7, 0x1f8
	v_cmp_neq_f32_e32 vcc_lo, v7, v5
	s_delay_alu instid0(VALU_DEP_2) | instskip(NEXT) | instid1(SALU_CYCLE_1)
	s_or_b32 s28, vcc_lo, s27
	s_and_saveexec_b32 s27, s28
	s_cbranch_execz .LBB534_8
; %bb.10:                               ;   in Loop: Header=BB534_9 Depth=3
	v_sub_f32_e32 v6, v7, v5
	s_delay_alu instid0(VALU_DEP_1) | instskip(SKIP_1) | instid1(VALU_DEP_2)
	v_mul_f32_e32 v7, 0x3fb8aa3b, v6
	v_cmp_ngt_f32_e32 vcc_lo, 0xc2ce8ed0, v6
	v_fma_f32 v8, 0x3fb8aa3b, v6, -v7
	v_rndne_f32_e32 v9, v7
	s_delay_alu instid0(VALU_DEP_1) | instskip(NEXT) | instid1(VALU_DEP_1)
	v_dual_fmac_f32 v8, 0x32a5705f, v6 :: v_dual_sub_f32 v7, v7, v9
	v_add_f32_e32 v7, v7, v8
	v_cvt_i32_f32_e32 v8, v9
	s_delay_alu instid0(VALU_DEP_2) | instskip(SKIP_2) | instid1(VALU_DEP_1)
	v_exp_f32_e32 v7, v7
	s_waitcnt_depctr 0xfff
	v_ldexp_f32 v7, v7, v8
	v_cndmask_b32_e32 v7, 0, v7, vcc_lo
	v_cmp_nlt_f32_e32 vcc_lo, 0x42b17218, v6
	s_delay_alu instid0(VALU_DEP_2) | instskip(NEXT) | instid1(VALU_DEP_1)
	v_cndmask_b32_e32 v8, 0x7f800000, v7, vcc_lo
	v_add_f32_e32 v9, 1.0, v8
	s_delay_alu instid0(VALU_DEP_1) | instskip(NEXT) | instid1(VALU_DEP_1)
	v_cvt_f64_f32_e32 v[6:7], v9
	v_frexp_exp_i32_f64_e32 v6, v[6:7]
	v_frexp_mant_f32_e32 v7, v9
	s_delay_alu instid0(VALU_DEP_1) | instskip(SKIP_2) | instid1(VALU_DEP_2)
	v_cmp_gt_f32_e32 vcc_lo, 0x3f2aaaab, v7
	v_add_f32_e32 v7, -1.0, v9
	v_cmp_gt_f32_e64 s28, 0x33800000, |v8|
	v_sub_f32_e32 v11, v7, v9
	v_sub_f32_e32 v7, v8, v7
	v_subrev_co_ci_u32_e32 v6, vcc_lo, 0, v6, vcc_lo
	v_cmp_eq_f32_e32 vcc_lo, 0x7f800000, v8
	s_delay_alu instid0(VALU_DEP_2) | instskip(SKIP_2) | instid1(VALU_DEP_2)
	v_sub_nc_u32_e32 v10, 0, v6
	v_cvt_f32_i32_e32 v6, v6
	s_or_b32 vcc_lo, vcc_lo, s28
	v_ldexp_f32 v9, v9, v10
	s_delay_alu instid0(VALU_DEP_1) | instskip(NEXT) | instid1(VALU_DEP_1)
	v_dual_add_f32 v12, 1.0, v9 :: v_dual_add_f32 v11, 1.0, v11
	v_add_f32_e32 v7, v7, v11
	s_delay_alu instid0(VALU_DEP_2) | instskip(NEXT) | instid1(VALU_DEP_2)
	v_add_f32_e32 v11, -1.0, v12
	v_ldexp_f32 v7, v7, v10
	s_delay_alu instid0(VALU_DEP_2) | instskip(NEXT) | instid1(VALU_DEP_1)
	v_dual_add_f32 v10, -1.0, v9 :: v_dual_sub_f32 v11, v9, v11
	v_add_f32_e32 v13, 1.0, v10
	s_delay_alu instid0(VALU_DEP_2) | instskip(NEXT) | instid1(VALU_DEP_2)
	v_add_f32_e32 v11, v7, v11
	v_sub_f32_e32 v9, v9, v13
	s_delay_alu instid0(VALU_DEP_2) | instskip(NEXT) | instid1(VALU_DEP_2)
	v_add_f32_e32 v13, v12, v11
	v_add_f32_e32 v7, v7, v9
	s_delay_alu instid0(VALU_DEP_2) | instskip(SKIP_1) | instid1(VALU_DEP_1)
	v_rcp_f32_e32 v9, v13
	v_sub_f32_e32 v12, v12, v13
	v_dual_add_f32 v14, v10, v7 :: v_dual_add_f32 v11, v11, v12
	s_delay_alu instid0(VALU_DEP_1) | instskip(SKIP_2) | instid1(VALU_DEP_1)
	v_sub_f32_e32 v10, v10, v14
	s_waitcnt_depctr 0xfff
	v_mul_f32_e32 v15, v14, v9
	v_dual_add_f32 v7, v7, v10 :: v_dual_mul_f32 v16, v13, v15
	s_delay_alu instid0(VALU_DEP_1) | instskip(NEXT) | instid1(VALU_DEP_1)
	v_fma_f32 v12, v15, v13, -v16
	v_fmac_f32_e32 v12, v15, v11
	s_delay_alu instid0(VALU_DEP_1) | instskip(NEXT) | instid1(VALU_DEP_1)
	v_add_f32_e32 v17, v16, v12
	v_sub_f32_e32 v18, v14, v17
	v_sub_f32_e32 v10, v17, v16
	s_delay_alu instid0(VALU_DEP_2) | instskip(NEXT) | instid1(VALU_DEP_2)
	v_sub_f32_e32 v14, v14, v18
	v_sub_f32_e32 v10, v10, v12
	s_delay_alu instid0(VALU_DEP_2) | instskip(NEXT) | instid1(VALU_DEP_1)
	v_sub_f32_e32 v14, v14, v17
	v_add_f32_e32 v7, v7, v14
	s_delay_alu instid0(VALU_DEP_1) | instskip(NEXT) | instid1(VALU_DEP_1)
	v_add_f32_e32 v7, v10, v7
	v_add_f32_e32 v10, v18, v7
	s_delay_alu instid0(VALU_DEP_1) | instskip(NEXT) | instid1(VALU_DEP_1)
	v_mul_f32_e32 v12, v9, v10
	v_dual_sub_f32 v17, v18, v10 :: v_dual_mul_f32 v14, v13, v12
	s_delay_alu instid0(VALU_DEP_1) | instskip(NEXT) | instid1(VALU_DEP_2)
	v_add_f32_e32 v7, v7, v17
	v_fma_f32 v13, v12, v13, -v14
	s_delay_alu instid0(VALU_DEP_1) | instskip(NEXT) | instid1(VALU_DEP_1)
	v_fmac_f32_e32 v13, v12, v11
	v_add_f32_e32 v11, v14, v13
	s_delay_alu instid0(VALU_DEP_1) | instskip(SKIP_1) | instid1(VALU_DEP_2)
	v_sub_f32_e32 v16, v10, v11
	v_sub_f32_e32 v14, v11, v14
	;; [unrolled: 1-line block ×3, first 2 shown]
	s_delay_alu instid0(VALU_DEP_1) | instskip(NEXT) | instid1(VALU_DEP_3)
	v_sub_f32_e32 v10, v10, v11
	v_sub_f32_e32 v11, v14, v13
	s_delay_alu instid0(VALU_DEP_2) | instskip(SKIP_1) | instid1(VALU_DEP_2)
	v_add_f32_e32 v7, v7, v10
	v_add_f32_e32 v10, v15, v12
	;; [unrolled: 1-line block ×3, first 2 shown]
	s_delay_alu instid0(VALU_DEP_2) | instskip(NEXT) | instid1(VALU_DEP_2)
	v_sub_f32_e32 v11, v10, v15
	v_add_f32_e32 v7, v16, v7
	s_delay_alu instid0(VALU_DEP_2) | instskip(NEXT) | instid1(VALU_DEP_2)
	v_sub_f32_e32 v11, v12, v11
	v_mul_f32_e32 v7, v9, v7
	s_delay_alu instid0(VALU_DEP_1) | instskip(NEXT) | instid1(VALU_DEP_1)
	v_add_f32_e32 v7, v11, v7
	v_add_f32_e32 v9, v10, v7
	s_delay_alu instid0(VALU_DEP_1) | instskip(NEXT) | instid1(VALU_DEP_1)
	v_mul_f32_e32 v11, v9, v9
	v_fmaak_f32 v12, s22, v11, 0x3ecc95a3
	v_mul_f32_e32 v13, v9, v11
	s_delay_alu instid0(VALU_DEP_2) | instskip(SKIP_2) | instid1(VALU_DEP_3)
	v_fmaak_f32 v11, v11, v12, 0x3f2aaada
	v_ldexp_f32 v12, v9, 1
	v_sub_f32_e32 v9, v9, v10
	v_mul_f32_e32 v11, v13, v11
	v_mul_f32_e32 v13, 0x3f317218, v6
	s_delay_alu instid0(VALU_DEP_2) | instskip(NEXT) | instid1(VALU_DEP_1)
	v_dual_sub_f32 v7, v7, v9 :: v_dual_add_f32 v10, v12, v11
	v_ldexp_f32 v7, v7, 1
	s_delay_alu instid0(VALU_DEP_2) | instskip(NEXT) | instid1(VALU_DEP_4)
	v_sub_f32_e32 v9, v10, v12
	v_fma_f32 v12, 0x3f317218, v6, -v13
	s_delay_alu instid0(VALU_DEP_1) | instskip(NEXT) | instid1(VALU_DEP_1)
	v_dual_sub_f32 v9, v11, v9 :: v_dual_fmac_f32 v12, 0xb102e308, v6
	v_dual_add_f32 v6, v7, v9 :: v_dual_add_f32 v7, v13, v12
	s_delay_alu instid0(VALU_DEP_1) | instskip(NEXT) | instid1(VALU_DEP_2)
	v_add_f32_e32 v9, v10, v6
	v_sub_f32_e32 v13, v7, v13
	s_delay_alu instid0(VALU_DEP_2) | instskip(NEXT) | instid1(VALU_DEP_2)
	v_dual_add_f32 v11, v7, v9 :: v_dual_sub_f32 v10, v9, v10
	v_sub_f32_e32 v12, v12, v13
	s_delay_alu instid0(VALU_DEP_2) | instskip(NEXT) | instid1(VALU_DEP_3)
	v_sub_f32_e32 v14, v11, v7
	v_sub_f32_e32 v6, v6, v10
	s_delay_alu instid0(VALU_DEP_2) | instskip(SKIP_1) | instid1(VALU_DEP_2)
	v_sub_f32_e32 v15, v11, v14
	v_sub_f32_e32 v9, v9, v14
	v_dual_add_f32 v10, v12, v6 :: v_dual_sub_f32 v7, v7, v15
	s_delay_alu instid0(VALU_DEP_1) | instskip(NEXT) | instid1(VALU_DEP_2)
	v_add_f32_e32 v7, v9, v7
	v_sub_f32_e32 v9, v10, v12
	s_delay_alu instid0(VALU_DEP_2) | instskip(NEXT) | instid1(VALU_DEP_2)
	v_add_f32_e32 v7, v10, v7
	v_sub_f32_e32 v10, v10, v9
	s_delay_alu instid0(VALU_DEP_2) | instskip(NEXT) | instid1(VALU_DEP_1)
	v_dual_sub_f32 v6, v6, v9 :: v_dual_add_f32 v13, v11, v7
	v_dual_sub_f32 v10, v12, v10 :: v_dual_sub_f32 v9, v13, v11
	s_delay_alu instid0(VALU_DEP_1) | instskip(NEXT) | instid1(VALU_DEP_1)
	v_dual_add_f32 v6, v6, v10 :: v_dual_sub_f32 v7, v7, v9
	v_add_f32_e32 v6, v6, v7
	s_delay_alu instid0(VALU_DEP_1) | instskip(NEXT) | instid1(VALU_DEP_1)
	v_add_f32_e32 v6, v13, v6
	v_cndmask_b32_e32 v6, v6, v8, vcc_lo
	s_delay_alu instid0(VALU_DEP_1)
	v_add_f32_e32 v6, v5, v6
	s_branch .LBB534_8
.LBB534_11:
	s_nop 0
	s_sendmsg sendmsg(MSG_DEALLOC_VGPRS)
	s_endpgm
	.section	.rodata,"a",@progbits
	.p2align	6, 0x0
	.amdhsa_kernel _ZN2at6native28tensor_kernel_scan_outer_dimIN3c108BFloat16EjZZZNS0_31launch_logcumsumexp_cuda_kernelERKNS_10TensorBaseES6_lENKUlvE_clEvENKUlvE4_clEvEUlS3_S3_E_EEvPT_PKSA_jjjSA_T1_
		.amdhsa_group_segment_fixed_size 0
		.amdhsa_private_segment_fixed_size 0
		.amdhsa_kernarg_size 288
		.amdhsa_user_sgpr_count 14
		.amdhsa_user_sgpr_dispatch_ptr 0
		.amdhsa_user_sgpr_queue_ptr 0
		.amdhsa_user_sgpr_kernarg_segment_ptr 1
		.amdhsa_user_sgpr_dispatch_id 0
		.amdhsa_user_sgpr_private_segment_size 0
		.amdhsa_wavefront_size32 1
		.amdhsa_uses_dynamic_stack 0
		.amdhsa_enable_private_segment 0
		.amdhsa_system_sgpr_workgroup_id_x 1
		.amdhsa_system_sgpr_workgroup_id_y 1
		.amdhsa_system_sgpr_workgroup_id_z 0
		.amdhsa_system_sgpr_workgroup_info 0
		.amdhsa_system_vgpr_workitem_id 0
		.amdhsa_next_free_vgpr 19
		.amdhsa_next_free_sgpr 29
		.amdhsa_reserve_vcc 1
		.amdhsa_float_round_mode_32 0
		.amdhsa_float_round_mode_16_64 0
		.amdhsa_float_denorm_mode_32 3
		.amdhsa_float_denorm_mode_16_64 3
		.amdhsa_dx10_clamp 1
		.amdhsa_ieee_mode 1
		.amdhsa_fp16_overflow 0
		.amdhsa_workgroup_processor_mode 1
		.amdhsa_memory_ordered 1
		.amdhsa_forward_progress 0
		.amdhsa_shared_vgpr_count 0
		.amdhsa_exception_fp_ieee_invalid_op 0
		.amdhsa_exception_fp_denorm_src 0
		.amdhsa_exception_fp_ieee_div_zero 0
		.amdhsa_exception_fp_ieee_overflow 0
		.amdhsa_exception_fp_ieee_underflow 0
		.amdhsa_exception_fp_ieee_inexact 0
		.amdhsa_exception_int_div_zero 0
	.end_amdhsa_kernel
	.section	.text._ZN2at6native28tensor_kernel_scan_outer_dimIN3c108BFloat16EjZZZNS0_31launch_logcumsumexp_cuda_kernelERKNS_10TensorBaseES6_lENKUlvE_clEvENKUlvE4_clEvEUlS3_S3_E_EEvPT_PKSA_jjjSA_T1_,"axG",@progbits,_ZN2at6native28tensor_kernel_scan_outer_dimIN3c108BFloat16EjZZZNS0_31launch_logcumsumexp_cuda_kernelERKNS_10TensorBaseES6_lENKUlvE_clEvENKUlvE4_clEvEUlS3_S3_E_EEvPT_PKSA_jjjSA_T1_,comdat
.Lfunc_end534:
	.size	_ZN2at6native28tensor_kernel_scan_outer_dimIN3c108BFloat16EjZZZNS0_31launch_logcumsumexp_cuda_kernelERKNS_10TensorBaseES6_lENKUlvE_clEvENKUlvE4_clEvEUlS3_S3_E_EEvPT_PKSA_jjjSA_T1_, .Lfunc_end534-_ZN2at6native28tensor_kernel_scan_outer_dimIN3c108BFloat16EjZZZNS0_31launch_logcumsumexp_cuda_kernelERKNS_10TensorBaseES6_lENKUlvE_clEvENKUlvE4_clEvEUlS3_S3_E_EEvPT_PKSA_jjjSA_T1_
                                        ; -- End function
	.section	.AMDGPU.csdata,"",@progbits
; Kernel info:
; codeLenInByte = 1280
; NumSgprs: 31
; NumVgprs: 19
; ScratchSize: 0
; MemoryBound: 0
; FloatMode: 240
; IeeeMode: 1
; LDSByteSize: 0 bytes/workgroup (compile time only)
; SGPRBlocks: 3
; VGPRBlocks: 2
; NumSGPRsForWavesPerEU: 31
; NumVGPRsForWavesPerEU: 19
; Occupancy: 16
; WaveLimiterHint : 0
; COMPUTE_PGM_RSRC2:SCRATCH_EN: 0
; COMPUTE_PGM_RSRC2:USER_SGPR: 14
; COMPUTE_PGM_RSRC2:TRAP_HANDLER: 0
; COMPUTE_PGM_RSRC2:TGID_X_EN: 1
; COMPUTE_PGM_RSRC2:TGID_Y_EN: 1
; COMPUTE_PGM_RSRC2:TGID_Z_EN: 0
; COMPUTE_PGM_RSRC2:TIDIG_COMP_CNT: 0
	.section	.text._ZN2at6native28tensor_kernel_scan_outer_dimIN3c108BFloat16EmZZZNS0_31launch_logcumsumexp_cuda_kernelERKNS_10TensorBaseES6_lENKUlvE_clEvENKUlvE4_clEvEUlS3_S3_E_EEvPT_PKSA_jjjSA_T1_,"axG",@progbits,_ZN2at6native28tensor_kernel_scan_outer_dimIN3c108BFloat16EmZZZNS0_31launch_logcumsumexp_cuda_kernelERKNS_10TensorBaseES6_lENKUlvE_clEvENKUlvE4_clEvEUlS3_S3_E_EEvPT_PKSA_jjjSA_T1_,comdat
	.globl	_ZN2at6native28tensor_kernel_scan_outer_dimIN3c108BFloat16EmZZZNS0_31launch_logcumsumexp_cuda_kernelERKNS_10TensorBaseES6_lENKUlvE_clEvENKUlvE4_clEvEUlS3_S3_E_EEvPT_PKSA_jjjSA_T1_ ; -- Begin function _ZN2at6native28tensor_kernel_scan_outer_dimIN3c108BFloat16EmZZZNS0_31launch_logcumsumexp_cuda_kernelERKNS_10TensorBaseES6_lENKUlvE_clEvENKUlvE4_clEvEUlS3_S3_E_EEvPT_PKSA_jjjSA_T1_
	.p2align	8
	.type	_ZN2at6native28tensor_kernel_scan_outer_dimIN3c108BFloat16EmZZZNS0_31launch_logcumsumexp_cuda_kernelERKNS_10TensorBaseES6_lENKUlvE_clEvENKUlvE4_clEvEUlS3_S3_E_EEvPT_PKSA_jjjSA_T1_,@function
_ZN2at6native28tensor_kernel_scan_outer_dimIN3c108BFloat16EmZZZNS0_31launch_logcumsumexp_cuda_kernelERKNS_10TensorBaseES6_lENKUlvE_clEvENKUlvE4_clEvEUlS3_S3_E_EEvPT_PKSA_jjjSA_T1_: ; @_ZN2at6native28tensor_kernel_scan_outer_dimIN3c108BFloat16EmZZZNS0_31launch_logcumsumexp_cuda_kernelERKNS_10TensorBaseES6_lENKUlvE_clEvENKUlvE4_clEvEUlS3_S3_E_EEvPT_PKSA_jjjSA_T1_
; %bb.0:
	s_load_b128 s[4:7], s[0:1], 0x10
	s_waitcnt lgkmcnt(0)
	s_cmp_ge_u32 s14, s4
	s_cbranch_scc1 .LBB535_11
; %bb.1:
	s_clause 0x2
	s_load_b32 s12, s[0:1], 0x2c
	s_load_b128 s[8:11], s[0:1], 0x0
	s_load_b32 s18, s[0:1], 0x20
	s_add_u32 s2, s0, 32
	s_addc_u32 s3, s1, 0
	v_mov_b32_e32 v3, 0
	s_mov_b32 s17, 0
	s_mov_b32 s16, s5
	s_mul_hi_u32 s13, s6, s5
	s_mov_b32 s19, 0x3e9b6dac
	s_waitcnt lgkmcnt(0)
	s_and_b32 s1, s12, 0xffff
	s_cmp_lg_u32 s6, 0
	v_mad_u64_u32 v[1:2], null, s15, s1, v[0:1]
	s_mul_i32 s12, s6, s5
	s_cselect_b32 s15, -1, 0
	s_lshl_b64 s[12:13], s[12:13], 1
	s_lshl_b64 s[16:17], s[16:17], 1
	s_delay_alu instid0(VALU_DEP_1)
	v_cmp_gt_u32_e64 s0, s5, v1
	s_branch .LBB535_3
.LBB535_2:                              ;   in Loop: Header=BB535_3 Depth=1
	s_or_b32 exec_lo, exec_lo, s20
	s_add_i32 s14, s14, s18
	s_delay_alu instid0(SALU_CYCLE_1)
	s_cmp_ge_u32 s14, s4
	s_cbranch_scc1 .LBB535_11
.LBB535_3:                              ; =>This Loop Header: Depth=1
                                        ;     Child Loop BB535_6 Depth 2
                                        ;       Child Loop BB535_9 Depth 3
	s_delay_alu instid0(VALU_DEP_1)
	s_and_saveexec_b32 s20, s0
	s_cbranch_execz .LBB535_2
; %bb.4:                                ;   in Loop: Header=BB535_3 Depth=1
	s_load_b32 s23, s[2:3], 0x4
	v_mov_b32_e32 v2, v1
	s_mul_i32 s22, s13, s14
	s_mul_hi_u32 s24, s12, s14
	s_mul_i32 s21, s12, s14
	s_add_i32 s22, s24, s22
	s_mov_b32 s24, 0
	s_waitcnt lgkmcnt(0)
	s_mul_i32 s23, s23, s1
	s_branch .LBB535_6
.LBB535_5:                              ;   in Loop: Header=BB535_6 Depth=2
	v_add_nc_u32_e32 v2, s23, v2
	s_delay_alu instid0(VALU_DEP_1) | instskip(SKIP_1) | instid1(SALU_CYCLE_1)
	v_cmp_le_u32_e32 vcc_lo, s5, v2
	s_or_b32 s24, vcc_lo, s24
	s_and_not1_b32 exec_lo, exec_lo, s24
	s_cbranch_execz .LBB535_2
.LBB535_6:                              ;   Parent Loop BB535_3 Depth=1
                                        ; =>  This Loop Header: Depth=2
                                        ;       Child Loop BB535_9 Depth 3
	s_and_not1_b32 vcc_lo, exec_lo, s15
	s_cbranch_vccnz .LBB535_5
; %bb.7:                                ;   in Loop: Header=BB535_6 Depth=2
	v_lshlrev_b64 v[4:5], 1, v[2:3]
	s_mov_b32 s25, s6
	s_delay_alu instid0(VALU_DEP_1) | instskip(NEXT) | instid1(VALU_DEP_2)
	v_add_co_u32 v0, vcc_lo, s21, v4
	v_add_co_ci_u32_e32 v4, vcc_lo, s22, v5, vcc_lo
	v_mov_b32_e32 v5, s7
	s_branch .LBB535_9
.LBB535_8:                              ;   in Loop: Header=BB535_9 Depth=3
	s_or_b32 exec_lo, exec_lo, s26
	s_delay_alu instid0(VALU_DEP_1) | instskip(SKIP_2) | instid1(VALU_DEP_3)
	v_bfe_u32 v5, v6, 16, 1
	v_add_co_u32 v7, vcc_lo, s8, v0
	v_add_co_ci_u32_e32 v8, vcc_lo, s9, v4, vcc_lo
	v_add3_u32 v5, v6, v5, 0x7fff
	v_cmp_o_f32_e32 vcc_lo, v6, v6
	s_add_i32 s25, s25, -1
	s_delay_alu instid0(SALU_CYCLE_1) | instskip(NEXT) | instid1(VALU_DEP_2)
	s_cmp_eq_u32 s25, 0
	v_lshrrev_b32_e32 v5, 16, v5
	s_delay_alu instid0(VALU_DEP_1)
	v_cndmask_b32_e32 v5, 0x7fc0, v5, vcc_lo
	v_add_co_u32 v0, vcc_lo, v0, s16
	v_add_co_ci_u32_e32 v4, vcc_lo, s17, v4, vcc_lo
	global_store_b16 v[7:8], v5, off
	s_cbranch_scc1 .LBB535_5
.LBB535_9:                              ;   Parent Loop BB535_3 Depth=1
                                        ;     Parent Loop BB535_6 Depth=2
                                        ; =>    This Inner Loop Header: Depth=3
	s_delay_alu instid0(VALU_DEP_3) | instskip(NEXT) | instid1(VALU_DEP_3)
	v_add_co_u32 v6, vcc_lo, s10, v0
	v_add_co_ci_u32_e32 v7, vcc_lo, s11, v4, vcc_lo
	global_load_u16 v7, v[6:7], off
	v_lshlrev_b32_e32 v6, 16, v5
	s_waitcnt vmcnt(0)
	v_lshlrev_b32_e32 v5, 16, v7
	s_delay_alu instid0(VALU_DEP_1) | instskip(NEXT) | instid1(VALU_DEP_1)
	v_dual_max_f32 v7, v6, v6 :: v_dual_max_f32 v8, v5, v5
	v_min_f32_e32 v9, v7, v8
	v_max_f32_e32 v7, v7, v8
	v_cmp_u_f32_e32 vcc_lo, v6, v6
	s_delay_alu instid0(VALU_DEP_3) | instskip(NEXT) | instid1(VALU_DEP_3)
	v_cndmask_b32_e32 v8, v9, v6, vcc_lo
	v_cndmask_b32_e32 v9, v7, v6, vcc_lo
	v_cmp_u_f32_e32 vcc_lo, v5, v5
	s_delay_alu instid0(VALU_DEP_3) | instskip(NEXT) | instid1(VALU_DEP_3)
	v_cndmask_b32_e32 v7, v8, v5, vcc_lo
	v_cndmask_b32_e32 v5, v9, v5, vcc_lo
	s_delay_alu instid0(VALU_DEP_2) | instskip(NEXT) | instid1(VALU_DEP_2)
	v_cmp_class_f32_e64 s26, v7, 0x1f8
	v_cmp_neq_f32_e32 vcc_lo, v7, v5
	s_delay_alu instid0(VALU_DEP_2) | instskip(NEXT) | instid1(SALU_CYCLE_1)
	s_or_b32 s27, vcc_lo, s26
	s_and_saveexec_b32 s26, s27
	s_cbranch_execz .LBB535_8
; %bb.10:                               ;   in Loop: Header=BB535_9 Depth=3
	v_sub_f32_e32 v6, v7, v5
	s_delay_alu instid0(VALU_DEP_1) | instskip(SKIP_1) | instid1(VALU_DEP_2)
	v_mul_f32_e32 v7, 0x3fb8aa3b, v6
	v_cmp_ngt_f32_e32 vcc_lo, 0xc2ce8ed0, v6
	v_fma_f32 v8, 0x3fb8aa3b, v6, -v7
	v_rndne_f32_e32 v9, v7
	s_delay_alu instid0(VALU_DEP_1) | instskip(NEXT) | instid1(VALU_DEP_1)
	v_dual_fmac_f32 v8, 0x32a5705f, v6 :: v_dual_sub_f32 v7, v7, v9
	v_add_f32_e32 v7, v7, v8
	v_cvt_i32_f32_e32 v8, v9
	s_delay_alu instid0(VALU_DEP_2) | instskip(SKIP_2) | instid1(VALU_DEP_1)
	v_exp_f32_e32 v7, v7
	s_waitcnt_depctr 0xfff
	v_ldexp_f32 v7, v7, v8
	v_cndmask_b32_e32 v7, 0, v7, vcc_lo
	v_cmp_nlt_f32_e32 vcc_lo, 0x42b17218, v6
	s_delay_alu instid0(VALU_DEP_2) | instskip(NEXT) | instid1(VALU_DEP_1)
	v_cndmask_b32_e32 v8, 0x7f800000, v7, vcc_lo
	v_add_f32_e32 v9, 1.0, v8
	s_delay_alu instid0(VALU_DEP_1) | instskip(NEXT) | instid1(VALU_DEP_1)
	v_cvt_f64_f32_e32 v[6:7], v9
	v_frexp_exp_i32_f64_e32 v6, v[6:7]
	v_frexp_mant_f32_e32 v7, v9
	s_delay_alu instid0(VALU_DEP_1) | instskip(SKIP_2) | instid1(VALU_DEP_2)
	v_cmp_gt_f32_e32 vcc_lo, 0x3f2aaaab, v7
	v_add_f32_e32 v7, -1.0, v9
	v_cmp_gt_f32_e64 s27, 0x33800000, |v8|
	v_sub_f32_e32 v11, v7, v9
	v_sub_f32_e32 v7, v8, v7
	v_subrev_co_ci_u32_e32 v6, vcc_lo, 0, v6, vcc_lo
	v_cmp_eq_f32_e32 vcc_lo, 0x7f800000, v8
	s_delay_alu instid0(VALU_DEP_2) | instskip(SKIP_2) | instid1(VALU_DEP_2)
	v_sub_nc_u32_e32 v10, 0, v6
	v_cvt_f32_i32_e32 v6, v6
	s_or_b32 vcc_lo, vcc_lo, s27
	v_ldexp_f32 v9, v9, v10
	s_delay_alu instid0(VALU_DEP_1) | instskip(NEXT) | instid1(VALU_DEP_1)
	v_dual_add_f32 v12, 1.0, v9 :: v_dual_add_f32 v11, 1.0, v11
	v_add_f32_e32 v7, v7, v11
	s_delay_alu instid0(VALU_DEP_2) | instskip(NEXT) | instid1(VALU_DEP_2)
	v_add_f32_e32 v11, -1.0, v12
	v_ldexp_f32 v7, v7, v10
	s_delay_alu instid0(VALU_DEP_2) | instskip(NEXT) | instid1(VALU_DEP_1)
	v_dual_add_f32 v10, -1.0, v9 :: v_dual_sub_f32 v11, v9, v11
	v_add_f32_e32 v13, 1.0, v10
	s_delay_alu instid0(VALU_DEP_2) | instskip(NEXT) | instid1(VALU_DEP_2)
	v_add_f32_e32 v11, v7, v11
	v_sub_f32_e32 v9, v9, v13
	s_delay_alu instid0(VALU_DEP_2) | instskip(NEXT) | instid1(VALU_DEP_2)
	v_add_f32_e32 v13, v12, v11
	v_add_f32_e32 v7, v7, v9
	s_delay_alu instid0(VALU_DEP_2) | instskip(SKIP_1) | instid1(VALU_DEP_1)
	v_rcp_f32_e32 v9, v13
	v_sub_f32_e32 v12, v12, v13
	v_dual_add_f32 v14, v10, v7 :: v_dual_add_f32 v11, v11, v12
	s_delay_alu instid0(VALU_DEP_1) | instskip(SKIP_2) | instid1(VALU_DEP_1)
	v_sub_f32_e32 v10, v10, v14
	s_waitcnt_depctr 0xfff
	v_mul_f32_e32 v15, v14, v9
	v_dual_add_f32 v7, v7, v10 :: v_dual_mul_f32 v16, v13, v15
	s_delay_alu instid0(VALU_DEP_1) | instskip(NEXT) | instid1(VALU_DEP_1)
	v_fma_f32 v12, v15, v13, -v16
	v_fmac_f32_e32 v12, v15, v11
	s_delay_alu instid0(VALU_DEP_1) | instskip(NEXT) | instid1(VALU_DEP_1)
	v_add_f32_e32 v17, v16, v12
	v_sub_f32_e32 v18, v14, v17
	v_sub_f32_e32 v10, v17, v16
	s_delay_alu instid0(VALU_DEP_2) | instskip(NEXT) | instid1(VALU_DEP_2)
	v_sub_f32_e32 v14, v14, v18
	v_sub_f32_e32 v10, v10, v12
	s_delay_alu instid0(VALU_DEP_2) | instskip(NEXT) | instid1(VALU_DEP_1)
	v_sub_f32_e32 v14, v14, v17
	v_add_f32_e32 v7, v7, v14
	s_delay_alu instid0(VALU_DEP_1) | instskip(NEXT) | instid1(VALU_DEP_1)
	v_add_f32_e32 v7, v10, v7
	v_add_f32_e32 v10, v18, v7
	s_delay_alu instid0(VALU_DEP_1) | instskip(NEXT) | instid1(VALU_DEP_1)
	v_mul_f32_e32 v12, v9, v10
	v_dual_sub_f32 v17, v18, v10 :: v_dual_mul_f32 v14, v13, v12
	s_delay_alu instid0(VALU_DEP_1) | instskip(NEXT) | instid1(VALU_DEP_2)
	v_add_f32_e32 v7, v7, v17
	v_fma_f32 v13, v12, v13, -v14
	s_delay_alu instid0(VALU_DEP_1) | instskip(NEXT) | instid1(VALU_DEP_1)
	v_fmac_f32_e32 v13, v12, v11
	v_add_f32_e32 v11, v14, v13
	s_delay_alu instid0(VALU_DEP_1) | instskip(SKIP_1) | instid1(VALU_DEP_2)
	v_sub_f32_e32 v16, v10, v11
	v_sub_f32_e32 v14, v11, v14
	;; [unrolled: 1-line block ×3, first 2 shown]
	s_delay_alu instid0(VALU_DEP_1) | instskip(NEXT) | instid1(VALU_DEP_3)
	v_sub_f32_e32 v10, v10, v11
	v_sub_f32_e32 v11, v14, v13
	s_delay_alu instid0(VALU_DEP_2) | instskip(SKIP_1) | instid1(VALU_DEP_2)
	v_add_f32_e32 v7, v7, v10
	v_add_f32_e32 v10, v15, v12
	;; [unrolled: 1-line block ×3, first 2 shown]
	s_delay_alu instid0(VALU_DEP_2) | instskip(NEXT) | instid1(VALU_DEP_2)
	v_sub_f32_e32 v11, v10, v15
	v_add_f32_e32 v7, v16, v7
	s_delay_alu instid0(VALU_DEP_2) | instskip(NEXT) | instid1(VALU_DEP_2)
	v_sub_f32_e32 v11, v12, v11
	v_mul_f32_e32 v7, v9, v7
	s_delay_alu instid0(VALU_DEP_1) | instskip(NEXT) | instid1(VALU_DEP_1)
	v_add_f32_e32 v7, v11, v7
	v_add_f32_e32 v9, v10, v7
	s_delay_alu instid0(VALU_DEP_1) | instskip(NEXT) | instid1(VALU_DEP_1)
	v_mul_f32_e32 v11, v9, v9
	v_fmaak_f32 v12, s19, v11, 0x3ecc95a3
	v_mul_f32_e32 v13, v9, v11
	s_delay_alu instid0(VALU_DEP_2) | instskip(SKIP_2) | instid1(VALU_DEP_3)
	v_fmaak_f32 v11, v11, v12, 0x3f2aaada
	v_ldexp_f32 v12, v9, 1
	v_sub_f32_e32 v9, v9, v10
	v_mul_f32_e32 v11, v13, v11
	v_mul_f32_e32 v13, 0x3f317218, v6
	s_delay_alu instid0(VALU_DEP_2) | instskip(NEXT) | instid1(VALU_DEP_1)
	v_dual_sub_f32 v7, v7, v9 :: v_dual_add_f32 v10, v12, v11
	v_ldexp_f32 v7, v7, 1
	s_delay_alu instid0(VALU_DEP_2) | instskip(NEXT) | instid1(VALU_DEP_4)
	v_sub_f32_e32 v9, v10, v12
	v_fma_f32 v12, 0x3f317218, v6, -v13
	s_delay_alu instid0(VALU_DEP_1) | instskip(NEXT) | instid1(VALU_DEP_1)
	v_dual_sub_f32 v9, v11, v9 :: v_dual_fmac_f32 v12, 0xb102e308, v6
	v_dual_add_f32 v6, v7, v9 :: v_dual_add_f32 v7, v13, v12
	s_delay_alu instid0(VALU_DEP_1) | instskip(NEXT) | instid1(VALU_DEP_2)
	v_add_f32_e32 v9, v10, v6
	v_sub_f32_e32 v13, v7, v13
	s_delay_alu instid0(VALU_DEP_2) | instskip(NEXT) | instid1(VALU_DEP_2)
	v_dual_add_f32 v11, v7, v9 :: v_dual_sub_f32 v10, v9, v10
	v_sub_f32_e32 v12, v12, v13
	s_delay_alu instid0(VALU_DEP_2) | instskip(NEXT) | instid1(VALU_DEP_3)
	v_sub_f32_e32 v14, v11, v7
	v_sub_f32_e32 v6, v6, v10
	s_delay_alu instid0(VALU_DEP_2) | instskip(SKIP_1) | instid1(VALU_DEP_2)
	v_sub_f32_e32 v15, v11, v14
	v_sub_f32_e32 v9, v9, v14
	v_dual_add_f32 v10, v12, v6 :: v_dual_sub_f32 v7, v7, v15
	s_delay_alu instid0(VALU_DEP_1) | instskip(NEXT) | instid1(VALU_DEP_2)
	v_add_f32_e32 v7, v9, v7
	v_sub_f32_e32 v9, v10, v12
	s_delay_alu instid0(VALU_DEP_2) | instskip(NEXT) | instid1(VALU_DEP_2)
	v_add_f32_e32 v7, v10, v7
	v_sub_f32_e32 v10, v10, v9
	s_delay_alu instid0(VALU_DEP_2) | instskip(NEXT) | instid1(VALU_DEP_1)
	v_dual_sub_f32 v6, v6, v9 :: v_dual_add_f32 v13, v11, v7
	v_dual_sub_f32 v10, v12, v10 :: v_dual_sub_f32 v9, v13, v11
	s_delay_alu instid0(VALU_DEP_1) | instskip(NEXT) | instid1(VALU_DEP_1)
	v_dual_add_f32 v6, v6, v10 :: v_dual_sub_f32 v7, v7, v9
	v_add_f32_e32 v6, v6, v7
	s_delay_alu instid0(VALU_DEP_1) | instskip(NEXT) | instid1(VALU_DEP_1)
	v_add_f32_e32 v6, v13, v6
	v_cndmask_b32_e32 v6, v6, v8, vcc_lo
	s_delay_alu instid0(VALU_DEP_1)
	v_add_f32_e32 v6, v5, v6
	s_branch .LBB535_8
.LBB535_11:
	s_nop 0
	s_sendmsg sendmsg(MSG_DEALLOC_VGPRS)
	s_endpgm
	.section	.rodata,"a",@progbits
	.p2align	6, 0x0
	.amdhsa_kernel _ZN2at6native28tensor_kernel_scan_outer_dimIN3c108BFloat16EmZZZNS0_31launch_logcumsumexp_cuda_kernelERKNS_10TensorBaseES6_lENKUlvE_clEvENKUlvE4_clEvEUlS3_S3_E_EEvPT_PKSA_jjjSA_T1_
		.amdhsa_group_segment_fixed_size 0
		.amdhsa_private_segment_fixed_size 0
		.amdhsa_kernarg_size 288
		.amdhsa_user_sgpr_count 14
		.amdhsa_user_sgpr_dispatch_ptr 0
		.amdhsa_user_sgpr_queue_ptr 0
		.amdhsa_user_sgpr_kernarg_segment_ptr 1
		.amdhsa_user_sgpr_dispatch_id 0
		.amdhsa_user_sgpr_private_segment_size 0
		.amdhsa_wavefront_size32 1
		.amdhsa_uses_dynamic_stack 0
		.amdhsa_enable_private_segment 0
		.amdhsa_system_sgpr_workgroup_id_x 1
		.amdhsa_system_sgpr_workgroup_id_y 1
		.amdhsa_system_sgpr_workgroup_id_z 0
		.amdhsa_system_sgpr_workgroup_info 0
		.amdhsa_system_vgpr_workitem_id 0
		.amdhsa_next_free_vgpr 19
		.amdhsa_next_free_sgpr 28
		.amdhsa_reserve_vcc 1
		.amdhsa_float_round_mode_32 0
		.amdhsa_float_round_mode_16_64 0
		.amdhsa_float_denorm_mode_32 3
		.amdhsa_float_denorm_mode_16_64 3
		.amdhsa_dx10_clamp 1
		.amdhsa_ieee_mode 1
		.amdhsa_fp16_overflow 0
		.amdhsa_workgroup_processor_mode 1
		.amdhsa_memory_ordered 1
		.amdhsa_forward_progress 0
		.amdhsa_shared_vgpr_count 0
		.amdhsa_exception_fp_ieee_invalid_op 0
		.amdhsa_exception_fp_denorm_src 0
		.amdhsa_exception_fp_ieee_div_zero 0
		.amdhsa_exception_fp_ieee_overflow 0
		.amdhsa_exception_fp_ieee_underflow 0
		.amdhsa_exception_fp_ieee_inexact 0
		.amdhsa_exception_int_div_zero 0
	.end_amdhsa_kernel
	.section	.text._ZN2at6native28tensor_kernel_scan_outer_dimIN3c108BFloat16EmZZZNS0_31launch_logcumsumexp_cuda_kernelERKNS_10TensorBaseES6_lENKUlvE_clEvENKUlvE4_clEvEUlS3_S3_E_EEvPT_PKSA_jjjSA_T1_,"axG",@progbits,_ZN2at6native28tensor_kernel_scan_outer_dimIN3c108BFloat16EmZZZNS0_31launch_logcumsumexp_cuda_kernelERKNS_10TensorBaseES6_lENKUlvE_clEvENKUlvE4_clEvEUlS3_S3_E_EEvPT_PKSA_jjjSA_T1_,comdat
.Lfunc_end535:
	.size	_ZN2at6native28tensor_kernel_scan_outer_dimIN3c108BFloat16EmZZZNS0_31launch_logcumsumexp_cuda_kernelERKNS_10TensorBaseES6_lENKUlvE_clEvENKUlvE4_clEvEUlS3_S3_E_EEvPT_PKSA_jjjSA_T1_, .Lfunc_end535-_ZN2at6native28tensor_kernel_scan_outer_dimIN3c108BFloat16EmZZZNS0_31launch_logcumsumexp_cuda_kernelERKNS_10TensorBaseES6_lENKUlvE_clEvENKUlvE4_clEvEUlS3_S3_E_EEvPT_PKSA_jjjSA_T1_
                                        ; -- End function
	.section	.AMDGPU.csdata,"",@progbits
; Kernel info:
; codeLenInByte = 1284
; NumSgprs: 30
; NumVgprs: 19
; ScratchSize: 0
; MemoryBound: 0
; FloatMode: 240
; IeeeMode: 1
; LDSByteSize: 0 bytes/workgroup (compile time only)
; SGPRBlocks: 3
; VGPRBlocks: 2
; NumSGPRsForWavesPerEU: 30
; NumVGPRsForWavesPerEU: 19
; Occupancy: 16
; WaveLimiterHint : 0
; COMPUTE_PGM_RSRC2:SCRATCH_EN: 0
; COMPUTE_PGM_RSRC2:USER_SGPR: 14
; COMPUTE_PGM_RSRC2:TRAP_HANDLER: 0
; COMPUTE_PGM_RSRC2:TGID_X_EN: 1
; COMPUTE_PGM_RSRC2:TGID_Y_EN: 1
; COMPUTE_PGM_RSRC2:TGID_Z_EN: 0
; COMPUTE_PGM_RSRC2:TIDIG_COMP_CNT: 0
	.text
	.p2alignl 7, 3214868480
	.fill 96, 4, 3214868480
	.type	__hip_cuid_a40eca2db623f954,@object ; @__hip_cuid_a40eca2db623f954
	.section	.bss,"aw",@nobits
	.globl	__hip_cuid_a40eca2db623f954
__hip_cuid_a40eca2db623f954:
	.byte	0                               ; 0x0
	.size	__hip_cuid_a40eca2db623f954, 1

	.ident	"AMD clang version 19.0.0git (https://github.com/RadeonOpenCompute/llvm-project roc-6.4.0 25133 c7fe45cf4b819c5991fe208aaa96edf142730f1d)"
	.section	".note.GNU-stack","",@progbits
	.addrsig
	.addrsig_sym __hip_cuid_a40eca2db623f954
	.amdgpu_metadata
---
amdhsa.kernels:
  - .args:
      - .address_space:  global
        .offset:         0
        .size:           8
        .value_kind:     global_buffer
      - .offset:         8
        .size:           4
        .value_kind:     by_value
      - .offset:         12
        .size:           1
        .value_kind:     by_value
      - .offset:         16
        .size:           4
        .value_kind:     by_value
      - .address_space:  global
        .offset:         24
        .size:           8
        .value_kind:     global_buffer
      - .offset:         32
        .size:           4
        .value_kind:     hidden_block_count_x
      - .offset:         36
        .size:           4
        .value_kind:     hidden_block_count_y
      - .offset:         40
        .size:           4
        .value_kind:     hidden_block_count_z
      - .offset:         44
        .size:           2
        .value_kind:     hidden_group_size_x
      - .offset:         46
        .size:           2
        .value_kind:     hidden_group_size_y
      - .offset:         48
        .size:           2
        .value_kind:     hidden_group_size_z
      - .offset:         50
        .size:           2
        .value_kind:     hidden_remainder_x
      - .offset:         52
        .size:           2
        .value_kind:     hidden_remainder_y
      - .offset:         54
        .size:           2
        .value_kind:     hidden_remainder_z
      - .offset:         72
        .size:           8
        .value_kind:     hidden_global_offset_x
      - .offset:         80
        .size:           8
        .value_kind:     hidden_global_offset_y
      - .offset:         88
        .size:           8
        .value_kind:     hidden_global_offset_z
      - .offset:         96
        .size:           2
        .value_kind:     hidden_grid_dims
    .group_segment_fixed_size: 0
    .kernarg_segment_align: 8
    .kernarg_segment_size: 288
    .language:       OpenCL C
    .language_version:
      - 2
      - 0
    .max_flat_workgroup_size: 256
    .name:           _ZN7rocprim17ROCPRIM_400000_NS6detail31init_lookback_scan_state_kernelINS1_19lookback_scan_stateIdLb0ELb1EEENS1_16block_id_wrapperIjLb0EEEEEvT_jT0_jPNS7_10value_typeE
    .private_segment_fixed_size: 0
    .sgpr_count:     18
    .sgpr_spill_count: 0
    .symbol:         _ZN7rocprim17ROCPRIM_400000_NS6detail31init_lookback_scan_state_kernelINS1_19lookback_scan_stateIdLb0ELb1EEENS1_16block_id_wrapperIjLb0EEEEEvT_jT0_jPNS7_10value_typeE.kd
    .uniform_work_group_size: 1
    .uses_dynamic_stack: false
    .vgpr_count:     9
    .vgpr_spill_count: 0
    .wavefront_size: 32
    .workgroup_processor_mode: 1
  - .args:
      - .offset:         0
        .size:           104
        .value_kind:     by_value
    .group_segment_fixed_size: 0
    .kernarg_segment_align: 8
    .kernarg_segment_size: 104
    .language:       OpenCL C
    .language_version:
      - 2
      - 0
    .max_flat_workgroup_size: 256
    .name:           _ZN7rocprim17ROCPRIM_400000_NS6detail17trampoline_kernelINS0_14default_configENS1_20scan_config_selectorIdEEZZNS1_9scan_implILNS1_25lookback_scan_determinismE0ELb0ELb0ES3_PKdPddZZZN2at6native31launch_logcumsumexp_cuda_kernelERKNSB_10TensorBaseESF_lENKUlvE_clEvENKUlvE_clEvEUlddE_dEEDaPvRmT3_T4_T5_mT6_P12ihipStream_tbENKUlT_T0_E_clISt17integral_constantIbLb0EESW_EEDaSR_SS_EUlSR_E_NS1_11comp_targetILNS1_3genE0ELNS1_11target_archE4294967295ELNS1_3gpuE0ELNS1_3repE0EEENS1_30default_config_static_selectorELNS0_4arch9wavefront6targetE0EEEvT1_
    .private_segment_fixed_size: 0
    .sgpr_count:     0
    .sgpr_spill_count: 0
    .symbol:         _ZN7rocprim17ROCPRIM_400000_NS6detail17trampoline_kernelINS0_14default_configENS1_20scan_config_selectorIdEEZZNS1_9scan_implILNS1_25lookback_scan_determinismE0ELb0ELb0ES3_PKdPddZZZN2at6native31launch_logcumsumexp_cuda_kernelERKNSB_10TensorBaseESF_lENKUlvE_clEvENKUlvE_clEvEUlddE_dEEDaPvRmT3_T4_T5_mT6_P12ihipStream_tbENKUlT_T0_E_clISt17integral_constantIbLb0EESW_EEDaSR_SS_EUlSR_E_NS1_11comp_targetILNS1_3genE0ELNS1_11target_archE4294967295ELNS1_3gpuE0ELNS1_3repE0EEENS1_30default_config_static_selectorELNS0_4arch9wavefront6targetE0EEEvT1_.kd
    .uniform_work_group_size: 1
    .uses_dynamic_stack: false
    .vgpr_count:     0
    .vgpr_spill_count: 0
    .wavefront_size: 32
    .workgroup_processor_mode: 1
  - .args:
      - .offset:         0
        .size:           104
        .value_kind:     by_value
    .group_segment_fixed_size: 0
    .kernarg_segment_align: 8
    .kernarg_segment_size: 104
    .language:       OpenCL C
    .language_version:
      - 2
      - 0
    .max_flat_workgroup_size: 256
    .name:           _ZN7rocprim17ROCPRIM_400000_NS6detail17trampoline_kernelINS0_14default_configENS1_20scan_config_selectorIdEEZZNS1_9scan_implILNS1_25lookback_scan_determinismE0ELb0ELb0ES3_PKdPddZZZN2at6native31launch_logcumsumexp_cuda_kernelERKNSB_10TensorBaseESF_lENKUlvE_clEvENKUlvE_clEvEUlddE_dEEDaPvRmT3_T4_T5_mT6_P12ihipStream_tbENKUlT_T0_E_clISt17integral_constantIbLb0EESW_EEDaSR_SS_EUlSR_E_NS1_11comp_targetILNS1_3genE5ELNS1_11target_archE942ELNS1_3gpuE9ELNS1_3repE0EEENS1_30default_config_static_selectorELNS0_4arch9wavefront6targetE0EEEvT1_
    .private_segment_fixed_size: 0
    .sgpr_count:     0
    .sgpr_spill_count: 0
    .symbol:         _ZN7rocprim17ROCPRIM_400000_NS6detail17trampoline_kernelINS0_14default_configENS1_20scan_config_selectorIdEEZZNS1_9scan_implILNS1_25lookback_scan_determinismE0ELb0ELb0ES3_PKdPddZZZN2at6native31launch_logcumsumexp_cuda_kernelERKNSB_10TensorBaseESF_lENKUlvE_clEvENKUlvE_clEvEUlddE_dEEDaPvRmT3_T4_T5_mT6_P12ihipStream_tbENKUlT_T0_E_clISt17integral_constantIbLb0EESW_EEDaSR_SS_EUlSR_E_NS1_11comp_targetILNS1_3genE5ELNS1_11target_archE942ELNS1_3gpuE9ELNS1_3repE0EEENS1_30default_config_static_selectorELNS0_4arch9wavefront6targetE0EEEvT1_.kd
    .uniform_work_group_size: 1
    .uses_dynamic_stack: false
    .vgpr_count:     0
    .vgpr_spill_count: 0
    .wavefront_size: 32
    .workgroup_processor_mode: 1
  - .args:
      - .offset:         0
        .size:           104
        .value_kind:     by_value
    .group_segment_fixed_size: 0
    .kernarg_segment_align: 8
    .kernarg_segment_size: 104
    .language:       OpenCL C
    .language_version:
      - 2
      - 0
    .max_flat_workgroup_size: 128
    .name:           _ZN7rocprim17ROCPRIM_400000_NS6detail17trampoline_kernelINS0_14default_configENS1_20scan_config_selectorIdEEZZNS1_9scan_implILNS1_25lookback_scan_determinismE0ELb0ELb0ES3_PKdPddZZZN2at6native31launch_logcumsumexp_cuda_kernelERKNSB_10TensorBaseESF_lENKUlvE_clEvENKUlvE_clEvEUlddE_dEEDaPvRmT3_T4_T5_mT6_P12ihipStream_tbENKUlT_T0_E_clISt17integral_constantIbLb0EESW_EEDaSR_SS_EUlSR_E_NS1_11comp_targetILNS1_3genE4ELNS1_11target_archE910ELNS1_3gpuE8ELNS1_3repE0EEENS1_30default_config_static_selectorELNS0_4arch9wavefront6targetE0EEEvT1_
    .private_segment_fixed_size: 0
    .sgpr_count:     0
    .sgpr_spill_count: 0
    .symbol:         _ZN7rocprim17ROCPRIM_400000_NS6detail17trampoline_kernelINS0_14default_configENS1_20scan_config_selectorIdEEZZNS1_9scan_implILNS1_25lookback_scan_determinismE0ELb0ELb0ES3_PKdPddZZZN2at6native31launch_logcumsumexp_cuda_kernelERKNSB_10TensorBaseESF_lENKUlvE_clEvENKUlvE_clEvEUlddE_dEEDaPvRmT3_T4_T5_mT6_P12ihipStream_tbENKUlT_T0_E_clISt17integral_constantIbLb0EESW_EEDaSR_SS_EUlSR_E_NS1_11comp_targetILNS1_3genE4ELNS1_11target_archE910ELNS1_3gpuE8ELNS1_3repE0EEENS1_30default_config_static_selectorELNS0_4arch9wavefront6targetE0EEEvT1_.kd
    .uniform_work_group_size: 1
    .uses_dynamic_stack: false
    .vgpr_count:     0
    .vgpr_spill_count: 0
    .wavefront_size: 32
    .workgroup_processor_mode: 1
  - .args:
      - .offset:         0
        .size:           104
        .value_kind:     by_value
    .group_segment_fixed_size: 0
    .kernarg_segment_align: 8
    .kernarg_segment_size: 104
    .language:       OpenCL C
    .language_version:
      - 2
      - 0
    .max_flat_workgroup_size: 256
    .name:           _ZN7rocprim17ROCPRIM_400000_NS6detail17trampoline_kernelINS0_14default_configENS1_20scan_config_selectorIdEEZZNS1_9scan_implILNS1_25lookback_scan_determinismE0ELb0ELb0ES3_PKdPddZZZN2at6native31launch_logcumsumexp_cuda_kernelERKNSB_10TensorBaseESF_lENKUlvE_clEvENKUlvE_clEvEUlddE_dEEDaPvRmT3_T4_T5_mT6_P12ihipStream_tbENKUlT_T0_E_clISt17integral_constantIbLb0EESW_EEDaSR_SS_EUlSR_E_NS1_11comp_targetILNS1_3genE3ELNS1_11target_archE908ELNS1_3gpuE7ELNS1_3repE0EEENS1_30default_config_static_selectorELNS0_4arch9wavefront6targetE0EEEvT1_
    .private_segment_fixed_size: 0
    .sgpr_count:     0
    .sgpr_spill_count: 0
    .symbol:         _ZN7rocprim17ROCPRIM_400000_NS6detail17trampoline_kernelINS0_14default_configENS1_20scan_config_selectorIdEEZZNS1_9scan_implILNS1_25lookback_scan_determinismE0ELb0ELb0ES3_PKdPddZZZN2at6native31launch_logcumsumexp_cuda_kernelERKNSB_10TensorBaseESF_lENKUlvE_clEvENKUlvE_clEvEUlddE_dEEDaPvRmT3_T4_T5_mT6_P12ihipStream_tbENKUlT_T0_E_clISt17integral_constantIbLb0EESW_EEDaSR_SS_EUlSR_E_NS1_11comp_targetILNS1_3genE3ELNS1_11target_archE908ELNS1_3gpuE7ELNS1_3repE0EEENS1_30default_config_static_selectorELNS0_4arch9wavefront6targetE0EEEvT1_.kd
    .uniform_work_group_size: 1
    .uses_dynamic_stack: false
    .vgpr_count:     0
    .vgpr_spill_count: 0
    .wavefront_size: 32
    .workgroup_processor_mode: 1
  - .args:
      - .offset:         0
        .size:           104
        .value_kind:     by_value
    .group_segment_fixed_size: 0
    .kernarg_segment_align: 8
    .kernarg_segment_size: 104
    .language:       OpenCL C
    .language_version:
      - 2
      - 0
    .max_flat_workgroup_size: 128
    .name:           _ZN7rocprim17ROCPRIM_400000_NS6detail17trampoline_kernelINS0_14default_configENS1_20scan_config_selectorIdEEZZNS1_9scan_implILNS1_25lookback_scan_determinismE0ELb0ELb0ES3_PKdPddZZZN2at6native31launch_logcumsumexp_cuda_kernelERKNSB_10TensorBaseESF_lENKUlvE_clEvENKUlvE_clEvEUlddE_dEEDaPvRmT3_T4_T5_mT6_P12ihipStream_tbENKUlT_T0_E_clISt17integral_constantIbLb0EESW_EEDaSR_SS_EUlSR_E_NS1_11comp_targetILNS1_3genE2ELNS1_11target_archE906ELNS1_3gpuE6ELNS1_3repE0EEENS1_30default_config_static_selectorELNS0_4arch9wavefront6targetE0EEEvT1_
    .private_segment_fixed_size: 0
    .sgpr_count:     0
    .sgpr_spill_count: 0
    .symbol:         _ZN7rocprim17ROCPRIM_400000_NS6detail17trampoline_kernelINS0_14default_configENS1_20scan_config_selectorIdEEZZNS1_9scan_implILNS1_25lookback_scan_determinismE0ELb0ELb0ES3_PKdPddZZZN2at6native31launch_logcumsumexp_cuda_kernelERKNSB_10TensorBaseESF_lENKUlvE_clEvENKUlvE_clEvEUlddE_dEEDaPvRmT3_T4_T5_mT6_P12ihipStream_tbENKUlT_T0_E_clISt17integral_constantIbLb0EESW_EEDaSR_SS_EUlSR_E_NS1_11comp_targetILNS1_3genE2ELNS1_11target_archE906ELNS1_3gpuE6ELNS1_3repE0EEENS1_30default_config_static_selectorELNS0_4arch9wavefront6targetE0EEEvT1_.kd
    .uniform_work_group_size: 1
    .uses_dynamic_stack: false
    .vgpr_count:     0
    .vgpr_spill_count: 0
    .wavefront_size: 32
    .workgroup_processor_mode: 1
  - .args:
      - .offset:         0
        .size:           104
        .value_kind:     by_value
    .group_segment_fixed_size: 0
    .kernarg_segment_align: 8
    .kernarg_segment_size: 104
    .language:       OpenCL C
    .language_version:
      - 2
      - 0
    .max_flat_workgroup_size: 256
    .name:           _ZN7rocprim17ROCPRIM_400000_NS6detail17trampoline_kernelINS0_14default_configENS1_20scan_config_selectorIdEEZZNS1_9scan_implILNS1_25lookback_scan_determinismE0ELb0ELb0ES3_PKdPddZZZN2at6native31launch_logcumsumexp_cuda_kernelERKNSB_10TensorBaseESF_lENKUlvE_clEvENKUlvE_clEvEUlddE_dEEDaPvRmT3_T4_T5_mT6_P12ihipStream_tbENKUlT_T0_E_clISt17integral_constantIbLb0EESW_EEDaSR_SS_EUlSR_E_NS1_11comp_targetILNS1_3genE10ELNS1_11target_archE1201ELNS1_3gpuE5ELNS1_3repE0EEENS1_30default_config_static_selectorELNS0_4arch9wavefront6targetE0EEEvT1_
    .private_segment_fixed_size: 0
    .sgpr_count:     0
    .sgpr_spill_count: 0
    .symbol:         _ZN7rocprim17ROCPRIM_400000_NS6detail17trampoline_kernelINS0_14default_configENS1_20scan_config_selectorIdEEZZNS1_9scan_implILNS1_25lookback_scan_determinismE0ELb0ELb0ES3_PKdPddZZZN2at6native31launch_logcumsumexp_cuda_kernelERKNSB_10TensorBaseESF_lENKUlvE_clEvENKUlvE_clEvEUlddE_dEEDaPvRmT3_T4_T5_mT6_P12ihipStream_tbENKUlT_T0_E_clISt17integral_constantIbLb0EESW_EEDaSR_SS_EUlSR_E_NS1_11comp_targetILNS1_3genE10ELNS1_11target_archE1201ELNS1_3gpuE5ELNS1_3repE0EEENS1_30default_config_static_selectorELNS0_4arch9wavefront6targetE0EEEvT1_.kd
    .uniform_work_group_size: 1
    .uses_dynamic_stack: false
    .vgpr_count:     0
    .vgpr_spill_count: 0
    .wavefront_size: 32
    .workgroup_processor_mode: 1
  - .args:
      - .offset:         0
        .size:           104
        .value_kind:     by_value
    .group_segment_fixed_size: 0
    .kernarg_segment_align: 8
    .kernarg_segment_size: 104
    .language:       OpenCL C
    .language_version:
      - 2
      - 0
    .max_flat_workgroup_size: 256
    .name:           _ZN7rocprim17ROCPRIM_400000_NS6detail17trampoline_kernelINS0_14default_configENS1_20scan_config_selectorIdEEZZNS1_9scan_implILNS1_25lookback_scan_determinismE0ELb0ELb0ES3_PKdPddZZZN2at6native31launch_logcumsumexp_cuda_kernelERKNSB_10TensorBaseESF_lENKUlvE_clEvENKUlvE_clEvEUlddE_dEEDaPvRmT3_T4_T5_mT6_P12ihipStream_tbENKUlT_T0_E_clISt17integral_constantIbLb0EESW_EEDaSR_SS_EUlSR_E_NS1_11comp_targetILNS1_3genE10ELNS1_11target_archE1200ELNS1_3gpuE4ELNS1_3repE0EEENS1_30default_config_static_selectorELNS0_4arch9wavefront6targetE0EEEvT1_
    .private_segment_fixed_size: 0
    .sgpr_count:     0
    .sgpr_spill_count: 0
    .symbol:         _ZN7rocprim17ROCPRIM_400000_NS6detail17trampoline_kernelINS0_14default_configENS1_20scan_config_selectorIdEEZZNS1_9scan_implILNS1_25lookback_scan_determinismE0ELb0ELb0ES3_PKdPddZZZN2at6native31launch_logcumsumexp_cuda_kernelERKNSB_10TensorBaseESF_lENKUlvE_clEvENKUlvE_clEvEUlddE_dEEDaPvRmT3_T4_T5_mT6_P12ihipStream_tbENKUlT_T0_E_clISt17integral_constantIbLb0EESW_EEDaSR_SS_EUlSR_E_NS1_11comp_targetILNS1_3genE10ELNS1_11target_archE1200ELNS1_3gpuE4ELNS1_3repE0EEENS1_30default_config_static_selectorELNS0_4arch9wavefront6targetE0EEEvT1_.kd
    .uniform_work_group_size: 1
    .uses_dynamic_stack: false
    .vgpr_count:     0
    .vgpr_spill_count: 0
    .wavefront_size: 32
    .workgroup_processor_mode: 1
  - .args:
      - .offset:         0
        .size:           104
        .value_kind:     by_value
      - .offset:         104
        .size:           4
        .value_kind:     hidden_block_count_x
      - .offset:         108
        .size:           4
        .value_kind:     hidden_block_count_y
      - .offset:         112
        .size:           4
        .value_kind:     hidden_block_count_z
      - .offset:         116
        .size:           2
        .value_kind:     hidden_group_size_x
      - .offset:         118
        .size:           2
        .value_kind:     hidden_group_size_y
      - .offset:         120
        .size:           2
        .value_kind:     hidden_group_size_z
      - .offset:         122
        .size:           2
        .value_kind:     hidden_remainder_x
      - .offset:         124
        .size:           2
        .value_kind:     hidden_remainder_y
      - .offset:         126
        .size:           2
        .value_kind:     hidden_remainder_z
      - .offset:         144
        .size:           8
        .value_kind:     hidden_global_offset_x
      - .offset:         152
        .size:           8
        .value_kind:     hidden_global_offset_y
      - .offset:         160
        .size:           8
        .value_kind:     hidden_global_offset_z
      - .offset:         168
        .size:           2
        .value_kind:     hidden_grid_dims
    .group_segment_fixed_size: 33792
    .kernarg_segment_align: 8
    .kernarg_segment_size: 360
    .language:       OpenCL C
    .language_version:
      - 2
      - 0
    .max_flat_workgroup_size: 256
    .name:           _ZN7rocprim17ROCPRIM_400000_NS6detail17trampoline_kernelINS0_14default_configENS1_20scan_config_selectorIdEEZZNS1_9scan_implILNS1_25lookback_scan_determinismE0ELb0ELb0ES3_PKdPddZZZN2at6native31launch_logcumsumexp_cuda_kernelERKNSB_10TensorBaseESF_lENKUlvE_clEvENKUlvE_clEvEUlddE_dEEDaPvRmT3_T4_T5_mT6_P12ihipStream_tbENKUlT_T0_E_clISt17integral_constantIbLb0EESW_EEDaSR_SS_EUlSR_E_NS1_11comp_targetILNS1_3genE9ELNS1_11target_archE1100ELNS1_3gpuE3ELNS1_3repE0EEENS1_30default_config_static_selectorELNS0_4arch9wavefront6targetE0EEEvT1_
    .private_segment_fixed_size: 120
    .sgpr_count:     78
    .sgpr_spill_count: 0
    .symbol:         _ZN7rocprim17ROCPRIM_400000_NS6detail17trampoline_kernelINS0_14default_configENS1_20scan_config_selectorIdEEZZNS1_9scan_implILNS1_25lookback_scan_determinismE0ELb0ELb0ES3_PKdPddZZZN2at6native31launch_logcumsumexp_cuda_kernelERKNSB_10TensorBaseESF_lENKUlvE_clEvENKUlvE_clEvEUlddE_dEEDaPvRmT3_T4_T5_mT6_P12ihipStream_tbENKUlT_T0_E_clISt17integral_constantIbLb0EESW_EEDaSR_SS_EUlSR_E_NS1_11comp_targetILNS1_3genE9ELNS1_11target_archE1100ELNS1_3gpuE3ELNS1_3repE0EEENS1_30default_config_static_selectorELNS0_4arch9wavefront6targetE0EEEvT1_.kd
    .uniform_work_group_size: 1
    .uses_dynamic_stack: false
    .vgpr_count:     248
    .vgpr_spill_count: 0
    .wavefront_size: 32
    .workgroup_processor_mode: 1
  - .args:
      - .offset:         0
        .size:           104
        .value_kind:     by_value
    .group_segment_fixed_size: 0
    .kernarg_segment_align: 8
    .kernarg_segment_size: 104
    .language:       OpenCL C
    .language_version:
      - 2
      - 0
    .max_flat_workgroup_size: 128
    .name:           _ZN7rocprim17ROCPRIM_400000_NS6detail17trampoline_kernelINS0_14default_configENS1_20scan_config_selectorIdEEZZNS1_9scan_implILNS1_25lookback_scan_determinismE0ELb0ELb0ES3_PKdPddZZZN2at6native31launch_logcumsumexp_cuda_kernelERKNSB_10TensorBaseESF_lENKUlvE_clEvENKUlvE_clEvEUlddE_dEEDaPvRmT3_T4_T5_mT6_P12ihipStream_tbENKUlT_T0_E_clISt17integral_constantIbLb0EESW_EEDaSR_SS_EUlSR_E_NS1_11comp_targetILNS1_3genE8ELNS1_11target_archE1030ELNS1_3gpuE2ELNS1_3repE0EEENS1_30default_config_static_selectorELNS0_4arch9wavefront6targetE0EEEvT1_
    .private_segment_fixed_size: 0
    .sgpr_count:     0
    .sgpr_spill_count: 0
    .symbol:         _ZN7rocprim17ROCPRIM_400000_NS6detail17trampoline_kernelINS0_14default_configENS1_20scan_config_selectorIdEEZZNS1_9scan_implILNS1_25lookback_scan_determinismE0ELb0ELb0ES3_PKdPddZZZN2at6native31launch_logcumsumexp_cuda_kernelERKNSB_10TensorBaseESF_lENKUlvE_clEvENKUlvE_clEvEUlddE_dEEDaPvRmT3_T4_T5_mT6_P12ihipStream_tbENKUlT_T0_E_clISt17integral_constantIbLb0EESW_EEDaSR_SS_EUlSR_E_NS1_11comp_targetILNS1_3genE8ELNS1_11target_archE1030ELNS1_3gpuE2ELNS1_3repE0EEENS1_30default_config_static_selectorELNS0_4arch9wavefront6targetE0EEEvT1_.kd
    .uniform_work_group_size: 1
    .uses_dynamic_stack: false
    .vgpr_count:     0
    .vgpr_spill_count: 0
    .wavefront_size: 32
    .workgroup_processor_mode: 1
  - .args:
      - .offset:         0
        .size:           40
        .value_kind:     by_value
    .group_segment_fixed_size: 0
    .kernarg_segment_align: 8
    .kernarg_segment_size: 40
    .language:       OpenCL C
    .language_version:
      - 2
      - 0
    .max_flat_workgroup_size: 128
    .name:           _ZN7rocprim17ROCPRIM_400000_NS6detail17trampoline_kernelINS0_14default_configENS1_25transform_config_selectorIdLb1EEEZNS1_14transform_implILb1ES3_S5_PdS7_NS0_8identityIdEEEE10hipError_tT2_T3_mT4_P12ihipStream_tbEUlT_E_NS1_11comp_targetILNS1_3genE0ELNS1_11target_archE4294967295ELNS1_3gpuE0ELNS1_3repE0EEENS1_30default_config_static_selectorELNS0_4arch9wavefront6targetE0EEEvT1_
    .private_segment_fixed_size: 0
    .sgpr_count:     0
    .sgpr_spill_count: 0
    .symbol:         _ZN7rocprim17ROCPRIM_400000_NS6detail17trampoline_kernelINS0_14default_configENS1_25transform_config_selectorIdLb1EEEZNS1_14transform_implILb1ES3_S5_PdS7_NS0_8identityIdEEEE10hipError_tT2_T3_mT4_P12ihipStream_tbEUlT_E_NS1_11comp_targetILNS1_3genE0ELNS1_11target_archE4294967295ELNS1_3gpuE0ELNS1_3repE0EEENS1_30default_config_static_selectorELNS0_4arch9wavefront6targetE0EEEvT1_.kd
    .uniform_work_group_size: 1
    .uses_dynamic_stack: false
    .vgpr_count:     0
    .vgpr_spill_count: 0
    .wavefront_size: 32
    .workgroup_processor_mode: 1
  - .args:
      - .offset:         0
        .size:           40
        .value_kind:     by_value
    .group_segment_fixed_size: 0
    .kernarg_segment_align: 8
    .kernarg_segment_size: 40
    .language:       OpenCL C
    .language_version:
      - 2
      - 0
    .max_flat_workgroup_size: 1024
    .name:           _ZN7rocprim17ROCPRIM_400000_NS6detail17trampoline_kernelINS0_14default_configENS1_25transform_config_selectorIdLb1EEEZNS1_14transform_implILb1ES3_S5_PdS7_NS0_8identityIdEEEE10hipError_tT2_T3_mT4_P12ihipStream_tbEUlT_E_NS1_11comp_targetILNS1_3genE10ELNS1_11target_archE1201ELNS1_3gpuE5ELNS1_3repE0EEENS1_30default_config_static_selectorELNS0_4arch9wavefront6targetE0EEEvT1_
    .private_segment_fixed_size: 0
    .sgpr_count:     0
    .sgpr_spill_count: 0
    .symbol:         _ZN7rocprim17ROCPRIM_400000_NS6detail17trampoline_kernelINS0_14default_configENS1_25transform_config_selectorIdLb1EEEZNS1_14transform_implILb1ES3_S5_PdS7_NS0_8identityIdEEEE10hipError_tT2_T3_mT4_P12ihipStream_tbEUlT_E_NS1_11comp_targetILNS1_3genE10ELNS1_11target_archE1201ELNS1_3gpuE5ELNS1_3repE0EEENS1_30default_config_static_selectorELNS0_4arch9wavefront6targetE0EEEvT1_.kd
    .uniform_work_group_size: 1
    .uses_dynamic_stack: false
    .vgpr_count:     0
    .vgpr_spill_count: 0
    .wavefront_size: 32
    .workgroup_processor_mode: 1
  - .args:
      - .offset:         0
        .size:           40
        .value_kind:     by_value
    .group_segment_fixed_size: 0
    .kernarg_segment_align: 8
    .kernarg_segment_size: 40
    .language:       OpenCL C
    .language_version:
      - 2
      - 0
    .max_flat_workgroup_size: 1024
    .name:           _ZN7rocprim17ROCPRIM_400000_NS6detail17trampoline_kernelINS0_14default_configENS1_25transform_config_selectorIdLb1EEEZNS1_14transform_implILb1ES3_S5_PdS7_NS0_8identityIdEEEE10hipError_tT2_T3_mT4_P12ihipStream_tbEUlT_E_NS1_11comp_targetILNS1_3genE5ELNS1_11target_archE942ELNS1_3gpuE9ELNS1_3repE0EEENS1_30default_config_static_selectorELNS0_4arch9wavefront6targetE0EEEvT1_
    .private_segment_fixed_size: 0
    .sgpr_count:     0
    .sgpr_spill_count: 0
    .symbol:         _ZN7rocprim17ROCPRIM_400000_NS6detail17trampoline_kernelINS0_14default_configENS1_25transform_config_selectorIdLb1EEEZNS1_14transform_implILb1ES3_S5_PdS7_NS0_8identityIdEEEE10hipError_tT2_T3_mT4_P12ihipStream_tbEUlT_E_NS1_11comp_targetILNS1_3genE5ELNS1_11target_archE942ELNS1_3gpuE9ELNS1_3repE0EEENS1_30default_config_static_selectorELNS0_4arch9wavefront6targetE0EEEvT1_.kd
    .uniform_work_group_size: 1
    .uses_dynamic_stack: false
    .vgpr_count:     0
    .vgpr_spill_count: 0
    .wavefront_size: 32
    .workgroup_processor_mode: 1
  - .args:
      - .offset:         0
        .size:           40
        .value_kind:     by_value
    .group_segment_fixed_size: 0
    .kernarg_segment_align: 8
    .kernarg_segment_size: 40
    .language:       OpenCL C
    .language_version:
      - 2
      - 0
    .max_flat_workgroup_size: 1024
    .name:           _ZN7rocprim17ROCPRIM_400000_NS6detail17trampoline_kernelINS0_14default_configENS1_25transform_config_selectorIdLb1EEEZNS1_14transform_implILb1ES3_S5_PdS7_NS0_8identityIdEEEE10hipError_tT2_T3_mT4_P12ihipStream_tbEUlT_E_NS1_11comp_targetILNS1_3genE4ELNS1_11target_archE910ELNS1_3gpuE8ELNS1_3repE0EEENS1_30default_config_static_selectorELNS0_4arch9wavefront6targetE0EEEvT1_
    .private_segment_fixed_size: 0
    .sgpr_count:     0
    .sgpr_spill_count: 0
    .symbol:         _ZN7rocprim17ROCPRIM_400000_NS6detail17trampoline_kernelINS0_14default_configENS1_25transform_config_selectorIdLb1EEEZNS1_14transform_implILb1ES3_S5_PdS7_NS0_8identityIdEEEE10hipError_tT2_T3_mT4_P12ihipStream_tbEUlT_E_NS1_11comp_targetILNS1_3genE4ELNS1_11target_archE910ELNS1_3gpuE8ELNS1_3repE0EEENS1_30default_config_static_selectorELNS0_4arch9wavefront6targetE0EEEvT1_.kd
    .uniform_work_group_size: 1
    .uses_dynamic_stack: false
    .vgpr_count:     0
    .vgpr_spill_count: 0
    .wavefront_size: 32
    .workgroup_processor_mode: 1
  - .args:
      - .offset:         0
        .size:           40
        .value_kind:     by_value
    .group_segment_fixed_size: 0
    .kernarg_segment_align: 8
    .kernarg_segment_size: 40
    .language:       OpenCL C
    .language_version:
      - 2
      - 0
    .max_flat_workgroup_size: 128
    .name:           _ZN7rocprim17ROCPRIM_400000_NS6detail17trampoline_kernelINS0_14default_configENS1_25transform_config_selectorIdLb1EEEZNS1_14transform_implILb1ES3_S5_PdS7_NS0_8identityIdEEEE10hipError_tT2_T3_mT4_P12ihipStream_tbEUlT_E_NS1_11comp_targetILNS1_3genE3ELNS1_11target_archE908ELNS1_3gpuE7ELNS1_3repE0EEENS1_30default_config_static_selectorELNS0_4arch9wavefront6targetE0EEEvT1_
    .private_segment_fixed_size: 0
    .sgpr_count:     0
    .sgpr_spill_count: 0
    .symbol:         _ZN7rocprim17ROCPRIM_400000_NS6detail17trampoline_kernelINS0_14default_configENS1_25transform_config_selectorIdLb1EEEZNS1_14transform_implILb1ES3_S5_PdS7_NS0_8identityIdEEEE10hipError_tT2_T3_mT4_P12ihipStream_tbEUlT_E_NS1_11comp_targetILNS1_3genE3ELNS1_11target_archE908ELNS1_3gpuE7ELNS1_3repE0EEENS1_30default_config_static_selectorELNS0_4arch9wavefront6targetE0EEEvT1_.kd
    .uniform_work_group_size: 1
    .uses_dynamic_stack: false
    .vgpr_count:     0
    .vgpr_spill_count: 0
    .wavefront_size: 32
    .workgroup_processor_mode: 1
  - .args:
      - .offset:         0
        .size:           40
        .value_kind:     by_value
    .group_segment_fixed_size: 0
    .kernarg_segment_align: 8
    .kernarg_segment_size: 40
    .language:       OpenCL C
    .language_version:
      - 2
      - 0
    .max_flat_workgroup_size: 1024
    .name:           _ZN7rocprim17ROCPRIM_400000_NS6detail17trampoline_kernelINS0_14default_configENS1_25transform_config_selectorIdLb1EEEZNS1_14transform_implILb1ES3_S5_PdS7_NS0_8identityIdEEEE10hipError_tT2_T3_mT4_P12ihipStream_tbEUlT_E_NS1_11comp_targetILNS1_3genE2ELNS1_11target_archE906ELNS1_3gpuE6ELNS1_3repE0EEENS1_30default_config_static_selectorELNS0_4arch9wavefront6targetE0EEEvT1_
    .private_segment_fixed_size: 0
    .sgpr_count:     0
    .sgpr_spill_count: 0
    .symbol:         _ZN7rocprim17ROCPRIM_400000_NS6detail17trampoline_kernelINS0_14default_configENS1_25transform_config_selectorIdLb1EEEZNS1_14transform_implILb1ES3_S5_PdS7_NS0_8identityIdEEEE10hipError_tT2_T3_mT4_P12ihipStream_tbEUlT_E_NS1_11comp_targetILNS1_3genE2ELNS1_11target_archE906ELNS1_3gpuE6ELNS1_3repE0EEENS1_30default_config_static_selectorELNS0_4arch9wavefront6targetE0EEEvT1_.kd
    .uniform_work_group_size: 1
    .uses_dynamic_stack: false
    .vgpr_count:     0
    .vgpr_spill_count: 0
    .wavefront_size: 32
    .workgroup_processor_mode: 1
  - .args:
      - .offset:         0
        .size:           40
        .value_kind:     by_value
      - .offset:         40
        .size:           4
        .value_kind:     hidden_block_count_x
      - .offset:         44
        .size:           4
        .value_kind:     hidden_block_count_y
      - .offset:         48
        .size:           4
        .value_kind:     hidden_block_count_z
      - .offset:         52
        .size:           2
        .value_kind:     hidden_group_size_x
      - .offset:         54
        .size:           2
        .value_kind:     hidden_group_size_y
      - .offset:         56
        .size:           2
        .value_kind:     hidden_group_size_z
      - .offset:         58
        .size:           2
        .value_kind:     hidden_remainder_x
      - .offset:         60
        .size:           2
        .value_kind:     hidden_remainder_y
      - .offset:         62
        .size:           2
        .value_kind:     hidden_remainder_z
      - .offset:         80
        .size:           8
        .value_kind:     hidden_global_offset_x
      - .offset:         88
        .size:           8
        .value_kind:     hidden_global_offset_y
      - .offset:         96
        .size:           8
        .value_kind:     hidden_global_offset_z
      - .offset:         104
        .size:           2
        .value_kind:     hidden_grid_dims
    .group_segment_fixed_size: 0
    .kernarg_segment_align: 8
    .kernarg_segment_size: 296
    .language:       OpenCL C
    .language_version:
      - 2
      - 0
    .max_flat_workgroup_size: 1024
    .name:           _ZN7rocprim17ROCPRIM_400000_NS6detail17trampoline_kernelINS0_14default_configENS1_25transform_config_selectorIdLb1EEEZNS1_14transform_implILb1ES3_S5_PdS7_NS0_8identityIdEEEE10hipError_tT2_T3_mT4_P12ihipStream_tbEUlT_E_NS1_11comp_targetILNS1_3genE9ELNS1_11target_archE1100ELNS1_3gpuE3ELNS1_3repE0EEENS1_30default_config_static_selectorELNS0_4arch9wavefront6targetE0EEEvT1_
    .private_segment_fixed_size: 0
    .sgpr_count:     18
    .sgpr_spill_count: 0
    .symbol:         _ZN7rocprim17ROCPRIM_400000_NS6detail17trampoline_kernelINS0_14default_configENS1_25transform_config_selectorIdLb1EEEZNS1_14transform_implILb1ES3_S5_PdS7_NS0_8identityIdEEEE10hipError_tT2_T3_mT4_P12ihipStream_tbEUlT_E_NS1_11comp_targetILNS1_3genE9ELNS1_11target_archE1100ELNS1_3gpuE3ELNS1_3repE0EEENS1_30default_config_static_selectorELNS0_4arch9wavefront6targetE0EEEvT1_.kd
    .uniform_work_group_size: 1
    .uses_dynamic_stack: false
    .vgpr_count:     7
    .vgpr_spill_count: 0
    .wavefront_size: 32
    .workgroup_processor_mode: 1
  - .args:
      - .offset:         0
        .size:           40
        .value_kind:     by_value
    .group_segment_fixed_size: 0
    .kernarg_segment_align: 8
    .kernarg_segment_size: 40
    .language:       OpenCL C
    .language_version:
      - 2
      - 0
    .max_flat_workgroup_size: 1024
    .name:           _ZN7rocprim17ROCPRIM_400000_NS6detail17trampoline_kernelINS0_14default_configENS1_25transform_config_selectorIdLb1EEEZNS1_14transform_implILb1ES3_S5_PdS7_NS0_8identityIdEEEE10hipError_tT2_T3_mT4_P12ihipStream_tbEUlT_E_NS1_11comp_targetILNS1_3genE8ELNS1_11target_archE1030ELNS1_3gpuE2ELNS1_3repE0EEENS1_30default_config_static_selectorELNS0_4arch9wavefront6targetE0EEEvT1_
    .private_segment_fixed_size: 0
    .sgpr_count:     0
    .sgpr_spill_count: 0
    .symbol:         _ZN7rocprim17ROCPRIM_400000_NS6detail17trampoline_kernelINS0_14default_configENS1_25transform_config_selectorIdLb1EEEZNS1_14transform_implILb1ES3_S5_PdS7_NS0_8identityIdEEEE10hipError_tT2_T3_mT4_P12ihipStream_tbEUlT_E_NS1_11comp_targetILNS1_3genE8ELNS1_11target_archE1030ELNS1_3gpuE2ELNS1_3repE0EEENS1_30default_config_static_selectorELNS0_4arch9wavefront6targetE0EEEvT1_.kd
    .uniform_work_group_size: 1
    .uses_dynamic_stack: false
    .vgpr_count:     0
    .vgpr_spill_count: 0
    .wavefront_size: 32
    .workgroup_processor_mode: 1
  - .args:
      - .offset:         0
        .size:           40
        .value_kind:     by_value
    .group_segment_fixed_size: 0
    .kernarg_segment_align: 8
    .kernarg_segment_size: 40
    .language:       OpenCL C
    .language_version:
      - 2
      - 0
    .max_flat_workgroup_size: 256
    .name:           _ZN7rocprim17ROCPRIM_400000_NS6detail17trampoline_kernelINS0_14default_configENS1_20scan_config_selectorIdEEZZNS1_9scan_implILNS1_25lookback_scan_determinismE0ELb0ELb0ES3_PKdPddZZZN2at6native31launch_logcumsumexp_cuda_kernelERKNSB_10TensorBaseESF_lENKUlvE_clEvENKUlvE_clEvEUlddE_dEEDaPvRmT3_T4_T5_mT6_P12ihipStream_tbENKUlT_T0_E_clISt17integral_constantIbLb0EESW_EEDaSR_SS_EUlSR_E0_NS1_11comp_targetILNS1_3genE0ELNS1_11target_archE4294967295ELNS1_3gpuE0ELNS1_3repE0EEENS1_30default_config_static_selectorELNS0_4arch9wavefront6targetE0EEEvT1_
    .private_segment_fixed_size: 0
    .sgpr_count:     0
    .sgpr_spill_count: 0
    .symbol:         _ZN7rocprim17ROCPRIM_400000_NS6detail17trampoline_kernelINS0_14default_configENS1_20scan_config_selectorIdEEZZNS1_9scan_implILNS1_25lookback_scan_determinismE0ELb0ELb0ES3_PKdPddZZZN2at6native31launch_logcumsumexp_cuda_kernelERKNSB_10TensorBaseESF_lENKUlvE_clEvENKUlvE_clEvEUlddE_dEEDaPvRmT3_T4_T5_mT6_P12ihipStream_tbENKUlT_T0_E_clISt17integral_constantIbLb0EESW_EEDaSR_SS_EUlSR_E0_NS1_11comp_targetILNS1_3genE0ELNS1_11target_archE4294967295ELNS1_3gpuE0ELNS1_3repE0EEENS1_30default_config_static_selectorELNS0_4arch9wavefront6targetE0EEEvT1_.kd
    .uniform_work_group_size: 1
    .uses_dynamic_stack: false
    .vgpr_count:     0
    .vgpr_spill_count: 0
    .wavefront_size: 32
    .workgroup_processor_mode: 1
  - .args:
      - .offset:         0
        .size:           40
        .value_kind:     by_value
    .group_segment_fixed_size: 0
    .kernarg_segment_align: 8
    .kernarg_segment_size: 40
    .language:       OpenCL C
    .language_version:
      - 2
      - 0
    .max_flat_workgroup_size: 256
    .name:           _ZN7rocprim17ROCPRIM_400000_NS6detail17trampoline_kernelINS0_14default_configENS1_20scan_config_selectorIdEEZZNS1_9scan_implILNS1_25lookback_scan_determinismE0ELb0ELb0ES3_PKdPddZZZN2at6native31launch_logcumsumexp_cuda_kernelERKNSB_10TensorBaseESF_lENKUlvE_clEvENKUlvE_clEvEUlddE_dEEDaPvRmT3_T4_T5_mT6_P12ihipStream_tbENKUlT_T0_E_clISt17integral_constantIbLb0EESW_EEDaSR_SS_EUlSR_E0_NS1_11comp_targetILNS1_3genE5ELNS1_11target_archE942ELNS1_3gpuE9ELNS1_3repE0EEENS1_30default_config_static_selectorELNS0_4arch9wavefront6targetE0EEEvT1_
    .private_segment_fixed_size: 0
    .sgpr_count:     0
    .sgpr_spill_count: 0
    .symbol:         _ZN7rocprim17ROCPRIM_400000_NS6detail17trampoline_kernelINS0_14default_configENS1_20scan_config_selectorIdEEZZNS1_9scan_implILNS1_25lookback_scan_determinismE0ELb0ELb0ES3_PKdPddZZZN2at6native31launch_logcumsumexp_cuda_kernelERKNSB_10TensorBaseESF_lENKUlvE_clEvENKUlvE_clEvEUlddE_dEEDaPvRmT3_T4_T5_mT6_P12ihipStream_tbENKUlT_T0_E_clISt17integral_constantIbLb0EESW_EEDaSR_SS_EUlSR_E0_NS1_11comp_targetILNS1_3genE5ELNS1_11target_archE942ELNS1_3gpuE9ELNS1_3repE0EEENS1_30default_config_static_selectorELNS0_4arch9wavefront6targetE0EEEvT1_.kd
    .uniform_work_group_size: 1
    .uses_dynamic_stack: false
    .vgpr_count:     0
    .vgpr_spill_count: 0
    .wavefront_size: 32
    .workgroup_processor_mode: 1
  - .args:
      - .offset:         0
        .size:           40
        .value_kind:     by_value
    .group_segment_fixed_size: 0
    .kernarg_segment_align: 8
    .kernarg_segment_size: 40
    .language:       OpenCL C
    .language_version:
      - 2
      - 0
    .max_flat_workgroup_size: 128
    .name:           _ZN7rocprim17ROCPRIM_400000_NS6detail17trampoline_kernelINS0_14default_configENS1_20scan_config_selectorIdEEZZNS1_9scan_implILNS1_25lookback_scan_determinismE0ELb0ELb0ES3_PKdPddZZZN2at6native31launch_logcumsumexp_cuda_kernelERKNSB_10TensorBaseESF_lENKUlvE_clEvENKUlvE_clEvEUlddE_dEEDaPvRmT3_T4_T5_mT6_P12ihipStream_tbENKUlT_T0_E_clISt17integral_constantIbLb0EESW_EEDaSR_SS_EUlSR_E0_NS1_11comp_targetILNS1_3genE4ELNS1_11target_archE910ELNS1_3gpuE8ELNS1_3repE0EEENS1_30default_config_static_selectorELNS0_4arch9wavefront6targetE0EEEvT1_
    .private_segment_fixed_size: 0
    .sgpr_count:     0
    .sgpr_spill_count: 0
    .symbol:         _ZN7rocprim17ROCPRIM_400000_NS6detail17trampoline_kernelINS0_14default_configENS1_20scan_config_selectorIdEEZZNS1_9scan_implILNS1_25lookback_scan_determinismE0ELb0ELb0ES3_PKdPddZZZN2at6native31launch_logcumsumexp_cuda_kernelERKNSB_10TensorBaseESF_lENKUlvE_clEvENKUlvE_clEvEUlddE_dEEDaPvRmT3_T4_T5_mT6_P12ihipStream_tbENKUlT_T0_E_clISt17integral_constantIbLb0EESW_EEDaSR_SS_EUlSR_E0_NS1_11comp_targetILNS1_3genE4ELNS1_11target_archE910ELNS1_3gpuE8ELNS1_3repE0EEENS1_30default_config_static_selectorELNS0_4arch9wavefront6targetE0EEEvT1_.kd
    .uniform_work_group_size: 1
    .uses_dynamic_stack: false
    .vgpr_count:     0
    .vgpr_spill_count: 0
    .wavefront_size: 32
    .workgroup_processor_mode: 1
  - .args:
      - .offset:         0
        .size:           40
        .value_kind:     by_value
    .group_segment_fixed_size: 0
    .kernarg_segment_align: 8
    .kernarg_segment_size: 40
    .language:       OpenCL C
    .language_version:
      - 2
      - 0
    .max_flat_workgroup_size: 256
    .name:           _ZN7rocprim17ROCPRIM_400000_NS6detail17trampoline_kernelINS0_14default_configENS1_20scan_config_selectorIdEEZZNS1_9scan_implILNS1_25lookback_scan_determinismE0ELb0ELb0ES3_PKdPddZZZN2at6native31launch_logcumsumexp_cuda_kernelERKNSB_10TensorBaseESF_lENKUlvE_clEvENKUlvE_clEvEUlddE_dEEDaPvRmT3_T4_T5_mT6_P12ihipStream_tbENKUlT_T0_E_clISt17integral_constantIbLb0EESW_EEDaSR_SS_EUlSR_E0_NS1_11comp_targetILNS1_3genE3ELNS1_11target_archE908ELNS1_3gpuE7ELNS1_3repE0EEENS1_30default_config_static_selectorELNS0_4arch9wavefront6targetE0EEEvT1_
    .private_segment_fixed_size: 0
    .sgpr_count:     0
    .sgpr_spill_count: 0
    .symbol:         _ZN7rocprim17ROCPRIM_400000_NS6detail17trampoline_kernelINS0_14default_configENS1_20scan_config_selectorIdEEZZNS1_9scan_implILNS1_25lookback_scan_determinismE0ELb0ELb0ES3_PKdPddZZZN2at6native31launch_logcumsumexp_cuda_kernelERKNSB_10TensorBaseESF_lENKUlvE_clEvENKUlvE_clEvEUlddE_dEEDaPvRmT3_T4_T5_mT6_P12ihipStream_tbENKUlT_T0_E_clISt17integral_constantIbLb0EESW_EEDaSR_SS_EUlSR_E0_NS1_11comp_targetILNS1_3genE3ELNS1_11target_archE908ELNS1_3gpuE7ELNS1_3repE0EEENS1_30default_config_static_selectorELNS0_4arch9wavefront6targetE0EEEvT1_.kd
    .uniform_work_group_size: 1
    .uses_dynamic_stack: false
    .vgpr_count:     0
    .vgpr_spill_count: 0
    .wavefront_size: 32
    .workgroup_processor_mode: 1
  - .args:
      - .offset:         0
        .size:           40
        .value_kind:     by_value
    .group_segment_fixed_size: 0
    .kernarg_segment_align: 8
    .kernarg_segment_size: 40
    .language:       OpenCL C
    .language_version:
      - 2
      - 0
    .max_flat_workgroup_size: 128
    .name:           _ZN7rocprim17ROCPRIM_400000_NS6detail17trampoline_kernelINS0_14default_configENS1_20scan_config_selectorIdEEZZNS1_9scan_implILNS1_25lookback_scan_determinismE0ELb0ELb0ES3_PKdPddZZZN2at6native31launch_logcumsumexp_cuda_kernelERKNSB_10TensorBaseESF_lENKUlvE_clEvENKUlvE_clEvEUlddE_dEEDaPvRmT3_T4_T5_mT6_P12ihipStream_tbENKUlT_T0_E_clISt17integral_constantIbLb0EESW_EEDaSR_SS_EUlSR_E0_NS1_11comp_targetILNS1_3genE2ELNS1_11target_archE906ELNS1_3gpuE6ELNS1_3repE0EEENS1_30default_config_static_selectorELNS0_4arch9wavefront6targetE0EEEvT1_
    .private_segment_fixed_size: 0
    .sgpr_count:     0
    .sgpr_spill_count: 0
    .symbol:         _ZN7rocprim17ROCPRIM_400000_NS6detail17trampoline_kernelINS0_14default_configENS1_20scan_config_selectorIdEEZZNS1_9scan_implILNS1_25lookback_scan_determinismE0ELb0ELb0ES3_PKdPddZZZN2at6native31launch_logcumsumexp_cuda_kernelERKNSB_10TensorBaseESF_lENKUlvE_clEvENKUlvE_clEvEUlddE_dEEDaPvRmT3_T4_T5_mT6_P12ihipStream_tbENKUlT_T0_E_clISt17integral_constantIbLb0EESW_EEDaSR_SS_EUlSR_E0_NS1_11comp_targetILNS1_3genE2ELNS1_11target_archE906ELNS1_3gpuE6ELNS1_3repE0EEENS1_30default_config_static_selectorELNS0_4arch9wavefront6targetE0EEEvT1_.kd
    .uniform_work_group_size: 1
    .uses_dynamic_stack: false
    .vgpr_count:     0
    .vgpr_spill_count: 0
    .wavefront_size: 32
    .workgroup_processor_mode: 1
  - .args:
      - .offset:         0
        .size:           40
        .value_kind:     by_value
    .group_segment_fixed_size: 0
    .kernarg_segment_align: 8
    .kernarg_segment_size: 40
    .language:       OpenCL C
    .language_version:
      - 2
      - 0
    .max_flat_workgroup_size: 256
    .name:           _ZN7rocprim17ROCPRIM_400000_NS6detail17trampoline_kernelINS0_14default_configENS1_20scan_config_selectorIdEEZZNS1_9scan_implILNS1_25lookback_scan_determinismE0ELb0ELb0ES3_PKdPddZZZN2at6native31launch_logcumsumexp_cuda_kernelERKNSB_10TensorBaseESF_lENKUlvE_clEvENKUlvE_clEvEUlddE_dEEDaPvRmT3_T4_T5_mT6_P12ihipStream_tbENKUlT_T0_E_clISt17integral_constantIbLb0EESW_EEDaSR_SS_EUlSR_E0_NS1_11comp_targetILNS1_3genE10ELNS1_11target_archE1201ELNS1_3gpuE5ELNS1_3repE0EEENS1_30default_config_static_selectorELNS0_4arch9wavefront6targetE0EEEvT1_
    .private_segment_fixed_size: 0
    .sgpr_count:     0
    .sgpr_spill_count: 0
    .symbol:         _ZN7rocprim17ROCPRIM_400000_NS6detail17trampoline_kernelINS0_14default_configENS1_20scan_config_selectorIdEEZZNS1_9scan_implILNS1_25lookback_scan_determinismE0ELb0ELb0ES3_PKdPddZZZN2at6native31launch_logcumsumexp_cuda_kernelERKNSB_10TensorBaseESF_lENKUlvE_clEvENKUlvE_clEvEUlddE_dEEDaPvRmT3_T4_T5_mT6_P12ihipStream_tbENKUlT_T0_E_clISt17integral_constantIbLb0EESW_EEDaSR_SS_EUlSR_E0_NS1_11comp_targetILNS1_3genE10ELNS1_11target_archE1201ELNS1_3gpuE5ELNS1_3repE0EEENS1_30default_config_static_selectorELNS0_4arch9wavefront6targetE0EEEvT1_.kd
    .uniform_work_group_size: 1
    .uses_dynamic_stack: false
    .vgpr_count:     0
    .vgpr_spill_count: 0
    .wavefront_size: 32
    .workgroup_processor_mode: 1
  - .args:
      - .offset:         0
        .size:           40
        .value_kind:     by_value
    .group_segment_fixed_size: 0
    .kernarg_segment_align: 8
    .kernarg_segment_size: 40
    .language:       OpenCL C
    .language_version:
      - 2
      - 0
    .max_flat_workgroup_size: 256
    .name:           _ZN7rocprim17ROCPRIM_400000_NS6detail17trampoline_kernelINS0_14default_configENS1_20scan_config_selectorIdEEZZNS1_9scan_implILNS1_25lookback_scan_determinismE0ELb0ELb0ES3_PKdPddZZZN2at6native31launch_logcumsumexp_cuda_kernelERKNSB_10TensorBaseESF_lENKUlvE_clEvENKUlvE_clEvEUlddE_dEEDaPvRmT3_T4_T5_mT6_P12ihipStream_tbENKUlT_T0_E_clISt17integral_constantIbLb0EESW_EEDaSR_SS_EUlSR_E0_NS1_11comp_targetILNS1_3genE10ELNS1_11target_archE1200ELNS1_3gpuE4ELNS1_3repE0EEENS1_30default_config_static_selectorELNS0_4arch9wavefront6targetE0EEEvT1_
    .private_segment_fixed_size: 0
    .sgpr_count:     0
    .sgpr_spill_count: 0
    .symbol:         _ZN7rocprim17ROCPRIM_400000_NS6detail17trampoline_kernelINS0_14default_configENS1_20scan_config_selectorIdEEZZNS1_9scan_implILNS1_25lookback_scan_determinismE0ELb0ELb0ES3_PKdPddZZZN2at6native31launch_logcumsumexp_cuda_kernelERKNSB_10TensorBaseESF_lENKUlvE_clEvENKUlvE_clEvEUlddE_dEEDaPvRmT3_T4_T5_mT6_P12ihipStream_tbENKUlT_T0_E_clISt17integral_constantIbLb0EESW_EEDaSR_SS_EUlSR_E0_NS1_11comp_targetILNS1_3genE10ELNS1_11target_archE1200ELNS1_3gpuE4ELNS1_3repE0EEENS1_30default_config_static_selectorELNS0_4arch9wavefront6targetE0EEEvT1_.kd
    .uniform_work_group_size: 1
    .uses_dynamic_stack: false
    .vgpr_count:     0
    .vgpr_spill_count: 0
    .wavefront_size: 32
    .workgroup_processor_mode: 1
  - .args:
      - .offset:         0
        .size:           40
        .value_kind:     by_value
    .group_segment_fixed_size: 33792
    .kernarg_segment_align: 8
    .kernarg_segment_size: 40
    .language:       OpenCL C
    .language_version:
      - 2
      - 0
    .max_flat_workgroup_size: 256
    .name:           _ZN7rocprim17ROCPRIM_400000_NS6detail17trampoline_kernelINS0_14default_configENS1_20scan_config_selectorIdEEZZNS1_9scan_implILNS1_25lookback_scan_determinismE0ELb0ELb0ES3_PKdPddZZZN2at6native31launch_logcumsumexp_cuda_kernelERKNSB_10TensorBaseESF_lENKUlvE_clEvENKUlvE_clEvEUlddE_dEEDaPvRmT3_T4_T5_mT6_P12ihipStream_tbENKUlT_T0_E_clISt17integral_constantIbLb0EESW_EEDaSR_SS_EUlSR_E0_NS1_11comp_targetILNS1_3genE9ELNS1_11target_archE1100ELNS1_3gpuE3ELNS1_3repE0EEENS1_30default_config_static_selectorELNS0_4arch9wavefront6targetE0EEEvT1_
    .private_segment_fixed_size: 0
    .sgpr_count:     50
    .sgpr_spill_count: 0
    .symbol:         _ZN7rocprim17ROCPRIM_400000_NS6detail17trampoline_kernelINS0_14default_configENS1_20scan_config_selectorIdEEZZNS1_9scan_implILNS1_25lookback_scan_determinismE0ELb0ELb0ES3_PKdPddZZZN2at6native31launch_logcumsumexp_cuda_kernelERKNSB_10TensorBaseESF_lENKUlvE_clEvENKUlvE_clEvEUlddE_dEEDaPvRmT3_T4_T5_mT6_P12ihipStream_tbENKUlT_T0_E_clISt17integral_constantIbLb0EESW_EEDaSR_SS_EUlSR_E0_NS1_11comp_targetILNS1_3genE9ELNS1_11target_archE1100ELNS1_3gpuE3ELNS1_3repE0EEENS1_30default_config_static_selectorELNS0_4arch9wavefront6targetE0EEEvT1_.kd
    .uniform_work_group_size: 1
    .uses_dynamic_stack: false
    .vgpr_count:     119
    .vgpr_spill_count: 0
    .wavefront_size: 32
    .workgroup_processor_mode: 1
  - .args:
      - .offset:         0
        .size:           40
        .value_kind:     by_value
    .group_segment_fixed_size: 0
    .kernarg_segment_align: 8
    .kernarg_segment_size: 40
    .language:       OpenCL C
    .language_version:
      - 2
      - 0
    .max_flat_workgroup_size: 128
    .name:           _ZN7rocprim17ROCPRIM_400000_NS6detail17trampoline_kernelINS0_14default_configENS1_20scan_config_selectorIdEEZZNS1_9scan_implILNS1_25lookback_scan_determinismE0ELb0ELb0ES3_PKdPddZZZN2at6native31launch_logcumsumexp_cuda_kernelERKNSB_10TensorBaseESF_lENKUlvE_clEvENKUlvE_clEvEUlddE_dEEDaPvRmT3_T4_T5_mT6_P12ihipStream_tbENKUlT_T0_E_clISt17integral_constantIbLb0EESW_EEDaSR_SS_EUlSR_E0_NS1_11comp_targetILNS1_3genE8ELNS1_11target_archE1030ELNS1_3gpuE2ELNS1_3repE0EEENS1_30default_config_static_selectorELNS0_4arch9wavefront6targetE0EEEvT1_
    .private_segment_fixed_size: 0
    .sgpr_count:     0
    .sgpr_spill_count: 0
    .symbol:         _ZN7rocprim17ROCPRIM_400000_NS6detail17trampoline_kernelINS0_14default_configENS1_20scan_config_selectorIdEEZZNS1_9scan_implILNS1_25lookback_scan_determinismE0ELb0ELb0ES3_PKdPddZZZN2at6native31launch_logcumsumexp_cuda_kernelERKNSB_10TensorBaseESF_lENKUlvE_clEvENKUlvE_clEvEUlddE_dEEDaPvRmT3_T4_T5_mT6_P12ihipStream_tbENKUlT_T0_E_clISt17integral_constantIbLb0EESW_EEDaSR_SS_EUlSR_E0_NS1_11comp_targetILNS1_3genE8ELNS1_11target_archE1030ELNS1_3gpuE2ELNS1_3repE0EEENS1_30default_config_static_selectorELNS0_4arch9wavefront6targetE0EEEvT1_.kd
    .uniform_work_group_size: 1
    .uses_dynamic_stack: false
    .vgpr_count:     0
    .vgpr_spill_count: 0
    .wavefront_size: 32
    .workgroup_processor_mode: 1
  - .args:
      - .address_space:  global
        .offset:         0
        .size:           8
        .value_kind:     global_buffer
      - .offset:         8
        .size:           4
        .value_kind:     by_value
      - .address_space:  global
        .offset:         16
        .size:           8
        .value_kind:     global_buffer
      - .offset:         24
        .size:           4
        .value_kind:     by_value
      - .address_space:  global
        .offset:         32
        .size:           8
        .value_kind:     global_buffer
      - .offset:         40
        .size:           4
        .value_kind:     hidden_block_count_x
      - .offset:         44
        .size:           4
        .value_kind:     hidden_block_count_y
      - .offset:         48
        .size:           4
        .value_kind:     hidden_block_count_z
      - .offset:         52
        .size:           2
        .value_kind:     hidden_group_size_x
      - .offset:         54
        .size:           2
        .value_kind:     hidden_group_size_y
      - .offset:         56
        .size:           2
        .value_kind:     hidden_group_size_z
      - .offset:         58
        .size:           2
        .value_kind:     hidden_remainder_x
      - .offset:         60
        .size:           2
        .value_kind:     hidden_remainder_y
      - .offset:         62
        .size:           2
        .value_kind:     hidden_remainder_z
      - .offset:         80
        .size:           8
        .value_kind:     hidden_global_offset_x
      - .offset:         88
        .size:           8
        .value_kind:     hidden_global_offset_y
      - .offset:         96
        .size:           8
        .value_kind:     hidden_global_offset_z
      - .offset:         104
        .size:           2
        .value_kind:     hidden_grid_dims
    .group_segment_fixed_size: 0
    .kernarg_segment_align: 8
    .kernarg_segment_size: 296
    .language:       OpenCL C
    .language_version:
      - 2
      - 0
    .max_flat_workgroup_size: 256
    .name:           _ZN7rocprim17ROCPRIM_400000_NS6detail31init_lookback_scan_state_kernelINS1_19lookback_scan_stateIdLb1ELb1EEENS1_16block_id_wrapperIjLb1EEEEEvT_jT0_jPNS7_10value_typeE
    .private_segment_fixed_size: 0
    .sgpr_count:     18
    .sgpr_spill_count: 0
    .symbol:         _ZN7rocprim17ROCPRIM_400000_NS6detail31init_lookback_scan_state_kernelINS1_19lookback_scan_stateIdLb1ELb1EEENS1_16block_id_wrapperIjLb1EEEEEvT_jT0_jPNS7_10value_typeE.kd
    .uniform_work_group_size: 1
    .uses_dynamic_stack: false
    .vgpr_count:     9
    .vgpr_spill_count: 0
    .wavefront_size: 32
    .workgroup_processor_mode: 1
  - .args:
      - .offset:         0
        .size:           104
        .value_kind:     by_value
    .group_segment_fixed_size: 0
    .kernarg_segment_align: 8
    .kernarg_segment_size: 104
    .language:       OpenCL C
    .language_version:
      - 2
      - 0
    .max_flat_workgroup_size: 256
    .name:           _ZN7rocprim17ROCPRIM_400000_NS6detail17trampoline_kernelINS0_14default_configENS1_20scan_config_selectorIdEEZZNS1_9scan_implILNS1_25lookback_scan_determinismE0ELb0ELb0ES3_PKdPddZZZN2at6native31launch_logcumsumexp_cuda_kernelERKNSB_10TensorBaseESF_lENKUlvE_clEvENKUlvE_clEvEUlddE_dEEDaPvRmT3_T4_T5_mT6_P12ihipStream_tbENKUlT_T0_E_clISt17integral_constantIbLb1EESW_EEDaSR_SS_EUlSR_E_NS1_11comp_targetILNS1_3genE0ELNS1_11target_archE4294967295ELNS1_3gpuE0ELNS1_3repE0EEENS1_30default_config_static_selectorELNS0_4arch9wavefront6targetE0EEEvT1_
    .private_segment_fixed_size: 0
    .sgpr_count:     0
    .sgpr_spill_count: 0
    .symbol:         _ZN7rocprim17ROCPRIM_400000_NS6detail17trampoline_kernelINS0_14default_configENS1_20scan_config_selectorIdEEZZNS1_9scan_implILNS1_25lookback_scan_determinismE0ELb0ELb0ES3_PKdPddZZZN2at6native31launch_logcumsumexp_cuda_kernelERKNSB_10TensorBaseESF_lENKUlvE_clEvENKUlvE_clEvEUlddE_dEEDaPvRmT3_T4_T5_mT6_P12ihipStream_tbENKUlT_T0_E_clISt17integral_constantIbLb1EESW_EEDaSR_SS_EUlSR_E_NS1_11comp_targetILNS1_3genE0ELNS1_11target_archE4294967295ELNS1_3gpuE0ELNS1_3repE0EEENS1_30default_config_static_selectorELNS0_4arch9wavefront6targetE0EEEvT1_.kd
    .uniform_work_group_size: 1
    .uses_dynamic_stack: false
    .vgpr_count:     0
    .vgpr_spill_count: 0
    .wavefront_size: 32
    .workgroup_processor_mode: 1
  - .args:
      - .offset:         0
        .size:           104
        .value_kind:     by_value
    .group_segment_fixed_size: 0
    .kernarg_segment_align: 8
    .kernarg_segment_size: 104
    .language:       OpenCL C
    .language_version:
      - 2
      - 0
    .max_flat_workgroup_size: 256
    .name:           _ZN7rocprim17ROCPRIM_400000_NS6detail17trampoline_kernelINS0_14default_configENS1_20scan_config_selectorIdEEZZNS1_9scan_implILNS1_25lookback_scan_determinismE0ELb0ELb0ES3_PKdPddZZZN2at6native31launch_logcumsumexp_cuda_kernelERKNSB_10TensorBaseESF_lENKUlvE_clEvENKUlvE_clEvEUlddE_dEEDaPvRmT3_T4_T5_mT6_P12ihipStream_tbENKUlT_T0_E_clISt17integral_constantIbLb1EESW_EEDaSR_SS_EUlSR_E_NS1_11comp_targetILNS1_3genE5ELNS1_11target_archE942ELNS1_3gpuE9ELNS1_3repE0EEENS1_30default_config_static_selectorELNS0_4arch9wavefront6targetE0EEEvT1_
    .private_segment_fixed_size: 0
    .sgpr_count:     0
    .sgpr_spill_count: 0
    .symbol:         _ZN7rocprim17ROCPRIM_400000_NS6detail17trampoline_kernelINS0_14default_configENS1_20scan_config_selectorIdEEZZNS1_9scan_implILNS1_25lookback_scan_determinismE0ELb0ELb0ES3_PKdPddZZZN2at6native31launch_logcumsumexp_cuda_kernelERKNSB_10TensorBaseESF_lENKUlvE_clEvENKUlvE_clEvEUlddE_dEEDaPvRmT3_T4_T5_mT6_P12ihipStream_tbENKUlT_T0_E_clISt17integral_constantIbLb1EESW_EEDaSR_SS_EUlSR_E_NS1_11comp_targetILNS1_3genE5ELNS1_11target_archE942ELNS1_3gpuE9ELNS1_3repE0EEENS1_30default_config_static_selectorELNS0_4arch9wavefront6targetE0EEEvT1_.kd
    .uniform_work_group_size: 1
    .uses_dynamic_stack: false
    .vgpr_count:     0
    .vgpr_spill_count: 0
    .wavefront_size: 32
    .workgroup_processor_mode: 1
  - .args:
      - .offset:         0
        .size:           104
        .value_kind:     by_value
    .group_segment_fixed_size: 0
    .kernarg_segment_align: 8
    .kernarg_segment_size: 104
    .language:       OpenCL C
    .language_version:
      - 2
      - 0
    .max_flat_workgroup_size: 128
    .name:           _ZN7rocprim17ROCPRIM_400000_NS6detail17trampoline_kernelINS0_14default_configENS1_20scan_config_selectorIdEEZZNS1_9scan_implILNS1_25lookback_scan_determinismE0ELb0ELb0ES3_PKdPddZZZN2at6native31launch_logcumsumexp_cuda_kernelERKNSB_10TensorBaseESF_lENKUlvE_clEvENKUlvE_clEvEUlddE_dEEDaPvRmT3_T4_T5_mT6_P12ihipStream_tbENKUlT_T0_E_clISt17integral_constantIbLb1EESW_EEDaSR_SS_EUlSR_E_NS1_11comp_targetILNS1_3genE4ELNS1_11target_archE910ELNS1_3gpuE8ELNS1_3repE0EEENS1_30default_config_static_selectorELNS0_4arch9wavefront6targetE0EEEvT1_
    .private_segment_fixed_size: 0
    .sgpr_count:     0
    .sgpr_spill_count: 0
    .symbol:         _ZN7rocprim17ROCPRIM_400000_NS6detail17trampoline_kernelINS0_14default_configENS1_20scan_config_selectorIdEEZZNS1_9scan_implILNS1_25lookback_scan_determinismE0ELb0ELb0ES3_PKdPddZZZN2at6native31launch_logcumsumexp_cuda_kernelERKNSB_10TensorBaseESF_lENKUlvE_clEvENKUlvE_clEvEUlddE_dEEDaPvRmT3_T4_T5_mT6_P12ihipStream_tbENKUlT_T0_E_clISt17integral_constantIbLb1EESW_EEDaSR_SS_EUlSR_E_NS1_11comp_targetILNS1_3genE4ELNS1_11target_archE910ELNS1_3gpuE8ELNS1_3repE0EEENS1_30default_config_static_selectorELNS0_4arch9wavefront6targetE0EEEvT1_.kd
    .uniform_work_group_size: 1
    .uses_dynamic_stack: false
    .vgpr_count:     0
    .vgpr_spill_count: 0
    .wavefront_size: 32
    .workgroup_processor_mode: 1
  - .args:
      - .offset:         0
        .size:           104
        .value_kind:     by_value
    .group_segment_fixed_size: 0
    .kernarg_segment_align: 8
    .kernarg_segment_size: 104
    .language:       OpenCL C
    .language_version:
      - 2
      - 0
    .max_flat_workgroup_size: 256
    .name:           _ZN7rocprim17ROCPRIM_400000_NS6detail17trampoline_kernelINS0_14default_configENS1_20scan_config_selectorIdEEZZNS1_9scan_implILNS1_25lookback_scan_determinismE0ELb0ELb0ES3_PKdPddZZZN2at6native31launch_logcumsumexp_cuda_kernelERKNSB_10TensorBaseESF_lENKUlvE_clEvENKUlvE_clEvEUlddE_dEEDaPvRmT3_T4_T5_mT6_P12ihipStream_tbENKUlT_T0_E_clISt17integral_constantIbLb1EESW_EEDaSR_SS_EUlSR_E_NS1_11comp_targetILNS1_3genE3ELNS1_11target_archE908ELNS1_3gpuE7ELNS1_3repE0EEENS1_30default_config_static_selectorELNS0_4arch9wavefront6targetE0EEEvT1_
    .private_segment_fixed_size: 0
    .sgpr_count:     0
    .sgpr_spill_count: 0
    .symbol:         _ZN7rocprim17ROCPRIM_400000_NS6detail17trampoline_kernelINS0_14default_configENS1_20scan_config_selectorIdEEZZNS1_9scan_implILNS1_25lookback_scan_determinismE0ELb0ELb0ES3_PKdPddZZZN2at6native31launch_logcumsumexp_cuda_kernelERKNSB_10TensorBaseESF_lENKUlvE_clEvENKUlvE_clEvEUlddE_dEEDaPvRmT3_T4_T5_mT6_P12ihipStream_tbENKUlT_T0_E_clISt17integral_constantIbLb1EESW_EEDaSR_SS_EUlSR_E_NS1_11comp_targetILNS1_3genE3ELNS1_11target_archE908ELNS1_3gpuE7ELNS1_3repE0EEENS1_30default_config_static_selectorELNS0_4arch9wavefront6targetE0EEEvT1_.kd
    .uniform_work_group_size: 1
    .uses_dynamic_stack: false
    .vgpr_count:     0
    .vgpr_spill_count: 0
    .wavefront_size: 32
    .workgroup_processor_mode: 1
  - .args:
      - .offset:         0
        .size:           104
        .value_kind:     by_value
    .group_segment_fixed_size: 0
    .kernarg_segment_align: 8
    .kernarg_segment_size: 104
    .language:       OpenCL C
    .language_version:
      - 2
      - 0
    .max_flat_workgroup_size: 128
    .name:           _ZN7rocprim17ROCPRIM_400000_NS6detail17trampoline_kernelINS0_14default_configENS1_20scan_config_selectorIdEEZZNS1_9scan_implILNS1_25lookback_scan_determinismE0ELb0ELb0ES3_PKdPddZZZN2at6native31launch_logcumsumexp_cuda_kernelERKNSB_10TensorBaseESF_lENKUlvE_clEvENKUlvE_clEvEUlddE_dEEDaPvRmT3_T4_T5_mT6_P12ihipStream_tbENKUlT_T0_E_clISt17integral_constantIbLb1EESW_EEDaSR_SS_EUlSR_E_NS1_11comp_targetILNS1_3genE2ELNS1_11target_archE906ELNS1_3gpuE6ELNS1_3repE0EEENS1_30default_config_static_selectorELNS0_4arch9wavefront6targetE0EEEvT1_
    .private_segment_fixed_size: 0
    .sgpr_count:     0
    .sgpr_spill_count: 0
    .symbol:         _ZN7rocprim17ROCPRIM_400000_NS6detail17trampoline_kernelINS0_14default_configENS1_20scan_config_selectorIdEEZZNS1_9scan_implILNS1_25lookback_scan_determinismE0ELb0ELb0ES3_PKdPddZZZN2at6native31launch_logcumsumexp_cuda_kernelERKNSB_10TensorBaseESF_lENKUlvE_clEvENKUlvE_clEvEUlddE_dEEDaPvRmT3_T4_T5_mT6_P12ihipStream_tbENKUlT_T0_E_clISt17integral_constantIbLb1EESW_EEDaSR_SS_EUlSR_E_NS1_11comp_targetILNS1_3genE2ELNS1_11target_archE906ELNS1_3gpuE6ELNS1_3repE0EEENS1_30default_config_static_selectorELNS0_4arch9wavefront6targetE0EEEvT1_.kd
    .uniform_work_group_size: 1
    .uses_dynamic_stack: false
    .vgpr_count:     0
    .vgpr_spill_count: 0
    .wavefront_size: 32
    .workgroup_processor_mode: 1
  - .args:
      - .offset:         0
        .size:           104
        .value_kind:     by_value
    .group_segment_fixed_size: 0
    .kernarg_segment_align: 8
    .kernarg_segment_size: 104
    .language:       OpenCL C
    .language_version:
      - 2
      - 0
    .max_flat_workgroup_size: 256
    .name:           _ZN7rocprim17ROCPRIM_400000_NS6detail17trampoline_kernelINS0_14default_configENS1_20scan_config_selectorIdEEZZNS1_9scan_implILNS1_25lookback_scan_determinismE0ELb0ELb0ES3_PKdPddZZZN2at6native31launch_logcumsumexp_cuda_kernelERKNSB_10TensorBaseESF_lENKUlvE_clEvENKUlvE_clEvEUlddE_dEEDaPvRmT3_T4_T5_mT6_P12ihipStream_tbENKUlT_T0_E_clISt17integral_constantIbLb1EESW_EEDaSR_SS_EUlSR_E_NS1_11comp_targetILNS1_3genE10ELNS1_11target_archE1201ELNS1_3gpuE5ELNS1_3repE0EEENS1_30default_config_static_selectorELNS0_4arch9wavefront6targetE0EEEvT1_
    .private_segment_fixed_size: 0
    .sgpr_count:     0
    .sgpr_spill_count: 0
    .symbol:         _ZN7rocprim17ROCPRIM_400000_NS6detail17trampoline_kernelINS0_14default_configENS1_20scan_config_selectorIdEEZZNS1_9scan_implILNS1_25lookback_scan_determinismE0ELb0ELb0ES3_PKdPddZZZN2at6native31launch_logcumsumexp_cuda_kernelERKNSB_10TensorBaseESF_lENKUlvE_clEvENKUlvE_clEvEUlddE_dEEDaPvRmT3_T4_T5_mT6_P12ihipStream_tbENKUlT_T0_E_clISt17integral_constantIbLb1EESW_EEDaSR_SS_EUlSR_E_NS1_11comp_targetILNS1_3genE10ELNS1_11target_archE1201ELNS1_3gpuE5ELNS1_3repE0EEENS1_30default_config_static_selectorELNS0_4arch9wavefront6targetE0EEEvT1_.kd
    .uniform_work_group_size: 1
    .uses_dynamic_stack: false
    .vgpr_count:     0
    .vgpr_spill_count: 0
    .wavefront_size: 32
    .workgroup_processor_mode: 1
  - .args:
      - .offset:         0
        .size:           104
        .value_kind:     by_value
    .group_segment_fixed_size: 0
    .kernarg_segment_align: 8
    .kernarg_segment_size: 104
    .language:       OpenCL C
    .language_version:
      - 2
      - 0
    .max_flat_workgroup_size: 256
    .name:           _ZN7rocprim17ROCPRIM_400000_NS6detail17trampoline_kernelINS0_14default_configENS1_20scan_config_selectorIdEEZZNS1_9scan_implILNS1_25lookback_scan_determinismE0ELb0ELb0ES3_PKdPddZZZN2at6native31launch_logcumsumexp_cuda_kernelERKNSB_10TensorBaseESF_lENKUlvE_clEvENKUlvE_clEvEUlddE_dEEDaPvRmT3_T4_T5_mT6_P12ihipStream_tbENKUlT_T0_E_clISt17integral_constantIbLb1EESW_EEDaSR_SS_EUlSR_E_NS1_11comp_targetILNS1_3genE10ELNS1_11target_archE1200ELNS1_3gpuE4ELNS1_3repE0EEENS1_30default_config_static_selectorELNS0_4arch9wavefront6targetE0EEEvT1_
    .private_segment_fixed_size: 0
    .sgpr_count:     0
    .sgpr_spill_count: 0
    .symbol:         _ZN7rocprim17ROCPRIM_400000_NS6detail17trampoline_kernelINS0_14default_configENS1_20scan_config_selectorIdEEZZNS1_9scan_implILNS1_25lookback_scan_determinismE0ELb0ELb0ES3_PKdPddZZZN2at6native31launch_logcumsumexp_cuda_kernelERKNSB_10TensorBaseESF_lENKUlvE_clEvENKUlvE_clEvEUlddE_dEEDaPvRmT3_T4_T5_mT6_P12ihipStream_tbENKUlT_T0_E_clISt17integral_constantIbLb1EESW_EEDaSR_SS_EUlSR_E_NS1_11comp_targetILNS1_3genE10ELNS1_11target_archE1200ELNS1_3gpuE4ELNS1_3repE0EEENS1_30default_config_static_selectorELNS0_4arch9wavefront6targetE0EEEvT1_.kd
    .uniform_work_group_size: 1
    .uses_dynamic_stack: false
    .vgpr_count:     0
    .vgpr_spill_count: 0
    .wavefront_size: 32
    .workgroup_processor_mode: 1
  - .args:
      - .offset:         0
        .size:           104
        .value_kind:     by_value
      - .offset:         104
        .size:           4
        .value_kind:     hidden_block_count_x
      - .offset:         108
        .size:           4
        .value_kind:     hidden_block_count_y
      - .offset:         112
        .size:           4
        .value_kind:     hidden_block_count_z
      - .offset:         116
        .size:           2
        .value_kind:     hidden_group_size_x
      - .offset:         118
        .size:           2
        .value_kind:     hidden_group_size_y
      - .offset:         120
        .size:           2
        .value_kind:     hidden_group_size_z
      - .offset:         122
        .size:           2
        .value_kind:     hidden_remainder_x
      - .offset:         124
        .size:           2
        .value_kind:     hidden_remainder_y
      - .offset:         126
        .size:           2
        .value_kind:     hidden_remainder_z
      - .offset:         144
        .size:           8
        .value_kind:     hidden_global_offset_x
      - .offset:         152
        .size:           8
        .value_kind:     hidden_global_offset_y
      - .offset:         160
        .size:           8
        .value_kind:     hidden_global_offset_z
      - .offset:         168
        .size:           2
        .value_kind:     hidden_grid_dims
    .group_segment_fixed_size: 33792
    .kernarg_segment_align: 8
    .kernarg_segment_size: 360
    .language:       OpenCL C
    .language_version:
      - 2
      - 0
    .max_flat_workgroup_size: 256
    .name:           _ZN7rocprim17ROCPRIM_400000_NS6detail17trampoline_kernelINS0_14default_configENS1_20scan_config_selectorIdEEZZNS1_9scan_implILNS1_25lookback_scan_determinismE0ELb0ELb0ES3_PKdPddZZZN2at6native31launch_logcumsumexp_cuda_kernelERKNSB_10TensorBaseESF_lENKUlvE_clEvENKUlvE_clEvEUlddE_dEEDaPvRmT3_T4_T5_mT6_P12ihipStream_tbENKUlT_T0_E_clISt17integral_constantIbLb1EESW_EEDaSR_SS_EUlSR_E_NS1_11comp_targetILNS1_3genE9ELNS1_11target_archE1100ELNS1_3gpuE3ELNS1_3repE0EEENS1_30default_config_static_selectorELNS0_4arch9wavefront6targetE0EEEvT1_
    .private_segment_fixed_size: 120
    .sgpr_count:     78
    .sgpr_spill_count: 0
    .symbol:         _ZN7rocprim17ROCPRIM_400000_NS6detail17trampoline_kernelINS0_14default_configENS1_20scan_config_selectorIdEEZZNS1_9scan_implILNS1_25lookback_scan_determinismE0ELb0ELb0ES3_PKdPddZZZN2at6native31launch_logcumsumexp_cuda_kernelERKNSB_10TensorBaseESF_lENKUlvE_clEvENKUlvE_clEvEUlddE_dEEDaPvRmT3_T4_T5_mT6_P12ihipStream_tbENKUlT_T0_E_clISt17integral_constantIbLb1EESW_EEDaSR_SS_EUlSR_E_NS1_11comp_targetILNS1_3genE9ELNS1_11target_archE1100ELNS1_3gpuE3ELNS1_3repE0EEENS1_30default_config_static_selectorELNS0_4arch9wavefront6targetE0EEEvT1_.kd
    .uniform_work_group_size: 1
    .uses_dynamic_stack: false
    .vgpr_count:     248
    .vgpr_spill_count: 0
    .wavefront_size: 32
    .workgroup_processor_mode: 1
  - .args:
      - .offset:         0
        .size:           104
        .value_kind:     by_value
    .group_segment_fixed_size: 0
    .kernarg_segment_align: 8
    .kernarg_segment_size: 104
    .language:       OpenCL C
    .language_version:
      - 2
      - 0
    .max_flat_workgroup_size: 128
    .name:           _ZN7rocprim17ROCPRIM_400000_NS6detail17trampoline_kernelINS0_14default_configENS1_20scan_config_selectorIdEEZZNS1_9scan_implILNS1_25lookback_scan_determinismE0ELb0ELb0ES3_PKdPddZZZN2at6native31launch_logcumsumexp_cuda_kernelERKNSB_10TensorBaseESF_lENKUlvE_clEvENKUlvE_clEvEUlddE_dEEDaPvRmT3_T4_T5_mT6_P12ihipStream_tbENKUlT_T0_E_clISt17integral_constantIbLb1EESW_EEDaSR_SS_EUlSR_E_NS1_11comp_targetILNS1_3genE8ELNS1_11target_archE1030ELNS1_3gpuE2ELNS1_3repE0EEENS1_30default_config_static_selectorELNS0_4arch9wavefront6targetE0EEEvT1_
    .private_segment_fixed_size: 0
    .sgpr_count:     0
    .sgpr_spill_count: 0
    .symbol:         _ZN7rocprim17ROCPRIM_400000_NS6detail17trampoline_kernelINS0_14default_configENS1_20scan_config_selectorIdEEZZNS1_9scan_implILNS1_25lookback_scan_determinismE0ELb0ELb0ES3_PKdPddZZZN2at6native31launch_logcumsumexp_cuda_kernelERKNSB_10TensorBaseESF_lENKUlvE_clEvENKUlvE_clEvEUlddE_dEEDaPvRmT3_T4_T5_mT6_P12ihipStream_tbENKUlT_T0_E_clISt17integral_constantIbLb1EESW_EEDaSR_SS_EUlSR_E_NS1_11comp_targetILNS1_3genE8ELNS1_11target_archE1030ELNS1_3gpuE2ELNS1_3repE0EEENS1_30default_config_static_selectorELNS0_4arch9wavefront6targetE0EEEvT1_.kd
    .uniform_work_group_size: 1
    .uses_dynamic_stack: false
    .vgpr_count:     0
    .vgpr_spill_count: 0
    .wavefront_size: 32
    .workgroup_processor_mode: 1
  - .args:
      - .offset:         0
        .size:           40
        .value_kind:     by_value
    .group_segment_fixed_size: 0
    .kernarg_segment_align: 8
    .kernarg_segment_size: 40
    .language:       OpenCL C
    .language_version:
      - 2
      - 0
    .max_flat_workgroup_size: 256
    .name:           _ZN7rocprim17ROCPRIM_400000_NS6detail17trampoline_kernelINS0_14default_configENS1_20scan_config_selectorIdEEZZNS1_9scan_implILNS1_25lookback_scan_determinismE0ELb0ELb0ES3_PKdPddZZZN2at6native31launch_logcumsumexp_cuda_kernelERKNSB_10TensorBaseESF_lENKUlvE_clEvENKUlvE_clEvEUlddE_dEEDaPvRmT3_T4_T5_mT6_P12ihipStream_tbENKUlT_T0_E_clISt17integral_constantIbLb1EESW_EEDaSR_SS_EUlSR_E0_NS1_11comp_targetILNS1_3genE0ELNS1_11target_archE4294967295ELNS1_3gpuE0ELNS1_3repE0EEENS1_30default_config_static_selectorELNS0_4arch9wavefront6targetE0EEEvT1_
    .private_segment_fixed_size: 0
    .sgpr_count:     0
    .sgpr_spill_count: 0
    .symbol:         _ZN7rocprim17ROCPRIM_400000_NS6detail17trampoline_kernelINS0_14default_configENS1_20scan_config_selectorIdEEZZNS1_9scan_implILNS1_25lookback_scan_determinismE0ELb0ELb0ES3_PKdPddZZZN2at6native31launch_logcumsumexp_cuda_kernelERKNSB_10TensorBaseESF_lENKUlvE_clEvENKUlvE_clEvEUlddE_dEEDaPvRmT3_T4_T5_mT6_P12ihipStream_tbENKUlT_T0_E_clISt17integral_constantIbLb1EESW_EEDaSR_SS_EUlSR_E0_NS1_11comp_targetILNS1_3genE0ELNS1_11target_archE4294967295ELNS1_3gpuE0ELNS1_3repE0EEENS1_30default_config_static_selectorELNS0_4arch9wavefront6targetE0EEEvT1_.kd
    .uniform_work_group_size: 1
    .uses_dynamic_stack: false
    .vgpr_count:     0
    .vgpr_spill_count: 0
    .wavefront_size: 32
    .workgroup_processor_mode: 1
  - .args:
      - .offset:         0
        .size:           40
        .value_kind:     by_value
    .group_segment_fixed_size: 0
    .kernarg_segment_align: 8
    .kernarg_segment_size: 40
    .language:       OpenCL C
    .language_version:
      - 2
      - 0
    .max_flat_workgroup_size: 256
    .name:           _ZN7rocprim17ROCPRIM_400000_NS6detail17trampoline_kernelINS0_14default_configENS1_20scan_config_selectorIdEEZZNS1_9scan_implILNS1_25lookback_scan_determinismE0ELb0ELb0ES3_PKdPddZZZN2at6native31launch_logcumsumexp_cuda_kernelERKNSB_10TensorBaseESF_lENKUlvE_clEvENKUlvE_clEvEUlddE_dEEDaPvRmT3_T4_T5_mT6_P12ihipStream_tbENKUlT_T0_E_clISt17integral_constantIbLb1EESW_EEDaSR_SS_EUlSR_E0_NS1_11comp_targetILNS1_3genE5ELNS1_11target_archE942ELNS1_3gpuE9ELNS1_3repE0EEENS1_30default_config_static_selectorELNS0_4arch9wavefront6targetE0EEEvT1_
    .private_segment_fixed_size: 0
    .sgpr_count:     0
    .sgpr_spill_count: 0
    .symbol:         _ZN7rocprim17ROCPRIM_400000_NS6detail17trampoline_kernelINS0_14default_configENS1_20scan_config_selectorIdEEZZNS1_9scan_implILNS1_25lookback_scan_determinismE0ELb0ELb0ES3_PKdPddZZZN2at6native31launch_logcumsumexp_cuda_kernelERKNSB_10TensorBaseESF_lENKUlvE_clEvENKUlvE_clEvEUlddE_dEEDaPvRmT3_T4_T5_mT6_P12ihipStream_tbENKUlT_T0_E_clISt17integral_constantIbLb1EESW_EEDaSR_SS_EUlSR_E0_NS1_11comp_targetILNS1_3genE5ELNS1_11target_archE942ELNS1_3gpuE9ELNS1_3repE0EEENS1_30default_config_static_selectorELNS0_4arch9wavefront6targetE0EEEvT1_.kd
    .uniform_work_group_size: 1
    .uses_dynamic_stack: false
    .vgpr_count:     0
    .vgpr_spill_count: 0
    .wavefront_size: 32
    .workgroup_processor_mode: 1
  - .args:
      - .offset:         0
        .size:           40
        .value_kind:     by_value
    .group_segment_fixed_size: 0
    .kernarg_segment_align: 8
    .kernarg_segment_size: 40
    .language:       OpenCL C
    .language_version:
      - 2
      - 0
    .max_flat_workgroup_size: 128
    .name:           _ZN7rocprim17ROCPRIM_400000_NS6detail17trampoline_kernelINS0_14default_configENS1_20scan_config_selectorIdEEZZNS1_9scan_implILNS1_25lookback_scan_determinismE0ELb0ELb0ES3_PKdPddZZZN2at6native31launch_logcumsumexp_cuda_kernelERKNSB_10TensorBaseESF_lENKUlvE_clEvENKUlvE_clEvEUlddE_dEEDaPvRmT3_T4_T5_mT6_P12ihipStream_tbENKUlT_T0_E_clISt17integral_constantIbLb1EESW_EEDaSR_SS_EUlSR_E0_NS1_11comp_targetILNS1_3genE4ELNS1_11target_archE910ELNS1_3gpuE8ELNS1_3repE0EEENS1_30default_config_static_selectorELNS0_4arch9wavefront6targetE0EEEvT1_
    .private_segment_fixed_size: 0
    .sgpr_count:     0
    .sgpr_spill_count: 0
    .symbol:         _ZN7rocprim17ROCPRIM_400000_NS6detail17trampoline_kernelINS0_14default_configENS1_20scan_config_selectorIdEEZZNS1_9scan_implILNS1_25lookback_scan_determinismE0ELb0ELb0ES3_PKdPddZZZN2at6native31launch_logcumsumexp_cuda_kernelERKNSB_10TensorBaseESF_lENKUlvE_clEvENKUlvE_clEvEUlddE_dEEDaPvRmT3_T4_T5_mT6_P12ihipStream_tbENKUlT_T0_E_clISt17integral_constantIbLb1EESW_EEDaSR_SS_EUlSR_E0_NS1_11comp_targetILNS1_3genE4ELNS1_11target_archE910ELNS1_3gpuE8ELNS1_3repE0EEENS1_30default_config_static_selectorELNS0_4arch9wavefront6targetE0EEEvT1_.kd
    .uniform_work_group_size: 1
    .uses_dynamic_stack: false
    .vgpr_count:     0
    .vgpr_spill_count: 0
    .wavefront_size: 32
    .workgroup_processor_mode: 1
  - .args:
      - .offset:         0
        .size:           40
        .value_kind:     by_value
    .group_segment_fixed_size: 0
    .kernarg_segment_align: 8
    .kernarg_segment_size: 40
    .language:       OpenCL C
    .language_version:
      - 2
      - 0
    .max_flat_workgroup_size: 256
    .name:           _ZN7rocprim17ROCPRIM_400000_NS6detail17trampoline_kernelINS0_14default_configENS1_20scan_config_selectorIdEEZZNS1_9scan_implILNS1_25lookback_scan_determinismE0ELb0ELb0ES3_PKdPddZZZN2at6native31launch_logcumsumexp_cuda_kernelERKNSB_10TensorBaseESF_lENKUlvE_clEvENKUlvE_clEvEUlddE_dEEDaPvRmT3_T4_T5_mT6_P12ihipStream_tbENKUlT_T0_E_clISt17integral_constantIbLb1EESW_EEDaSR_SS_EUlSR_E0_NS1_11comp_targetILNS1_3genE3ELNS1_11target_archE908ELNS1_3gpuE7ELNS1_3repE0EEENS1_30default_config_static_selectorELNS0_4arch9wavefront6targetE0EEEvT1_
    .private_segment_fixed_size: 0
    .sgpr_count:     0
    .sgpr_spill_count: 0
    .symbol:         _ZN7rocprim17ROCPRIM_400000_NS6detail17trampoline_kernelINS0_14default_configENS1_20scan_config_selectorIdEEZZNS1_9scan_implILNS1_25lookback_scan_determinismE0ELb0ELb0ES3_PKdPddZZZN2at6native31launch_logcumsumexp_cuda_kernelERKNSB_10TensorBaseESF_lENKUlvE_clEvENKUlvE_clEvEUlddE_dEEDaPvRmT3_T4_T5_mT6_P12ihipStream_tbENKUlT_T0_E_clISt17integral_constantIbLb1EESW_EEDaSR_SS_EUlSR_E0_NS1_11comp_targetILNS1_3genE3ELNS1_11target_archE908ELNS1_3gpuE7ELNS1_3repE0EEENS1_30default_config_static_selectorELNS0_4arch9wavefront6targetE0EEEvT1_.kd
    .uniform_work_group_size: 1
    .uses_dynamic_stack: false
    .vgpr_count:     0
    .vgpr_spill_count: 0
    .wavefront_size: 32
    .workgroup_processor_mode: 1
  - .args:
      - .offset:         0
        .size:           40
        .value_kind:     by_value
    .group_segment_fixed_size: 0
    .kernarg_segment_align: 8
    .kernarg_segment_size: 40
    .language:       OpenCL C
    .language_version:
      - 2
      - 0
    .max_flat_workgroup_size: 128
    .name:           _ZN7rocprim17ROCPRIM_400000_NS6detail17trampoline_kernelINS0_14default_configENS1_20scan_config_selectorIdEEZZNS1_9scan_implILNS1_25lookback_scan_determinismE0ELb0ELb0ES3_PKdPddZZZN2at6native31launch_logcumsumexp_cuda_kernelERKNSB_10TensorBaseESF_lENKUlvE_clEvENKUlvE_clEvEUlddE_dEEDaPvRmT3_T4_T5_mT6_P12ihipStream_tbENKUlT_T0_E_clISt17integral_constantIbLb1EESW_EEDaSR_SS_EUlSR_E0_NS1_11comp_targetILNS1_3genE2ELNS1_11target_archE906ELNS1_3gpuE6ELNS1_3repE0EEENS1_30default_config_static_selectorELNS0_4arch9wavefront6targetE0EEEvT1_
    .private_segment_fixed_size: 0
    .sgpr_count:     0
    .sgpr_spill_count: 0
    .symbol:         _ZN7rocprim17ROCPRIM_400000_NS6detail17trampoline_kernelINS0_14default_configENS1_20scan_config_selectorIdEEZZNS1_9scan_implILNS1_25lookback_scan_determinismE0ELb0ELb0ES3_PKdPddZZZN2at6native31launch_logcumsumexp_cuda_kernelERKNSB_10TensorBaseESF_lENKUlvE_clEvENKUlvE_clEvEUlddE_dEEDaPvRmT3_T4_T5_mT6_P12ihipStream_tbENKUlT_T0_E_clISt17integral_constantIbLb1EESW_EEDaSR_SS_EUlSR_E0_NS1_11comp_targetILNS1_3genE2ELNS1_11target_archE906ELNS1_3gpuE6ELNS1_3repE0EEENS1_30default_config_static_selectorELNS0_4arch9wavefront6targetE0EEEvT1_.kd
    .uniform_work_group_size: 1
    .uses_dynamic_stack: false
    .vgpr_count:     0
    .vgpr_spill_count: 0
    .wavefront_size: 32
    .workgroup_processor_mode: 1
  - .args:
      - .offset:         0
        .size:           40
        .value_kind:     by_value
    .group_segment_fixed_size: 0
    .kernarg_segment_align: 8
    .kernarg_segment_size: 40
    .language:       OpenCL C
    .language_version:
      - 2
      - 0
    .max_flat_workgroup_size: 256
    .name:           _ZN7rocprim17ROCPRIM_400000_NS6detail17trampoline_kernelINS0_14default_configENS1_20scan_config_selectorIdEEZZNS1_9scan_implILNS1_25lookback_scan_determinismE0ELb0ELb0ES3_PKdPddZZZN2at6native31launch_logcumsumexp_cuda_kernelERKNSB_10TensorBaseESF_lENKUlvE_clEvENKUlvE_clEvEUlddE_dEEDaPvRmT3_T4_T5_mT6_P12ihipStream_tbENKUlT_T0_E_clISt17integral_constantIbLb1EESW_EEDaSR_SS_EUlSR_E0_NS1_11comp_targetILNS1_3genE10ELNS1_11target_archE1201ELNS1_3gpuE5ELNS1_3repE0EEENS1_30default_config_static_selectorELNS0_4arch9wavefront6targetE0EEEvT1_
    .private_segment_fixed_size: 0
    .sgpr_count:     0
    .sgpr_spill_count: 0
    .symbol:         _ZN7rocprim17ROCPRIM_400000_NS6detail17trampoline_kernelINS0_14default_configENS1_20scan_config_selectorIdEEZZNS1_9scan_implILNS1_25lookback_scan_determinismE0ELb0ELb0ES3_PKdPddZZZN2at6native31launch_logcumsumexp_cuda_kernelERKNSB_10TensorBaseESF_lENKUlvE_clEvENKUlvE_clEvEUlddE_dEEDaPvRmT3_T4_T5_mT6_P12ihipStream_tbENKUlT_T0_E_clISt17integral_constantIbLb1EESW_EEDaSR_SS_EUlSR_E0_NS1_11comp_targetILNS1_3genE10ELNS1_11target_archE1201ELNS1_3gpuE5ELNS1_3repE0EEENS1_30default_config_static_selectorELNS0_4arch9wavefront6targetE0EEEvT1_.kd
    .uniform_work_group_size: 1
    .uses_dynamic_stack: false
    .vgpr_count:     0
    .vgpr_spill_count: 0
    .wavefront_size: 32
    .workgroup_processor_mode: 1
  - .args:
      - .offset:         0
        .size:           40
        .value_kind:     by_value
    .group_segment_fixed_size: 0
    .kernarg_segment_align: 8
    .kernarg_segment_size: 40
    .language:       OpenCL C
    .language_version:
      - 2
      - 0
    .max_flat_workgroup_size: 256
    .name:           _ZN7rocprim17ROCPRIM_400000_NS6detail17trampoline_kernelINS0_14default_configENS1_20scan_config_selectorIdEEZZNS1_9scan_implILNS1_25lookback_scan_determinismE0ELb0ELb0ES3_PKdPddZZZN2at6native31launch_logcumsumexp_cuda_kernelERKNSB_10TensorBaseESF_lENKUlvE_clEvENKUlvE_clEvEUlddE_dEEDaPvRmT3_T4_T5_mT6_P12ihipStream_tbENKUlT_T0_E_clISt17integral_constantIbLb1EESW_EEDaSR_SS_EUlSR_E0_NS1_11comp_targetILNS1_3genE10ELNS1_11target_archE1200ELNS1_3gpuE4ELNS1_3repE0EEENS1_30default_config_static_selectorELNS0_4arch9wavefront6targetE0EEEvT1_
    .private_segment_fixed_size: 0
    .sgpr_count:     0
    .sgpr_spill_count: 0
    .symbol:         _ZN7rocprim17ROCPRIM_400000_NS6detail17trampoline_kernelINS0_14default_configENS1_20scan_config_selectorIdEEZZNS1_9scan_implILNS1_25lookback_scan_determinismE0ELb0ELb0ES3_PKdPddZZZN2at6native31launch_logcumsumexp_cuda_kernelERKNSB_10TensorBaseESF_lENKUlvE_clEvENKUlvE_clEvEUlddE_dEEDaPvRmT3_T4_T5_mT6_P12ihipStream_tbENKUlT_T0_E_clISt17integral_constantIbLb1EESW_EEDaSR_SS_EUlSR_E0_NS1_11comp_targetILNS1_3genE10ELNS1_11target_archE1200ELNS1_3gpuE4ELNS1_3repE0EEENS1_30default_config_static_selectorELNS0_4arch9wavefront6targetE0EEEvT1_.kd
    .uniform_work_group_size: 1
    .uses_dynamic_stack: false
    .vgpr_count:     0
    .vgpr_spill_count: 0
    .wavefront_size: 32
    .workgroup_processor_mode: 1
  - .args:
      - .offset:         0
        .size:           40
        .value_kind:     by_value
    .group_segment_fixed_size: 33792
    .kernarg_segment_align: 8
    .kernarg_segment_size: 40
    .language:       OpenCL C
    .language_version:
      - 2
      - 0
    .max_flat_workgroup_size: 256
    .name:           _ZN7rocprim17ROCPRIM_400000_NS6detail17trampoline_kernelINS0_14default_configENS1_20scan_config_selectorIdEEZZNS1_9scan_implILNS1_25lookback_scan_determinismE0ELb0ELb0ES3_PKdPddZZZN2at6native31launch_logcumsumexp_cuda_kernelERKNSB_10TensorBaseESF_lENKUlvE_clEvENKUlvE_clEvEUlddE_dEEDaPvRmT3_T4_T5_mT6_P12ihipStream_tbENKUlT_T0_E_clISt17integral_constantIbLb1EESW_EEDaSR_SS_EUlSR_E0_NS1_11comp_targetILNS1_3genE9ELNS1_11target_archE1100ELNS1_3gpuE3ELNS1_3repE0EEENS1_30default_config_static_selectorELNS0_4arch9wavefront6targetE0EEEvT1_
    .private_segment_fixed_size: 0
    .sgpr_count:     50
    .sgpr_spill_count: 0
    .symbol:         _ZN7rocprim17ROCPRIM_400000_NS6detail17trampoline_kernelINS0_14default_configENS1_20scan_config_selectorIdEEZZNS1_9scan_implILNS1_25lookback_scan_determinismE0ELb0ELb0ES3_PKdPddZZZN2at6native31launch_logcumsumexp_cuda_kernelERKNSB_10TensorBaseESF_lENKUlvE_clEvENKUlvE_clEvEUlddE_dEEDaPvRmT3_T4_T5_mT6_P12ihipStream_tbENKUlT_T0_E_clISt17integral_constantIbLb1EESW_EEDaSR_SS_EUlSR_E0_NS1_11comp_targetILNS1_3genE9ELNS1_11target_archE1100ELNS1_3gpuE3ELNS1_3repE0EEENS1_30default_config_static_selectorELNS0_4arch9wavefront6targetE0EEEvT1_.kd
    .uniform_work_group_size: 1
    .uses_dynamic_stack: false
    .vgpr_count:     119
    .vgpr_spill_count: 0
    .wavefront_size: 32
    .workgroup_processor_mode: 1
  - .args:
      - .offset:         0
        .size:           40
        .value_kind:     by_value
    .group_segment_fixed_size: 0
    .kernarg_segment_align: 8
    .kernarg_segment_size: 40
    .language:       OpenCL C
    .language_version:
      - 2
      - 0
    .max_flat_workgroup_size: 128
    .name:           _ZN7rocprim17ROCPRIM_400000_NS6detail17trampoline_kernelINS0_14default_configENS1_20scan_config_selectorIdEEZZNS1_9scan_implILNS1_25lookback_scan_determinismE0ELb0ELb0ES3_PKdPddZZZN2at6native31launch_logcumsumexp_cuda_kernelERKNSB_10TensorBaseESF_lENKUlvE_clEvENKUlvE_clEvEUlddE_dEEDaPvRmT3_T4_T5_mT6_P12ihipStream_tbENKUlT_T0_E_clISt17integral_constantIbLb1EESW_EEDaSR_SS_EUlSR_E0_NS1_11comp_targetILNS1_3genE8ELNS1_11target_archE1030ELNS1_3gpuE2ELNS1_3repE0EEENS1_30default_config_static_selectorELNS0_4arch9wavefront6targetE0EEEvT1_
    .private_segment_fixed_size: 0
    .sgpr_count:     0
    .sgpr_spill_count: 0
    .symbol:         _ZN7rocprim17ROCPRIM_400000_NS6detail17trampoline_kernelINS0_14default_configENS1_20scan_config_selectorIdEEZZNS1_9scan_implILNS1_25lookback_scan_determinismE0ELb0ELb0ES3_PKdPddZZZN2at6native31launch_logcumsumexp_cuda_kernelERKNSB_10TensorBaseESF_lENKUlvE_clEvENKUlvE_clEvEUlddE_dEEDaPvRmT3_T4_T5_mT6_P12ihipStream_tbENKUlT_T0_E_clISt17integral_constantIbLb1EESW_EEDaSR_SS_EUlSR_E0_NS1_11comp_targetILNS1_3genE8ELNS1_11target_archE1030ELNS1_3gpuE2ELNS1_3repE0EEENS1_30default_config_static_selectorELNS0_4arch9wavefront6targetE0EEEvT1_.kd
    .uniform_work_group_size: 1
    .uses_dynamic_stack: false
    .vgpr_count:     0
    .vgpr_spill_count: 0
    .wavefront_size: 32
    .workgroup_processor_mode: 1
  - .args:
      - .address_space:  global
        .offset:         0
        .size:           8
        .value_kind:     global_buffer
      - .offset:         8
        .size:           4
        .value_kind:     by_value
      - .offset:         12
        .size:           1
        .value_kind:     by_value
      - .offset:         16
        .size:           4
        .value_kind:     by_value
      - .address_space:  global
        .offset:         24
        .size:           8
        .value_kind:     global_buffer
      - .offset:         32
        .size:           4
        .value_kind:     hidden_block_count_x
      - .offset:         36
        .size:           4
        .value_kind:     hidden_block_count_y
      - .offset:         40
        .size:           4
        .value_kind:     hidden_block_count_z
      - .offset:         44
        .size:           2
        .value_kind:     hidden_group_size_x
      - .offset:         46
        .size:           2
        .value_kind:     hidden_group_size_y
      - .offset:         48
        .size:           2
        .value_kind:     hidden_group_size_z
      - .offset:         50
        .size:           2
        .value_kind:     hidden_remainder_x
      - .offset:         52
        .size:           2
        .value_kind:     hidden_remainder_y
      - .offset:         54
        .size:           2
        .value_kind:     hidden_remainder_z
      - .offset:         72
        .size:           8
        .value_kind:     hidden_global_offset_x
      - .offset:         80
        .size:           8
        .value_kind:     hidden_global_offset_y
      - .offset:         88
        .size:           8
        .value_kind:     hidden_global_offset_z
      - .offset:         96
        .size:           2
        .value_kind:     hidden_grid_dims
    .group_segment_fixed_size: 0
    .kernarg_segment_align: 8
    .kernarg_segment_size: 288
    .language:       OpenCL C
    .language_version:
      - 2
      - 0
    .max_flat_workgroup_size: 256
    .name:           _ZN7rocprim17ROCPRIM_400000_NS6detail31init_lookback_scan_state_kernelINS1_19lookback_scan_stateIdLb1ELb1EEENS1_16block_id_wrapperIjLb0EEEEEvT_jT0_jPNS7_10value_typeE
    .private_segment_fixed_size: 0
    .sgpr_count:     18
    .sgpr_spill_count: 0
    .symbol:         _ZN7rocprim17ROCPRIM_400000_NS6detail31init_lookback_scan_state_kernelINS1_19lookback_scan_stateIdLb1ELb1EEENS1_16block_id_wrapperIjLb0EEEEEvT_jT0_jPNS7_10value_typeE.kd
    .uniform_work_group_size: 1
    .uses_dynamic_stack: false
    .vgpr_count:     9
    .vgpr_spill_count: 0
    .wavefront_size: 32
    .workgroup_processor_mode: 1
  - .args:
      - .offset:         0
        .size:           104
        .value_kind:     by_value
    .group_segment_fixed_size: 0
    .kernarg_segment_align: 8
    .kernarg_segment_size: 104
    .language:       OpenCL C
    .language_version:
      - 2
      - 0
    .max_flat_workgroup_size: 256
    .name:           _ZN7rocprim17ROCPRIM_400000_NS6detail17trampoline_kernelINS0_14default_configENS1_20scan_config_selectorIdEEZZNS1_9scan_implILNS1_25lookback_scan_determinismE0ELb0ELb0ES3_PKdPddZZZN2at6native31launch_logcumsumexp_cuda_kernelERKNSB_10TensorBaseESF_lENKUlvE_clEvENKUlvE_clEvEUlddE_dEEDaPvRmT3_T4_T5_mT6_P12ihipStream_tbENKUlT_T0_E_clISt17integral_constantIbLb1EESV_IbLb0EEEEDaSR_SS_EUlSR_E_NS1_11comp_targetILNS1_3genE0ELNS1_11target_archE4294967295ELNS1_3gpuE0ELNS1_3repE0EEENS1_30default_config_static_selectorELNS0_4arch9wavefront6targetE0EEEvT1_
    .private_segment_fixed_size: 0
    .sgpr_count:     0
    .sgpr_spill_count: 0
    .symbol:         _ZN7rocprim17ROCPRIM_400000_NS6detail17trampoline_kernelINS0_14default_configENS1_20scan_config_selectorIdEEZZNS1_9scan_implILNS1_25lookback_scan_determinismE0ELb0ELb0ES3_PKdPddZZZN2at6native31launch_logcumsumexp_cuda_kernelERKNSB_10TensorBaseESF_lENKUlvE_clEvENKUlvE_clEvEUlddE_dEEDaPvRmT3_T4_T5_mT6_P12ihipStream_tbENKUlT_T0_E_clISt17integral_constantIbLb1EESV_IbLb0EEEEDaSR_SS_EUlSR_E_NS1_11comp_targetILNS1_3genE0ELNS1_11target_archE4294967295ELNS1_3gpuE0ELNS1_3repE0EEENS1_30default_config_static_selectorELNS0_4arch9wavefront6targetE0EEEvT1_.kd
    .uniform_work_group_size: 1
    .uses_dynamic_stack: false
    .vgpr_count:     0
    .vgpr_spill_count: 0
    .wavefront_size: 32
    .workgroup_processor_mode: 1
  - .args:
      - .offset:         0
        .size:           104
        .value_kind:     by_value
    .group_segment_fixed_size: 0
    .kernarg_segment_align: 8
    .kernarg_segment_size: 104
    .language:       OpenCL C
    .language_version:
      - 2
      - 0
    .max_flat_workgroup_size: 256
    .name:           _ZN7rocprim17ROCPRIM_400000_NS6detail17trampoline_kernelINS0_14default_configENS1_20scan_config_selectorIdEEZZNS1_9scan_implILNS1_25lookback_scan_determinismE0ELb0ELb0ES3_PKdPddZZZN2at6native31launch_logcumsumexp_cuda_kernelERKNSB_10TensorBaseESF_lENKUlvE_clEvENKUlvE_clEvEUlddE_dEEDaPvRmT3_T4_T5_mT6_P12ihipStream_tbENKUlT_T0_E_clISt17integral_constantIbLb1EESV_IbLb0EEEEDaSR_SS_EUlSR_E_NS1_11comp_targetILNS1_3genE5ELNS1_11target_archE942ELNS1_3gpuE9ELNS1_3repE0EEENS1_30default_config_static_selectorELNS0_4arch9wavefront6targetE0EEEvT1_
    .private_segment_fixed_size: 0
    .sgpr_count:     0
    .sgpr_spill_count: 0
    .symbol:         _ZN7rocprim17ROCPRIM_400000_NS6detail17trampoline_kernelINS0_14default_configENS1_20scan_config_selectorIdEEZZNS1_9scan_implILNS1_25lookback_scan_determinismE0ELb0ELb0ES3_PKdPddZZZN2at6native31launch_logcumsumexp_cuda_kernelERKNSB_10TensorBaseESF_lENKUlvE_clEvENKUlvE_clEvEUlddE_dEEDaPvRmT3_T4_T5_mT6_P12ihipStream_tbENKUlT_T0_E_clISt17integral_constantIbLb1EESV_IbLb0EEEEDaSR_SS_EUlSR_E_NS1_11comp_targetILNS1_3genE5ELNS1_11target_archE942ELNS1_3gpuE9ELNS1_3repE0EEENS1_30default_config_static_selectorELNS0_4arch9wavefront6targetE0EEEvT1_.kd
    .uniform_work_group_size: 1
    .uses_dynamic_stack: false
    .vgpr_count:     0
    .vgpr_spill_count: 0
    .wavefront_size: 32
    .workgroup_processor_mode: 1
  - .args:
      - .offset:         0
        .size:           104
        .value_kind:     by_value
    .group_segment_fixed_size: 0
    .kernarg_segment_align: 8
    .kernarg_segment_size: 104
    .language:       OpenCL C
    .language_version:
      - 2
      - 0
    .max_flat_workgroup_size: 128
    .name:           _ZN7rocprim17ROCPRIM_400000_NS6detail17trampoline_kernelINS0_14default_configENS1_20scan_config_selectorIdEEZZNS1_9scan_implILNS1_25lookback_scan_determinismE0ELb0ELb0ES3_PKdPddZZZN2at6native31launch_logcumsumexp_cuda_kernelERKNSB_10TensorBaseESF_lENKUlvE_clEvENKUlvE_clEvEUlddE_dEEDaPvRmT3_T4_T5_mT6_P12ihipStream_tbENKUlT_T0_E_clISt17integral_constantIbLb1EESV_IbLb0EEEEDaSR_SS_EUlSR_E_NS1_11comp_targetILNS1_3genE4ELNS1_11target_archE910ELNS1_3gpuE8ELNS1_3repE0EEENS1_30default_config_static_selectorELNS0_4arch9wavefront6targetE0EEEvT1_
    .private_segment_fixed_size: 0
    .sgpr_count:     0
    .sgpr_spill_count: 0
    .symbol:         _ZN7rocprim17ROCPRIM_400000_NS6detail17trampoline_kernelINS0_14default_configENS1_20scan_config_selectorIdEEZZNS1_9scan_implILNS1_25lookback_scan_determinismE0ELb0ELb0ES3_PKdPddZZZN2at6native31launch_logcumsumexp_cuda_kernelERKNSB_10TensorBaseESF_lENKUlvE_clEvENKUlvE_clEvEUlddE_dEEDaPvRmT3_T4_T5_mT6_P12ihipStream_tbENKUlT_T0_E_clISt17integral_constantIbLb1EESV_IbLb0EEEEDaSR_SS_EUlSR_E_NS1_11comp_targetILNS1_3genE4ELNS1_11target_archE910ELNS1_3gpuE8ELNS1_3repE0EEENS1_30default_config_static_selectorELNS0_4arch9wavefront6targetE0EEEvT1_.kd
    .uniform_work_group_size: 1
    .uses_dynamic_stack: false
    .vgpr_count:     0
    .vgpr_spill_count: 0
    .wavefront_size: 32
    .workgroup_processor_mode: 1
  - .args:
      - .offset:         0
        .size:           104
        .value_kind:     by_value
    .group_segment_fixed_size: 0
    .kernarg_segment_align: 8
    .kernarg_segment_size: 104
    .language:       OpenCL C
    .language_version:
      - 2
      - 0
    .max_flat_workgroup_size: 256
    .name:           _ZN7rocprim17ROCPRIM_400000_NS6detail17trampoline_kernelINS0_14default_configENS1_20scan_config_selectorIdEEZZNS1_9scan_implILNS1_25lookback_scan_determinismE0ELb0ELb0ES3_PKdPddZZZN2at6native31launch_logcumsumexp_cuda_kernelERKNSB_10TensorBaseESF_lENKUlvE_clEvENKUlvE_clEvEUlddE_dEEDaPvRmT3_T4_T5_mT6_P12ihipStream_tbENKUlT_T0_E_clISt17integral_constantIbLb1EESV_IbLb0EEEEDaSR_SS_EUlSR_E_NS1_11comp_targetILNS1_3genE3ELNS1_11target_archE908ELNS1_3gpuE7ELNS1_3repE0EEENS1_30default_config_static_selectorELNS0_4arch9wavefront6targetE0EEEvT1_
    .private_segment_fixed_size: 0
    .sgpr_count:     0
    .sgpr_spill_count: 0
    .symbol:         _ZN7rocprim17ROCPRIM_400000_NS6detail17trampoline_kernelINS0_14default_configENS1_20scan_config_selectorIdEEZZNS1_9scan_implILNS1_25lookback_scan_determinismE0ELb0ELb0ES3_PKdPddZZZN2at6native31launch_logcumsumexp_cuda_kernelERKNSB_10TensorBaseESF_lENKUlvE_clEvENKUlvE_clEvEUlddE_dEEDaPvRmT3_T4_T5_mT6_P12ihipStream_tbENKUlT_T0_E_clISt17integral_constantIbLb1EESV_IbLb0EEEEDaSR_SS_EUlSR_E_NS1_11comp_targetILNS1_3genE3ELNS1_11target_archE908ELNS1_3gpuE7ELNS1_3repE0EEENS1_30default_config_static_selectorELNS0_4arch9wavefront6targetE0EEEvT1_.kd
    .uniform_work_group_size: 1
    .uses_dynamic_stack: false
    .vgpr_count:     0
    .vgpr_spill_count: 0
    .wavefront_size: 32
    .workgroup_processor_mode: 1
  - .args:
      - .offset:         0
        .size:           104
        .value_kind:     by_value
    .group_segment_fixed_size: 0
    .kernarg_segment_align: 8
    .kernarg_segment_size: 104
    .language:       OpenCL C
    .language_version:
      - 2
      - 0
    .max_flat_workgroup_size: 128
    .name:           _ZN7rocprim17ROCPRIM_400000_NS6detail17trampoline_kernelINS0_14default_configENS1_20scan_config_selectorIdEEZZNS1_9scan_implILNS1_25lookback_scan_determinismE0ELb0ELb0ES3_PKdPddZZZN2at6native31launch_logcumsumexp_cuda_kernelERKNSB_10TensorBaseESF_lENKUlvE_clEvENKUlvE_clEvEUlddE_dEEDaPvRmT3_T4_T5_mT6_P12ihipStream_tbENKUlT_T0_E_clISt17integral_constantIbLb1EESV_IbLb0EEEEDaSR_SS_EUlSR_E_NS1_11comp_targetILNS1_3genE2ELNS1_11target_archE906ELNS1_3gpuE6ELNS1_3repE0EEENS1_30default_config_static_selectorELNS0_4arch9wavefront6targetE0EEEvT1_
    .private_segment_fixed_size: 0
    .sgpr_count:     0
    .sgpr_spill_count: 0
    .symbol:         _ZN7rocprim17ROCPRIM_400000_NS6detail17trampoline_kernelINS0_14default_configENS1_20scan_config_selectorIdEEZZNS1_9scan_implILNS1_25lookback_scan_determinismE0ELb0ELb0ES3_PKdPddZZZN2at6native31launch_logcumsumexp_cuda_kernelERKNSB_10TensorBaseESF_lENKUlvE_clEvENKUlvE_clEvEUlddE_dEEDaPvRmT3_T4_T5_mT6_P12ihipStream_tbENKUlT_T0_E_clISt17integral_constantIbLb1EESV_IbLb0EEEEDaSR_SS_EUlSR_E_NS1_11comp_targetILNS1_3genE2ELNS1_11target_archE906ELNS1_3gpuE6ELNS1_3repE0EEENS1_30default_config_static_selectorELNS0_4arch9wavefront6targetE0EEEvT1_.kd
    .uniform_work_group_size: 1
    .uses_dynamic_stack: false
    .vgpr_count:     0
    .vgpr_spill_count: 0
    .wavefront_size: 32
    .workgroup_processor_mode: 1
  - .args:
      - .offset:         0
        .size:           104
        .value_kind:     by_value
    .group_segment_fixed_size: 0
    .kernarg_segment_align: 8
    .kernarg_segment_size: 104
    .language:       OpenCL C
    .language_version:
      - 2
      - 0
    .max_flat_workgroup_size: 256
    .name:           _ZN7rocprim17ROCPRIM_400000_NS6detail17trampoline_kernelINS0_14default_configENS1_20scan_config_selectorIdEEZZNS1_9scan_implILNS1_25lookback_scan_determinismE0ELb0ELb0ES3_PKdPddZZZN2at6native31launch_logcumsumexp_cuda_kernelERKNSB_10TensorBaseESF_lENKUlvE_clEvENKUlvE_clEvEUlddE_dEEDaPvRmT3_T4_T5_mT6_P12ihipStream_tbENKUlT_T0_E_clISt17integral_constantIbLb1EESV_IbLb0EEEEDaSR_SS_EUlSR_E_NS1_11comp_targetILNS1_3genE10ELNS1_11target_archE1201ELNS1_3gpuE5ELNS1_3repE0EEENS1_30default_config_static_selectorELNS0_4arch9wavefront6targetE0EEEvT1_
    .private_segment_fixed_size: 0
    .sgpr_count:     0
    .sgpr_spill_count: 0
    .symbol:         _ZN7rocprim17ROCPRIM_400000_NS6detail17trampoline_kernelINS0_14default_configENS1_20scan_config_selectorIdEEZZNS1_9scan_implILNS1_25lookback_scan_determinismE0ELb0ELb0ES3_PKdPddZZZN2at6native31launch_logcumsumexp_cuda_kernelERKNSB_10TensorBaseESF_lENKUlvE_clEvENKUlvE_clEvEUlddE_dEEDaPvRmT3_T4_T5_mT6_P12ihipStream_tbENKUlT_T0_E_clISt17integral_constantIbLb1EESV_IbLb0EEEEDaSR_SS_EUlSR_E_NS1_11comp_targetILNS1_3genE10ELNS1_11target_archE1201ELNS1_3gpuE5ELNS1_3repE0EEENS1_30default_config_static_selectorELNS0_4arch9wavefront6targetE0EEEvT1_.kd
    .uniform_work_group_size: 1
    .uses_dynamic_stack: false
    .vgpr_count:     0
    .vgpr_spill_count: 0
    .wavefront_size: 32
    .workgroup_processor_mode: 1
  - .args:
      - .offset:         0
        .size:           104
        .value_kind:     by_value
    .group_segment_fixed_size: 0
    .kernarg_segment_align: 8
    .kernarg_segment_size: 104
    .language:       OpenCL C
    .language_version:
      - 2
      - 0
    .max_flat_workgroup_size: 256
    .name:           _ZN7rocprim17ROCPRIM_400000_NS6detail17trampoline_kernelINS0_14default_configENS1_20scan_config_selectorIdEEZZNS1_9scan_implILNS1_25lookback_scan_determinismE0ELb0ELb0ES3_PKdPddZZZN2at6native31launch_logcumsumexp_cuda_kernelERKNSB_10TensorBaseESF_lENKUlvE_clEvENKUlvE_clEvEUlddE_dEEDaPvRmT3_T4_T5_mT6_P12ihipStream_tbENKUlT_T0_E_clISt17integral_constantIbLb1EESV_IbLb0EEEEDaSR_SS_EUlSR_E_NS1_11comp_targetILNS1_3genE10ELNS1_11target_archE1200ELNS1_3gpuE4ELNS1_3repE0EEENS1_30default_config_static_selectorELNS0_4arch9wavefront6targetE0EEEvT1_
    .private_segment_fixed_size: 0
    .sgpr_count:     0
    .sgpr_spill_count: 0
    .symbol:         _ZN7rocprim17ROCPRIM_400000_NS6detail17trampoline_kernelINS0_14default_configENS1_20scan_config_selectorIdEEZZNS1_9scan_implILNS1_25lookback_scan_determinismE0ELb0ELb0ES3_PKdPddZZZN2at6native31launch_logcumsumexp_cuda_kernelERKNSB_10TensorBaseESF_lENKUlvE_clEvENKUlvE_clEvEUlddE_dEEDaPvRmT3_T4_T5_mT6_P12ihipStream_tbENKUlT_T0_E_clISt17integral_constantIbLb1EESV_IbLb0EEEEDaSR_SS_EUlSR_E_NS1_11comp_targetILNS1_3genE10ELNS1_11target_archE1200ELNS1_3gpuE4ELNS1_3repE0EEENS1_30default_config_static_selectorELNS0_4arch9wavefront6targetE0EEEvT1_.kd
    .uniform_work_group_size: 1
    .uses_dynamic_stack: false
    .vgpr_count:     0
    .vgpr_spill_count: 0
    .wavefront_size: 32
    .workgroup_processor_mode: 1
  - .args:
      - .offset:         0
        .size:           104
        .value_kind:     by_value
      - .offset:         104
        .size:           4
        .value_kind:     hidden_block_count_x
      - .offset:         108
        .size:           4
        .value_kind:     hidden_block_count_y
      - .offset:         112
        .size:           4
        .value_kind:     hidden_block_count_z
      - .offset:         116
        .size:           2
        .value_kind:     hidden_group_size_x
      - .offset:         118
        .size:           2
        .value_kind:     hidden_group_size_y
      - .offset:         120
        .size:           2
        .value_kind:     hidden_group_size_z
      - .offset:         122
        .size:           2
        .value_kind:     hidden_remainder_x
      - .offset:         124
        .size:           2
        .value_kind:     hidden_remainder_y
      - .offset:         126
        .size:           2
        .value_kind:     hidden_remainder_z
      - .offset:         144
        .size:           8
        .value_kind:     hidden_global_offset_x
      - .offset:         152
        .size:           8
        .value_kind:     hidden_global_offset_y
      - .offset:         160
        .size:           8
        .value_kind:     hidden_global_offset_z
      - .offset:         168
        .size:           2
        .value_kind:     hidden_grid_dims
    .group_segment_fixed_size: 33792
    .kernarg_segment_align: 8
    .kernarg_segment_size: 360
    .language:       OpenCL C
    .language_version:
      - 2
      - 0
    .max_flat_workgroup_size: 256
    .name:           _ZN7rocprim17ROCPRIM_400000_NS6detail17trampoline_kernelINS0_14default_configENS1_20scan_config_selectorIdEEZZNS1_9scan_implILNS1_25lookback_scan_determinismE0ELb0ELb0ES3_PKdPddZZZN2at6native31launch_logcumsumexp_cuda_kernelERKNSB_10TensorBaseESF_lENKUlvE_clEvENKUlvE_clEvEUlddE_dEEDaPvRmT3_T4_T5_mT6_P12ihipStream_tbENKUlT_T0_E_clISt17integral_constantIbLb1EESV_IbLb0EEEEDaSR_SS_EUlSR_E_NS1_11comp_targetILNS1_3genE9ELNS1_11target_archE1100ELNS1_3gpuE3ELNS1_3repE0EEENS1_30default_config_static_selectorELNS0_4arch9wavefront6targetE0EEEvT1_
    .private_segment_fixed_size: 120
    .sgpr_count:     78
    .sgpr_spill_count: 0
    .symbol:         _ZN7rocprim17ROCPRIM_400000_NS6detail17trampoline_kernelINS0_14default_configENS1_20scan_config_selectorIdEEZZNS1_9scan_implILNS1_25lookback_scan_determinismE0ELb0ELb0ES3_PKdPddZZZN2at6native31launch_logcumsumexp_cuda_kernelERKNSB_10TensorBaseESF_lENKUlvE_clEvENKUlvE_clEvEUlddE_dEEDaPvRmT3_T4_T5_mT6_P12ihipStream_tbENKUlT_T0_E_clISt17integral_constantIbLb1EESV_IbLb0EEEEDaSR_SS_EUlSR_E_NS1_11comp_targetILNS1_3genE9ELNS1_11target_archE1100ELNS1_3gpuE3ELNS1_3repE0EEENS1_30default_config_static_selectorELNS0_4arch9wavefront6targetE0EEEvT1_.kd
    .uniform_work_group_size: 1
    .uses_dynamic_stack: false
    .vgpr_count:     248
    .vgpr_spill_count: 0
    .wavefront_size: 32
    .workgroup_processor_mode: 1
  - .args:
      - .offset:         0
        .size:           104
        .value_kind:     by_value
    .group_segment_fixed_size: 0
    .kernarg_segment_align: 8
    .kernarg_segment_size: 104
    .language:       OpenCL C
    .language_version:
      - 2
      - 0
    .max_flat_workgroup_size: 128
    .name:           _ZN7rocprim17ROCPRIM_400000_NS6detail17trampoline_kernelINS0_14default_configENS1_20scan_config_selectorIdEEZZNS1_9scan_implILNS1_25lookback_scan_determinismE0ELb0ELb0ES3_PKdPddZZZN2at6native31launch_logcumsumexp_cuda_kernelERKNSB_10TensorBaseESF_lENKUlvE_clEvENKUlvE_clEvEUlddE_dEEDaPvRmT3_T4_T5_mT6_P12ihipStream_tbENKUlT_T0_E_clISt17integral_constantIbLb1EESV_IbLb0EEEEDaSR_SS_EUlSR_E_NS1_11comp_targetILNS1_3genE8ELNS1_11target_archE1030ELNS1_3gpuE2ELNS1_3repE0EEENS1_30default_config_static_selectorELNS0_4arch9wavefront6targetE0EEEvT1_
    .private_segment_fixed_size: 0
    .sgpr_count:     0
    .sgpr_spill_count: 0
    .symbol:         _ZN7rocprim17ROCPRIM_400000_NS6detail17trampoline_kernelINS0_14default_configENS1_20scan_config_selectorIdEEZZNS1_9scan_implILNS1_25lookback_scan_determinismE0ELb0ELb0ES3_PKdPddZZZN2at6native31launch_logcumsumexp_cuda_kernelERKNSB_10TensorBaseESF_lENKUlvE_clEvENKUlvE_clEvEUlddE_dEEDaPvRmT3_T4_T5_mT6_P12ihipStream_tbENKUlT_T0_E_clISt17integral_constantIbLb1EESV_IbLb0EEEEDaSR_SS_EUlSR_E_NS1_11comp_targetILNS1_3genE8ELNS1_11target_archE1030ELNS1_3gpuE2ELNS1_3repE0EEENS1_30default_config_static_selectorELNS0_4arch9wavefront6targetE0EEEvT1_.kd
    .uniform_work_group_size: 1
    .uses_dynamic_stack: false
    .vgpr_count:     0
    .vgpr_spill_count: 0
    .wavefront_size: 32
    .workgroup_processor_mode: 1
  - .args:
      - .offset:         0
        .size:           40
        .value_kind:     by_value
    .group_segment_fixed_size: 0
    .kernarg_segment_align: 8
    .kernarg_segment_size: 40
    .language:       OpenCL C
    .language_version:
      - 2
      - 0
    .max_flat_workgroup_size: 256
    .name:           _ZN7rocprim17ROCPRIM_400000_NS6detail17trampoline_kernelINS0_14default_configENS1_20scan_config_selectorIdEEZZNS1_9scan_implILNS1_25lookback_scan_determinismE0ELb0ELb0ES3_PKdPddZZZN2at6native31launch_logcumsumexp_cuda_kernelERKNSB_10TensorBaseESF_lENKUlvE_clEvENKUlvE_clEvEUlddE_dEEDaPvRmT3_T4_T5_mT6_P12ihipStream_tbENKUlT_T0_E_clISt17integral_constantIbLb1EESV_IbLb0EEEEDaSR_SS_EUlSR_E0_NS1_11comp_targetILNS1_3genE0ELNS1_11target_archE4294967295ELNS1_3gpuE0ELNS1_3repE0EEENS1_30default_config_static_selectorELNS0_4arch9wavefront6targetE0EEEvT1_
    .private_segment_fixed_size: 0
    .sgpr_count:     0
    .sgpr_spill_count: 0
    .symbol:         _ZN7rocprim17ROCPRIM_400000_NS6detail17trampoline_kernelINS0_14default_configENS1_20scan_config_selectorIdEEZZNS1_9scan_implILNS1_25lookback_scan_determinismE0ELb0ELb0ES3_PKdPddZZZN2at6native31launch_logcumsumexp_cuda_kernelERKNSB_10TensorBaseESF_lENKUlvE_clEvENKUlvE_clEvEUlddE_dEEDaPvRmT3_T4_T5_mT6_P12ihipStream_tbENKUlT_T0_E_clISt17integral_constantIbLb1EESV_IbLb0EEEEDaSR_SS_EUlSR_E0_NS1_11comp_targetILNS1_3genE0ELNS1_11target_archE4294967295ELNS1_3gpuE0ELNS1_3repE0EEENS1_30default_config_static_selectorELNS0_4arch9wavefront6targetE0EEEvT1_.kd
    .uniform_work_group_size: 1
    .uses_dynamic_stack: false
    .vgpr_count:     0
    .vgpr_spill_count: 0
    .wavefront_size: 32
    .workgroup_processor_mode: 1
  - .args:
      - .offset:         0
        .size:           40
        .value_kind:     by_value
    .group_segment_fixed_size: 0
    .kernarg_segment_align: 8
    .kernarg_segment_size: 40
    .language:       OpenCL C
    .language_version:
      - 2
      - 0
    .max_flat_workgroup_size: 256
    .name:           _ZN7rocprim17ROCPRIM_400000_NS6detail17trampoline_kernelINS0_14default_configENS1_20scan_config_selectorIdEEZZNS1_9scan_implILNS1_25lookback_scan_determinismE0ELb0ELb0ES3_PKdPddZZZN2at6native31launch_logcumsumexp_cuda_kernelERKNSB_10TensorBaseESF_lENKUlvE_clEvENKUlvE_clEvEUlddE_dEEDaPvRmT3_T4_T5_mT6_P12ihipStream_tbENKUlT_T0_E_clISt17integral_constantIbLb1EESV_IbLb0EEEEDaSR_SS_EUlSR_E0_NS1_11comp_targetILNS1_3genE5ELNS1_11target_archE942ELNS1_3gpuE9ELNS1_3repE0EEENS1_30default_config_static_selectorELNS0_4arch9wavefront6targetE0EEEvT1_
    .private_segment_fixed_size: 0
    .sgpr_count:     0
    .sgpr_spill_count: 0
    .symbol:         _ZN7rocprim17ROCPRIM_400000_NS6detail17trampoline_kernelINS0_14default_configENS1_20scan_config_selectorIdEEZZNS1_9scan_implILNS1_25lookback_scan_determinismE0ELb0ELb0ES3_PKdPddZZZN2at6native31launch_logcumsumexp_cuda_kernelERKNSB_10TensorBaseESF_lENKUlvE_clEvENKUlvE_clEvEUlddE_dEEDaPvRmT3_T4_T5_mT6_P12ihipStream_tbENKUlT_T0_E_clISt17integral_constantIbLb1EESV_IbLb0EEEEDaSR_SS_EUlSR_E0_NS1_11comp_targetILNS1_3genE5ELNS1_11target_archE942ELNS1_3gpuE9ELNS1_3repE0EEENS1_30default_config_static_selectorELNS0_4arch9wavefront6targetE0EEEvT1_.kd
    .uniform_work_group_size: 1
    .uses_dynamic_stack: false
    .vgpr_count:     0
    .vgpr_spill_count: 0
    .wavefront_size: 32
    .workgroup_processor_mode: 1
  - .args:
      - .offset:         0
        .size:           40
        .value_kind:     by_value
    .group_segment_fixed_size: 0
    .kernarg_segment_align: 8
    .kernarg_segment_size: 40
    .language:       OpenCL C
    .language_version:
      - 2
      - 0
    .max_flat_workgroup_size: 128
    .name:           _ZN7rocprim17ROCPRIM_400000_NS6detail17trampoline_kernelINS0_14default_configENS1_20scan_config_selectorIdEEZZNS1_9scan_implILNS1_25lookback_scan_determinismE0ELb0ELb0ES3_PKdPddZZZN2at6native31launch_logcumsumexp_cuda_kernelERKNSB_10TensorBaseESF_lENKUlvE_clEvENKUlvE_clEvEUlddE_dEEDaPvRmT3_T4_T5_mT6_P12ihipStream_tbENKUlT_T0_E_clISt17integral_constantIbLb1EESV_IbLb0EEEEDaSR_SS_EUlSR_E0_NS1_11comp_targetILNS1_3genE4ELNS1_11target_archE910ELNS1_3gpuE8ELNS1_3repE0EEENS1_30default_config_static_selectorELNS0_4arch9wavefront6targetE0EEEvT1_
    .private_segment_fixed_size: 0
    .sgpr_count:     0
    .sgpr_spill_count: 0
    .symbol:         _ZN7rocprim17ROCPRIM_400000_NS6detail17trampoline_kernelINS0_14default_configENS1_20scan_config_selectorIdEEZZNS1_9scan_implILNS1_25lookback_scan_determinismE0ELb0ELb0ES3_PKdPddZZZN2at6native31launch_logcumsumexp_cuda_kernelERKNSB_10TensorBaseESF_lENKUlvE_clEvENKUlvE_clEvEUlddE_dEEDaPvRmT3_T4_T5_mT6_P12ihipStream_tbENKUlT_T0_E_clISt17integral_constantIbLb1EESV_IbLb0EEEEDaSR_SS_EUlSR_E0_NS1_11comp_targetILNS1_3genE4ELNS1_11target_archE910ELNS1_3gpuE8ELNS1_3repE0EEENS1_30default_config_static_selectorELNS0_4arch9wavefront6targetE0EEEvT1_.kd
    .uniform_work_group_size: 1
    .uses_dynamic_stack: false
    .vgpr_count:     0
    .vgpr_spill_count: 0
    .wavefront_size: 32
    .workgroup_processor_mode: 1
  - .args:
      - .offset:         0
        .size:           40
        .value_kind:     by_value
    .group_segment_fixed_size: 0
    .kernarg_segment_align: 8
    .kernarg_segment_size: 40
    .language:       OpenCL C
    .language_version:
      - 2
      - 0
    .max_flat_workgroup_size: 256
    .name:           _ZN7rocprim17ROCPRIM_400000_NS6detail17trampoline_kernelINS0_14default_configENS1_20scan_config_selectorIdEEZZNS1_9scan_implILNS1_25lookback_scan_determinismE0ELb0ELb0ES3_PKdPddZZZN2at6native31launch_logcumsumexp_cuda_kernelERKNSB_10TensorBaseESF_lENKUlvE_clEvENKUlvE_clEvEUlddE_dEEDaPvRmT3_T4_T5_mT6_P12ihipStream_tbENKUlT_T0_E_clISt17integral_constantIbLb1EESV_IbLb0EEEEDaSR_SS_EUlSR_E0_NS1_11comp_targetILNS1_3genE3ELNS1_11target_archE908ELNS1_3gpuE7ELNS1_3repE0EEENS1_30default_config_static_selectorELNS0_4arch9wavefront6targetE0EEEvT1_
    .private_segment_fixed_size: 0
    .sgpr_count:     0
    .sgpr_spill_count: 0
    .symbol:         _ZN7rocprim17ROCPRIM_400000_NS6detail17trampoline_kernelINS0_14default_configENS1_20scan_config_selectorIdEEZZNS1_9scan_implILNS1_25lookback_scan_determinismE0ELb0ELb0ES3_PKdPddZZZN2at6native31launch_logcumsumexp_cuda_kernelERKNSB_10TensorBaseESF_lENKUlvE_clEvENKUlvE_clEvEUlddE_dEEDaPvRmT3_T4_T5_mT6_P12ihipStream_tbENKUlT_T0_E_clISt17integral_constantIbLb1EESV_IbLb0EEEEDaSR_SS_EUlSR_E0_NS1_11comp_targetILNS1_3genE3ELNS1_11target_archE908ELNS1_3gpuE7ELNS1_3repE0EEENS1_30default_config_static_selectorELNS0_4arch9wavefront6targetE0EEEvT1_.kd
    .uniform_work_group_size: 1
    .uses_dynamic_stack: false
    .vgpr_count:     0
    .vgpr_spill_count: 0
    .wavefront_size: 32
    .workgroup_processor_mode: 1
  - .args:
      - .offset:         0
        .size:           40
        .value_kind:     by_value
    .group_segment_fixed_size: 0
    .kernarg_segment_align: 8
    .kernarg_segment_size: 40
    .language:       OpenCL C
    .language_version:
      - 2
      - 0
    .max_flat_workgroup_size: 128
    .name:           _ZN7rocprim17ROCPRIM_400000_NS6detail17trampoline_kernelINS0_14default_configENS1_20scan_config_selectorIdEEZZNS1_9scan_implILNS1_25lookback_scan_determinismE0ELb0ELb0ES3_PKdPddZZZN2at6native31launch_logcumsumexp_cuda_kernelERKNSB_10TensorBaseESF_lENKUlvE_clEvENKUlvE_clEvEUlddE_dEEDaPvRmT3_T4_T5_mT6_P12ihipStream_tbENKUlT_T0_E_clISt17integral_constantIbLb1EESV_IbLb0EEEEDaSR_SS_EUlSR_E0_NS1_11comp_targetILNS1_3genE2ELNS1_11target_archE906ELNS1_3gpuE6ELNS1_3repE0EEENS1_30default_config_static_selectorELNS0_4arch9wavefront6targetE0EEEvT1_
    .private_segment_fixed_size: 0
    .sgpr_count:     0
    .sgpr_spill_count: 0
    .symbol:         _ZN7rocprim17ROCPRIM_400000_NS6detail17trampoline_kernelINS0_14default_configENS1_20scan_config_selectorIdEEZZNS1_9scan_implILNS1_25lookback_scan_determinismE0ELb0ELb0ES3_PKdPddZZZN2at6native31launch_logcumsumexp_cuda_kernelERKNSB_10TensorBaseESF_lENKUlvE_clEvENKUlvE_clEvEUlddE_dEEDaPvRmT3_T4_T5_mT6_P12ihipStream_tbENKUlT_T0_E_clISt17integral_constantIbLb1EESV_IbLb0EEEEDaSR_SS_EUlSR_E0_NS1_11comp_targetILNS1_3genE2ELNS1_11target_archE906ELNS1_3gpuE6ELNS1_3repE0EEENS1_30default_config_static_selectorELNS0_4arch9wavefront6targetE0EEEvT1_.kd
    .uniform_work_group_size: 1
    .uses_dynamic_stack: false
    .vgpr_count:     0
    .vgpr_spill_count: 0
    .wavefront_size: 32
    .workgroup_processor_mode: 1
  - .args:
      - .offset:         0
        .size:           40
        .value_kind:     by_value
    .group_segment_fixed_size: 0
    .kernarg_segment_align: 8
    .kernarg_segment_size: 40
    .language:       OpenCL C
    .language_version:
      - 2
      - 0
    .max_flat_workgroup_size: 256
    .name:           _ZN7rocprim17ROCPRIM_400000_NS6detail17trampoline_kernelINS0_14default_configENS1_20scan_config_selectorIdEEZZNS1_9scan_implILNS1_25lookback_scan_determinismE0ELb0ELb0ES3_PKdPddZZZN2at6native31launch_logcumsumexp_cuda_kernelERKNSB_10TensorBaseESF_lENKUlvE_clEvENKUlvE_clEvEUlddE_dEEDaPvRmT3_T4_T5_mT6_P12ihipStream_tbENKUlT_T0_E_clISt17integral_constantIbLb1EESV_IbLb0EEEEDaSR_SS_EUlSR_E0_NS1_11comp_targetILNS1_3genE10ELNS1_11target_archE1201ELNS1_3gpuE5ELNS1_3repE0EEENS1_30default_config_static_selectorELNS0_4arch9wavefront6targetE0EEEvT1_
    .private_segment_fixed_size: 0
    .sgpr_count:     0
    .sgpr_spill_count: 0
    .symbol:         _ZN7rocprim17ROCPRIM_400000_NS6detail17trampoline_kernelINS0_14default_configENS1_20scan_config_selectorIdEEZZNS1_9scan_implILNS1_25lookback_scan_determinismE0ELb0ELb0ES3_PKdPddZZZN2at6native31launch_logcumsumexp_cuda_kernelERKNSB_10TensorBaseESF_lENKUlvE_clEvENKUlvE_clEvEUlddE_dEEDaPvRmT3_T4_T5_mT6_P12ihipStream_tbENKUlT_T0_E_clISt17integral_constantIbLb1EESV_IbLb0EEEEDaSR_SS_EUlSR_E0_NS1_11comp_targetILNS1_3genE10ELNS1_11target_archE1201ELNS1_3gpuE5ELNS1_3repE0EEENS1_30default_config_static_selectorELNS0_4arch9wavefront6targetE0EEEvT1_.kd
    .uniform_work_group_size: 1
    .uses_dynamic_stack: false
    .vgpr_count:     0
    .vgpr_spill_count: 0
    .wavefront_size: 32
    .workgroup_processor_mode: 1
  - .args:
      - .offset:         0
        .size:           40
        .value_kind:     by_value
    .group_segment_fixed_size: 0
    .kernarg_segment_align: 8
    .kernarg_segment_size: 40
    .language:       OpenCL C
    .language_version:
      - 2
      - 0
    .max_flat_workgroup_size: 256
    .name:           _ZN7rocprim17ROCPRIM_400000_NS6detail17trampoline_kernelINS0_14default_configENS1_20scan_config_selectorIdEEZZNS1_9scan_implILNS1_25lookback_scan_determinismE0ELb0ELb0ES3_PKdPddZZZN2at6native31launch_logcumsumexp_cuda_kernelERKNSB_10TensorBaseESF_lENKUlvE_clEvENKUlvE_clEvEUlddE_dEEDaPvRmT3_T4_T5_mT6_P12ihipStream_tbENKUlT_T0_E_clISt17integral_constantIbLb1EESV_IbLb0EEEEDaSR_SS_EUlSR_E0_NS1_11comp_targetILNS1_3genE10ELNS1_11target_archE1200ELNS1_3gpuE4ELNS1_3repE0EEENS1_30default_config_static_selectorELNS0_4arch9wavefront6targetE0EEEvT1_
    .private_segment_fixed_size: 0
    .sgpr_count:     0
    .sgpr_spill_count: 0
    .symbol:         _ZN7rocprim17ROCPRIM_400000_NS6detail17trampoline_kernelINS0_14default_configENS1_20scan_config_selectorIdEEZZNS1_9scan_implILNS1_25lookback_scan_determinismE0ELb0ELb0ES3_PKdPddZZZN2at6native31launch_logcumsumexp_cuda_kernelERKNSB_10TensorBaseESF_lENKUlvE_clEvENKUlvE_clEvEUlddE_dEEDaPvRmT3_T4_T5_mT6_P12ihipStream_tbENKUlT_T0_E_clISt17integral_constantIbLb1EESV_IbLb0EEEEDaSR_SS_EUlSR_E0_NS1_11comp_targetILNS1_3genE10ELNS1_11target_archE1200ELNS1_3gpuE4ELNS1_3repE0EEENS1_30default_config_static_selectorELNS0_4arch9wavefront6targetE0EEEvT1_.kd
    .uniform_work_group_size: 1
    .uses_dynamic_stack: false
    .vgpr_count:     0
    .vgpr_spill_count: 0
    .wavefront_size: 32
    .workgroup_processor_mode: 1
  - .args:
      - .offset:         0
        .size:           40
        .value_kind:     by_value
    .group_segment_fixed_size: 33792
    .kernarg_segment_align: 8
    .kernarg_segment_size: 40
    .language:       OpenCL C
    .language_version:
      - 2
      - 0
    .max_flat_workgroup_size: 256
    .name:           _ZN7rocprim17ROCPRIM_400000_NS6detail17trampoline_kernelINS0_14default_configENS1_20scan_config_selectorIdEEZZNS1_9scan_implILNS1_25lookback_scan_determinismE0ELb0ELb0ES3_PKdPddZZZN2at6native31launch_logcumsumexp_cuda_kernelERKNSB_10TensorBaseESF_lENKUlvE_clEvENKUlvE_clEvEUlddE_dEEDaPvRmT3_T4_T5_mT6_P12ihipStream_tbENKUlT_T0_E_clISt17integral_constantIbLb1EESV_IbLb0EEEEDaSR_SS_EUlSR_E0_NS1_11comp_targetILNS1_3genE9ELNS1_11target_archE1100ELNS1_3gpuE3ELNS1_3repE0EEENS1_30default_config_static_selectorELNS0_4arch9wavefront6targetE0EEEvT1_
    .private_segment_fixed_size: 0
    .sgpr_count:     50
    .sgpr_spill_count: 0
    .symbol:         _ZN7rocprim17ROCPRIM_400000_NS6detail17trampoline_kernelINS0_14default_configENS1_20scan_config_selectorIdEEZZNS1_9scan_implILNS1_25lookback_scan_determinismE0ELb0ELb0ES3_PKdPddZZZN2at6native31launch_logcumsumexp_cuda_kernelERKNSB_10TensorBaseESF_lENKUlvE_clEvENKUlvE_clEvEUlddE_dEEDaPvRmT3_T4_T5_mT6_P12ihipStream_tbENKUlT_T0_E_clISt17integral_constantIbLb1EESV_IbLb0EEEEDaSR_SS_EUlSR_E0_NS1_11comp_targetILNS1_3genE9ELNS1_11target_archE1100ELNS1_3gpuE3ELNS1_3repE0EEENS1_30default_config_static_selectorELNS0_4arch9wavefront6targetE0EEEvT1_.kd
    .uniform_work_group_size: 1
    .uses_dynamic_stack: false
    .vgpr_count:     119
    .vgpr_spill_count: 0
    .wavefront_size: 32
    .workgroup_processor_mode: 1
  - .args:
      - .offset:         0
        .size:           40
        .value_kind:     by_value
    .group_segment_fixed_size: 0
    .kernarg_segment_align: 8
    .kernarg_segment_size: 40
    .language:       OpenCL C
    .language_version:
      - 2
      - 0
    .max_flat_workgroup_size: 128
    .name:           _ZN7rocprim17ROCPRIM_400000_NS6detail17trampoline_kernelINS0_14default_configENS1_20scan_config_selectorIdEEZZNS1_9scan_implILNS1_25lookback_scan_determinismE0ELb0ELb0ES3_PKdPddZZZN2at6native31launch_logcumsumexp_cuda_kernelERKNSB_10TensorBaseESF_lENKUlvE_clEvENKUlvE_clEvEUlddE_dEEDaPvRmT3_T4_T5_mT6_P12ihipStream_tbENKUlT_T0_E_clISt17integral_constantIbLb1EESV_IbLb0EEEEDaSR_SS_EUlSR_E0_NS1_11comp_targetILNS1_3genE8ELNS1_11target_archE1030ELNS1_3gpuE2ELNS1_3repE0EEENS1_30default_config_static_selectorELNS0_4arch9wavefront6targetE0EEEvT1_
    .private_segment_fixed_size: 0
    .sgpr_count:     0
    .sgpr_spill_count: 0
    .symbol:         _ZN7rocprim17ROCPRIM_400000_NS6detail17trampoline_kernelINS0_14default_configENS1_20scan_config_selectorIdEEZZNS1_9scan_implILNS1_25lookback_scan_determinismE0ELb0ELb0ES3_PKdPddZZZN2at6native31launch_logcumsumexp_cuda_kernelERKNSB_10TensorBaseESF_lENKUlvE_clEvENKUlvE_clEvEUlddE_dEEDaPvRmT3_T4_T5_mT6_P12ihipStream_tbENKUlT_T0_E_clISt17integral_constantIbLb1EESV_IbLb0EEEEDaSR_SS_EUlSR_E0_NS1_11comp_targetILNS1_3genE8ELNS1_11target_archE1030ELNS1_3gpuE2ELNS1_3repE0EEENS1_30default_config_static_selectorELNS0_4arch9wavefront6targetE0EEEvT1_.kd
    .uniform_work_group_size: 1
    .uses_dynamic_stack: false
    .vgpr_count:     0
    .vgpr_spill_count: 0
    .wavefront_size: 32
    .workgroup_processor_mode: 1
  - .args:
      - .address_space:  global
        .offset:         0
        .size:           8
        .value_kind:     global_buffer
      - .offset:         8
        .size:           4
        .value_kind:     by_value
      - .address_space:  global
        .offset:         16
        .size:           8
        .value_kind:     global_buffer
      - .offset:         24
        .size:           4
        .value_kind:     by_value
      - .address_space:  global
        .offset:         32
        .size:           8
        .value_kind:     global_buffer
      - .offset:         40
        .size:           4
        .value_kind:     hidden_block_count_x
      - .offset:         44
        .size:           4
        .value_kind:     hidden_block_count_y
      - .offset:         48
        .size:           4
        .value_kind:     hidden_block_count_z
      - .offset:         52
        .size:           2
        .value_kind:     hidden_group_size_x
      - .offset:         54
        .size:           2
        .value_kind:     hidden_group_size_y
      - .offset:         56
        .size:           2
        .value_kind:     hidden_group_size_z
      - .offset:         58
        .size:           2
        .value_kind:     hidden_remainder_x
      - .offset:         60
        .size:           2
        .value_kind:     hidden_remainder_y
      - .offset:         62
        .size:           2
        .value_kind:     hidden_remainder_z
      - .offset:         80
        .size:           8
        .value_kind:     hidden_global_offset_x
      - .offset:         88
        .size:           8
        .value_kind:     hidden_global_offset_y
      - .offset:         96
        .size:           8
        .value_kind:     hidden_global_offset_z
      - .offset:         104
        .size:           2
        .value_kind:     hidden_grid_dims
    .group_segment_fixed_size: 0
    .kernarg_segment_align: 8
    .kernarg_segment_size: 296
    .language:       OpenCL C
    .language_version:
      - 2
      - 0
    .max_flat_workgroup_size: 256
    .name:           _ZN7rocprim17ROCPRIM_400000_NS6detail31init_lookback_scan_state_kernelINS1_19lookback_scan_stateIdLb0ELb1EEENS1_16block_id_wrapperIjLb1EEEEEvT_jT0_jPNS7_10value_typeE
    .private_segment_fixed_size: 0
    .sgpr_count:     18
    .sgpr_spill_count: 0
    .symbol:         _ZN7rocprim17ROCPRIM_400000_NS6detail31init_lookback_scan_state_kernelINS1_19lookback_scan_stateIdLb0ELb1EEENS1_16block_id_wrapperIjLb1EEEEEvT_jT0_jPNS7_10value_typeE.kd
    .uniform_work_group_size: 1
    .uses_dynamic_stack: false
    .vgpr_count:     9
    .vgpr_spill_count: 0
    .wavefront_size: 32
    .workgroup_processor_mode: 1
  - .args:
      - .offset:         0
        .size:           104
        .value_kind:     by_value
    .group_segment_fixed_size: 0
    .kernarg_segment_align: 8
    .kernarg_segment_size: 104
    .language:       OpenCL C
    .language_version:
      - 2
      - 0
    .max_flat_workgroup_size: 256
    .name:           _ZN7rocprim17ROCPRIM_400000_NS6detail17trampoline_kernelINS0_14default_configENS1_20scan_config_selectorIdEEZZNS1_9scan_implILNS1_25lookback_scan_determinismE0ELb0ELb0ES3_PKdPddZZZN2at6native31launch_logcumsumexp_cuda_kernelERKNSB_10TensorBaseESF_lENKUlvE_clEvENKUlvE_clEvEUlddE_dEEDaPvRmT3_T4_T5_mT6_P12ihipStream_tbENKUlT_T0_E_clISt17integral_constantIbLb0EESV_IbLb1EEEEDaSR_SS_EUlSR_E_NS1_11comp_targetILNS1_3genE0ELNS1_11target_archE4294967295ELNS1_3gpuE0ELNS1_3repE0EEENS1_30default_config_static_selectorELNS0_4arch9wavefront6targetE0EEEvT1_
    .private_segment_fixed_size: 0
    .sgpr_count:     0
    .sgpr_spill_count: 0
    .symbol:         _ZN7rocprim17ROCPRIM_400000_NS6detail17trampoline_kernelINS0_14default_configENS1_20scan_config_selectorIdEEZZNS1_9scan_implILNS1_25lookback_scan_determinismE0ELb0ELb0ES3_PKdPddZZZN2at6native31launch_logcumsumexp_cuda_kernelERKNSB_10TensorBaseESF_lENKUlvE_clEvENKUlvE_clEvEUlddE_dEEDaPvRmT3_T4_T5_mT6_P12ihipStream_tbENKUlT_T0_E_clISt17integral_constantIbLb0EESV_IbLb1EEEEDaSR_SS_EUlSR_E_NS1_11comp_targetILNS1_3genE0ELNS1_11target_archE4294967295ELNS1_3gpuE0ELNS1_3repE0EEENS1_30default_config_static_selectorELNS0_4arch9wavefront6targetE0EEEvT1_.kd
    .uniform_work_group_size: 1
    .uses_dynamic_stack: false
    .vgpr_count:     0
    .vgpr_spill_count: 0
    .wavefront_size: 32
    .workgroup_processor_mode: 1
  - .args:
      - .offset:         0
        .size:           104
        .value_kind:     by_value
    .group_segment_fixed_size: 0
    .kernarg_segment_align: 8
    .kernarg_segment_size: 104
    .language:       OpenCL C
    .language_version:
      - 2
      - 0
    .max_flat_workgroup_size: 256
    .name:           _ZN7rocprim17ROCPRIM_400000_NS6detail17trampoline_kernelINS0_14default_configENS1_20scan_config_selectorIdEEZZNS1_9scan_implILNS1_25lookback_scan_determinismE0ELb0ELb0ES3_PKdPddZZZN2at6native31launch_logcumsumexp_cuda_kernelERKNSB_10TensorBaseESF_lENKUlvE_clEvENKUlvE_clEvEUlddE_dEEDaPvRmT3_T4_T5_mT6_P12ihipStream_tbENKUlT_T0_E_clISt17integral_constantIbLb0EESV_IbLb1EEEEDaSR_SS_EUlSR_E_NS1_11comp_targetILNS1_3genE5ELNS1_11target_archE942ELNS1_3gpuE9ELNS1_3repE0EEENS1_30default_config_static_selectorELNS0_4arch9wavefront6targetE0EEEvT1_
    .private_segment_fixed_size: 0
    .sgpr_count:     0
    .sgpr_spill_count: 0
    .symbol:         _ZN7rocprim17ROCPRIM_400000_NS6detail17trampoline_kernelINS0_14default_configENS1_20scan_config_selectorIdEEZZNS1_9scan_implILNS1_25lookback_scan_determinismE0ELb0ELb0ES3_PKdPddZZZN2at6native31launch_logcumsumexp_cuda_kernelERKNSB_10TensorBaseESF_lENKUlvE_clEvENKUlvE_clEvEUlddE_dEEDaPvRmT3_T4_T5_mT6_P12ihipStream_tbENKUlT_T0_E_clISt17integral_constantIbLb0EESV_IbLb1EEEEDaSR_SS_EUlSR_E_NS1_11comp_targetILNS1_3genE5ELNS1_11target_archE942ELNS1_3gpuE9ELNS1_3repE0EEENS1_30default_config_static_selectorELNS0_4arch9wavefront6targetE0EEEvT1_.kd
    .uniform_work_group_size: 1
    .uses_dynamic_stack: false
    .vgpr_count:     0
    .vgpr_spill_count: 0
    .wavefront_size: 32
    .workgroup_processor_mode: 1
  - .args:
      - .offset:         0
        .size:           104
        .value_kind:     by_value
    .group_segment_fixed_size: 0
    .kernarg_segment_align: 8
    .kernarg_segment_size: 104
    .language:       OpenCL C
    .language_version:
      - 2
      - 0
    .max_flat_workgroup_size: 128
    .name:           _ZN7rocprim17ROCPRIM_400000_NS6detail17trampoline_kernelINS0_14default_configENS1_20scan_config_selectorIdEEZZNS1_9scan_implILNS1_25lookback_scan_determinismE0ELb0ELb0ES3_PKdPddZZZN2at6native31launch_logcumsumexp_cuda_kernelERKNSB_10TensorBaseESF_lENKUlvE_clEvENKUlvE_clEvEUlddE_dEEDaPvRmT3_T4_T5_mT6_P12ihipStream_tbENKUlT_T0_E_clISt17integral_constantIbLb0EESV_IbLb1EEEEDaSR_SS_EUlSR_E_NS1_11comp_targetILNS1_3genE4ELNS1_11target_archE910ELNS1_3gpuE8ELNS1_3repE0EEENS1_30default_config_static_selectorELNS0_4arch9wavefront6targetE0EEEvT1_
    .private_segment_fixed_size: 0
    .sgpr_count:     0
    .sgpr_spill_count: 0
    .symbol:         _ZN7rocprim17ROCPRIM_400000_NS6detail17trampoline_kernelINS0_14default_configENS1_20scan_config_selectorIdEEZZNS1_9scan_implILNS1_25lookback_scan_determinismE0ELb0ELb0ES3_PKdPddZZZN2at6native31launch_logcumsumexp_cuda_kernelERKNSB_10TensorBaseESF_lENKUlvE_clEvENKUlvE_clEvEUlddE_dEEDaPvRmT3_T4_T5_mT6_P12ihipStream_tbENKUlT_T0_E_clISt17integral_constantIbLb0EESV_IbLb1EEEEDaSR_SS_EUlSR_E_NS1_11comp_targetILNS1_3genE4ELNS1_11target_archE910ELNS1_3gpuE8ELNS1_3repE0EEENS1_30default_config_static_selectorELNS0_4arch9wavefront6targetE0EEEvT1_.kd
    .uniform_work_group_size: 1
    .uses_dynamic_stack: false
    .vgpr_count:     0
    .vgpr_spill_count: 0
    .wavefront_size: 32
    .workgroup_processor_mode: 1
  - .args:
      - .offset:         0
        .size:           104
        .value_kind:     by_value
    .group_segment_fixed_size: 0
    .kernarg_segment_align: 8
    .kernarg_segment_size: 104
    .language:       OpenCL C
    .language_version:
      - 2
      - 0
    .max_flat_workgroup_size: 256
    .name:           _ZN7rocprim17ROCPRIM_400000_NS6detail17trampoline_kernelINS0_14default_configENS1_20scan_config_selectorIdEEZZNS1_9scan_implILNS1_25lookback_scan_determinismE0ELb0ELb0ES3_PKdPddZZZN2at6native31launch_logcumsumexp_cuda_kernelERKNSB_10TensorBaseESF_lENKUlvE_clEvENKUlvE_clEvEUlddE_dEEDaPvRmT3_T4_T5_mT6_P12ihipStream_tbENKUlT_T0_E_clISt17integral_constantIbLb0EESV_IbLb1EEEEDaSR_SS_EUlSR_E_NS1_11comp_targetILNS1_3genE3ELNS1_11target_archE908ELNS1_3gpuE7ELNS1_3repE0EEENS1_30default_config_static_selectorELNS0_4arch9wavefront6targetE0EEEvT1_
    .private_segment_fixed_size: 0
    .sgpr_count:     0
    .sgpr_spill_count: 0
    .symbol:         _ZN7rocprim17ROCPRIM_400000_NS6detail17trampoline_kernelINS0_14default_configENS1_20scan_config_selectorIdEEZZNS1_9scan_implILNS1_25lookback_scan_determinismE0ELb0ELb0ES3_PKdPddZZZN2at6native31launch_logcumsumexp_cuda_kernelERKNSB_10TensorBaseESF_lENKUlvE_clEvENKUlvE_clEvEUlddE_dEEDaPvRmT3_T4_T5_mT6_P12ihipStream_tbENKUlT_T0_E_clISt17integral_constantIbLb0EESV_IbLb1EEEEDaSR_SS_EUlSR_E_NS1_11comp_targetILNS1_3genE3ELNS1_11target_archE908ELNS1_3gpuE7ELNS1_3repE0EEENS1_30default_config_static_selectorELNS0_4arch9wavefront6targetE0EEEvT1_.kd
    .uniform_work_group_size: 1
    .uses_dynamic_stack: false
    .vgpr_count:     0
    .vgpr_spill_count: 0
    .wavefront_size: 32
    .workgroup_processor_mode: 1
  - .args:
      - .offset:         0
        .size:           104
        .value_kind:     by_value
    .group_segment_fixed_size: 0
    .kernarg_segment_align: 8
    .kernarg_segment_size: 104
    .language:       OpenCL C
    .language_version:
      - 2
      - 0
    .max_flat_workgroup_size: 128
    .name:           _ZN7rocprim17ROCPRIM_400000_NS6detail17trampoline_kernelINS0_14default_configENS1_20scan_config_selectorIdEEZZNS1_9scan_implILNS1_25lookback_scan_determinismE0ELb0ELb0ES3_PKdPddZZZN2at6native31launch_logcumsumexp_cuda_kernelERKNSB_10TensorBaseESF_lENKUlvE_clEvENKUlvE_clEvEUlddE_dEEDaPvRmT3_T4_T5_mT6_P12ihipStream_tbENKUlT_T0_E_clISt17integral_constantIbLb0EESV_IbLb1EEEEDaSR_SS_EUlSR_E_NS1_11comp_targetILNS1_3genE2ELNS1_11target_archE906ELNS1_3gpuE6ELNS1_3repE0EEENS1_30default_config_static_selectorELNS0_4arch9wavefront6targetE0EEEvT1_
    .private_segment_fixed_size: 0
    .sgpr_count:     0
    .sgpr_spill_count: 0
    .symbol:         _ZN7rocprim17ROCPRIM_400000_NS6detail17trampoline_kernelINS0_14default_configENS1_20scan_config_selectorIdEEZZNS1_9scan_implILNS1_25lookback_scan_determinismE0ELb0ELb0ES3_PKdPddZZZN2at6native31launch_logcumsumexp_cuda_kernelERKNSB_10TensorBaseESF_lENKUlvE_clEvENKUlvE_clEvEUlddE_dEEDaPvRmT3_T4_T5_mT6_P12ihipStream_tbENKUlT_T0_E_clISt17integral_constantIbLb0EESV_IbLb1EEEEDaSR_SS_EUlSR_E_NS1_11comp_targetILNS1_3genE2ELNS1_11target_archE906ELNS1_3gpuE6ELNS1_3repE0EEENS1_30default_config_static_selectorELNS0_4arch9wavefront6targetE0EEEvT1_.kd
    .uniform_work_group_size: 1
    .uses_dynamic_stack: false
    .vgpr_count:     0
    .vgpr_spill_count: 0
    .wavefront_size: 32
    .workgroup_processor_mode: 1
  - .args:
      - .offset:         0
        .size:           104
        .value_kind:     by_value
    .group_segment_fixed_size: 0
    .kernarg_segment_align: 8
    .kernarg_segment_size: 104
    .language:       OpenCL C
    .language_version:
      - 2
      - 0
    .max_flat_workgroup_size: 256
    .name:           _ZN7rocprim17ROCPRIM_400000_NS6detail17trampoline_kernelINS0_14default_configENS1_20scan_config_selectorIdEEZZNS1_9scan_implILNS1_25lookback_scan_determinismE0ELb0ELb0ES3_PKdPddZZZN2at6native31launch_logcumsumexp_cuda_kernelERKNSB_10TensorBaseESF_lENKUlvE_clEvENKUlvE_clEvEUlddE_dEEDaPvRmT3_T4_T5_mT6_P12ihipStream_tbENKUlT_T0_E_clISt17integral_constantIbLb0EESV_IbLb1EEEEDaSR_SS_EUlSR_E_NS1_11comp_targetILNS1_3genE10ELNS1_11target_archE1201ELNS1_3gpuE5ELNS1_3repE0EEENS1_30default_config_static_selectorELNS0_4arch9wavefront6targetE0EEEvT1_
    .private_segment_fixed_size: 0
    .sgpr_count:     0
    .sgpr_spill_count: 0
    .symbol:         _ZN7rocprim17ROCPRIM_400000_NS6detail17trampoline_kernelINS0_14default_configENS1_20scan_config_selectorIdEEZZNS1_9scan_implILNS1_25lookback_scan_determinismE0ELb0ELb0ES3_PKdPddZZZN2at6native31launch_logcumsumexp_cuda_kernelERKNSB_10TensorBaseESF_lENKUlvE_clEvENKUlvE_clEvEUlddE_dEEDaPvRmT3_T4_T5_mT6_P12ihipStream_tbENKUlT_T0_E_clISt17integral_constantIbLb0EESV_IbLb1EEEEDaSR_SS_EUlSR_E_NS1_11comp_targetILNS1_3genE10ELNS1_11target_archE1201ELNS1_3gpuE5ELNS1_3repE0EEENS1_30default_config_static_selectorELNS0_4arch9wavefront6targetE0EEEvT1_.kd
    .uniform_work_group_size: 1
    .uses_dynamic_stack: false
    .vgpr_count:     0
    .vgpr_spill_count: 0
    .wavefront_size: 32
    .workgroup_processor_mode: 1
  - .args:
      - .offset:         0
        .size:           104
        .value_kind:     by_value
    .group_segment_fixed_size: 0
    .kernarg_segment_align: 8
    .kernarg_segment_size: 104
    .language:       OpenCL C
    .language_version:
      - 2
      - 0
    .max_flat_workgroup_size: 256
    .name:           _ZN7rocprim17ROCPRIM_400000_NS6detail17trampoline_kernelINS0_14default_configENS1_20scan_config_selectorIdEEZZNS1_9scan_implILNS1_25lookback_scan_determinismE0ELb0ELb0ES3_PKdPddZZZN2at6native31launch_logcumsumexp_cuda_kernelERKNSB_10TensorBaseESF_lENKUlvE_clEvENKUlvE_clEvEUlddE_dEEDaPvRmT3_T4_T5_mT6_P12ihipStream_tbENKUlT_T0_E_clISt17integral_constantIbLb0EESV_IbLb1EEEEDaSR_SS_EUlSR_E_NS1_11comp_targetILNS1_3genE10ELNS1_11target_archE1200ELNS1_3gpuE4ELNS1_3repE0EEENS1_30default_config_static_selectorELNS0_4arch9wavefront6targetE0EEEvT1_
    .private_segment_fixed_size: 0
    .sgpr_count:     0
    .sgpr_spill_count: 0
    .symbol:         _ZN7rocprim17ROCPRIM_400000_NS6detail17trampoline_kernelINS0_14default_configENS1_20scan_config_selectorIdEEZZNS1_9scan_implILNS1_25lookback_scan_determinismE0ELb0ELb0ES3_PKdPddZZZN2at6native31launch_logcumsumexp_cuda_kernelERKNSB_10TensorBaseESF_lENKUlvE_clEvENKUlvE_clEvEUlddE_dEEDaPvRmT3_T4_T5_mT6_P12ihipStream_tbENKUlT_T0_E_clISt17integral_constantIbLb0EESV_IbLb1EEEEDaSR_SS_EUlSR_E_NS1_11comp_targetILNS1_3genE10ELNS1_11target_archE1200ELNS1_3gpuE4ELNS1_3repE0EEENS1_30default_config_static_selectorELNS0_4arch9wavefront6targetE0EEEvT1_.kd
    .uniform_work_group_size: 1
    .uses_dynamic_stack: false
    .vgpr_count:     0
    .vgpr_spill_count: 0
    .wavefront_size: 32
    .workgroup_processor_mode: 1
  - .args:
      - .offset:         0
        .size:           104
        .value_kind:     by_value
      - .offset:         104
        .size:           4
        .value_kind:     hidden_block_count_x
      - .offset:         108
        .size:           4
        .value_kind:     hidden_block_count_y
      - .offset:         112
        .size:           4
        .value_kind:     hidden_block_count_z
      - .offset:         116
        .size:           2
        .value_kind:     hidden_group_size_x
      - .offset:         118
        .size:           2
        .value_kind:     hidden_group_size_y
      - .offset:         120
        .size:           2
        .value_kind:     hidden_group_size_z
      - .offset:         122
        .size:           2
        .value_kind:     hidden_remainder_x
      - .offset:         124
        .size:           2
        .value_kind:     hidden_remainder_y
      - .offset:         126
        .size:           2
        .value_kind:     hidden_remainder_z
      - .offset:         144
        .size:           8
        .value_kind:     hidden_global_offset_x
      - .offset:         152
        .size:           8
        .value_kind:     hidden_global_offset_y
      - .offset:         160
        .size:           8
        .value_kind:     hidden_global_offset_z
      - .offset:         168
        .size:           2
        .value_kind:     hidden_grid_dims
    .group_segment_fixed_size: 33792
    .kernarg_segment_align: 8
    .kernarg_segment_size: 360
    .language:       OpenCL C
    .language_version:
      - 2
      - 0
    .max_flat_workgroup_size: 256
    .name:           _ZN7rocprim17ROCPRIM_400000_NS6detail17trampoline_kernelINS0_14default_configENS1_20scan_config_selectorIdEEZZNS1_9scan_implILNS1_25lookback_scan_determinismE0ELb0ELb0ES3_PKdPddZZZN2at6native31launch_logcumsumexp_cuda_kernelERKNSB_10TensorBaseESF_lENKUlvE_clEvENKUlvE_clEvEUlddE_dEEDaPvRmT3_T4_T5_mT6_P12ihipStream_tbENKUlT_T0_E_clISt17integral_constantIbLb0EESV_IbLb1EEEEDaSR_SS_EUlSR_E_NS1_11comp_targetILNS1_3genE9ELNS1_11target_archE1100ELNS1_3gpuE3ELNS1_3repE0EEENS1_30default_config_static_selectorELNS0_4arch9wavefront6targetE0EEEvT1_
    .private_segment_fixed_size: 120
    .sgpr_count:     78
    .sgpr_spill_count: 0
    .symbol:         _ZN7rocprim17ROCPRIM_400000_NS6detail17trampoline_kernelINS0_14default_configENS1_20scan_config_selectorIdEEZZNS1_9scan_implILNS1_25lookback_scan_determinismE0ELb0ELb0ES3_PKdPddZZZN2at6native31launch_logcumsumexp_cuda_kernelERKNSB_10TensorBaseESF_lENKUlvE_clEvENKUlvE_clEvEUlddE_dEEDaPvRmT3_T4_T5_mT6_P12ihipStream_tbENKUlT_T0_E_clISt17integral_constantIbLb0EESV_IbLb1EEEEDaSR_SS_EUlSR_E_NS1_11comp_targetILNS1_3genE9ELNS1_11target_archE1100ELNS1_3gpuE3ELNS1_3repE0EEENS1_30default_config_static_selectorELNS0_4arch9wavefront6targetE0EEEvT1_.kd
    .uniform_work_group_size: 1
    .uses_dynamic_stack: false
    .vgpr_count:     248
    .vgpr_spill_count: 0
    .wavefront_size: 32
    .workgroup_processor_mode: 1
  - .args:
      - .offset:         0
        .size:           104
        .value_kind:     by_value
    .group_segment_fixed_size: 0
    .kernarg_segment_align: 8
    .kernarg_segment_size: 104
    .language:       OpenCL C
    .language_version:
      - 2
      - 0
    .max_flat_workgroup_size: 128
    .name:           _ZN7rocprim17ROCPRIM_400000_NS6detail17trampoline_kernelINS0_14default_configENS1_20scan_config_selectorIdEEZZNS1_9scan_implILNS1_25lookback_scan_determinismE0ELb0ELb0ES3_PKdPddZZZN2at6native31launch_logcumsumexp_cuda_kernelERKNSB_10TensorBaseESF_lENKUlvE_clEvENKUlvE_clEvEUlddE_dEEDaPvRmT3_T4_T5_mT6_P12ihipStream_tbENKUlT_T0_E_clISt17integral_constantIbLb0EESV_IbLb1EEEEDaSR_SS_EUlSR_E_NS1_11comp_targetILNS1_3genE8ELNS1_11target_archE1030ELNS1_3gpuE2ELNS1_3repE0EEENS1_30default_config_static_selectorELNS0_4arch9wavefront6targetE0EEEvT1_
    .private_segment_fixed_size: 0
    .sgpr_count:     0
    .sgpr_spill_count: 0
    .symbol:         _ZN7rocprim17ROCPRIM_400000_NS6detail17trampoline_kernelINS0_14default_configENS1_20scan_config_selectorIdEEZZNS1_9scan_implILNS1_25lookback_scan_determinismE0ELb0ELb0ES3_PKdPddZZZN2at6native31launch_logcumsumexp_cuda_kernelERKNSB_10TensorBaseESF_lENKUlvE_clEvENKUlvE_clEvEUlddE_dEEDaPvRmT3_T4_T5_mT6_P12ihipStream_tbENKUlT_T0_E_clISt17integral_constantIbLb0EESV_IbLb1EEEEDaSR_SS_EUlSR_E_NS1_11comp_targetILNS1_3genE8ELNS1_11target_archE1030ELNS1_3gpuE2ELNS1_3repE0EEENS1_30default_config_static_selectorELNS0_4arch9wavefront6targetE0EEEvT1_.kd
    .uniform_work_group_size: 1
    .uses_dynamic_stack: false
    .vgpr_count:     0
    .vgpr_spill_count: 0
    .wavefront_size: 32
    .workgroup_processor_mode: 1
  - .args:
      - .offset:         0
        .size:           40
        .value_kind:     by_value
    .group_segment_fixed_size: 0
    .kernarg_segment_align: 8
    .kernarg_segment_size: 40
    .language:       OpenCL C
    .language_version:
      - 2
      - 0
    .max_flat_workgroup_size: 256
    .name:           _ZN7rocprim17ROCPRIM_400000_NS6detail17trampoline_kernelINS0_14default_configENS1_20scan_config_selectorIdEEZZNS1_9scan_implILNS1_25lookback_scan_determinismE0ELb0ELb0ES3_PKdPddZZZN2at6native31launch_logcumsumexp_cuda_kernelERKNSB_10TensorBaseESF_lENKUlvE_clEvENKUlvE_clEvEUlddE_dEEDaPvRmT3_T4_T5_mT6_P12ihipStream_tbENKUlT_T0_E_clISt17integral_constantIbLb0EESV_IbLb1EEEEDaSR_SS_EUlSR_E0_NS1_11comp_targetILNS1_3genE0ELNS1_11target_archE4294967295ELNS1_3gpuE0ELNS1_3repE0EEENS1_30default_config_static_selectorELNS0_4arch9wavefront6targetE0EEEvT1_
    .private_segment_fixed_size: 0
    .sgpr_count:     0
    .sgpr_spill_count: 0
    .symbol:         _ZN7rocprim17ROCPRIM_400000_NS6detail17trampoline_kernelINS0_14default_configENS1_20scan_config_selectorIdEEZZNS1_9scan_implILNS1_25lookback_scan_determinismE0ELb0ELb0ES3_PKdPddZZZN2at6native31launch_logcumsumexp_cuda_kernelERKNSB_10TensorBaseESF_lENKUlvE_clEvENKUlvE_clEvEUlddE_dEEDaPvRmT3_T4_T5_mT6_P12ihipStream_tbENKUlT_T0_E_clISt17integral_constantIbLb0EESV_IbLb1EEEEDaSR_SS_EUlSR_E0_NS1_11comp_targetILNS1_3genE0ELNS1_11target_archE4294967295ELNS1_3gpuE0ELNS1_3repE0EEENS1_30default_config_static_selectorELNS0_4arch9wavefront6targetE0EEEvT1_.kd
    .uniform_work_group_size: 1
    .uses_dynamic_stack: false
    .vgpr_count:     0
    .vgpr_spill_count: 0
    .wavefront_size: 32
    .workgroup_processor_mode: 1
  - .args:
      - .offset:         0
        .size:           40
        .value_kind:     by_value
    .group_segment_fixed_size: 0
    .kernarg_segment_align: 8
    .kernarg_segment_size: 40
    .language:       OpenCL C
    .language_version:
      - 2
      - 0
    .max_flat_workgroup_size: 256
    .name:           _ZN7rocprim17ROCPRIM_400000_NS6detail17trampoline_kernelINS0_14default_configENS1_20scan_config_selectorIdEEZZNS1_9scan_implILNS1_25lookback_scan_determinismE0ELb0ELb0ES3_PKdPddZZZN2at6native31launch_logcumsumexp_cuda_kernelERKNSB_10TensorBaseESF_lENKUlvE_clEvENKUlvE_clEvEUlddE_dEEDaPvRmT3_T4_T5_mT6_P12ihipStream_tbENKUlT_T0_E_clISt17integral_constantIbLb0EESV_IbLb1EEEEDaSR_SS_EUlSR_E0_NS1_11comp_targetILNS1_3genE5ELNS1_11target_archE942ELNS1_3gpuE9ELNS1_3repE0EEENS1_30default_config_static_selectorELNS0_4arch9wavefront6targetE0EEEvT1_
    .private_segment_fixed_size: 0
    .sgpr_count:     0
    .sgpr_spill_count: 0
    .symbol:         _ZN7rocprim17ROCPRIM_400000_NS6detail17trampoline_kernelINS0_14default_configENS1_20scan_config_selectorIdEEZZNS1_9scan_implILNS1_25lookback_scan_determinismE0ELb0ELb0ES3_PKdPddZZZN2at6native31launch_logcumsumexp_cuda_kernelERKNSB_10TensorBaseESF_lENKUlvE_clEvENKUlvE_clEvEUlddE_dEEDaPvRmT3_T4_T5_mT6_P12ihipStream_tbENKUlT_T0_E_clISt17integral_constantIbLb0EESV_IbLb1EEEEDaSR_SS_EUlSR_E0_NS1_11comp_targetILNS1_3genE5ELNS1_11target_archE942ELNS1_3gpuE9ELNS1_3repE0EEENS1_30default_config_static_selectorELNS0_4arch9wavefront6targetE0EEEvT1_.kd
    .uniform_work_group_size: 1
    .uses_dynamic_stack: false
    .vgpr_count:     0
    .vgpr_spill_count: 0
    .wavefront_size: 32
    .workgroup_processor_mode: 1
  - .args:
      - .offset:         0
        .size:           40
        .value_kind:     by_value
    .group_segment_fixed_size: 0
    .kernarg_segment_align: 8
    .kernarg_segment_size: 40
    .language:       OpenCL C
    .language_version:
      - 2
      - 0
    .max_flat_workgroup_size: 128
    .name:           _ZN7rocprim17ROCPRIM_400000_NS6detail17trampoline_kernelINS0_14default_configENS1_20scan_config_selectorIdEEZZNS1_9scan_implILNS1_25lookback_scan_determinismE0ELb0ELb0ES3_PKdPddZZZN2at6native31launch_logcumsumexp_cuda_kernelERKNSB_10TensorBaseESF_lENKUlvE_clEvENKUlvE_clEvEUlddE_dEEDaPvRmT3_T4_T5_mT6_P12ihipStream_tbENKUlT_T0_E_clISt17integral_constantIbLb0EESV_IbLb1EEEEDaSR_SS_EUlSR_E0_NS1_11comp_targetILNS1_3genE4ELNS1_11target_archE910ELNS1_3gpuE8ELNS1_3repE0EEENS1_30default_config_static_selectorELNS0_4arch9wavefront6targetE0EEEvT1_
    .private_segment_fixed_size: 0
    .sgpr_count:     0
    .sgpr_spill_count: 0
    .symbol:         _ZN7rocprim17ROCPRIM_400000_NS6detail17trampoline_kernelINS0_14default_configENS1_20scan_config_selectorIdEEZZNS1_9scan_implILNS1_25lookback_scan_determinismE0ELb0ELb0ES3_PKdPddZZZN2at6native31launch_logcumsumexp_cuda_kernelERKNSB_10TensorBaseESF_lENKUlvE_clEvENKUlvE_clEvEUlddE_dEEDaPvRmT3_T4_T5_mT6_P12ihipStream_tbENKUlT_T0_E_clISt17integral_constantIbLb0EESV_IbLb1EEEEDaSR_SS_EUlSR_E0_NS1_11comp_targetILNS1_3genE4ELNS1_11target_archE910ELNS1_3gpuE8ELNS1_3repE0EEENS1_30default_config_static_selectorELNS0_4arch9wavefront6targetE0EEEvT1_.kd
    .uniform_work_group_size: 1
    .uses_dynamic_stack: false
    .vgpr_count:     0
    .vgpr_spill_count: 0
    .wavefront_size: 32
    .workgroup_processor_mode: 1
  - .args:
      - .offset:         0
        .size:           40
        .value_kind:     by_value
    .group_segment_fixed_size: 0
    .kernarg_segment_align: 8
    .kernarg_segment_size: 40
    .language:       OpenCL C
    .language_version:
      - 2
      - 0
    .max_flat_workgroup_size: 256
    .name:           _ZN7rocprim17ROCPRIM_400000_NS6detail17trampoline_kernelINS0_14default_configENS1_20scan_config_selectorIdEEZZNS1_9scan_implILNS1_25lookback_scan_determinismE0ELb0ELb0ES3_PKdPddZZZN2at6native31launch_logcumsumexp_cuda_kernelERKNSB_10TensorBaseESF_lENKUlvE_clEvENKUlvE_clEvEUlddE_dEEDaPvRmT3_T4_T5_mT6_P12ihipStream_tbENKUlT_T0_E_clISt17integral_constantIbLb0EESV_IbLb1EEEEDaSR_SS_EUlSR_E0_NS1_11comp_targetILNS1_3genE3ELNS1_11target_archE908ELNS1_3gpuE7ELNS1_3repE0EEENS1_30default_config_static_selectorELNS0_4arch9wavefront6targetE0EEEvT1_
    .private_segment_fixed_size: 0
    .sgpr_count:     0
    .sgpr_spill_count: 0
    .symbol:         _ZN7rocprim17ROCPRIM_400000_NS6detail17trampoline_kernelINS0_14default_configENS1_20scan_config_selectorIdEEZZNS1_9scan_implILNS1_25lookback_scan_determinismE0ELb0ELb0ES3_PKdPddZZZN2at6native31launch_logcumsumexp_cuda_kernelERKNSB_10TensorBaseESF_lENKUlvE_clEvENKUlvE_clEvEUlddE_dEEDaPvRmT3_T4_T5_mT6_P12ihipStream_tbENKUlT_T0_E_clISt17integral_constantIbLb0EESV_IbLb1EEEEDaSR_SS_EUlSR_E0_NS1_11comp_targetILNS1_3genE3ELNS1_11target_archE908ELNS1_3gpuE7ELNS1_3repE0EEENS1_30default_config_static_selectorELNS0_4arch9wavefront6targetE0EEEvT1_.kd
    .uniform_work_group_size: 1
    .uses_dynamic_stack: false
    .vgpr_count:     0
    .vgpr_spill_count: 0
    .wavefront_size: 32
    .workgroup_processor_mode: 1
  - .args:
      - .offset:         0
        .size:           40
        .value_kind:     by_value
    .group_segment_fixed_size: 0
    .kernarg_segment_align: 8
    .kernarg_segment_size: 40
    .language:       OpenCL C
    .language_version:
      - 2
      - 0
    .max_flat_workgroup_size: 128
    .name:           _ZN7rocprim17ROCPRIM_400000_NS6detail17trampoline_kernelINS0_14default_configENS1_20scan_config_selectorIdEEZZNS1_9scan_implILNS1_25lookback_scan_determinismE0ELb0ELb0ES3_PKdPddZZZN2at6native31launch_logcumsumexp_cuda_kernelERKNSB_10TensorBaseESF_lENKUlvE_clEvENKUlvE_clEvEUlddE_dEEDaPvRmT3_T4_T5_mT6_P12ihipStream_tbENKUlT_T0_E_clISt17integral_constantIbLb0EESV_IbLb1EEEEDaSR_SS_EUlSR_E0_NS1_11comp_targetILNS1_3genE2ELNS1_11target_archE906ELNS1_3gpuE6ELNS1_3repE0EEENS1_30default_config_static_selectorELNS0_4arch9wavefront6targetE0EEEvT1_
    .private_segment_fixed_size: 0
    .sgpr_count:     0
    .sgpr_spill_count: 0
    .symbol:         _ZN7rocprim17ROCPRIM_400000_NS6detail17trampoline_kernelINS0_14default_configENS1_20scan_config_selectorIdEEZZNS1_9scan_implILNS1_25lookback_scan_determinismE0ELb0ELb0ES3_PKdPddZZZN2at6native31launch_logcumsumexp_cuda_kernelERKNSB_10TensorBaseESF_lENKUlvE_clEvENKUlvE_clEvEUlddE_dEEDaPvRmT3_T4_T5_mT6_P12ihipStream_tbENKUlT_T0_E_clISt17integral_constantIbLb0EESV_IbLb1EEEEDaSR_SS_EUlSR_E0_NS1_11comp_targetILNS1_3genE2ELNS1_11target_archE906ELNS1_3gpuE6ELNS1_3repE0EEENS1_30default_config_static_selectorELNS0_4arch9wavefront6targetE0EEEvT1_.kd
    .uniform_work_group_size: 1
    .uses_dynamic_stack: false
    .vgpr_count:     0
    .vgpr_spill_count: 0
    .wavefront_size: 32
    .workgroup_processor_mode: 1
  - .args:
      - .offset:         0
        .size:           40
        .value_kind:     by_value
    .group_segment_fixed_size: 0
    .kernarg_segment_align: 8
    .kernarg_segment_size: 40
    .language:       OpenCL C
    .language_version:
      - 2
      - 0
    .max_flat_workgroup_size: 256
    .name:           _ZN7rocprim17ROCPRIM_400000_NS6detail17trampoline_kernelINS0_14default_configENS1_20scan_config_selectorIdEEZZNS1_9scan_implILNS1_25lookback_scan_determinismE0ELb0ELb0ES3_PKdPddZZZN2at6native31launch_logcumsumexp_cuda_kernelERKNSB_10TensorBaseESF_lENKUlvE_clEvENKUlvE_clEvEUlddE_dEEDaPvRmT3_T4_T5_mT6_P12ihipStream_tbENKUlT_T0_E_clISt17integral_constantIbLb0EESV_IbLb1EEEEDaSR_SS_EUlSR_E0_NS1_11comp_targetILNS1_3genE10ELNS1_11target_archE1201ELNS1_3gpuE5ELNS1_3repE0EEENS1_30default_config_static_selectorELNS0_4arch9wavefront6targetE0EEEvT1_
    .private_segment_fixed_size: 0
    .sgpr_count:     0
    .sgpr_spill_count: 0
    .symbol:         _ZN7rocprim17ROCPRIM_400000_NS6detail17trampoline_kernelINS0_14default_configENS1_20scan_config_selectorIdEEZZNS1_9scan_implILNS1_25lookback_scan_determinismE0ELb0ELb0ES3_PKdPddZZZN2at6native31launch_logcumsumexp_cuda_kernelERKNSB_10TensorBaseESF_lENKUlvE_clEvENKUlvE_clEvEUlddE_dEEDaPvRmT3_T4_T5_mT6_P12ihipStream_tbENKUlT_T0_E_clISt17integral_constantIbLb0EESV_IbLb1EEEEDaSR_SS_EUlSR_E0_NS1_11comp_targetILNS1_3genE10ELNS1_11target_archE1201ELNS1_3gpuE5ELNS1_3repE0EEENS1_30default_config_static_selectorELNS0_4arch9wavefront6targetE0EEEvT1_.kd
    .uniform_work_group_size: 1
    .uses_dynamic_stack: false
    .vgpr_count:     0
    .vgpr_spill_count: 0
    .wavefront_size: 32
    .workgroup_processor_mode: 1
  - .args:
      - .offset:         0
        .size:           40
        .value_kind:     by_value
    .group_segment_fixed_size: 0
    .kernarg_segment_align: 8
    .kernarg_segment_size: 40
    .language:       OpenCL C
    .language_version:
      - 2
      - 0
    .max_flat_workgroup_size: 256
    .name:           _ZN7rocprim17ROCPRIM_400000_NS6detail17trampoline_kernelINS0_14default_configENS1_20scan_config_selectorIdEEZZNS1_9scan_implILNS1_25lookback_scan_determinismE0ELb0ELb0ES3_PKdPddZZZN2at6native31launch_logcumsumexp_cuda_kernelERKNSB_10TensorBaseESF_lENKUlvE_clEvENKUlvE_clEvEUlddE_dEEDaPvRmT3_T4_T5_mT6_P12ihipStream_tbENKUlT_T0_E_clISt17integral_constantIbLb0EESV_IbLb1EEEEDaSR_SS_EUlSR_E0_NS1_11comp_targetILNS1_3genE10ELNS1_11target_archE1200ELNS1_3gpuE4ELNS1_3repE0EEENS1_30default_config_static_selectorELNS0_4arch9wavefront6targetE0EEEvT1_
    .private_segment_fixed_size: 0
    .sgpr_count:     0
    .sgpr_spill_count: 0
    .symbol:         _ZN7rocprim17ROCPRIM_400000_NS6detail17trampoline_kernelINS0_14default_configENS1_20scan_config_selectorIdEEZZNS1_9scan_implILNS1_25lookback_scan_determinismE0ELb0ELb0ES3_PKdPddZZZN2at6native31launch_logcumsumexp_cuda_kernelERKNSB_10TensorBaseESF_lENKUlvE_clEvENKUlvE_clEvEUlddE_dEEDaPvRmT3_T4_T5_mT6_P12ihipStream_tbENKUlT_T0_E_clISt17integral_constantIbLb0EESV_IbLb1EEEEDaSR_SS_EUlSR_E0_NS1_11comp_targetILNS1_3genE10ELNS1_11target_archE1200ELNS1_3gpuE4ELNS1_3repE0EEENS1_30default_config_static_selectorELNS0_4arch9wavefront6targetE0EEEvT1_.kd
    .uniform_work_group_size: 1
    .uses_dynamic_stack: false
    .vgpr_count:     0
    .vgpr_spill_count: 0
    .wavefront_size: 32
    .workgroup_processor_mode: 1
  - .args:
      - .offset:         0
        .size:           40
        .value_kind:     by_value
    .group_segment_fixed_size: 33792
    .kernarg_segment_align: 8
    .kernarg_segment_size: 40
    .language:       OpenCL C
    .language_version:
      - 2
      - 0
    .max_flat_workgroup_size: 256
    .name:           _ZN7rocprim17ROCPRIM_400000_NS6detail17trampoline_kernelINS0_14default_configENS1_20scan_config_selectorIdEEZZNS1_9scan_implILNS1_25lookback_scan_determinismE0ELb0ELb0ES3_PKdPddZZZN2at6native31launch_logcumsumexp_cuda_kernelERKNSB_10TensorBaseESF_lENKUlvE_clEvENKUlvE_clEvEUlddE_dEEDaPvRmT3_T4_T5_mT6_P12ihipStream_tbENKUlT_T0_E_clISt17integral_constantIbLb0EESV_IbLb1EEEEDaSR_SS_EUlSR_E0_NS1_11comp_targetILNS1_3genE9ELNS1_11target_archE1100ELNS1_3gpuE3ELNS1_3repE0EEENS1_30default_config_static_selectorELNS0_4arch9wavefront6targetE0EEEvT1_
    .private_segment_fixed_size: 0
    .sgpr_count:     50
    .sgpr_spill_count: 0
    .symbol:         _ZN7rocprim17ROCPRIM_400000_NS6detail17trampoline_kernelINS0_14default_configENS1_20scan_config_selectorIdEEZZNS1_9scan_implILNS1_25lookback_scan_determinismE0ELb0ELb0ES3_PKdPddZZZN2at6native31launch_logcumsumexp_cuda_kernelERKNSB_10TensorBaseESF_lENKUlvE_clEvENKUlvE_clEvEUlddE_dEEDaPvRmT3_T4_T5_mT6_P12ihipStream_tbENKUlT_T0_E_clISt17integral_constantIbLb0EESV_IbLb1EEEEDaSR_SS_EUlSR_E0_NS1_11comp_targetILNS1_3genE9ELNS1_11target_archE1100ELNS1_3gpuE3ELNS1_3repE0EEENS1_30default_config_static_selectorELNS0_4arch9wavefront6targetE0EEEvT1_.kd
    .uniform_work_group_size: 1
    .uses_dynamic_stack: false
    .vgpr_count:     119
    .vgpr_spill_count: 0
    .wavefront_size: 32
    .workgroup_processor_mode: 1
  - .args:
      - .offset:         0
        .size:           40
        .value_kind:     by_value
    .group_segment_fixed_size: 0
    .kernarg_segment_align: 8
    .kernarg_segment_size: 40
    .language:       OpenCL C
    .language_version:
      - 2
      - 0
    .max_flat_workgroup_size: 128
    .name:           _ZN7rocprim17ROCPRIM_400000_NS6detail17trampoline_kernelINS0_14default_configENS1_20scan_config_selectorIdEEZZNS1_9scan_implILNS1_25lookback_scan_determinismE0ELb0ELb0ES3_PKdPddZZZN2at6native31launch_logcumsumexp_cuda_kernelERKNSB_10TensorBaseESF_lENKUlvE_clEvENKUlvE_clEvEUlddE_dEEDaPvRmT3_T4_T5_mT6_P12ihipStream_tbENKUlT_T0_E_clISt17integral_constantIbLb0EESV_IbLb1EEEEDaSR_SS_EUlSR_E0_NS1_11comp_targetILNS1_3genE8ELNS1_11target_archE1030ELNS1_3gpuE2ELNS1_3repE0EEENS1_30default_config_static_selectorELNS0_4arch9wavefront6targetE0EEEvT1_
    .private_segment_fixed_size: 0
    .sgpr_count:     0
    .sgpr_spill_count: 0
    .symbol:         _ZN7rocprim17ROCPRIM_400000_NS6detail17trampoline_kernelINS0_14default_configENS1_20scan_config_selectorIdEEZZNS1_9scan_implILNS1_25lookback_scan_determinismE0ELb0ELb0ES3_PKdPddZZZN2at6native31launch_logcumsumexp_cuda_kernelERKNSB_10TensorBaseESF_lENKUlvE_clEvENKUlvE_clEvEUlddE_dEEDaPvRmT3_T4_T5_mT6_P12ihipStream_tbENKUlT_T0_E_clISt17integral_constantIbLb0EESV_IbLb1EEEEDaSR_SS_EUlSR_E0_NS1_11comp_targetILNS1_3genE8ELNS1_11target_archE1030ELNS1_3gpuE2ELNS1_3repE0EEENS1_30default_config_static_selectorELNS0_4arch9wavefront6targetE0EEEvT1_.kd
    .uniform_work_group_size: 1
    .uses_dynamic_stack: false
    .vgpr_count:     0
    .vgpr_spill_count: 0
    .wavefront_size: 32
    .workgroup_processor_mode: 1
  - .args:
      - .address_space:  global
        .offset:         0
        .size:           8
        .value_kind:     global_buffer
      - .address_space:  global
        .offset:         8
        .size:           8
        .value_kind:     global_buffer
      - .offset:         16
        .size:           4
        .value_kind:     by_value
      - .offset:         20
        .size:           4
        .value_kind:     by_value
      - .offset:         24
        .size:           4
        .value_kind:     by_value
      - .offset:         32
        .size:           8
        .value_kind:     by_value
      - .offset:         40
        .size:           1
        .value_kind:     by_value
      - .offset:         48
        .size:           4
        .value_kind:     hidden_block_count_x
      - .offset:         52
        .size:           4
        .value_kind:     hidden_block_count_y
      - .offset:         56
        .size:           4
        .value_kind:     hidden_block_count_z
      - .offset:         60
        .size:           2
        .value_kind:     hidden_group_size_x
      - .offset:         62
        .size:           2
        .value_kind:     hidden_group_size_y
      - .offset:         64
        .size:           2
        .value_kind:     hidden_group_size_z
      - .offset:         66
        .size:           2
        .value_kind:     hidden_remainder_x
      - .offset:         68
        .size:           2
        .value_kind:     hidden_remainder_y
      - .offset:         70
        .size:           2
        .value_kind:     hidden_remainder_z
      - .offset:         88
        .size:           8
        .value_kind:     hidden_global_offset_x
      - .offset:         96
        .size:           8
        .value_kind:     hidden_global_offset_y
      - .offset:         104
        .size:           8
        .value_kind:     hidden_global_offset_z
      - .offset:         112
        .size:           2
        .value_kind:     hidden_grid_dims
      - .offset:         168
        .size:           4
        .value_kind:     hidden_dynamic_lds_size
    .group_segment_fixed_size: 0
    .kernarg_segment_align: 8
    .kernarg_segment_size: 304
    .language:       OpenCL C
    .language_version:
      - 2
      - 0
    .max_flat_workgroup_size: 1024
    .name:           _ZN2at6native32tensor_kernel_scan_innermost_dimIdZZZNS0_31launch_logcumsumexp_cuda_kernelERKNS_10TensorBaseES4_lENKUlvE_clEvENKUlvE_clEvEUlddE_EEvPT_PKS8_jjjS8_T0_
    .private_segment_fixed_size: 0
    .sgpr_count:     77
    .sgpr_spill_count: 0
    .symbol:         _ZN2at6native32tensor_kernel_scan_innermost_dimIdZZZNS0_31launch_logcumsumexp_cuda_kernelERKNS_10TensorBaseES4_lENKUlvE_clEvENKUlvE_clEvEUlddE_EEvPT_PKS8_jjjS8_T0_.kd
    .uniform_work_group_size: 1
    .uses_dynamic_stack: false
    .vgpr_count:     44
    .vgpr_spill_count: 0
    .wavefront_size: 32
    .workgroup_processor_mode: 1
  - .args:
      - .address_space:  global
        .offset:         0
        .size:           8
        .value_kind:     global_buffer
      - .address_space:  global
        .offset:         8
        .size:           8
        .value_kind:     global_buffer
      - .offset:         16
        .size:           4
        .value_kind:     by_value
      - .offset:         20
        .size:           4
        .value_kind:     by_value
      - .offset:         24
        .size:           4
        .value_kind:     by_value
      - .offset:         32
        .size:           8
        .value_kind:     by_value
      - .offset:         40
        .size:           1
        .value_kind:     by_value
      - .offset:         48
        .size:           4
        .value_kind:     hidden_block_count_x
      - .offset:         52
        .size:           4
        .value_kind:     hidden_block_count_y
      - .offset:         56
        .size:           4
        .value_kind:     hidden_block_count_z
      - .offset:         60
        .size:           2
        .value_kind:     hidden_group_size_x
      - .offset:         62
        .size:           2
        .value_kind:     hidden_group_size_y
      - .offset:         64
        .size:           2
        .value_kind:     hidden_group_size_z
      - .offset:         66
        .size:           2
        .value_kind:     hidden_remainder_x
      - .offset:         68
        .size:           2
        .value_kind:     hidden_remainder_y
      - .offset:         70
        .size:           2
        .value_kind:     hidden_remainder_z
      - .offset:         88
        .size:           8
        .value_kind:     hidden_global_offset_x
      - .offset:         96
        .size:           8
        .value_kind:     hidden_global_offset_y
      - .offset:         104
        .size:           8
        .value_kind:     hidden_global_offset_z
      - .offset:         112
        .size:           2
        .value_kind:     hidden_grid_dims
    .group_segment_fixed_size: 0
    .kernarg_segment_align: 8
    .kernarg_segment_size: 304
    .language:       OpenCL C
    .language_version:
      - 2
      - 0
    .max_flat_workgroup_size: 1024
    .name:           _ZN2at6native28tensor_kernel_scan_outer_dimIdjZZZNS0_31launch_logcumsumexp_cuda_kernelERKNS_10TensorBaseES4_lENKUlvE_clEvENKUlvE_clEvEUlddE_EEvPT_PKS8_jjjS8_T1_
    .private_segment_fixed_size: 0
    .sgpr_count:     78
    .sgpr_spill_count: 0
    .symbol:         _ZN2at6native28tensor_kernel_scan_outer_dimIdjZZZNS0_31launch_logcumsumexp_cuda_kernelERKNS_10TensorBaseES4_lENKUlvE_clEvENKUlvE_clEvEUlddE_EEvPT_PKS8_jjjS8_T1_.kd
    .uniform_work_group_size: 1
    .uses_dynamic_stack: false
    .vgpr_count:     32
    .vgpr_spill_count: 0
    .wavefront_size: 32
    .workgroup_processor_mode: 1
  - .args:
      - .address_space:  global
        .offset:         0
        .size:           8
        .value_kind:     global_buffer
      - .address_space:  global
        .offset:         8
        .size:           8
        .value_kind:     global_buffer
      - .offset:         16
        .size:           4
        .value_kind:     by_value
      - .offset:         20
        .size:           4
        .value_kind:     by_value
      - .offset:         24
        .size:           4
        .value_kind:     by_value
      - .offset:         32
        .size:           8
        .value_kind:     by_value
      - .offset:         40
        .size:           1
        .value_kind:     by_value
      - .offset:         48
        .size:           4
        .value_kind:     hidden_block_count_x
      - .offset:         52
        .size:           4
        .value_kind:     hidden_block_count_y
      - .offset:         56
        .size:           4
        .value_kind:     hidden_block_count_z
      - .offset:         60
        .size:           2
        .value_kind:     hidden_group_size_x
      - .offset:         62
        .size:           2
        .value_kind:     hidden_group_size_y
      - .offset:         64
        .size:           2
        .value_kind:     hidden_group_size_z
      - .offset:         66
        .size:           2
        .value_kind:     hidden_remainder_x
      - .offset:         68
        .size:           2
        .value_kind:     hidden_remainder_y
      - .offset:         70
        .size:           2
        .value_kind:     hidden_remainder_z
      - .offset:         88
        .size:           8
        .value_kind:     hidden_global_offset_x
      - .offset:         96
        .size:           8
        .value_kind:     hidden_global_offset_y
      - .offset:         104
        .size:           8
        .value_kind:     hidden_global_offset_z
      - .offset:         112
        .size:           2
        .value_kind:     hidden_grid_dims
    .group_segment_fixed_size: 0
    .kernarg_segment_align: 8
    .kernarg_segment_size: 304
    .language:       OpenCL C
    .language_version:
      - 2
      - 0
    .max_flat_workgroup_size: 1024
    .name:           _ZN2at6native28tensor_kernel_scan_outer_dimIdmZZZNS0_31launch_logcumsumexp_cuda_kernelERKNS_10TensorBaseES4_lENKUlvE_clEvENKUlvE_clEvEUlddE_EEvPT_PKS8_jjjS8_T1_
    .private_segment_fixed_size: 0
    .sgpr_count:     77
    .sgpr_spill_count: 0
    .symbol:         _ZN2at6native28tensor_kernel_scan_outer_dimIdmZZZNS0_31launch_logcumsumexp_cuda_kernelERKNS_10TensorBaseES4_lENKUlvE_clEvENKUlvE_clEvEUlddE_EEvPT_PKS8_jjjS8_T1_.kd
    .uniform_work_group_size: 1
    .uses_dynamic_stack: false
    .vgpr_count:     32
    .vgpr_spill_count: 0
    .wavefront_size: 32
    .workgroup_processor_mode: 1
  - .args:
      - .address_space:  global
        .offset:         0
        .size:           8
        .value_kind:     global_buffer
      - .offset:         8
        .size:           4
        .value_kind:     by_value
      - .offset:         12
        .size:           1
        .value_kind:     by_value
      - .offset:         16
        .size:           4
        .value_kind:     by_value
      - .address_space:  global
        .offset:         24
        .size:           8
        .value_kind:     global_buffer
      - .offset:         32
        .size:           4
        .value_kind:     hidden_block_count_x
      - .offset:         36
        .size:           4
        .value_kind:     hidden_block_count_y
      - .offset:         40
        .size:           4
        .value_kind:     hidden_block_count_z
      - .offset:         44
        .size:           2
        .value_kind:     hidden_group_size_x
      - .offset:         46
        .size:           2
        .value_kind:     hidden_group_size_y
      - .offset:         48
        .size:           2
        .value_kind:     hidden_group_size_z
      - .offset:         50
        .size:           2
        .value_kind:     hidden_remainder_x
      - .offset:         52
        .size:           2
        .value_kind:     hidden_remainder_y
      - .offset:         54
        .size:           2
        .value_kind:     hidden_remainder_z
      - .offset:         72
        .size:           8
        .value_kind:     hidden_global_offset_x
      - .offset:         80
        .size:           8
        .value_kind:     hidden_global_offset_y
      - .offset:         88
        .size:           8
        .value_kind:     hidden_global_offset_z
      - .offset:         96
        .size:           2
        .value_kind:     hidden_grid_dims
    .group_segment_fixed_size: 0
    .kernarg_segment_align: 8
    .kernarg_segment_size: 288
    .language:       OpenCL C
    .language_version:
      - 2
      - 0
    .max_flat_workgroup_size: 256
    .name:           _ZN7rocprim17ROCPRIM_400000_NS6detail31init_lookback_scan_state_kernelINS1_19lookback_scan_stateIfLb0ELb1EEENS1_16block_id_wrapperIjLb0EEEEEvT_jT0_jPNS7_10value_typeE
    .private_segment_fixed_size: 0
    .sgpr_count:     18
    .sgpr_spill_count: 0
    .symbol:         _ZN7rocprim17ROCPRIM_400000_NS6detail31init_lookback_scan_state_kernelINS1_19lookback_scan_stateIfLb0ELb1EEENS1_16block_id_wrapperIjLb0EEEEEvT_jT0_jPNS7_10value_typeE.kd
    .uniform_work_group_size: 1
    .uses_dynamic_stack: false
    .vgpr_count:     6
    .vgpr_spill_count: 0
    .wavefront_size: 32
    .workgroup_processor_mode: 1
  - .args:
      - .offset:         0
        .size:           96
        .value_kind:     by_value
    .group_segment_fixed_size: 0
    .kernarg_segment_align: 8
    .kernarg_segment_size: 96
    .language:       OpenCL C
    .language_version:
      - 2
      - 0
    .max_flat_workgroup_size: 256
    .name:           _ZN7rocprim17ROCPRIM_400000_NS6detail17trampoline_kernelINS0_14default_configENS1_20scan_config_selectorIfEEZZNS1_9scan_implILNS1_25lookback_scan_determinismE0ELb0ELb0ES3_PKfPffZZZN2at6native31launch_logcumsumexp_cuda_kernelERKNSB_10TensorBaseESF_lENKUlvE_clEvENKUlvE0_clEvEUlffE_fEEDaPvRmT3_T4_T5_mT6_P12ihipStream_tbENKUlT_T0_E_clISt17integral_constantIbLb0EESW_EEDaSR_SS_EUlSR_E_NS1_11comp_targetILNS1_3genE0ELNS1_11target_archE4294967295ELNS1_3gpuE0ELNS1_3repE0EEENS1_30default_config_static_selectorELNS0_4arch9wavefront6targetE0EEEvT1_
    .private_segment_fixed_size: 0
    .sgpr_count:     0
    .sgpr_spill_count: 0
    .symbol:         _ZN7rocprim17ROCPRIM_400000_NS6detail17trampoline_kernelINS0_14default_configENS1_20scan_config_selectorIfEEZZNS1_9scan_implILNS1_25lookback_scan_determinismE0ELb0ELb0ES3_PKfPffZZZN2at6native31launch_logcumsumexp_cuda_kernelERKNSB_10TensorBaseESF_lENKUlvE_clEvENKUlvE0_clEvEUlffE_fEEDaPvRmT3_T4_T5_mT6_P12ihipStream_tbENKUlT_T0_E_clISt17integral_constantIbLb0EESW_EEDaSR_SS_EUlSR_E_NS1_11comp_targetILNS1_3genE0ELNS1_11target_archE4294967295ELNS1_3gpuE0ELNS1_3repE0EEENS1_30default_config_static_selectorELNS0_4arch9wavefront6targetE0EEEvT1_.kd
    .uniform_work_group_size: 1
    .uses_dynamic_stack: false
    .vgpr_count:     0
    .vgpr_spill_count: 0
    .wavefront_size: 32
    .workgroup_processor_mode: 1
  - .args:
      - .offset:         0
        .size:           96
        .value_kind:     by_value
    .group_segment_fixed_size: 0
    .kernarg_segment_align: 8
    .kernarg_segment_size: 96
    .language:       OpenCL C
    .language_version:
      - 2
      - 0
    .max_flat_workgroup_size: 256
    .name:           _ZN7rocprim17ROCPRIM_400000_NS6detail17trampoline_kernelINS0_14default_configENS1_20scan_config_selectorIfEEZZNS1_9scan_implILNS1_25lookback_scan_determinismE0ELb0ELb0ES3_PKfPffZZZN2at6native31launch_logcumsumexp_cuda_kernelERKNSB_10TensorBaseESF_lENKUlvE_clEvENKUlvE0_clEvEUlffE_fEEDaPvRmT3_T4_T5_mT6_P12ihipStream_tbENKUlT_T0_E_clISt17integral_constantIbLb0EESW_EEDaSR_SS_EUlSR_E_NS1_11comp_targetILNS1_3genE5ELNS1_11target_archE942ELNS1_3gpuE9ELNS1_3repE0EEENS1_30default_config_static_selectorELNS0_4arch9wavefront6targetE0EEEvT1_
    .private_segment_fixed_size: 0
    .sgpr_count:     0
    .sgpr_spill_count: 0
    .symbol:         _ZN7rocprim17ROCPRIM_400000_NS6detail17trampoline_kernelINS0_14default_configENS1_20scan_config_selectorIfEEZZNS1_9scan_implILNS1_25lookback_scan_determinismE0ELb0ELb0ES3_PKfPffZZZN2at6native31launch_logcumsumexp_cuda_kernelERKNSB_10TensorBaseESF_lENKUlvE_clEvENKUlvE0_clEvEUlffE_fEEDaPvRmT3_T4_T5_mT6_P12ihipStream_tbENKUlT_T0_E_clISt17integral_constantIbLb0EESW_EEDaSR_SS_EUlSR_E_NS1_11comp_targetILNS1_3genE5ELNS1_11target_archE942ELNS1_3gpuE9ELNS1_3repE0EEENS1_30default_config_static_selectorELNS0_4arch9wavefront6targetE0EEEvT1_.kd
    .uniform_work_group_size: 1
    .uses_dynamic_stack: false
    .vgpr_count:     0
    .vgpr_spill_count: 0
    .wavefront_size: 32
    .workgroup_processor_mode: 1
  - .args:
      - .offset:         0
        .size:           96
        .value_kind:     by_value
    .group_segment_fixed_size: 0
    .kernarg_segment_align: 8
    .kernarg_segment_size: 96
    .language:       OpenCL C
    .language_version:
      - 2
      - 0
    .max_flat_workgroup_size: 128
    .name:           _ZN7rocprim17ROCPRIM_400000_NS6detail17trampoline_kernelINS0_14default_configENS1_20scan_config_selectorIfEEZZNS1_9scan_implILNS1_25lookback_scan_determinismE0ELb0ELb0ES3_PKfPffZZZN2at6native31launch_logcumsumexp_cuda_kernelERKNSB_10TensorBaseESF_lENKUlvE_clEvENKUlvE0_clEvEUlffE_fEEDaPvRmT3_T4_T5_mT6_P12ihipStream_tbENKUlT_T0_E_clISt17integral_constantIbLb0EESW_EEDaSR_SS_EUlSR_E_NS1_11comp_targetILNS1_3genE4ELNS1_11target_archE910ELNS1_3gpuE8ELNS1_3repE0EEENS1_30default_config_static_selectorELNS0_4arch9wavefront6targetE0EEEvT1_
    .private_segment_fixed_size: 0
    .sgpr_count:     0
    .sgpr_spill_count: 0
    .symbol:         _ZN7rocprim17ROCPRIM_400000_NS6detail17trampoline_kernelINS0_14default_configENS1_20scan_config_selectorIfEEZZNS1_9scan_implILNS1_25lookback_scan_determinismE0ELb0ELb0ES3_PKfPffZZZN2at6native31launch_logcumsumexp_cuda_kernelERKNSB_10TensorBaseESF_lENKUlvE_clEvENKUlvE0_clEvEUlffE_fEEDaPvRmT3_T4_T5_mT6_P12ihipStream_tbENKUlT_T0_E_clISt17integral_constantIbLb0EESW_EEDaSR_SS_EUlSR_E_NS1_11comp_targetILNS1_3genE4ELNS1_11target_archE910ELNS1_3gpuE8ELNS1_3repE0EEENS1_30default_config_static_selectorELNS0_4arch9wavefront6targetE0EEEvT1_.kd
    .uniform_work_group_size: 1
    .uses_dynamic_stack: false
    .vgpr_count:     0
    .vgpr_spill_count: 0
    .wavefront_size: 32
    .workgroup_processor_mode: 1
  - .args:
      - .offset:         0
        .size:           96
        .value_kind:     by_value
    .group_segment_fixed_size: 0
    .kernarg_segment_align: 8
    .kernarg_segment_size: 96
    .language:       OpenCL C
    .language_version:
      - 2
      - 0
    .max_flat_workgroup_size: 256
    .name:           _ZN7rocprim17ROCPRIM_400000_NS6detail17trampoline_kernelINS0_14default_configENS1_20scan_config_selectorIfEEZZNS1_9scan_implILNS1_25lookback_scan_determinismE0ELb0ELb0ES3_PKfPffZZZN2at6native31launch_logcumsumexp_cuda_kernelERKNSB_10TensorBaseESF_lENKUlvE_clEvENKUlvE0_clEvEUlffE_fEEDaPvRmT3_T4_T5_mT6_P12ihipStream_tbENKUlT_T0_E_clISt17integral_constantIbLb0EESW_EEDaSR_SS_EUlSR_E_NS1_11comp_targetILNS1_3genE3ELNS1_11target_archE908ELNS1_3gpuE7ELNS1_3repE0EEENS1_30default_config_static_selectorELNS0_4arch9wavefront6targetE0EEEvT1_
    .private_segment_fixed_size: 0
    .sgpr_count:     0
    .sgpr_spill_count: 0
    .symbol:         _ZN7rocprim17ROCPRIM_400000_NS6detail17trampoline_kernelINS0_14default_configENS1_20scan_config_selectorIfEEZZNS1_9scan_implILNS1_25lookback_scan_determinismE0ELb0ELb0ES3_PKfPffZZZN2at6native31launch_logcumsumexp_cuda_kernelERKNSB_10TensorBaseESF_lENKUlvE_clEvENKUlvE0_clEvEUlffE_fEEDaPvRmT3_T4_T5_mT6_P12ihipStream_tbENKUlT_T0_E_clISt17integral_constantIbLb0EESW_EEDaSR_SS_EUlSR_E_NS1_11comp_targetILNS1_3genE3ELNS1_11target_archE908ELNS1_3gpuE7ELNS1_3repE0EEENS1_30default_config_static_selectorELNS0_4arch9wavefront6targetE0EEEvT1_.kd
    .uniform_work_group_size: 1
    .uses_dynamic_stack: false
    .vgpr_count:     0
    .vgpr_spill_count: 0
    .wavefront_size: 32
    .workgroup_processor_mode: 1
  - .args:
      - .offset:         0
        .size:           96
        .value_kind:     by_value
    .group_segment_fixed_size: 0
    .kernarg_segment_align: 8
    .kernarg_segment_size: 96
    .language:       OpenCL C
    .language_version:
      - 2
      - 0
    .max_flat_workgroup_size: 256
    .name:           _ZN7rocprim17ROCPRIM_400000_NS6detail17trampoline_kernelINS0_14default_configENS1_20scan_config_selectorIfEEZZNS1_9scan_implILNS1_25lookback_scan_determinismE0ELb0ELb0ES3_PKfPffZZZN2at6native31launch_logcumsumexp_cuda_kernelERKNSB_10TensorBaseESF_lENKUlvE_clEvENKUlvE0_clEvEUlffE_fEEDaPvRmT3_T4_T5_mT6_P12ihipStream_tbENKUlT_T0_E_clISt17integral_constantIbLb0EESW_EEDaSR_SS_EUlSR_E_NS1_11comp_targetILNS1_3genE2ELNS1_11target_archE906ELNS1_3gpuE6ELNS1_3repE0EEENS1_30default_config_static_selectorELNS0_4arch9wavefront6targetE0EEEvT1_
    .private_segment_fixed_size: 0
    .sgpr_count:     0
    .sgpr_spill_count: 0
    .symbol:         _ZN7rocprim17ROCPRIM_400000_NS6detail17trampoline_kernelINS0_14default_configENS1_20scan_config_selectorIfEEZZNS1_9scan_implILNS1_25lookback_scan_determinismE0ELb0ELb0ES3_PKfPffZZZN2at6native31launch_logcumsumexp_cuda_kernelERKNSB_10TensorBaseESF_lENKUlvE_clEvENKUlvE0_clEvEUlffE_fEEDaPvRmT3_T4_T5_mT6_P12ihipStream_tbENKUlT_T0_E_clISt17integral_constantIbLb0EESW_EEDaSR_SS_EUlSR_E_NS1_11comp_targetILNS1_3genE2ELNS1_11target_archE906ELNS1_3gpuE6ELNS1_3repE0EEENS1_30default_config_static_selectorELNS0_4arch9wavefront6targetE0EEEvT1_.kd
    .uniform_work_group_size: 1
    .uses_dynamic_stack: false
    .vgpr_count:     0
    .vgpr_spill_count: 0
    .wavefront_size: 32
    .workgroup_processor_mode: 1
  - .args:
      - .offset:         0
        .size:           96
        .value_kind:     by_value
    .group_segment_fixed_size: 0
    .kernarg_segment_align: 8
    .kernarg_segment_size: 96
    .language:       OpenCL C
    .language_version:
      - 2
      - 0
    .max_flat_workgroup_size: 256
    .name:           _ZN7rocprim17ROCPRIM_400000_NS6detail17trampoline_kernelINS0_14default_configENS1_20scan_config_selectorIfEEZZNS1_9scan_implILNS1_25lookback_scan_determinismE0ELb0ELb0ES3_PKfPffZZZN2at6native31launch_logcumsumexp_cuda_kernelERKNSB_10TensorBaseESF_lENKUlvE_clEvENKUlvE0_clEvEUlffE_fEEDaPvRmT3_T4_T5_mT6_P12ihipStream_tbENKUlT_T0_E_clISt17integral_constantIbLb0EESW_EEDaSR_SS_EUlSR_E_NS1_11comp_targetILNS1_3genE10ELNS1_11target_archE1201ELNS1_3gpuE5ELNS1_3repE0EEENS1_30default_config_static_selectorELNS0_4arch9wavefront6targetE0EEEvT1_
    .private_segment_fixed_size: 0
    .sgpr_count:     0
    .sgpr_spill_count: 0
    .symbol:         _ZN7rocprim17ROCPRIM_400000_NS6detail17trampoline_kernelINS0_14default_configENS1_20scan_config_selectorIfEEZZNS1_9scan_implILNS1_25lookback_scan_determinismE0ELb0ELb0ES3_PKfPffZZZN2at6native31launch_logcumsumexp_cuda_kernelERKNSB_10TensorBaseESF_lENKUlvE_clEvENKUlvE0_clEvEUlffE_fEEDaPvRmT3_T4_T5_mT6_P12ihipStream_tbENKUlT_T0_E_clISt17integral_constantIbLb0EESW_EEDaSR_SS_EUlSR_E_NS1_11comp_targetILNS1_3genE10ELNS1_11target_archE1201ELNS1_3gpuE5ELNS1_3repE0EEENS1_30default_config_static_selectorELNS0_4arch9wavefront6targetE0EEEvT1_.kd
    .uniform_work_group_size: 1
    .uses_dynamic_stack: false
    .vgpr_count:     0
    .vgpr_spill_count: 0
    .wavefront_size: 32
    .workgroup_processor_mode: 1
  - .args:
      - .offset:         0
        .size:           96
        .value_kind:     by_value
    .group_segment_fixed_size: 0
    .kernarg_segment_align: 8
    .kernarg_segment_size: 96
    .language:       OpenCL C
    .language_version:
      - 2
      - 0
    .max_flat_workgroup_size: 256
    .name:           _ZN7rocprim17ROCPRIM_400000_NS6detail17trampoline_kernelINS0_14default_configENS1_20scan_config_selectorIfEEZZNS1_9scan_implILNS1_25lookback_scan_determinismE0ELb0ELb0ES3_PKfPffZZZN2at6native31launch_logcumsumexp_cuda_kernelERKNSB_10TensorBaseESF_lENKUlvE_clEvENKUlvE0_clEvEUlffE_fEEDaPvRmT3_T4_T5_mT6_P12ihipStream_tbENKUlT_T0_E_clISt17integral_constantIbLb0EESW_EEDaSR_SS_EUlSR_E_NS1_11comp_targetILNS1_3genE10ELNS1_11target_archE1200ELNS1_3gpuE4ELNS1_3repE0EEENS1_30default_config_static_selectorELNS0_4arch9wavefront6targetE0EEEvT1_
    .private_segment_fixed_size: 0
    .sgpr_count:     0
    .sgpr_spill_count: 0
    .symbol:         _ZN7rocprim17ROCPRIM_400000_NS6detail17trampoline_kernelINS0_14default_configENS1_20scan_config_selectorIfEEZZNS1_9scan_implILNS1_25lookback_scan_determinismE0ELb0ELb0ES3_PKfPffZZZN2at6native31launch_logcumsumexp_cuda_kernelERKNSB_10TensorBaseESF_lENKUlvE_clEvENKUlvE0_clEvEUlffE_fEEDaPvRmT3_T4_T5_mT6_P12ihipStream_tbENKUlT_T0_E_clISt17integral_constantIbLb0EESW_EEDaSR_SS_EUlSR_E_NS1_11comp_targetILNS1_3genE10ELNS1_11target_archE1200ELNS1_3gpuE4ELNS1_3repE0EEENS1_30default_config_static_selectorELNS0_4arch9wavefront6targetE0EEEvT1_.kd
    .uniform_work_group_size: 1
    .uses_dynamic_stack: false
    .vgpr_count:     0
    .vgpr_spill_count: 0
    .wavefront_size: 32
    .workgroup_processor_mode: 1
  - .args:
      - .offset:         0
        .size:           96
        .value_kind:     by_value
    .group_segment_fixed_size: 4224
    .kernarg_segment_align: 8
    .kernarg_segment_size: 96
    .language:       OpenCL C
    .language_version:
      - 2
      - 0
    .max_flat_workgroup_size: 256
    .name:           _ZN7rocprim17ROCPRIM_400000_NS6detail17trampoline_kernelINS0_14default_configENS1_20scan_config_selectorIfEEZZNS1_9scan_implILNS1_25lookback_scan_determinismE0ELb0ELb0ES3_PKfPffZZZN2at6native31launch_logcumsumexp_cuda_kernelERKNSB_10TensorBaseESF_lENKUlvE_clEvENKUlvE0_clEvEUlffE_fEEDaPvRmT3_T4_T5_mT6_P12ihipStream_tbENKUlT_T0_E_clISt17integral_constantIbLb0EESW_EEDaSR_SS_EUlSR_E_NS1_11comp_targetILNS1_3genE9ELNS1_11target_archE1100ELNS1_3gpuE3ELNS1_3repE0EEENS1_30default_config_static_selectorELNS0_4arch9wavefront6targetE0EEEvT1_
    .private_segment_fixed_size: 0
    .sgpr_count:     29
    .sgpr_spill_count: 0
    .symbol:         _ZN7rocprim17ROCPRIM_400000_NS6detail17trampoline_kernelINS0_14default_configENS1_20scan_config_selectorIfEEZZNS1_9scan_implILNS1_25lookback_scan_determinismE0ELb0ELb0ES3_PKfPffZZZN2at6native31launch_logcumsumexp_cuda_kernelERKNSB_10TensorBaseESF_lENKUlvE_clEvENKUlvE0_clEvEUlffE_fEEDaPvRmT3_T4_T5_mT6_P12ihipStream_tbENKUlT_T0_E_clISt17integral_constantIbLb0EESW_EEDaSR_SS_EUlSR_E_NS1_11comp_targetILNS1_3genE9ELNS1_11target_archE1100ELNS1_3gpuE3ELNS1_3repE0EEENS1_30default_config_static_selectorELNS0_4arch9wavefront6targetE0EEEvT1_.kd
    .uniform_work_group_size: 1
    .uses_dynamic_stack: false
    .vgpr_count:     46
    .vgpr_spill_count: 0
    .wavefront_size: 32
    .workgroup_processor_mode: 1
  - .args:
      - .offset:         0
        .size:           96
        .value_kind:     by_value
    .group_segment_fixed_size: 0
    .kernarg_segment_align: 8
    .kernarg_segment_size: 96
    .language:       OpenCL C
    .language_version:
      - 2
      - 0
    .max_flat_workgroup_size: 64
    .name:           _ZN7rocprim17ROCPRIM_400000_NS6detail17trampoline_kernelINS0_14default_configENS1_20scan_config_selectorIfEEZZNS1_9scan_implILNS1_25lookback_scan_determinismE0ELb0ELb0ES3_PKfPffZZZN2at6native31launch_logcumsumexp_cuda_kernelERKNSB_10TensorBaseESF_lENKUlvE_clEvENKUlvE0_clEvEUlffE_fEEDaPvRmT3_T4_T5_mT6_P12ihipStream_tbENKUlT_T0_E_clISt17integral_constantIbLb0EESW_EEDaSR_SS_EUlSR_E_NS1_11comp_targetILNS1_3genE8ELNS1_11target_archE1030ELNS1_3gpuE2ELNS1_3repE0EEENS1_30default_config_static_selectorELNS0_4arch9wavefront6targetE0EEEvT1_
    .private_segment_fixed_size: 0
    .sgpr_count:     0
    .sgpr_spill_count: 0
    .symbol:         _ZN7rocprim17ROCPRIM_400000_NS6detail17trampoline_kernelINS0_14default_configENS1_20scan_config_selectorIfEEZZNS1_9scan_implILNS1_25lookback_scan_determinismE0ELb0ELb0ES3_PKfPffZZZN2at6native31launch_logcumsumexp_cuda_kernelERKNSB_10TensorBaseESF_lENKUlvE_clEvENKUlvE0_clEvEUlffE_fEEDaPvRmT3_T4_T5_mT6_P12ihipStream_tbENKUlT_T0_E_clISt17integral_constantIbLb0EESW_EEDaSR_SS_EUlSR_E_NS1_11comp_targetILNS1_3genE8ELNS1_11target_archE1030ELNS1_3gpuE2ELNS1_3repE0EEENS1_30default_config_static_selectorELNS0_4arch9wavefront6targetE0EEEvT1_.kd
    .uniform_work_group_size: 1
    .uses_dynamic_stack: false
    .vgpr_count:     0
    .vgpr_spill_count: 0
    .wavefront_size: 32
    .workgroup_processor_mode: 1
  - .args:
      - .offset:         0
        .size:           40
        .value_kind:     by_value
    .group_segment_fixed_size: 0
    .kernarg_segment_align: 8
    .kernarg_segment_size: 40
    .language:       OpenCL C
    .language_version:
      - 2
      - 0
    .max_flat_workgroup_size: 128
    .name:           _ZN7rocprim17ROCPRIM_400000_NS6detail17trampoline_kernelINS0_14default_configENS1_25transform_config_selectorIfLb1EEEZNS1_14transform_implILb1ES3_S5_PfS7_NS0_8identityIfEEEE10hipError_tT2_T3_mT4_P12ihipStream_tbEUlT_E_NS1_11comp_targetILNS1_3genE0ELNS1_11target_archE4294967295ELNS1_3gpuE0ELNS1_3repE0EEENS1_30default_config_static_selectorELNS0_4arch9wavefront6targetE0EEEvT1_
    .private_segment_fixed_size: 0
    .sgpr_count:     0
    .sgpr_spill_count: 0
    .symbol:         _ZN7rocprim17ROCPRIM_400000_NS6detail17trampoline_kernelINS0_14default_configENS1_25transform_config_selectorIfLb1EEEZNS1_14transform_implILb1ES3_S5_PfS7_NS0_8identityIfEEEE10hipError_tT2_T3_mT4_P12ihipStream_tbEUlT_E_NS1_11comp_targetILNS1_3genE0ELNS1_11target_archE4294967295ELNS1_3gpuE0ELNS1_3repE0EEENS1_30default_config_static_selectorELNS0_4arch9wavefront6targetE0EEEvT1_.kd
    .uniform_work_group_size: 1
    .uses_dynamic_stack: false
    .vgpr_count:     0
    .vgpr_spill_count: 0
    .wavefront_size: 32
    .workgroup_processor_mode: 1
  - .args:
      - .offset:         0
        .size:           40
        .value_kind:     by_value
    .group_segment_fixed_size: 0
    .kernarg_segment_align: 8
    .kernarg_segment_size: 40
    .language:       OpenCL C
    .language_version:
      - 2
      - 0
    .max_flat_workgroup_size: 1024
    .name:           _ZN7rocprim17ROCPRIM_400000_NS6detail17trampoline_kernelINS0_14default_configENS1_25transform_config_selectorIfLb1EEEZNS1_14transform_implILb1ES3_S5_PfS7_NS0_8identityIfEEEE10hipError_tT2_T3_mT4_P12ihipStream_tbEUlT_E_NS1_11comp_targetILNS1_3genE10ELNS1_11target_archE1201ELNS1_3gpuE5ELNS1_3repE0EEENS1_30default_config_static_selectorELNS0_4arch9wavefront6targetE0EEEvT1_
    .private_segment_fixed_size: 0
    .sgpr_count:     0
    .sgpr_spill_count: 0
    .symbol:         _ZN7rocprim17ROCPRIM_400000_NS6detail17trampoline_kernelINS0_14default_configENS1_25transform_config_selectorIfLb1EEEZNS1_14transform_implILb1ES3_S5_PfS7_NS0_8identityIfEEEE10hipError_tT2_T3_mT4_P12ihipStream_tbEUlT_E_NS1_11comp_targetILNS1_3genE10ELNS1_11target_archE1201ELNS1_3gpuE5ELNS1_3repE0EEENS1_30default_config_static_selectorELNS0_4arch9wavefront6targetE0EEEvT1_.kd
    .uniform_work_group_size: 1
    .uses_dynamic_stack: false
    .vgpr_count:     0
    .vgpr_spill_count: 0
    .wavefront_size: 32
    .workgroup_processor_mode: 1
  - .args:
      - .offset:         0
        .size:           40
        .value_kind:     by_value
    .group_segment_fixed_size: 0
    .kernarg_segment_align: 8
    .kernarg_segment_size: 40
    .language:       OpenCL C
    .language_version:
      - 2
      - 0
    .max_flat_workgroup_size: 256
    .name:           _ZN7rocprim17ROCPRIM_400000_NS6detail17trampoline_kernelINS0_14default_configENS1_25transform_config_selectorIfLb1EEEZNS1_14transform_implILb1ES3_S5_PfS7_NS0_8identityIfEEEE10hipError_tT2_T3_mT4_P12ihipStream_tbEUlT_E_NS1_11comp_targetILNS1_3genE5ELNS1_11target_archE942ELNS1_3gpuE9ELNS1_3repE0EEENS1_30default_config_static_selectorELNS0_4arch9wavefront6targetE0EEEvT1_
    .private_segment_fixed_size: 0
    .sgpr_count:     0
    .sgpr_spill_count: 0
    .symbol:         _ZN7rocprim17ROCPRIM_400000_NS6detail17trampoline_kernelINS0_14default_configENS1_25transform_config_selectorIfLb1EEEZNS1_14transform_implILb1ES3_S5_PfS7_NS0_8identityIfEEEE10hipError_tT2_T3_mT4_P12ihipStream_tbEUlT_E_NS1_11comp_targetILNS1_3genE5ELNS1_11target_archE942ELNS1_3gpuE9ELNS1_3repE0EEENS1_30default_config_static_selectorELNS0_4arch9wavefront6targetE0EEEvT1_.kd
    .uniform_work_group_size: 1
    .uses_dynamic_stack: false
    .vgpr_count:     0
    .vgpr_spill_count: 0
    .wavefront_size: 32
    .workgroup_processor_mode: 1
  - .args:
      - .offset:         0
        .size:           40
        .value_kind:     by_value
    .group_segment_fixed_size: 0
    .kernarg_segment_align: 8
    .kernarg_segment_size: 40
    .language:       OpenCL C
    .language_version:
      - 2
      - 0
    .max_flat_workgroup_size: 1024
    .name:           _ZN7rocprim17ROCPRIM_400000_NS6detail17trampoline_kernelINS0_14default_configENS1_25transform_config_selectorIfLb1EEEZNS1_14transform_implILb1ES3_S5_PfS7_NS0_8identityIfEEEE10hipError_tT2_T3_mT4_P12ihipStream_tbEUlT_E_NS1_11comp_targetILNS1_3genE4ELNS1_11target_archE910ELNS1_3gpuE8ELNS1_3repE0EEENS1_30default_config_static_selectorELNS0_4arch9wavefront6targetE0EEEvT1_
    .private_segment_fixed_size: 0
    .sgpr_count:     0
    .sgpr_spill_count: 0
    .symbol:         _ZN7rocprim17ROCPRIM_400000_NS6detail17trampoline_kernelINS0_14default_configENS1_25transform_config_selectorIfLb1EEEZNS1_14transform_implILb1ES3_S5_PfS7_NS0_8identityIfEEEE10hipError_tT2_T3_mT4_P12ihipStream_tbEUlT_E_NS1_11comp_targetILNS1_3genE4ELNS1_11target_archE910ELNS1_3gpuE8ELNS1_3repE0EEENS1_30default_config_static_selectorELNS0_4arch9wavefront6targetE0EEEvT1_.kd
    .uniform_work_group_size: 1
    .uses_dynamic_stack: false
    .vgpr_count:     0
    .vgpr_spill_count: 0
    .wavefront_size: 32
    .workgroup_processor_mode: 1
  - .args:
      - .offset:         0
        .size:           40
        .value_kind:     by_value
    .group_segment_fixed_size: 0
    .kernarg_segment_align: 8
    .kernarg_segment_size: 40
    .language:       OpenCL C
    .language_version:
      - 2
      - 0
    .max_flat_workgroup_size: 128
    .name:           _ZN7rocprim17ROCPRIM_400000_NS6detail17trampoline_kernelINS0_14default_configENS1_25transform_config_selectorIfLb1EEEZNS1_14transform_implILb1ES3_S5_PfS7_NS0_8identityIfEEEE10hipError_tT2_T3_mT4_P12ihipStream_tbEUlT_E_NS1_11comp_targetILNS1_3genE3ELNS1_11target_archE908ELNS1_3gpuE7ELNS1_3repE0EEENS1_30default_config_static_selectorELNS0_4arch9wavefront6targetE0EEEvT1_
    .private_segment_fixed_size: 0
    .sgpr_count:     0
    .sgpr_spill_count: 0
    .symbol:         _ZN7rocprim17ROCPRIM_400000_NS6detail17trampoline_kernelINS0_14default_configENS1_25transform_config_selectorIfLb1EEEZNS1_14transform_implILb1ES3_S5_PfS7_NS0_8identityIfEEEE10hipError_tT2_T3_mT4_P12ihipStream_tbEUlT_E_NS1_11comp_targetILNS1_3genE3ELNS1_11target_archE908ELNS1_3gpuE7ELNS1_3repE0EEENS1_30default_config_static_selectorELNS0_4arch9wavefront6targetE0EEEvT1_.kd
    .uniform_work_group_size: 1
    .uses_dynamic_stack: false
    .vgpr_count:     0
    .vgpr_spill_count: 0
    .wavefront_size: 32
    .workgroup_processor_mode: 1
  - .args:
      - .offset:         0
        .size:           40
        .value_kind:     by_value
    .group_segment_fixed_size: 0
    .kernarg_segment_align: 8
    .kernarg_segment_size: 40
    .language:       OpenCL C
    .language_version:
      - 2
      - 0
    .max_flat_workgroup_size: 1024
    .name:           _ZN7rocprim17ROCPRIM_400000_NS6detail17trampoline_kernelINS0_14default_configENS1_25transform_config_selectorIfLb1EEEZNS1_14transform_implILb1ES3_S5_PfS7_NS0_8identityIfEEEE10hipError_tT2_T3_mT4_P12ihipStream_tbEUlT_E_NS1_11comp_targetILNS1_3genE2ELNS1_11target_archE906ELNS1_3gpuE6ELNS1_3repE0EEENS1_30default_config_static_selectorELNS0_4arch9wavefront6targetE0EEEvT1_
    .private_segment_fixed_size: 0
    .sgpr_count:     0
    .sgpr_spill_count: 0
    .symbol:         _ZN7rocprim17ROCPRIM_400000_NS6detail17trampoline_kernelINS0_14default_configENS1_25transform_config_selectorIfLb1EEEZNS1_14transform_implILb1ES3_S5_PfS7_NS0_8identityIfEEEE10hipError_tT2_T3_mT4_P12ihipStream_tbEUlT_E_NS1_11comp_targetILNS1_3genE2ELNS1_11target_archE906ELNS1_3gpuE6ELNS1_3repE0EEENS1_30default_config_static_selectorELNS0_4arch9wavefront6targetE0EEEvT1_.kd
    .uniform_work_group_size: 1
    .uses_dynamic_stack: false
    .vgpr_count:     0
    .vgpr_spill_count: 0
    .wavefront_size: 32
    .workgroup_processor_mode: 1
  - .args:
      - .offset:         0
        .size:           40
        .value_kind:     by_value
      - .offset:         40
        .size:           4
        .value_kind:     hidden_block_count_x
      - .offset:         44
        .size:           4
        .value_kind:     hidden_block_count_y
      - .offset:         48
        .size:           4
        .value_kind:     hidden_block_count_z
      - .offset:         52
        .size:           2
        .value_kind:     hidden_group_size_x
      - .offset:         54
        .size:           2
        .value_kind:     hidden_group_size_y
      - .offset:         56
        .size:           2
        .value_kind:     hidden_group_size_z
      - .offset:         58
        .size:           2
        .value_kind:     hidden_remainder_x
      - .offset:         60
        .size:           2
        .value_kind:     hidden_remainder_y
      - .offset:         62
        .size:           2
        .value_kind:     hidden_remainder_z
      - .offset:         80
        .size:           8
        .value_kind:     hidden_global_offset_x
      - .offset:         88
        .size:           8
        .value_kind:     hidden_global_offset_y
      - .offset:         96
        .size:           8
        .value_kind:     hidden_global_offset_z
      - .offset:         104
        .size:           2
        .value_kind:     hidden_grid_dims
    .group_segment_fixed_size: 0
    .kernarg_segment_align: 8
    .kernarg_segment_size: 296
    .language:       OpenCL C
    .language_version:
      - 2
      - 0
    .max_flat_workgroup_size: 1024
    .name:           _ZN7rocprim17ROCPRIM_400000_NS6detail17trampoline_kernelINS0_14default_configENS1_25transform_config_selectorIfLb1EEEZNS1_14transform_implILb1ES3_S5_PfS7_NS0_8identityIfEEEE10hipError_tT2_T3_mT4_P12ihipStream_tbEUlT_E_NS1_11comp_targetILNS1_3genE9ELNS1_11target_archE1100ELNS1_3gpuE3ELNS1_3repE0EEENS1_30default_config_static_selectorELNS0_4arch9wavefront6targetE0EEEvT1_
    .private_segment_fixed_size: 0
    .sgpr_count:     18
    .sgpr_spill_count: 0
    .symbol:         _ZN7rocprim17ROCPRIM_400000_NS6detail17trampoline_kernelINS0_14default_configENS1_25transform_config_selectorIfLb1EEEZNS1_14transform_implILb1ES3_S5_PfS7_NS0_8identityIfEEEE10hipError_tT2_T3_mT4_P12ihipStream_tbEUlT_E_NS1_11comp_targetILNS1_3genE9ELNS1_11target_archE1100ELNS1_3gpuE3ELNS1_3repE0EEENS1_30default_config_static_selectorELNS0_4arch9wavefront6targetE0EEEvT1_.kd
    .uniform_work_group_size: 1
    .uses_dynamic_stack: false
    .vgpr_count:     5
    .vgpr_spill_count: 0
    .wavefront_size: 32
    .workgroup_processor_mode: 1
  - .args:
      - .offset:         0
        .size:           40
        .value_kind:     by_value
    .group_segment_fixed_size: 0
    .kernarg_segment_align: 8
    .kernarg_segment_size: 40
    .language:       OpenCL C
    .language_version:
      - 2
      - 0
    .max_flat_workgroup_size: 1024
    .name:           _ZN7rocprim17ROCPRIM_400000_NS6detail17trampoline_kernelINS0_14default_configENS1_25transform_config_selectorIfLb1EEEZNS1_14transform_implILb1ES3_S5_PfS7_NS0_8identityIfEEEE10hipError_tT2_T3_mT4_P12ihipStream_tbEUlT_E_NS1_11comp_targetILNS1_3genE8ELNS1_11target_archE1030ELNS1_3gpuE2ELNS1_3repE0EEENS1_30default_config_static_selectorELNS0_4arch9wavefront6targetE0EEEvT1_
    .private_segment_fixed_size: 0
    .sgpr_count:     0
    .sgpr_spill_count: 0
    .symbol:         _ZN7rocprim17ROCPRIM_400000_NS6detail17trampoline_kernelINS0_14default_configENS1_25transform_config_selectorIfLb1EEEZNS1_14transform_implILb1ES3_S5_PfS7_NS0_8identityIfEEEE10hipError_tT2_T3_mT4_P12ihipStream_tbEUlT_E_NS1_11comp_targetILNS1_3genE8ELNS1_11target_archE1030ELNS1_3gpuE2ELNS1_3repE0EEENS1_30default_config_static_selectorELNS0_4arch9wavefront6targetE0EEEvT1_.kd
    .uniform_work_group_size: 1
    .uses_dynamic_stack: false
    .vgpr_count:     0
    .vgpr_spill_count: 0
    .wavefront_size: 32
    .workgroup_processor_mode: 1
  - .args:
      - .offset:         0
        .size:           32
        .value_kind:     by_value
    .group_segment_fixed_size: 0
    .kernarg_segment_align: 8
    .kernarg_segment_size: 32
    .language:       OpenCL C
    .language_version:
      - 2
      - 0
    .max_flat_workgroup_size: 256
    .name:           _ZN7rocprim17ROCPRIM_400000_NS6detail17trampoline_kernelINS0_14default_configENS1_20scan_config_selectorIfEEZZNS1_9scan_implILNS1_25lookback_scan_determinismE0ELb0ELb0ES3_PKfPffZZZN2at6native31launch_logcumsumexp_cuda_kernelERKNSB_10TensorBaseESF_lENKUlvE_clEvENKUlvE0_clEvEUlffE_fEEDaPvRmT3_T4_T5_mT6_P12ihipStream_tbENKUlT_T0_E_clISt17integral_constantIbLb0EESW_EEDaSR_SS_EUlSR_E0_NS1_11comp_targetILNS1_3genE0ELNS1_11target_archE4294967295ELNS1_3gpuE0ELNS1_3repE0EEENS1_30default_config_static_selectorELNS0_4arch9wavefront6targetE0EEEvT1_
    .private_segment_fixed_size: 0
    .sgpr_count:     0
    .sgpr_spill_count: 0
    .symbol:         _ZN7rocprim17ROCPRIM_400000_NS6detail17trampoline_kernelINS0_14default_configENS1_20scan_config_selectorIfEEZZNS1_9scan_implILNS1_25lookback_scan_determinismE0ELb0ELb0ES3_PKfPffZZZN2at6native31launch_logcumsumexp_cuda_kernelERKNSB_10TensorBaseESF_lENKUlvE_clEvENKUlvE0_clEvEUlffE_fEEDaPvRmT3_T4_T5_mT6_P12ihipStream_tbENKUlT_T0_E_clISt17integral_constantIbLb0EESW_EEDaSR_SS_EUlSR_E0_NS1_11comp_targetILNS1_3genE0ELNS1_11target_archE4294967295ELNS1_3gpuE0ELNS1_3repE0EEENS1_30default_config_static_selectorELNS0_4arch9wavefront6targetE0EEEvT1_.kd
    .uniform_work_group_size: 1
    .uses_dynamic_stack: false
    .vgpr_count:     0
    .vgpr_spill_count: 0
    .wavefront_size: 32
    .workgroup_processor_mode: 1
  - .args:
      - .offset:         0
        .size:           32
        .value_kind:     by_value
    .group_segment_fixed_size: 0
    .kernarg_segment_align: 8
    .kernarg_segment_size: 32
    .language:       OpenCL C
    .language_version:
      - 2
      - 0
    .max_flat_workgroup_size: 256
    .name:           _ZN7rocprim17ROCPRIM_400000_NS6detail17trampoline_kernelINS0_14default_configENS1_20scan_config_selectorIfEEZZNS1_9scan_implILNS1_25lookback_scan_determinismE0ELb0ELb0ES3_PKfPffZZZN2at6native31launch_logcumsumexp_cuda_kernelERKNSB_10TensorBaseESF_lENKUlvE_clEvENKUlvE0_clEvEUlffE_fEEDaPvRmT3_T4_T5_mT6_P12ihipStream_tbENKUlT_T0_E_clISt17integral_constantIbLb0EESW_EEDaSR_SS_EUlSR_E0_NS1_11comp_targetILNS1_3genE5ELNS1_11target_archE942ELNS1_3gpuE9ELNS1_3repE0EEENS1_30default_config_static_selectorELNS0_4arch9wavefront6targetE0EEEvT1_
    .private_segment_fixed_size: 0
    .sgpr_count:     0
    .sgpr_spill_count: 0
    .symbol:         _ZN7rocprim17ROCPRIM_400000_NS6detail17trampoline_kernelINS0_14default_configENS1_20scan_config_selectorIfEEZZNS1_9scan_implILNS1_25lookback_scan_determinismE0ELb0ELb0ES3_PKfPffZZZN2at6native31launch_logcumsumexp_cuda_kernelERKNSB_10TensorBaseESF_lENKUlvE_clEvENKUlvE0_clEvEUlffE_fEEDaPvRmT3_T4_T5_mT6_P12ihipStream_tbENKUlT_T0_E_clISt17integral_constantIbLb0EESW_EEDaSR_SS_EUlSR_E0_NS1_11comp_targetILNS1_3genE5ELNS1_11target_archE942ELNS1_3gpuE9ELNS1_3repE0EEENS1_30default_config_static_selectorELNS0_4arch9wavefront6targetE0EEEvT1_.kd
    .uniform_work_group_size: 1
    .uses_dynamic_stack: false
    .vgpr_count:     0
    .vgpr_spill_count: 0
    .wavefront_size: 32
    .workgroup_processor_mode: 1
  - .args:
      - .offset:         0
        .size:           32
        .value_kind:     by_value
    .group_segment_fixed_size: 0
    .kernarg_segment_align: 8
    .kernarg_segment_size: 32
    .language:       OpenCL C
    .language_version:
      - 2
      - 0
    .max_flat_workgroup_size: 128
    .name:           _ZN7rocprim17ROCPRIM_400000_NS6detail17trampoline_kernelINS0_14default_configENS1_20scan_config_selectorIfEEZZNS1_9scan_implILNS1_25lookback_scan_determinismE0ELb0ELb0ES3_PKfPffZZZN2at6native31launch_logcumsumexp_cuda_kernelERKNSB_10TensorBaseESF_lENKUlvE_clEvENKUlvE0_clEvEUlffE_fEEDaPvRmT3_T4_T5_mT6_P12ihipStream_tbENKUlT_T0_E_clISt17integral_constantIbLb0EESW_EEDaSR_SS_EUlSR_E0_NS1_11comp_targetILNS1_3genE4ELNS1_11target_archE910ELNS1_3gpuE8ELNS1_3repE0EEENS1_30default_config_static_selectorELNS0_4arch9wavefront6targetE0EEEvT1_
    .private_segment_fixed_size: 0
    .sgpr_count:     0
    .sgpr_spill_count: 0
    .symbol:         _ZN7rocprim17ROCPRIM_400000_NS6detail17trampoline_kernelINS0_14default_configENS1_20scan_config_selectorIfEEZZNS1_9scan_implILNS1_25lookback_scan_determinismE0ELb0ELb0ES3_PKfPffZZZN2at6native31launch_logcumsumexp_cuda_kernelERKNSB_10TensorBaseESF_lENKUlvE_clEvENKUlvE0_clEvEUlffE_fEEDaPvRmT3_T4_T5_mT6_P12ihipStream_tbENKUlT_T0_E_clISt17integral_constantIbLb0EESW_EEDaSR_SS_EUlSR_E0_NS1_11comp_targetILNS1_3genE4ELNS1_11target_archE910ELNS1_3gpuE8ELNS1_3repE0EEENS1_30default_config_static_selectorELNS0_4arch9wavefront6targetE0EEEvT1_.kd
    .uniform_work_group_size: 1
    .uses_dynamic_stack: false
    .vgpr_count:     0
    .vgpr_spill_count: 0
    .wavefront_size: 32
    .workgroup_processor_mode: 1
  - .args:
      - .offset:         0
        .size:           32
        .value_kind:     by_value
    .group_segment_fixed_size: 0
    .kernarg_segment_align: 8
    .kernarg_segment_size: 32
    .language:       OpenCL C
    .language_version:
      - 2
      - 0
    .max_flat_workgroup_size: 256
    .name:           _ZN7rocprim17ROCPRIM_400000_NS6detail17trampoline_kernelINS0_14default_configENS1_20scan_config_selectorIfEEZZNS1_9scan_implILNS1_25lookback_scan_determinismE0ELb0ELb0ES3_PKfPffZZZN2at6native31launch_logcumsumexp_cuda_kernelERKNSB_10TensorBaseESF_lENKUlvE_clEvENKUlvE0_clEvEUlffE_fEEDaPvRmT3_T4_T5_mT6_P12ihipStream_tbENKUlT_T0_E_clISt17integral_constantIbLb0EESW_EEDaSR_SS_EUlSR_E0_NS1_11comp_targetILNS1_3genE3ELNS1_11target_archE908ELNS1_3gpuE7ELNS1_3repE0EEENS1_30default_config_static_selectorELNS0_4arch9wavefront6targetE0EEEvT1_
    .private_segment_fixed_size: 0
    .sgpr_count:     0
    .sgpr_spill_count: 0
    .symbol:         _ZN7rocprim17ROCPRIM_400000_NS6detail17trampoline_kernelINS0_14default_configENS1_20scan_config_selectorIfEEZZNS1_9scan_implILNS1_25lookback_scan_determinismE0ELb0ELb0ES3_PKfPffZZZN2at6native31launch_logcumsumexp_cuda_kernelERKNSB_10TensorBaseESF_lENKUlvE_clEvENKUlvE0_clEvEUlffE_fEEDaPvRmT3_T4_T5_mT6_P12ihipStream_tbENKUlT_T0_E_clISt17integral_constantIbLb0EESW_EEDaSR_SS_EUlSR_E0_NS1_11comp_targetILNS1_3genE3ELNS1_11target_archE908ELNS1_3gpuE7ELNS1_3repE0EEENS1_30default_config_static_selectorELNS0_4arch9wavefront6targetE0EEEvT1_.kd
    .uniform_work_group_size: 1
    .uses_dynamic_stack: false
    .vgpr_count:     0
    .vgpr_spill_count: 0
    .wavefront_size: 32
    .workgroup_processor_mode: 1
  - .args:
      - .offset:         0
        .size:           32
        .value_kind:     by_value
    .group_segment_fixed_size: 0
    .kernarg_segment_align: 8
    .kernarg_segment_size: 32
    .language:       OpenCL C
    .language_version:
      - 2
      - 0
    .max_flat_workgroup_size: 256
    .name:           _ZN7rocprim17ROCPRIM_400000_NS6detail17trampoline_kernelINS0_14default_configENS1_20scan_config_selectorIfEEZZNS1_9scan_implILNS1_25lookback_scan_determinismE0ELb0ELb0ES3_PKfPffZZZN2at6native31launch_logcumsumexp_cuda_kernelERKNSB_10TensorBaseESF_lENKUlvE_clEvENKUlvE0_clEvEUlffE_fEEDaPvRmT3_T4_T5_mT6_P12ihipStream_tbENKUlT_T0_E_clISt17integral_constantIbLb0EESW_EEDaSR_SS_EUlSR_E0_NS1_11comp_targetILNS1_3genE2ELNS1_11target_archE906ELNS1_3gpuE6ELNS1_3repE0EEENS1_30default_config_static_selectorELNS0_4arch9wavefront6targetE0EEEvT1_
    .private_segment_fixed_size: 0
    .sgpr_count:     0
    .sgpr_spill_count: 0
    .symbol:         _ZN7rocprim17ROCPRIM_400000_NS6detail17trampoline_kernelINS0_14default_configENS1_20scan_config_selectorIfEEZZNS1_9scan_implILNS1_25lookback_scan_determinismE0ELb0ELb0ES3_PKfPffZZZN2at6native31launch_logcumsumexp_cuda_kernelERKNSB_10TensorBaseESF_lENKUlvE_clEvENKUlvE0_clEvEUlffE_fEEDaPvRmT3_T4_T5_mT6_P12ihipStream_tbENKUlT_T0_E_clISt17integral_constantIbLb0EESW_EEDaSR_SS_EUlSR_E0_NS1_11comp_targetILNS1_3genE2ELNS1_11target_archE906ELNS1_3gpuE6ELNS1_3repE0EEENS1_30default_config_static_selectorELNS0_4arch9wavefront6targetE0EEEvT1_.kd
    .uniform_work_group_size: 1
    .uses_dynamic_stack: false
    .vgpr_count:     0
    .vgpr_spill_count: 0
    .wavefront_size: 32
    .workgroup_processor_mode: 1
  - .args:
      - .offset:         0
        .size:           32
        .value_kind:     by_value
    .group_segment_fixed_size: 0
    .kernarg_segment_align: 8
    .kernarg_segment_size: 32
    .language:       OpenCL C
    .language_version:
      - 2
      - 0
    .max_flat_workgroup_size: 256
    .name:           _ZN7rocprim17ROCPRIM_400000_NS6detail17trampoline_kernelINS0_14default_configENS1_20scan_config_selectorIfEEZZNS1_9scan_implILNS1_25lookback_scan_determinismE0ELb0ELb0ES3_PKfPffZZZN2at6native31launch_logcumsumexp_cuda_kernelERKNSB_10TensorBaseESF_lENKUlvE_clEvENKUlvE0_clEvEUlffE_fEEDaPvRmT3_T4_T5_mT6_P12ihipStream_tbENKUlT_T0_E_clISt17integral_constantIbLb0EESW_EEDaSR_SS_EUlSR_E0_NS1_11comp_targetILNS1_3genE10ELNS1_11target_archE1201ELNS1_3gpuE5ELNS1_3repE0EEENS1_30default_config_static_selectorELNS0_4arch9wavefront6targetE0EEEvT1_
    .private_segment_fixed_size: 0
    .sgpr_count:     0
    .sgpr_spill_count: 0
    .symbol:         _ZN7rocprim17ROCPRIM_400000_NS6detail17trampoline_kernelINS0_14default_configENS1_20scan_config_selectorIfEEZZNS1_9scan_implILNS1_25lookback_scan_determinismE0ELb0ELb0ES3_PKfPffZZZN2at6native31launch_logcumsumexp_cuda_kernelERKNSB_10TensorBaseESF_lENKUlvE_clEvENKUlvE0_clEvEUlffE_fEEDaPvRmT3_T4_T5_mT6_P12ihipStream_tbENKUlT_T0_E_clISt17integral_constantIbLb0EESW_EEDaSR_SS_EUlSR_E0_NS1_11comp_targetILNS1_3genE10ELNS1_11target_archE1201ELNS1_3gpuE5ELNS1_3repE0EEENS1_30default_config_static_selectorELNS0_4arch9wavefront6targetE0EEEvT1_.kd
    .uniform_work_group_size: 1
    .uses_dynamic_stack: false
    .vgpr_count:     0
    .vgpr_spill_count: 0
    .wavefront_size: 32
    .workgroup_processor_mode: 1
  - .args:
      - .offset:         0
        .size:           32
        .value_kind:     by_value
    .group_segment_fixed_size: 0
    .kernarg_segment_align: 8
    .kernarg_segment_size: 32
    .language:       OpenCL C
    .language_version:
      - 2
      - 0
    .max_flat_workgroup_size: 256
    .name:           _ZN7rocprim17ROCPRIM_400000_NS6detail17trampoline_kernelINS0_14default_configENS1_20scan_config_selectorIfEEZZNS1_9scan_implILNS1_25lookback_scan_determinismE0ELb0ELb0ES3_PKfPffZZZN2at6native31launch_logcumsumexp_cuda_kernelERKNSB_10TensorBaseESF_lENKUlvE_clEvENKUlvE0_clEvEUlffE_fEEDaPvRmT3_T4_T5_mT6_P12ihipStream_tbENKUlT_T0_E_clISt17integral_constantIbLb0EESW_EEDaSR_SS_EUlSR_E0_NS1_11comp_targetILNS1_3genE10ELNS1_11target_archE1200ELNS1_3gpuE4ELNS1_3repE0EEENS1_30default_config_static_selectorELNS0_4arch9wavefront6targetE0EEEvT1_
    .private_segment_fixed_size: 0
    .sgpr_count:     0
    .sgpr_spill_count: 0
    .symbol:         _ZN7rocprim17ROCPRIM_400000_NS6detail17trampoline_kernelINS0_14default_configENS1_20scan_config_selectorIfEEZZNS1_9scan_implILNS1_25lookback_scan_determinismE0ELb0ELb0ES3_PKfPffZZZN2at6native31launch_logcumsumexp_cuda_kernelERKNSB_10TensorBaseESF_lENKUlvE_clEvENKUlvE0_clEvEUlffE_fEEDaPvRmT3_T4_T5_mT6_P12ihipStream_tbENKUlT_T0_E_clISt17integral_constantIbLb0EESW_EEDaSR_SS_EUlSR_E0_NS1_11comp_targetILNS1_3genE10ELNS1_11target_archE1200ELNS1_3gpuE4ELNS1_3repE0EEENS1_30default_config_static_selectorELNS0_4arch9wavefront6targetE0EEEvT1_.kd
    .uniform_work_group_size: 1
    .uses_dynamic_stack: false
    .vgpr_count:     0
    .vgpr_spill_count: 0
    .wavefront_size: 32
    .workgroup_processor_mode: 1
  - .args:
      - .offset:         0
        .size:           32
        .value_kind:     by_value
    .group_segment_fixed_size: 4224
    .kernarg_segment_align: 8
    .kernarg_segment_size: 32
    .language:       OpenCL C
    .language_version:
      - 2
      - 0
    .max_flat_workgroup_size: 256
    .name:           _ZN7rocprim17ROCPRIM_400000_NS6detail17trampoline_kernelINS0_14default_configENS1_20scan_config_selectorIfEEZZNS1_9scan_implILNS1_25lookback_scan_determinismE0ELb0ELb0ES3_PKfPffZZZN2at6native31launch_logcumsumexp_cuda_kernelERKNSB_10TensorBaseESF_lENKUlvE_clEvENKUlvE0_clEvEUlffE_fEEDaPvRmT3_T4_T5_mT6_P12ihipStream_tbENKUlT_T0_E_clISt17integral_constantIbLb0EESW_EEDaSR_SS_EUlSR_E0_NS1_11comp_targetILNS1_3genE9ELNS1_11target_archE1100ELNS1_3gpuE3ELNS1_3repE0EEENS1_30default_config_static_selectorELNS0_4arch9wavefront6targetE0EEEvT1_
    .private_segment_fixed_size: 0
    .sgpr_count:     17
    .sgpr_spill_count: 0
    .symbol:         _ZN7rocprim17ROCPRIM_400000_NS6detail17trampoline_kernelINS0_14default_configENS1_20scan_config_selectorIfEEZZNS1_9scan_implILNS1_25lookback_scan_determinismE0ELb0ELb0ES3_PKfPffZZZN2at6native31launch_logcumsumexp_cuda_kernelERKNSB_10TensorBaseESF_lENKUlvE_clEvENKUlvE0_clEvEUlffE_fEEDaPvRmT3_T4_T5_mT6_P12ihipStream_tbENKUlT_T0_E_clISt17integral_constantIbLb0EESW_EEDaSR_SS_EUlSR_E0_NS1_11comp_targetILNS1_3genE9ELNS1_11target_archE1100ELNS1_3gpuE3ELNS1_3repE0EEENS1_30default_config_static_selectorELNS0_4arch9wavefront6targetE0EEEvT1_.kd
    .uniform_work_group_size: 1
    .uses_dynamic_stack: false
    .vgpr_count:     37
    .vgpr_spill_count: 0
    .wavefront_size: 32
    .workgroup_processor_mode: 1
  - .args:
      - .offset:         0
        .size:           32
        .value_kind:     by_value
    .group_segment_fixed_size: 0
    .kernarg_segment_align: 8
    .kernarg_segment_size: 32
    .language:       OpenCL C
    .language_version:
      - 2
      - 0
    .max_flat_workgroup_size: 64
    .name:           _ZN7rocprim17ROCPRIM_400000_NS6detail17trampoline_kernelINS0_14default_configENS1_20scan_config_selectorIfEEZZNS1_9scan_implILNS1_25lookback_scan_determinismE0ELb0ELb0ES3_PKfPffZZZN2at6native31launch_logcumsumexp_cuda_kernelERKNSB_10TensorBaseESF_lENKUlvE_clEvENKUlvE0_clEvEUlffE_fEEDaPvRmT3_T4_T5_mT6_P12ihipStream_tbENKUlT_T0_E_clISt17integral_constantIbLb0EESW_EEDaSR_SS_EUlSR_E0_NS1_11comp_targetILNS1_3genE8ELNS1_11target_archE1030ELNS1_3gpuE2ELNS1_3repE0EEENS1_30default_config_static_selectorELNS0_4arch9wavefront6targetE0EEEvT1_
    .private_segment_fixed_size: 0
    .sgpr_count:     0
    .sgpr_spill_count: 0
    .symbol:         _ZN7rocprim17ROCPRIM_400000_NS6detail17trampoline_kernelINS0_14default_configENS1_20scan_config_selectorIfEEZZNS1_9scan_implILNS1_25lookback_scan_determinismE0ELb0ELb0ES3_PKfPffZZZN2at6native31launch_logcumsumexp_cuda_kernelERKNSB_10TensorBaseESF_lENKUlvE_clEvENKUlvE0_clEvEUlffE_fEEDaPvRmT3_T4_T5_mT6_P12ihipStream_tbENKUlT_T0_E_clISt17integral_constantIbLb0EESW_EEDaSR_SS_EUlSR_E0_NS1_11comp_targetILNS1_3genE8ELNS1_11target_archE1030ELNS1_3gpuE2ELNS1_3repE0EEENS1_30default_config_static_selectorELNS0_4arch9wavefront6targetE0EEEvT1_.kd
    .uniform_work_group_size: 1
    .uses_dynamic_stack: false
    .vgpr_count:     0
    .vgpr_spill_count: 0
    .wavefront_size: 32
    .workgroup_processor_mode: 1
  - .args:
      - .address_space:  global
        .offset:         0
        .size:           8
        .value_kind:     global_buffer
      - .offset:         8
        .size:           4
        .value_kind:     by_value
      - .address_space:  global
        .offset:         16
        .size:           8
        .value_kind:     global_buffer
      - .offset:         24
        .size:           4
        .value_kind:     by_value
      - .address_space:  global
        .offset:         32
        .size:           8
        .value_kind:     global_buffer
      - .offset:         40
        .size:           4
        .value_kind:     hidden_block_count_x
      - .offset:         44
        .size:           4
        .value_kind:     hidden_block_count_y
      - .offset:         48
        .size:           4
        .value_kind:     hidden_block_count_z
      - .offset:         52
        .size:           2
        .value_kind:     hidden_group_size_x
      - .offset:         54
        .size:           2
        .value_kind:     hidden_group_size_y
      - .offset:         56
        .size:           2
        .value_kind:     hidden_group_size_z
      - .offset:         58
        .size:           2
        .value_kind:     hidden_remainder_x
      - .offset:         60
        .size:           2
        .value_kind:     hidden_remainder_y
      - .offset:         62
        .size:           2
        .value_kind:     hidden_remainder_z
      - .offset:         80
        .size:           8
        .value_kind:     hidden_global_offset_x
      - .offset:         88
        .size:           8
        .value_kind:     hidden_global_offset_y
      - .offset:         96
        .size:           8
        .value_kind:     hidden_global_offset_z
      - .offset:         104
        .size:           2
        .value_kind:     hidden_grid_dims
    .group_segment_fixed_size: 0
    .kernarg_segment_align: 8
    .kernarg_segment_size: 296
    .language:       OpenCL C
    .language_version:
      - 2
      - 0
    .max_flat_workgroup_size: 256
    .name:           _ZN7rocprim17ROCPRIM_400000_NS6detail31init_lookback_scan_state_kernelINS1_19lookback_scan_stateIfLb1ELb1EEENS1_16block_id_wrapperIjLb1EEEEEvT_jT0_jPNS7_10value_typeE
    .private_segment_fixed_size: 0
    .sgpr_count:     18
    .sgpr_spill_count: 0
    .symbol:         _ZN7rocprim17ROCPRIM_400000_NS6detail31init_lookback_scan_state_kernelINS1_19lookback_scan_stateIfLb1ELb1EEENS1_16block_id_wrapperIjLb1EEEEEvT_jT0_jPNS7_10value_typeE.kd
    .uniform_work_group_size: 1
    .uses_dynamic_stack: false
    .vgpr_count:     6
    .vgpr_spill_count: 0
    .wavefront_size: 32
    .workgroup_processor_mode: 1
  - .args:
      - .offset:         0
        .size:           96
        .value_kind:     by_value
    .group_segment_fixed_size: 0
    .kernarg_segment_align: 8
    .kernarg_segment_size: 96
    .language:       OpenCL C
    .language_version:
      - 2
      - 0
    .max_flat_workgroup_size: 256
    .name:           _ZN7rocprim17ROCPRIM_400000_NS6detail17trampoline_kernelINS0_14default_configENS1_20scan_config_selectorIfEEZZNS1_9scan_implILNS1_25lookback_scan_determinismE0ELb0ELb0ES3_PKfPffZZZN2at6native31launch_logcumsumexp_cuda_kernelERKNSB_10TensorBaseESF_lENKUlvE_clEvENKUlvE0_clEvEUlffE_fEEDaPvRmT3_T4_T5_mT6_P12ihipStream_tbENKUlT_T0_E_clISt17integral_constantIbLb1EESW_EEDaSR_SS_EUlSR_E_NS1_11comp_targetILNS1_3genE0ELNS1_11target_archE4294967295ELNS1_3gpuE0ELNS1_3repE0EEENS1_30default_config_static_selectorELNS0_4arch9wavefront6targetE0EEEvT1_
    .private_segment_fixed_size: 0
    .sgpr_count:     0
    .sgpr_spill_count: 0
    .symbol:         _ZN7rocprim17ROCPRIM_400000_NS6detail17trampoline_kernelINS0_14default_configENS1_20scan_config_selectorIfEEZZNS1_9scan_implILNS1_25lookback_scan_determinismE0ELb0ELb0ES3_PKfPffZZZN2at6native31launch_logcumsumexp_cuda_kernelERKNSB_10TensorBaseESF_lENKUlvE_clEvENKUlvE0_clEvEUlffE_fEEDaPvRmT3_T4_T5_mT6_P12ihipStream_tbENKUlT_T0_E_clISt17integral_constantIbLb1EESW_EEDaSR_SS_EUlSR_E_NS1_11comp_targetILNS1_3genE0ELNS1_11target_archE4294967295ELNS1_3gpuE0ELNS1_3repE0EEENS1_30default_config_static_selectorELNS0_4arch9wavefront6targetE0EEEvT1_.kd
    .uniform_work_group_size: 1
    .uses_dynamic_stack: false
    .vgpr_count:     0
    .vgpr_spill_count: 0
    .wavefront_size: 32
    .workgroup_processor_mode: 1
  - .args:
      - .offset:         0
        .size:           96
        .value_kind:     by_value
    .group_segment_fixed_size: 0
    .kernarg_segment_align: 8
    .kernarg_segment_size: 96
    .language:       OpenCL C
    .language_version:
      - 2
      - 0
    .max_flat_workgroup_size: 256
    .name:           _ZN7rocprim17ROCPRIM_400000_NS6detail17trampoline_kernelINS0_14default_configENS1_20scan_config_selectorIfEEZZNS1_9scan_implILNS1_25lookback_scan_determinismE0ELb0ELb0ES3_PKfPffZZZN2at6native31launch_logcumsumexp_cuda_kernelERKNSB_10TensorBaseESF_lENKUlvE_clEvENKUlvE0_clEvEUlffE_fEEDaPvRmT3_T4_T5_mT6_P12ihipStream_tbENKUlT_T0_E_clISt17integral_constantIbLb1EESW_EEDaSR_SS_EUlSR_E_NS1_11comp_targetILNS1_3genE5ELNS1_11target_archE942ELNS1_3gpuE9ELNS1_3repE0EEENS1_30default_config_static_selectorELNS0_4arch9wavefront6targetE0EEEvT1_
    .private_segment_fixed_size: 0
    .sgpr_count:     0
    .sgpr_spill_count: 0
    .symbol:         _ZN7rocprim17ROCPRIM_400000_NS6detail17trampoline_kernelINS0_14default_configENS1_20scan_config_selectorIfEEZZNS1_9scan_implILNS1_25lookback_scan_determinismE0ELb0ELb0ES3_PKfPffZZZN2at6native31launch_logcumsumexp_cuda_kernelERKNSB_10TensorBaseESF_lENKUlvE_clEvENKUlvE0_clEvEUlffE_fEEDaPvRmT3_T4_T5_mT6_P12ihipStream_tbENKUlT_T0_E_clISt17integral_constantIbLb1EESW_EEDaSR_SS_EUlSR_E_NS1_11comp_targetILNS1_3genE5ELNS1_11target_archE942ELNS1_3gpuE9ELNS1_3repE0EEENS1_30default_config_static_selectorELNS0_4arch9wavefront6targetE0EEEvT1_.kd
    .uniform_work_group_size: 1
    .uses_dynamic_stack: false
    .vgpr_count:     0
    .vgpr_spill_count: 0
    .wavefront_size: 32
    .workgroup_processor_mode: 1
  - .args:
      - .offset:         0
        .size:           96
        .value_kind:     by_value
    .group_segment_fixed_size: 0
    .kernarg_segment_align: 8
    .kernarg_segment_size: 96
    .language:       OpenCL C
    .language_version:
      - 2
      - 0
    .max_flat_workgroup_size: 128
    .name:           _ZN7rocprim17ROCPRIM_400000_NS6detail17trampoline_kernelINS0_14default_configENS1_20scan_config_selectorIfEEZZNS1_9scan_implILNS1_25lookback_scan_determinismE0ELb0ELb0ES3_PKfPffZZZN2at6native31launch_logcumsumexp_cuda_kernelERKNSB_10TensorBaseESF_lENKUlvE_clEvENKUlvE0_clEvEUlffE_fEEDaPvRmT3_T4_T5_mT6_P12ihipStream_tbENKUlT_T0_E_clISt17integral_constantIbLb1EESW_EEDaSR_SS_EUlSR_E_NS1_11comp_targetILNS1_3genE4ELNS1_11target_archE910ELNS1_3gpuE8ELNS1_3repE0EEENS1_30default_config_static_selectorELNS0_4arch9wavefront6targetE0EEEvT1_
    .private_segment_fixed_size: 0
    .sgpr_count:     0
    .sgpr_spill_count: 0
    .symbol:         _ZN7rocprim17ROCPRIM_400000_NS6detail17trampoline_kernelINS0_14default_configENS1_20scan_config_selectorIfEEZZNS1_9scan_implILNS1_25lookback_scan_determinismE0ELb0ELb0ES3_PKfPffZZZN2at6native31launch_logcumsumexp_cuda_kernelERKNSB_10TensorBaseESF_lENKUlvE_clEvENKUlvE0_clEvEUlffE_fEEDaPvRmT3_T4_T5_mT6_P12ihipStream_tbENKUlT_T0_E_clISt17integral_constantIbLb1EESW_EEDaSR_SS_EUlSR_E_NS1_11comp_targetILNS1_3genE4ELNS1_11target_archE910ELNS1_3gpuE8ELNS1_3repE0EEENS1_30default_config_static_selectorELNS0_4arch9wavefront6targetE0EEEvT1_.kd
    .uniform_work_group_size: 1
    .uses_dynamic_stack: false
    .vgpr_count:     0
    .vgpr_spill_count: 0
    .wavefront_size: 32
    .workgroup_processor_mode: 1
  - .args:
      - .offset:         0
        .size:           96
        .value_kind:     by_value
    .group_segment_fixed_size: 0
    .kernarg_segment_align: 8
    .kernarg_segment_size: 96
    .language:       OpenCL C
    .language_version:
      - 2
      - 0
    .max_flat_workgroup_size: 256
    .name:           _ZN7rocprim17ROCPRIM_400000_NS6detail17trampoline_kernelINS0_14default_configENS1_20scan_config_selectorIfEEZZNS1_9scan_implILNS1_25lookback_scan_determinismE0ELb0ELb0ES3_PKfPffZZZN2at6native31launch_logcumsumexp_cuda_kernelERKNSB_10TensorBaseESF_lENKUlvE_clEvENKUlvE0_clEvEUlffE_fEEDaPvRmT3_T4_T5_mT6_P12ihipStream_tbENKUlT_T0_E_clISt17integral_constantIbLb1EESW_EEDaSR_SS_EUlSR_E_NS1_11comp_targetILNS1_3genE3ELNS1_11target_archE908ELNS1_3gpuE7ELNS1_3repE0EEENS1_30default_config_static_selectorELNS0_4arch9wavefront6targetE0EEEvT1_
    .private_segment_fixed_size: 0
    .sgpr_count:     0
    .sgpr_spill_count: 0
    .symbol:         _ZN7rocprim17ROCPRIM_400000_NS6detail17trampoline_kernelINS0_14default_configENS1_20scan_config_selectorIfEEZZNS1_9scan_implILNS1_25lookback_scan_determinismE0ELb0ELb0ES3_PKfPffZZZN2at6native31launch_logcumsumexp_cuda_kernelERKNSB_10TensorBaseESF_lENKUlvE_clEvENKUlvE0_clEvEUlffE_fEEDaPvRmT3_T4_T5_mT6_P12ihipStream_tbENKUlT_T0_E_clISt17integral_constantIbLb1EESW_EEDaSR_SS_EUlSR_E_NS1_11comp_targetILNS1_3genE3ELNS1_11target_archE908ELNS1_3gpuE7ELNS1_3repE0EEENS1_30default_config_static_selectorELNS0_4arch9wavefront6targetE0EEEvT1_.kd
    .uniform_work_group_size: 1
    .uses_dynamic_stack: false
    .vgpr_count:     0
    .vgpr_spill_count: 0
    .wavefront_size: 32
    .workgroup_processor_mode: 1
  - .args:
      - .offset:         0
        .size:           96
        .value_kind:     by_value
    .group_segment_fixed_size: 0
    .kernarg_segment_align: 8
    .kernarg_segment_size: 96
    .language:       OpenCL C
    .language_version:
      - 2
      - 0
    .max_flat_workgroup_size: 256
    .name:           _ZN7rocprim17ROCPRIM_400000_NS6detail17trampoline_kernelINS0_14default_configENS1_20scan_config_selectorIfEEZZNS1_9scan_implILNS1_25lookback_scan_determinismE0ELb0ELb0ES3_PKfPffZZZN2at6native31launch_logcumsumexp_cuda_kernelERKNSB_10TensorBaseESF_lENKUlvE_clEvENKUlvE0_clEvEUlffE_fEEDaPvRmT3_T4_T5_mT6_P12ihipStream_tbENKUlT_T0_E_clISt17integral_constantIbLb1EESW_EEDaSR_SS_EUlSR_E_NS1_11comp_targetILNS1_3genE2ELNS1_11target_archE906ELNS1_3gpuE6ELNS1_3repE0EEENS1_30default_config_static_selectorELNS0_4arch9wavefront6targetE0EEEvT1_
    .private_segment_fixed_size: 0
    .sgpr_count:     0
    .sgpr_spill_count: 0
    .symbol:         _ZN7rocprim17ROCPRIM_400000_NS6detail17trampoline_kernelINS0_14default_configENS1_20scan_config_selectorIfEEZZNS1_9scan_implILNS1_25lookback_scan_determinismE0ELb0ELb0ES3_PKfPffZZZN2at6native31launch_logcumsumexp_cuda_kernelERKNSB_10TensorBaseESF_lENKUlvE_clEvENKUlvE0_clEvEUlffE_fEEDaPvRmT3_T4_T5_mT6_P12ihipStream_tbENKUlT_T0_E_clISt17integral_constantIbLb1EESW_EEDaSR_SS_EUlSR_E_NS1_11comp_targetILNS1_3genE2ELNS1_11target_archE906ELNS1_3gpuE6ELNS1_3repE0EEENS1_30default_config_static_selectorELNS0_4arch9wavefront6targetE0EEEvT1_.kd
    .uniform_work_group_size: 1
    .uses_dynamic_stack: false
    .vgpr_count:     0
    .vgpr_spill_count: 0
    .wavefront_size: 32
    .workgroup_processor_mode: 1
  - .args:
      - .offset:         0
        .size:           96
        .value_kind:     by_value
    .group_segment_fixed_size: 0
    .kernarg_segment_align: 8
    .kernarg_segment_size: 96
    .language:       OpenCL C
    .language_version:
      - 2
      - 0
    .max_flat_workgroup_size: 256
    .name:           _ZN7rocprim17ROCPRIM_400000_NS6detail17trampoline_kernelINS0_14default_configENS1_20scan_config_selectorIfEEZZNS1_9scan_implILNS1_25lookback_scan_determinismE0ELb0ELb0ES3_PKfPffZZZN2at6native31launch_logcumsumexp_cuda_kernelERKNSB_10TensorBaseESF_lENKUlvE_clEvENKUlvE0_clEvEUlffE_fEEDaPvRmT3_T4_T5_mT6_P12ihipStream_tbENKUlT_T0_E_clISt17integral_constantIbLb1EESW_EEDaSR_SS_EUlSR_E_NS1_11comp_targetILNS1_3genE10ELNS1_11target_archE1201ELNS1_3gpuE5ELNS1_3repE0EEENS1_30default_config_static_selectorELNS0_4arch9wavefront6targetE0EEEvT1_
    .private_segment_fixed_size: 0
    .sgpr_count:     0
    .sgpr_spill_count: 0
    .symbol:         _ZN7rocprim17ROCPRIM_400000_NS6detail17trampoline_kernelINS0_14default_configENS1_20scan_config_selectorIfEEZZNS1_9scan_implILNS1_25lookback_scan_determinismE0ELb0ELb0ES3_PKfPffZZZN2at6native31launch_logcumsumexp_cuda_kernelERKNSB_10TensorBaseESF_lENKUlvE_clEvENKUlvE0_clEvEUlffE_fEEDaPvRmT3_T4_T5_mT6_P12ihipStream_tbENKUlT_T0_E_clISt17integral_constantIbLb1EESW_EEDaSR_SS_EUlSR_E_NS1_11comp_targetILNS1_3genE10ELNS1_11target_archE1201ELNS1_3gpuE5ELNS1_3repE0EEENS1_30default_config_static_selectorELNS0_4arch9wavefront6targetE0EEEvT1_.kd
    .uniform_work_group_size: 1
    .uses_dynamic_stack: false
    .vgpr_count:     0
    .vgpr_spill_count: 0
    .wavefront_size: 32
    .workgroup_processor_mode: 1
  - .args:
      - .offset:         0
        .size:           96
        .value_kind:     by_value
    .group_segment_fixed_size: 0
    .kernarg_segment_align: 8
    .kernarg_segment_size: 96
    .language:       OpenCL C
    .language_version:
      - 2
      - 0
    .max_flat_workgroup_size: 256
    .name:           _ZN7rocprim17ROCPRIM_400000_NS6detail17trampoline_kernelINS0_14default_configENS1_20scan_config_selectorIfEEZZNS1_9scan_implILNS1_25lookback_scan_determinismE0ELb0ELb0ES3_PKfPffZZZN2at6native31launch_logcumsumexp_cuda_kernelERKNSB_10TensorBaseESF_lENKUlvE_clEvENKUlvE0_clEvEUlffE_fEEDaPvRmT3_T4_T5_mT6_P12ihipStream_tbENKUlT_T0_E_clISt17integral_constantIbLb1EESW_EEDaSR_SS_EUlSR_E_NS1_11comp_targetILNS1_3genE10ELNS1_11target_archE1200ELNS1_3gpuE4ELNS1_3repE0EEENS1_30default_config_static_selectorELNS0_4arch9wavefront6targetE0EEEvT1_
    .private_segment_fixed_size: 0
    .sgpr_count:     0
    .sgpr_spill_count: 0
    .symbol:         _ZN7rocprim17ROCPRIM_400000_NS6detail17trampoline_kernelINS0_14default_configENS1_20scan_config_selectorIfEEZZNS1_9scan_implILNS1_25lookback_scan_determinismE0ELb0ELb0ES3_PKfPffZZZN2at6native31launch_logcumsumexp_cuda_kernelERKNSB_10TensorBaseESF_lENKUlvE_clEvENKUlvE0_clEvEUlffE_fEEDaPvRmT3_T4_T5_mT6_P12ihipStream_tbENKUlT_T0_E_clISt17integral_constantIbLb1EESW_EEDaSR_SS_EUlSR_E_NS1_11comp_targetILNS1_3genE10ELNS1_11target_archE1200ELNS1_3gpuE4ELNS1_3repE0EEENS1_30default_config_static_selectorELNS0_4arch9wavefront6targetE0EEEvT1_.kd
    .uniform_work_group_size: 1
    .uses_dynamic_stack: false
    .vgpr_count:     0
    .vgpr_spill_count: 0
    .wavefront_size: 32
    .workgroup_processor_mode: 1
  - .args:
      - .offset:         0
        .size:           96
        .value_kind:     by_value
    .group_segment_fixed_size: 4224
    .kernarg_segment_align: 8
    .kernarg_segment_size: 96
    .language:       OpenCL C
    .language_version:
      - 2
      - 0
    .max_flat_workgroup_size: 256
    .name:           _ZN7rocprim17ROCPRIM_400000_NS6detail17trampoline_kernelINS0_14default_configENS1_20scan_config_selectorIfEEZZNS1_9scan_implILNS1_25lookback_scan_determinismE0ELb0ELb0ES3_PKfPffZZZN2at6native31launch_logcumsumexp_cuda_kernelERKNSB_10TensorBaseESF_lENKUlvE_clEvENKUlvE0_clEvEUlffE_fEEDaPvRmT3_T4_T5_mT6_P12ihipStream_tbENKUlT_T0_E_clISt17integral_constantIbLb1EESW_EEDaSR_SS_EUlSR_E_NS1_11comp_targetILNS1_3genE9ELNS1_11target_archE1100ELNS1_3gpuE3ELNS1_3repE0EEENS1_30default_config_static_selectorELNS0_4arch9wavefront6targetE0EEEvT1_
    .private_segment_fixed_size: 0
    .sgpr_count:     36
    .sgpr_spill_count: 0
    .symbol:         _ZN7rocprim17ROCPRIM_400000_NS6detail17trampoline_kernelINS0_14default_configENS1_20scan_config_selectorIfEEZZNS1_9scan_implILNS1_25lookback_scan_determinismE0ELb0ELb0ES3_PKfPffZZZN2at6native31launch_logcumsumexp_cuda_kernelERKNSB_10TensorBaseESF_lENKUlvE_clEvENKUlvE0_clEvEUlffE_fEEDaPvRmT3_T4_T5_mT6_P12ihipStream_tbENKUlT_T0_E_clISt17integral_constantIbLb1EESW_EEDaSR_SS_EUlSR_E_NS1_11comp_targetILNS1_3genE9ELNS1_11target_archE1100ELNS1_3gpuE3ELNS1_3repE0EEENS1_30default_config_static_selectorELNS0_4arch9wavefront6targetE0EEEvT1_.kd
    .uniform_work_group_size: 1
    .uses_dynamic_stack: false
    .vgpr_count:     46
    .vgpr_spill_count: 0
    .wavefront_size: 32
    .workgroup_processor_mode: 1
  - .args:
      - .offset:         0
        .size:           96
        .value_kind:     by_value
    .group_segment_fixed_size: 0
    .kernarg_segment_align: 8
    .kernarg_segment_size: 96
    .language:       OpenCL C
    .language_version:
      - 2
      - 0
    .max_flat_workgroup_size: 64
    .name:           _ZN7rocprim17ROCPRIM_400000_NS6detail17trampoline_kernelINS0_14default_configENS1_20scan_config_selectorIfEEZZNS1_9scan_implILNS1_25lookback_scan_determinismE0ELb0ELb0ES3_PKfPffZZZN2at6native31launch_logcumsumexp_cuda_kernelERKNSB_10TensorBaseESF_lENKUlvE_clEvENKUlvE0_clEvEUlffE_fEEDaPvRmT3_T4_T5_mT6_P12ihipStream_tbENKUlT_T0_E_clISt17integral_constantIbLb1EESW_EEDaSR_SS_EUlSR_E_NS1_11comp_targetILNS1_3genE8ELNS1_11target_archE1030ELNS1_3gpuE2ELNS1_3repE0EEENS1_30default_config_static_selectorELNS0_4arch9wavefront6targetE0EEEvT1_
    .private_segment_fixed_size: 0
    .sgpr_count:     0
    .sgpr_spill_count: 0
    .symbol:         _ZN7rocprim17ROCPRIM_400000_NS6detail17trampoline_kernelINS0_14default_configENS1_20scan_config_selectorIfEEZZNS1_9scan_implILNS1_25lookback_scan_determinismE0ELb0ELb0ES3_PKfPffZZZN2at6native31launch_logcumsumexp_cuda_kernelERKNSB_10TensorBaseESF_lENKUlvE_clEvENKUlvE0_clEvEUlffE_fEEDaPvRmT3_T4_T5_mT6_P12ihipStream_tbENKUlT_T0_E_clISt17integral_constantIbLb1EESW_EEDaSR_SS_EUlSR_E_NS1_11comp_targetILNS1_3genE8ELNS1_11target_archE1030ELNS1_3gpuE2ELNS1_3repE0EEENS1_30default_config_static_selectorELNS0_4arch9wavefront6targetE0EEEvT1_.kd
    .uniform_work_group_size: 1
    .uses_dynamic_stack: false
    .vgpr_count:     0
    .vgpr_spill_count: 0
    .wavefront_size: 32
    .workgroup_processor_mode: 1
  - .args:
      - .offset:         0
        .size:           32
        .value_kind:     by_value
    .group_segment_fixed_size: 0
    .kernarg_segment_align: 8
    .kernarg_segment_size: 32
    .language:       OpenCL C
    .language_version:
      - 2
      - 0
    .max_flat_workgroup_size: 256
    .name:           _ZN7rocprim17ROCPRIM_400000_NS6detail17trampoline_kernelINS0_14default_configENS1_20scan_config_selectorIfEEZZNS1_9scan_implILNS1_25lookback_scan_determinismE0ELb0ELb0ES3_PKfPffZZZN2at6native31launch_logcumsumexp_cuda_kernelERKNSB_10TensorBaseESF_lENKUlvE_clEvENKUlvE0_clEvEUlffE_fEEDaPvRmT3_T4_T5_mT6_P12ihipStream_tbENKUlT_T0_E_clISt17integral_constantIbLb1EESW_EEDaSR_SS_EUlSR_E0_NS1_11comp_targetILNS1_3genE0ELNS1_11target_archE4294967295ELNS1_3gpuE0ELNS1_3repE0EEENS1_30default_config_static_selectorELNS0_4arch9wavefront6targetE0EEEvT1_
    .private_segment_fixed_size: 0
    .sgpr_count:     0
    .sgpr_spill_count: 0
    .symbol:         _ZN7rocprim17ROCPRIM_400000_NS6detail17trampoline_kernelINS0_14default_configENS1_20scan_config_selectorIfEEZZNS1_9scan_implILNS1_25lookback_scan_determinismE0ELb0ELb0ES3_PKfPffZZZN2at6native31launch_logcumsumexp_cuda_kernelERKNSB_10TensorBaseESF_lENKUlvE_clEvENKUlvE0_clEvEUlffE_fEEDaPvRmT3_T4_T5_mT6_P12ihipStream_tbENKUlT_T0_E_clISt17integral_constantIbLb1EESW_EEDaSR_SS_EUlSR_E0_NS1_11comp_targetILNS1_3genE0ELNS1_11target_archE4294967295ELNS1_3gpuE0ELNS1_3repE0EEENS1_30default_config_static_selectorELNS0_4arch9wavefront6targetE0EEEvT1_.kd
    .uniform_work_group_size: 1
    .uses_dynamic_stack: false
    .vgpr_count:     0
    .vgpr_spill_count: 0
    .wavefront_size: 32
    .workgroup_processor_mode: 1
  - .args:
      - .offset:         0
        .size:           32
        .value_kind:     by_value
    .group_segment_fixed_size: 0
    .kernarg_segment_align: 8
    .kernarg_segment_size: 32
    .language:       OpenCL C
    .language_version:
      - 2
      - 0
    .max_flat_workgroup_size: 256
    .name:           _ZN7rocprim17ROCPRIM_400000_NS6detail17trampoline_kernelINS0_14default_configENS1_20scan_config_selectorIfEEZZNS1_9scan_implILNS1_25lookback_scan_determinismE0ELb0ELb0ES3_PKfPffZZZN2at6native31launch_logcumsumexp_cuda_kernelERKNSB_10TensorBaseESF_lENKUlvE_clEvENKUlvE0_clEvEUlffE_fEEDaPvRmT3_T4_T5_mT6_P12ihipStream_tbENKUlT_T0_E_clISt17integral_constantIbLb1EESW_EEDaSR_SS_EUlSR_E0_NS1_11comp_targetILNS1_3genE5ELNS1_11target_archE942ELNS1_3gpuE9ELNS1_3repE0EEENS1_30default_config_static_selectorELNS0_4arch9wavefront6targetE0EEEvT1_
    .private_segment_fixed_size: 0
    .sgpr_count:     0
    .sgpr_spill_count: 0
    .symbol:         _ZN7rocprim17ROCPRIM_400000_NS6detail17trampoline_kernelINS0_14default_configENS1_20scan_config_selectorIfEEZZNS1_9scan_implILNS1_25lookback_scan_determinismE0ELb0ELb0ES3_PKfPffZZZN2at6native31launch_logcumsumexp_cuda_kernelERKNSB_10TensorBaseESF_lENKUlvE_clEvENKUlvE0_clEvEUlffE_fEEDaPvRmT3_T4_T5_mT6_P12ihipStream_tbENKUlT_T0_E_clISt17integral_constantIbLb1EESW_EEDaSR_SS_EUlSR_E0_NS1_11comp_targetILNS1_3genE5ELNS1_11target_archE942ELNS1_3gpuE9ELNS1_3repE0EEENS1_30default_config_static_selectorELNS0_4arch9wavefront6targetE0EEEvT1_.kd
    .uniform_work_group_size: 1
    .uses_dynamic_stack: false
    .vgpr_count:     0
    .vgpr_spill_count: 0
    .wavefront_size: 32
    .workgroup_processor_mode: 1
  - .args:
      - .offset:         0
        .size:           32
        .value_kind:     by_value
    .group_segment_fixed_size: 0
    .kernarg_segment_align: 8
    .kernarg_segment_size: 32
    .language:       OpenCL C
    .language_version:
      - 2
      - 0
    .max_flat_workgroup_size: 128
    .name:           _ZN7rocprim17ROCPRIM_400000_NS6detail17trampoline_kernelINS0_14default_configENS1_20scan_config_selectorIfEEZZNS1_9scan_implILNS1_25lookback_scan_determinismE0ELb0ELb0ES3_PKfPffZZZN2at6native31launch_logcumsumexp_cuda_kernelERKNSB_10TensorBaseESF_lENKUlvE_clEvENKUlvE0_clEvEUlffE_fEEDaPvRmT3_T4_T5_mT6_P12ihipStream_tbENKUlT_T0_E_clISt17integral_constantIbLb1EESW_EEDaSR_SS_EUlSR_E0_NS1_11comp_targetILNS1_3genE4ELNS1_11target_archE910ELNS1_3gpuE8ELNS1_3repE0EEENS1_30default_config_static_selectorELNS0_4arch9wavefront6targetE0EEEvT1_
    .private_segment_fixed_size: 0
    .sgpr_count:     0
    .sgpr_spill_count: 0
    .symbol:         _ZN7rocprim17ROCPRIM_400000_NS6detail17trampoline_kernelINS0_14default_configENS1_20scan_config_selectorIfEEZZNS1_9scan_implILNS1_25lookback_scan_determinismE0ELb0ELb0ES3_PKfPffZZZN2at6native31launch_logcumsumexp_cuda_kernelERKNSB_10TensorBaseESF_lENKUlvE_clEvENKUlvE0_clEvEUlffE_fEEDaPvRmT3_T4_T5_mT6_P12ihipStream_tbENKUlT_T0_E_clISt17integral_constantIbLb1EESW_EEDaSR_SS_EUlSR_E0_NS1_11comp_targetILNS1_3genE4ELNS1_11target_archE910ELNS1_3gpuE8ELNS1_3repE0EEENS1_30default_config_static_selectorELNS0_4arch9wavefront6targetE0EEEvT1_.kd
    .uniform_work_group_size: 1
    .uses_dynamic_stack: false
    .vgpr_count:     0
    .vgpr_spill_count: 0
    .wavefront_size: 32
    .workgroup_processor_mode: 1
  - .args:
      - .offset:         0
        .size:           32
        .value_kind:     by_value
    .group_segment_fixed_size: 0
    .kernarg_segment_align: 8
    .kernarg_segment_size: 32
    .language:       OpenCL C
    .language_version:
      - 2
      - 0
    .max_flat_workgroup_size: 256
    .name:           _ZN7rocprim17ROCPRIM_400000_NS6detail17trampoline_kernelINS0_14default_configENS1_20scan_config_selectorIfEEZZNS1_9scan_implILNS1_25lookback_scan_determinismE0ELb0ELb0ES3_PKfPffZZZN2at6native31launch_logcumsumexp_cuda_kernelERKNSB_10TensorBaseESF_lENKUlvE_clEvENKUlvE0_clEvEUlffE_fEEDaPvRmT3_T4_T5_mT6_P12ihipStream_tbENKUlT_T0_E_clISt17integral_constantIbLb1EESW_EEDaSR_SS_EUlSR_E0_NS1_11comp_targetILNS1_3genE3ELNS1_11target_archE908ELNS1_3gpuE7ELNS1_3repE0EEENS1_30default_config_static_selectorELNS0_4arch9wavefront6targetE0EEEvT1_
    .private_segment_fixed_size: 0
    .sgpr_count:     0
    .sgpr_spill_count: 0
    .symbol:         _ZN7rocprim17ROCPRIM_400000_NS6detail17trampoline_kernelINS0_14default_configENS1_20scan_config_selectorIfEEZZNS1_9scan_implILNS1_25lookback_scan_determinismE0ELb0ELb0ES3_PKfPffZZZN2at6native31launch_logcumsumexp_cuda_kernelERKNSB_10TensorBaseESF_lENKUlvE_clEvENKUlvE0_clEvEUlffE_fEEDaPvRmT3_T4_T5_mT6_P12ihipStream_tbENKUlT_T0_E_clISt17integral_constantIbLb1EESW_EEDaSR_SS_EUlSR_E0_NS1_11comp_targetILNS1_3genE3ELNS1_11target_archE908ELNS1_3gpuE7ELNS1_3repE0EEENS1_30default_config_static_selectorELNS0_4arch9wavefront6targetE0EEEvT1_.kd
    .uniform_work_group_size: 1
    .uses_dynamic_stack: false
    .vgpr_count:     0
    .vgpr_spill_count: 0
    .wavefront_size: 32
    .workgroup_processor_mode: 1
  - .args:
      - .offset:         0
        .size:           32
        .value_kind:     by_value
    .group_segment_fixed_size: 0
    .kernarg_segment_align: 8
    .kernarg_segment_size: 32
    .language:       OpenCL C
    .language_version:
      - 2
      - 0
    .max_flat_workgroup_size: 256
    .name:           _ZN7rocprim17ROCPRIM_400000_NS6detail17trampoline_kernelINS0_14default_configENS1_20scan_config_selectorIfEEZZNS1_9scan_implILNS1_25lookback_scan_determinismE0ELb0ELb0ES3_PKfPffZZZN2at6native31launch_logcumsumexp_cuda_kernelERKNSB_10TensorBaseESF_lENKUlvE_clEvENKUlvE0_clEvEUlffE_fEEDaPvRmT3_T4_T5_mT6_P12ihipStream_tbENKUlT_T0_E_clISt17integral_constantIbLb1EESW_EEDaSR_SS_EUlSR_E0_NS1_11comp_targetILNS1_3genE2ELNS1_11target_archE906ELNS1_3gpuE6ELNS1_3repE0EEENS1_30default_config_static_selectorELNS0_4arch9wavefront6targetE0EEEvT1_
    .private_segment_fixed_size: 0
    .sgpr_count:     0
    .sgpr_spill_count: 0
    .symbol:         _ZN7rocprim17ROCPRIM_400000_NS6detail17trampoline_kernelINS0_14default_configENS1_20scan_config_selectorIfEEZZNS1_9scan_implILNS1_25lookback_scan_determinismE0ELb0ELb0ES3_PKfPffZZZN2at6native31launch_logcumsumexp_cuda_kernelERKNSB_10TensorBaseESF_lENKUlvE_clEvENKUlvE0_clEvEUlffE_fEEDaPvRmT3_T4_T5_mT6_P12ihipStream_tbENKUlT_T0_E_clISt17integral_constantIbLb1EESW_EEDaSR_SS_EUlSR_E0_NS1_11comp_targetILNS1_3genE2ELNS1_11target_archE906ELNS1_3gpuE6ELNS1_3repE0EEENS1_30default_config_static_selectorELNS0_4arch9wavefront6targetE0EEEvT1_.kd
    .uniform_work_group_size: 1
    .uses_dynamic_stack: false
    .vgpr_count:     0
    .vgpr_spill_count: 0
    .wavefront_size: 32
    .workgroup_processor_mode: 1
  - .args:
      - .offset:         0
        .size:           32
        .value_kind:     by_value
    .group_segment_fixed_size: 0
    .kernarg_segment_align: 8
    .kernarg_segment_size: 32
    .language:       OpenCL C
    .language_version:
      - 2
      - 0
    .max_flat_workgroup_size: 256
    .name:           _ZN7rocprim17ROCPRIM_400000_NS6detail17trampoline_kernelINS0_14default_configENS1_20scan_config_selectorIfEEZZNS1_9scan_implILNS1_25lookback_scan_determinismE0ELb0ELb0ES3_PKfPffZZZN2at6native31launch_logcumsumexp_cuda_kernelERKNSB_10TensorBaseESF_lENKUlvE_clEvENKUlvE0_clEvEUlffE_fEEDaPvRmT3_T4_T5_mT6_P12ihipStream_tbENKUlT_T0_E_clISt17integral_constantIbLb1EESW_EEDaSR_SS_EUlSR_E0_NS1_11comp_targetILNS1_3genE10ELNS1_11target_archE1201ELNS1_3gpuE5ELNS1_3repE0EEENS1_30default_config_static_selectorELNS0_4arch9wavefront6targetE0EEEvT1_
    .private_segment_fixed_size: 0
    .sgpr_count:     0
    .sgpr_spill_count: 0
    .symbol:         _ZN7rocprim17ROCPRIM_400000_NS6detail17trampoline_kernelINS0_14default_configENS1_20scan_config_selectorIfEEZZNS1_9scan_implILNS1_25lookback_scan_determinismE0ELb0ELb0ES3_PKfPffZZZN2at6native31launch_logcumsumexp_cuda_kernelERKNSB_10TensorBaseESF_lENKUlvE_clEvENKUlvE0_clEvEUlffE_fEEDaPvRmT3_T4_T5_mT6_P12ihipStream_tbENKUlT_T0_E_clISt17integral_constantIbLb1EESW_EEDaSR_SS_EUlSR_E0_NS1_11comp_targetILNS1_3genE10ELNS1_11target_archE1201ELNS1_3gpuE5ELNS1_3repE0EEENS1_30default_config_static_selectorELNS0_4arch9wavefront6targetE0EEEvT1_.kd
    .uniform_work_group_size: 1
    .uses_dynamic_stack: false
    .vgpr_count:     0
    .vgpr_spill_count: 0
    .wavefront_size: 32
    .workgroup_processor_mode: 1
  - .args:
      - .offset:         0
        .size:           32
        .value_kind:     by_value
    .group_segment_fixed_size: 0
    .kernarg_segment_align: 8
    .kernarg_segment_size: 32
    .language:       OpenCL C
    .language_version:
      - 2
      - 0
    .max_flat_workgroup_size: 256
    .name:           _ZN7rocprim17ROCPRIM_400000_NS6detail17trampoline_kernelINS0_14default_configENS1_20scan_config_selectorIfEEZZNS1_9scan_implILNS1_25lookback_scan_determinismE0ELb0ELb0ES3_PKfPffZZZN2at6native31launch_logcumsumexp_cuda_kernelERKNSB_10TensorBaseESF_lENKUlvE_clEvENKUlvE0_clEvEUlffE_fEEDaPvRmT3_T4_T5_mT6_P12ihipStream_tbENKUlT_T0_E_clISt17integral_constantIbLb1EESW_EEDaSR_SS_EUlSR_E0_NS1_11comp_targetILNS1_3genE10ELNS1_11target_archE1200ELNS1_3gpuE4ELNS1_3repE0EEENS1_30default_config_static_selectorELNS0_4arch9wavefront6targetE0EEEvT1_
    .private_segment_fixed_size: 0
    .sgpr_count:     0
    .sgpr_spill_count: 0
    .symbol:         _ZN7rocprim17ROCPRIM_400000_NS6detail17trampoline_kernelINS0_14default_configENS1_20scan_config_selectorIfEEZZNS1_9scan_implILNS1_25lookback_scan_determinismE0ELb0ELb0ES3_PKfPffZZZN2at6native31launch_logcumsumexp_cuda_kernelERKNSB_10TensorBaseESF_lENKUlvE_clEvENKUlvE0_clEvEUlffE_fEEDaPvRmT3_T4_T5_mT6_P12ihipStream_tbENKUlT_T0_E_clISt17integral_constantIbLb1EESW_EEDaSR_SS_EUlSR_E0_NS1_11comp_targetILNS1_3genE10ELNS1_11target_archE1200ELNS1_3gpuE4ELNS1_3repE0EEENS1_30default_config_static_selectorELNS0_4arch9wavefront6targetE0EEEvT1_.kd
    .uniform_work_group_size: 1
    .uses_dynamic_stack: false
    .vgpr_count:     0
    .vgpr_spill_count: 0
    .wavefront_size: 32
    .workgroup_processor_mode: 1
  - .args:
      - .offset:         0
        .size:           32
        .value_kind:     by_value
    .group_segment_fixed_size: 4224
    .kernarg_segment_align: 8
    .kernarg_segment_size: 32
    .language:       OpenCL C
    .language_version:
      - 2
      - 0
    .max_flat_workgroup_size: 256
    .name:           _ZN7rocprim17ROCPRIM_400000_NS6detail17trampoline_kernelINS0_14default_configENS1_20scan_config_selectorIfEEZZNS1_9scan_implILNS1_25lookback_scan_determinismE0ELb0ELb0ES3_PKfPffZZZN2at6native31launch_logcumsumexp_cuda_kernelERKNSB_10TensorBaseESF_lENKUlvE_clEvENKUlvE0_clEvEUlffE_fEEDaPvRmT3_T4_T5_mT6_P12ihipStream_tbENKUlT_T0_E_clISt17integral_constantIbLb1EESW_EEDaSR_SS_EUlSR_E0_NS1_11comp_targetILNS1_3genE9ELNS1_11target_archE1100ELNS1_3gpuE3ELNS1_3repE0EEENS1_30default_config_static_selectorELNS0_4arch9wavefront6targetE0EEEvT1_
    .private_segment_fixed_size: 0
    .sgpr_count:     17
    .sgpr_spill_count: 0
    .symbol:         _ZN7rocprim17ROCPRIM_400000_NS6detail17trampoline_kernelINS0_14default_configENS1_20scan_config_selectorIfEEZZNS1_9scan_implILNS1_25lookback_scan_determinismE0ELb0ELb0ES3_PKfPffZZZN2at6native31launch_logcumsumexp_cuda_kernelERKNSB_10TensorBaseESF_lENKUlvE_clEvENKUlvE0_clEvEUlffE_fEEDaPvRmT3_T4_T5_mT6_P12ihipStream_tbENKUlT_T0_E_clISt17integral_constantIbLb1EESW_EEDaSR_SS_EUlSR_E0_NS1_11comp_targetILNS1_3genE9ELNS1_11target_archE1100ELNS1_3gpuE3ELNS1_3repE0EEENS1_30default_config_static_selectorELNS0_4arch9wavefront6targetE0EEEvT1_.kd
    .uniform_work_group_size: 1
    .uses_dynamic_stack: false
    .vgpr_count:     37
    .vgpr_spill_count: 0
    .wavefront_size: 32
    .workgroup_processor_mode: 1
  - .args:
      - .offset:         0
        .size:           32
        .value_kind:     by_value
    .group_segment_fixed_size: 0
    .kernarg_segment_align: 8
    .kernarg_segment_size: 32
    .language:       OpenCL C
    .language_version:
      - 2
      - 0
    .max_flat_workgroup_size: 64
    .name:           _ZN7rocprim17ROCPRIM_400000_NS6detail17trampoline_kernelINS0_14default_configENS1_20scan_config_selectorIfEEZZNS1_9scan_implILNS1_25lookback_scan_determinismE0ELb0ELb0ES3_PKfPffZZZN2at6native31launch_logcumsumexp_cuda_kernelERKNSB_10TensorBaseESF_lENKUlvE_clEvENKUlvE0_clEvEUlffE_fEEDaPvRmT3_T4_T5_mT6_P12ihipStream_tbENKUlT_T0_E_clISt17integral_constantIbLb1EESW_EEDaSR_SS_EUlSR_E0_NS1_11comp_targetILNS1_3genE8ELNS1_11target_archE1030ELNS1_3gpuE2ELNS1_3repE0EEENS1_30default_config_static_selectorELNS0_4arch9wavefront6targetE0EEEvT1_
    .private_segment_fixed_size: 0
    .sgpr_count:     0
    .sgpr_spill_count: 0
    .symbol:         _ZN7rocprim17ROCPRIM_400000_NS6detail17trampoline_kernelINS0_14default_configENS1_20scan_config_selectorIfEEZZNS1_9scan_implILNS1_25lookback_scan_determinismE0ELb0ELb0ES3_PKfPffZZZN2at6native31launch_logcumsumexp_cuda_kernelERKNSB_10TensorBaseESF_lENKUlvE_clEvENKUlvE0_clEvEUlffE_fEEDaPvRmT3_T4_T5_mT6_P12ihipStream_tbENKUlT_T0_E_clISt17integral_constantIbLb1EESW_EEDaSR_SS_EUlSR_E0_NS1_11comp_targetILNS1_3genE8ELNS1_11target_archE1030ELNS1_3gpuE2ELNS1_3repE0EEENS1_30default_config_static_selectorELNS0_4arch9wavefront6targetE0EEEvT1_.kd
    .uniform_work_group_size: 1
    .uses_dynamic_stack: false
    .vgpr_count:     0
    .vgpr_spill_count: 0
    .wavefront_size: 32
    .workgroup_processor_mode: 1
  - .args:
      - .address_space:  global
        .offset:         0
        .size:           8
        .value_kind:     global_buffer
      - .offset:         8
        .size:           4
        .value_kind:     by_value
      - .offset:         12
        .size:           1
        .value_kind:     by_value
      - .offset:         16
        .size:           4
        .value_kind:     by_value
      - .address_space:  global
        .offset:         24
        .size:           8
        .value_kind:     global_buffer
      - .offset:         32
        .size:           4
        .value_kind:     hidden_block_count_x
      - .offset:         36
        .size:           4
        .value_kind:     hidden_block_count_y
      - .offset:         40
        .size:           4
        .value_kind:     hidden_block_count_z
      - .offset:         44
        .size:           2
        .value_kind:     hidden_group_size_x
      - .offset:         46
        .size:           2
        .value_kind:     hidden_group_size_y
      - .offset:         48
        .size:           2
        .value_kind:     hidden_group_size_z
      - .offset:         50
        .size:           2
        .value_kind:     hidden_remainder_x
      - .offset:         52
        .size:           2
        .value_kind:     hidden_remainder_y
      - .offset:         54
        .size:           2
        .value_kind:     hidden_remainder_z
      - .offset:         72
        .size:           8
        .value_kind:     hidden_global_offset_x
      - .offset:         80
        .size:           8
        .value_kind:     hidden_global_offset_y
      - .offset:         88
        .size:           8
        .value_kind:     hidden_global_offset_z
      - .offset:         96
        .size:           2
        .value_kind:     hidden_grid_dims
    .group_segment_fixed_size: 0
    .kernarg_segment_align: 8
    .kernarg_segment_size: 288
    .language:       OpenCL C
    .language_version:
      - 2
      - 0
    .max_flat_workgroup_size: 256
    .name:           _ZN7rocprim17ROCPRIM_400000_NS6detail31init_lookback_scan_state_kernelINS1_19lookback_scan_stateIfLb1ELb1EEENS1_16block_id_wrapperIjLb0EEEEEvT_jT0_jPNS7_10value_typeE
    .private_segment_fixed_size: 0
    .sgpr_count:     18
    .sgpr_spill_count: 0
    .symbol:         _ZN7rocprim17ROCPRIM_400000_NS6detail31init_lookback_scan_state_kernelINS1_19lookback_scan_stateIfLb1ELb1EEENS1_16block_id_wrapperIjLb0EEEEEvT_jT0_jPNS7_10value_typeE.kd
    .uniform_work_group_size: 1
    .uses_dynamic_stack: false
    .vgpr_count:     6
    .vgpr_spill_count: 0
    .wavefront_size: 32
    .workgroup_processor_mode: 1
  - .args:
      - .offset:         0
        .size:           96
        .value_kind:     by_value
    .group_segment_fixed_size: 0
    .kernarg_segment_align: 8
    .kernarg_segment_size: 96
    .language:       OpenCL C
    .language_version:
      - 2
      - 0
    .max_flat_workgroup_size: 256
    .name:           _ZN7rocprim17ROCPRIM_400000_NS6detail17trampoline_kernelINS0_14default_configENS1_20scan_config_selectorIfEEZZNS1_9scan_implILNS1_25lookback_scan_determinismE0ELb0ELb0ES3_PKfPffZZZN2at6native31launch_logcumsumexp_cuda_kernelERKNSB_10TensorBaseESF_lENKUlvE_clEvENKUlvE0_clEvEUlffE_fEEDaPvRmT3_T4_T5_mT6_P12ihipStream_tbENKUlT_T0_E_clISt17integral_constantIbLb1EESV_IbLb0EEEEDaSR_SS_EUlSR_E_NS1_11comp_targetILNS1_3genE0ELNS1_11target_archE4294967295ELNS1_3gpuE0ELNS1_3repE0EEENS1_30default_config_static_selectorELNS0_4arch9wavefront6targetE0EEEvT1_
    .private_segment_fixed_size: 0
    .sgpr_count:     0
    .sgpr_spill_count: 0
    .symbol:         _ZN7rocprim17ROCPRIM_400000_NS6detail17trampoline_kernelINS0_14default_configENS1_20scan_config_selectorIfEEZZNS1_9scan_implILNS1_25lookback_scan_determinismE0ELb0ELb0ES3_PKfPffZZZN2at6native31launch_logcumsumexp_cuda_kernelERKNSB_10TensorBaseESF_lENKUlvE_clEvENKUlvE0_clEvEUlffE_fEEDaPvRmT3_T4_T5_mT6_P12ihipStream_tbENKUlT_T0_E_clISt17integral_constantIbLb1EESV_IbLb0EEEEDaSR_SS_EUlSR_E_NS1_11comp_targetILNS1_3genE0ELNS1_11target_archE4294967295ELNS1_3gpuE0ELNS1_3repE0EEENS1_30default_config_static_selectorELNS0_4arch9wavefront6targetE0EEEvT1_.kd
    .uniform_work_group_size: 1
    .uses_dynamic_stack: false
    .vgpr_count:     0
    .vgpr_spill_count: 0
    .wavefront_size: 32
    .workgroup_processor_mode: 1
  - .args:
      - .offset:         0
        .size:           96
        .value_kind:     by_value
    .group_segment_fixed_size: 0
    .kernarg_segment_align: 8
    .kernarg_segment_size: 96
    .language:       OpenCL C
    .language_version:
      - 2
      - 0
    .max_flat_workgroup_size: 256
    .name:           _ZN7rocprim17ROCPRIM_400000_NS6detail17trampoline_kernelINS0_14default_configENS1_20scan_config_selectorIfEEZZNS1_9scan_implILNS1_25lookback_scan_determinismE0ELb0ELb0ES3_PKfPffZZZN2at6native31launch_logcumsumexp_cuda_kernelERKNSB_10TensorBaseESF_lENKUlvE_clEvENKUlvE0_clEvEUlffE_fEEDaPvRmT3_T4_T5_mT6_P12ihipStream_tbENKUlT_T0_E_clISt17integral_constantIbLb1EESV_IbLb0EEEEDaSR_SS_EUlSR_E_NS1_11comp_targetILNS1_3genE5ELNS1_11target_archE942ELNS1_3gpuE9ELNS1_3repE0EEENS1_30default_config_static_selectorELNS0_4arch9wavefront6targetE0EEEvT1_
    .private_segment_fixed_size: 0
    .sgpr_count:     0
    .sgpr_spill_count: 0
    .symbol:         _ZN7rocprim17ROCPRIM_400000_NS6detail17trampoline_kernelINS0_14default_configENS1_20scan_config_selectorIfEEZZNS1_9scan_implILNS1_25lookback_scan_determinismE0ELb0ELb0ES3_PKfPffZZZN2at6native31launch_logcumsumexp_cuda_kernelERKNSB_10TensorBaseESF_lENKUlvE_clEvENKUlvE0_clEvEUlffE_fEEDaPvRmT3_T4_T5_mT6_P12ihipStream_tbENKUlT_T0_E_clISt17integral_constantIbLb1EESV_IbLb0EEEEDaSR_SS_EUlSR_E_NS1_11comp_targetILNS1_3genE5ELNS1_11target_archE942ELNS1_3gpuE9ELNS1_3repE0EEENS1_30default_config_static_selectorELNS0_4arch9wavefront6targetE0EEEvT1_.kd
    .uniform_work_group_size: 1
    .uses_dynamic_stack: false
    .vgpr_count:     0
    .vgpr_spill_count: 0
    .wavefront_size: 32
    .workgroup_processor_mode: 1
  - .args:
      - .offset:         0
        .size:           96
        .value_kind:     by_value
    .group_segment_fixed_size: 0
    .kernarg_segment_align: 8
    .kernarg_segment_size: 96
    .language:       OpenCL C
    .language_version:
      - 2
      - 0
    .max_flat_workgroup_size: 128
    .name:           _ZN7rocprim17ROCPRIM_400000_NS6detail17trampoline_kernelINS0_14default_configENS1_20scan_config_selectorIfEEZZNS1_9scan_implILNS1_25lookback_scan_determinismE0ELb0ELb0ES3_PKfPffZZZN2at6native31launch_logcumsumexp_cuda_kernelERKNSB_10TensorBaseESF_lENKUlvE_clEvENKUlvE0_clEvEUlffE_fEEDaPvRmT3_T4_T5_mT6_P12ihipStream_tbENKUlT_T0_E_clISt17integral_constantIbLb1EESV_IbLb0EEEEDaSR_SS_EUlSR_E_NS1_11comp_targetILNS1_3genE4ELNS1_11target_archE910ELNS1_3gpuE8ELNS1_3repE0EEENS1_30default_config_static_selectorELNS0_4arch9wavefront6targetE0EEEvT1_
    .private_segment_fixed_size: 0
    .sgpr_count:     0
    .sgpr_spill_count: 0
    .symbol:         _ZN7rocprim17ROCPRIM_400000_NS6detail17trampoline_kernelINS0_14default_configENS1_20scan_config_selectorIfEEZZNS1_9scan_implILNS1_25lookback_scan_determinismE0ELb0ELb0ES3_PKfPffZZZN2at6native31launch_logcumsumexp_cuda_kernelERKNSB_10TensorBaseESF_lENKUlvE_clEvENKUlvE0_clEvEUlffE_fEEDaPvRmT3_T4_T5_mT6_P12ihipStream_tbENKUlT_T0_E_clISt17integral_constantIbLb1EESV_IbLb0EEEEDaSR_SS_EUlSR_E_NS1_11comp_targetILNS1_3genE4ELNS1_11target_archE910ELNS1_3gpuE8ELNS1_3repE0EEENS1_30default_config_static_selectorELNS0_4arch9wavefront6targetE0EEEvT1_.kd
    .uniform_work_group_size: 1
    .uses_dynamic_stack: false
    .vgpr_count:     0
    .vgpr_spill_count: 0
    .wavefront_size: 32
    .workgroup_processor_mode: 1
  - .args:
      - .offset:         0
        .size:           96
        .value_kind:     by_value
    .group_segment_fixed_size: 0
    .kernarg_segment_align: 8
    .kernarg_segment_size: 96
    .language:       OpenCL C
    .language_version:
      - 2
      - 0
    .max_flat_workgroup_size: 256
    .name:           _ZN7rocprim17ROCPRIM_400000_NS6detail17trampoline_kernelINS0_14default_configENS1_20scan_config_selectorIfEEZZNS1_9scan_implILNS1_25lookback_scan_determinismE0ELb0ELb0ES3_PKfPffZZZN2at6native31launch_logcumsumexp_cuda_kernelERKNSB_10TensorBaseESF_lENKUlvE_clEvENKUlvE0_clEvEUlffE_fEEDaPvRmT3_T4_T5_mT6_P12ihipStream_tbENKUlT_T0_E_clISt17integral_constantIbLb1EESV_IbLb0EEEEDaSR_SS_EUlSR_E_NS1_11comp_targetILNS1_3genE3ELNS1_11target_archE908ELNS1_3gpuE7ELNS1_3repE0EEENS1_30default_config_static_selectorELNS0_4arch9wavefront6targetE0EEEvT1_
    .private_segment_fixed_size: 0
    .sgpr_count:     0
    .sgpr_spill_count: 0
    .symbol:         _ZN7rocprim17ROCPRIM_400000_NS6detail17trampoline_kernelINS0_14default_configENS1_20scan_config_selectorIfEEZZNS1_9scan_implILNS1_25lookback_scan_determinismE0ELb0ELb0ES3_PKfPffZZZN2at6native31launch_logcumsumexp_cuda_kernelERKNSB_10TensorBaseESF_lENKUlvE_clEvENKUlvE0_clEvEUlffE_fEEDaPvRmT3_T4_T5_mT6_P12ihipStream_tbENKUlT_T0_E_clISt17integral_constantIbLb1EESV_IbLb0EEEEDaSR_SS_EUlSR_E_NS1_11comp_targetILNS1_3genE3ELNS1_11target_archE908ELNS1_3gpuE7ELNS1_3repE0EEENS1_30default_config_static_selectorELNS0_4arch9wavefront6targetE0EEEvT1_.kd
    .uniform_work_group_size: 1
    .uses_dynamic_stack: false
    .vgpr_count:     0
    .vgpr_spill_count: 0
    .wavefront_size: 32
    .workgroup_processor_mode: 1
  - .args:
      - .offset:         0
        .size:           96
        .value_kind:     by_value
    .group_segment_fixed_size: 0
    .kernarg_segment_align: 8
    .kernarg_segment_size: 96
    .language:       OpenCL C
    .language_version:
      - 2
      - 0
    .max_flat_workgroup_size: 256
    .name:           _ZN7rocprim17ROCPRIM_400000_NS6detail17trampoline_kernelINS0_14default_configENS1_20scan_config_selectorIfEEZZNS1_9scan_implILNS1_25lookback_scan_determinismE0ELb0ELb0ES3_PKfPffZZZN2at6native31launch_logcumsumexp_cuda_kernelERKNSB_10TensorBaseESF_lENKUlvE_clEvENKUlvE0_clEvEUlffE_fEEDaPvRmT3_T4_T5_mT6_P12ihipStream_tbENKUlT_T0_E_clISt17integral_constantIbLb1EESV_IbLb0EEEEDaSR_SS_EUlSR_E_NS1_11comp_targetILNS1_3genE2ELNS1_11target_archE906ELNS1_3gpuE6ELNS1_3repE0EEENS1_30default_config_static_selectorELNS0_4arch9wavefront6targetE0EEEvT1_
    .private_segment_fixed_size: 0
    .sgpr_count:     0
    .sgpr_spill_count: 0
    .symbol:         _ZN7rocprim17ROCPRIM_400000_NS6detail17trampoline_kernelINS0_14default_configENS1_20scan_config_selectorIfEEZZNS1_9scan_implILNS1_25lookback_scan_determinismE0ELb0ELb0ES3_PKfPffZZZN2at6native31launch_logcumsumexp_cuda_kernelERKNSB_10TensorBaseESF_lENKUlvE_clEvENKUlvE0_clEvEUlffE_fEEDaPvRmT3_T4_T5_mT6_P12ihipStream_tbENKUlT_T0_E_clISt17integral_constantIbLb1EESV_IbLb0EEEEDaSR_SS_EUlSR_E_NS1_11comp_targetILNS1_3genE2ELNS1_11target_archE906ELNS1_3gpuE6ELNS1_3repE0EEENS1_30default_config_static_selectorELNS0_4arch9wavefront6targetE0EEEvT1_.kd
    .uniform_work_group_size: 1
    .uses_dynamic_stack: false
    .vgpr_count:     0
    .vgpr_spill_count: 0
    .wavefront_size: 32
    .workgroup_processor_mode: 1
  - .args:
      - .offset:         0
        .size:           96
        .value_kind:     by_value
    .group_segment_fixed_size: 0
    .kernarg_segment_align: 8
    .kernarg_segment_size: 96
    .language:       OpenCL C
    .language_version:
      - 2
      - 0
    .max_flat_workgroup_size: 256
    .name:           _ZN7rocprim17ROCPRIM_400000_NS6detail17trampoline_kernelINS0_14default_configENS1_20scan_config_selectorIfEEZZNS1_9scan_implILNS1_25lookback_scan_determinismE0ELb0ELb0ES3_PKfPffZZZN2at6native31launch_logcumsumexp_cuda_kernelERKNSB_10TensorBaseESF_lENKUlvE_clEvENKUlvE0_clEvEUlffE_fEEDaPvRmT3_T4_T5_mT6_P12ihipStream_tbENKUlT_T0_E_clISt17integral_constantIbLb1EESV_IbLb0EEEEDaSR_SS_EUlSR_E_NS1_11comp_targetILNS1_3genE10ELNS1_11target_archE1201ELNS1_3gpuE5ELNS1_3repE0EEENS1_30default_config_static_selectorELNS0_4arch9wavefront6targetE0EEEvT1_
    .private_segment_fixed_size: 0
    .sgpr_count:     0
    .sgpr_spill_count: 0
    .symbol:         _ZN7rocprim17ROCPRIM_400000_NS6detail17trampoline_kernelINS0_14default_configENS1_20scan_config_selectorIfEEZZNS1_9scan_implILNS1_25lookback_scan_determinismE0ELb0ELb0ES3_PKfPffZZZN2at6native31launch_logcumsumexp_cuda_kernelERKNSB_10TensorBaseESF_lENKUlvE_clEvENKUlvE0_clEvEUlffE_fEEDaPvRmT3_T4_T5_mT6_P12ihipStream_tbENKUlT_T0_E_clISt17integral_constantIbLb1EESV_IbLb0EEEEDaSR_SS_EUlSR_E_NS1_11comp_targetILNS1_3genE10ELNS1_11target_archE1201ELNS1_3gpuE5ELNS1_3repE0EEENS1_30default_config_static_selectorELNS0_4arch9wavefront6targetE0EEEvT1_.kd
    .uniform_work_group_size: 1
    .uses_dynamic_stack: false
    .vgpr_count:     0
    .vgpr_spill_count: 0
    .wavefront_size: 32
    .workgroup_processor_mode: 1
  - .args:
      - .offset:         0
        .size:           96
        .value_kind:     by_value
    .group_segment_fixed_size: 0
    .kernarg_segment_align: 8
    .kernarg_segment_size: 96
    .language:       OpenCL C
    .language_version:
      - 2
      - 0
    .max_flat_workgroup_size: 256
    .name:           _ZN7rocprim17ROCPRIM_400000_NS6detail17trampoline_kernelINS0_14default_configENS1_20scan_config_selectorIfEEZZNS1_9scan_implILNS1_25lookback_scan_determinismE0ELb0ELb0ES3_PKfPffZZZN2at6native31launch_logcumsumexp_cuda_kernelERKNSB_10TensorBaseESF_lENKUlvE_clEvENKUlvE0_clEvEUlffE_fEEDaPvRmT3_T4_T5_mT6_P12ihipStream_tbENKUlT_T0_E_clISt17integral_constantIbLb1EESV_IbLb0EEEEDaSR_SS_EUlSR_E_NS1_11comp_targetILNS1_3genE10ELNS1_11target_archE1200ELNS1_3gpuE4ELNS1_3repE0EEENS1_30default_config_static_selectorELNS0_4arch9wavefront6targetE0EEEvT1_
    .private_segment_fixed_size: 0
    .sgpr_count:     0
    .sgpr_spill_count: 0
    .symbol:         _ZN7rocprim17ROCPRIM_400000_NS6detail17trampoline_kernelINS0_14default_configENS1_20scan_config_selectorIfEEZZNS1_9scan_implILNS1_25lookback_scan_determinismE0ELb0ELb0ES3_PKfPffZZZN2at6native31launch_logcumsumexp_cuda_kernelERKNSB_10TensorBaseESF_lENKUlvE_clEvENKUlvE0_clEvEUlffE_fEEDaPvRmT3_T4_T5_mT6_P12ihipStream_tbENKUlT_T0_E_clISt17integral_constantIbLb1EESV_IbLb0EEEEDaSR_SS_EUlSR_E_NS1_11comp_targetILNS1_3genE10ELNS1_11target_archE1200ELNS1_3gpuE4ELNS1_3repE0EEENS1_30default_config_static_selectorELNS0_4arch9wavefront6targetE0EEEvT1_.kd
    .uniform_work_group_size: 1
    .uses_dynamic_stack: false
    .vgpr_count:     0
    .vgpr_spill_count: 0
    .wavefront_size: 32
    .workgroup_processor_mode: 1
  - .args:
      - .offset:         0
        .size:           96
        .value_kind:     by_value
    .group_segment_fixed_size: 4224
    .kernarg_segment_align: 8
    .kernarg_segment_size: 96
    .language:       OpenCL C
    .language_version:
      - 2
      - 0
    .max_flat_workgroup_size: 256
    .name:           _ZN7rocprim17ROCPRIM_400000_NS6detail17trampoline_kernelINS0_14default_configENS1_20scan_config_selectorIfEEZZNS1_9scan_implILNS1_25lookback_scan_determinismE0ELb0ELb0ES3_PKfPffZZZN2at6native31launch_logcumsumexp_cuda_kernelERKNSB_10TensorBaseESF_lENKUlvE_clEvENKUlvE0_clEvEUlffE_fEEDaPvRmT3_T4_T5_mT6_P12ihipStream_tbENKUlT_T0_E_clISt17integral_constantIbLb1EESV_IbLb0EEEEDaSR_SS_EUlSR_E_NS1_11comp_targetILNS1_3genE9ELNS1_11target_archE1100ELNS1_3gpuE3ELNS1_3repE0EEENS1_30default_config_static_selectorELNS0_4arch9wavefront6targetE0EEEvT1_
    .private_segment_fixed_size: 0
    .sgpr_count:     29
    .sgpr_spill_count: 0
    .symbol:         _ZN7rocprim17ROCPRIM_400000_NS6detail17trampoline_kernelINS0_14default_configENS1_20scan_config_selectorIfEEZZNS1_9scan_implILNS1_25lookback_scan_determinismE0ELb0ELb0ES3_PKfPffZZZN2at6native31launch_logcumsumexp_cuda_kernelERKNSB_10TensorBaseESF_lENKUlvE_clEvENKUlvE0_clEvEUlffE_fEEDaPvRmT3_T4_T5_mT6_P12ihipStream_tbENKUlT_T0_E_clISt17integral_constantIbLb1EESV_IbLb0EEEEDaSR_SS_EUlSR_E_NS1_11comp_targetILNS1_3genE9ELNS1_11target_archE1100ELNS1_3gpuE3ELNS1_3repE0EEENS1_30default_config_static_selectorELNS0_4arch9wavefront6targetE0EEEvT1_.kd
    .uniform_work_group_size: 1
    .uses_dynamic_stack: false
    .vgpr_count:     46
    .vgpr_spill_count: 0
    .wavefront_size: 32
    .workgroup_processor_mode: 1
  - .args:
      - .offset:         0
        .size:           96
        .value_kind:     by_value
    .group_segment_fixed_size: 0
    .kernarg_segment_align: 8
    .kernarg_segment_size: 96
    .language:       OpenCL C
    .language_version:
      - 2
      - 0
    .max_flat_workgroup_size: 64
    .name:           _ZN7rocprim17ROCPRIM_400000_NS6detail17trampoline_kernelINS0_14default_configENS1_20scan_config_selectorIfEEZZNS1_9scan_implILNS1_25lookback_scan_determinismE0ELb0ELb0ES3_PKfPffZZZN2at6native31launch_logcumsumexp_cuda_kernelERKNSB_10TensorBaseESF_lENKUlvE_clEvENKUlvE0_clEvEUlffE_fEEDaPvRmT3_T4_T5_mT6_P12ihipStream_tbENKUlT_T0_E_clISt17integral_constantIbLb1EESV_IbLb0EEEEDaSR_SS_EUlSR_E_NS1_11comp_targetILNS1_3genE8ELNS1_11target_archE1030ELNS1_3gpuE2ELNS1_3repE0EEENS1_30default_config_static_selectorELNS0_4arch9wavefront6targetE0EEEvT1_
    .private_segment_fixed_size: 0
    .sgpr_count:     0
    .sgpr_spill_count: 0
    .symbol:         _ZN7rocprim17ROCPRIM_400000_NS6detail17trampoline_kernelINS0_14default_configENS1_20scan_config_selectorIfEEZZNS1_9scan_implILNS1_25lookback_scan_determinismE0ELb0ELb0ES3_PKfPffZZZN2at6native31launch_logcumsumexp_cuda_kernelERKNSB_10TensorBaseESF_lENKUlvE_clEvENKUlvE0_clEvEUlffE_fEEDaPvRmT3_T4_T5_mT6_P12ihipStream_tbENKUlT_T0_E_clISt17integral_constantIbLb1EESV_IbLb0EEEEDaSR_SS_EUlSR_E_NS1_11comp_targetILNS1_3genE8ELNS1_11target_archE1030ELNS1_3gpuE2ELNS1_3repE0EEENS1_30default_config_static_selectorELNS0_4arch9wavefront6targetE0EEEvT1_.kd
    .uniform_work_group_size: 1
    .uses_dynamic_stack: false
    .vgpr_count:     0
    .vgpr_spill_count: 0
    .wavefront_size: 32
    .workgroup_processor_mode: 1
  - .args:
      - .offset:         0
        .size:           32
        .value_kind:     by_value
    .group_segment_fixed_size: 0
    .kernarg_segment_align: 8
    .kernarg_segment_size: 32
    .language:       OpenCL C
    .language_version:
      - 2
      - 0
    .max_flat_workgroup_size: 256
    .name:           _ZN7rocprim17ROCPRIM_400000_NS6detail17trampoline_kernelINS0_14default_configENS1_20scan_config_selectorIfEEZZNS1_9scan_implILNS1_25lookback_scan_determinismE0ELb0ELb0ES3_PKfPffZZZN2at6native31launch_logcumsumexp_cuda_kernelERKNSB_10TensorBaseESF_lENKUlvE_clEvENKUlvE0_clEvEUlffE_fEEDaPvRmT3_T4_T5_mT6_P12ihipStream_tbENKUlT_T0_E_clISt17integral_constantIbLb1EESV_IbLb0EEEEDaSR_SS_EUlSR_E0_NS1_11comp_targetILNS1_3genE0ELNS1_11target_archE4294967295ELNS1_3gpuE0ELNS1_3repE0EEENS1_30default_config_static_selectorELNS0_4arch9wavefront6targetE0EEEvT1_
    .private_segment_fixed_size: 0
    .sgpr_count:     0
    .sgpr_spill_count: 0
    .symbol:         _ZN7rocprim17ROCPRIM_400000_NS6detail17trampoline_kernelINS0_14default_configENS1_20scan_config_selectorIfEEZZNS1_9scan_implILNS1_25lookback_scan_determinismE0ELb0ELb0ES3_PKfPffZZZN2at6native31launch_logcumsumexp_cuda_kernelERKNSB_10TensorBaseESF_lENKUlvE_clEvENKUlvE0_clEvEUlffE_fEEDaPvRmT3_T4_T5_mT6_P12ihipStream_tbENKUlT_T0_E_clISt17integral_constantIbLb1EESV_IbLb0EEEEDaSR_SS_EUlSR_E0_NS1_11comp_targetILNS1_3genE0ELNS1_11target_archE4294967295ELNS1_3gpuE0ELNS1_3repE0EEENS1_30default_config_static_selectorELNS0_4arch9wavefront6targetE0EEEvT1_.kd
    .uniform_work_group_size: 1
    .uses_dynamic_stack: false
    .vgpr_count:     0
    .vgpr_spill_count: 0
    .wavefront_size: 32
    .workgroup_processor_mode: 1
  - .args:
      - .offset:         0
        .size:           32
        .value_kind:     by_value
    .group_segment_fixed_size: 0
    .kernarg_segment_align: 8
    .kernarg_segment_size: 32
    .language:       OpenCL C
    .language_version:
      - 2
      - 0
    .max_flat_workgroup_size: 256
    .name:           _ZN7rocprim17ROCPRIM_400000_NS6detail17trampoline_kernelINS0_14default_configENS1_20scan_config_selectorIfEEZZNS1_9scan_implILNS1_25lookback_scan_determinismE0ELb0ELb0ES3_PKfPffZZZN2at6native31launch_logcumsumexp_cuda_kernelERKNSB_10TensorBaseESF_lENKUlvE_clEvENKUlvE0_clEvEUlffE_fEEDaPvRmT3_T4_T5_mT6_P12ihipStream_tbENKUlT_T0_E_clISt17integral_constantIbLb1EESV_IbLb0EEEEDaSR_SS_EUlSR_E0_NS1_11comp_targetILNS1_3genE5ELNS1_11target_archE942ELNS1_3gpuE9ELNS1_3repE0EEENS1_30default_config_static_selectorELNS0_4arch9wavefront6targetE0EEEvT1_
    .private_segment_fixed_size: 0
    .sgpr_count:     0
    .sgpr_spill_count: 0
    .symbol:         _ZN7rocprim17ROCPRIM_400000_NS6detail17trampoline_kernelINS0_14default_configENS1_20scan_config_selectorIfEEZZNS1_9scan_implILNS1_25lookback_scan_determinismE0ELb0ELb0ES3_PKfPffZZZN2at6native31launch_logcumsumexp_cuda_kernelERKNSB_10TensorBaseESF_lENKUlvE_clEvENKUlvE0_clEvEUlffE_fEEDaPvRmT3_T4_T5_mT6_P12ihipStream_tbENKUlT_T0_E_clISt17integral_constantIbLb1EESV_IbLb0EEEEDaSR_SS_EUlSR_E0_NS1_11comp_targetILNS1_3genE5ELNS1_11target_archE942ELNS1_3gpuE9ELNS1_3repE0EEENS1_30default_config_static_selectorELNS0_4arch9wavefront6targetE0EEEvT1_.kd
    .uniform_work_group_size: 1
    .uses_dynamic_stack: false
    .vgpr_count:     0
    .vgpr_spill_count: 0
    .wavefront_size: 32
    .workgroup_processor_mode: 1
  - .args:
      - .offset:         0
        .size:           32
        .value_kind:     by_value
    .group_segment_fixed_size: 0
    .kernarg_segment_align: 8
    .kernarg_segment_size: 32
    .language:       OpenCL C
    .language_version:
      - 2
      - 0
    .max_flat_workgroup_size: 128
    .name:           _ZN7rocprim17ROCPRIM_400000_NS6detail17trampoline_kernelINS0_14default_configENS1_20scan_config_selectorIfEEZZNS1_9scan_implILNS1_25lookback_scan_determinismE0ELb0ELb0ES3_PKfPffZZZN2at6native31launch_logcumsumexp_cuda_kernelERKNSB_10TensorBaseESF_lENKUlvE_clEvENKUlvE0_clEvEUlffE_fEEDaPvRmT3_T4_T5_mT6_P12ihipStream_tbENKUlT_T0_E_clISt17integral_constantIbLb1EESV_IbLb0EEEEDaSR_SS_EUlSR_E0_NS1_11comp_targetILNS1_3genE4ELNS1_11target_archE910ELNS1_3gpuE8ELNS1_3repE0EEENS1_30default_config_static_selectorELNS0_4arch9wavefront6targetE0EEEvT1_
    .private_segment_fixed_size: 0
    .sgpr_count:     0
    .sgpr_spill_count: 0
    .symbol:         _ZN7rocprim17ROCPRIM_400000_NS6detail17trampoline_kernelINS0_14default_configENS1_20scan_config_selectorIfEEZZNS1_9scan_implILNS1_25lookback_scan_determinismE0ELb0ELb0ES3_PKfPffZZZN2at6native31launch_logcumsumexp_cuda_kernelERKNSB_10TensorBaseESF_lENKUlvE_clEvENKUlvE0_clEvEUlffE_fEEDaPvRmT3_T4_T5_mT6_P12ihipStream_tbENKUlT_T0_E_clISt17integral_constantIbLb1EESV_IbLb0EEEEDaSR_SS_EUlSR_E0_NS1_11comp_targetILNS1_3genE4ELNS1_11target_archE910ELNS1_3gpuE8ELNS1_3repE0EEENS1_30default_config_static_selectorELNS0_4arch9wavefront6targetE0EEEvT1_.kd
    .uniform_work_group_size: 1
    .uses_dynamic_stack: false
    .vgpr_count:     0
    .vgpr_spill_count: 0
    .wavefront_size: 32
    .workgroup_processor_mode: 1
  - .args:
      - .offset:         0
        .size:           32
        .value_kind:     by_value
    .group_segment_fixed_size: 0
    .kernarg_segment_align: 8
    .kernarg_segment_size: 32
    .language:       OpenCL C
    .language_version:
      - 2
      - 0
    .max_flat_workgroup_size: 256
    .name:           _ZN7rocprim17ROCPRIM_400000_NS6detail17trampoline_kernelINS0_14default_configENS1_20scan_config_selectorIfEEZZNS1_9scan_implILNS1_25lookback_scan_determinismE0ELb0ELb0ES3_PKfPffZZZN2at6native31launch_logcumsumexp_cuda_kernelERKNSB_10TensorBaseESF_lENKUlvE_clEvENKUlvE0_clEvEUlffE_fEEDaPvRmT3_T4_T5_mT6_P12ihipStream_tbENKUlT_T0_E_clISt17integral_constantIbLb1EESV_IbLb0EEEEDaSR_SS_EUlSR_E0_NS1_11comp_targetILNS1_3genE3ELNS1_11target_archE908ELNS1_3gpuE7ELNS1_3repE0EEENS1_30default_config_static_selectorELNS0_4arch9wavefront6targetE0EEEvT1_
    .private_segment_fixed_size: 0
    .sgpr_count:     0
    .sgpr_spill_count: 0
    .symbol:         _ZN7rocprim17ROCPRIM_400000_NS6detail17trampoline_kernelINS0_14default_configENS1_20scan_config_selectorIfEEZZNS1_9scan_implILNS1_25lookback_scan_determinismE0ELb0ELb0ES3_PKfPffZZZN2at6native31launch_logcumsumexp_cuda_kernelERKNSB_10TensorBaseESF_lENKUlvE_clEvENKUlvE0_clEvEUlffE_fEEDaPvRmT3_T4_T5_mT6_P12ihipStream_tbENKUlT_T0_E_clISt17integral_constantIbLb1EESV_IbLb0EEEEDaSR_SS_EUlSR_E0_NS1_11comp_targetILNS1_3genE3ELNS1_11target_archE908ELNS1_3gpuE7ELNS1_3repE0EEENS1_30default_config_static_selectorELNS0_4arch9wavefront6targetE0EEEvT1_.kd
    .uniform_work_group_size: 1
    .uses_dynamic_stack: false
    .vgpr_count:     0
    .vgpr_spill_count: 0
    .wavefront_size: 32
    .workgroup_processor_mode: 1
  - .args:
      - .offset:         0
        .size:           32
        .value_kind:     by_value
    .group_segment_fixed_size: 0
    .kernarg_segment_align: 8
    .kernarg_segment_size: 32
    .language:       OpenCL C
    .language_version:
      - 2
      - 0
    .max_flat_workgroup_size: 256
    .name:           _ZN7rocprim17ROCPRIM_400000_NS6detail17trampoline_kernelINS0_14default_configENS1_20scan_config_selectorIfEEZZNS1_9scan_implILNS1_25lookback_scan_determinismE0ELb0ELb0ES3_PKfPffZZZN2at6native31launch_logcumsumexp_cuda_kernelERKNSB_10TensorBaseESF_lENKUlvE_clEvENKUlvE0_clEvEUlffE_fEEDaPvRmT3_T4_T5_mT6_P12ihipStream_tbENKUlT_T0_E_clISt17integral_constantIbLb1EESV_IbLb0EEEEDaSR_SS_EUlSR_E0_NS1_11comp_targetILNS1_3genE2ELNS1_11target_archE906ELNS1_3gpuE6ELNS1_3repE0EEENS1_30default_config_static_selectorELNS0_4arch9wavefront6targetE0EEEvT1_
    .private_segment_fixed_size: 0
    .sgpr_count:     0
    .sgpr_spill_count: 0
    .symbol:         _ZN7rocprim17ROCPRIM_400000_NS6detail17trampoline_kernelINS0_14default_configENS1_20scan_config_selectorIfEEZZNS1_9scan_implILNS1_25lookback_scan_determinismE0ELb0ELb0ES3_PKfPffZZZN2at6native31launch_logcumsumexp_cuda_kernelERKNSB_10TensorBaseESF_lENKUlvE_clEvENKUlvE0_clEvEUlffE_fEEDaPvRmT3_T4_T5_mT6_P12ihipStream_tbENKUlT_T0_E_clISt17integral_constantIbLb1EESV_IbLb0EEEEDaSR_SS_EUlSR_E0_NS1_11comp_targetILNS1_3genE2ELNS1_11target_archE906ELNS1_3gpuE6ELNS1_3repE0EEENS1_30default_config_static_selectorELNS0_4arch9wavefront6targetE0EEEvT1_.kd
    .uniform_work_group_size: 1
    .uses_dynamic_stack: false
    .vgpr_count:     0
    .vgpr_spill_count: 0
    .wavefront_size: 32
    .workgroup_processor_mode: 1
  - .args:
      - .offset:         0
        .size:           32
        .value_kind:     by_value
    .group_segment_fixed_size: 0
    .kernarg_segment_align: 8
    .kernarg_segment_size: 32
    .language:       OpenCL C
    .language_version:
      - 2
      - 0
    .max_flat_workgroup_size: 256
    .name:           _ZN7rocprim17ROCPRIM_400000_NS6detail17trampoline_kernelINS0_14default_configENS1_20scan_config_selectorIfEEZZNS1_9scan_implILNS1_25lookback_scan_determinismE0ELb0ELb0ES3_PKfPffZZZN2at6native31launch_logcumsumexp_cuda_kernelERKNSB_10TensorBaseESF_lENKUlvE_clEvENKUlvE0_clEvEUlffE_fEEDaPvRmT3_T4_T5_mT6_P12ihipStream_tbENKUlT_T0_E_clISt17integral_constantIbLb1EESV_IbLb0EEEEDaSR_SS_EUlSR_E0_NS1_11comp_targetILNS1_3genE10ELNS1_11target_archE1201ELNS1_3gpuE5ELNS1_3repE0EEENS1_30default_config_static_selectorELNS0_4arch9wavefront6targetE0EEEvT1_
    .private_segment_fixed_size: 0
    .sgpr_count:     0
    .sgpr_spill_count: 0
    .symbol:         _ZN7rocprim17ROCPRIM_400000_NS6detail17trampoline_kernelINS0_14default_configENS1_20scan_config_selectorIfEEZZNS1_9scan_implILNS1_25lookback_scan_determinismE0ELb0ELb0ES3_PKfPffZZZN2at6native31launch_logcumsumexp_cuda_kernelERKNSB_10TensorBaseESF_lENKUlvE_clEvENKUlvE0_clEvEUlffE_fEEDaPvRmT3_T4_T5_mT6_P12ihipStream_tbENKUlT_T0_E_clISt17integral_constantIbLb1EESV_IbLb0EEEEDaSR_SS_EUlSR_E0_NS1_11comp_targetILNS1_3genE10ELNS1_11target_archE1201ELNS1_3gpuE5ELNS1_3repE0EEENS1_30default_config_static_selectorELNS0_4arch9wavefront6targetE0EEEvT1_.kd
    .uniform_work_group_size: 1
    .uses_dynamic_stack: false
    .vgpr_count:     0
    .vgpr_spill_count: 0
    .wavefront_size: 32
    .workgroup_processor_mode: 1
  - .args:
      - .offset:         0
        .size:           32
        .value_kind:     by_value
    .group_segment_fixed_size: 0
    .kernarg_segment_align: 8
    .kernarg_segment_size: 32
    .language:       OpenCL C
    .language_version:
      - 2
      - 0
    .max_flat_workgroup_size: 256
    .name:           _ZN7rocprim17ROCPRIM_400000_NS6detail17trampoline_kernelINS0_14default_configENS1_20scan_config_selectorIfEEZZNS1_9scan_implILNS1_25lookback_scan_determinismE0ELb0ELb0ES3_PKfPffZZZN2at6native31launch_logcumsumexp_cuda_kernelERKNSB_10TensorBaseESF_lENKUlvE_clEvENKUlvE0_clEvEUlffE_fEEDaPvRmT3_T4_T5_mT6_P12ihipStream_tbENKUlT_T0_E_clISt17integral_constantIbLb1EESV_IbLb0EEEEDaSR_SS_EUlSR_E0_NS1_11comp_targetILNS1_3genE10ELNS1_11target_archE1200ELNS1_3gpuE4ELNS1_3repE0EEENS1_30default_config_static_selectorELNS0_4arch9wavefront6targetE0EEEvT1_
    .private_segment_fixed_size: 0
    .sgpr_count:     0
    .sgpr_spill_count: 0
    .symbol:         _ZN7rocprim17ROCPRIM_400000_NS6detail17trampoline_kernelINS0_14default_configENS1_20scan_config_selectorIfEEZZNS1_9scan_implILNS1_25lookback_scan_determinismE0ELb0ELb0ES3_PKfPffZZZN2at6native31launch_logcumsumexp_cuda_kernelERKNSB_10TensorBaseESF_lENKUlvE_clEvENKUlvE0_clEvEUlffE_fEEDaPvRmT3_T4_T5_mT6_P12ihipStream_tbENKUlT_T0_E_clISt17integral_constantIbLb1EESV_IbLb0EEEEDaSR_SS_EUlSR_E0_NS1_11comp_targetILNS1_3genE10ELNS1_11target_archE1200ELNS1_3gpuE4ELNS1_3repE0EEENS1_30default_config_static_selectorELNS0_4arch9wavefront6targetE0EEEvT1_.kd
    .uniform_work_group_size: 1
    .uses_dynamic_stack: false
    .vgpr_count:     0
    .vgpr_spill_count: 0
    .wavefront_size: 32
    .workgroup_processor_mode: 1
  - .args:
      - .offset:         0
        .size:           32
        .value_kind:     by_value
    .group_segment_fixed_size: 4224
    .kernarg_segment_align: 8
    .kernarg_segment_size: 32
    .language:       OpenCL C
    .language_version:
      - 2
      - 0
    .max_flat_workgroup_size: 256
    .name:           _ZN7rocprim17ROCPRIM_400000_NS6detail17trampoline_kernelINS0_14default_configENS1_20scan_config_selectorIfEEZZNS1_9scan_implILNS1_25lookback_scan_determinismE0ELb0ELb0ES3_PKfPffZZZN2at6native31launch_logcumsumexp_cuda_kernelERKNSB_10TensorBaseESF_lENKUlvE_clEvENKUlvE0_clEvEUlffE_fEEDaPvRmT3_T4_T5_mT6_P12ihipStream_tbENKUlT_T0_E_clISt17integral_constantIbLb1EESV_IbLb0EEEEDaSR_SS_EUlSR_E0_NS1_11comp_targetILNS1_3genE9ELNS1_11target_archE1100ELNS1_3gpuE3ELNS1_3repE0EEENS1_30default_config_static_selectorELNS0_4arch9wavefront6targetE0EEEvT1_
    .private_segment_fixed_size: 0
    .sgpr_count:     17
    .sgpr_spill_count: 0
    .symbol:         _ZN7rocprim17ROCPRIM_400000_NS6detail17trampoline_kernelINS0_14default_configENS1_20scan_config_selectorIfEEZZNS1_9scan_implILNS1_25lookback_scan_determinismE0ELb0ELb0ES3_PKfPffZZZN2at6native31launch_logcumsumexp_cuda_kernelERKNSB_10TensorBaseESF_lENKUlvE_clEvENKUlvE0_clEvEUlffE_fEEDaPvRmT3_T4_T5_mT6_P12ihipStream_tbENKUlT_T0_E_clISt17integral_constantIbLb1EESV_IbLb0EEEEDaSR_SS_EUlSR_E0_NS1_11comp_targetILNS1_3genE9ELNS1_11target_archE1100ELNS1_3gpuE3ELNS1_3repE0EEENS1_30default_config_static_selectorELNS0_4arch9wavefront6targetE0EEEvT1_.kd
    .uniform_work_group_size: 1
    .uses_dynamic_stack: false
    .vgpr_count:     37
    .vgpr_spill_count: 0
    .wavefront_size: 32
    .workgroup_processor_mode: 1
  - .args:
      - .offset:         0
        .size:           32
        .value_kind:     by_value
    .group_segment_fixed_size: 0
    .kernarg_segment_align: 8
    .kernarg_segment_size: 32
    .language:       OpenCL C
    .language_version:
      - 2
      - 0
    .max_flat_workgroup_size: 64
    .name:           _ZN7rocprim17ROCPRIM_400000_NS6detail17trampoline_kernelINS0_14default_configENS1_20scan_config_selectorIfEEZZNS1_9scan_implILNS1_25lookback_scan_determinismE0ELb0ELb0ES3_PKfPffZZZN2at6native31launch_logcumsumexp_cuda_kernelERKNSB_10TensorBaseESF_lENKUlvE_clEvENKUlvE0_clEvEUlffE_fEEDaPvRmT3_T4_T5_mT6_P12ihipStream_tbENKUlT_T0_E_clISt17integral_constantIbLb1EESV_IbLb0EEEEDaSR_SS_EUlSR_E0_NS1_11comp_targetILNS1_3genE8ELNS1_11target_archE1030ELNS1_3gpuE2ELNS1_3repE0EEENS1_30default_config_static_selectorELNS0_4arch9wavefront6targetE0EEEvT1_
    .private_segment_fixed_size: 0
    .sgpr_count:     0
    .sgpr_spill_count: 0
    .symbol:         _ZN7rocprim17ROCPRIM_400000_NS6detail17trampoline_kernelINS0_14default_configENS1_20scan_config_selectorIfEEZZNS1_9scan_implILNS1_25lookback_scan_determinismE0ELb0ELb0ES3_PKfPffZZZN2at6native31launch_logcumsumexp_cuda_kernelERKNSB_10TensorBaseESF_lENKUlvE_clEvENKUlvE0_clEvEUlffE_fEEDaPvRmT3_T4_T5_mT6_P12ihipStream_tbENKUlT_T0_E_clISt17integral_constantIbLb1EESV_IbLb0EEEEDaSR_SS_EUlSR_E0_NS1_11comp_targetILNS1_3genE8ELNS1_11target_archE1030ELNS1_3gpuE2ELNS1_3repE0EEENS1_30default_config_static_selectorELNS0_4arch9wavefront6targetE0EEEvT1_.kd
    .uniform_work_group_size: 1
    .uses_dynamic_stack: false
    .vgpr_count:     0
    .vgpr_spill_count: 0
    .wavefront_size: 32
    .workgroup_processor_mode: 1
  - .args:
      - .address_space:  global
        .offset:         0
        .size:           8
        .value_kind:     global_buffer
      - .offset:         8
        .size:           4
        .value_kind:     by_value
      - .address_space:  global
        .offset:         16
        .size:           8
        .value_kind:     global_buffer
      - .offset:         24
        .size:           4
        .value_kind:     by_value
      - .address_space:  global
        .offset:         32
        .size:           8
        .value_kind:     global_buffer
      - .offset:         40
        .size:           4
        .value_kind:     hidden_block_count_x
      - .offset:         44
        .size:           4
        .value_kind:     hidden_block_count_y
      - .offset:         48
        .size:           4
        .value_kind:     hidden_block_count_z
      - .offset:         52
        .size:           2
        .value_kind:     hidden_group_size_x
      - .offset:         54
        .size:           2
        .value_kind:     hidden_group_size_y
      - .offset:         56
        .size:           2
        .value_kind:     hidden_group_size_z
      - .offset:         58
        .size:           2
        .value_kind:     hidden_remainder_x
      - .offset:         60
        .size:           2
        .value_kind:     hidden_remainder_y
      - .offset:         62
        .size:           2
        .value_kind:     hidden_remainder_z
      - .offset:         80
        .size:           8
        .value_kind:     hidden_global_offset_x
      - .offset:         88
        .size:           8
        .value_kind:     hidden_global_offset_y
      - .offset:         96
        .size:           8
        .value_kind:     hidden_global_offset_z
      - .offset:         104
        .size:           2
        .value_kind:     hidden_grid_dims
    .group_segment_fixed_size: 0
    .kernarg_segment_align: 8
    .kernarg_segment_size: 296
    .language:       OpenCL C
    .language_version:
      - 2
      - 0
    .max_flat_workgroup_size: 256
    .name:           _ZN7rocprim17ROCPRIM_400000_NS6detail31init_lookback_scan_state_kernelINS1_19lookback_scan_stateIfLb0ELb1EEENS1_16block_id_wrapperIjLb1EEEEEvT_jT0_jPNS7_10value_typeE
    .private_segment_fixed_size: 0
    .sgpr_count:     18
    .sgpr_spill_count: 0
    .symbol:         _ZN7rocprim17ROCPRIM_400000_NS6detail31init_lookback_scan_state_kernelINS1_19lookback_scan_stateIfLb0ELb1EEENS1_16block_id_wrapperIjLb1EEEEEvT_jT0_jPNS7_10value_typeE.kd
    .uniform_work_group_size: 1
    .uses_dynamic_stack: false
    .vgpr_count:     6
    .vgpr_spill_count: 0
    .wavefront_size: 32
    .workgroup_processor_mode: 1
  - .args:
      - .offset:         0
        .size:           96
        .value_kind:     by_value
    .group_segment_fixed_size: 0
    .kernarg_segment_align: 8
    .kernarg_segment_size: 96
    .language:       OpenCL C
    .language_version:
      - 2
      - 0
    .max_flat_workgroup_size: 256
    .name:           _ZN7rocprim17ROCPRIM_400000_NS6detail17trampoline_kernelINS0_14default_configENS1_20scan_config_selectorIfEEZZNS1_9scan_implILNS1_25lookback_scan_determinismE0ELb0ELb0ES3_PKfPffZZZN2at6native31launch_logcumsumexp_cuda_kernelERKNSB_10TensorBaseESF_lENKUlvE_clEvENKUlvE0_clEvEUlffE_fEEDaPvRmT3_T4_T5_mT6_P12ihipStream_tbENKUlT_T0_E_clISt17integral_constantIbLb0EESV_IbLb1EEEEDaSR_SS_EUlSR_E_NS1_11comp_targetILNS1_3genE0ELNS1_11target_archE4294967295ELNS1_3gpuE0ELNS1_3repE0EEENS1_30default_config_static_selectorELNS0_4arch9wavefront6targetE0EEEvT1_
    .private_segment_fixed_size: 0
    .sgpr_count:     0
    .sgpr_spill_count: 0
    .symbol:         _ZN7rocprim17ROCPRIM_400000_NS6detail17trampoline_kernelINS0_14default_configENS1_20scan_config_selectorIfEEZZNS1_9scan_implILNS1_25lookback_scan_determinismE0ELb0ELb0ES3_PKfPffZZZN2at6native31launch_logcumsumexp_cuda_kernelERKNSB_10TensorBaseESF_lENKUlvE_clEvENKUlvE0_clEvEUlffE_fEEDaPvRmT3_T4_T5_mT6_P12ihipStream_tbENKUlT_T0_E_clISt17integral_constantIbLb0EESV_IbLb1EEEEDaSR_SS_EUlSR_E_NS1_11comp_targetILNS1_3genE0ELNS1_11target_archE4294967295ELNS1_3gpuE0ELNS1_3repE0EEENS1_30default_config_static_selectorELNS0_4arch9wavefront6targetE0EEEvT1_.kd
    .uniform_work_group_size: 1
    .uses_dynamic_stack: false
    .vgpr_count:     0
    .vgpr_spill_count: 0
    .wavefront_size: 32
    .workgroup_processor_mode: 1
  - .args:
      - .offset:         0
        .size:           96
        .value_kind:     by_value
    .group_segment_fixed_size: 0
    .kernarg_segment_align: 8
    .kernarg_segment_size: 96
    .language:       OpenCL C
    .language_version:
      - 2
      - 0
    .max_flat_workgroup_size: 256
    .name:           _ZN7rocprim17ROCPRIM_400000_NS6detail17trampoline_kernelINS0_14default_configENS1_20scan_config_selectorIfEEZZNS1_9scan_implILNS1_25lookback_scan_determinismE0ELb0ELb0ES3_PKfPffZZZN2at6native31launch_logcumsumexp_cuda_kernelERKNSB_10TensorBaseESF_lENKUlvE_clEvENKUlvE0_clEvEUlffE_fEEDaPvRmT3_T4_T5_mT6_P12ihipStream_tbENKUlT_T0_E_clISt17integral_constantIbLb0EESV_IbLb1EEEEDaSR_SS_EUlSR_E_NS1_11comp_targetILNS1_3genE5ELNS1_11target_archE942ELNS1_3gpuE9ELNS1_3repE0EEENS1_30default_config_static_selectorELNS0_4arch9wavefront6targetE0EEEvT1_
    .private_segment_fixed_size: 0
    .sgpr_count:     0
    .sgpr_spill_count: 0
    .symbol:         _ZN7rocprim17ROCPRIM_400000_NS6detail17trampoline_kernelINS0_14default_configENS1_20scan_config_selectorIfEEZZNS1_9scan_implILNS1_25lookback_scan_determinismE0ELb0ELb0ES3_PKfPffZZZN2at6native31launch_logcumsumexp_cuda_kernelERKNSB_10TensorBaseESF_lENKUlvE_clEvENKUlvE0_clEvEUlffE_fEEDaPvRmT3_T4_T5_mT6_P12ihipStream_tbENKUlT_T0_E_clISt17integral_constantIbLb0EESV_IbLb1EEEEDaSR_SS_EUlSR_E_NS1_11comp_targetILNS1_3genE5ELNS1_11target_archE942ELNS1_3gpuE9ELNS1_3repE0EEENS1_30default_config_static_selectorELNS0_4arch9wavefront6targetE0EEEvT1_.kd
    .uniform_work_group_size: 1
    .uses_dynamic_stack: false
    .vgpr_count:     0
    .vgpr_spill_count: 0
    .wavefront_size: 32
    .workgroup_processor_mode: 1
  - .args:
      - .offset:         0
        .size:           96
        .value_kind:     by_value
    .group_segment_fixed_size: 0
    .kernarg_segment_align: 8
    .kernarg_segment_size: 96
    .language:       OpenCL C
    .language_version:
      - 2
      - 0
    .max_flat_workgroup_size: 128
    .name:           _ZN7rocprim17ROCPRIM_400000_NS6detail17trampoline_kernelINS0_14default_configENS1_20scan_config_selectorIfEEZZNS1_9scan_implILNS1_25lookback_scan_determinismE0ELb0ELb0ES3_PKfPffZZZN2at6native31launch_logcumsumexp_cuda_kernelERKNSB_10TensorBaseESF_lENKUlvE_clEvENKUlvE0_clEvEUlffE_fEEDaPvRmT3_T4_T5_mT6_P12ihipStream_tbENKUlT_T0_E_clISt17integral_constantIbLb0EESV_IbLb1EEEEDaSR_SS_EUlSR_E_NS1_11comp_targetILNS1_3genE4ELNS1_11target_archE910ELNS1_3gpuE8ELNS1_3repE0EEENS1_30default_config_static_selectorELNS0_4arch9wavefront6targetE0EEEvT1_
    .private_segment_fixed_size: 0
    .sgpr_count:     0
    .sgpr_spill_count: 0
    .symbol:         _ZN7rocprim17ROCPRIM_400000_NS6detail17trampoline_kernelINS0_14default_configENS1_20scan_config_selectorIfEEZZNS1_9scan_implILNS1_25lookback_scan_determinismE0ELb0ELb0ES3_PKfPffZZZN2at6native31launch_logcumsumexp_cuda_kernelERKNSB_10TensorBaseESF_lENKUlvE_clEvENKUlvE0_clEvEUlffE_fEEDaPvRmT3_T4_T5_mT6_P12ihipStream_tbENKUlT_T0_E_clISt17integral_constantIbLb0EESV_IbLb1EEEEDaSR_SS_EUlSR_E_NS1_11comp_targetILNS1_3genE4ELNS1_11target_archE910ELNS1_3gpuE8ELNS1_3repE0EEENS1_30default_config_static_selectorELNS0_4arch9wavefront6targetE0EEEvT1_.kd
    .uniform_work_group_size: 1
    .uses_dynamic_stack: false
    .vgpr_count:     0
    .vgpr_spill_count: 0
    .wavefront_size: 32
    .workgroup_processor_mode: 1
  - .args:
      - .offset:         0
        .size:           96
        .value_kind:     by_value
    .group_segment_fixed_size: 0
    .kernarg_segment_align: 8
    .kernarg_segment_size: 96
    .language:       OpenCL C
    .language_version:
      - 2
      - 0
    .max_flat_workgroup_size: 256
    .name:           _ZN7rocprim17ROCPRIM_400000_NS6detail17trampoline_kernelINS0_14default_configENS1_20scan_config_selectorIfEEZZNS1_9scan_implILNS1_25lookback_scan_determinismE0ELb0ELb0ES3_PKfPffZZZN2at6native31launch_logcumsumexp_cuda_kernelERKNSB_10TensorBaseESF_lENKUlvE_clEvENKUlvE0_clEvEUlffE_fEEDaPvRmT3_T4_T5_mT6_P12ihipStream_tbENKUlT_T0_E_clISt17integral_constantIbLb0EESV_IbLb1EEEEDaSR_SS_EUlSR_E_NS1_11comp_targetILNS1_3genE3ELNS1_11target_archE908ELNS1_3gpuE7ELNS1_3repE0EEENS1_30default_config_static_selectorELNS0_4arch9wavefront6targetE0EEEvT1_
    .private_segment_fixed_size: 0
    .sgpr_count:     0
    .sgpr_spill_count: 0
    .symbol:         _ZN7rocprim17ROCPRIM_400000_NS6detail17trampoline_kernelINS0_14default_configENS1_20scan_config_selectorIfEEZZNS1_9scan_implILNS1_25lookback_scan_determinismE0ELb0ELb0ES3_PKfPffZZZN2at6native31launch_logcumsumexp_cuda_kernelERKNSB_10TensorBaseESF_lENKUlvE_clEvENKUlvE0_clEvEUlffE_fEEDaPvRmT3_T4_T5_mT6_P12ihipStream_tbENKUlT_T0_E_clISt17integral_constantIbLb0EESV_IbLb1EEEEDaSR_SS_EUlSR_E_NS1_11comp_targetILNS1_3genE3ELNS1_11target_archE908ELNS1_3gpuE7ELNS1_3repE0EEENS1_30default_config_static_selectorELNS0_4arch9wavefront6targetE0EEEvT1_.kd
    .uniform_work_group_size: 1
    .uses_dynamic_stack: false
    .vgpr_count:     0
    .vgpr_spill_count: 0
    .wavefront_size: 32
    .workgroup_processor_mode: 1
  - .args:
      - .offset:         0
        .size:           96
        .value_kind:     by_value
    .group_segment_fixed_size: 0
    .kernarg_segment_align: 8
    .kernarg_segment_size: 96
    .language:       OpenCL C
    .language_version:
      - 2
      - 0
    .max_flat_workgroup_size: 256
    .name:           _ZN7rocprim17ROCPRIM_400000_NS6detail17trampoline_kernelINS0_14default_configENS1_20scan_config_selectorIfEEZZNS1_9scan_implILNS1_25lookback_scan_determinismE0ELb0ELb0ES3_PKfPffZZZN2at6native31launch_logcumsumexp_cuda_kernelERKNSB_10TensorBaseESF_lENKUlvE_clEvENKUlvE0_clEvEUlffE_fEEDaPvRmT3_T4_T5_mT6_P12ihipStream_tbENKUlT_T0_E_clISt17integral_constantIbLb0EESV_IbLb1EEEEDaSR_SS_EUlSR_E_NS1_11comp_targetILNS1_3genE2ELNS1_11target_archE906ELNS1_3gpuE6ELNS1_3repE0EEENS1_30default_config_static_selectorELNS0_4arch9wavefront6targetE0EEEvT1_
    .private_segment_fixed_size: 0
    .sgpr_count:     0
    .sgpr_spill_count: 0
    .symbol:         _ZN7rocprim17ROCPRIM_400000_NS6detail17trampoline_kernelINS0_14default_configENS1_20scan_config_selectorIfEEZZNS1_9scan_implILNS1_25lookback_scan_determinismE0ELb0ELb0ES3_PKfPffZZZN2at6native31launch_logcumsumexp_cuda_kernelERKNSB_10TensorBaseESF_lENKUlvE_clEvENKUlvE0_clEvEUlffE_fEEDaPvRmT3_T4_T5_mT6_P12ihipStream_tbENKUlT_T0_E_clISt17integral_constantIbLb0EESV_IbLb1EEEEDaSR_SS_EUlSR_E_NS1_11comp_targetILNS1_3genE2ELNS1_11target_archE906ELNS1_3gpuE6ELNS1_3repE0EEENS1_30default_config_static_selectorELNS0_4arch9wavefront6targetE0EEEvT1_.kd
    .uniform_work_group_size: 1
    .uses_dynamic_stack: false
    .vgpr_count:     0
    .vgpr_spill_count: 0
    .wavefront_size: 32
    .workgroup_processor_mode: 1
  - .args:
      - .offset:         0
        .size:           96
        .value_kind:     by_value
    .group_segment_fixed_size: 0
    .kernarg_segment_align: 8
    .kernarg_segment_size: 96
    .language:       OpenCL C
    .language_version:
      - 2
      - 0
    .max_flat_workgroup_size: 256
    .name:           _ZN7rocprim17ROCPRIM_400000_NS6detail17trampoline_kernelINS0_14default_configENS1_20scan_config_selectorIfEEZZNS1_9scan_implILNS1_25lookback_scan_determinismE0ELb0ELb0ES3_PKfPffZZZN2at6native31launch_logcumsumexp_cuda_kernelERKNSB_10TensorBaseESF_lENKUlvE_clEvENKUlvE0_clEvEUlffE_fEEDaPvRmT3_T4_T5_mT6_P12ihipStream_tbENKUlT_T0_E_clISt17integral_constantIbLb0EESV_IbLb1EEEEDaSR_SS_EUlSR_E_NS1_11comp_targetILNS1_3genE10ELNS1_11target_archE1201ELNS1_3gpuE5ELNS1_3repE0EEENS1_30default_config_static_selectorELNS0_4arch9wavefront6targetE0EEEvT1_
    .private_segment_fixed_size: 0
    .sgpr_count:     0
    .sgpr_spill_count: 0
    .symbol:         _ZN7rocprim17ROCPRIM_400000_NS6detail17trampoline_kernelINS0_14default_configENS1_20scan_config_selectorIfEEZZNS1_9scan_implILNS1_25lookback_scan_determinismE0ELb0ELb0ES3_PKfPffZZZN2at6native31launch_logcumsumexp_cuda_kernelERKNSB_10TensorBaseESF_lENKUlvE_clEvENKUlvE0_clEvEUlffE_fEEDaPvRmT3_T4_T5_mT6_P12ihipStream_tbENKUlT_T0_E_clISt17integral_constantIbLb0EESV_IbLb1EEEEDaSR_SS_EUlSR_E_NS1_11comp_targetILNS1_3genE10ELNS1_11target_archE1201ELNS1_3gpuE5ELNS1_3repE0EEENS1_30default_config_static_selectorELNS0_4arch9wavefront6targetE0EEEvT1_.kd
    .uniform_work_group_size: 1
    .uses_dynamic_stack: false
    .vgpr_count:     0
    .vgpr_spill_count: 0
    .wavefront_size: 32
    .workgroup_processor_mode: 1
  - .args:
      - .offset:         0
        .size:           96
        .value_kind:     by_value
    .group_segment_fixed_size: 0
    .kernarg_segment_align: 8
    .kernarg_segment_size: 96
    .language:       OpenCL C
    .language_version:
      - 2
      - 0
    .max_flat_workgroup_size: 256
    .name:           _ZN7rocprim17ROCPRIM_400000_NS6detail17trampoline_kernelINS0_14default_configENS1_20scan_config_selectorIfEEZZNS1_9scan_implILNS1_25lookback_scan_determinismE0ELb0ELb0ES3_PKfPffZZZN2at6native31launch_logcumsumexp_cuda_kernelERKNSB_10TensorBaseESF_lENKUlvE_clEvENKUlvE0_clEvEUlffE_fEEDaPvRmT3_T4_T5_mT6_P12ihipStream_tbENKUlT_T0_E_clISt17integral_constantIbLb0EESV_IbLb1EEEEDaSR_SS_EUlSR_E_NS1_11comp_targetILNS1_3genE10ELNS1_11target_archE1200ELNS1_3gpuE4ELNS1_3repE0EEENS1_30default_config_static_selectorELNS0_4arch9wavefront6targetE0EEEvT1_
    .private_segment_fixed_size: 0
    .sgpr_count:     0
    .sgpr_spill_count: 0
    .symbol:         _ZN7rocprim17ROCPRIM_400000_NS6detail17trampoline_kernelINS0_14default_configENS1_20scan_config_selectorIfEEZZNS1_9scan_implILNS1_25lookback_scan_determinismE0ELb0ELb0ES3_PKfPffZZZN2at6native31launch_logcumsumexp_cuda_kernelERKNSB_10TensorBaseESF_lENKUlvE_clEvENKUlvE0_clEvEUlffE_fEEDaPvRmT3_T4_T5_mT6_P12ihipStream_tbENKUlT_T0_E_clISt17integral_constantIbLb0EESV_IbLb1EEEEDaSR_SS_EUlSR_E_NS1_11comp_targetILNS1_3genE10ELNS1_11target_archE1200ELNS1_3gpuE4ELNS1_3repE0EEENS1_30default_config_static_selectorELNS0_4arch9wavefront6targetE0EEEvT1_.kd
    .uniform_work_group_size: 1
    .uses_dynamic_stack: false
    .vgpr_count:     0
    .vgpr_spill_count: 0
    .wavefront_size: 32
    .workgroup_processor_mode: 1
  - .args:
      - .offset:         0
        .size:           96
        .value_kind:     by_value
    .group_segment_fixed_size: 4224
    .kernarg_segment_align: 8
    .kernarg_segment_size: 96
    .language:       OpenCL C
    .language_version:
      - 2
      - 0
    .max_flat_workgroup_size: 256
    .name:           _ZN7rocprim17ROCPRIM_400000_NS6detail17trampoline_kernelINS0_14default_configENS1_20scan_config_selectorIfEEZZNS1_9scan_implILNS1_25lookback_scan_determinismE0ELb0ELb0ES3_PKfPffZZZN2at6native31launch_logcumsumexp_cuda_kernelERKNSB_10TensorBaseESF_lENKUlvE_clEvENKUlvE0_clEvEUlffE_fEEDaPvRmT3_T4_T5_mT6_P12ihipStream_tbENKUlT_T0_E_clISt17integral_constantIbLb0EESV_IbLb1EEEEDaSR_SS_EUlSR_E_NS1_11comp_targetILNS1_3genE9ELNS1_11target_archE1100ELNS1_3gpuE3ELNS1_3repE0EEENS1_30default_config_static_selectorELNS0_4arch9wavefront6targetE0EEEvT1_
    .private_segment_fixed_size: 0
    .sgpr_count:     34
    .sgpr_spill_count: 0
    .symbol:         _ZN7rocprim17ROCPRIM_400000_NS6detail17trampoline_kernelINS0_14default_configENS1_20scan_config_selectorIfEEZZNS1_9scan_implILNS1_25lookback_scan_determinismE0ELb0ELb0ES3_PKfPffZZZN2at6native31launch_logcumsumexp_cuda_kernelERKNSB_10TensorBaseESF_lENKUlvE_clEvENKUlvE0_clEvEUlffE_fEEDaPvRmT3_T4_T5_mT6_P12ihipStream_tbENKUlT_T0_E_clISt17integral_constantIbLb0EESV_IbLb1EEEEDaSR_SS_EUlSR_E_NS1_11comp_targetILNS1_3genE9ELNS1_11target_archE1100ELNS1_3gpuE3ELNS1_3repE0EEENS1_30default_config_static_selectorELNS0_4arch9wavefront6targetE0EEEvT1_.kd
    .uniform_work_group_size: 1
    .uses_dynamic_stack: false
    .vgpr_count:     46
    .vgpr_spill_count: 0
    .wavefront_size: 32
    .workgroup_processor_mode: 1
  - .args:
      - .offset:         0
        .size:           96
        .value_kind:     by_value
    .group_segment_fixed_size: 0
    .kernarg_segment_align: 8
    .kernarg_segment_size: 96
    .language:       OpenCL C
    .language_version:
      - 2
      - 0
    .max_flat_workgroup_size: 64
    .name:           _ZN7rocprim17ROCPRIM_400000_NS6detail17trampoline_kernelINS0_14default_configENS1_20scan_config_selectorIfEEZZNS1_9scan_implILNS1_25lookback_scan_determinismE0ELb0ELb0ES3_PKfPffZZZN2at6native31launch_logcumsumexp_cuda_kernelERKNSB_10TensorBaseESF_lENKUlvE_clEvENKUlvE0_clEvEUlffE_fEEDaPvRmT3_T4_T5_mT6_P12ihipStream_tbENKUlT_T0_E_clISt17integral_constantIbLb0EESV_IbLb1EEEEDaSR_SS_EUlSR_E_NS1_11comp_targetILNS1_3genE8ELNS1_11target_archE1030ELNS1_3gpuE2ELNS1_3repE0EEENS1_30default_config_static_selectorELNS0_4arch9wavefront6targetE0EEEvT1_
    .private_segment_fixed_size: 0
    .sgpr_count:     0
    .sgpr_spill_count: 0
    .symbol:         _ZN7rocprim17ROCPRIM_400000_NS6detail17trampoline_kernelINS0_14default_configENS1_20scan_config_selectorIfEEZZNS1_9scan_implILNS1_25lookback_scan_determinismE0ELb0ELb0ES3_PKfPffZZZN2at6native31launch_logcumsumexp_cuda_kernelERKNSB_10TensorBaseESF_lENKUlvE_clEvENKUlvE0_clEvEUlffE_fEEDaPvRmT3_T4_T5_mT6_P12ihipStream_tbENKUlT_T0_E_clISt17integral_constantIbLb0EESV_IbLb1EEEEDaSR_SS_EUlSR_E_NS1_11comp_targetILNS1_3genE8ELNS1_11target_archE1030ELNS1_3gpuE2ELNS1_3repE0EEENS1_30default_config_static_selectorELNS0_4arch9wavefront6targetE0EEEvT1_.kd
    .uniform_work_group_size: 1
    .uses_dynamic_stack: false
    .vgpr_count:     0
    .vgpr_spill_count: 0
    .wavefront_size: 32
    .workgroup_processor_mode: 1
  - .args:
      - .offset:         0
        .size:           32
        .value_kind:     by_value
    .group_segment_fixed_size: 0
    .kernarg_segment_align: 8
    .kernarg_segment_size: 32
    .language:       OpenCL C
    .language_version:
      - 2
      - 0
    .max_flat_workgroup_size: 256
    .name:           _ZN7rocprim17ROCPRIM_400000_NS6detail17trampoline_kernelINS0_14default_configENS1_20scan_config_selectorIfEEZZNS1_9scan_implILNS1_25lookback_scan_determinismE0ELb0ELb0ES3_PKfPffZZZN2at6native31launch_logcumsumexp_cuda_kernelERKNSB_10TensorBaseESF_lENKUlvE_clEvENKUlvE0_clEvEUlffE_fEEDaPvRmT3_T4_T5_mT6_P12ihipStream_tbENKUlT_T0_E_clISt17integral_constantIbLb0EESV_IbLb1EEEEDaSR_SS_EUlSR_E0_NS1_11comp_targetILNS1_3genE0ELNS1_11target_archE4294967295ELNS1_3gpuE0ELNS1_3repE0EEENS1_30default_config_static_selectorELNS0_4arch9wavefront6targetE0EEEvT1_
    .private_segment_fixed_size: 0
    .sgpr_count:     0
    .sgpr_spill_count: 0
    .symbol:         _ZN7rocprim17ROCPRIM_400000_NS6detail17trampoline_kernelINS0_14default_configENS1_20scan_config_selectorIfEEZZNS1_9scan_implILNS1_25lookback_scan_determinismE0ELb0ELb0ES3_PKfPffZZZN2at6native31launch_logcumsumexp_cuda_kernelERKNSB_10TensorBaseESF_lENKUlvE_clEvENKUlvE0_clEvEUlffE_fEEDaPvRmT3_T4_T5_mT6_P12ihipStream_tbENKUlT_T0_E_clISt17integral_constantIbLb0EESV_IbLb1EEEEDaSR_SS_EUlSR_E0_NS1_11comp_targetILNS1_3genE0ELNS1_11target_archE4294967295ELNS1_3gpuE0ELNS1_3repE0EEENS1_30default_config_static_selectorELNS0_4arch9wavefront6targetE0EEEvT1_.kd
    .uniform_work_group_size: 1
    .uses_dynamic_stack: false
    .vgpr_count:     0
    .vgpr_spill_count: 0
    .wavefront_size: 32
    .workgroup_processor_mode: 1
  - .args:
      - .offset:         0
        .size:           32
        .value_kind:     by_value
    .group_segment_fixed_size: 0
    .kernarg_segment_align: 8
    .kernarg_segment_size: 32
    .language:       OpenCL C
    .language_version:
      - 2
      - 0
    .max_flat_workgroup_size: 256
    .name:           _ZN7rocprim17ROCPRIM_400000_NS6detail17trampoline_kernelINS0_14default_configENS1_20scan_config_selectorIfEEZZNS1_9scan_implILNS1_25lookback_scan_determinismE0ELb0ELb0ES3_PKfPffZZZN2at6native31launch_logcumsumexp_cuda_kernelERKNSB_10TensorBaseESF_lENKUlvE_clEvENKUlvE0_clEvEUlffE_fEEDaPvRmT3_T4_T5_mT6_P12ihipStream_tbENKUlT_T0_E_clISt17integral_constantIbLb0EESV_IbLb1EEEEDaSR_SS_EUlSR_E0_NS1_11comp_targetILNS1_3genE5ELNS1_11target_archE942ELNS1_3gpuE9ELNS1_3repE0EEENS1_30default_config_static_selectorELNS0_4arch9wavefront6targetE0EEEvT1_
    .private_segment_fixed_size: 0
    .sgpr_count:     0
    .sgpr_spill_count: 0
    .symbol:         _ZN7rocprim17ROCPRIM_400000_NS6detail17trampoline_kernelINS0_14default_configENS1_20scan_config_selectorIfEEZZNS1_9scan_implILNS1_25lookback_scan_determinismE0ELb0ELb0ES3_PKfPffZZZN2at6native31launch_logcumsumexp_cuda_kernelERKNSB_10TensorBaseESF_lENKUlvE_clEvENKUlvE0_clEvEUlffE_fEEDaPvRmT3_T4_T5_mT6_P12ihipStream_tbENKUlT_T0_E_clISt17integral_constantIbLb0EESV_IbLb1EEEEDaSR_SS_EUlSR_E0_NS1_11comp_targetILNS1_3genE5ELNS1_11target_archE942ELNS1_3gpuE9ELNS1_3repE0EEENS1_30default_config_static_selectorELNS0_4arch9wavefront6targetE0EEEvT1_.kd
    .uniform_work_group_size: 1
    .uses_dynamic_stack: false
    .vgpr_count:     0
    .vgpr_spill_count: 0
    .wavefront_size: 32
    .workgroup_processor_mode: 1
  - .args:
      - .offset:         0
        .size:           32
        .value_kind:     by_value
    .group_segment_fixed_size: 0
    .kernarg_segment_align: 8
    .kernarg_segment_size: 32
    .language:       OpenCL C
    .language_version:
      - 2
      - 0
    .max_flat_workgroup_size: 128
    .name:           _ZN7rocprim17ROCPRIM_400000_NS6detail17trampoline_kernelINS0_14default_configENS1_20scan_config_selectorIfEEZZNS1_9scan_implILNS1_25lookback_scan_determinismE0ELb0ELb0ES3_PKfPffZZZN2at6native31launch_logcumsumexp_cuda_kernelERKNSB_10TensorBaseESF_lENKUlvE_clEvENKUlvE0_clEvEUlffE_fEEDaPvRmT3_T4_T5_mT6_P12ihipStream_tbENKUlT_T0_E_clISt17integral_constantIbLb0EESV_IbLb1EEEEDaSR_SS_EUlSR_E0_NS1_11comp_targetILNS1_3genE4ELNS1_11target_archE910ELNS1_3gpuE8ELNS1_3repE0EEENS1_30default_config_static_selectorELNS0_4arch9wavefront6targetE0EEEvT1_
    .private_segment_fixed_size: 0
    .sgpr_count:     0
    .sgpr_spill_count: 0
    .symbol:         _ZN7rocprim17ROCPRIM_400000_NS6detail17trampoline_kernelINS0_14default_configENS1_20scan_config_selectorIfEEZZNS1_9scan_implILNS1_25lookback_scan_determinismE0ELb0ELb0ES3_PKfPffZZZN2at6native31launch_logcumsumexp_cuda_kernelERKNSB_10TensorBaseESF_lENKUlvE_clEvENKUlvE0_clEvEUlffE_fEEDaPvRmT3_T4_T5_mT6_P12ihipStream_tbENKUlT_T0_E_clISt17integral_constantIbLb0EESV_IbLb1EEEEDaSR_SS_EUlSR_E0_NS1_11comp_targetILNS1_3genE4ELNS1_11target_archE910ELNS1_3gpuE8ELNS1_3repE0EEENS1_30default_config_static_selectorELNS0_4arch9wavefront6targetE0EEEvT1_.kd
    .uniform_work_group_size: 1
    .uses_dynamic_stack: false
    .vgpr_count:     0
    .vgpr_spill_count: 0
    .wavefront_size: 32
    .workgroup_processor_mode: 1
  - .args:
      - .offset:         0
        .size:           32
        .value_kind:     by_value
    .group_segment_fixed_size: 0
    .kernarg_segment_align: 8
    .kernarg_segment_size: 32
    .language:       OpenCL C
    .language_version:
      - 2
      - 0
    .max_flat_workgroup_size: 256
    .name:           _ZN7rocprim17ROCPRIM_400000_NS6detail17trampoline_kernelINS0_14default_configENS1_20scan_config_selectorIfEEZZNS1_9scan_implILNS1_25lookback_scan_determinismE0ELb0ELb0ES3_PKfPffZZZN2at6native31launch_logcumsumexp_cuda_kernelERKNSB_10TensorBaseESF_lENKUlvE_clEvENKUlvE0_clEvEUlffE_fEEDaPvRmT3_T4_T5_mT6_P12ihipStream_tbENKUlT_T0_E_clISt17integral_constantIbLb0EESV_IbLb1EEEEDaSR_SS_EUlSR_E0_NS1_11comp_targetILNS1_3genE3ELNS1_11target_archE908ELNS1_3gpuE7ELNS1_3repE0EEENS1_30default_config_static_selectorELNS0_4arch9wavefront6targetE0EEEvT1_
    .private_segment_fixed_size: 0
    .sgpr_count:     0
    .sgpr_spill_count: 0
    .symbol:         _ZN7rocprim17ROCPRIM_400000_NS6detail17trampoline_kernelINS0_14default_configENS1_20scan_config_selectorIfEEZZNS1_9scan_implILNS1_25lookback_scan_determinismE0ELb0ELb0ES3_PKfPffZZZN2at6native31launch_logcumsumexp_cuda_kernelERKNSB_10TensorBaseESF_lENKUlvE_clEvENKUlvE0_clEvEUlffE_fEEDaPvRmT3_T4_T5_mT6_P12ihipStream_tbENKUlT_T0_E_clISt17integral_constantIbLb0EESV_IbLb1EEEEDaSR_SS_EUlSR_E0_NS1_11comp_targetILNS1_3genE3ELNS1_11target_archE908ELNS1_3gpuE7ELNS1_3repE0EEENS1_30default_config_static_selectorELNS0_4arch9wavefront6targetE0EEEvT1_.kd
    .uniform_work_group_size: 1
    .uses_dynamic_stack: false
    .vgpr_count:     0
    .vgpr_spill_count: 0
    .wavefront_size: 32
    .workgroup_processor_mode: 1
  - .args:
      - .offset:         0
        .size:           32
        .value_kind:     by_value
    .group_segment_fixed_size: 0
    .kernarg_segment_align: 8
    .kernarg_segment_size: 32
    .language:       OpenCL C
    .language_version:
      - 2
      - 0
    .max_flat_workgroup_size: 256
    .name:           _ZN7rocprim17ROCPRIM_400000_NS6detail17trampoline_kernelINS0_14default_configENS1_20scan_config_selectorIfEEZZNS1_9scan_implILNS1_25lookback_scan_determinismE0ELb0ELb0ES3_PKfPffZZZN2at6native31launch_logcumsumexp_cuda_kernelERKNSB_10TensorBaseESF_lENKUlvE_clEvENKUlvE0_clEvEUlffE_fEEDaPvRmT3_T4_T5_mT6_P12ihipStream_tbENKUlT_T0_E_clISt17integral_constantIbLb0EESV_IbLb1EEEEDaSR_SS_EUlSR_E0_NS1_11comp_targetILNS1_3genE2ELNS1_11target_archE906ELNS1_3gpuE6ELNS1_3repE0EEENS1_30default_config_static_selectorELNS0_4arch9wavefront6targetE0EEEvT1_
    .private_segment_fixed_size: 0
    .sgpr_count:     0
    .sgpr_spill_count: 0
    .symbol:         _ZN7rocprim17ROCPRIM_400000_NS6detail17trampoline_kernelINS0_14default_configENS1_20scan_config_selectorIfEEZZNS1_9scan_implILNS1_25lookback_scan_determinismE0ELb0ELb0ES3_PKfPffZZZN2at6native31launch_logcumsumexp_cuda_kernelERKNSB_10TensorBaseESF_lENKUlvE_clEvENKUlvE0_clEvEUlffE_fEEDaPvRmT3_T4_T5_mT6_P12ihipStream_tbENKUlT_T0_E_clISt17integral_constantIbLb0EESV_IbLb1EEEEDaSR_SS_EUlSR_E0_NS1_11comp_targetILNS1_3genE2ELNS1_11target_archE906ELNS1_3gpuE6ELNS1_3repE0EEENS1_30default_config_static_selectorELNS0_4arch9wavefront6targetE0EEEvT1_.kd
    .uniform_work_group_size: 1
    .uses_dynamic_stack: false
    .vgpr_count:     0
    .vgpr_spill_count: 0
    .wavefront_size: 32
    .workgroup_processor_mode: 1
  - .args:
      - .offset:         0
        .size:           32
        .value_kind:     by_value
    .group_segment_fixed_size: 0
    .kernarg_segment_align: 8
    .kernarg_segment_size: 32
    .language:       OpenCL C
    .language_version:
      - 2
      - 0
    .max_flat_workgroup_size: 256
    .name:           _ZN7rocprim17ROCPRIM_400000_NS6detail17trampoline_kernelINS0_14default_configENS1_20scan_config_selectorIfEEZZNS1_9scan_implILNS1_25lookback_scan_determinismE0ELb0ELb0ES3_PKfPffZZZN2at6native31launch_logcumsumexp_cuda_kernelERKNSB_10TensorBaseESF_lENKUlvE_clEvENKUlvE0_clEvEUlffE_fEEDaPvRmT3_T4_T5_mT6_P12ihipStream_tbENKUlT_T0_E_clISt17integral_constantIbLb0EESV_IbLb1EEEEDaSR_SS_EUlSR_E0_NS1_11comp_targetILNS1_3genE10ELNS1_11target_archE1201ELNS1_3gpuE5ELNS1_3repE0EEENS1_30default_config_static_selectorELNS0_4arch9wavefront6targetE0EEEvT1_
    .private_segment_fixed_size: 0
    .sgpr_count:     0
    .sgpr_spill_count: 0
    .symbol:         _ZN7rocprim17ROCPRIM_400000_NS6detail17trampoline_kernelINS0_14default_configENS1_20scan_config_selectorIfEEZZNS1_9scan_implILNS1_25lookback_scan_determinismE0ELb0ELb0ES3_PKfPffZZZN2at6native31launch_logcumsumexp_cuda_kernelERKNSB_10TensorBaseESF_lENKUlvE_clEvENKUlvE0_clEvEUlffE_fEEDaPvRmT3_T4_T5_mT6_P12ihipStream_tbENKUlT_T0_E_clISt17integral_constantIbLb0EESV_IbLb1EEEEDaSR_SS_EUlSR_E0_NS1_11comp_targetILNS1_3genE10ELNS1_11target_archE1201ELNS1_3gpuE5ELNS1_3repE0EEENS1_30default_config_static_selectorELNS0_4arch9wavefront6targetE0EEEvT1_.kd
    .uniform_work_group_size: 1
    .uses_dynamic_stack: false
    .vgpr_count:     0
    .vgpr_spill_count: 0
    .wavefront_size: 32
    .workgroup_processor_mode: 1
  - .args:
      - .offset:         0
        .size:           32
        .value_kind:     by_value
    .group_segment_fixed_size: 0
    .kernarg_segment_align: 8
    .kernarg_segment_size: 32
    .language:       OpenCL C
    .language_version:
      - 2
      - 0
    .max_flat_workgroup_size: 256
    .name:           _ZN7rocprim17ROCPRIM_400000_NS6detail17trampoline_kernelINS0_14default_configENS1_20scan_config_selectorIfEEZZNS1_9scan_implILNS1_25lookback_scan_determinismE0ELb0ELb0ES3_PKfPffZZZN2at6native31launch_logcumsumexp_cuda_kernelERKNSB_10TensorBaseESF_lENKUlvE_clEvENKUlvE0_clEvEUlffE_fEEDaPvRmT3_T4_T5_mT6_P12ihipStream_tbENKUlT_T0_E_clISt17integral_constantIbLb0EESV_IbLb1EEEEDaSR_SS_EUlSR_E0_NS1_11comp_targetILNS1_3genE10ELNS1_11target_archE1200ELNS1_3gpuE4ELNS1_3repE0EEENS1_30default_config_static_selectorELNS0_4arch9wavefront6targetE0EEEvT1_
    .private_segment_fixed_size: 0
    .sgpr_count:     0
    .sgpr_spill_count: 0
    .symbol:         _ZN7rocprim17ROCPRIM_400000_NS6detail17trampoline_kernelINS0_14default_configENS1_20scan_config_selectorIfEEZZNS1_9scan_implILNS1_25lookback_scan_determinismE0ELb0ELb0ES3_PKfPffZZZN2at6native31launch_logcumsumexp_cuda_kernelERKNSB_10TensorBaseESF_lENKUlvE_clEvENKUlvE0_clEvEUlffE_fEEDaPvRmT3_T4_T5_mT6_P12ihipStream_tbENKUlT_T0_E_clISt17integral_constantIbLb0EESV_IbLb1EEEEDaSR_SS_EUlSR_E0_NS1_11comp_targetILNS1_3genE10ELNS1_11target_archE1200ELNS1_3gpuE4ELNS1_3repE0EEENS1_30default_config_static_selectorELNS0_4arch9wavefront6targetE0EEEvT1_.kd
    .uniform_work_group_size: 1
    .uses_dynamic_stack: false
    .vgpr_count:     0
    .vgpr_spill_count: 0
    .wavefront_size: 32
    .workgroup_processor_mode: 1
  - .args:
      - .offset:         0
        .size:           32
        .value_kind:     by_value
    .group_segment_fixed_size: 4224
    .kernarg_segment_align: 8
    .kernarg_segment_size: 32
    .language:       OpenCL C
    .language_version:
      - 2
      - 0
    .max_flat_workgroup_size: 256
    .name:           _ZN7rocprim17ROCPRIM_400000_NS6detail17trampoline_kernelINS0_14default_configENS1_20scan_config_selectorIfEEZZNS1_9scan_implILNS1_25lookback_scan_determinismE0ELb0ELb0ES3_PKfPffZZZN2at6native31launch_logcumsumexp_cuda_kernelERKNSB_10TensorBaseESF_lENKUlvE_clEvENKUlvE0_clEvEUlffE_fEEDaPvRmT3_T4_T5_mT6_P12ihipStream_tbENKUlT_T0_E_clISt17integral_constantIbLb0EESV_IbLb1EEEEDaSR_SS_EUlSR_E0_NS1_11comp_targetILNS1_3genE9ELNS1_11target_archE1100ELNS1_3gpuE3ELNS1_3repE0EEENS1_30default_config_static_selectorELNS0_4arch9wavefront6targetE0EEEvT1_
    .private_segment_fixed_size: 0
    .sgpr_count:     17
    .sgpr_spill_count: 0
    .symbol:         _ZN7rocprim17ROCPRIM_400000_NS6detail17trampoline_kernelINS0_14default_configENS1_20scan_config_selectorIfEEZZNS1_9scan_implILNS1_25lookback_scan_determinismE0ELb0ELb0ES3_PKfPffZZZN2at6native31launch_logcumsumexp_cuda_kernelERKNSB_10TensorBaseESF_lENKUlvE_clEvENKUlvE0_clEvEUlffE_fEEDaPvRmT3_T4_T5_mT6_P12ihipStream_tbENKUlT_T0_E_clISt17integral_constantIbLb0EESV_IbLb1EEEEDaSR_SS_EUlSR_E0_NS1_11comp_targetILNS1_3genE9ELNS1_11target_archE1100ELNS1_3gpuE3ELNS1_3repE0EEENS1_30default_config_static_selectorELNS0_4arch9wavefront6targetE0EEEvT1_.kd
    .uniform_work_group_size: 1
    .uses_dynamic_stack: false
    .vgpr_count:     37
    .vgpr_spill_count: 0
    .wavefront_size: 32
    .workgroup_processor_mode: 1
  - .args:
      - .offset:         0
        .size:           32
        .value_kind:     by_value
    .group_segment_fixed_size: 0
    .kernarg_segment_align: 8
    .kernarg_segment_size: 32
    .language:       OpenCL C
    .language_version:
      - 2
      - 0
    .max_flat_workgroup_size: 64
    .name:           _ZN7rocprim17ROCPRIM_400000_NS6detail17trampoline_kernelINS0_14default_configENS1_20scan_config_selectorIfEEZZNS1_9scan_implILNS1_25lookback_scan_determinismE0ELb0ELb0ES3_PKfPffZZZN2at6native31launch_logcumsumexp_cuda_kernelERKNSB_10TensorBaseESF_lENKUlvE_clEvENKUlvE0_clEvEUlffE_fEEDaPvRmT3_T4_T5_mT6_P12ihipStream_tbENKUlT_T0_E_clISt17integral_constantIbLb0EESV_IbLb1EEEEDaSR_SS_EUlSR_E0_NS1_11comp_targetILNS1_3genE8ELNS1_11target_archE1030ELNS1_3gpuE2ELNS1_3repE0EEENS1_30default_config_static_selectorELNS0_4arch9wavefront6targetE0EEEvT1_
    .private_segment_fixed_size: 0
    .sgpr_count:     0
    .sgpr_spill_count: 0
    .symbol:         _ZN7rocprim17ROCPRIM_400000_NS6detail17trampoline_kernelINS0_14default_configENS1_20scan_config_selectorIfEEZZNS1_9scan_implILNS1_25lookback_scan_determinismE0ELb0ELb0ES3_PKfPffZZZN2at6native31launch_logcumsumexp_cuda_kernelERKNSB_10TensorBaseESF_lENKUlvE_clEvENKUlvE0_clEvEUlffE_fEEDaPvRmT3_T4_T5_mT6_P12ihipStream_tbENKUlT_T0_E_clISt17integral_constantIbLb0EESV_IbLb1EEEEDaSR_SS_EUlSR_E0_NS1_11comp_targetILNS1_3genE8ELNS1_11target_archE1030ELNS1_3gpuE2ELNS1_3repE0EEENS1_30default_config_static_selectorELNS0_4arch9wavefront6targetE0EEEvT1_.kd
    .uniform_work_group_size: 1
    .uses_dynamic_stack: false
    .vgpr_count:     0
    .vgpr_spill_count: 0
    .wavefront_size: 32
    .workgroup_processor_mode: 1
  - .args:
      - .address_space:  global
        .offset:         0
        .size:           8
        .value_kind:     global_buffer
      - .address_space:  global
        .offset:         8
        .size:           8
        .value_kind:     global_buffer
      - .offset:         16
        .size:           4
        .value_kind:     by_value
      - .offset:         20
        .size:           4
        .value_kind:     by_value
      - .offset:         24
        .size:           4
        .value_kind:     by_value
      - .offset:         28
        .size:           4
        .value_kind:     by_value
      - .offset:         32
        .size:           1
        .value_kind:     by_value
      - .offset:         40
        .size:           4
        .value_kind:     hidden_block_count_x
      - .offset:         44
        .size:           4
        .value_kind:     hidden_block_count_y
      - .offset:         48
        .size:           4
        .value_kind:     hidden_block_count_z
      - .offset:         52
        .size:           2
        .value_kind:     hidden_group_size_x
      - .offset:         54
        .size:           2
        .value_kind:     hidden_group_size_y
      - .offset:         56
        .size:           2
        .value_kind:     hidden_group_size_z
      - .offset:         58
        .size:           2
        .value_kind:     hidden_remainder_x
      - .offset:         60
        .size:           2
        .value_kind:     hidden_remainder_y
      - .offset:         62
        .size:           2
        .value_kind:     hidden_remainder_z
      - .offset:         80
        .size:           8
        .value_kind:     hidden_global_offset_x
      - .offset:         88
        .size:           8
        .value_kind:     hidden_global_offset_y
      - .offset:         96
        .size:           8
        .value_kind:     hidden_global_offset_z
      - .offset:         104
        .size:           2
        .value_kind:     hidden_grid_dims
      - .offset:         160
        .size:           4
        .value_kind:     hidden_dynamic_lds_size
    .group_segment_fixed_size: 0
    .kernarg_segment_align: 8
    .kernarg_segment_size: 296
    .language:       OpenCL C
    .language_version:
      - 2
      - 0
    .max_flat_workgroup_size: 1024
    .name:           _ZN2at6native32tensor_kernel_scan_innermost_dimIfZZZNS0_31launch_logcumsumexp_cuda_kernelERKNS_10TensorBaseES4_lENKUlvE_clEvENKUlvE0_clEvEUlffE_EEvPT_PKS8_jjjS8_T0_
    .private_segment_fixed_size: 0
    .sgpr_count:     30
    .sgpr_spill_count: 0
    .symbol:         _ZN2at6native32tensor_kernel_scan_innermost_dimIfZZZNS0_31launch_logcumsumexp_cuda_kernelERKNS_10TensorBaseES4_lENKUlvE_clEvENKUlvE0_clEvEUlffE_EEvPT_PKS8_jjjS8_T0_.kd
    .uniform_work_group_size: 1
    .uses_dynamic_stack: false
    .vgpr_count:     31
    .vgpr_spill_count: 0
    .wavefront_size: 32
    .workgroup_processor_mode: 1
  - .args:
      - .address_space:  global
        .offset:         0
        .size:           8
        .value_kind:     global_buffer
      - .address_space:  global
        .offset:         8
        .size:           8
        .value_kind:     global_buffer
      - .offset:         16
        .size:           4
        .value_kind:     by_value
      - .offset:         20
        .size:           4
        .value_kind:     by_value
      - .offset:         24
        .size:           4
        .value_kind:     by_value
      - .offset:         28
        .size:           4
        .value_kind:     by_value
      - .offset:         32
        .size:           1
        .value_kind:     by_value
      - .offset:         40
        .size:           4
        .value_kind:     hidden_block_count_x
      - .offset:         44
        .size:           4
        .value_kind:     hidden_block_count_y
      - .offset:         48
        .size:           4
        .value_kind:     hidden_block_count_z
      - .offset:         52
        .size:           2
        .value_kind:     hidden_group_size_x
      - .offset:         54
        .size:           2
        .value_kind:     hidden_group_size_y
      - .offset:         56
        .size:           2
        .value_kind:     hidden_group_size_z
      - .offset:         58
        .size:           2
        .value_kind:     hidden_remainder_x
      - .offset:         60
        .size:           2
        .value_kind:     hidden_remainder_y
      - .offset:         62
        .size:           2
        .value_kind:     hidden_remainder_z
      - .offset:         80
        .size:           8
        .value_kind:     hidden_global_offset_x
      - .offset:         88
        .size:           8
        .value_kind:     hidden_global_offset_y
      - .offset:         96
        .size:           8
        .value_kind:     hidden_global_offset_z
      - .offset:         104
        .size:           2
        .value_kind:     hidden_grid_dims
    .group_segment_fixed_size: 0
    .kernarg_segment_align: 8
    .kernarg_segment_size: 296
    .language:       OpenCL C
    .language_version:
      - 2
      - 0
    .max_flat_workgroup_size: 1024
    .name:           _ZN2at6native28tensor_kernel_scan_outer_dimIfjZZZNS0_31launch_logcumsumexp_cuda_kernelERKNS_10TensorBaseES4_lENKUlvE_clEvENKUlvE0_clEvEUlffE_EEvPT_PKS8_jjjS8_T1_
    .private_segment_fixed_size: 0
    .sgpr_count:     31
    .sgpr_spill_count: 0
    .symbol:         _ZN2at6native28tensor_kernel_scan_outer_dimIfjZZZNS0_31launch_logcumsumexp_cuda_kernelERKNS_10TensorBaseES4_lENKUlvE_clEvENKUlvE0_clEvEUlffE_EEvPT_PKS8_jjjS8_T1_.kd
    .uniform_work_group_size: 1
    .uses_dynamic_stack: false
    .vgpr_count:     19
    .vgpr_spill_count: 0
    .wavefront_size: 32
    .workgroup_processor_mode: 1
  - .args:
      - .address_space:  global
        .offset:         0
        .size:           8
        .value_kind:     global_buffer
      - .address_space:  global
        .offset:         8
        .size:           8
        .value_kind:     global_buffer
      - .offset:         16
        .size:           4
        .value_kind:     by_value
      - .offset:         20
        .size:           4
        .value_kind:     by_value
      - .offset:         24
        .size:           4
        .value_kind:     by_value
      - .offset:         28
        .size:           4
        .value_kind:     by_value
      - .offset:         32
        .size:           1
        .value_kind:     by_value
      - .offset:         40
        .size:           4
        .value_kind:     hidden_block_count_x
      - .offset:         44
        .size:           4
        .value_kind:     hidden_block_count_y
      - .offset:         48
        .size:           4
        .value_kind:     hidden_block_count_z
      - .offset:         52
        .size:           2
        .value_kind:     hidden_group_size_x
      - .offset:         54
        .size:           2
        .value_kind:     hidden_group_size_y
      - .offset:         56
        .size:           2
        .value_kind:     hidden_group_size_z
      - .offset:         58
        .size:           2
        .value_kind:     hidden_remainder_x
      - .offset:         60
        .size:           2
        .value_kind:     hidden_remainder_y
      - .offset:         62
        .size:           2
        .value_kind:     hidden_remainder_z
      - .offset:         80
        .size:           8
        .value_kind:     hidden_global_offset_x
      - .offset:         88
        .size:           8
        .value_kind:     hidden_global_offset_y
      - .offset:         96
        .size:           8
        .value_kind:     hidden_global_offset_z
      - .offset:         104
        .size:           2
        .value_kind:     hidden_grid_dims
    .group_segment_fixed_size: 0
    .kernarg_segment_align: 8
    .kernarg_segment_size: 296
    .language:       OpenCL C
    .language_version:
      - 2
      - 0
    .max_flat_workgroup_size: 1024
    .name:           _ZN2at6native28tensor_kernel_scan_outer_dimIfmZZZNS0_31launch_logcumsumexp_cuda_kernelERKNS_10TensorBaseES4_lENKUlvE_clEvENKUlvE0_clEvEUlffE_EEvPT_PKS8_jjjS8_T1_
    .private_segment_fixed_size: 0
    .sgpr_count:     30
    .sgpr_spill_count: 0
    .symbol:         _ZN2at6native28tensor_kernel_scan_outer_dimIfmZZZNS0_31launch_logcumsumexp_cuda_kernelERKNS_10TensorBaseES4_lENKUlvE_clEvENKUlvE0_clEvEUlffE_EEvPT_PKS8_jjjS8_T1_.kd
    .uniform_work_group_size: 1
    .uses_dynamic_stack: false
    .vgpr_count:     19
    .vgpr_spill_count: 0
    .wavefront_size: 32
    .workgroup_processor_mode: 1
  - .args:
      - .offset:         0
        .size:           24
        .value_kind:     by_value
      - .offset:         24
        .size:           4
        .value_kind:     by_value
      - .offset:         28
        .size:           1
        .value_kind:     by_value
      - .offset:         32
        .size:           4
        .value_kind:     by_value
      - .address_space:  global
        .offset:         40
        .size:           8
        .value_kind:     global_buffer
      - .offset:         48
        .size:           4
        .value_kind:     hidden_block_count_x
      - .offset:         52
        .size:           4
        .value_kind:     hidden_block_count_y
      - .offset:         56
        .size:           4
        .value_kind:     hidden_block_count_z
      - .offset:         60
        .size:           2
        .value_kind:     hidden_group_size_x
      - .offset:         62
        .size:           2
        .value_kind:     hidden_group_size_y
      - .offset:         64
        .size:           2
        .value_kind:     hidden_group_size_z
      - .offset:         66
        .size:           2
        .value_kind:     hidden_remainder_x
      - .offset:         68
        .size:           2
        .value_kind:     hidden_remainder_y
      - .offset:         70
        .size:           2
        .value_kind:     hidden_remainder_z
      - .offset:         88
        .size:           8
        .value_kind:     hidden_global_offset_x
      - .offset:         96
        .size:           8
        .value_kind:     hidden_global_offset_y
      - .offset:         104
        .size:           8
        .value_kind:     hidden_global_offset_z
      - .offset:         112
        .size:           2
        .value_kind:     hidden_grid_dims
    .group_segment_fixed_size: 0
    .kernarg_segment_align: 8
    .kernarg_segment_size: 304
    .language:       OpenCL C
    .language_version:
      - 2
      - 0
    .max_flat_workgroup_size: 256
    .name:           _ZN7rocprim17ROCPRIM_400000_NS6detail31init_lookback_scan_state_kernelINS1_19lookback_scan_stateIN3c107complexIdEELb0ELb0EEENS1_16block_id_wrapperIjLb0EEEEEvT_jT0_jPNSA_10value_typeE
    .private_segment_fixed_size: 0
    .sgpr_count:     18
    .sgpr_spill_count: 0
    .symbol:         _ZN7rocprim17ROCPRIM_400000_NS6detail31init_lookback_scan_state_kernelINS1_19lookback_scan_stateIN3c107complexIdEELb0ELb0EEENS1_16block_id_wrapperIjLb0EEEEEvT_jT0_jPNSA_10value_typeE.kd
    .uniform_work_group_size: 1
    .uses_dynamic_stack: false
    .vgpr_count:     6
    .vgpr_spill_count: 0
    .wavefront_size: 32
    .workgroup_processor_mode: 1
  - .args:
      - .offset:         0
        .size:           128
        .value_kind:     by_value
    .group_segment_fixed_size: 0
    .kernarg_segment_align: 16
    .kernarg_segment_size: 128
    .language:       OpenCL C
    .language_version:
      - 2
      - 0
    .max_flat_workgroup_size: 128
    .name:           _ZN7rocprim17ROCPRIM_400000_NS6detail17trampoline_kernelINS0_14default_configENS1_20scan_config_selectorIN3c107complexIdEEEEZZNS1_9scan_implILNS1_25lookback_scan_determinismE0ELb0ELb0ES3_PKS7_PS7_S7_ZZZN2at6native31launch_logcumsumexp_cuda_kernelERKNSE_10TensorBaseESI_lENKUlvE_clEvENKUlvE1_clEvEUlS7_S7_E_S7_EEDaPvRmT3_T4_T5_mT6_P12ihipStream_tbENKUlT_T0_E_clISt17integral_constantIbLb0EESZ_EEDaSU_SV_EUlSU_E_NS1_11comp_targetILNS1_3genE0ELNS1_11target_archE4294967295ELNS1_3gpuE0ELNS1_3repE0EEENS1_30default_config_static_selectorELNS0_4arch9wavefront6targetE0EEEvT1_
    .private_segment_fixed_size: 0
    .sgpr_count:     0
    .sgpr_spill_count: 0
    .symbol:         _ZN7rocprim17ROCPRIM_400000_NS6detail17trampoline_kernelINS0_14default_configENS1_20scan_config_selectorIN3c107complexIdEEEEZZNS1_9scan_implILNS1_25lookback_scan_determinismE0ELb0ELb0ES3_PKS7_PS7_S7_ZZZN2at6native31launch_logcumsumexp_cuda_kernelERKNSE_10TensorBaseESI_lENKUlvE_clEvENKUlvE1_clEvEUlS7_S7_E_S7_EEDaPvRmT3_T4_T5_mT6_P12ihipStream_tbENKUlT_T0_E_clISt17integral_constantIbLb0EESZ_EEDaSU_SV_EUlSU_E_NS1_11comp_targetILNS1_3genE0ELNS1_11target_archE4294967295ELNS1_3gpuE0ELNS1_3repE0EEENS1_30default_config_static_selectorELNS0_4arch9wavefront6targetE0EEEvT1_.kd
    .uniform_work_group_size: 1
    .uses_dynamic_stack: false
    .vgpr_count:     0
    .vgpr_spill_count: 0
    .wavefront_size: 32
    .workgroup_processor_mode: 1
  - .args:
      - .offset:         0
        .size:           128
        .value_kind:     by_value
    .group_segment_fixed_size: 0
    .kernarg_segment_align: 16
    .kernarg_segment_size: 128
    .language:       OpenCL C
    .language_version:
      - 2
      - 0
    .max_flat_workgroup_size: 256
    .name:           _ZN7rocprim17ROCPRIM_400000_NS6detail17trampoline_kernelINS0_14default_configENS1_20scan_config_selectorIN3c107complexIdEEEEZZNS1_9scan_implILNS1_25lookback_scan_determinismE0ELb0ELb0ES3_PKS7_PS7_S7_ZZZN2at6native31launch_logcumsumexp_cuda_kernelERKNSE_10TensorBaseESI_lENKUlvE_clEvENKUlvE1_clEvEUlS7_S7_E_S7_EEDaPvRmT3_T4_T5_mT6_P12ihipStream_tbENKUlT_T0_E_clISt17integral_constantIbLb0EESZ_EEDaSU_SV_EUlSU_E_NS1_11comp_targetILNS1_3genE5ELNS1_11target_archE942ELNS1_3gpuE9ELNS1_3repE0EEENS1_30default_config_static_selectorELNS0_4arch9wavefront6targetE0EEEvT1_
    .private_segment_fixed_size: 0
    .sgpr_count:     0
    .sgpr_spill_count: 0
    .symbol:         _ZN7rocprim17ROCPRIM_400000_NS6detail17trampoline_kernelINS0_14default_configENS1_20scan_config_selectorIN3c107complexIdEEEEZZNS1_9scan_implILNS1_25lookback_scan_determinismE0ELb0ELb0ES3_PKS7_PS7_S7_ZZZN2at6native31launch_logcumsumexp_cuda_kernelERKNSE_10TensorBaseESI_lENKUlvE_clEvENKUlvE1_clEvEUlS7_S7_E_S7_EEDaPvRmT3_T4_T5_mT6_P12ihipStream_tbENKUlT_T0_E_clISt17integral_constantIbLb0EESZ_EEDaSU_SV_EUlSU_E_NS1_11comp_targetILNS1_3genE5ELNS1_11target_archE942ELNS1_3gpuE9ELNS1_3repE0EEENS1_30default_config_static_selectorELNS0_4arch9wavefront6targetE0EEEvT1_.kd
    .uniform_work_group_size: 1
    .uses_dynamic_stack: false
    .vgpr_count:     0
    .vgpr_spill_count: 0
    .wavefront_size: 32
    .workgroup_processor_mode: 1
  - .args:
      - .offset:         0
        .size:           128
        .value_kind:     by_value
    .group_segment_fixed_size: 0
    .kernarg_segment_align: 16
    .kernarg_segment_size: 128
    .language:       OpenCL C
    .language_version:
      - 2
      - 0
    .max_flat_workgroup_size: 64
    .name:           _ZN7rocprim17ROCPRIM_400000_NS6detail17trampoline_kernelINS0_14default_configENS1_20scan_config_selectorIN3c107complexIdEEEEZZNS1_9scan_implILNS1_25lookback_scan_determinismE0ELb0ELb0ES3_PKS7_PS7_S7_ZZZN2at6native31launch_logcumsumexp_cuda_kernelERKNSE_10TensorBaseESI_lENKUlvE_clEvENKUlvE1_clEvEUlS7_S7_E_S7_EEDaPvRmT3_T4_T5_mT6_P12ihipStream_tbENKUlT_T0_E_clISt17integral_constantIbLb0EESZ_EEDaSU_SV_EUlSU_E_NS1_11comp_targetILNS1_3genE4ELNS1_11target_archE910ELNS1_3gpuE8ELNS1_3repE0EEENS1_30default_config_static_selectorELNS0_4arch9wavefront6targetE0EEEvT1_
    .private_segment_fixed_size: 0
    .sgpr_count:     0
    .sgpr_spill_count: 0
    .symbol:         _ZN7rocprim17ROCPRIM_400000_NS6detail17trampoline_kernelINS0_14default_configENS1_20scan_config_selectorIN3c107complexIdEEEEZZNS1_9scan_implILNS1_25lookback_scan_determinismE0ELb0ELb0ES3_PKS7_PS7_S7_ZZZN2at6native31launch_logcumsumexp_cuda_kernelERKNSE_10TensorBaseESI_lENKUlvE_clEvENKUlvE1_clEvEUlS7_S7_E_S7_EEDaPvRmT3_T4_T5_mT6_P12ihipStream_tbENKUlT_T0_E_clISt17integral_constantIbLb0EESZ_EEDaSU_SV_EUlSU_E_NS1_11comp_targetILNS1_3genE4ELNS1_11target_archE910ELNS1_3gpuE8ELNS1_3repE0EEENS1_30default_config_static_selectorELNS0_4arch9wavefront6targetE0EEEvT1_.kd
    .uniform_work_group_size: 1
    .uses_dynamic_stack: false
    .vgpr_count:     0
    .vgpr_spill_count: 0
    .wavefront_size: 32
    .workgroup_processor_mode: 1
  - .args:
      - .offset:         0
        .size:           128
        .value_kind:     by_value
    .group_segment_fixed_size: 0
    .kernarg_segment_align: 16
    .kernarg_segment_size: 128
    .language:       OpenCL C
    .language_version:
      - 2
      - 0
    .max_flat_workgroup_size: 128
    .name:           _ZN7rocprim17ROCPRIM_400000_NS6detail17trampoline_kernelINS0_14default_configENS1_20scan_config_selectorIN3c107complexIdEEEEZZNS1_9scan_implILNS1_25lookback_scan_determinismE0ELb0ELb0ES3_PKS7_PS7_S7_ZZZN2at6native31launch_logcumsumexp_cuda_kernelERKNSE_10TensorBaseESI_lENKUlvE_clEvENKUlvE1_clEvEUlS7_S7_E_S7_EEDaPvRmT3_T4_T5_mT6_P12ihipStream_tbENKUlT_T0_E_clISt17integral_constantIbLb0EESZ_EEDaSU_SV_EUlSU_E_NS1_11comp_targetILNS1_3genE3ELNS1_11target_archE908ELNS1_3gpuE7ELNS1_3repE0EEENS1_30default_config_static_selectorELNS0_4arch9wavefront6targetE0EEEvT1_
    .private_segment_fixed_size: 0
    .sgpr_count:     0
    .sgpr_spill_count: 0
    .symbol:         _ZN7rocprim17ROCPRIM_400000_NS6detail17trampoline_kernelINS0_14default_configENS1_20scan_config_selectorIN3c107complexIdEEEEZZNS1_9scan_implILNS1_25lookback_scan_determinismE0ELb0ELb0ES3_PKS7_PS7_S7_ZZZN2at6native31launch_logcumsumexp_cuda_kernelERKNSE_10TensorBaseESI_lENKUlvE_clEvENKUlvE1_clEvEUlS7_S7_E_S7_EEDaPvRmT3_T4_T5_mT6_P12ihipStream_tbENKUlT_T0_E_clISt17integral_constantIbLb0EESZ_EEDaSU_SV_EUlSU_E_NS1_11comp_targetILNS1_3genE3ELNS1_11target_archE908ELNS1_3gpuE7ELNS1_3repE0EEENS1_30default_config_static_selectorELNS0_4arch9wavefront6targetE0EEEvT1_.kd
    .uniform_work_group_size: 1
    .uses_dynamic_stack: false
    .vgpr_count:     0
    .vgpr_spill_count: 0
    .wavefront_size: 32
    .workgroup_processor_mode: 1
  - .args:
      - .offset:         0
        .size:           128
        .value_kind:     by_value
    .group_segment_fixed_size: 0
    .kernarg_segment_align: 16
    .kernarg_segment_size: 128
    .language:       OpenCL C
    .language_version:
      - 2
      - 0
    .max_flat_workgroup_size: 64
    .name:           _ZN7rocprim17ROCPRIM_400000_NS6detail17trampoline_kernelINS0_14default_configENS1_20scan_config_selectorIN3c107complexIdEEEEZZNS1_9scan_implILNS1_25lookback_scan_determinismE0ELb0ELb0ES3_PKS7_PS7_S7_ZZZN2at6native31launch_logcumsumexp_cuda_kernelERKNSE_10TensorBaseESI_lENKUlvE_clEvENKUlvE1_clEvEUlS7_S7_E_S7_EEDaPvRmT3_T4_T5_mT6_P12ihipStream_tbENKUlT_T0_E_clISt17integral_constantIbLb0EESZ_EEDaSU_SV_EUlSU_E_NS1_11comp_targetILNS1_3genE2ELNS1_11target_archE906ELNS1_3gpuE6ELNS1_3repE0EEENS1_30default_config_static_selectorELNS0_4arch9wavefront6targetE0EEEvT1_
    .private_segment_fixed_size: 0
    .sgpr_count:     0
    .sgpr_spill_count: 0
    .symbol:         _ZN7rocprim17ROCPRIM_400000_NS6detail17trampoline_kernelINS0_14default_configENS1_20scan_config_selectorIN3c107complexIdEEEEZZNS1_9scan_implILNS1_25lookback_scan_determinismE0ELb0ELb0ES3_PKS7_PS7_S7_ZZZN2at6native31launch_logcumsumexp_cuda_kernelERKNSE_10TensorBaseESI_lENKUlvE_clEvENKUlvE1_clEvEUlS7_S7_E_S7_EEDaPvRmT3_T4_T5_mT6_P12ihipStream_tbENKUlT_T0_E_clISt17integral_constantIbLb0EESZ_EEDaSU_SV_EUlSU_E_NS1_11comp_targetILNS1_3genE2ELNS1_11target_archE906ELNS1_3gpuE6ELNS1_3repE0EEENS1_30default_config_static_selectorELNS0_4arch9wavefront6targetE0EEEvT1_.kd
    .uniform_work_group_size: 1
    .uses_dynamic_stack: false
    .vgpr_count:     0
    .vgpr_spill_count: 0
    .wavefront_size: 32
    .workgroup_processor_mode: 1
  - .args:
      - .offset:         0
        .size:           128
        .value_kind:     by_value
    .group_segment_fixed_size: 0
    .kernarg_segment_align: 16
    .kernarg_segment_size: 128
    .language:       OpenCL C
    .language_version:
      - 2
      - 0
    .max_flat_workgroup_size: 256
    .name:           _ZN7rocprim17ROCPRIM_400000_NS6detail17trampoline_kernelINS0_14default_configENS1_20scan_config_selectorIN3c107complexIdEEEEZZNS1_9scan_implILNS1_25lookback_scan_determinismE0ELb0ELb0ES3_PKS7_PS7_S7_ZZZN2at6native31launch_logcumsumexp_cuda_kernelERKNSE_10TensorBaseESI_lENKUlvE_clEvENKUlvE1_clEvEUlS7_S7_E_S7_EEDaPvRmT3_T4_T5_mT6_P12ihipStream_tbENKUlT_T0_E_clISt17integral_constantIbLb0EESZ_EEDaSU_SV_EUlSU_E_NS1_11comp_targetILNS1_3genE10ELNS1_11target_archE1201ELNS1_3gpuE5ELNS1_3repE0EEENS1_30default_config_static_selectorELNS0_4arch9wavefront6targetE0EEEvT1_
    .private_segment_fixed_size: 0
    .sgpr_count:     0
    .sgpr_spill_count: 0
    .symbol:         _ZN7rocprim17ROCPRIM_400000_NS6detail17trampoline_kernelINS0_14default_configENS1_20scan_config_selectorIN3c107complexIdEEEEZZNS1_9scan_implILNS1_25lookback_scan_determinismE0ELb0ELb0ES3_PKS7_PS7_S7_ZZZN2at6native31launch_logcumsumexp_cuda_kernelERKNSE_10TensorBaseESI_lENKUlvE_clEvENKUlvE1_clEvEUlS7_S7_E_S7_EEDaPvRmT3_T4_T5_mT6_P12ihipStream_tbENKUlT_T0_E_clISt17integral_constantIbLb0EESZ_EEDaSU_SV_EUlSU_E_NS1_11comp_targetILNS1_3genE10ELNS1_11target_archE1201ELNS1_3gpuE5ELNS1_3repE0EEENS1_30default_config_static_selectorELNS0_4arch9wavefront6targetE0EEEvT1_.kd
    .uniform_work_group_size: 1
    .uses_dynamic_stack: false
    .vgpr_count:     0
    .vgpr_spill_count: 0
    .wavefront_size: 32
    .workgroup_processor_mode: 1
  - .args:
      - .offset:         0
        .size:           128
        .value_kind:     by_value
    .group_segment_fixed_size: 0
    .kernarg_segment_align: 16
    .kernarg_segment_size: 128
    .language:       OpenCL C
    .language_version:
      - 2
      - 0
    .max_flat_workgroup_size: 256
    .name:           _ZN7rocprim17ROCPRIM_400000_NS6detail17trampoline_kernelINS0_14default_configENS1_20scan_config_selectorIN3c107complexIdEEEEZZNS1_9scan_implILNS1_25lookback_scan_determinismE0ELb0ELb0ES3_PKS7_PS7_S7_ZZZN2at6native31launch_logcumsumexp_cuda_kernelERKNSE_10TensorBaseESI_lENKUlvE_clEvENKUlvE1_clEvEUlS7_S7_E_S7_EEDaPvRmT3_T4_T5_mT6_P12ihipStream_tbENKUlT_T0_E_clISt17integral_constantIbLb0EESZ_EEDaSU_SV_EUlSU_E_NS1_11comp_targetILNS1_3genE10ELNS1_11target_archE1200ELNS1_3gpuE4ELNS1_3repE0EEENS1_30default_config_static_selectorELNS0_4arch9wavefront6targetE0EEEvT1_
    .private_segment_fixed_size: 0
    .sgpr_count:     0
    .sgpr_spill_count: 0
    .symbol:         _ZN7rocprim17ROCPRIM_400000_NS6detail17trampoline_kernelINS0_14default_configENS1_20scan_config_selectorIN3c107complexIdEEEEZZNS1_9scan_implILNS1_25lookback_scan_determinismE0ELb0ELb0ES3_PKS7_PS7_S7_ZZZN2at6native31launch_logcumsumexp_cuda_kernelERKNSE_10TensorBaseESI_lENKUlvE_clEvENKUlvE1_clEvEUlS7_S7_E_S7_EEDaPvRmT3_T4_T5_mT6_P12ihipStream_tbENKUlT_T0_E_clISt17integral_constantIbLb0EESZ_EEDaSU_SV_EUlSU_E_NS1_11comp_targetILNS1_3genE10ELNS1_11target_archE1200ELNS1_3gpuE4ELNS1_3repE0EEENS1_30default_config_static_selectorELNS0_4arch9wavefront6targetE0EEEvT1_.kd
    .uniform_work_group_size: 1
    .uses_dynamic_stack: false
    .vgpr_count:     0
    .vgpr_spill_count: 0
    .wavefront_size: 32
    .workgroup_processor_mode: 1
  - .args:
      - .offset:         0
        .size:           128
        .value_kind:     by_value
    .group_segment_fixed_size: 33792
    .kernarg_segment_align: 16
    .kernarg_segment_size: 128
    .language:       OpenCL C
    .language_version:
      - 2
      - 0
    .max_flat_workgroup_size: 256
    .name:           _ZN7rocprim17ROCPRIM_400000_NS6detail17trampoline_kernelINS0_14default_configENS1_20scan_config_selectorIN3c107complexIdEEEEZZNS1_9scan_implILNS1_25lookback_scan_determinismE0ELb0ELb0ES3_PKS7_PS7_S7_ZZZN2at6native31launch_logcumsumexp_cuda_kernelERKNSE_10TensorBaseESI_lENKUlvE_clEvENKUlvE1_clEvEUlS7_S7_E_S7_EEDaPvRmT3_T4_T5_mT6_P12ihipStream_tbENKUlT_T0_E_clISt17integral_constantIbLb0EESZ_EEDaSU_SV_EUlSU_E_NS1_11comp_targetILNS1_3genE9ELNS1_11target_archE1100ELNS1_3gpuE3ELNS1_3repE0EEENS1_30default_config_static_selectorELNS0_4arch9wavefront6targetE0EEEvT1_
    .private_segment_fixed_size: 0
    .sgpr_count:     50
    .sgpr_spill_count: 0
    .symbol:         _ZN7rocprim17ROCPRIM_400000_NS6detail17trampoline_kernelINS0_14default_configENS1_20scan_config_selectorIN3c107complexIdEEEEZZNS1_9scan_implILNS1_25lookback_scan_determinismE0ELb0ELb0ES3_PKS7_PS7_S7_ZZZN2at6native31launch_logcumsumexp_cuda_kernelERKNSE_10TensorBaseESI_lENKUlvE_clEvENKUlvE1_clEvEUlS7_S7_E_S7_EEDaPvRmT3_T4_T5_mT6_P12ihipStream_tbENKUlT_T0_E_clISt17integral_constantIbLb0EESZ_EEDaSU_SV_EUlSU_E_NS1_11comp_targetILNS1_3genE9ELNS1_11target_archE1100ELNS1_3gpuE3ELNS1_3repE0EEENS1_30default_config_static_selectorELNS0_4arch9wavefront6targetE0EEEvT1_.kd
    .uniform_work_group_size: 1
    .uses_dynamic_stack: false
    .vgpr_count:     168
    .vgpr_spill_count: 0
    .wavefront_size: 32
    .workgroup_processor_mode: 1
  - .args:
      - .offset:         0
        .size:           128
        .value_kind:     by_value
    .group_segment_fixed_size: 0
    .kernarg_segment_align: 16
    .kernarg_segment_size: 128
    .language:       OpenCL C
    .language_version:
      - 2
      - 0
    .max_flat_workgroup_size: 256
    .name:           _ZN7rocprim17ROCPRIM_400000_NS6detail17trampoline_kernelINS0_14default_configENS1_20scan_config_selectorIN3c107complexIdEEEEZZNS1_9scan_implILNS1_25lookback_scan_determinismE0ELb0ELb0ES3_PKS7_PS7_S7_ZZZN2at6native31launch_logcumsumexp_cuda_kernelERKNSE_10TensorBaseESI_lENKUlvE_clEvENKUlvE1_clEvEUlS7_S7_E_S7_EEDaPvRmT3_T4_T5_mT6_P12ihipStream_tbENKUlT_T0_E_clISt17integral_constantIbLb0EESZ_EEDaSU_SV_EUlSU_E_NS1_11comp_targetILNS1_3genE8ELNS1_11target_archE1030ELNS1_3gpuE2ELNS1_3repE0EEENS1_30default_config_static_selectorELNS0_4arch9wavefront6targetE0EEEvT1_
    .private_segment_fixed_size: 0
    .sgpr_count:     0
    .sgpr_spill_count: 0
    .symbol:         _ZN7rocprim17ROCPRIM_400000_NS6detail17trampoline_kernelINS0_14default_configENS1_20scan_config_selectorIN3c107complexIdEEEEZZNS1_9scan_implILNS1_25lookback_scan_determinismE0ELb0ELb0ES3_PKS7_PS7_S7_ZZZN2at6native31launch_logcumsumexp_cuda_kernelERKNSE_10TensorBaseESI_lENKUlvE_clEvENKUlvE1_clEvEUlS7_S7_E_S7_EEDaPvRmT3_T4_T5_mT6_P12ihipStream_tbENKUlT_T0_E_clISt17integral_constantIbLb0EESZ_EEDaSU_SV_EUlSU_E_NS1_11comp_targetILNS1_3genE8ELNS1_11target_archE1030ELNS1_3gpuE2ELNS1_3repE0EEENS1_30default_config_static_selectorELNS0_4arch9wavefront6targetE0EEEvT1_.kd
    .uniform_work_group_size: 1
    .uses_dynamic_stack: false
    .vgpr_count:     0
    .vgpr_spill_count: 0
    .wavefront_size: 32
    .workgroup_processor_mode: 1
  - .args:
      - .offset:         0
        .size:           40
        .value_kind:     by_value
    .group_segment_fixed_size: 0
    .kernarg_segment_align: 8
    .kernarg_segment_size: 40
    .language:       OpenCL C
    .language_version:
      - 2
      - 0
    .max_flat_workgroup_size: 128
    .name:           _ZN7rocprim17ROCPRIM_400000_NS6detail17trampoline_kernelINS0_14default_configENS1_25transform_config_selectorIN3c107complexIdEELb1EEEZNS1_14transform_implILb1ES3_S8_PS7_SA_NS0_8identityIS7_EEEE10hipError_tT2_T3_mT4_P12ihipStream_tbEUlT_E_NS1_11comp_targetILNS1_3genE0ELNS1_11target_archE4294967295ELNS1_3gpuE0ELNS1_3repE0EEENS1_30default_config_static_selectorELNS0_4arch9wavefront6targetE0EEEvT1_
    .private_segment_fixed_size: 0
    .sgpr_count:     0
    .sgpr_spill_count: 0
    .symbol:         _ZN7rocprim17ROCPRIM_400000_NS6detail17trampoline_kernelINS0_14default_configENS1_25transform_config_selectorIN3c107complexIdEELb1EEEZNS1_14transform_implILb1ES3_S8_PS7_SA_NS0_8identityIS7_EEEE10hipError_tT2_T3_mT4_P12ihipStream_tbEUlT_E_NS1_11comp_targetILNS1_3genE0ELNS1_11target_archE4294967295ELNS1_3gpuE0ELNS1_3repE0EEENS1_30default_config_static_selectorELNS0_4arch9wavefront6targetE0EEEvT1_.kd
    .uniform_work_group_size: 1
    .uses_dynamic_stack: false
    .vgpr_count:     0
    .vgpr_spill_count: 0
    .wavefront_size: 32
    .workgroup_processor_mode: 1
  - .args:
      - .offset:         0
        .size:           40
        .value_kind:     by_value
    .group_segment_fixed_size: 0
    .kernarg_segment_align: 8
    .kernarg_segment_size: 40
    .language:       OpenCL C
    .language_version:
      - 2
      - 0
    .max_flat_workgroup_size: 64
    .name:           _ZN7rocprim17ROCPRIM_400000_NS6detail17trampoline_kernelINS0_14default_configENS1_25transform_config_selectorIN3c107complexIdEELb1EEEZNS1_14transform_implILb1ES3_S8_PS7_SA_NS0_8identityIS7_EEEE10hipError_tT2_T3_mT4_P12ihipStream_tbEUlT_E_NS1_11comp_targetILNS1_3genE10ELNS1_11target_archE1201ELNS1_3gpuE5ELNS1_3repE0EEENS1_30default_config_static_selectorELNS0_4arch9wavefront6targetE0EEEvT1_
    .private_segment_fixed_size: 0
    .sgpr_count:     0
    .sgpr_spill_count: 0
    .symbol:         _ZN7rocprim17ROCPRIM_400000_NS6detail17trampoline_kernelINS0_14default_configENS1_25transform_config_selectorIN3c107complexIdEELb1EEEZNS1_14transform_implILb1ES3_S8_PS7_SA_NS0_8identityIS7_EEEE10hipError_tT2_T3_mT4_P12ihipStream_tbEUlT_E_NS1_11comp_targetILNS1_3genE10ELNS1_11target_archE1201ELNS1_3gpuE5ELNS1_3repE0EEENS1_30default_config_static_selectorELNS0_4arch9wavefront6targetE0EEEvT1_.kd
    .uniform_work_group_size: 1
    .uses_dynamic_stack: false
    .vgpr_count:     0
    .vgpr_spill_count: 0
    .wavefront_size: 32
    .workgroup_processor_mode: 1
  - .args:
      - .offset:         0
        .size:           40
        .value_kind:     by_value
    .group_segment_fixed_size: 0
    .kernarg_segment_align: 8
    .kernarg_segment_size: 40
    .language:       OpenCL C
    .language_version:
      - 2
      - 0
    .max_flat_workgroup_size: 256
    .name:           _ZN7rocprim17ROCPRIM_400000_NS6detail17trampoline_kernelINS0_14default_configENS1_25transform_config_selectorIN3c107complexIdEELb1EEEZNS1_14transform_implILb1ES3_S8_PS7_SA_NS0_8identityIS7_EEEE10hipError_tT2_T3_mT4_P12ihipStream_tbEUlT_E_NS1_11comp_targetILNS1_3genE5ELNS1_11target_archE942ELNS1_3gpuE9ELNS1_3repE0EEENS1_30default_config_static_selectorELNS0_4arch9wavefront6targetE0EEEvT1_
    .private_segment_fixed_size: 0
    .sgpr_count:     0
    .sgpr_spill_count: 0
    .symbol:         _ZN7rocprim17ROCPRIM_400000_NS6detail17trampoline_kernelINS0_14default_configENS1_25transform_config_selectorIN3c107complexIdEELb1EEEZNS1_14transform_implILb1ES3_S8_PS7_SA_NS0_8identityIS7_EEEE10hipError_tT2_T3_mT4_P12ihipStream_tbEUlT_E_NS1_11comp_targetILNS1_3genE5ELNS1_11target_archE942ELNS1_3gpuE9ELNS1_3repE0EEENS1_30default_config_static_selectorELNS0_4arch9wavefront6targetE0EEEvT1_.kd
    .uniform_work_group_size: 1
    .uses_dynamic_stack: false
    .vgpr_count:     0
    .vgpr_spill_count: 0
    .wavefront_size: 32
    .workgroup_processor_mode: 1
  - .args:
      - .offset:         0
        .size:           40
        .value_kind:     by_value
    .group_segment_fixed_size: 0
    .kernarg_segment_align: 8
    .kernarg_segment_size: 40
    .language:       OpenCL C
    .language_version:
      - 2
      - 0
    .max_flat_workgroup_size: 1024
    .name:           _ZN7rocprim17ROCPRIM_400000_NS6detail17trampoline_kernelINS0_14default_configENS1_25transform_config_selectorIN3c107complexIdEELb1EEEZNS1_14transform_implILb1ES3_S8_PS7_SA_NS0_8identityIS7_EEEE10hipError_tT2_T3_mT4_P12ihipStream_tbEUlT_E_NS1_11comp_targetILNS1_3genE4ELNS1_11target_archE910ELNS1_3gpuE8ELNS1_3repE0EEENS1_30default_config_static_selectorELNS0_4arch9wavefront6targetE0EEEvT1_
    .private_segment_fixed_size: 0
    .sgpr_count:     0
    .sgpr_spill_count: 0
    .symbol:         _ZN7rocprim17ROCPRIM_400000_NS6detail17trampoline_kernelINS0_14default_configENS1_25transform_config_selectorIN3c107complexIdEELb1EEEZNS1_14transform_implILb1ES3_S8_PS7_SA_NS0_8identityIS7_EEEE10hipError_tT2_T3_mT4_P12ihipStream_tbEUlT_E_NS1_11comp_targetILNS1_3genE4ELNS1_11target_archE910ELNS1_3gpuE8ELNS1_3repE0EEENS1_30default_config_static_selectorELNS0_4arch9wavefront6targetE0EEEvT1_.kd
    .uniform_work_group_size: 1
    .uses_dynamic_stack: false
    .vgpr_count:     0
    .vgpr_spill_count: 0
    .wavefront_size: 32
    .workgroup_processor_mode: 1
  - .args:
      - .offset:         0
        .size:           40
        .value_kind:     by_value
    .group_segment_fixed_size: 0
    .kernarg_segment_align: 8
    .kernarg_segment_size: 40
    .language:       OpenCL C
    .language_version:
      - 2
      - 0
    .max_flat_workgroup_size: 128
    .name:           _ZN7rocprim17ROCPRIM_400000_NS6detail17trampoline_kernelINS0_14default_configENS1_25transform_config_selectorIN3c107complexIdEELb1EEEZNS1_14transform_implILb1ES3_S8_PS7_SA_NS0_8identityIS7_EEEE10hipError_tT2_T3_mT4_P12ihipStream_tbEUlT_E_NS1_11comp_targetILNS1_3genE3ELNS1_11target_archE908ELNS1_3gpuE7ELNS1_3repE0EEENS1_30default_config_static_selectorELNS0_4arch9wavefront6targetE0EEEvT1_
    .private_segment_fixed_size: 0
    .sgpr_count:     0
    .sgpr_spill_count: 0
    .symbol:         _ZN7rocprim17ROCPRIM_400000_NS6detail17trampoline_kernelINS0_14default_configENS1_25transform_config_selectorIN3c107complexIdEELb1EEEZNS1_14transform_implILb1ES3_S8_PS7_SA_NS0_8identityIS7_EEEE10hipError_tT2_T3_mT4_P12ihipStream_tbEUlT_E_NS1_11comp_targetILNS1_3genE3ELNS1_11target_archE908ELNS1_3gpuE7ELNS1_3repE0EEENS1_30default_config_static_selectorELNS0_4arch9wavefront6targetE0EEEvT1_.kd
    .uniform_work_group_size: 1
    .uses_dynamic_stack: false
    .vgpr_count:     0
    .vgpr_spill_count: 0
    .wavefront_size: 32
    .workgroup_processor_mode: 1
  - .args:
      - .offset:         0
        .size:           40
        .value_kind:     by_value
    .group_segment_fixed_size: 0
    .kernarg_segment_align: 8
    .kernarg_segment_size: 40
    .language:       OpenCL C
    .language_version:
      - 2
      - 0
    .max_flat_workgroup_size: 1024
    .name:           _ZN7rocprim17ROCPRIM_400000_NS6detail17trampoline_kernelINS0_14default_configENS1_25transform_config_selectorIN3c107complexIdEELb1EEEZNS1_14transform_implILb1ES3_S8_PS7_SA_NS0_8identityIS7_EEEE10hipError_tT2_T3_mT4_P12ihipStream_tbEUlT_E_NS1_11comp_targetILNS1_3genE2ELNS1_11target_archE906ELNS1_3gpuE6ELNS1_3repE0EEENS1_30default_config_static_selectorELNS0_4arch9wavefront6targetE0EEEvT1_
    .private_segment_fixed_size: 0
    .sgpr_count:     0
    .sgpr_spill_count: 0
    .symbol:         _ZN7rocprim17ROCPRIM_400000_NS6detail17trampoline_kernelINS0_14default_configENS1_25transform_config_selectorIN3c107complexIdEELb1EEEZNS1_14transform_implILb1ES3_S8_PS7_SA_NS0_8identityIS7_EEEE10hipError_tT2_T3_mT4_P12ihipStream_tbEUlT_E_NS1_11comp_targetILNS1_3genE2ELNS1_11target_archE906ELNS1_3gpuE6ELNS1_3repE0EEENS1_30default_config_static_selectorELNS0_4arch9wavefront6targetE0EEEvT1_.kd
    .uniform_work_group_size: 1
    .uses_dynamic_stack: false
    .vgpr_count:     0
    .vgpr_spill_count: 0
    .wavefront_size: 32
    .workgroup_processor_mode: 1
  - .args:
      - .offset:         0
        .size:           40
        .value_kind:     by_value
      - .offset:         40
        .size:           4
        .value_kind:     hidden_block_count_x
      - .offset:         44
        .size:           4
        .value_kind:     hidden_block_count_y
      - .offset:         48
        .size:           4
        .value_kind:     hidden_block_count_z
      - .offset:         52
        .size:           2
        .value_kind:     hidden_group_size_x
      - .offset:         54
        .size:           2
        .value_kind:     hidden_group_size_y
      - .offset:         56
        .size:           2
        .value_kind:     hidden_group_size_z
      - .offset:         58
        .size:           2
        .value_kind:     hidden_remainder_x
      - .offset:         60
        .size:           2
        .value_kind:     hidden_remainder_y
      - .offset:         62
        .size:           2
        .value_kind:     hidden_remainder_z
      - .offset:         80
        .size:           8
        .value_kind:     hidden_global_offset_x
      - .offset:         88
        .size:           8
        .value_kind:     hidden_global_offset_y
      - .offset:         96
        .size:           8
        .value_kind:     hidden_global_offset_z
      - .offset:         104
        .size:           2
        .value_kind:     hidden_grid_dims
    .group_segment_fixed_size: 0
    .kernarg_segment_align: 8
    .kernarg_segment_size: 296
    .language:       OpenCL C
    .language_version:
      - 2
      - 0
    .max_flat_workgroup_size: 1024
    .name:           _ZN7rocprim17ROCPRIM_400000_NS6detail17trampoline_kernelINS0_14default_configENS1_25transform_config_selectorIN3c107complexIdEELb1EEEZNS1_14transform_implILb1ES3_S8_PS7_SA_NS0_8identityIS7_EEEE10hipError_tT2_T3_mT4_P12ihipStream_tbEUlT_E_NS1_11comp_targetILNS1_3genE9ELNS1_11target_archE1100ELNS1_3gpuE3ELNS1_3repE0EEENS1_30default_config_static_selectorELNS0_4arch9wavefront6targetE0EEEvT1_
    .private_segment_fixed_size: 0
    .sgpr_count:     18
    .sgpr_spill_count: 0
    .symbol:         _ZN7rocprim17ROCPRIM_400000_NS6detail17trampoline_kernelINS0_14default_configENS1_25transform_config_selectorIN3c107complexIdEELb1EEEZNS1_14transform_implILb1ES3_S8_PS7_SA_NS0_8identityIS7_EEEE10hipError_tT2_T3_mT4_P12ihipStream_tbEUlT_E_NS1_11comp_targetILNS1_3genE9ELNS1_11target_archE1100ELNS1_3gpuE3ELNS1_3repE0EEENS1_30default_config_static_selectorELNS0_4arch9wavefront6targetE0EEEvT1_.kd
    .uniform_work_group_size: 1
    .uses_dynamic_stack: false
    .vgpr_count:     5
    .vgpr_spill_count: 0
    .wavefront_size: 32
    .workgroup_processor_mode: 1
  - .args:
      - .offset:         0
        .size:           40
        .value_kind:     by_value
    .group_segment_fixed_size: 0
    .kernarg_segment_align: 8
    .kernarg_segment_size: 40
    .language:       OpenCL C
    .language_version:
      - 2
      - 0
    .max_flat_workgroup_size: 1024
    .name:           _ZN7rocprim17ROCPRIM_400000_NS6detail17trampoline_kernelINS0_14default_configENS1_25transform_config_selectorIN3c107complexIdEELb1EEEZNS1_14transform_implILb1ES3_S8_PS7_SA_NS0_8identityIS7_EEEE10hipError_tT2_T3_mT4_P12ihipStream_tbEUlT_E_NS1_11comp_targetILNS1_3genE8ELNS1_11target_archE1030ELNS1_3gpuE2ELNS1_3repE0EEENS1_30default_config_static_selectorELNS0_4arch9wavefront6targetE0EEEvT1_
    .private_segment_fixed_size: 0
    .sgpr_count:     0
    .sgpr_spill_count: 0
    .symbol:         _ZN7rocprim17ROCPRIM_400000_NS6detail17trampoline_kernelINS0_14default_configENS1_25transform_config_selectorIN3c107complexIdEELb1EEEZNS1_14transform_implILb1ES3_S8_PS7_SA_NS0_8identityIS7_EEEE10hipError_tT2_T3_mT4_P12ihipStream_tbEUlT_E_NS1_11comp_targetILNS1_3genE8ELNS1_11target_archE1030ELNS1_3gpuE2ELNS1_3repE0EEENS1_30default_config_static_selectorELNS0_4arch9wavefront6targetE0EEEvT1_.kd
    .uniform_work_group_size: 1
    .uses_dynamic_stack: false
    .vgpr_count:     0
    .vgpr_spill_count: 0
    .wavefront_size: 32
    .workgroup_processor_mode: 1
  - .args:
      - .offset:         0
        .size:           48
        .value_kind:     by_value
    .group_segment_fixed_size: 0
    .kernarg_segment_align: 16
    .kernarg_segment_size: 48
    .language:       OpenCL C
    .language_version:
      - 2
      - 0
    .max_flat_workgroup_size: 128
    .name:           _ZN7rocprim17ROCPRIM_400000_NS6detail17trampoline_kernelINS0_14default_configENS1_20scan_config_selectorIN3c107complexIdEEEEZZNS1_9scan_implILNS1_25lookback_scan_determinismE0ELb0ELb0ES3_PKS7_PS7_S7_ZZZN2at6native31launch_logcumsumexp_cuda_kernelERKNSE_10TensorBaseESI_lENKUlvE_clEvENKUlvE1_clEvEUlS7_S7_E_S7_EEDaPvRmT3_T4_T5_mT6_P12ihipStream_tbENKUlT_T0_E_clISt17integral_constantIbLb0EESZ_EEDaSU_SV_EUlSU_E0_NS1_11comp_targetILNS1_3genE0ELNS1_11target_archE4294967295ELNS1_3gpuE0ELNS1_3repE0EEENS1_30default_config_static_selectorELNS0_4arch9wavefront6targetE0EEEvT1_
    .private_segment_fixed_size: 0
    .sgpr_count:     0
    .sgpr_spill_count: 0
    .symbol:         _ZN7rocprim17ROCPRIM_400000_NS6detail17trampoline_kernelINS0_14default_configENS1_20scan_config_selectorIN3c107complexIdEEEEZZNS1_9scan_implILNS1_25lookback_scan_determinismE0ELb0ELb0ES3_PKS7_PS7_S7_ZZZN2at6native31launch_logcumsumexp_cuda_kernelERKNSE_10TensorBaseESI_lENKUlvE_clEvENKUlvE1_clEvEUlS7_S7_E_S7_EEDaPvRmT3_T4_T5_mT6_P12ihipStream_tbENKUlT_T0_E_clISt17integral_constantIbLb0EESZ_EEDaSU_SV_EUlSU_E0_NS1_11comp_targetILNS1_3genE0ELNS1_11target_archE4294967295ELNS1_3gpuE0ELNS1_3repE0EEENS1_30default_config_static_selectorELNS0_4arch9wavefront6targetE0EEEvT1_.kd
    .uniform_work_group_size: 1
    .uses_dynamic_stack: false
    .vgpr_count:     0
    .vgpr_spill_count: 0
    .wavefront_size: 32
    .workgroup_processor_mode: 1
  - .args:
      - .offset:         0
        .size:           48
        .value_kind:     by_value
    .group_segment_fixed_size: 0
    .kernarg_segment_align: 16
    .kernarg_segment_size: 48
    .language:       OpenCL C
    .language_version:
      - 2
      - 0
    .max_flat_workgroup_size: 256
    .name:           _ZN7rocprim17ROCPRIM_400000_NS6detail17trampoline_kernelINS0_14default_configENS1_20scan_config_selectorIN3c107complexIdEEEEZZNS1_9scan_implILNS1_25lookback_scan_determinismE0ELb0ELb0ES3_PKS7_PS7_S7_ZZZN2at6native31launch_logcumsumexp_cuda_kernelERKNSE_10TensorBaseESI_lENKUlvE_clEvENKUlvE1_clEvEUlS7_S7_E_S7_EEDaPvRmT3_T4_T5_mT6_P12ihipStream_tbENKUlT_T0_E_clISt17integral_constantIbLb0EESZ_EEDaSU_SV_EUlSU_E0_NS1_11comp_targetILNS1_3genE5ELNS1_11target_archE942ELNS1_3gpuE9ELNS1_3repE0EEENS1_30default_config_static_selectorELNS0_4arch9wavefront6targetE0EEEvT1_
    .private_segment_fixed_size: 0
    .sgpr_count:     0
    .sgpr_spill_count: 0
    .symbol:         _ZN7rocprim17ROCPRIM_400000_NS6detail17trampoline_kernelINS0_14default_configENS1_20scan_config_selectorIN3c107complexIdEEEEZZNS1_9scan_implILNS1_25lookback_scan_determinismE0ELb0ELb0ES3_PKS7_PS7_S7_ZZZN2at6native31launch_logcumsumexp_cuda_kernelERKNSE_10TensorBaseESI_lENKUlvE_clEvENKUlvE1_clEvEUlS7_S7_E_S7_EEDaPvRmT3_T4_T5_mT6_P12ihipStream_tbENKUlT_T0_E_clISt17integral_constantIbLb0EESZ_EEDaSU_SV_EUlSU_E0_NS1_11comp_targetILNS1_3genE5ELNS1_11target_archE942ELNS1_3gpuE9ELNS1_3repE0EEENS1_30default_config_static_selectorELNS0_4arch9wavefront6targetE0EEEvT1_.kd
    .uniform_work_group_size: 1
    .uses_dynamic_stack: false
    .vgpr_count:     0
    .vgpr_spill_count: 0
    .wavefront_size: 32
    .workgroup_processor_mode: 1
  - .args:
      - .offset:         0
        .size:           48
        .value_kind:     by_value
    .group_segment_fixed_size: 0
    .kernarg_segment_align: 16
    .kernarg_segment_size: 48
    .language:       OpenCL C
    .language_version:
      - 2
      - 0
    .max_flat_workgroup_size: 64
    .name:           _ZN7rocprim17ROCPRIM_400000_NS6detail17trampoline_kernelINS0_14default_configENS1_20scan_config_selectorIN3c107complexIdEEEEZZNS1_9scan_implILNS1_25lookback_scan_determinismE0ELb0ELb0ES3_PKS7_PS7_S7_ZZZN2at6native31launch_logcumsumexp_cuda_kernelERKNSE_10TensorBaseESI_lENKUlvE_clEvENKUlvE1_clEvEUlS7_S7_E_S7_EEDaPvRmT3_T4_T5_mT6_P12ihipStream_tbENKUlT_T0_E_clISt17integral_constantIbLb0EESZ_EEDaSU_SV_EUlSU_E0_NS1_11comp_targetILNS1_3genE4ELNS1_11target_archE910ELNS1_3gpuE8ELNS1_3repE0EEENS1_30default_config_static_selectorELNS0_4arch9wavefront6targetE0EEEvT1_
    .private_segment_fixed_size: 0
    .sgpr_count:     0
    .sgpr_spill_count: 0
    .symbol:         _ZN7rocprim17ROCPRIM_400000_NS6detail17trampoline_kernelINS0_14default_configENS1_20scan_config_selectorIN3c107complexIdEEEEZZNS1_9scan_implILNS1_25lookback_scan_determinismE0ELb0ELb0ES3_PKS7_PS7_S7_ZZZN2at6native31launch_logcumsumexp_cuda_kernelERKNSE_10TensorBaseESI_lENKUlvE_clEvENKUlvE1_clEvEUlS7_S7_E_S7_EEDaPvRmT3_T4_T5_mT6_P12ihipStream_tbENKUlT_T0_E_clISt17integral_constantIbLb0EESZ_EEDaSU_SV_EUlSU_E0_NS1_11comp_targetILNS1_3genE4ELNS1_11target_archE910ELNS1_3gpuE8ELNS1_3repE0EEENS1_30default_config_static_selectorELNS0_4arch9wavefront6targetE0EEEvT1_.kd
    .uniform_work_group_size: 1
    .uses_dynamic_stack: false
    .vgpr_count:     0
    .vgpr_spill_count: 0
    .wavefront_size: 32
    .workgroup_processor_mode: 1
  - .args:
      - .offset:         0
        .size:           48
        .value_kind:     by_value
    .group_segment_fixed_size: 0
    .kernarg_segment_align: 16
    .kernarg_segment_size: 48
    .language:       OpenCL C
    .language_version:
      - 2
      - 0
    .max_flat_workgroup_size: 128
    .name:           _ZN7rocprim17ROCPRIM_400000_NS6detail17trampoline_kernelINS0_14default_configENS1_20scan_config_selectorIN3c107complexIdEEEEZZNS1_9scan_implILNS1_25lookback_scan_determinismE0ELb0ELb0ES3_PKS7_PS7_S7_ZZZN2at6native31launch_logcumsumexp_cuda_kernelERKNSE_10TensorBaseESI_lENKUlvE_clEvENKUlvE1_clEvEUlS7_S7_E_S7_EEDaPvRmT3_T4_T5_mT6_P12ihipStream_tbENKUlT_T0_E_clISt17integral_constantIbLb0EESZ_EEDaSU_SV_EUlSU_E0_NS1_11comp_targetILNS1_3genE3ELNS1_11target_archE908ELNS1_3gpuE7ELNS1_3repE0EEENS1_30default_config_static_selectorELNS0_4arch9wavefront6targetE0EEEvT1_
    .private_segment_fixed_size: 0
    .sgpr_count:     0
    .sgpr_spill_count: 0
    .symbol:         _ZN7rocprim17ROCPRIM_400000_NS6detail17trampoline_kernelINS0_14default_configENS1_20scan_config_selectorIN3c107complexIdEEEEZZNS1_9scan_implILNS1_25lookback_scan_determinismE0ELb0ELb0ES3_PKS7_PS7_S7_ZZZN2at6native31launch_logcumsumexp_cuda_kernelERKNSE_10TensorBaseESI_lENKUlvE_clEvENKUlvE1_clEvEUlS7_S7_E_S7_EEDaPvRmT3_T4_T5_mT6_P12ihipStream_tbENKUlT_T0_E_clISt17integral_constantIbLb0EESZ_EEDaSU_SV_EUlSU_E0_NS1_11comp_targetILNS1_3genE3ELNS1_11target_archE908ELNS1_3gpuE7ELNS1_3repE0EEENS1_30default_config_static_selectorELNS0_4arch9wavefront6targetE0EEEvT1_.kd
    .uniform_work_group_size: 1
    .uses_dynamic_stack: false
    .vgpr_count:     0
    .vgpr_spill_count: 0
    .wavefront_size: 32
    .workgroup_processor_mode: 1
  - .args:
      - .offset:         0
        .size:           48
        .value_kind:     by_value
    .group_segment_fixed_size: 0
    .kernarg_segment_align: 16
    .kernarg_segment_size: 48
    .language:       OpenCL C
    .language_version:
      - 2
      - 0
    .max_flat_workgroup_size: 64
    .name:           _ZN7rocprim17ROCPRIM_400000_NS6detail17trampoline_kernelINS0_14default_configENS1_20scan_config_selectorIN3c107complexIdEEEEZZNS1_9scan_implILNS1_25lookback_scan_determinismE0ELb0ELb0ES3_PKS7_PS7_S7_ZZZN2at6native31launch_logcumsumexp_cuda_kernelERKNSE_10TensorBaseESI_lENKUlvE_clEvENKUlvE1_clEvEUlS7_S7_E_S7_EEDaPvRmT3_T4_T5_mT6_P12ihipStream_tbENKUlT_T0_E_clISt17integral_constantIbLb0EESZ_EEDaSU_SV_EUlSU_E0_NS1_11comp_targetILNS1_3genE2ELNS1_11target_archE906ELNS1_3gpuE6ELNS1_3repE0EEENS1_30default_config_static_selectorELNS0_4arch9wavefront6targetE0EEEvT1_
    .private_segment_fixed_size: 0
    .sgpr_count:     0
    .sgpr_spill_count: 0
    .symbol:         _ZN7rocprim17ROCPRIM_400000_NS6detail17trampoline_kernelINS0_14default_configENS1_20scan_config_selectorIN3c107complexIdEEEEZZNS1_9scan_implILNS1_25lookback_scan_determinismE0ELb0ELb0ES3_PKS7_PS7_S7_ZZZN2at6native31launch_logcumsumexp_cuda_kernelERKNSE_10TensorBaseESI_lENKUlvE_clEvENKUlvE1_clEvEUlS7_S7_E_S7_EEDaPvRmT3_T4_T5_mT6_P12ihipStream_tbENKUlT_T0_E_clISt17integral_constantIbLb0EESZ_EEDaSU_SV_EUlSU_E0_NS1_11comp_targetILNS1_3genE2ELNS1_11target_archE906ELNS1_3gpuE6ELNS1_3repE0EEENS1_30default_config_static_selectorELNS0_4arch9wavefront6targetE0EEEvT1_.kd
    .uniform_work_group_size: 1
    .uses_dynamic_stack: false
    .vgpr_count:     0
    .vgpr_spill_count: 0
    .wavefront_size: 32
    .workgroup_processor_mode: 1
  - .args:
      - .offset:         0
        .size:           48
        .value_kind:     by_value
    .group_segment_fixed_size: 0
    .kernarg_segment_align: 16
    .kernarg_segment_size: 48
    .language:       OpenCL C
    .language_version:
      - 2
      - 0
    .max_flat_workgroup_size: 256
    .name:           _ZN7rocprim17ROCPRIM_400000_NS6detail17trampoline_kernelINS0_14default_configENS1_20scan_config_selectorIN3c107complexIdEEEEZZNS1_9scan_implILNS1_25lookback_scan_determinismE0ELb0ELb0ES3_PKS7_PS7_S7_ZZZN2at6native31launch_logcumsumexp_cuda_kernelERKNSE_10TensorBaseESI_lENKUlvE_clEvENKUlvE1_clEvEUlS7_S7_E_S7_EEDaPvRmT3_T4_T5_mT6_P12ihipStream_tbENKUlT_T0_E_clISt17integral_constantIbLb0EESZ_EEDaSU_SV_EUlSU_E0_NS1_11comp_targetILNS1_3genE10ELNS1_11target_archE1201ELNS1_3gpuE5ELNS1_3repE0EEENS1_30default_config_static_selectorELNS0_4arch9wavefront6targetE0EEEvT1_
    .private_segment_fixed_size: 0
    .sgpr_count:     0
    .sgpr_spill_count: 0
    .symbol:         _ZN7rocprim17ROCPRIM_400000_NS6detail17trampoline_kernelINS0_14default_configENS1_20scan_config_selectorIN3c107complexIdEEEEZZNS1_9scan_implILNS1_25lookback_scan_determinismE0ELb0ELb0ES3_PKS7_PS7_S7_ZZZN2at6native31launch_logcumsumexp_cuda_kernelERKNSE_10TensorBaseESI_lENKUlvE_clEvENKUlvE1_clEvEUlS7_S7_E_S7_EEDaPvRmT3_T4_T5_mT6_P12ihipStream_tbENKUlT_T0_E_clISt17integral_constantIbLb0EESZ_EEDaSU_SV_EUlSU_E0_NS1_11comp_targetILNS1_3genE10ELNS1_11target_archE1201ELNS1_3gpuE5ELNS1_3repE0EEENS1_30default_config_static_selectorELNS0_4arch9wavefront6targetE0EEEvT1_.kd
    .uniform_work_group_size: 1
    .uses_dynamic_stack: false
    .vgpr_count:     0
    .vgpr_spill_count: 0
    .wavefront_size: 32
    .workgroup_processor_mode: 1
  - .args:
      - .offset:         0
        .size:           48
        .value_kind:     by_value
    .group_segment_fixed_size: 0
    .kernarg_segment_align: 16
    .kernarg_segment_size: 48
    .language:       OpenCL C
    .language_version:
      - 2
      - 0
    .max_flat_workgroup_size: 256
    .name:           _ZN7rocprim17ROCPRIM_400000_NS6detail17trampoline_kernelINS0_14default_configENS1_20scan_config_selectorIN3c107complexIdEEEEZZNS1_9scan_implILNS1_25lookback_scan_determinismE0ELb0ELb0ES3_PKS7_PS7_S7_ZZZN2at6native31launch_logcumsumexp_cuda_kernelERKNSE_10TensorBaseESI_lENKUlvE_clEvENKUlvE1_clEvEUlS7_S7_E_S7_EEDaPvRmT3_T4_T5_mT6_P12ihipStream_tbENKUlT_T0_E_clISt17integral_constantIbLb0EESZ_EEDaSU_SV_EUlSU_E0_NS1_11comp_targetILNS1_3genE10ELNS1_11target_archE1200ELNS1_3gpuE4ELNS1_3repE0EEENS1_30default_config_static_selectorELNS0_4arch9wavefront6targetE0EEEvT1_
    .private_segment_fixed_size: 0
    .sgpr_count:     0
    .sgpr_spill_count: 0
    .symbol:         _ZN7rocprim17ROCPRIM_400000_NS6detail17trampoline_kernelINS0_14default_configENS1_20scan_config_selectorIN3c107complexIdEEEEZZNS1_9scan_implILNS1_25lookback_scan_determinismE0ELb0ELb0ES3_PKS7_PS7_S7_ZZZN2at6native31launch_logcumsumexp_cuda_kernelERKNSE_10TensorBaseESI_lENKUlvE_clEvENKUlvE1_clEvEUlS7_S7_E_S7_EEDaPvRmT3_T4_T5_mT6_P12ihipStream_tbENKUlT_T0_E_clISt17integral_constantIbLb0EESZ_EEDaSU_SV_EUlSU_E0_NS1_11comp_targetILNS1_3genE10ELNS1_11target_archE1200ELNS1_3gpuE4ELNS1_3repE0EEENS1_30default_config_static_selectorELNS0_4arch9wavefront6targetE0EEEvT1_.kd
    .uniform_work_group_size: 1
    .uses_dynamic_stack: false
    .vgpr_count:     0
    .vgpr_spill_count: 0
    .wavefront_size: 32
    .workgroup_processor_mode: 1
  - .args:
      - .offset:         0
        .size:           48
        .value_kind:     by_value
    .group_segment_fixed_size: 33792
    .kernarg_segment_align: 16
    .kernarg_segment_size: 48
    .language:       OpenCL C
    .language_version:
      - 2
      - 0
    .max_flat_workgroup_size: 256
    .name:           _ZN7rocprim17ROCPRIM_400000_NS6detail17trampoline_kernelINS0_14default_configENS1_20scan_config_selectorIN3c107complexIdEEEEZZNS1_9scan_implILNS1_25lookback_scan_determinismE0ELb0ELb0ES3_PKS7_PS7_S7_ZZZN2at6native31launch_logcumsumexp_cuda_kernelERKNSE_10TensorBaseESI_lENKUlvE_clEvENKUlvE1_clEvEUlS7_S7_E_S7_EEDaPvRmT3_T4_T5_mT6_P12ihipStream_tbENKUlT_T0_E_clISt17integral_constantIbLb0EESZ_EEDaSU_SV_EUlSU_E0_NS1_11comp_targetILNS1_3genE9ELNS1_11target_archE1100ELNS1_3gpuE3ELNS1_3repE0EEENS1_30default_config_static_selectorELNS0_4arch9wavefront6targetE0EEEvT1_
    .private_segment_fixed_size: 0
    .sgpr_count:     35
    .sgpr_spill_count: 0
    .symbol:         _ZN7rocprim17ROCPRIM_400000_NS6detail17trampoline_kernelINS0_14default_configENS1_20scan_config_selectorIN3c107complexIdEEEEZZNS1_9scan_implILNS1_25lookback_scan_determinismE0ELb0ELb0ES3_PKS7_PS7_S7_ZZZN2at6native31launch_logcumsumexp_cuda_kernelERKNSE_10TensorBaseESI_lENKUlvE_clEvENKUlvE1_clEvEUlS7_S7_E_S7_EEDaPvRmT3_T4_T5_mT6_P12ihipStream_tbENKUlT_T0_E_clISt17integral_constantIbLb0EESZ_EEDaSU_SV_EUlSU_E0_NS1_11comp_targetILNS1_3genE9ELNS1_11target_archE1100ELNS1_3gpuE3ELNS1_3repE0EEENS1_30default_config_static_selectorELNS0_4arch9wavefront6targetE0EEEvT1_.kd
    .uniform_work_group_size: 1
    .uses_dynamic_stack: false
    .vgpr_count:     169
    .vgpr_spill_count: 0
    .wavefront_size: 32
    .workgroup_processor_mode: 1
  - .args:
      - .offset:         0
        .size:           48
        .value_kind:     by_value
    .group_segment_fixed_size: 0
    .kernarg_segment_align: 16
    .kernarg_segment_size: 48
    .language:       OpenCL C
    .language_version:
      - 2
      - 0
    .max_flat_workgroup_size: 256
    .name:           _ZN7rocprim17ROCPRIM_400000_NS6detail17trampoline_kernelINS0_14default_configENS1_20scan_config_selectorIN3c107complexIdEEEEZZNS1_9scan_implILNS1_25lookback_scan_determinismE0ELb0ELb0ES3_PKS7_PS7_S7_ZZZN2at6native31launch_logcumsumexp_cuda_kernelERKNSE_10TensorBaseESI_lENKUlvE_clEvENKUlvE1_clEvEUlS7_S7_E_S7_EEDaPvRmT3_T4_T5_mT6_P12ihipStream_tbENKUlT_T0_E_clISt17integral_constantIbLb0EESZ_EEDaSU_SV_EUlSU_E0_NS1_11comp_targetILNS1_3genE8ELNS1_11target_archE1030ELNS1_3gpuE2ELNS1_3repE0EEENS1_30default_config_static_selectorELNS0_4arch9wavefront6targetE0EEEvT1_
    .private_segment_fixed_size: 0
    .sgpr_count:     0
    .sgpr_spill_count: 0
    .symbol:         _ZN7rocprim17ROCPRIM_400000_NS6detail17trampoline_kernelINS0_14default_configENS1_20scan_config_selectorIN3c107complexIdEEEEZZNS1_9scan_implILNS1_25lookback_scan_determinismE0ELb0ELb0ES3_PKS7_PS7_S7_ZZZN2at6native31launch_logcumsumexp_cuda_kernelERKNSE_10TensorBaseESI_lENKUlvE_clEvENKUlvE1_clEvEUlS7_S7_E_S7_EEDaPvRmT3_T4_T5_mT6_P12ihipStream_tbENKUlT_T0_E_clISt17integral_constantIbLb0EESZ_EEDaSU_SV_EUlSU_E0_NS1_11comp_targetILNS1_3genE8ELNS1_11target_archE1030ELNS1_3gpuE2ELNS1_3repE0EEENS1_30default_config_static_selectorELNS0_4arch9wavefront6targetE0EEEvT1_.kd
    .uniform_work_group_size: 1
    .uses_dynamic_stack: false
    .vgpr_count:     0
    .vgpr_spill_count: 0
    .wavefront_size: 32
    .workgroup_processor_mode: 1
  - .args:
      - .offset:         0
        .size:           24
        .value_kind:     by_value
      - .offset:         24
        .size:           4
        .value_kind:     by_value
      - .address_space:  global
        .offset:         32
        .size:           8
        .value_kind:     global_buffer
      - .offset:         40
        .size:           4
        .value_kind:     by_value
      - .address_space:  global
        .offset:         48
        .size:           8
        .value_kind:     global_buffer
      - .offset:         56
        .size:           4
        .value_kind:     hidden_block_count_x
      - .offset:         60
        .size:           4
        .value_kind:     hidden_block_count_y
      - .offset:         64
        .size:           4
        .value_kind:     hidden_block_count_z
      - .offset:         68
        .size:           2
        .value_kind:     hidden_group_size_x
      - .offset:         70
        .size:           2
        .value_kind:     hidden_group_size_y
      - .offset:         72
        .size:           2
        .value_kind:     hidden_group_size_z
      - .offset:         74
        .size:           2
        .value_kind:     hidden_remainder_x
      - .offset:         76
        .size:           2
        .value_kind:     hidden_remainder_y
      - .offset:         78
        .size:           2
        .value_kind:     hidden_remainder_z
      - .offset:         96
        .size:           8
        .value_kind:     hidden_global_offset_x
      - .offset:         104
        .size:           8
        .value_kind:     hidden_global_offset_y
      - .offset:         112
        .size:           8
        .value_kind:     hidden_global_offset_z
      - .offset:         120
        .size:           2
        .value_kind:     hidden_grid_dims
    .group_segment_fixed_size: 0
    .kernarg_segment_align: 8
    .kernarg_segment_size: 312
    .language:       OpenCL C
    .language_version:
      - 2
      - 0
    .max_flat_workgroup_size: 256
    .name:           _ZN7rocprim17ROCPRIM_400000_NS6detail31init_lookback_scan_state_kernelINS1_19lookback_scan_stateIN3c107complexIdEELb1ELb0EEENS1_16block_id_wrapperIjLb1EEEEEvT_jT0_jPNSA_10value_typeE
    .private_segment_fixed_size: 0
    .sgpr_count:     20
    .sgpr_spill_count: 0
    .symbol:         _ZN7rocprim17ROCPRIM_400000_NS6detail31init_lookback_scan_state_kernelINS1_19lookback_scan_stateIN3c107complexIdEELb1ELb0EEENS1_16block_id_wrapperIjLb1EEEEEvT_jT0_jPNSA_10value_typeE.kd
    .uniform_work_group_size: 1
    .uses_dynamic_stack: false
    .vgpr_count:     6
    .vgpr_spill_count: 0
    .wavefront_size: 32
    .workgroup_processor_mode: 1
  - .args:
      - .offset:         0
        .size:           128
        .value_kind:     by_value
    .group_segment_fixed_size: 0
    .kernarg_segment_align: 16
    .kernarg_segment_size: 128
    .language:       OpenCL C
    .language_version:
      - 2
      - 0
    .max_flat_workgroup_size: 128
    .name:           _ZN7rocprim17ROCPRIM_400000_NS6detail17trampoline_kernelINS0_14default_configENS1_20scan_config_selectorIN3c107complexIdEEEEZZNS1_9scan_implILNS1_25lookback_scan_determinismE0ELb0ELb0ES3_PKS7_PS7_S7_ZZZN2at6native31launch_logcumsumexp_cuda_kernelERKNSE_10TensorBaseESI_lENKUlvE_clEvENKUlvE1_clEvEUlS7_S7_E_S7_EEDaPvRmT3_T4_T5_mT6_P12ihipStream_tbENKUlT_T0_E_clISt17integral_constantIbLb1EESZ_EEDaSU_SV_EUlSU_E_NS1_11comp_targetILNS1_3genE0ELNS1_11target_archE4294967295ELNS1_3gpuE0ELNS1_3repE0EEENS1_30default_config_static_selectorELNS0_4arch9wavefront6targetE0EEEvT1_
    .private_segment_fixed_size: 0
    .sgpr_count:     0
    .sgpr_spill_count: 0
    .symbol:         _ZN7rocprim17ROCPRIM_400000_NS6detail17trampoline_kernelINS0_14default_configENS1_20scan_config_selectorIN3c107complexIdEEEEZZNS1_9scan_implILNS1_25lookback_scan_determinismE0ELb0ELb0ES3_PKS7_PS7_S7_ZZZN2at6native31launch_logcumsumexp_cuda_kernelERKNSE_10TensorBaseESI_lENKUlvE_clEvENKUlvE1_clEvEUlS7_S7_E_S7_EEDaPvRmT3_T4_T5_mT6_P12ihipStream_tbENKUlT_T0_E_clISt17integral_constantIbLb1EESZ_EEDaSU_SV_EUlSU_E_NS1_11comp_targetILNS1_3genE0ELNS1_11target_archE4294967295ELNS1_3gpuE0ELNS1_3repE0EEENS1_30default_config_static_selectorELNS0_4arch9wavefront6targetE0EEEvT1_.kd
    .uniform_work_group_size: 1
    .uses_dynamic_stack: false
    .vgpr_count:     0
    .vgpr_spill_count: 0
    .wavefront_size: 32
    .workgroup_processor_mode: 1
  - .args:
      - .offset:         0
        .size:           128
        .value_kind:     by_value
    .group_segment_fixed_size: 0
    .kernarg_segment_align: 16
    .kernarg_segment_size: 128
    .language:       OpenCL C
    .language_version:
      - 2
      - 0
    .max_flat_workgroup_size: 256
    .name:           _ZN7rocprim17ROCPRIM_400000_NS6detail17trampoline_kernelINS0_14default_configENS1_20scan_config_selectorIN3c107complexIdEEEEZZNS1_9scan_implILNS1_25lookback_scan_determinismE0ELb0ELb0ES3_PKS7_PS7_S7_ZZZN2at6native31launch_logcumsumexp_cuda_kernelERKNSE_10TensorBaseESI_lENKUlvE_clEvENKUlvE1_clEvEUlS7_S7_E_S7_EEDaPvRmT3_T4_T5_mT6_P12ihipStream_tbENKUlT_T0_E_clISt17integral_constantIbLb1EESZ_EEDaSU_SV_EUlSU_E_NS1_11comp_targetILNS1_3genE5ELNS1_11target_archE942ELNS1_3gpuE9ELNS1_3repE0EEENS1_30default_config_static_selectorELNS0_4arch9wavefront6targetE0EEEvT1_
    .private_segment_fixed_size: 0
    .sgpr_count:     0
    .sgpr_spill_count: 0
    .symbol:         _ZN7rocprim17ROCPRIM_400000_NS6detail17trampoline_kernelINS0_14default_configENS1_20scan_config_selectorIN3c107complexIdEEEEZZNS1_9scan_implILNS1_25lookback_scan_determinismE0ELb0ELb0ES3_PKS7_PS7_S7_ZZZN2at6native31launch_logcumsumexp_cuda_kernelERKNSE_10TensorBaseESI_lENKUlvE_clEvENKUlvE1_clEvEUlS7_S7_E_S7_EEDaPvRmT3_T4_T5_mT6_P12ihipStream_tbENKUlT_T0_E_clISt17integral_constantIbLb1EESZ_EEDaSU_SV_EUlSU_E_NS1_11comp_targetILNS1_3genE5ELNS1_11target_archE942ELNS1_3gpuE9ELNS1_3repE0EEENS1_30default_config_static_selectorELNS0_4arch9wavefront6targetE0EEEvT1_.kd
    .uniform_work_group_size: 1
    .uses_dynamic_stack: false
    .vgpr_count:     0
    .vgpr_spill_count: 0
    .wavefront_size: 32
    .workgroup_processor_mode: 1
  - .args:
      - .offset:         0
        .size:           128
        .value_kind:     by_value
    .group_segment_fixed_size: 0
    .kernarg_segment_align: 16
    .kernarg_segment_size: 128
    .language:       OpenCL C
    .language_version:
      - 2
      - 0
    .max_flat_workgroup_size: 64
    .name:           _ZN7rocprim17ROCPRIM_400000_NS6detail17trampoline_kernelINS0_14default_configENS1_20scan_config_selectorIN3c107complexIdEEEEZZNS1_9scan_implILNS1_25lookback_scan_determinismE0ELb0ELb0ES3_PKS7_PS7_S7_ZZZN2at6native31launch_logcumsumexp_cuda_kernelERKNSE_10TensorBaseESI_lENKUlvE_clEvENKUlvE1_clEvEUlS7_S7_E_S7_EEDaPvRmT3_T4_T5_mT6_P12ihipStream_tbENKUlT_T0_E_clISt17integral_constantIbLb1EESZ_EEDaSU_SV_EUlSU_E_NS1_11comp_targetILNS1_3genE4ELNS1_11target_archE910ELNS1_3gpuE8ELNS1_3repE0EEENS1_30default_config_static_selectorELNS0_4arch9wavefront6targetE0EEEvT1_
    .private_segment_fixed_size: 0
    .sgpr_count:     0
    .sgpr_spill_count: 0
    .symbol:         _ZN7rocprim17ROCPRIM_400000_NS6detail17trampoline_kernelINS0_14default_configENS1_20scan_config_selectorIN3c107complexIdEEEEZZNS1_9scan_implILNS1_25lookback_scan_determinismE0ELb0ELb0ES3_PKS7_PS7_S7_ZZZN2at6native31launch_logcumsumexp_cuda_kernelERKNSE_10TensorBaseESI_lENKUlvE_clEvENKUlvE1_clEvEUlS7_S7_E_S7_EEDaPvRmT3_T4_T5_mT6_P12ihipStream_tbENKUlT_T0_E_clISt17integral_constantIbLb1EESZ_EEDaSU_SV_EUlSU_E_NS1_11comp_targetILNS1_3genE4ELNS1_11target_archE910ELNS1_3gpuE8ELNS1_3repE0EEENS1_30default_config_static_selectorELNS0_4arch9wavefront6targetE0EEEvT1_.kd
    .uniform_work_group_size: 1
    .uses_dynamic_stack: false
    .vgpr_count:     0
    .vgpr_spill_count: 0
    .wavefront_size: 32
    .workgroup_processor_mode: 1
  - .args:
      - .offset:         0
        .size:           128
        .value_kind:     by_value
    .group_segment_fixed_size: 0
    .kernarg_segment_align: 16
    .kernarg_segment_size: 128
    .language:       OpenCL C
    .language_version:
      - 2
      - 0
    .max_flat_workgroup_size: 128
    .name:           _ZN7rocprim17ROCPRIM_400000_NS6detail17trampoline_kernelINS0_14default_configENS1_20scan_config_selectorIN3c107complexIdEEEEZZNS1_9scan_implILNS1_25lookback_scan_determinismE0ELb0ELb0ES3_PKS7_PS7_S7_ZZZN2at6native31launch_logcumsumexp_cuda_kernelERKNSE_10TensorBaseESI_lENKUlvE_clEvENKUlvE1_clEvEUlS7_S7_E_S7_EEDaPvRmT3_T4_T5_mT6_P12ihipStream_tbENKUlT_T0_E_clISt17integral_constantIbLb1EESZ_EEDaSU_SV_EUlSU_E_NS1_11comp_targetILNS1_3genE3ELNS1_11target_archE908ELNS1_3gpuE7ELNS1_3repE0EEENS1_30default_config_static_selectorELNS0_4arch9wavefront6targetE0EEEvT1_
    .private_segment_fixed_size: 0
    .sgpr_count:     0
    .sgpr_spill_count: 0
    .symbol:         _ZN7rocprim17ROCPRIM_400000_NS6detail17trampoline_kernelINS0_14default_configENS1_20scan_config_selectorIN3c107complexIdEEEEZZNS1_9scan_implILNS1_25lookback_scan_determinismE0ELb0ELb0ES3_PKS7_PS7_S7_ZZZN2at6native31launch_logcumsumexp_cuda_kernelERKNSE_10TensorBaseESI_lENKUlvE_clEvENKUlvE1_clEvEUlS7_S7_E_S7_EEDaPvRmT3_T4_T5_mT6_P12ihipStream_tbENKUlT_T0_E_clISt17integral_constantIbLb1EESZ_EEDaSU_SV_EUlSU_E_NS1_11comp_targetILNS1_3genE3ELNS1_11target_archE908ELNS1_3gpuE7ELNS1_3repE0EEENS1_30default_config_static_selectorELNS0_4arch9wavefront6targetE0EEEvT1_.kd
    .uniform_work_group_size: 1
    .uses_dynamic_stack: false
    .vgpr_count:     0
    .vgpr_spill_count: 0
    .wavefront_size: 32
    .workgroup_processor_mode: 1
  - .args:
      - .offset:         0
        .size:           128
        .value_kind:     by_value
    .group_segment_fixed_size: 0
    .kernarg_segment_align: 16
    .kernarg_segment_size: 128
    .language:       OpenCL C
    .language_version:
      - 2
      - 0
    .max_flat_workgroup_size: 64
    .name:           _ZN7rocprim17ROCPRIM_400000_NS6detail17trampoline_kernelINS0_14default_configENS1_20scan_config_selectorIN3c107complexIdEEEEZZNS1_9scan_implILNS1_25lookback_scan_determinismE0ELb0ELb0ES3_PKS7_PS7_S7_ZZZN2at6native31launch_logcumsumexp_cuda_kernelERKNSE_10TensorBaseESI_lENKUlvE_clEvENKUlvE1_clEvEUlS7_S7_E_S7_EEDaPvRmT3_T4_T5_mT6_P12ihipStream_tbENKUlT_T0_E_clISt17integral_constantIbLb1EESZ_EEDaSU_SV_EUlSU_E_NS1_11comp_targetILNS1_3genE2ELNS1_11target_archE906ELNS1_3gpuE6ELNS1_3repE0EEENS1_30default_config_static_selectorELNS0_4arch9wavefront6targetE0EEEvT1_
    .private_segment_fixed_size: 0
    .sgpr_count:     0
    .sgpr_spill_count: 0
    .symbol:         _ZN7rocprim17ROCPRIM_400000_NS6detail17trampoline_kernelINS0_14default_configENS1_20scan_config_selectorIN3c107complexIdEEEEZZNS1_9scan_implILNS1_25lookback_scan_determinismE0ELb0ELb0ES3_PKS7_PS7_S7_ZZZN2at6native31launch_logcumsumexp_cuda_kernelERKNSE_10TensorBaseESI_lENKUlvE_clEvENKUlvE1_clEvEUlS7_S7_E_S7_EEDaPvRmT3_T4_T5_mT6_P12ihipStream_tbENKUlT_T0_E_clISt17integral_constantIbLb1EESZ_EEDaSU_SV_EUlSU_E_NS1_11comp_targetILNS1_3genE2ELNS1_11target_archE906ELNS1_3gpuE6ELNS1_3repE0EEENS1_30default_config_static_selectorELNS0_4arch9wavefront6targetE0EEEvT1_.kd
    .uniform_work_group_size: 1
    .uses_dynamic_stack: false
    .vgpr_count:     0
    .vgpr_spill_count: 0
    .wavefront_size: 32
    .workgroup_processor_mode: 1
  - .args:
      - .offset:         0
        .size:           128
        .value_kind:     by_value
    .group_segment_fixed_size: 0
    .kernarg_segment_align: 16
    .kernarg_segment_size: 128
    .language:       OpenCL C
    .language_version:
      - 2
      - 0
    .max_flat_workgroup_size: 256
    .name:           _ZN7rocprim17ROCPRIM_400000_NS6detail17trampoline_kernelINS0_14default_configENS1_20scan_config_selectorIN3c107complexIdEEEEZZNS1_9scan_implILNS1_25lookback_scan_determinismE0ELb0ELb0ES3_PKS7_PS7_S7_ZZZN2at6native31launch_logcumsumexp_cuda_kernelERKNSE_10TensorBaseESI_lENKUlvE_clEvENKUlvE1_clEvEUlS7_S7_E_S7_EEDaPvRmT3_T4_T5_mT6_P12ihipStream_tbENKUlT_T0_E_clISt17integral_constantIbLb1EESZ_EEDaSU_SV_EUlSU_E_NS1_11comp_targetILNS1_3genE10ELNS1_11target_archE1201ELNS1_3gpuE5ELNS1_3repE0EEENS1_30default_config_static_selectorELNS0_4arch9wavefront6targetE0EEEvT1_
    .private_segment_fixed_size: 0
    .sgpr_count:     0
    .sgpr_spill_count: 0
    .symbol:         _ZN7rocprim17ROCPRIM_400000_NS6detail17trampoline_kernelINS0_14default_configENS1_20scan_config_selectorIN3c107complexIdEEEEZZNS1_9scan_implILNS1_25lookback_scan_determinismE0ELb0ELb0ES3_PKS7_PS7_S7_ZZZN2at6native31launch_logcumsumexp_cuda_kernelERKNSE_10TensorBaseESI_lENKUlvE_clEvENKUlvE1_clEvEUlS7_S7_E_S7_EEDaPvRmT3_T4_T5_mT6_P12ihipStream_tbENKUlT_T0_E_clISt17integral_constantIbLb1EESZ_EEDaSU_SV_EUlSU_E_NS1_11comp_targetILNS1_3genE10ELNS1_11target_archE1201ELNS1_3gpuE5ELNS1_3repE0EEENS1_30default_config_static_selectorELNS0_4arch9wavefront6targetE0EEEvT1_.kd
    .uniform_work_group_size: 1
    .uses_dynamic_stack: false
    .vgpr_count:     0
    .vgpr_spill_count: 0
    .wavefront_size: 32
    .workgroup_processor_mode: 1
  - .args:
      - .offset:         0
        .size:           128
        .value_kind:     by_value
    .group_segment_fixed_size: 0
    .kernarg_segment_align: 16
    .kernarg_segment_size: 128
    .language:       OpenCL C
    .language_version:
      - 2
      - 0
    .max_flat_workgroup_size: 256
    .name:           _ZN7rocprim17ROCPRIM_400000_NS6detail17trampoline_kernelINS0_14default_configENS1_20scan_config_selectorIN3c107complexIdEEEEZZNS1_9scan_implILNS1_25lookback_scan_determinismE0ELb0ELb0ES3_PKS7_PS7_S7_ZZZN2at6native31launch_logcumsumexp_cuda_kernelERKNSE_10TensorBaseESI_lENKUlvE_clEvENKUlvE1_clEvEUlS7_S7_E_S7_EEDaPvRmT3_T4_T5_mT6_P12ihipStream_tbENKUlT_T0_E_clISt17integral_constantIbLb1EESZ_EEDaSU_SV_EUlSU_E_NS1_11comp_targetILNS1_3genE10ELNS1_11target_archE1200ELNS1_3gpuE4ELNS1_3repE0EEENS1_30default_config_static_selectorELNS0_4arch9wavefront6targetE0EEEvT1_
    .private_segment_fixed_size: 0
    .sgpr_count:     0
    .sgpr_spill_count: 0
    .symbol:         _ZN7rocprim17ROCPRIM_400000_NS6detail17trampoline_kernelINS0_14default_configENS1_20scan_config_selectorIN3c107complexIdEEEEZZNS1_9scan_implILNS1_25lookback_scan_determinismE0ELb0ELb0ES3_PKS7_PS7_S7_ZZZN2at6native31launch_logcumsumexp_cuda_kernelERKNSE_10TensorBaseESI_lENKUlvE_clEvENKUlvE1_clEvEUlS7_S7_E_S7_EEDaPvRmT3_T4_T5_mT6_P12ihipStream_tbENKUlT_T0_E_clISt17integral_constantIbLb1EESZ_EEDaSU_SV_EUlSU_E_NS1_11comp_targetILNS1_3genE10ELNS1_11target_archE1200ELNS1_3gpuE4ELNS1_3repE0EEENS1_30default_config_static_selectorELNS0_4arch9wavefront6targetE0EEEvT1_.kd
    .uniform_work_group_size: 1
    .uses_dynamic_stack: false
    .vgpr_count:     0
    .vgpr_spill_count: 0
    .wavefront_size: 32
    .workgroup_processor_mode: 1
  - .args:
      - .offset:         0
        .size:           128
        .value_kind:     by_value
    .group_segment_fixed_size: 33792
    .kernarg_segment_align: 16
    .kernarg_segment_size: 128
    .language:       OpenCL C
    .language_version:
      - 2
      - 0
    .max_flat_workgroup_size: 256
    .name:           _ZN7rocprim17ROCPRIM_400000_NS6detail17trampoline_kernelINS0_14default_configENS1_20scan_config_selectorIN3c107complexIdEEEEZZNS1_9scan_implILNS1_25lookback_scan_determinismE0ELb0ELb0ES3_PKS7_PS7_S7_ZZZN2at6native31launch_logcumsumexp_cuda_kernelERKNSE_10TensorBaseESI_lENKUlvE_clEvENKUlvE1_clEvEUlS7_S7_E_S7_EEDaPvRmT3_T4_T5_mT6_P12ihipStream_tbENKUlT_T0_E_clISt17integral_constantIbLb1EESZ_EEDaSU_SV_EUlSU_E_NS1_11comp_targetILNS1_3genE9ELNS1_11target_archE1100ELNS1_3gpuE3ELNS1_3repE0EEENS1_30default_config_static_selectorELNS0_4arch9wavefront6targetE0EEEvT1_
    .private_segment_fixed_size: 0
    .sgpr_count:     51
    .sgpr_spill_count: 0
    .symbol:         _ZN7rocprim17ROCPRIM_400000_NS6detail17trampoline_kernelINS0_14default_configENS1_20scan_config_selectorIN3c107complexIdEEEEZZNS1_9scan_implILNS1_25lookback_scan_determinismE0ELb0ELb0ES3_PKS7_PS7_S7_ZZZN2at6native31launch_logcumsumexp_cuda_kernelERKNSE_10TensorBaseESI_lENKUlvE_clEvENKUlvE1_clEvEUlS7_S7_E_S7_EEDaPvRmT3_T4_T5_mT6_P12ihipStream_tbENKUlT_T0_E_clISt17integral_constantIbLb1EESZ_EEDaSU_SV_EUlSU_E_NS1_11comp_targetILNS1_3genE9ELNS1_11target_archE1100ELNS1_3gpuE3ELNS1_3repE0EEENS1_30default_config_static_selectorELNS0_4arch9wavefront6targetE0EEEvT1_.kd
    .uniform_work_group_size: 1
    .uses_dynamic_stack: false
    .vgpr_count:     168
    .vgpr_spill_count: 0
    .wavefront_size: 32
    .workgroup_processor_mode: 1
  - .args:
      - .offset:         0
        .size:           128
        .value_kind:     by_value
    .group_segment_fixed_size: 0
    .kernarg_segment_align: 16
    .kernarg_segment_size: 128
    .language:       OpenCL C
    .language_version:
      - 2
      - 0
    .max_flat_workgroup_size: 256
    .name:           _ZN7rocprim17ROCPRIM_400000_NS6detail17trampoline_kernelINS0_14default_configENS1_20scan_config_selectorIN3c107complexIdEEEEZZNS1_9scan_implILNS1_25lookback_scan_determinismE0ELb0ELb0ES3_PKS7_PS7_S7_ZZZN2at6native31launch_logcumsumexp_cuda_kernelERKNSE_10TensorBaseESI_lENKUlvE_clEvENKUlvE1_clEvEUlS7_S7_E_S7_EEDaPvRmT3_T4_T5_mT6_P12ihipStream_tbENKUlT_T0_E_clISt17integral_constantIbLb1EESZ_EEDaSU_SV_EUlSU_E_NS1_11comp_targetILNS1_3genE8ELNS1_11target_archE1030ELNS1_3gpuE2ELNS1_3repE0EEENS1_30default_config_static_selectorELNS0_4arch9wavefront6targetE0EEEvT1_
    .private_segment_fixed_size: 0
    .sgpr_count:     0
    .sgpr_spill_count: 0
    .symbol:         _ZN7rocprim17ROCPRIM_400000_NS6detail17trampoline_kernelINS0_14default_configENS1_20scan_config_selectorIN3c107complexIdEEEEZZNS1_9scan_implILNS1_25lookback_scan_determinismE0ELb0ELb0ES3_PKS7_PS7_S7_ZZZN2at6native31launch_logcumsumexp_cuda_kernelERKNSE_10TensorBaseESI_lENKUlvE_clEvENKUlvE1_clEvEUlS7_S7_E_S7_EEDaPvRmT3_T4_T5_mT6_P12ihipStream_tbENKUlT_T0_E_clISt17integral_constantIbLb1EESZ_EEDaSU_SV_EUlSU_E_NS1_11comp_targetILNS1_3genE8ELNS1_11target_archE1030ELNS1_3gpuE2ELNS1_3repE0EEENS1_30default_config_static_selectorELNS0_4arch9wavefront6targetE0EEEvT1_.kd
    .uniform_work_group_size: 1
    .uses_dynamic_stack: false
    .vgpr_count:     0
    .vgpr_spill_count: 0
    .wavefront_size: 32
    .workgroup_processor_mode: 1
  - .args:
      - .offset:         0
        .size:           48
        .value_kind:     by_value
    .group_segment_fixed_size: 0
    .kernarg_segment_align: 16
    .kernarg_segment_size: 48
    .language:       OpenCL C
    .language_version:
      - 2
      - 0
    .max_flat_workgroup_size: 128
    .name:           _ZN7rocprim17ROCPRIM_400000_NS6detail17trampoline_kernelINS0_14default_configENS1_20scan_config_selectorIN3c107complexIdEEEEZZNS1_9scan_implILNS1_25lookback_scan_determinismE0ELb0ELb0ES3_PKS7_PS7_S7_ZZZN2at6native31launch_logcumsumexp_cuda_kernelERKNSE_10TensorBaseESI_lENKUlvE_clEvENKUlvE1_clEvEUlS7_S7_E_S7_EEDaPvRmT3_T4_T5_mT6_P12ihipStream_tbENKUlT_T0_E_clISt17integral_constantIbLb1EESZ_EEDaSU_SV_EUlSU_E0_NS1_11comp_targetILNS1_3genE0ELNS1_11target_archE4294967295ELNS1_3gpuE0ELNS1_3repE0EEENS1_30default_config_static_selectorELNS0_4arch9wavefront6targetE0EEEvT1_
    .private_segment_fixed_size: 0
    .sgpr_count:     0
    .sgpr_spill_count: 0
    .symbol:         _ZN7rocprim17ROCPRIM_400000_NS6detail17trampoline_kernelINS0_14default_configENS1_20scan_config_selectorIN3c107complexIdEEEEZZNS1_9scan_implILNS1_25lookback_scan_determinismE0ELb0ELb0ES3_PKS7_PS7_S7_ZZZN2at6native31launch_logcumsumexp_cuda_kernelERKNSE_10TensorBaseESI_lENKUlvE_clEvENKUlvE1_clEvEUlS7_S7_E_S7_EEDaPvRmT3_T4_T5_mT6_P12ihipStream_tbENKUlT_T0_E_clISt17integral_constantIbLb1EESZ_EEDaSU_SV_EUlSU_E0_NS1_11comp_targetILNS1_3genE0ELNS1_11target_archE4294967295ELNS1_3gpuE0ELNS1_3repE0EEENS1_30default_config_static_selectorELNS0_4arch9wavefront6targetE0EEEvT1_.kd
    .uniform_work_group_size: 1
    .uses_dynamic_stack: false
    .vgpr_count:     0
    .vgpr_spill_count: 0
    .wavefront_size: 32
    .workgroup_processor_mode: 1
  - .args:
      - .offset:         0
        .size:           48
        .value_kind:     by_value
    .group_segment_fixed_size: 0
    .kernarg_segment_align: 16
    .kernarg_segment_size: 48
    .language:       OpenCL C
    .language_version:
      - 2
      - 0
    .max_flat_workgroup_size: 256
    .name:           _ZN7rocprim17ROCPRIM_400000_NS6detail17trampoline_kernelINS0_14default_configENS1_20scan_config_selectorIN3c107complexIdEEEEZZNS1_9scan_implILNS1_25lookback_scan_determinismE0ELb0ELb0ES3_PKS7_PS7_S7_ZZZN2at6native31launch_logcumsumexp_cuda_kernelERKNSE_10TensorBaseESI_lENKUlvE_clEvENKUlvE1_clEvEUlS7_S7_E_S7_EEDaPvRmT3_T4_T5_mT6_P12ihipStream_tbENKUlT_T0_E_clISt17integral_constantIbLb1EESZ_EEDaSU_SV_EUlSU_E0_NS1_11comp_targetILNS1_3genE5ELNS1_11target_archE942ELNS1_3gpuE9ELNS1_3repE0EEENS1_30default_config_static_selectorELNS0_4arch9wavefront6targetE0EEEvT1_
    .private_segment_fixed_size: 0
    .sgpr_count:     0
    .sgpr_spill_count: 0
    .symbol:         _ZN7rocprim17ROCPRIM_400000_NS6detail17trampoline_kernelINS0_14default_configENS1_20scan_config_selectorIN3c107complexIdEEEEZZNS1_9scan_implILNS1_25lookback_scan_determinismE0ELb0ELb0ES3_PKS7_PS7_S7_ZZZN2at6native31launch_logcumsumexp_cuda_kernelERKNSE_10TensorBaseESI_lENKUlvE_clEvENKUlvE1_clEvEUlS7_S7_E_S7_EEDaPvRmT3_T4_T5_mT6_P12ihipStream_tbENKUlT_T0_E_clISt17integral_constantIbLb1EESZ_EEDaSU_SV_EUlSU_E0_NS1_11comp_targetILNS1_3genE5ELNS1_11target_archE942ELNS1_3gpuE9ELNS1_3repE0EEENS1_30default_config_static_selectorELNS0_4arch9wavefront6targetE0EEEvT1_.kd
    .uniform_work_group_size: 1
    .uses_dynamic_stack: false
    .vgpr_count:     0
    .vgpr_spill_count: 0
    .wavefront_size: 32
    .workgroup_processor_mode: 1
  - .args:
      - .offset:         0
        .size:           48
        .value_kind:     by_value
    .group_segment_fixed_size: 0
    .kernarg_segment_align: 16
    .kernarg_segment_size: 48
    .language:       OpenCL C
    .language_version:
      - 2
      - 0
    .max_flat_workgroup_size: 64
    .name:           _ZN7rocprim17ROCPRIM_400000_NS6detail17trampoline_kernelINS0_14default_configENS1_20scan_config_selectorIN3c107complexIdEEEEZZNS1_9scan_implILNS1_25lookback_scan_determinismE0ELb0ELb0ES3_PKS7_PS7_S7_ZZZN2at6native31launch_logcumsumexp_cuda_kernelERKNSE_10TensorBaseESI_lENKUlvE_clEvENKUlvE1_clEvEUlS7_S7_E_S7_EEDaPvRmT3_T4_T5_mT6_P12ihipStream_tbENKUlT_T0_E_clISt17integral_constantIbLb1EESZ_EEDaSU_SV_EUlSU_E0_NS1_11comp_targetILNS1_3genE4ELNS1_11target_archE910ELNS1_3gpuE8ELNS1_3repE0EEENS1_30default_config_static_selectorELNS0_4arch9wavefront6targetE0EEEvT1_
    .private_segment_fixed_size: 0
    .sgpr_count:     0
    .sgpr_spill_count: 0
    .symbol:         _ZN7rocprim17ROCPRIM_400000_NS6detail17trampoline_kernelINS0_14default_configENS1_20scan_config_selectorIN3c107complexIdEEEEZZNS1_9scan_implILNS1_25lookback_scan_determinismE0ELb0ELb0ES3_PKS7_PS7_S7_ZZZN2at6native31launch_logcumsumexp_cuda_kernelERKNSE_10TensorBaseESI_lENKUlvE_clEvENKUlvE1_clEvEUlS7_S7_E_S7_EEDaPvRmT3_T4_T5_mT6_P12ihipStream_tbENKUlT_T0_E_clISt17integral_constantIbLb1EESZ_EEDaSU_SV_EUlSU_E0_NS1_11comp_targetILNS1_3genE4ELNS1_11target_archE910ELNS1_3gpuE8ELNS1_3repE0EEENS1_30default_config_static_selectorELNS0_4arch9wavefront6targetE0EEEvT1_.kd
    .uniform_work_group_size: 1
    .uses_dynamic_stack: false
    .vgpr_count:     0
    .vgpr_spill_count: 0
    .wavefront_size: 32
    .workgroup_processor_mode: 1
  - .args:
      - .offset:         0
        .size:           48
        .value_kind:     by_value
    .group_segment_fixed_size: 0
    .kernarg_segment_align: 16
    .kernarg_segment_size: 48
    .language:       OpenCL C
    .language_version:
      - 2
      - 0
    .max_flat_workgroup_size: 128
    .name:           _ZN7rocprim17ROCPRIM_400000_NS6detail17trampoline_kernelINS0_14default_configENS1_20scan_config_selectorIN3c107complexIdEEEEZZNS1_9scan_implILNS1_25lookback_scan_determinismE0ELb0ELb0ES3_PKS7_PS7_S7_ZZZN2at6native31launch_logcumsumexp_cuda_kernelERKNSE_10TensorBaseESI_lENKUlvE_clEvENKUlvE1_clEvEUlS7_S7_E_S7_EEDaPvRmT3_T4_T5_mT6_P12ihipStream_tbENKUlT_T0_E_clISt17integral_constantIbLb1EESZ_EEDaSU_SV_EUlSU_E0_NS1_11comp_targetILNS1_3genE3ELNS1_11target_archE908ELNS1_3gpuE7ELNS1_3repE0EEENS1_30default_config_static_selectorELNS0_4arch9wavefront6targetE0EEEvT1_
    .private_segment_fixed_size: 0
    .sgpr_count:     0
    .sgpr_spill_count: 0
    .symbol:         _ZN7rocprim17ROCPRIM_400000_NS6detail17trampoline_kernelINS0_14default_configENS1_20scan_config_selectorIN3c107complexIdEEEEZZNS1_9scan_implILNS1_25lookback_scan_determinismE0ELb0ELb0ES3_PKS7_PS7_S7_ZZZN2at6native31launch_logcumsumexp_cuda_kernelERKNSE_10TensorBaseESI_lENKUlvE_clEvENKUlvE1_clEvEUlS7_S7_E_S7_EEDaPvRmT3_T4_T5_mT6_P12ihipStream_tbENKUlT_T0_E_clISt17integral_constantIbLb1EESZ_EEDaSU_SV_EUlSU_E0_NS1_11comp_targetILNS1_3genE3ELNS1_11target_archE908ELNS1_3gpuE7ELNS1_3repE0EEENS1_30default_config_static_selectorELNS0_4arch9wavefront6targetE0EEEvT1_.kd
    .uniform_work_group_size: 1
    .uses_dynamic_stack: false
    .vgpr_count:     0
    .vgpr_spill_count: 0
    .wavefront_size: 32
    .workgroup_processor_mode: 1
  - .args:
      - .offset:         0
        .size:           48
        .value_kind:     by_value
    .group_segment_fixed_size: 0
    .kernarg_segment_align: 16
    .kernarg_segment_size: 48
    .language:       OpenCL C
    .language_version:
      - 2
      - 0
    .max_flat_workgroup_size: 64
    .name:           _ZN7rocprim17ROCPRIM_400000_NS6detail17trampoline_kernelINS0_14default_configENS1_20scan_config_selectorIN3c107complexIdEEEEZZNS1_9scan_implILNS1_25lookback_scan_determinismE0ELb0ELb0ES3_PKS7_PS7_S7_ZZZN2at6native31launch_logcumsumexp_cuda_kernelERKNSE_10TensorBaseESI_lENKUlvE_clEvENKUlvE1_clEvEUlS7_S7_E_S7_EEDaPvRmT3_T4_T5_mT6_P12ihipStream_tbENKUlT_T0_E_clISt17integral_constantIbLb1EESZ_EEDaSU_SV_EUlSU_E0_NS1_11comp_targetILNS1_3genE2ELNS1_11target_archE906ELNS1_3gpuE6ELNS1_3repE0EEENS1_30default_config_static_selectorELNS0_4arch9wavefront6targetE0EEEvT1_
    .private_segment_fixed_size: 0
    .sgpr_count:     0
    .sgpr_spill_count: 0
    .symbol:         _ZN7rocprim17ROCPRIM_400000_NS6detail17trampoline_kernelINS0_14default_configENS1_20scan_config_selectorIN3c107complexIdEEEEZZNS1_9scan_implILNS1_25lookback_scan_determinismE0ELb0ELb0ES3_PKS7_PS7_S7_ZZZN2at6native31launch_logcumsumexp_cuda_kernelERKNSE_10TensorBaseESI_lENKUlvE_clEvENKUlvE1_clEvEUlS7_S7_E_S7_EEDaPvRmT3_T4_T5_mT6_P12ihipStream_tbENKUlT_T0_E_clISt17integral_constantIbLb1EESZ_EEDaSU_SV_EUlSU_E0_NS1_11comp_targetILNS1_3genE2ELNS1_11target_archE906ELNS1_3gpuE6ELNS1_3repE0EEENS1_30default_config_static_selectorELNS0_4arch9wavefront6targetE0EEEvT1_.kd
    .uniform_work_group_size: 1
    .uses_dynamic_stack: false
    .vgpr_count:     0
    .vgpr_spill_count: 0
    .wavefront_size: 32
    .workgroup_processor_mode: 1
  - .args:
      - .offset:         0
        .size:           48
        .value_kind:     by_value
    .group_segment_fixed_size: 0
    .kernarg_segment_align: 16
    .kernarg_segment_size: 48
    .language:       OpenCL C
    .language_version:
      - 2
      - 0
    .max_flat_workgroup_size: 256
    .name:           _ZN7rocprim17ROCPRIM_400000_NS6detail17trampoline_kernelINS0_14default_configENS1_20scan_config_selectorIN3c107complexIdEEEEZZNS1_9scan_implILNS1_25lookback_scan_determinismE0ELb0ELb0ES3_PKS7_PS7_S7_ZZZN2at6native31launch_logcumsumexp_cuda_kernelERKNSE_10TensorBaseESI_lENKUlvE_clEvENKUlvE1_clEvEUlS7_S7_E_S7_EEDaPvRmT3_T4_T5_mT6_P12ihipStream_tbENKUlT_T0_E_clISt17integral_constantIbLb1EESZ_EEDaSU_SV_EUlSU_E0_NS1_11comp_targetILNS1_3genE10ELNS1_11target_archE1201ELNS1_3gpuE5ELNS1_3repE0EEENS1_30default_config_static_selectorELNS0_4arch9wavefront6targetE0EEEvT1_
    .private_segment_fixed_size: 0
    .sgpr_count:     0
    .sgpr_spill_count: 0
    .symbol:         _ZN7rocprim17ROCPRIM_400000_NS6detail17trampoline_kernelINS0_14default_configENS1_20scan_config_selectorIN3c107complexIdEEEEZZNS1_9scan_implILNS1_25lookback_scan_determinismE0ELb0ELb0ES3_PKS7_PS7_S7_ZZZN2at6native31launch_logcumsumexp_cuda_kernelERKNSE_10TensorBaseESI_lENKUlvE_clEvENKUlvE1_clEvEUlS7_S7_E_S7_EEDaPvRmT3_T4_T5_mT6_P12ihipStream_tbENKUlT_T0_E_clISt17integral_constantIbLb1EESZ_EEDaSU_SV_EUlSU_E0_NS1_11comp_targetILNS1_3genE10ELNS1_11target_archE1201ELNS1_3gpuE5ELNS1_3repE0EEENS1_30default_config_static_selectorELNS0_4arch9wavefront6targetE0EEEvT1_.kd
    .uniform_work_group_size: 1
    .uses_dynamic_stack: false
    .vgpr_count:     0
    .vgpr_spill_count: 0
    .wavefront_size: 32
    .workgroup_processor_mode: 1
  - .args:
      - .offset:         0
        .size:           48
        .value_kind:     by_value
    .group_segment_fixed_size: 0
    .kernarg_segment_align: 16
    .kernarg_segment_size: 48
    .language:       OpenCL C
    .language_version:
      - 2
      - 0
    .max_flat_workgroup_size: 256
    .name:           _ZN7rocprim17ROCPRIM_400000_NS6detail17trampoline_kernelINS0_14default_configENS1_20scan_config_selectorIN3c107complexIdEEEEZZNS1_9scan_implILNS1_25lookback_scan_determinismE0ELb0ELb0ES3_PKS7_PS7_S7_ZZZN2at6native31launch_logcumsumexp_cuda_kernelERKNSE_10TensorBaseESI_lENKUlvE_clEvENKUlvE1_clEvEUlS7_S7_E_S7_EEDaPvRmT3_T4_T5_mT6_P12ihipStream_tbENKUlT_T0_E_clISt17integral_constantIbLb1EESZ_EEDaSU_SV_EUlSU_E0_NS1_11comp_targetILNS1_3genE10ELNS1_11target_archE1200ELNS1_3gpuE4ELNS1_3repE0EEENS1_30default_config_static_selectorELNS0_4arch9wavefront6targetE0EEEvT1_
    .private_segment_fixed_size: 0
    .sgpr_count:     0
    .sgpr_spill_count: 0
    .symbol:         _ZN7rocprim17ROCPRIM_400000_NS6detail17trampoline_kernelINS0_14default_configENS1_20scan_config_selectorIN3c107complexIdEEEEZZNS1_9scan_implILNS1_25lookback_scan_determinismE0ELb0ELb0ES3_PKS7_PS7_S7_ZZZN2at6native31launch_logcumsumexp_cuda_kernelERKNSE_10TensorBaseESI_lENKUlvE_clEvENKUlvE1_clEvEUlS7_S7_E_S7_EEDaPvRmT3_T4_T5_mT6_P12ihipStream_tbENKUlT_T0_E_clISt17integral_constantIbLb1EESZ_EEDaSU_SV_EUlSU_E0_NS1_11comp_targetILNS1_3genE10ELNS1_11target_archE1200ELNS1_3gpuE4ELNS1_3repE0EEENS1_30default_config_static_selectorELNS0_4arch9wavefront6targetE0EEEvT1_.kd
    .uniform_work_group_size: 1
    .uses_dynamic_stack: false
    .vgpr_count:     0
    .vgpr_spill_count: 0
    .wavefront_size: 32
    .workgroup_processor_mode: 1
  - .args:
      - .offset:         0
        .size:           48
        .value_kind:     by_value
    .group_segment_fixed_size: 33792
    .kernarg_segment_align: 16
    .kernarg_segment_size: 48
    .language:       OpenCL C
    .language_version:
      - 2
      - 0
    .max_flat_workgroup_size: 256
    .name:           _ZN7rocprim17ROCPRIM_400000_NS6detail17trampoline_kernelINS0_14default_configENS1_20scan_config_selectorIN3c107complexIdEEEEZZNS1_9scan_implILNS1_25lookback_scan_determinismE0ELb0ELb0ES3_PKS7_PS7_S7_ZZZN2at6native31launch_logcumsumexp_cuda_kernelERKNSE_10TensorBaseESI_lENKUlvE_clEvENKUlvE1_clEvEUlS7_S7_E_S7_EEDaPvRmT3_T4_T5_mT6_P12ihipStream_tbENKUlT_T0_E_clISt17integral_constantIbLb1EESZ_EEDaSU_SV_EUlSU_E0_NS1_11comp_targetILNS1_3genE9ELNS1_11target_archE1100ELNS1_3gpuE3ELNS1_3repE0EEENS1_30default_config_static_selectorELNS0_4arch9wavefront6targetE0EEEvT1_
    .private_segment_fixed_size: 0
    .sgpr_count:     35
    .sgpr_spill_count: 0
    .symbol:         _ZN7rocprim17ROCPRIM_400000_NS6detail17trampoline_kernelINS0_14default_configENS1_20scan_config_selectorIN3c107complexIdEEEEZZNS1_9scan_implILNS1_25lookback_scan_determinismE0ELb0ELb0ES3_PKS7_PS7_S7_ZZZN2at6native31launch_logcumsumexp_cuda_kernelERKNSE_10TensorBaseESI_lENKUlvE_clEvENKUlvE1_clEvEUlS7_S7_E_S7_EEDaPvRmT3_T4_T5_mT6_P12ihipStream_tbENKUlT_T0_E_clISt17integral_constantIbLb1EESZ_EEDaSU_SV_EUlSU_E0_NS1_11comp_targetILNS1_3genE9ELNS1_11target_archE1100ELNS1_3gpuE3ELNS1_3repE0EEENS1_30default_config_static_selectorELNS0_4arch9wavefront6targetE0EEEvT1_.kd
    .uniform_work_group_size: 1
    .uses_dynamic_stack: false
    .vgpr_count:     169
    .vgpr_spill_count: 0
    .wavefront_size: 32
    .workgroup_processor_mode: 1
  - .args:
      - .offset:         0
        .size:           48
        .value_kind:     by_value
    .group_segment_fixed_size: 0
    .kernarg_segment_align: 16
    .kernarg_segment_size: 48
    .language:       OpenCL C
    .language_version:
      - 2
      - 0
    .max_flat_workgroup_size: 256
    .name:           _ZN7rocprim17ROCPRIM_400000_NS6detail17trampoline_kernelINS0_14default_configENS1_20scan_config_selectorIN3c107complexIdEEEEZZNS1_9scan_implILNS1_25lookback_scan_determinismE0ELb0ELb0ES3_PKS7_PS7_S7_ZZZN2at6native31launch_logcumsumexp_cuda_kernelERKNSE_10TensorBaseESI_lENKUlvE_clEvENKUlvE1_clEvEUlS7_S7_E_S7_EEDaPvRmT3_T4_T5_mT6_P12ihipStream_tbENKUlT_T0_E_clISt17integral_constantIbLb1EESZ_EEDaSU_SV_EUlSU_E0_NS1_11comp_targetILNS1_3genE8ELNS1_11target_archE1030ELNS1_3gpuE2ELNS1_3repE0EEENS1_30default_config_static_selectorELNS0_4arch9wavefront6targetE0EEEvT1_
    .private_segment_fixed_size: 0
    .sgpr_count:     0
    .sgpr_spill_count: 0
    .symbol:         _ZN7rocprim17ROCPRIM_400000_NS6detail17trampoline_kernelINS0_14default_configENS1_20scan_config_selectorIN3c107complexIdEEEEZZNS1_9scan_implILNS1_25lookback_scan_determinismE0ELb0ELb0ES3_PKS7_PS7_S7_ZZZN2at6native31launch_logcumsumexp_cuda_kernelERKNSE_10TensorBaseESI_lENKUlvE_clEvENKUlvE1_clEvEUlS7_S7_E_S7_EEDaPvRmT3_T4_T5_mT6_P12ihipStream_tbENKUlT_T0_E_clISt17integral_constantIbLb1EESZ_EEDaSU_SV_EUlSU_E0_NS1_11comp_targetILNS1_3genE8ELNS1_11target_archE1030ELNS1_3gpuE2ELNS1_3repE0EEENS1_30default_config_static_selectorELNS0_4arch9wavefront6targetE0EEEvT1_.kd
    .uniform_work_group_size: 1
    .uses_dynamic_stack: false
    .vgpr_count:     0
    .vgpr_spill_count: 0
    .wavefront_size: 32
    .workgroup_processor_mode: 1
  - .args:
      - .offset:         0
        .size:           24
        .value_kind:     by_value
      - .offset:         24
        .size:           4
        .value_kind:     by_value
      - .offset:         28
        .size:           1
        .value_kind:     by_value
      - .offset:         32
        .size:           4
        .value_kind:     by_value
      - .address_space:  global
        .offset:         40
        .size:           8
        .value_kind:     global_buffer
      - .offset:         48
        .size:           4
        .value_kind:     hidden_block_count_x
      - .offset:         52
        .size:           4
        .value_kind:     hidden_block_count_y
      - .offset:         56
        .size:           4
        .value_kind:     hidden_block_count_z
      - .offset:         60
        .size:           2
        .value_kind:     hidden_group_size_x
      - .offset:         62
        .size:           2
        .value_kind:     hidden_group_size_y
      - .offset:         64
        .size:           2
        .value_kind:     hidden_group_size_z
      - .offset:         66
        .size:           2
        .value_kind:     hidden_remainder_x
      - .offset:         68
        .size:           2
        .value_kind:     hidden_remainder_y
      - .offset:         70
        .size:           2
        .value_kind:     hidden_remainder_z
      - .offset:         88
        .size:           8
        .value_kind:     hidden_global_offset_x
      - .offset:         96
        .size:           8
        .value_kind:     hidden_global_offset_y
      - .offset:         104
        .size:           8
        .value_kind:     hidden_global_offset_z
      - .offset:         112
        .size:           2
        .value_kind:     hidden_grid_dims
    .group_segment_fixed_size: 0
    .kernarg_segment_align: 8
    .kernarg_segment_size: 304
    .language:       OpenCL C
    .language_version:
      - 2
      - 0
    .max_flat_workgroup_size: 256
    .name:           _ZN7rocprim17ROCPRIM_400000_NS6detail31init_lookback_scan_state_kernelINS1_19lookback_scan_stateIN3c107complexIdEELb1ELb0EEENS1_16block_id_wrapperIjLb0EEEEEvT_jT0_jPNSA_10value_typeE
    .private_segment_fixed_size: 0
    .sgpr_count:     18
    .sgpr_spill_count: 0
    .symbol:         _ZN7rocprim17ROCPRIM_400000_NS6detail31init_lookback_scan_state_kernelINS1_19lookback_scan_stateIN3c107complexIdEELb1ELb0EEENS1_16block_id_wrapperIjLb0EEEEEvT_jT0_jPNSA_10value_typeE.kd
    .uniform_work_group_size: 1
    .uses_dynamic_stack: false
    .vgpr_count:     6
    .vgpr_spill_count: 0
    .wavefront_size: 32
    .workgroup_processor_mode: 1
  - .args:
      - .offset:         0
        .size:           128
        .value_kind:     by_value
    .group_segment_fixed_size: 0
    .kernarg_segment_align: 16
    .kernarg_segment_size: 128
    .language:       OpenCL C
    .language_version:
      - 2
      - 0
    .max_flat_workgroup_size: 128
    .name:           _ZN7rocprim17ROCPRIM_400000_NS6detail17trampoline_kernelINS0_14default_configENS1_20scan_config_selectorIN3c107complexIdEEEEZZNS1_9scan_implILNS1_25lookback_scan_determinismE0ELb0ELb0ES3_PKS7_PS7_S7_ZZZN2at6native31launch_logcumsumexp_cuda_kernelERKNSE_10TensorBaseESI_lENKUlvE_clEvENKUlvE1_clEvEUlS7_S7_E_S7_EEDaPvRmT3_T4_T5_mT6_P12ihipStream_tbENKUlT_T0_E_clISt17integral_constantIbLb1EESY_IbLb0EEEEDaSU_SV_EUlSU_E_NS1_11comp_targetILNS1_3genE0ELNS1_11target_archE4294967295ELNS1_3gpuE0ELNS1_3repE0EEENS1_30default_config_static_selectorELNS0_4arch9wavefront6targetE0EEEvT1_
    .private_segment_fixed_size: 0
    .sgpr_count:     0
    .sgpr_spill_count: 0
    .symbol:         _ZN7rocprim17ROCPRIM_400000_NS6detail17trampoline_kernelINS0_14default_configENS1_20scan_config_selectorIN3c107complexIdEEEEZZNS1_9scan_implILNS1_25lookback_scan_determinismE0ELb0ELb0ES3_PKS7_PS7_S7_ZZZN2at6native31launch_logcumsumexp_cuda_kernelERKNSE_10TensorBaseESI_lENKUlvE_clEvENKUlvE1_clEvEUlS7_S7_E_S7_EEDaPvRmT3_T4_T5_mT6_P12ihipStream_tbENKUlT_T0_E_clISt17integral_constantIbLb1EESY_IbLb0EEEEDaSU_SV_EUlSU_E_NS1_11comp_targetILNS1_3genE0ELNS1_11target_archE4294967295ELNS1_3gpuE0ELNS1_3repE0EEENS1_30default_config_static_selectorELNS0_4arch9wavefront6targetE0EEEvT1_.kd
    .uniform_work_group_size: 1
    .uses_dynamic_stack: false
    .vgpr_count:     0
    .vgpr_spill_count: 0
    .wavefront_size: 32
    .workgroup_processor_mode: 1
  - .args:
      - .offset:         0
        .size:           128
        .value_kind:     by_value
    .group_segment_fixed_size: 0
    .kernarg_segment_align: 16
    .kernarg_segment_size: 128
    .language:       OpenCL C
    .language_version:
      - 2
      - 0
    .max_flat_workgroup_size: 256
    .name:           _ZN7rocprim17ROCPRIM_400000_NS6detail17trampoline_kernelINS0_14default_configENS1_20scan_config_selectorIN3c107complexIdEEEEZZNS1_9scan_implILNS1_25lookback_scan_determinismE0ELb0ELb0ES3_PKS7_PS7_S7_ZZZN2at6native31launch_logcumsumexp_cuda_kernelERKNSE_10TensorBaseESI_lENKUlvE_clEvENKUlvE1_clEvEUlS7_S7_E_S7_EEDaPvRmT3_T4_T5_mT6_P12ihipStream_tbENKUlT_T0_E_clISt17integral_constantIbLb1EESY_IbLb0EEEEDaSU_SV_EUlSU_E_NS1_11comp_targetILNS1_3genE5ELNS1_11target_archE942ELNS1_3gpuE9ELNS1_3repE0EEENS1_30default_config_static_selectorELNS0_4arch9wavefront6targetE0EEEvT1_
    .private_segment_fixed_size: 0
    .sgpr_count:     0
    .sgpr_spill_count: 0
    .symbol:         _ZN7rocprim17ROCPRIM_400000_NS6detail17trampoline_kernelINS0_14default_configENS1_20scan_config_selectorIN3c107complexIdEEEEZZNS1_9scan_implILNS1_25lookback_scan_determinismE0ELb0ELb0ES3_PKS7_PS7_S7_ZZZN2at6native31launch_logcumsumexp_cuda_kernelERKNSE_10TensorBaseESI_lENKUlvE_clEvENKUlvE1_clEvEUlS7_S7_E_S7_EEDaPvRmT3_T4_T5_mT6_P12ihipStream_tbENKUlT_T0_E_clISt17integral_constantIbLb1EESY_IbLb0EEEEDaSU_SV_EUlSU_E_NS1_11comp_targetILNS1_3genE5ELNS1_11target_archE942ELNS1_3gpuE9ELNS1_3repE0EEENS1_30default_config_static_selectorELNS0_4arch9wavefront6targetE0EEEvT1_.kd
    .uniform_work_group_size: 1
    .uses_dynamic_stack: false
    .vgpr_count:     0
    .vgpr_spill_count: 0
    .wavefront_size: 32
    .workgroup_processor_mode: 1
  - .args:
      - .offset:         0
        .size:           128
        .value_kind:     by_value
    .group_segment_fixed_size: 0
    .kernarg_segment_align: 16
    .kernarg_segment_size: 128
    .language:       OpenCL C
    .language_version:
      - 2
      - 0
    .max_flat_workgroup_size: 64
    .name:           _ZN7rocprim17ROCPRIM_400000_NS6detail17trampoline_kernelINS0_14default_configENS1_20scan_config_selectorIN3c107complexIdEEEEZZNS1_9scan_implILNS1_25lookback_scan_determinismE0ELb0ELb0ES3_PKS7_PS7_S7_ZZZN2at6native31launch_logcumsumexp_cuda_kernelERKNSE_10TensorBaseESI_lENKUlvE_clEvENKUlvE1_clEvEUlS7_S7_E_S7_EEDaPvRmT3_T4_T5_mT6_P12ihipStream_tbENKUlT_T0_E_clISt17integral_constantIbLb1EESY_IbLb0EEEEDaSU_SV_EUlSU_E_NS1_11comp_targetILNS1_3genE4ELNS1_11target_archE910ELNS1_3gpuE8ELNS1_3repE0EEENS1_30default_config_static_selectorELNS0_4arch9wavefront6targetE0EEEvT1_
    .private_segment_fixed_size: 0
    .sgpr_count:     0
    .sgpr_spill_count: 0
    .symbol:         _ZN7rocprim17ROCPRIM_400000_NS6detail17trampoline_kernelINS0_14default_configENS1_20scan_config_selectorIN3c107complexIdEEEEZZNS1_9scan_implILNS1_25lookback_scan_determinismE0ELb0ELb0ES3_PKS7_PS7_S7_ZZZN2at6native31launch_logcumsumexp_cuda_kernelERKNSE_10TensorBaseESI_lENKUlvE_clEvENKUlvE1_clEvEUlS7_S7_E_S7_EEDaPvRmT3_T4_T5_mT6_P12ihipStream_tbENKUlT_T0_E_clISt17integral_constantIbLb1EESY_IbLb0EEEEDaSU_SV_EUlSU_E_NS1_11comp_targetILNS1_3genE4ELNS1_11target_archE910ELNS1_3gpuE8ELNS1_3repE0EEENS1_30default_config_static_selectorELNS0_4arch9wavefront6targetE0EEEvT1_.kd
    .uniform_work_group_size: 1
    .uses_dynamic_stack: false
    .vgpr_count:     0
    .vgpr_spill_count: 0
    .wavefront_size: 32
    .workgroup_processor_mode: 1
  - .args:
      - .offset:         0
        .size:           128
        .value_kind:     by_value
    .group_segment_fixed_size: 0
    .kernarg_segment_align: 16
    .kernarg_segment_size: 128
    .language:       OpenCL C
    .language_version:
      - 2
      - 0
    .max_flat_workgroup_size: 128
    .name:           _ZN7rocprim17ROCPRIM_400000_NS6detail17trampoline_kernelINS0_14default_configENS1_20scan_config_selectorIN3c107complexIdEEEEZZNS1_9scan_implILNS1_25lookback_scan_determinismE0ELb0ELb0ES3_PKS7_PS7_S7_ZZZN2at6native31launch_logcumsumexp_cuda_kernelERKNSE_10TensorBaseESI_lENKUlvE_clEvENKUlvE1_clEvEUlS7_S7_E_S7_EEDaPvRmT3_T4_T5_mT6_P12ihipStream_tbENKUlT_T0_E_clISt17integral_constantIbLb1EESY_IbLb0EEEEDaSU_SV_EUlSU_E_NS1_11comp_targetILNS1_3genE3ELNS1_11target_archE908ELNS1_3gpuE7ELNS1_3repE0EEENS1_30default_config_static_selectorELNS0_4arch9wavefront6targetE0EEEvT1_
    .private_segment_fixed_size: 0
    .sgpr_count:     0
    .sgpr_spill_count: 0
    .symbol:         _ZN7rocprim17ROCPRIM_400000_NS6detail17trampoline_kernelINS0_14default_configENS1_20scan_config_selectorIN3c107complexIdEEEEZZNS1_9scan_implILNS1_25lookback_scan_determinismE0ELb0ELb0ES3_PKS7_PS7_S7_ZZZN2at6native31launch_logcumsumexp_cuda_kernelERKNSE_10TensorBaseESI_lENKUlvE_clEvENKUlvE1_clEvEUlS7_S7_E_S7_EEDaPvRmT3_T4_T5_mT6_P12ihipStream_tbENKUlT_T0_E_clISt17integral_constantIbLb1EESY_IbLb0EEEEDaSU_SV_EUlSU_E_NS1_11comp_targetILNS1_3genE3ELNS1_11target_archE908ELNS1_3gpuE7ELNS1_3repE0EEENS1_30default_config_static_selectorELNS0_4arch9wavefront6targetE0EEEvT1_.kd
    .uniform_work_group_size: 1
    .uses_dynamic_stack: false
    .vgpr_count:     0
    .vgpr_spill_count: 0
    .wavefront_size: 32
    .workgroup_processor_mode: 1
  - .args:
      - .offset:         0
        .size:           128
        .value_kind:     by_value
    .group_segment_fixed_size: 0
    .kernarg_segment_align: 16
    .kernarg_segment_size: 128
    .language:       OpenCL C
    .language_version:
      - 2
      - 0
    .max_flat_workgroup_size: 64
    .name:           _ZN7rocprim17ROCPRIM_400000_NS6detail17trampoline_kernelINS0_14default_configENS1_20scan_config_selectorIN3c107complexIdEEEEZZNS1_9scan_implILNS1_25lookback_scan_determinismE0ELb0ELb0ES3_PKS7_PS7_S7_ZZZN2at6native31launch_logcumsumexp_cuda_kernelERKNSE_10TensorBaseESI_lENKUlvE_clEvENKUlvE1_clEvEUlS7_S7_E_S7_EEDaPvRmT3_T4_T5_mT6_P12ihipStream_tbENKUlT_T0_E_clISt17integral_constantIbLb1EESY_IbLb0EEEEDaSU_SV_EUlSU_E_NS1_11comp_targetILNS1_3genE2ELNS1_11target_archE906ELNS1_3gpuE6ELNS1_3repE0EEENS1_30default_config_static_selectorELNS0_4arch9wavefront6targetE0EEEvT1_
    .private_segment_fixed_size: 0
    .sgpr_count:     0
    .sgpr_spill_count: 0
    .symbol:         _ZN7rocprim17ROCPRIM_400000_NS6detail17trampoline_kernelINS0_14default_configENS1_20scan_config_selectorIN3c107complexIdEEEEZZNS1_9scan_implILNS1_25lookback_scan_determinismE0ELb0ELb0ES3_PKS7_PS7_S7_ZZZN2at6native31launch_logcumsumexp_cuda_kernelERKNSE_10TensorBaseESI_lENKUlvE_clEvENKUlvE1_clEvEUlS7_S7_E_S7_EEDaPvRmT3_T4_T5_mT6_P12ihipStream_tbENKUlT_T0_E_clISt17integral_constantIbLb1EESY_IbLb0EEEEDaSU_SV_EUlSU_E_NS1_11comp_targetILNS1_3genE2ELNS1_11target_archE906ELNS1_3gpuE6ELNS1_3repE0EEENS1_30default_config_static_selectorELNS0_4arch9wavefront6targetE0EEEvT1_.kd
    .uniform_work_group_size: 1
    .uses_dynamic_stack: false
    .vgpr_count:     0
    .vgpr_spill_count: 0
    .wavefront_size: 32
    .workgroup_processor_mode: 1
  - .args:
      - .offset:         0
        .size:           128
        .value_kind:     by_value
    .group_segment_fixed_size: 0
    .kernarg_segment_align: 16
    .kernarg_segment_size: 128
    .language:       OpenCL C
    .language_version:
      - 2
      - 0
    .max_flat_workgroup_size: 256
    .name:           _ZN7rocprim17ROCPRIM_400000_NS6detail17trampoline_kernelINS0_14default_configENS1_20scan_config_selectorIN3c107complexIdEEEEZZNS1_9scan_implILNS1_25lookback_scan_determinismE0ELb0ELb0ES3_PKS7_PS7_S7_ZZZN2at6native31launch_logcumsumexp_cuda_kernelERKNSE_10TensorBaseESI_lENKUlvE_clEvENKUlvE1_clEvEUlS7_S7_E_S7_EEDaPvRmT3_T4_T5_mT6_P12ihipStream_tbENKUlT_T0_E_clISt17integral_constantIbLb1EESY_IbLb0EEEEDaSU_SV_EUlSU_E_NS1_11comp_targetILNS1_3genE10ELNS1_11target_archE1201ELNS1_3gpuE5ELNS1_3repE0EEENS1_30default_config_static_selectorELNS0_4arch9wavefront6targetE0EEEvT1_
    .private_segment_fixed_size: 0
    .sgpr_count:     0
    .sgpr_spill_count: 0
    .symbol:         _ZN7rocprim17ROCPRIM_400000_NS6detail17trampoline_kernelINS0_14default_configENS1_20scan_config_selectorIN3c107complexIdEEEEZZNS1_9scan_implILNS1_25lookback_scan_determinismE0ELb0ELb0ES3_PKS7_PS7_S7_ZZZN2at6native31launch_logcumsumexp_cuda_kernelERKNSE_10TensorBaseESI_lENKUlvE_clEvENKUlvE1_clEvEUlS7_S7_E_S7_EEDaPvRmT3_T4_T5_mT6_P12ihipStream_tbENKUlT_T0_E_clISt17integral_constantIbLb1EESY_IbLb0EEEEDaSU_SV_EUlSU_E_NS1_11comp_targetILNS1_3genE10ELNS1_11target_archE1201ELNS1_3gpuE5ELNS1_3repE0EEENS1_30default_config_static_selectorELNS0_4arch9wavefront6targetE0EEEvT1_.kd
    .uniform_work_group_size: 1
    .uses_dynamic_stack: false
    .vgpr_count:     0
    .vgpr_spill_count: 0
    .wavefront_size: 32
    .workgroup_processor_mode: 1
  - .args:
      - .offset:         0
        .size:           128
        .value_kind:     by_value
    .group_segment_fixed_size: 0
    .kernarg_segment_align: 16
    .kernarg_segment_size: 128
    .language:       OpenCL C
    .language_version:
      - 2
      - 0
    .max_flat_workgroup_size: 256
    .name:           _ZN7rocprim17ROCPRIM_400000_NS6detail17trampoline_kernelINS0_14default_configENS1_20scan_config_selectorIN3c107complexIdEEEEZZNS1_9scan_implILNS1_25lookback_scan_determinismE0ELb0ELb0ES3_PKS7_PS7_S7_ZZZN2at6native31launch_logcumsumexp_cuda_kernelERKNSE_10TensorBaseESI_lENKUlvE_clEvENKUlvE1_clEvEUlS7_S7_E_S7_EEDaPvRmT3_T4_T5_mT6_P12ihipStream_tbENKUlT_T0_E_clISt17integral_constantIbLb1EESY_IbLb0EEEEDaSU_SV_EUlSU_E_NS1_11comp_targetILNS1_3genE10ELNS1_11target_archE1200ELNS1_3gpuE4ELNS1_3repE0EEENS1_30default_config_static_selectorELNS0_4arch9wavefront6targetE0EEEvT1_
    .private_segment_fixed_size: 0
    .sgpr_count:     0
    .sgpr_spill_count: 0
    .symbol:         _ZN7rocprim17ROCPRIM_400000_NS6detail17trampoline_kernelINS0_14default_configENS1_20scan_config_selectorIN3c107complexIdEEEEZZNS1_9scan_implILNS1_25lookback_scan_determinismE0ELb0ELb0ES3_PKS7_PS7_S7_ZZZN2at6native31launch_logcumsumexp_cuda_kernelERKNSE_10TensorBaseESI_lENKUlvE_clEvENKUlvE1_clEvEUlS7_S7_E_S7_EEDaPvRmT3_T4_T5_mT6_P12ihipStream_tbENKUlT_T0_E_clISt17integral_constantIbLb1EESY_IbLb0EEEEDaSU_SV_EUlSU_E_NS1_11comp_targetILNS1_3genE10ELNS1_11target_archE1200ELNS1_3gpuE4ELNS1_3repE0EEENS1_30default_config_static_selectorELNS0_4arch9wavefront6targetE0EEEvT1_.kd
    .uniform_work_group_size: 1
    .uses_dynamic_stack: false
    .vgpr_count:     0
    .vgpr_spill_count: 0
    .wavefront_size: 32
    .workgroup_processor_mode: 1
  - .args:
      - .offset:         0
        .size:           128
        .value_kind:     by_value
    .group_segment_fixed_size: 33792
    .kernarg_segment_align: 16
    .kernarg_segment_size: 128
    .language:       OpenCL C
    .language_version:
      - 2
      - 0
    .max_flat_workgroup_size: 256
    .name:           _ZN7rocprim17ROCPRIM_400000_NS6detail17trampoline_kernelINS0_14default_configENS1_20scan_config_selectorIN3c107complexIdEEEEZZNS1_9scan_implILNS1_25lookback_scan_determinismE0ELb0ELb0ES3_PKS7_PS7_S7_ZZZN2at6native31launch_logcumsumexp_cuda_kernelERKNSE_10TensorBaseESI_lENKUlvE_clEvENKUlvE1_clEvEUlS7_S7_E_S7_EEDaPvRmT3_T4_T5_mT6_P12ihipStream_tbENKUlT_T0_E_clISt17integral_constantIbLb1EESY_IbLb0EEEEDaSU_SV_EUlSU_E_NS1_11comp_targetILNS1_3genE9ELNS1_11target_archE1100ELNS1_3gpuE3ELNS1_3repE0EEENS1_30default_config_static_selectorELNS0_4arch9wavefront6targetE0EEEvT1_
    .private_segment_fixed_size: 0
    .sgpr_count:     50
    .sgpr_spill_count: 0
    .symbol:         _ZN7rocprim17ROCPRIM_400000_NS6detail17trampoline_kernelINS0_14default_configENS1_20scan_config_selectorIN3c107complexIdEEEEZZNS1_9scan_implILNS1_25lookback_scan_determinismE0ELb0ELb0ES3_PKS7_PS7_S7_ZZZN2at6native31launch_logcumsumexp_cuda_kernelERKNSE_10TensorBaseESI_lENKUlvE_clEvENKUlvE1_clEvEUlS7_S7_E_S7_EEDaPvRmT3_T4_T5_mT6_P12ihipStream_tbENKUlT_T0_E_clISt17integral_constantIbLb1EESY_IbLb0EEEEDaSU_SV_EUlSU_E_NS1_11comp_targetILNS1_3genE9ELNS1_11target_archE1100ELNS1_3gpuE3ELNS1_3repE0EEENS1_30default_config_static_selectorELNS0_4arch9wavefront6targetE0EEEvT1_.kd
    .uniform_work_group_size: 1
    .uses_dynamic_stack: false
    .vgpr_count:     168
    .vgpr_spill_count: 0
    .wavefront_size: 32
    .workgroup_processor_mode: 1
  - .args:
      - .offset:         0
        .size:           128
        .value_kind:     by_value
    .group_segment_fixed_size: 0
    .kernarg_segment_align: 16
    .kernarg_segment_size: 128
    .language:       OpenCL C
    .language_version:
      - 2
      - 0
    .max_flat_workgroup_size: 256
    .name:           _ZN7rocprim17ROCPRIM_400000_NS6detail17trampoline_kernelINS0_14default_configENS1_20scan_config_selectorIN3c107complexIdEEEEZZNS1_9scan_implILNS1_25lookback_scan_determinismE0ELb0ELb0ES3_PKS7_PS7_S7_ZZZN2at6native31launch_logcumsumexp_cuda_kernelERKNSE_10TensorBaseESI_lENKUlvE_clEvENKUlvE1_clEvEUlS7_S7_E_S7_EEDaPvRmT3_T4_T5_mT6_P12ihipStream_tbENKUlT_T0_E_clISt17integral_constantIbLb1EESY_IbLb0EEEEDaSU_SV_EUlSU_E_NS1_11comp_targetILNS1_3genE8ELNS1_11target_archE1030ELNS1_3gpuE2ELNS1_3repE0EEENS1_30default_config_static_selectorELNS0_4arch9wavefront6targetE0EEEvT1_
    .private_segment_fixed_size: 0
    .sgpr_count:     0
    .sgpr_spill_count: 0
    .symbol:         _ZN7rocprim17ROCPRIM_400000_NS6detail17trampoline_kernelINS0_14default_configENS1_20scan_config_selectorIN3c107complexIdEEEEZZNS1_9scan_implILNS1_25lookback_scan_determinismE0ELb0ELb0ES3_PKS7_PS7_S7_ZZZN2at6native31launch_logcumsumexp_cuda_kernelERKNSE_10TensorBaseESI_lENKUlvE_clEvENKUlvE1_clEvEUlS7_S7_E_S7_EEDaPvRmT3_T4_T5_mT6_P12ihipStream_tbENKUlT_T0_E_clISt17integral_constantIbLb1EESY_IbLb0EEEEDaSU_SV_EUlSU_E_NS1_11comp_targetILNS1_3genE8ELNS1_11target_archE1030ELNS1_3gpuE2ELNS1_3repE0EEENS1_30default_config_static_selectorELNS0_4arch9wavefront6targetE0EEEvT1_.kd
    .uniform_work_group_size: 1
    .uses_dynamic_stack: false
    .vgpr_count:     0
    .vgpr_spill_count: 0
    .wavefront_size: 32
    .workgroup_processor_mode: 1
  - .args:
      - .offset:         0
        .size:           48
        .value_kind:     by_value
    .group_segment_fixed_size: 0
    .kernarg_segment_align: 16
    .kernarg_segment_size: 48
    .language:       OpenCL C
    .language_version:
      - 2
      - 0
    .max_flat_workgroup_size: 128
    .name:           _ZN7rocprim17ROCPRIM_400000_NS6detail17trampoline_kernelINS0_14default_configENS1_20scan_config_selectorIN3c107complexIdEEEEZZNS1_9scan_implILNS1_25lookback_scan_determinismE0ELb0ELb0ES3_PKS7_PS7_S7_ZZZN2at6native31launch_logcumsumexp_cuda_kernelERKNSE_10TensorBaseESI_lENKUlvE_clEvENKUlvE1_clEvEUlS7_S7_E_S7_EEDaPvRmT3_T4_T5_mT6_P12ihipStream_tbENKUlT_T0_E_clISt17integral_constantIbLb1EESY_IbLb0EEEEDaSU_SV_EUlSU_E0_NS1_11comp_targetILNS1_3genE0ELNS1_11target_archE4294967295ELNS1_3gpuE0ELNS1_3repE0EEENS1_30default_config_static_selectorELNS0_4arch9wavefront6targetE0EEEvT1_
    .private_segment_fixed_size: 0
    .sgpr_count:     0
    .sgpr_spill_count: 0
    .symbol:         _ZN7rocprim17ROCPRIM_400000_NS6detail17trampoline_kernelINS0_14default_configENS1_20scan_config_selectorIN3c107complexIdEEEEZZNS1_9scan_implILNS1_25lookback_scan_determinismE0ELb0ELb0ES3_PKS7_PS7_S7_ZZZN2at6native31launch_logcumsumexp_cuda_kernelERKNSE_10TensorBaseESI_lENKUlvE_clEvENKUlvE1_clEvEUlS7_S7_E_S7_EEDaPvRmT3_T4_T5_mT6_P12ihipStream_tbENKUlT_T0_E_clISt17integral_constantIbLb1EESY_IbLb0EEEEDaSU_SV_EUlSU_E0_NS1_11comp_targetILNS1_3genE0ELNS1_11target_archE4294967295ELNS1_3gpuE0ELNS1_3repE0EEENS1_30default_config_static_selectorELNS0_4arch9wavefront6targetE0EEEvT1_.kd
    .uniform_work_group_size: 1
    .uses_dynamic_stack: false
    .vgpr_count:     0
    .vgpr_spill_count: 0
    .wavefront_size: 32
    .workgroup_processor_mode: 1
  - .args:
      - .offset:         0
        .size:           48
        .value_kind:     by_value
    .group_segment_fixed_size: 0
    .kernarg_segment_align: 16
    .kernarg_segment_size: 48
    .language:       OpenCL C
    .language_version:
      - 2
      - 0
    .max_flat_workgroup_size: 256
    .name:           _ZN7rocprim17ROCPRIM_400000_NS6detail17trampoline_kernelINS0_14default_configENS1_20scan_config_selectorIN3c107complexIdEEEEZZNS1_9scan_implILNS1_25lookback_scan_determinismE0ELb0ELb0ES3_PKS7_PS7_S7_ZZZN2at6native31launch_logcumsumexp_cuda_kernelERKNSE_10TensorBaseESI_lENKUlvE_clEvENKUlvE1_clEvEUlS7_S7_E_S7_EEDaPvRmT3_T4_T5_mT6_P12ihipStream_tbENKUlT_T0_E_clISt17integral_constantIbLb1EESY_IbLb0EEEEDaSU_SV_EUlSU_E0_NS1_11comp_targetILNS1_3genE5ELNS1_11target_archE942ELNS1_3gpuE9ELNS1_3repE0EEENS1_30default_config_static_selectorELNS0_4arch9wavefront6targetE0EEEvT1_
    .private_segment_fixed_size: 0
    .sgpr_count:     0
    .sgpr_spill_count: 0
    .symbol:         _ZN7rocprim17ROCPRIM_400000_NS6detail17trampoline_kernelINS0_14default_configENS1_20scan_config_selectorIN3c107complexIdEEEEZZNS1_9scan_implILNS1_25lookback_scan_determinismE0ELb0ELb0ES3_PKS7_PS7_S7_ZZZN2at6native31launch_logcumsumexp_cuda_kernelERKNSE_10TensorBaseESI_lENKUlvE_clEvENKUlvE1_clEvEUlS7_S7_E_S7_EEDaPvRmT3_T4_T5_mT6_P12ihipStream_tbENKUlT_T0_E_clISt17integral_constantIbLb1EESY_IbLb0EEEEDaSU_SV_EUlSU_E0_NS1_11comp_targetILNS1_3genE5ELNS1_11target_archE942ELNS1_3gpuE9ELNS1_3repE0EEENS1_30default_config_static_selectorELNS0_4arch9wavefront6targetE0EEEvT1_.kd
    .uniform_work_group_size: 1
    .uses_dynamic_stack: false
    .vgpr_count:     0
    .vgpr_spill_count: 0
    .wavefront_size: 32
    .workgroup_processor_mode: 1
  - .args:
      - .offset:         0
        .size:           48
        .value_kind:     by_value
    .group_segment_fixed_size: 0
    .kernarg_segment_align: 16
    .kernarg_segment_size: 48
    .language:       OpenCL C
    .language_version:
      - 2
      - 0
    .max_flat_workgroup_size: 64
    .name:           _ZN7rocprim17ROCPRIM_400000_NS6detail17trampoline_kernelINS0_14default_configENS1_20scan_config_selectorIN3c107complexIdEEEEZZNS1_9scan_implILNS1_25lookback_scan_determinismE0ELb0ELb0ES3_PKS7_PS7_S7_ZZZN2at6native31launch_logcumsumexp_cuda_kernelERKNSE_10TensorBaseESI_lENKUlvE_clEvENKUlvE1_clEvEUlS7_S7_E_S7_EEDaPvRmT3_T4_T5_mT6_P12ihipStream_tbENKUlT_T0_E_clISt17integral_constantIbLb1EESY_IbLb0EEEEDaSU_SV_EUlSU_E0_NS1_11comp_targetILNS1_3genE4ELNS1_11target_archE910ELNS1_3gpuE8ELNS1_3repE0EEENS1_30default_config_static_selectorELNS0_4arch9wavefront6targetE0EEEvT1_
    .private_segment_fixed_size: 0
    .sgpr_count:     0
    .sgpr_spill_count: 0
    .symbol:         _ZN7rocprim17ROCPRIM_400000_NS6detail17trampoline_kernelINS0_14default_configENS1_20scan_config_selectorIN3c107complexIdEEEEZZNS1_9scan_implILNS1_25lookback_scan_determinismE0ELb0ELb0ES3_PKS7_PS7_S7_ZZZN2at6native31launch_logcumsumexp_cuda_kernelERKNSE_10TensorBaseESI_lENKUlvE_clEvENKUlvE1_clEvEUlS7_S7_E_S7_EEDaPvRmT3_T4_T5_mT6_P12ihipStream_tbENKUlT_T0_E_clISt17integral_constantIbLb1EESY_IbLb0EEEEDaSU_SV_EUlSU_E0_NS1_11comp_targetILNS1_3genE4ELNS1_11target_archE910ELNS1_3gpuE8ELNS1_3repE0EEENS1_30default_config_static_selectorELNS0_4arch9wavefront6targetE0EEEvT1_.kd
    .uniform_work_group_size: 1
    .uses_dynamic_stack: false
    .vgpr_count:     0
    .vgpr_spill_count: 0
    .wavefront_size: 32
    .workgroup_processor_mode: 1
  - .args:
      - .offset:         0
        .size:           48
        .value_kind:     by_value
    .group_segment_fixed_size: 0
    .kernarg_segment_align: 16
    .kernarg_segment_size: 48
    .language:       OpenCL C
    .language_version:
      - 2
      - 0
    .max_flat_workgroup_size: 128
    .name:           _ZN7rocprim17ROCPRIM_400000_NS6detail17trampoline_kernelINS0_14default_configENS1_20scan_config_selectorIN3c107complexIdEEEEZZNS1_9scan_implILNS1_25lookback_scan_determinismE0ELb0ELb0ES3_PKS7_PS7_S7_ZZZN2at6native31launch_logcumsumexp_cuda_kernelERKNSE_10TensorBaseESI_lENKUlvE_clEvENKUlvE1_clEvEUlS7_S7_E_S7_EEDaPvRmT3_T4_T5_mT6_P12ihipStream_tbENKUlT_T0_E_clISt17integral_constantIbLb1EESY_IbLb0EEEEDaSU_SV_EUlSU_E0_NS1_11comp_targetILNS1_3genE3ELNS1_11target_archE908ELNS1_3gpuE7ELNS1_3repE0EEENS1_30default_config_static_selectorELNS0_4arch9wavefront6targetE0EEEvT1_
    .private_segment_fixed_size: 0
    .sgpr_count:     0
    .sgpr_spill_count: 0
    .symbol:         _ZN7rocprim17ROCPRIM_400000_NS6detail17trampoline_kernelINS0_14default_configENS1_20scan_config_selectorIN3c107complexIdEEEEZZNS1_9scan_implILNS1_25lookback_scan_determinismE0ELb0ELb0ES3_PKS7_PS7_S7_ZZZN2at6native31launch_logcumsumexp_cuda_kernelERKNSE_10TensorBaseESI_lENKUlvE_clEvENKUlvE1_clEvEUlS7_S7_E_S7_EEDaPvRmT3_T4_T5_mT6_P12ihipStream_tbENKUlT_T0_E_clISt17integral_constantIbLb1EESY_IbLb0EEEEDaSU_SV_EUlSU_E0_NS1_11comp_targetILNS1_3genE3ELNS1_11target_archE908ELNS1_3gpuE7ELNS1_3repE0EEENS1_30default_config_static_selectorELNS0_4arch9wavefront6targetE0EEEvT1_.kd
    .uniform_work_group_size: 1
    .uses_dynamic_stack: false
    .vgpr_count:     0
    .vgpr_spill_count: 0
    .wavefront_size: 32
    .workgroup_processor_mode: 1
  - .args:
      - .offset:         0
        .size:           48
        .value_kind:     by_value
    .group_segment_fixed_size: 0
    .kernarg_segment_align: 16
    .kernarg_segment_size: 48
    .language:       OpenCL C
    .language_version:
      - 2
      - 0
    .max_flat_workgroup_size: 64
    .name:           _ZN7rocprim17ROCPRIM_400000_NS6detail17trampoline_kernelINS0_14default_configENS1_20scan_config_selectorIN3c107complexIdEEEEZZNS1_9scan_implILNS1_25lookback_scan_determinismE0ELb0ELb0ES3_PKS7_PS7_S7_ZZZN2at6native31launch_logcumsumexp_cuda_kernelERKNSE_10TensorBaseESI_lENKUlvE_clEvENKUlvE1_clEvEUlS7_S7_E_S7_EEDaPvRmT3_T4_T5_mT6_P12ihipStream_tbENKUlT_T0_E_clISt17integral_constantIbLb1EESY_IbLb0EEEEDaSU_SV_EUlSU_E0_NS1_11comp_targetILNS1_3genE2ELNS1_11target_archE906ELNS1_3gpuE6ELNS1_3repE0EEENS1_30default_config_static_selectorELNS0_4arch9wavefront6targetE0EEEvT1_
    .private_segment_fixed_size: 0
    .sgpr_count:     0
    .sgpr_spill_count: 0
    .symbol:         _ZN7rocprim17ROCPRIM_400000_NS6detail17trampoline_kernelINS0_14default_configENS1_20scan_config_selectorIN3c107complexIdEEEEZZNS1_9scan_implILNS1_25lookback_scan_determinismE0ELb0ELb0ES3_PKS7_PS7_S7_ZZZN2at6native31launch_logcumsumexp_cuda_kernelERKNSE_10TensorBaseESI_lENKUlvE_clEvENKUlvE1_clEvEUlS7_S7_E_S7_EEDaPvRmT3_T4_T5_mT6_P12ihipStream_tbENKUlT_T0_E_clISt17integral_constantIbLb1EESY_IbLb0EEEEDaSU_SV_EUlSU_E0_NS1_11comp_targetILNS1_3genE2ELNS1_11target_archE906ELNS1_3gpuE6ELNS1_3repE0EEENS1_30default_config_static_selectorELNS0_4arch9wavefront6targetE0EEEvT1_.kd
    .uniform_work_group_size: 1
    .uses_dynamic_stack: false
    .vgpr_count:     0
    .vgpr_spill_count: 0
    .wavefront_size: 32
    .workgroup_processor_mode: 1
  - .args:
      - .offset:         0
        .size:           48
        .value_kind:     by_value
    .group_segment_fixed_size: 0
    .kernarg_segment_align: 16
    .kernarg_segment_size: 48
    .language:       OpenCL C
    .language_version:
      - 2
      - 0
    .max_flat_workgroup_size: 256
    .name:           _ZN7rocprim17ROCPRIM_400000_NS6detail17trampoline_kernelINS0_14default_configENS1_20scan_config_selectorIN3c107complexIdEEEEZZNS1_9scan_implILNS1_25lookback_scan_determinismE0ELb0ELb0ES3_PKS7_PS7_S7_ZZZN2at6native31launch_logcumsumexp_cuda_kernelERKNSE_10TensorBaseESI_lENKUlvE_clEvENKUlvE1_clEvEUlS7_S7_E_S7_EEDaPvRmT3_T4_T5_mT6_P12ihipStream_tbENKUlT_T0_E_clISt17integral_constantIbLb1EESY_IbLb0EEEEDaSU_SV_EUlSU_E0_NS1_11comp_targetILNS1_3genE10ELNS1_11target_archE1201ELNS1_3gpuE5ELNS1_3repE0EEENS1_30default_config_static_selectorELNS0_4arch9wavefront6targetE0EEEvT1_
    .private_segment_fixed_size: 0
    .sgpr_count:     0
    .sgpr_spill_count: 0
    .symbol:         _ZN7rocprim17ROCPRIM_400000_NS6detail17trampoline_kernelINS0_14default_configENS1_20scan_config_selectorIN3c107complexIdEEEEZZNS1_9scan_implILNS1_25lookback_scan_determinismE0ELb0ELb0ES3_PKS7_PS7_S7_ZZZN2at6native31launch_logcumsumexp_cuda_kernelERKNSE_10TensorBaseESI_lENKUlvE_clEvENKUlvE1_clEvEUlS7_S7_E_S7_EEDaPvRmT3_T4_T5_mT6_P12ihipStream_tbENKUlT_T0_E_clISt17integral_constantIbLb1EESY_IbLb0EEEEDaSU_SV_EUlSU_E0_NS1_11comp_targetILNS1_3genE10ELNS1_11target_archE1201ELNS1_3gpuE5ELNS1_3repE0EEENS1_30default_config_static_selectorELNS0_4arch9wavefront6targetE0EEEvT1_.kd
    .uniform_work_group_size: 1
    .uses_dynamic_stack: false
    .vgpr_count:     0
    .vgpr_spill_count: 0
    .wavefront_size: 32
    .workgroup_processor_mode: 1
  - .args:
      - .offset:         0
        .size:           48
        .value_kind:     by_value
    .group_segment_fixed_size: 0
    .kernarg_segment_align: 16
    .kernarg_segment_size: 48
    .language:       OpenCL C
    .language_version:
      - 2
      - 0
    .max_flat_workgroup_size: 256
    .name:           _ZN7rocprim17ROCPRIM_400000_NS6detail17trampoline_kernelINS0_14default_configENS1_20scan_config_selectorIN3c107complexIdEEEEZZNS1_9scan_implILNS1_25lookback_scan_determinismE0ELb0ELb0ES3_PKS7_PS7_S7_ZZZN2at6native31launch_logcumsumexp_cuda_kernelERKNSE_10TensorBaseESI_lENKUlvE_clEvENKUlvE1_clEvEUlS7_S7_E_S7_EEDaPvRmT3_T4_T5_mT6_P12ihipStream_tbENKUlT_T0_E_clISt17integral_constantIbLb1EESY_IbLb0EEEEDaSU_SV_EUlSU_E0_NS1_11comp_targetILNS1_3genE10ELNS1_11target_archE1200ELNS1_3gpuE4ELNS1_3repE0EEENS1_30default_config_static_selectorELNS0_4arch9wavefront6targetE0EEEvT1_
    .private_segment_fixed_size: 0
    .sgpr_count:     0
    .sgpr_spill_count: 0
    .symbol:         _ZN7rocprim17ROCPRIM_400000_NS6detail17trampoline_kernelINS0_14default_configENS1_20scan_config_selectorIN3c107complexIdEEEEZZNS1_9scan_implILNS1_25lookback_scan_determinismE0ELb0ELb0ES3_PKS7_PS7_S7_ZZZN2at6native31launch_logcumsumexp_cuda_kernelERKNSE_10TensorBaseESI_lENKUlvE_clEvENKUlvE1_clEvEUlS7_S7_E_S7_EEDaPvRmT3_T4_T5_mT6_P12ihipStream_tbENKUlT_T0_E_clISt17integral_constantIbLb1EESY_IbLb0EEEEDaSU_SV_EUlSU_E0_NS1_11comp_targetILNS1_3genE10ELNS1_11target_archE1200ELNS1_3gpuE4ELNS1_3repE0EEENS1_30default_config_static_selectorELNS0_4arch9wavefront6targetE0EEEvT1_.kd
    .uniform_work_group_size: 1
    .uses_dynamic_stack: false
    .vgpr_count:     0
    .vgpr_spill_count: 0
    .wavefront_size: 32
    .workgroup_processor_mode: 1
  - .args:
      - .offset:         0
        .size:           48
        .value_kind:     by_value
    .group_segment_fixed_size: 33792
    .kernarg_segment_align: 16
    .kernarg_segment_size: 48
    .language:       OpenCL C
    .language_version:
      - 2
      - 0
    .max_flat_workgroup_size: 256
    .name:           _ZN7rocprim17ROCPRIM_400000_NS6detail17trampoline_kernelINS0_14default_configENS1_20scan_config_selectorIN3c107complexIdEEEEZZNS1_9scan_implILNS1_25lookback_scan_determinismE0ELb0ELb0ES3_PKS7_PS7_S7_ZZZN2at6native31launch_logcumsumexp_cuda_kernelERKNSE_10TensorBaseESI_lENKUlvE_clEvENKUlvE1_clEvEUlS7_S7_E_S7_EEDaPvRmT3_T4_T5_mT6_P12ihipStream_tbENKUlT_T0_E_clISt17integral_constantIbLb1EESY_IbLb0EEEEDaSU_SV_EUlSU_E0_NS1_11comp_targetILNS1_3genE9ELNS1_11target_archE1100ELNS1_3gpuE3ELNS1_3repE0EEENS1_30default_config_static_selectorELNS0_4arch9wavefront6targetE0EEEvT1_
    .private_segment_fixed_size: 0
    .sgpr_count:     35
    .sgpr_spill_count: 0
    .symbol:         _ZN7rocprim17ROCPRIM_400000_NS6detail17trampoline_kernelINS0_14default_configENS1_20scan_config_selectorIN3c107complexIdEEEEZZNS1_9scan_implILNS1_25lookback_scan_determinismE0ELb0ELb0ES3_PKS7_PS7_S7_ZZZN2at6native31launch_logcumsumexp_cuda_kernelERKNSE_10TensorBaseESI_lENKUlvE_clEvENKUlvE1_clEvEUlS7_S7_E_S7_EEDaPvRmT3_T4_T5_mT6_P12ihipStream_tbENKUlT_T0_E_clISt17integral_constantIbLb1EESY_IbLb0EEEEDaSU_SV_EUlSU_E0_NS1_11comp_targetILNS1_3genE9ELNS1_11target_archE1100ELNS1_3gpuE3ELNS1_3repE0EEENS1_30default_config_static_selectorELNS0_4arch9wavefront6targetE0EEEvT1_.kd
    .uniform_work_group_size: 1
    .uses_dynamic_stack: false
    .vgpr_count:     169
    .vgpr_spill_count: 0
    .wavefront_size: 32
    .workgroup_processor_mode: 1
  - .args:
      - .offset:         0
        .size:           48
        .value_kind:     by_value
    .group_segment_fixed_size: 0
    .kernarg_segment_align: 16
    .kernarg_segment_size: 48
    .language:       OpenCL C
    .language_version:
      - 2
      - 0
    .max_flat_workgroup_size: 256
    .name:           _ZN7rocprim17ROCPRIM_400000_NS6detail17trampoline_kernelINS0_14default_configENS1_20scan_config_selectorIN3c107complexIdEEEEZZNS1_9scan_implILNS1_25lookback_scan_determinismE0ELb0ELb0ES3_PKS7_PS7_S7_ZZZN2at6native31launch_logcumsumexp_cuda_kernelERKNSE_10TensorBaseESI_lENKUlvE_clEvENKUlvE1_clEvEUlS7_S7_E_S7_EEDaPvRmT3_T4_T5_mT6_P12ihipStream_tbENKUlT_T0_E_clISt17integral_constantIbLb1EESY_IbLb0EEEEDaSU_SV_EUlSU_E0_NS1_11comp_targetILNS1_3genE8ELNS1_11target_archE1030ELNS1_3gpuE2ELNS1_3repE0EEENS1_30default_config_static_selectorELNS0_4arch9wavefront6targetE0EEEvT1_
    .private_segment_fixed_size: 0
    .sgpr_count:     0
    .sgpr_spill_count: 0
    .symbol:         _ZN7rocprim17ROCPRIM_400000_NS6detail17trampoline_kernelINS0_14default_configENS1_20scan_config_selectorIN3c107complexIdEEEEZZNS1_9scan_implILNS1_25lookback_scan_determinismE0ELb0ELb0ES3_PKS7_PS7_S7_ZZZN2at6native31launch_logcumsumexp_cuda_kernelERKNSE_10TensorBaseESI_lENKUlvE_clEvENKUlvE1_clEvEUlS7_S7_E_S7_EEDaPvRmT3_T4_T5_mT6_P12ihipStream_tbENKUlT_T0_E_clISt17integral_constantIbLb1EESY_IbLb0EEEEDaSU_SV_EUlSU_E0_NS1_11comp_targetILNS1_3genE8ELNS1_11target_archE1030ELNS1_3gpuE2ELNS1_3repE0EEENS1_30default_config_static_selectorELNS0_4arch9wavefront6targetE0EEEvT1_.kd
    .uniform_work_group_size: 1
    .uses_dynamic_stack: false
    .vgpr_count:     0
    .vgpr_spill_count: 0
    .wavefront_size: 32
    .workgroup_processor_mode: 1
  - .args:
      - .offset:         0
        .size:           24
        .value_kind:     by_value
      - .offset:         24
        .size:           4
        .value_kind:     by_value
      - .address_space:  global
        .offset:         32
        .size:           8
        .value_kind:     global_buffer
      - .offset:         40
        .size:           4
        .value_kind:     by_value
      - .address_space:  global
        .offset:         48
        .size:           8
        .value_kind:     global_buffer
      - .offset:         56
        .size:           4
        .value_kind:     hidden_block_count_x
      - .offset:         60
        .size:           4
        .value_kind:     hidden_block_count_y
      - .offset:         64
        .size:           4
        .value_kind:     hidden_block_count_z
      - .offset:         68
        .size:           2
        .value_kind:     hidden_group_size_x
      - .offset:         70
        .size:           2
        .value_kind:     hidden_group_size_y
      - .offset:         72
        .size:           2
        .value_kind:     hidden_group_size_z
      - .offset:         74
        .size:           2
        .value_kind:     hidden_remainder_x
      - .offset:         76
        .size:           2
        .value_kind:     hidden_remainder_y
      - .offset:         78
        .size:           2
        .value_kind:     hidden_remainder_z
      - .offset:         96
        .size:           8
        .value_kind:     hidden_global_offset_x
      - .offset:         104
        .size:           8
        .value_kind:     hidden_global_offset_y
      - .offset:         112
        .size:           8
        .value_kind:     hidden_global_offset_z
      - .offset:         120
        .size:           2
        .value_kind:     hidden_grid_dims
    .group_segment_fixed_size: 0
    .kernarg_segment_align: 8
    .kernarg_segment_size: 312
    .language:       OpenCL C
    .language_version:
      - 2
      - 0
    .max_flat_workgroup_size: 256
    .name:           _ZN7rocprim17ROCPRIM_400000_NS6detail31init_lookback_scan_state_kernelINS1_19lookback_scan_stateIN3c107complexIdEELb0ELb0EEENS1_16block_id_wrapperIjLb1EEEEEvT_jT0_jPNSA_10value_typeE
    .private_segment_fixed_size: 0
    .sgpr_count:     19
    .sgpr_spill_count: 0
    .symbol:         _ZN7rocprim17ROCPRIM_400000_NS6detail31init_lookback_scan_state_kernelINS1_19lookback_scan_stateIN3c107complexIdEELb0ELb0EEENS1_16block_id_wrapperIjLb1EEEEEvT_jT0_jPNSA_10value_typeE.kd
    .uniform_work_group_size: 1
    .uses_dynamic_stack: false
    .vgpr_count:     6
    .vgpr_spill_count: 0
    .wavefront_size: 32
    .workgroup_processor_mode: 1
  - .args:
      - .offset:         0
        .size:           128
        .value_kind:     by_value
    .group_segment_fixed_size: 0
    .kernarg_segment_align: 16
    .kernarg_segment_size: 128
    .language:       OpenCL C
    .language_version:
      - 2
      - 0
    .max_flat_workgroup_size: 128
    .name:           _ZN7rocprim17ROCPRIM_400000_NS6detail17trampoline_kernelINS0_14default_configENS1_20scan_config_selectorIN3c107complexIdEEEEZZNS1_9scan_implILNS1_25lookback_scan_determinismE0ELb0ELb0ES3_PKS7_PS7_S7_ZZZN2at6native31launch_logcumsumexp_cuda_kernelERKNSE_10TensorBaseESI_lENKUlvE_clEvENKUlvE1_clEvEUlS7_S7_E_S7_EEDaPvRmT3_T4_T5_mT6_P12ihipStream_tbENKUlT_T0_E_clISt17integral_constantIbLb0EESY_IbLb1EEEEDaSU_SV_EUlSU_E_NS1_11comp_targetILNS1_3genE0ELNS1_11target_archE4294967295ELNS1_3gpuE0ELNS1_3repE0EEENS1_30default_config_static_selectorELNS0_4arch9wavefront6targetE0EEEvT1_
    .private_segment_fixed_size: 0
    .sgpr_count:     0
    .sgpr_spill_count: 0
    .symbol:         _ZN7rocprim17ROCPRIM_400000_NS6detail17trampoline_kernelINS0_14default_configENS1_20scan_config_selectorIN3c107complexIdEEEEZZNS1_9scan_implILNS1_25lookback_scan_determinismE0ELb0ELb0ES3_PKS7_PS7_S7_ZZZN2at6native31launch_logcumsumexp_cuda_kernelERKNSE_10TensorBaseESI_lENKUlvE_clEvENKUlvE1_clEvEUlS7_S7_E_S7_EEDaPvRmT3_T4_T5_mT6_P12ihipStream_tbENKUlT_T0_E_clISt17integral_constantIbLb0EESY_IbLb1EEEEDaSU_SV_EUlSU_E_NS1_11comp_targetILNS1_3genE0ELNS1_11target_archE4294967295ELNS1_3gpuE0ELNS1_3repE0EEENS1_30default_config_static_selectorELNS0_4arch9wavefront6targetE0EEEvT1_.kd
    .uniform_work_group_size: 1
    .uses_dynamic_stack: false
    .vgpr_count:     0
    .vgpr_spill_count: 0
    .wavefront_size: 32
    .workgroup_processor_mode: 1
  - .args:
      - .offset:         0
        .size:           128
        .value_kind:     by_value
    .group_segment_fixed_size: 0
    .kernarg_segment_align: 16
    .kernarg_segment_size: 128
    .language:       OpenCL C
    .language_version:
      - 2
      - 0
    .max_flat_workgroup_size: 256
    .name:           _ZN7rocprim17ROCPRIM_400000_NS6detail17trampoline_kernelINS0_14default_configENS1_20scan_config_selectorIN3c107complexIdEEEEZZNS1_9scan_implILNS1_25lookback_scan_determinismE0ELb0ELb0ES3_PKS7_PS7_S7_ZZZN2at6native31launch_logcumsumexp_cuda_kernelERKNSE_10TensorBaseESI_lENKUlvE_clEvENKUlvE1_clEvEUlS7_S7_E_S7_EEDaPvRmT3_T4_T5_mT6_P12ihipStream_tbENKUlT_T0_E_clISt17integral_constantIbLb0EESY_IbLb1EEEEDaSU_SV_EUlSU_E_NS1_11comp_targetILNS1_3genE5ELNS1_11target_archE942ELNS1_3gpuE9ELNS1_3repE0EEENS1_30default_config_static_selectorELNS0_4arch9wavefront6targetE0EEEvT1_
    .private_segment_fixed_size: 0
    .sgpr_count:     0
    .sgpr_spill_count: 0
    .symbol:         _ZN7rocprim17ROCPRIM_400000_NS6detail17trampoline_kernelINS0_14default_configENS1_20scan_config_selectorIN3c107complexIdEEEEZZNS1_9scan_implILNS1_25lookback_scan_determinismE0ELb0ELb0ES3_PKS7_PS7_S7_ZZZN2at6native31launch_logcumsumexp_cuda_kernelERKNSE_10TensorBaseESI_lENKUlvE_clEvENKUlvE1_clEvEUlS7_S7_E_S7_EEDaPvRmT3_T4_T5_mT6_P12ihipStream_tbENKUlT_T0_E_clISt17integral_constantIbLb0EESY_IbLb1EEEEDaSU_SV_EUlSU_E_NS1_11comp_targetILNS1_3genE5ELNS1_11target_archE942ELNS1_3gpuE9ELNS1_3repE0EEENS1_30default_config_static_selectorELNS0_4arch9wavefront6targetE0EEEvT1_.kd
    .uniform_work_group_size: 1
    .uses_dynamic_stack: false
    .vgpr_count:     0
    .vgpr_spill_count: 0
    .wavefront_size: 32
    .workgroup_processor_mode: 1
  - .args:
      - .offset:         0
        .size:           128
        .value_kind:     by_value
    .group_segment_fixed_size: 0
    .kernarg_segment_align: 16
    .kernarg_segment_size: 128
    .language:       OpenCL C
    .language_version:
      - 2
      - 0
    .max_flat_workgroup_size: 64
    .name:           _ZN7rocprim17ROCPRIM_400000_NS6detail17trampoline_kernelINS0_14default_configENS1_20scan_config_selectorIN3c107complexIdEEEEZZNS1_9scan_implILNS1_25lookback_scan_determinismE0ELb0ELb0ES3_PKS7_PS7_S7_ZZZN2at6native31launch_logcumsumexp_cuda_kernelERKNSE_10TensorBaseESI_lENKUlvE_clEvENKUlvE1_clEvEUlS7_S7_E_S7_EEDaPvRmT3_T4_T5_mT6_P12ihipStream_tbENKUlT_T0_E_clISt17integral_constantIbLb0EESY_IbLb1EEEEDaSU_SV_EUlSU_E_NS1_11comp_targetILNS1_3genE4ELNS1_11target_archE910ELNS1_3gpuE8ELNS1_3repE0EEENS1_30default_config_static_selectorELNS0_4arch9wavefront6targetE0EEEvT1_
    .private_segment_fixed_size: 0
    .sgpr_count:     0
    .sgpr_spill_count: 0
    .symbol:         _ZN7rocprim17ROCPRIM_400000_NS6detail17trampoline_kernelINS0_14default_configENS1_20scan_config_selectorIN3c107complexIdEEEEZZNS1_9scan_implILNS1_25lookback_scan_determinismE0ELb0ELb0ES3_PKS7_PS7_S7_ZZZN2at6native31launch_logcumsumexp_cuda_kernelERKNSE_10TensorBaseESI_lENKUlvE_clEvENKUlvE1_clEvEUlS7_S7_E_S7_EEDaPvRmT3_T4_T5_mT6_P12ihipStream_tbENKUlT_T0_E_clISt17integral_constantIbLb0EESY_IbLb1EEEEDaSU_SV_EUlSU_E_NS1_11comp_targetILNS1_3genE4ELNS1_11target_archE910ELNS1_3gpuE8ELNS1_3repE0EEENS1_30default_config_static_selectorELNS0_4arch9wavefront6targetE0EEEvT1_.kd
    .uniform_work_group_size: 1
    .uses_dynamic_stack: false
    .vgpr_count:     0
    .vgpr_spill_count: 0
    .wavefront_size: 32
    .workgroup_processor_mode: 1
  - .args:
      - .offset:         0
        .size:           128
        .value_kind:     by_value
    .group_segment_fixed_size: 0
    .kernarg_segment_align: 16
    .kernarg_segment_size: 128
    .language:       OpenCL C
    .language_version:
      - 2
      - 0
    .max_flat_workgroup_size: 128
    .name:           _ZN7rocprim17ROCPRIM_400000_NS6detail17trampoline_kernelINS0_14default_configENS1_20scan_config_selectorIN3c107complexIdEEEEZZNS1_9scan_implILNS1_25lookback_scan_determinismE0ELb0ELb0ES3_PKS7_PS7_S7_ZZZN2at6native31launch_logcumsumexp_cuda_kernelERKNSE_10TensorBaseESI_lENKUlvE_clEvENKUlvE1_clEvEUlS7_S7_E_S7_EEDaPvRmT3_T4_T5_mT6_P12ihipStream_tbENKUlT_T0_E_clISt17integral_constantIbLb0EESY_IbLb1EEEEDaSU_SV_EUlSU_E_NS1_11comp_targetILNS1_3genE3ELNS1_11target_archE908ELNS1_3gpuE7ELNS1_3repE0EEENS1_30default_config_static_selectorELNS0_4arch9wavefront6targetE0EEEvT1_
    .private_segment_fixed_size: 0
    .sgpr_count:     0
    .sgpr_spill_count: 0
    .symbol:         _ZN7rocprim17ROCPRIM_400000_NS6detail17trampoline_kernelINS0_14default_configENS1_20scan_config_selectorIN3c107complexIdEEEEZZNS1_9scan_implILNS1_25lookback_scan_determinismE0ELb0ELb0ES3_PKS7_PS7_S7_ZZZN2at6native31launch_logcumsumexp_cuda_kernelERKNSE_10TensorBaseESI_lENKUlvE_clEvENKUlvE1_clEvEUlS7_S7_E_S7_EEDaPvRmT3_T4_T5_mT6_P12ihipStream_tbENKUlT_T0_E_clISt17integral_constantIbLb0EESY_IbLb1EEEEDaSU_SV_EUlSU_E_NS1_11comp_targetILNS1_3genE3ELNS1_11target_archE908ELNS1_3gpuE7ELNS1_3repE0EEENS1_30default_config_static_selectorELNS0_4arch9wavefront6targetE0EEEvT1_.kd
    .uniform_work_group_size: 1
    .uses_dynamic_stack: false
    .vgpr_count:     0
    .vgpr_spill_count: 0
    .wavefront_size: 32
    .workgroup_processor_mode: 1
  - .args:
      - .offset:         0
        .size:           128
        .value_kind:     by_value
    .group_segment_fixed_size: 0
    .kernarg_segment_align: 16
    .kernarg_segment_size: 128
    .language:       OpenCL C
    .language_version:
      - 2
      - 0
    .max_flat_workgroup_size: 64
    .name:           _ZN7rocprim17ROCPRIM_400000_NS6detail17trampoline_kernelINS0_14default_configENS1_20scan_config_selectorIN3c107complexIdEEEEZZNS1_9scan_implILNS1_25lookback_scan_determinismE0ELb0ELb0ES3_PKS7_PS7_S7_ZZZN2at6native31launch_logcumsumexp_cuda_kernelERKNSE_10TensorBaseESI_lENKUlvE_clEvENKUlvE1_clEvEUlS7_S7_E_S7_EEDaPvRmT3_T4_T5_mT6_P12ihipStream_tbENKUlT_T0_E_clISt17integral_constantIbLb0EESY_IbLb1EEEEDaSU_SV_EUlSU_E_NS1_11comp_targetILNS1_3genE2ELNS1_11target_archE906ELNS1_3gpuE6ELNS1_3repE0EEENS1_30default_config_static_selectorELNS0_4arch9wavefront6targetE0EEEvT1_
    .private_segment_fixed_size: 0
    .sgpr_count:     0
    .sgpr_spill_count: 0
    .symbol:         _ZN7rocprim17ROCPRIM_400000_NS6detail17trampoline_kernelINS0_14default_configENS1_20scan_config_selectorIN3c107complexIdEEEEZZNS1_9scan_implILNS1_25lookback_scan_determinismE0ELb0ELb0ES3_PKS7_PS7_S7_ZZZN2at6native31launch_logcumsumexp_cuda_kernelERKNSE_10TensorBaseESI_lENKUlvE_clEvENKUlvE1_clEvEUlS7_S7_E_S7_EEDaPvRmT3_T4_T5_mT6_P12ihipStream_tbENKUlT_T0_E_clISt17integral_constantIbLb0EESY_IbLb1EEEEDaSU_SV_EUlSU_E_NS1_11comp_targetILNS1_3genE2ELNS1_11target_archE906ELNS1_3gpuE6ELNS1_3repE0EEENS1_30default_config_static_selectorELNS0_4arch9wavefront6targetE0EEEvT1_.kd
    .uniform_work_group_size: 1
    .uses_dynamic_stack: false
    .vgpr_count:     0
    .vgpr_spill_count: 0
    .wavefront_size: 32
    .workgroup_processor_mode: 1
  - .args:
      - .offset:         0
        .size:           128
        .value_kind:     by_value
    .group_segment_fixed_size: 0
    .kernarg_segment_align: 16
    .kernarg_segment_size: 128
    .language:       OpenCL C
    .language_version:
      - 2
      - 0
    .max_flat_workgroup_size: 256
    .name:           _ZN7rocprim17ROCPRIM_400000_NS6detail17trampoline_kernelINS0_14default_configENS1_20scan_config_selectorIN3c107complexIdEEEEZZNS1_9scan_implILNS1_25lookback_scan_determinismE0ELb0ELb0ES3_PKS7_PS7_S7_ZZZN2at6native31launch_logcumsumexp_cuda_kernelERKNSE_10TensorBaseESI_lENKUlvE_clEvENKUlvE1_clEvEUlS7_S7_E_S7_EEDaPvRmT3_T4_T5_mT6_P12ihipStream_tbENKUlT_T0_E_clISt17integral_constantIbLb0EESY_IbLb1EEEEDaSU_SV_EUlSU_E_NS1_11comp_targetILNS1_3genE10ELNS1_11target_archE1201ELNS1_3gpuE5ELNS1_3repE0EEENS1_30default_config_static_selectorELNS0_4arch9wavefront6targetE0EEEvT1_
    .private_segment_fixed_size: 0
    .sgpr_count:     0
    .sgpr_spill_count: 0
    .symbol:         _ZN7rocprim17ROCPRIM_400000_NS6detail17trampoline_kernelINS0_14default_configENS1_20scan_config_selectorIN3c107complexIdEEEEZZNS1_9scan_implILNS1_25lookback_scan_determinismE0ELb0ELb0ES3_PKS7_PS7_S7_ZZZN2at6native31launch_logcumsumexp_cuda_kernelERKNSE_10TensorBaseESI_lENKUlvE_clEvENKUlvE1_clEvEUlS7_S7_E_S7_EEDaPvRmT3_T4_T5_mT6_P12ihipStream_tbENKUlT_T0_E_clISt17integral_constantIbLb0EESY_IbLb1EEEEDaSU_SV_EUlSU_E_NS1_11comp_targetILNS1_3genE10ELNS1_11target_archE1201ELNS1_3gpuE5ELNS1_3repE0EEENS1_30default_config_static_selectorELNS0_4arch9wavefront6targetE0EEEvT1_.kd
    .uniform_work_group_size: 1
    .uses_dynamic_stack: false
    .vgpr_count:     0
    .vgpr_spill_count: 0
    .wavefront_size: 32
    .workgroup_processor_mode: 1
  - .args:
      - .offset:         0
        .size:           128
        .value_kind:     by_value
    .group_segment_fixed_size: 0
    .kernarg_segment_align: 16
    .kernarg_segment_size: 128
    .language:       OpenCL C
    .language_version:
      - 2
      - 0
    .max_flat_workgroup_size: 256
    .name:           _ZN7rocprim17ROCPRIM_400000_NS6detail17trampoline_kernelINS0_14default_configENS1_20scan_config_selectorIN3c107complexIdEEEEZZNS1_9scan_implILNS1_25lookback_scan_determinismE0ELb0ELb0ES3_PKS7_PS7_S7_ZZZN2at6native31launch_logcumsumexp_cuda_kernelERKNSE_10TensorBaseESI_lENKUlvE_clEvENKUlvE1_clEvEUlS7_S7_E_S7_EEDaPvRmT3_T4_T5_mT6_P12ihipStream_tbENKUlT_T0_E_clISt17integral_constantIbLb0EESY_IbLb1EEEEDaSU_SV_EUlSU_E_NS1_11comp_targetILNS1_3genE10ELNS1_11target_archE1200ELNS1_3gpuE4ELNS1_3repE0EEENS1_30default_config_static_selectorELNS0_4arch9wavefront6targetE0EEEvT1_
    .private_segment_fixed_size: 0
    .sgpr_count:     0
    .sgpr_spill_count: 0
    .symbol:         _ZN7rocprim17ROCPRIM_400000_NS6detail17trampoline_kernelINS0_14default_configENS1_20scan_config_selectorIN3c107complexIdEEEEZZNS1_9scan_implILNS1_25lookback_scan_determinismE0ELb0ELb0ES3_PKS7_PS7_S7_ZZZN2at6native31launch_logcumsumexp_cuda_kernelERKNSE_10TensorBaseESI_lENKUlvE_clEvENKUlvE1_clEvEUlS7_S7_E_S7_EEDaPvRmT3_T4_T5_mT6_P12ihipStream_tbENKUlT_T0_E_clISt17integral_constantIbLb0EESY_IbLb1EEEEDaSU_SV_EUlSU_E_NS1_11comp_targetILNS1_3genE10ELNS1_11target_archE1200ELNS1_3gpuE4ELNS1_3repE0EEENS1_30default_config_static_selectorELNS0_4arch9wavefront6targetE0EEEvT1_.kd
    .uniform_work_group_size: 1
    .uses_dynamic_stack: false
    .vgpr_count:     0
    .vgpr_spill_count: 0
    .wavefront_size: 32
    .workgroup_processor_mode: 1
  - .args:
      - .offset:         0
        .size:           128
        .value_kind:     by_value
    .group_segment_fixed_size: 33792
    .kernarg_segment_align: 16
    .kernarg_segment_size: 128
    .language:       OpenCL C
    .language_version:
      - 2
      - 0
    .max_flat_workgroup_size: 256
    .name:           _ZN7rocprim17ROCPRIM_400000_NS6detail17trampoline_kernelINS0_14default_configENS1_20scan_config_selectorIN3c107complexIdEEEEZZNS1_9scan_implILNS1_25lookback_scan_determinismE0ELb0ELb0ES3_PKS7_PS7_S7_ZZZN2at6native31launch_logcumsumexp_cuda_kernelERKNSE_10TensorBaseESI_lENKUlvE_clEvENKUlvE1_clEvEUlS7_S7_E_S7_EEDaPvRmT3_T4_T5_mT6_P12ihipStream_tbENKUlT_T0_E_clISt17integral_constantIbLb0EESY_IbLb1EEEEDaSU_SV_EUlSU_E_NS1_11comp_targetILNS1_3genE9ELNS1_11target_archE1100ELNS1_3gpuE3ELNS1_3repE0EEENS1_30default_config_static_selectorELNS0_4arch9wavefront6targetE0EEEvT1_
    .private_segment_fixed_size: 0
    .sgpr_count:     51
    .sgpr_spill_count: 0
    .symbol:         _ZN7rocprim17ROCPRIM_400000_NS6detail17trampoline_kernelINS0_14default_configENS1_20scan_config_selectorIN3c107complexIdEEEEZZNS1_9scan_implILNS1_25lookback_scan_determinismE0ELb0ELb0ES3_PKS7_PS7_S7_ZZZN2at6native31launch_logcumsumexp_cuda_kernelERKNSE_10TensorBaseESI_lENKUlvE_clEvENKUlvE1_clEvEUlS7_S7_E_S7_EEDaPvRmT3_T4_T5_mT6_P12ihipStream_tbENKUlT_T0_E_clISt17integral_constantIbLb0EESY_IbLb1EEEEDaSU_SV_EUlSU_E_NS1_11comp_targetILNS1_3genE9ELNS1_11target_archE1100ELNS1_3gpuE3ELNS1_3repE0EEENS1_30default_config_static_selectorELNS0_4arch9wavefront6targetE0EEEvT1_.kd
    .uniform_work_group_size: 1
    .uses_dynamic_stack: false
    .vgpr_count:     168
    .vgpr_spill_count: 0
    .wavefront_size: 32
    .workgroup_processor_mode: 1
  - .args:
      - .offset:         0
        .size:           128
        .value_kind:     by_value
    .group_segment_fixed_size: 0
    .kernarg_segment_align: 16
    .kernarg_segment_size: 128
    .language:       OpenCL C
    .language_version:
      - 2
      - 0
    .max_flat_workgroup_size: 256
    .name:           _ZN7rocprim17ROCPRIM_400000_NS6detail17trampoline_kernelINS0_14default_configENS1_20scan_config_selectorIN3c107complexIdEEEEZZNS1_9scan_implILNS1_25lookback_scan_determinismE0ELb0ELb0ES3_PKS7_PS7_S7_ZZZN2at6native31launch_logcumsumexp_cuda_kernelERKNSE_10TensorBaseESI_lENKUlvE_clEvENKUlvE1_clEvEUlS7_S7_E_S7_EEDaPvRmT3_T4_T5_mT6_P12ihipStream_tbENKUlT_T0_E_clISt17integral_constantIbLb0EESY_IbLb1EEEEDaSU_SV_EUlSU_E_NS1_11comp_targetILNS1_3genE8ELNS1_11target_archE1030ELNS1_3gpuE2ELNS1_3repE0EEENS1_30default_config_static_selectorELNS0_4arch9wavefront6targetE0EEEvT1_
    .private_segment_fixed_size: 0
    .sgpr_count:     0
    .sgpr_spill_count: 0
    .symbol:         _ZN7rocprim17ROCPRIM_400000_NS6detail17trampoline_kernelINS0_14default_configENS1_20scan_config_selectorIN3c107complexIdEEEEZZNS1_9scan_implILNS1_25lookback_scan_determinismE0ELb0ELb0ES3_PKS7_PS7_S7_ZZZN2at6native31launch_logcumsumexp_cuda_kernelERKNSE_10TensorBaseESI_lENKUlvE_clEvENKUlvE1_clEvEUlS7_S7_E_S7_EEDaPvRmT3_T4_T5_mT6_P12ihipStream_tbENKUlT_T0_E_clISt17integral_constantIbLb0EESY_IbLb1EEEEDaSU_SV_EUlSU_E_NS1_11comp_targetILNS1_3genE8ELNS1_11target_archE1030ELNS1_3gpuE2ELNS1_3repE0EEENS1_30default_config_static_selectorELNS0_4arch9wavefront6targetE0EEEvT1_.kd
    .uniform_work_group_size: 1
    .uses_dynamic_stack: false
    .vgpr_count:     0
    .vgpr_spill_count: 0
    .wavefront_size: 32
    .workgroup_processor_mode: 1
  - .args:
      - .offset:         0
        .size:           48
        .value_kind:     by_value
    .group_segment_fixed_size: 0
    .kernarg_segment_align: 16
    .kernarg_segment_size: 48
    .language:       OpenCL C
    .language_version:
      - 2
      - 0
    .max_flat_workgroup_size: 128
    .name:           _ZN7rocprim17ROCPRIM_400000_NS6detail17trampoline_kernelINS0_14default_configENS1_20scan_config_selectorIN3c107complexIdEEEEZZNS1_9scan_implILNS1_25lookback_scan_determinismE0ELb0ELb0ES3_PKS7_PS7_S7_ZZZN2at6native31launch_logcumsumexp_cuda_kernelERKNSE_10TensorBaseESI_lENKUlvE_clEvENKUlvE1_clEvEUlS7_S7_E_S7_EEDaPvRmT3_T4_T5_mT6_P12ihipStream_tbENKUlT_T0_E_clISt17integral_constantIbLb0EESY_IbLb1EEEEDaSU_SV_EUlSU_E0_NS1_11comp_targetILNS1_3genE0ELNS1_11target_archE4294967295ELNS1_3gpuE0ELNS1_3repE0EEENS1_30default_config_static_selectorELNS0_4arch9wavefront6targetE0EEEvT1_
    .private_segment_fixed_size: 0
    .sgpr_count:     0
    .sgpr_spill_count: 0
    .symbol:         _ZN7rocprim17ROCPRIM_400000_NS6detail17trampoline_kernelINS0_14default_configENS1_20scan_config_selectorIN3c107complexIdEEEEZZNS1_9scan_implILNS1_25lookback_scan_determinismE0ELb0ELb0ES3_PKS7_PS7_S7_ZZZN2at6native31launch_logcumsumexp_cuda_kernelERKNSE_10TensorBaseESI_lENKUlvE_clEvENKUlvE1_clEvEUlS7_S7_E_S7_EEDaPvRmT3_T4_T5_mT6_P12ihipStream_tbENKUlT_T0_E_clISt17integral_constantIbLb0EESY_IbLb1EEEEDaSU_SV_EUlSU_E0_NS1_11comp_targetILNS1_3genE0ELNS1_11target_archE4294967295ELNS1_3gpuE0ELNS1_3repE0EEENS1_30default_config_static_selectorELNS0_4arch9wavefront6targetE0EEEvT1_.kd
    .uniform_work_group_size: 1
    .uses_dynamic_stack: false
    .vgpr_count:     0
    .vgpr_spill_count: 0
    .wavefront_size: 32
    .workgroup_processor_mode: 1
  - .args:
      - .offset:         0
        .size:           48
        .value_kind:     by_value
    .group_segment_fixed_size: 0
    .kernarg_segment_align: 16
    .kernarg_segment_size: 48
    .language:       OpenCL C
    .language_version:
      - 2
      - 0
    .max_flat_workgroup_size: 256
    .name:           _ZN7rocprim17ROCPRIM_400000_NS6detail17trampoline_kernelINS0_14default_configENS1_20scan_config_selectorIN3c107complexIdEEEEZZNS1_9scan_implILNS1_25lookback_scan_determinismE0ELb0ELb0ES3_PKS7_PS7_S7_ZZZN2at6native31launch_logcumsumexp_cuda_kernelERKNSE_10TensorBaseESI_lENKUlvE_clEvENKUlvE1_clEvEUlS7_S7_E_S7_EEDaPvRmT3_T4_T5_mT6_P12ihipStream_tbENKUlT_T0_E_clISt17integral_constantIbLb0EESY_IbLb1EEEEDaSU_SV_EUlSU_E0_NS1_11comp_targetILNS1_3genE5ELNS1_11target_archE942ELNS1_3gpuE9ELNS1_3repE0EEENS1_30default_config_static_selectorELNS0_4arch9wavefront6targetE0EEEvT1_
    .private_segment_fixed_size: 0
    .sgpr_count:     0
    .sgpr_spill_count: 0
    .symbol:         _ZN7rocprim17ROCPRIM_400000_NS6detail17trampoline_kernelINS0_14default_configENS1_20scan_config_selectorIN3c107complexIdEEEEZZNS1_9scan_implILNS1_25lookback_scan_determinismE0ELb0ELb0ES3_PKS7_PS7_S7_ZZZN2at6native31launch_logcumsumexp_cuda_kernelERKNSE_10TensorBaseESI_lENKUlvE_clEvENKUlvE1_clEvEUlS7_S7_E_S7_EEDaPvRmT3_T4_T5_mT6_P12ihipStream_tbENKUlT_T0_E_clISt17integral_constantIbLb0EESY_IbLb1EEEEDaSU_SV_EUlSU_E0_NS1_11comp_targetILNS1_3genE5ELNS1_11target_archE942ELNS1_3gpuE9ELNS1_3repE0EEENS1_30default_config_static_selectorELNS0_4arch9wavefront6targetE0EEEvT1_.kd
    .uniform_work_group_size: 1
    .uses_dynamic_stack: false
    .vgpr_count:     0
    .vgpr_spill_count: 0
    .wavefront_size: 32
    .workgroup_processor_mode: 1
  - .args:
      - .offset:         0
        .size:           48
        .value_kind:     by_value
    .group_segment_fixed_size: 0
    .kernarg_segment_align: 16
    .kernarg_segment_size: 48
    .language:       OpenCL C
    .language_version:
      - 2
      - 0
    .max_flat_workgroup_size: 64
    .name:           _ZN7rocprim17ROCPRIM_400000_NS6detail17trampoline_kernelINS0_14default_configENS1_20scan_config_selectorIN3c107complexIdEEEEZZNS1_9scan_implILNS1_25lookback_scan_determinismE0ELb0ELb0ES3_PKS7_PS7_S7_ZZZN2at6native31launch_logcumsumexp_cuda_kernelERKNSE_10TensorBaseESI_lENKUlvE_clEvENKUlvE1_clEvEUlS7_S7_E_S7_EEDaPvRmT3_T4_T5_mT6_P12ihipStream_tbENKUlT_T0_E_clISt17integral_constantIbLb0EESY_IbLb1EEEEDaSU_SV_EUlSU_E0_NS1_11comp_targetILNS1_3genE4ELNS1_11target_archE910ELNS1_3gpuE8ELNS1_3repE0EEENS1_30default_config_static_selectorELNS0_4arch9wavefront6targetE0EEEvT1_
    .private_segment_fixed_size: 0
    .sgpr_count:     0
    .sgpr_spill_count: 0
    .symbol:         _ZN7rocprim17ROCPRIM_400000_NS6detail17trampoline_kernelINS0_14default_configENS1_20scan_config_selectorIN3c107complexIdEEEEZZNS1_9scan_implILNS1_25lookback_scan_determinismE0ELb0ELb0ES3_PKS7_PS7_S7_ZZZN2at6native31launch_logcumsumexp_cuda_kernelERKNSE_10TensorBaseESI_lENKUlvE_clEvENKUlvE1_clEvEUlS7_S7_E_S7_EEDaPvRmT3_T4_T5_mT6_P12ihipStream_tbENKUlT_T0_E_clISt17integral_constantIbLb0EESY_IbLb1EEEEDaSU_SV_EUlSU_E0_NS1_11comp_targetILNS1_3genE4ELNS1_11target_archE910ELNS1_3gpuE8ELNS1_3repE0EEENS1_30default_config_static_selectorELNS0_4arch9wavefront6targetE0EEEvT1_.kd
    .uniform_work_group_size: 1
    .uses_dynamic_stack: false
    .vgpr_count:     0
    .vgpr_spill_count: 0
    .wavefront_size: 32
    .workgroup_processor_mode: 1
  - .args:
      - .offset:         0
        .size:           48
        .value_kind:     by_value
    .group_segment_fixed_size: 0
    .kernarg_segment_align: 16
    .kernarg_segment_size: 48
    .language:       OpenCL C
    .language_version:
      - 2
      - 0
    .max_flat_workgroup_size: 128
    .name:           _ZN7rocprim17ROCPRIM_400000_NS6detail17trampoline_kernelINS0_14default_configENS1_20scan_config_selectorIN3c107complexIdEEEEZZNS1_9scan_implILNS1_25lookback_scan_determinismE0ELb0ELb0ES3_PKS7_PS7_S7_ZZZN2at6native31launch_logcumsumexp_cuda_kernelERKNSE_10TensorBaseESI_lENKUlvE_clEvENKUlvE1_clEvEUlS7_S7_E_S7_EEDaPvRmT3_T4_T5_mT6_P12ihipStream_tbENKUlT_T0_E_clISt17integral_constantIbLb0EESY_IbLb1EEEEDaSU_SV_EUlSU_E0_NS1_11comp_targetILNS1_3genE3ELNS1_11target_archE908ELNS1_3gpuE7ELNS1_3repE0EEENS1_30default_config_static_selectorELNS0_4arch9wavefront6targetE0EEEvT1_
    .private_segment_fixed_size: 0
    .sgpr_count:     0
    .sgpr_spill_count: 0
    .symbol:         _ZN7rocprim17ROCPRIM_400000_NS6detail17trampoline_kernelINS0_14default_configENS1_20scan_config_selectorIN3c107complexIdEEEEZZNS1_9scan_implILNS1_25lookback_scan_determinismE0ELb0ELb0ES3_PKS7_PS7_S7_ZZZN2at6native31launch_logcumsumexp_cuda_kernelERKNSE_10TensorBaseESI_lENKUlvE_clEvENKUlvE1_clEvEUlS7_S7_E_S7_EEDaPvRmT3_T4_T5_mT6_P12ihipStream_tbENKUlT_T0_E_clISt17integral_constantIbLb0EESY_IbLb1EEEEDaSU_SV_EUlSU_E0_NS1_11comp_targetILNS1_3genE3ELNS1_11target_archE908ELNS1_3gpuE7ELNS1_3repE0EEENS1_30default_config_static_selectorELNS0_4arch9wavefront6targetE0EEEvT1_.kd
    .uniform_work_group_size: 1
    .uses_dynamic_stack: false
    .vgpr_count:     0
    .vgpr_spill_count: 0
    .wavefront_size: 32
    .workgroup_processor_mode: 1
  - .args:
      - .offset:         0
        .size:           48
        .value_kind:     by_value
    .group_segment_fixed_size: 0
    .kernarg_segment_align: 16
    .kernarg_segment_size: 48
    .language:       OpenCL C
    .language_version:
      - 2
      - 0
    .max_flat_workgroup_size: 64
    .name:           _ZN7rocprim17ROCPRIM_400000_NS6detail17trampoline_kernelINS0_14default_configENS1_20scan_config_selectorIN3c107complexIdEEEEZZNS1_9scan_implILNS1_25lookback_scan_determinismE0ELb0ELb0ES3_PKS7_PS7_S7_ZZZN2at6native31launch_logcumsumexp_cuda_kernelERKNSE_10TensorBaseESI_lENKUlvE_clEvENKUlvE1_clEvEUlS7_S7_E_S7_EEDaPvRmT3_T4_T5_mT6_P12ihipStream_tbENKUlT_T0_E_clISt17integral_constantIbLb0EESY_IbLb1EEEEDaSU_SV_EUlSU_E0_NS1_11comp_targetILNS1_3genE2ELNS1_11target_archE906ELNS1_3gpuE6ELNS1_3repE0EEENS1_30default_config_static_selectorELNS0_4arch9wavefront6targetE0EEEvT1_
    .private_segment_fixed_size: 0
    .sgpr_count:     0
    .sgpr_spill_count: 0
    .symbol:         _ZN7rocprim17ROCPRIM_400000_NS6detail17trampoline_kernelINS0_14default_configENS1_20scan_config_selectorIN3c107complexIdEEEEZZNS1_9scan_implILNS1_25lookback_scan_determinismE0ELb0ELb0ES3_PKS7_PS7_S7_ZZZN2at6native31launch_logcumsumexp_cuda_kernelERKNSE_10TensorBaseESI_lENKUlvE_clEvENKUlvE1_clEvEUlS7_S7_E_S7_EEDaPvRmT3_T4_T5_mT6_P12ihipStream_tbENKUlT_T0_E_clISt17integral_constantIbLb0EESY_IbLb1EEEEDaSU_SV_EUlSU_E0_NS1_11comp_targetILNS1_3genE2ELNS1_11target_archE906ELNS1_3gpuE6ELNS1_3repE0EEENS1_30default_config_static_selectorELNS0_4arch9wavefront6targetE0EEEvT1_.kd
    .uniform_work_group_size: 1
    .uses_dynamic_stack: false
    .vgpr_count:     0
    .vgpr_spill_count: 0
    .wavefront_size: 32
    .workgroup_processor_mode: 1
  - .args:
      - .offset:         0
        .size:           48
        .value_kind:     by_value
    .group_segment_fixed_size: 0
    .kernarg_segment_align: 16
    .kernarg_segment_size: 48
    .language:       OpenCL C
    .language_version:
      - 2
      - 0
    .max_flat_workgroup_size: 256
    .name:           _ZN7rocprim17ROCPRIM_400000_NS6detail17trampoline_kernelINS0_14default_configENS1_20scan_config_selectorIN3c107complexIdEEEEZZNS1_9scan_implILNS1_25lookback_scan_determinismE0ELb0ELb0ES3_PKS7_PS7_S7_ZZZN2at6native31launch_logcumsumexp_cuda_kernelERKNSE_10TensorBaseESI_lENKUlvE_clEvENKUlvE1_clEvEUlS7_S7_E_S7_EEDaPvRmT3_T4_T5_mT6_P12ihipStream_tbENKUlT_T0_E_clISt17integral_constantIbLb0EESY_IbLb1EEEEDaSU_SV_EUlSU_E0_NS1_11comp_targetILNS1_3genE10ELNS1_11target_archE1201ELNS1_3gpuE5ELNS1_3repE0EEENS1_30default_config_static_selectorELNS0_4arch9wavefront6targetE0EEEvT1_
    .private_segment_fixed_size: 0
    .sgpr_count:     0
    .sgpr_spill_count: 0
    .symbol:         _ZN7rocprim17ROCPRIM_400000_NS6detail17trampoline_kernelINS0_14default_configENS1_20scan_config_selectorIN3c107complexIdEEEEZZNS1_9scan_implILNS1_25lookback_scan_determinismE0ELb0ELb0ES3_PKS7_PS7_S7_ZZZN2at6native31launch_logcumsumexp_cuda_kernelERKNSE_10TensorBaseESI_lENKUlvE_clEvENKUlvE1_clEvEUlS7_S7_E_S7_EEDaPvRmT3_T4_T5_mT6_P12ihipStream_tbENKUlT_T0_E_clISt17integral_constantIbLb0EESY_IbLb1EEEEDaSU_SV_EUlSU_E0_NS1_11comp_targetILNS1_3genE10ELNS1_11target_archE1201ELNS1_3gpuE5ELNS1_3repE0EEENS1_30default_config_static_selectorELNS0_4arch9wavefront6targetE0EEEvT1_.kd
    .uniform_work_group_size: 1
    .uses_dynamic_stack: false
    .vgpr_count:     0
    .vgpr_spill_count: 0
    .wavefront_size: 32
    .workgroup_processor_mode: 1
  - .args:
      - .offset:         0
        .size:           48
        .value_kind:     by_value
    .group_segment_fixed_size: 0
    .kernarg_segment_align: 16
    .kernarg_segment_size: 48
    .language:       OpenCL C
    .language_version:
      - 2
      - 0
    .max_flat_workgroup_size: 256
    .name:           _ZN7rocprim17ROCPRIM_400000_NS6detail17trampoline_kernelINS0_14default_configENS1_20scan_config_selectorIN3c107complexIdEEEEZZNS1_9scan_implILNS1_25lookback_scan_determinismE0ELb0ELb0ES3_PKS7_PS7_S7_ZZZN2at6native31launch_logcumsumexp_cuda_kernelERKNSE_10TensorBaseESI_lENKUlvE_clEvENKUlvE1_clEvEUlS7_S7_E_S7_EEDaPvRmT3_T4_T5_mT6_P12ihipStream_tbENKUlT_T0_E_clISt17integral_constantIbLb0EESY_IbLb1EEEEDaSU_SV_EUlSU_E0_NS1_11comp_targetILNS1_3genE10ELNS1_11target_archE1200ELNS1_3gpuE4ELNS1_3repE0EEENS1_30default_config_static_selectorELNS0_4arch9wavefront6targetE0EEEvT1_
    .private_segment_fixed_size: 0
    .sgpr_count:     0
    .sgpr_spill_count: 0
    .symbol:         _ZN7rocprim17ROCPRIM_400000_NS6detail17trampoline_kernelINS0_14default_configENS1_20scan_config_selectorIN3c107complexIdEEEEZZNS1_9scan_implILNS1_25lookback_scan_determinismE0ELb0ELb0ES3_PKS7_PS7_S7_ZZZN2at6native31launch_logcumsumexp_cuda_kernelERKNSE_10TensorBaseESI_lENKUlvE_clEvENKUlvE1_clEvEUlS7_S7_E_S7_EEDaPvRmT3_T4_T5_mT6_P12ihipStream_tbENKUlT_T0_E_clISt17integral_constantIbLb0EESY_IbLb1EEEEDaSU_SV_EUlSU_E0_NS1_11comp_targetILNS1_3genE10ELNS1_11target_archE1200ELNS1_3gpuE4ELNS1_3repE0EEENS1_30default_config_static_selectorELNS0_4arch9wavefront6targetE0EEEvT1_.kd
    .uniform_work_group_size: 1
    .uses_dynamic_stack: false
    .vgpr_count:     0
    .vgpr_spill_count: 0
    .wavefront_size: 32
    .workgroup_processor_mode: 1
  - .args:
      - .offset:         0
        .size:           48
        .value_kind:     by_value
    .group_segment_fixed_size: 33792
    .kernarg_segment_align: 16
    .kernarg_segment_size: 48
    .language:       OpenCL C
    .language_version:
      - 2
      - 0
    .max_flat_workgroup_size: 256
    .name:           _ZN7rocprim17ROCPRIM_400000_NS6detail17trampoline_kernelINS0_14default_configENS1_20scan_config_selectorIN3c107complexIdEEEEZZNS1_9scan_implILNS1_25lookback_scan_determinismE0ELb0ELb0ES3_PKS7_PS7_S7_ZZZN2at6native31launch_logcumsumexp_cuda_kernelERKNSE_10TensorBaseESI_lENKUlvE_clEvENKUlvE1_clEvEUlS7_S7_E_S7_EEDaPvRmT3_T4_T5_mT6_P12ihipStream_tbENKUlT_T0_E_clISt17integral_constantIbLb0EESY_IbLb1EEEEDaSU_SV_EUlSU_E0_NS1_11comp_targetILNS1_3genE9ELNS1_11target_archE1100ELNS1_3gpuE3ELNS1_3repE0EEENS1_30default_config_static_selectorELNS0_4arch9wavefront6targetE0EEEvT1_
    .private_segment_fixed_size: 0
    .sgpr_count:     35
    .sgpr_spill_count: 0
    .symbol:         _ZN7rocprim17ROCPRIM_400000_NS6detail17trampoline_kernelINS0_14default_configENS1_20scan_config_selectorIN3c107complexIdEEEEZZNS1_9scan_implILNS1_25lookback_scan_determinismE0ELb0ELb0ES3_PKS7_PS7_S7_ZZZN2at6native31launch_logcumsumexp_cuda_kernelERKNSE_10TensorBaseESI_lENKUlvE_clEvENKUlvE1_clEvEUlS7_S7_E_S7_EEDaPvRmT3_T4_T5_mT6_P12ihipStream_tbENKUlT_T0_E_clISt17integral_constantIbLb0EESY_IbLb1EEEEDaSU_SV_EUlSU_E0_NS1_11comp_targetILNS1_3genE9ELNS1_11target_archE1100ELNS1_3gpuE3ELNS1_3repE0EEENS1_30default_config_static_selectorELNS0_4arch9wavefront6targetE0EEEvT1_.kd
    .uniform_work_group_size: 1
    .uses_dynamic_stack: false
    .vgpr_count:     169
    .vgpr_spill_count: 0
    .wavefront_size: 32
    .workgroup_processor_mode: 1
  - .args:
      - .offset:         0
        .size:           48
        .value_kind:     by_value
    .group_segment_fixed_size: 0
    .kernarg_segment_align: 16
    .kernarg_segment_size: 48
    .language:       OpenCL C
    .language_version:
      - 2
      - 0
    .max_flat_workgroup_size: 256
    .name:           _ZN7rocprim17ROCPRIM_400000_NS6detail17trampoline_kernelINS0_14default_configENS1_20scan_config_selectorIN3c107complexIdEEEEZZNS1_9scan_implILNS1_25lookback_scan_determinismE0ELb0ELb0ES3_PKS7_PS7_S7_ZZZN2at6native31launch_logcumsumexp_cuda_kernelERKNSE_10TensorBaseESI_lENKUlvE_clEvENKUlvE1_clEvEUlS7_S7_E_S7_EEDaPvRmT3_T4_T5_mT6_P12ihipStream_tbENKUlT_T0_E_clISt17integral_constantIbLb0EESY_IbLb1EEEEDaSU_SV_EUlSU_E0_NS1_11comp_targetILNS1_3genE8ELNS1_11target_archE1030ELNS1_3gpuE2ELNS1_3repE0EEENS1_30default_config_static_selectorELNS0_4arch9wavefront6targetE0EEEvT1_
    .private_segment_fixed_size: 0
    .sgpr_count:     0
    .sgpr_spill_count: 0
    .symbol:         _ZN7rocprim17ROCPRIM_400000_NS6detail17trampoline_kernelINS0_14default_configENS1_20scan_config_selectorIN3c107complexIdEEEEZZNS1_9scan_implILNS1_25lookback_scan_determinismE0ELb0ELb0ES3_PKS7_PS7_S7_ZZZN2at6native31launch_logcumsumexp_cuda_kernelERKNSE_10TensorBaseESI_lENKUlvE_clEvENKUlvE1_clEvEUlS7_S7_E_S7_EEDaPvRmT3_T4_T5_mT6_P12ihipStream_tbENKUlT_T0_E_clISt17integral_constantIbLb0EESY_IbLb1EEEEDaSU_SV_EUlSU_E0_NS1_11comp_targetILNS1_3genE8ELNS1_11target_archE1030ELNS1_3gpuE2ELNS1_3repE0EEENS1_30default_config_static_selectorELNS0_4arch9wavefront6targetE0EEEvT1_.kd
    .uniform_work_group_size: 1
    .uses_dynamic_stack: false
    .vgpr_count:     0
    .vgpr_spill_count: 0
    .wavefront_size: 32
    .workgroup_processor_mode: 1
  - .args:
      - .address_space:  global
        .offset:         0
        .size:           8
        .value_kind:     global_buffer
      - .address_space:  global
        .offset:         8
        .size:           8
        .value_kind:     global_buffer
      - .offset:         16
        .size:           4
        .value_kind:     by_value
      - .offset:         20
        .size:           4
        .value_kind:     by_value
      - .offset:         24
        .size:           4
        .value_kind:     by_value
      - .offset:         32
        .size:           16
        .value_kind:     by_value
      - .offset:         48
        .size:           1
        .value_kind:     by_value
      - .offset:         56
        .size:           4
        .value_kind:     hidden_block_count_x
      - .offset:         60
        .size:           4
        .value_kind:     hidden_block_count_y
      - .offset:         64
        .size:           4
        .value_kind:     hidden_block_count_z
      - .offset:         68
        .size:           2
        .value_kind:     hidden_group_size_x
      - .offset:         70
        .size:           2
        .value_kind:     hidden_group_size_y
      - .offset:         72
        .size:           2
        .value_kind:     hidden_group_size_z
      - .offset:         74
        .size:           2
        .value_kind:     hidden_remainder_x
      - .offset:         76
        .size:           2
        .value_kind:     hidden_remainder_y
      - .offset:         78
        .size:           2
        .value_kind:     hidden_remainder_z
      - .offset:         96
        .size:           8
        .value_kind:     hidden_global_offset_x
      - .offset:         104
        .size:           8
        .value_kind:     hidden_global_offset_y
      - .offset:         112
        .size:           8
        .value_kind:     hidden_global_offset_z
      - .offset:         120
        .size:           2
        .value_kind:     hidden_grid_dims
      - .offset:         176
        .size:           4
        .value_kind:     hidden_dynamic_lds_size
    .group_segment_fixed_size: 0
    .kernarg_segment_align: 16
    .kernarg_segment_size: 312
    .language:       OpenCL C
    .language_version:
      - 2
      - 0
    .max_flat_workgroup_size: 1024
    .name:           _ZN2at6native32tensor_kernel_scan_innermost_dimIN3c107complexIdEEZZZNS0_31launch_logcumsumexp_cuda_kernelERKNS_10TensorBaseES7_lENKUlvE_clEvENKUlvE1_clEvEUlS4_S4_E_EEvPT_PKSB_jjjSB_T0_
    .private_segment_fixed_size: 0
    .sgpr_count:     50
    .sgpr_spill_count: 0
    .symbol:         _ZN2at6native32tensor_kernel_scan_innermost_dimIN3c107complexIdEEZZZNS0_31launch_logcumsumexp_cuda_kernelERKNS_10TensorBaseES7_lENKUlvE_clEvENKUlvE1_clEvEUlS4_S4_E_EEvPT_PKSB_jjjSB_T0_.kd
    .uniform_work_group_size: 1
    .uses_dynamic_stack: false
    .vgpr_count:     136
    .vgpr_spill_count: 0
    .wavefront_size: 32
    .workgroup_processor_mode: 1
  - .args:
      - .address_space:  global
        .offset:         0
        .size:           8
        .value_kind:     global_buffer
      - .address_space:  global
        .offset:         8
        .size:           8
        .value_kind:     global_buffer
      - .offset:         16
        .size:           4
        .value_kind:     by_value
      - .offset:         20
        .size:           4
        .value_kind:     by_value
      - .offset:         24
        .size:           4
        .value_kind:     by_value
      - .offset:         32
        .size:           16
        .value_kind:     by_value
      - .offset:         48
        .size:           1
        .value_kind:     by_value
      - .offset:         56
        .size:           4
        .value_kind:     hidden_block_count_x
      - .offset:         60
        .size:           4
        .value_kind:     hidden_block_count_y
      - .offset:         64
        .size:           4
        .value_kind:     hidden_block_count_z
      - .offset:         68
        .size:           2
        .value_kind:     hidden_group_size_x
      - .offset:         70
        .size:           2
        .value_kind:     hidden_group_size_y
      - .offset:         72
        .size:           2
        .value_kind:     hidden_group_size_z
      - .offset:         74
        .size:           2
        .value_kind:     hidden_remainder_x
      - .offset:         76
        .size:           2
        .value_kind:     hidden_remainder_y
      - .offset:         78
        .size:           2
        .value_kind:     hidden_remainder_z
      - .offset:         96
        .size:           8
        .value_kind:     hidden_global_offset_x
      - .offset:         104
        .size:           8
        .value_kind:     hidden_global_offset_y
      - .offset:         112
        .size:           8
        .value_kind:     hidden_global_offset_z
      - .offset:         120
        .size:           2
        .value_kind:     hidden_grid_dims
    .group_segment_fixed_size: 0
    .kernarg_segment_align: 16
    .kernarg_segment_size: 312
    .language:       OpenCL C
    .language_version:
      - 2
      - 0
    .max_flat_workgroup_size: 1024
    .name:           _ZN2at6native28tensor_kernel_scan_outer_dimIN3c107complexIdEEjZZZNS0_31launch_logcumsumexp_cuda_kernelERKNS_10TensorBaseES7_lENKUlvE_clEvENKUlvE1_clEvEUlS4_S4_E_EEvPT_PKSB_jjjSB_T1_
    .private_segment_fixed_size: 0
    .sgpr_count:     51
    .sgpr_spill_count: 0
    .symbol:         _ZN2at6native28tensor_kernel_scan_outer_dimIN3c107complexIdEEjZZZNS0_31launch_logcumsumexp_cuda_kernelERKNS_10TensorBaseES7_lENKUlvE_clEvENKUlvE1_clEvEUlS4_S4_E_EEvPT_PKSB_jjjSB_T1_.kd
    .uniform_work_group_size: 1
    .uses_dynamic_stack: false
    .vgpr_count:     136
    .vgpr_spill_count: 0
    .wavefront_size: 32
    .workgroup_processor_mode: 1
  - .args:
      - .address_space:  global
        .offset:         0
        .size:           8
        .value_kind:     global_buffer
      - .address_space:  global
        .offset:         8
        .size:           8
        .value_kind:     global_buffer
      - .offset:         16
        .size:           4
        .value_kind:     by_value
      - .offset:         20
        .size:           4
        .value_kind:     by_value
      - .offset:         24
        .size:           4
        .value_kind:     by_value
      - .offset:         32
        .size:           16
        .value_kind:     by_value
      - .offset:         48
        .size:           1
        .value_kind:     by_value
      - .offset:         56
        .size:           4
        .value_kind:     hidden_block_count_x
      - .offset:         60
        .size:           4
        .value_kind:     hidden_block_count_y
      - .offset:         64
        .size:           4
        .value_kind:     hidden_block_count_z
      - .offset:         68
        .size:           2
        .value_kind:     hidden_group_size_x
      - .offset:         70
        .size:           2
        .value_kind:     hidden_group_size_y
      - .offset:         72
        .size:           2
        .value_kind:     hidden_group_size_z
      - .offset:         74
        .size:           2
        .value_kind:     hidden_remainder_x
      - .offset:         76
        .size:           2
        .value_kind:     hidden_remainder_y
      - .offset:         78
        .size:           2
        .value_kind:     hidden_remainder_z
      - .offset:         96
        .size:           8
        .value_kind:     hidden_global_offset_x
      - .offset:         104
        .size:           8
        .value_kind:     hidden_global_offset_y
      - .offset:         112
        .size:           8
        .value_kind:     hidden_global_offset_z
      - .offset:         120
        .size:           2
        .value_kind:     hidden_grid_dims
    .group_segment_fixed_size: 0
    .kernarg_segment_align: 16
    .kernarg_segment_size: 312
    .language:       OpenCL C
    .language_version:
      - 2
      - 0
    .max_flat_workgroup_size: 1024
    .name:           _ZN2at6native28tensor_kernel_scan_outer_dimIN3c107complexIdEEmZZZNS0_31launch_logcumsumexp_cuda_kernelERKNS_10TensorBaseES7_lENKUlvE_clEvENKUlvE1_clEvEUlS4_S4_E_EEvPT_PKSB_jjjSB_T1_
    .private_segment_fixed_size: 0
    .sgpr_count:     50
    .sgpr_spill_count: 0
    .symbol:         _ZN2at6native28tensor_kernel_scan_outer_dimIN3c107complexIdEEmZZZNS0_31launch_logcumsumexp_cuda_kernelERKNS_10TensorBaseES7_lENKUlvE_clEvENKUlvE1_clEvEUlS4_S4_E_EEvPT_PKSB_jjjSB_T1_.kd
    .uniform_work_group_size: 1
    .uses_dynamic_stack: false
    .vgpr_count:     136
    .vgpr_spill_count: 0
    .wavefront_size: 32
    .workgroup_processor_mode: 1
  - .args:
      - .address_space:  global
        .offset:         0
        .size:           8
        .value_kind:     global_buffer
      - .offset:         8
        .size:           4
        .value_kind:     by_value
      - .offset:         12
        .size:           1
        .value_kind:     by_value
      - .offset:         16
        .size:           4
        .value_kind:     by_value
      - .address_space:  global
        .offset:         24
        .size:           8
        .value_kind:     global_buffer
      - .offset:         32
        .size:           4
        .value_kind:     hidden_block_count_x
      - .offset:         36
        .size:           4
        .value_kind:     hidden_block_count_y
      - .offset:         40
        .size:           4
        .value_kind:     hidden_block_count_z
      - .offset:         44
        .size:           2
        .value_kind:     hidden_group_size_x
      - .offset:         46
        .size:           2
        .value_kind:     hidden_group_size_y
      - .offset:         48
        .size:           2
        .value_kind:     hidden_group_size_z
      - .offset:         50
        .size:           2
        .value_kind:     hidden_remainder_x
      - .offset:         52
        .size:           2
        .value_kind:     hidden_remainder_y
      - .offset:         54
        .size:           2
        .value_kind:     hidden_remainder_z
      - .offset:         72
        .size:           8
        .value_kind:     hidden_global_offset_x
      - .offset:         80
        .size:           8
        .value_kind:     hidden_global_offset_y
      - .offset:         88
        .size:           8
        .value_kind:     hidden_global_offset_z
      - .offset:         96
        .size:           2
        .value_kind:     hidden_grid_dims
    .group_segment_fixed_size: 0
    .kernarg_segment_align: 8
    .kernarg_segment_size: 288
    .language:       OpenCL C
    .language_version:
      - 2
      - 0
    .max_flat_workgroup_size: 256
    .name:           _ZN7rocprim17ROCPRIM_400000_NS6detail31init_lookback_scan_state_kernelINS1_19lookback_scan_stateIN3c107complexIfEELb0ELb1EEENS1_16block_id_wrapperIjLb0EEEEEvT_jT0_jPNSA_10value_typeE
    .private_segment_fixed_size: 0
    .sgpr_count:     18
    .sgpr_spill_count: 0
    .symbol:         _ZN7rocprim17ROCPRIM_400000_NS6detail31init_lookback_scan_state_kernelINS1_19lookback_scan_stateIN3c107complexIfEELb0ELb1EEENS1_16block_id_wrapperIjLb0EEEEEvT_jT0_jPNSA_10value_typeE.kd
    .uniform_work_group_size: 1
    .uses_dynamic_stack: false
    .vgpr_count:     9
    .vgpr_spill_count: 0
    .wavefront_size: 32
    .workgroup_processor_mode: 1
  - .args:
      - .offset:         0
        .size:           104
        .value_kind:     by_value
    .group_segment_fixed_size: 0
    .kernarg_segment_align: 8
    .kernarg_segment_size: 104
    .language:       OpenCL C
    .language_version:
      - 2
      - 0
    .max_flat_workgroup_size: 256
    .name:           _ZN7rocprim17ROCPRIM_400000_NS6detail17trampoline_kernelINS0_14default_configENS1_20scan_config_selectorIN3c107complexIfEEEEZZNS1_9scan_implILNS1_25lookback_scan_determinismE0ELb0ELb0ES3_PKS7_PS7_S7_ZZZN2at6native31launch_logcumsumexp_cuda_kernelERKNSE_10TensorBaseESI_lENKUlvE_clEvENKUlvE2_clEvEUlS7_S7_E_S7_EEDaPvRmT3_T4_T5_mT6_P12ihipStream_tbENKUlT_T0_E_clISt17integral_constantIbLb0EESZ_EEDaSU_SV_EUlSU_E_NS1_11comp_targetILNS1_3genE0ELNS1_11target_archE4294967295ELNS1_3gpuE0ELNS1_3repE0EEENS1_30default_config_static_selectorELNS0_4arch9wavefront6targetE0EEEvT1_
    .private_segment_fixed_size: 0
    .sgpr_count:     0
    .sgpr_spill_count: 0
    .symbol:         _ZN7rocprim17ROCPRIM_400000_NS6detail17trampoline_kernelINS0_14default_configENS1_20scan_config_selectorIN3c107complexIfEEEEZZNS1_9scan_implILNS1_25lookback_scan_determinismE0ELb0ELb0ES3_PKS7_PS7_S7_ZZZN2at6native31launch_logcumsumexp_cuda_kernelERKNSE_10TensorBaseESI_lENKUlvE_clEvENKUlvE2_clEvEUlS7_S7_E_S7_EEDaPvRmT3_T4_T5_mT6_P12ihipStream_tbENKUlT_T0_E_clISt17integral_constantIbLb0EESZ_EEDaSU_SV_EUlSU_E_NS1_11comp_targetILNS1_3genE0ELNS1_11target_archE4294967295ELNS1_3gpuE0ELNS1_3repE0EEENS1_30default_config_static_selectorELNS0_4arch9wavefront6targetE0EEEvT1_.kd
    .uniform_work_group_size: 1
    .uses_dynamic_stack: false
    .vgpr_count:     0
    .vgpr_spill_count: 0
    .wavefront_size: 32
    .workgroup_processor_mode: 1
  - .args:
      - .offset:         0
        .size:           104
        .value_kind:     by_value
    .group_segment_fixed_size: 0
    .kernarg_segment_align: 8
    .kernarg_segment_size: 104
    .language:       OpenCL C
    .language_version:
      - 2
      - 0
    .max_flat_workgroup_size: 256
    .name:           _ZN7rocprim17ROCPRIM_400000_NS6detail17trampoline_kernelINS0_14default_configENS1_20scan_config_selectorIN3c107complexIfEEEEZZNS1_9scan_implILNS1_25lookback_scan_determinismE0ELb0ELb0ES3_PKS7_PS7_S7_ZZZN2at6native31launch_logcumsumexp_cuda_kernelERKNSE_10TensorBaseESI_lENKUlvE_clEvENKUlvE2_clEvEUlS7_S7_E_S7_EEDaPvRmT3_T4_T5_mT6_P12ihipStream_tbENKUlT_T0_E_clISt17integral_constantIbLb0EESZ_EEDaSU_SV_EUlSU_E_NS1_11comp_targetILNS1_3genE5ELNS1_11target_archE942ELNS1_3gpuE9ELNS1_3repE0EEENS1_30default_config_static_selectorELNS0_4arch9wavefront6targetE0EEEvT1_
    .private_segment_fixed_size: 0
    .sgpr_count:     0
    .sgpr_spill_count: 0
    .symbol:         _ZN7rocprim17ROCPRIM_400000_NS6detail17trampoline_kernelINS0_14default_configENS1_20scan_config_selectorIN3c107complexIfEEEEZZNS1_9scan_implILNS1_25lookback_scan_determinismE0ELb0ELb0ES3_PKS7_PS7_S7_ZZZN2at6native31launch_logcumsumexp_cuda_kernelERKNSE_10TensorBaseESI_lENKUlvE_clEvENKUlvE2_clEvEUlS7_S7_E_S7_EEDaPvRmT3_T4_T5_mT6_P12ihipStream_tbENKUlT_T0_E_clISt17integral_constantIbLb0EESZ_EEDaSU_SV_EUlSU_E_NS1_11comp_targetILNS1_3genE5ELNS1_11target_archE942ELNS1_3gpuE9ELNS1_3repE0EEENS1_30default_config_static_selectorELNS0_4arch9wavefront6targetE0EEEvT1_.kd
    .uniform_work_group_size: 1
    .uses_dynamic_stack: false
    .vgpr_count:     0
    .vgpr_spill_count: 0
    .wavefront_size: 32
    .workgroup_processor_mode: 1
  - .args:
      - .offset:         0
        .size:           104
        .value_kind:     by_value
    .group_segment_fixed_size: 0
    .kernarg_segment_align: 8
    .kernarg_segment_size: 104
    .language:       OpenCL C
    .language_version:
      - 2
      - 0
    .max_flat_workgroup_size: 128
    .name:           _ZN7rocprim17ROCPRIM_400000_NS6detail17trampoline_kernelINS0_14default_configENS1_20scan_config_selectorIN3c107complexIfEEEEZZNS1_9scan_implILNS1_25lookback_scan_determinismE0ELb0ELb0ES3_PKS7_PS7_S7_ZZZN2at6native31launch_logcumsumexp_cuda_kernelERKNSE_10TensorBaseESI_lENKUlvE_clEvENKUlvE2_clEvEUlS7_S7_E_S7_EEDaPvRmT3_T4_T5_mT6_P12ihipStream_tbENKUlT_T0_E_clISt17integral_constantIbLb0EESZ_EEDaSU_SV_EUlSU_E_NS1_11comp_targetILNS1_3genE4ELNS1_11target_archE910ELNS1_3gpuE8ELNS1_3repE0EEENS1_30default_config_static_selectorELNS0_4arch9wavefront6targetE0EEEvT1_
    .private_segment_fixed_size: 0
    .sgpr_count:     0
    .sgpr_spill_count: 0
    .symbol:         _ZN7rocprim17ROCPRIM_400000_NS6detail17trampoline_kernelINS0_14default_configENS1_20scan_config_selectorIN3c107complexIfEEEEZZNS1_9scan_implILNS1_25lookback_scan_determinismE0ELb0ELb0ES3_PKS7_PS7_S7_ZZZN2at6native31launch_logcumsumexp_cuda_kernelERKNSE_10TensorBaseESI_lENKUlvE_clEvENKUlvE2_clEvEUlS7_S7_E_S7_EEDaPvRmT3_T4_T5_mT6_P12ihipStream_tbENKUlT_T0_E_clISt17integral_constantIbLb0EESZ_EEDaSU_SV_EUlSU_E_NS1_11comp_targetILNS1_3genE4ELNS1_11target_archE910ELNS1_3gpuE8ELNS1_3repE0EEENS1_30default_config_static_selectorELNS0_4arch9wavefront6targetE0EEEvT1_.kd
    .uniform_work_group_size: 1
    .uses_dynamic_stack: false
    .vgpr_count:     0
    .vgpr_spill_count: 0
    .wavefront_size: 32
    .workgroup_processor_mode: 1
  - .args:
      - .offset:         0
        .size:           104
        .value_kind:     by_value
    .group_segment_fixed_size: 0
    .kernarg_segment_align: 8
    .kernarg_segment_size: 104
    .language:       OpenCL C
    .language_version:
      - 2
      - 0
    .max_flat_workgroup_size: 256
    .name:           _ZN7rocprim17ROCPRIM_400000_NS6detail17trampoline_kernelINS0_14default_configENS1_20scan_config_selectorIN3c107complexIfEEEEZZNS1_9scan_implILNS1_25lookback_scan_determinismE0ELb0ELb0ES3_PKS7_PS7_S7_ZZZN2at6native31launch_logcumsumexp_cuda_kernelERKNSE_10TensorBaseESI_lENKUlvE_clEvENKUlvE2_clEvEUlS7_S7_E_S7_EEDaPvRmT3_T4_T5_mT6_P12ihipStream_tbENKUlT_T0_E_clISt17integral_constantIbLb0EESZ_EEDaSU_SV_EUlSU_E_NS1_11comp_targetILNS1_3genE3ELNS1_11target_archE908ELNS1_3gpuE7ELNS1_3repE0EEENS1_30default_config_static_selectorELNS0_4arch9wavefront6targetE0EEEvT1_
    .private_segment_fixed_size: 0
    .sgpr_count:     0
    .sgpr_spill_count: 0
    .symbol:         _ZN7rocprim17ROCPRIM_400000_NS6detail17trampoline_kernelINS0_14default_configENS1_20scan_config_selectorIN3c107complexIfEEEEZZNS1_9scan_implILNS1_25lookback_scan_determinismE0ELb0ELb0ES3_PKS7_PS7_S7_ZZZN2at6native31launch_logcumsumexp_cuda_kernelERKNSE_10TensorBaseESI_lENKUlvE_clEvENKUlvE2_clEvEUlS7_S7_E_S7_EEDaPvRmT3_T4_T5_mT6_P12ihipStream_tbENKUlT_T0_E_clISt17integral_constantIbLb0EESZ_EEDaSU_SV_EUlSU_E_NS1_11comp_targetILNS1_3genE3ELNS1_11target_archE908ELNS1_3gpuE7ELNS1_3repE0EEENS1_30default_config_static_selectorELNS0_4arch9wavefront6targetE0EEEvT1_.kd
    .uniform_work_group_size: 1
    .uses_dynamic_stack: false
    .vgpr_count:     0
    .vgpr_spill_count: 0
    .wavefront_size: 32
    .workgroup_processor_mode: 1
  - .args:
      - .offset:         0
        .size:           104
        .value_kind:     by_value
    .group_segment_fixed_size: 0
    .kernarg_segment_align: 8
    .kernarg_segment_size: 104
    .language:       OpenCL C
    .language_version:
      - 2
      - 0
    .max_flat_workgroup_size: 64
    .name:           _ZN7rocprim17ROCPRIM_400000_NS6detail17trampoline_kernelINS0_14default_configENS1_20scan_config_selectorIN3c107complexIfEEEEZZNS1_9scan_implILNS1_25lookback_scan_determinismE0ELb0ELb0ES3_PKS7_PS7_S7_ZZZN2at6native31launch_logcumsumexp_cuda_kernelERKNSE_10TensorBaseESI_lENKUlvE_clEvENKUlvE2_clEvEUlS7_S7_E_S7_EEDaPvRmT3_T4_T5_mT6_P12ihipStream_tbENKUlT_T0_E_clISt17integral_constantIbLb0EESZ_EEDaSU_SV_EUlSU_E_NS1_11comp_targetILNS1_3genE2ELNS1_11target_archE906ELNS1_3gpuE6ELNS1_3repE0EEENS1_30default_config_static_selectorELNS0_4arch9wavefront6targetE0EEEvT1_
    .private_segment_fixed_size: 0
    .sgpr_count:     0
    .sgpr_spill_count: 0
    .symbol:         _ZN7rocprim17ROCPRIM_400000_NS6detail17trampoline_kernelINS0_14default_configENS1_20scan_config_selectorIN3c107complexIfEEEEZZNS1_9scan_implILNS1_25lookback_scan_determinismE0ELb0ELb0ES3_PKS7_PS7_S7_ZZZN2at6native31launch_logcumsumexp_cuda_kernelERKNSE_10TensorBaseESI_lENKUlvE_clEvENKUlvE2_clEvEUlS7_S7_E_S7_EEDaPvRmT3_T4_T5_mT6_P12ihipStream_tbENKUlT_T0_E_clISt17integral_constantIbLb0EESZ_EEDaSU_SV_EUlSU_E_NS1_11comp_targetILNS1_3genE2ELNS1_11target_archE906ELNS1_3gpuE6ELNS1_3repE0EEENS1_30default_config_static_selectorELNS0_4arch9wavefront6targetE0EEEvT1_.kd
    .uniform_work_group_size: 1
    .uses_dynamic_stack: false
    .vgpr_count:     0
    .vgpr_spill_count: 0
    .wavefront_size: 32
    .workgroup_processor_mode: 1
  - .args:
      - .offset:         0
        .size:           104
        .value_kind:     by_value
    .group_segment_fixed_size: 0
    .kernarg_segment_align: 8
    .kernarg_segment_size: 104
    .language:       OpenCL C
    .language_version:
      - 2
      - 0
    .max_flat_workgroup_size: 256
    .name:           _ZN7rocprim17ROCPRIM_400000_NS6detail17trampoline_kernelINS0_14default_configENS1_20scan_config_selectorIN3c107complexIfEEEEZZNS1_9scan_implILNS1_25lookback_scan_determinismE0ELb0ELb0ES3_PKS7_PS7_S7_ZZZN2at6native31launch_logcumsumexp_cuda_kernelERKNSE_10TensorBaseESI_lENKUlvE_clEvENKUlvE2_clEvEUlS7_S7_E_S7_EEDaPvRmT3_T4_T5_mT6_P12ihipStream_tbENKUlT_T0_E_clISt17integral_constantIbLb0EESZ_EEDaSU_SV_EUlSU_E_NS1_11comp_targetILNS1_3genE10ELNS1_11target_archE1201ELNS1_3gpuE5ELNS1_3repE0EEENS1_30default_config_static_selectorELNS0_4arch9wavefront6targetE0EEEvT1_
    .private_segment_fixed_size: 0
    .sgpr_count:     0
    .sgpr_spill_count: 0
    .symbol:         _ZN7rocprim17ROCPRIM_400000_NS6detail17trampoline_kernelINS0_14default_configENS1_20scan_config_selectorIN3c107complexIfEEEEZZNS1_9scan_implILNS1_25lookback_scan_determinismE0ELb0ELb0ES3_PKS7_PS7_S7_ZZZN2at6native31launch_logcumsumexp_cuda_kernelERKNSE_10TensorBaseESI_lENKUlvE_clEvENKUlvE2_clEvEUlS7_S7_E_S7_EEDaPvRmT3_T4_T5_mT6_P12ihipStream_tbENKUlT_T0_E_clISt17integral_constantIbLb0EESZ_EEDaSU_SV_EUlSU_E_NS1_11comp_targetILNS1_3genE10ELNS1_11target_archE1201ELNS1_3gpuE5ELNS1_3repE0EEENS1_30default_config_static_selectorELNS0_4arch9wavefront6targetE0EEEvT1_.kd
    .uniform_work_group_size: 1
    .uses_dynamic_stack: false
    .vgpr_count:     0
    .vgpr_spill_count: 0
    .wavefront_size: 32
    .workgroup_processor_mode: 1
  - .args:
      - .offset:         0
        .size:           104
        .value_kind:     by_value
    .group_segment_fixed_size: 0
    .kernarg_segment_align: 8
    .kernarg_segment_size: 104
    .language:       OpenCL C
    .language_version:
      - 2
      - 0
    .max_flat_workgroup_size: 256
    .name:           _ZN7rocprim17ROCPRIM_400000_NS6detail17trampoline_kernelINS0_14default_configENS1_20scan_config_selectorIN3c107complexIfEEEEZZNS1_9scan_implILNS1_25lookback_scan_determinismE0ELb0ELb0ES3_PKS7_PS7_S7_ZZZN2at6native31launch_logcumsumexp_cuda_kernelERKNSE_10TensorBaseESI_lENKUlvE_clEvENKUlvE2_clEvEUlS7_S7_E_S7_EEDaPvRmT3_T4_T5_mT6_P12ihipStream_tbENKUlT_T0_E_clISt17integral_constantIbLb0EESZ_EEDaSU_SV_EUlSU_E_NS1_11comp_targetILNS1_3genE10ELNS1_11target_archE1200ELNS1_3gpuE4ELNS1_3repE0EEENS1_30default_config_static_selectorELNS0_4arch9wavefront6targetE0EEEvT1_
    .private_segment_fixed_size: 0
    .sgpr_count:     0
    .sgpr_spill_count: 0
    .symbol:         _ZN7rocprim17ROCPRIM_400000_NS6detail17trampoline_kernelINS0_14default_configENS1_20scan_config_selectorIN3c107complexIfEEEEZZNS1_9scan_implILNS1_25lookback_scan_determinismE0ELb0ELb0ES3_PKS7_PS7_S7_ZZZN2at6native31launch_logcumsumexp_cuda_kernelERKNSE_10TensorBaseESI_lENKUlvE_clEvENKUlvE2_clEvEUlS7_S7_E_S7_EEDaPvRmT3_T4_T5_mT6_P12ihipStream_tbENKUlT_T0_E_clISt17integral_constantIbLb0EESZ_EEDaSU_SV_EUlSU_E_NS1_11comp_targetILNS1_3genE10ELNS1_11target_archE1200ELNS1_3gpuE4ELNS1_3repE0EEENS1_30default_config_static_selectorELNS0_4arch9wavefront6targetE0EEEvT1_.kd
    .uniform_work_group_size: 1
    .uses_dynamic_stack: false
    .vgpr_count:     0
    .vgpr_spill_count: 0
    .wavefront_size: 32
    .workgroup_processor_mode: 1
  - .args:
      - .offset:         0
        .size:           104
        .value_kind:     by_value
    .group_segment_fixed_size: 33792
    .kernarg_segment_align: 8
    .kernarg_segment_size: 104
    .language:       OpenCL C
    .language_version:
      - 2
      - 0
    .max_flat_workgroup_size: 256
    .name:           _ZN7rocprim17ROCPRIM_400000_NS6detail17trampoline_kernelINS0_14default_configENS1_20scan_config_selectorIN3c107complexIfEEEEZZNS1_9scan_implILNS1_25lookback_scan_determinismE0ELb0ELb0ES3_PKS7_PS7_S7_ZZZN2at6native31launch_logcumsumexp_cuda_kernelERKNSE_10TensorBaseESI_lENKUlvE_clEvENKUlvE2_clEvEUlS7_S7_E_S7_EEDaPvRmT3_T4_T5_mT6_P12ihipStream_tbENKUlT_T0_E_clISt17integral_constantIbLb0EESZ_EEDaSU_SV_EUlSU_E_NS1_11comp_targetILNS1_3genE9ELNS1_11target_archE1100ELNS1_3gpuE3ELNS1_3repE0EEENS1_30default_config_static_selectorELNS0_4arch9wavefront6targetE0EEEvT1_
    .private_segment_fixed_size: 0
    .sgpr_count:     36
    .sgpr_spill_count: 0
    .symbol:         _ZN7rocprim17ROCPRIM_400000_NS6detail17trampoline_kernelINS0_14default_configENS1_20scan_config_selectorIN3c107complexIfEEEEZZNS1_9scan_implILNS1_25lookback_scan_determinismE0ELb0ELb0ES3_PKS7_PS7_S7_ZZZN2at6native31launch_logcumsumexp_cuda_kernelERKNSE_10TensorBaseESI_lENKUlvE_clEvENKUlvE2_clEvEUlS7_S7_E_S7_EEDaPvRmT3_T4_T5_mT6_P12ihipStream_tbENKUlT_T0_E_clISt17integral_constantIbLb0EESZ_EEDaSU_SV_EUlSU_E_NS1_11comp_targetILNS1_3genE9ELNS1_11target_archE1100ELNS1_3gpuE3ELNS1_3repE0EEENS1_30default_config_static_selectorELNS0_4arch9wavefront6targetE0EEEvT1_.kd
    .uniform_work_group_size: 1
    .uses_dynamic_stack: false
    .vgpr_count:     111
    .vgpr_spill_count: 0
    .wavefront_size: 32
    .workgroup_processor_mode: 1
  - .args:
      - .offset:         0
        .size:           104
        .value_kind:     by_value
    .group_segment_fixed_size: 0
    .kernarg_segment_align: 8
    .kernarg_segment_size: 104
    .language:       OpenCL C
    .language_version:
      - 2
      - 0
    .max_flat_workgroup_size: 256
    .name:           _ZN7rocprim17ROCPRIM_400000_NS6detail17trampoline_kernelINS0_14default_configENS1_20scan_config_selectorIN3c107complexIfEEEEZZNS1_9scan_implILNS1_25lookback_scan_determinismE0ELb0ELb0ES3_PKS7_PS7_S7_ZZZN2at6native31launch_logcumsumexp_cuda_kernelERKNSE_10TensorBaseESI_lENKUlvE_clEvENKUlvE2_clEvEUlS7_S7_E_S7_EEDaPvRmT3_T4_T5_mT6_P12ihipStream_tbENKUlT_T0_E_clISt17integral_constantIbLb0EESZ_EEDaSU_SV_EUlSU_E_NS1_11comp_targetILNS1_3genE8ELNS1_11target_archE1030ELNS1_3gpuE2ELNS1_3repE0EEENS1_30default_config_static_selectorELNS0_4arch9wavefront6targetE0EEEvT1_
    .private_segment_fixed_size: 0
    .sgpr_count:     0
    .sgpr_spill_count: 0
    .symbol:         _ZN7rocprim17ROCPRIM_400000_NS6detail17trampoline_kernelINS0_14default_configENS1_20scan_config_selectorIN3c107complexIfEEEEZZNS1_9scan_implILNS1_25lookback_scan_determinismE0ELb0ELb0ES3_PKS7_PS7_S7_ZZZN2at6native31launch_logcumsumexp_cuda_kernelERKNSE_10TensorBaseESI_lENKUlvE_clEvENKUlvE2_clEvEUlS7_S7_E_S7_EEDaPvRmT3_T4_T5_mT6_P12ihipStream_tbENKUlT_T0_E_clISt17integral_constantIbLb0EESZ_EEDaSU_SV_EUlSU_E_NS1_11comp_targetILNS1_3genE8ELNS1_11target_archE1030ELNS1_3gpuE2ELNS1_3repE0EEENS1_30default_config_static_selectorELNS0_4arch9wavefront6targetE0EEEvT1_.kd
    .uniform_work_group_size: 1
    .uses_dynamic_stack: false
    .vgpr_count:     0
    .vgpr_spill_count: 0
    .wavefront_size: 32
    .workgroup_processor_mode: 1
  - .args:
      - .offset:         0
        .size:           40
        .value_kind:     by_value
    .group_segment_fixed_size: 0
    .kernarg_segment_align: 8
    .kernarg_segment_size: 40
    .language:       OpenCL C
    .language_version:
      - 2
      - 0
    .max_flat_workgroup_size: 128
    .name:           _ZN7rocprim17ROCPRIM_400000_NS6detail17trampoline_kernelINS0_14default_configENS1_25transform_config_selectorIN3c107complexIfEELb1EEEZNS1_14transform_implILb1ES3_S8_PS7_SA_NS0_8identityIS7_EEEE10hipError_tT2_T3_mT4_P12ihipStream_tbEUlT_E_NS1_11comp_targetILNS1_3genE0ELNS1_11target_archE4294967295ELNS1_3gpuE0ELNS1_3repE0EEENS1_30default_config_static_selectorELNS0_4arch9wavefront6targetE0EEEvT1_
    .private_segment_fixed_size: 0
    .sgpr_count:     0
    .sgpr_spill_count: 0
    .symbol:         _ZN7rocprim17ROCPRIM_400000_NS6detail17trampoline_kernelINS0_14default_configENS1_25transform_config_selectorIN3c107complexIfEELb1EEEZNS1_14transform_implILb1ES3_S8_PS7_SA_NS0_8identityIS7_EEEE10hipError_tT2_T3_mT4_P12ihipStream_tbEUlT_E_NS1_11comp_targetILNS1_3genE0ELNS1_11target_archE4294967295ELNS1_3gpuE0ELNS1_3repE0EEENS1_30default_config_static_selectorELNS0_4arch9wavefront6targetE0EEEvT1_.kd
    .uniform_work_group_size: 1
    .uses_dynamic_stack: false
    .vgpr_count:     0
    .vgpr_spill_count: 0
    .wavefront_size: 32
    .workgroup_processor_mode: 1
  - .args:
      - .offset:         0
        .size:           40
        .value_kind:     by_value
    .group_segment_fixed_size: 0
    .kernarg_segment_align: 8
    .kernarg_segment_size: 40
    .language:       OpenCL C
    .language_version:
      - 2
      - 0
    .max_flat_workgroup_size: 1024
    .name:           _ZN7rocprim17ROCPRIM_400000_NS6detail17trampoline_kernelINS0_14default_configENS1_25transform_config_selectorIN3c107complexIfEELb1EEEZNS1_14transform_implILb1ES3_S8_PS7_SA_NS0_8identityIS7_EEEE10hipError_tT2_T3_mT4_P12ihipStream_tbEUlT_E_NS1_11comp_targetILNS1_3genE10ELNS1_11target_archE1201ELNS1_3gpuE5ELNS1_3repE0EEENS1_30default_config_static_selectorELNS0_4arch9wavefront6targetE0EEEvT1_
    .private_segment_fixed_size: 0
    .sgpr_count:     0
    .sgpr_spill_count: 0
    .symbol:         _ZN7rocprim17ROCPRIM_400000_NS6detail17trampoline_kernelINS0_14default_configENS1_25transform_config_selectorIN3c107complexIfEELb1EEEZNS1_14transform_implILb1ES3_S8_PS7_SA_NS0_8identityIS7_EEEE10hipError_tT2_T3_mT4_P12ihipStream_tbEUlT_E_NS1_11comp_targetILNS1_3genE10ELNS1_11target_archE1201ELNS1_3gpuE5ELNS1_3repE0EEENS1_30default_config_static_selectorELNS0_4arch9wavefront6targetE0EEEvT1_.kd
    .uniform_work_group_size: 1
    .uses_dynamic_stack: false
    .vgpr_count:     0
    .vgpr_spill_count: 0
    .wavefront_size: 32
    .workgroup_processor_mode: 1
  - .args:
      - .offset:         0
        .size:           40
        .value_kind:     by_value
    .group_segment_fixed_size: 0
    .kernarg_segment_align: 8
    .kernarg_segment_size: 40
    .language:       OpenCL C
    .language_version:
      - 2
      - 0
    .max_flat_workgroup_size: 512
    .name:           _ZN7rocprim17ROCPRIM_400000_NS6detail17trampoline_kernelINS0_14default_configENS1_25transform_config_selectorIN3c107complexIfEELb1EEEZNS1_14transform_implILb1ES3_S8_PS7_SA_NS0_8identityIS7_EEEE10hipError_tT2_T3_mT4_P12ihipStream_tbEUlT_E_NS1_11comp_targetILNS1_3genE5ELNS1_11target_archE942ELNS1_3gpuE9ELNS1_3repE0EEENS1_30default_config_static_selectorELNS0_4arch9wavefront6targetE0EEEvT1_
    .private_segment_fixed_size: 0
    .sgpr_count:     0
    .sgpr_spill_count: 0
    .symbol:         _ZN7rocprim17ROCPRIM_400000_NS6detail17trampoline_kernelINS0_14default_configENS1_25transform_config_selectorIN3c107complexIfEELb1EEEZNS1_14transform_implILb1ES3_S8_PS7_SA_NS0_8identityIS7_EEEE10hipError_tT2_T3_mT4_P12ihipStream_tbEUlT_E_NS1_11comp_targetILNS1_3genE5ELNS1_11target_archE942ELNS1_3gpuE9ELNS1_3repE0EEENS1_30default_config_static_selectorELNS0_4arch9wavefront6targetE0EEEvT1_.kd
    .uniform_work_group_size: 1
    .uses_dynamic_stack: false
    .vgpr_count:     0
    .vgpr_spill_count: 0
    .wavefront_size: 32
    .workgroup_processor_mode: 1
  - .args:
      - .offset:         0
        .size:           40
        .value_kind:     by_value
    .group_segment_fixed_size: 0
    .kernarg_segment_align: 8
    .kernarg_segment_size: 40
    .language:       OpenCL C
    .language_version:
      - 2
      - 0
    .max_flat_workgroup_size: 1024
    .name:           _ZN7rocprim17ROCPRIM_400000_NS6detail17trampoline_kernelINS0_14default_configENS1_25transform_config_selectorIN3c107complexIfEELb1EEEZNS1_14transform_implILb1ES3_S8_PS7_SA_NS0_8identityIS7_EEEE10hipError_tT2_T3_mT4_P12ihipStream_tbEUlT_E_NS1_11comp_targetILNS1_3genE4ELNS1_11target_archE910ELNS1_3gpuE8ELNS1_3repE0EEENS1_30default_config_static_selectorELNS0_4arch9wavefront6targetE0EEEvT1_
    .private_segment_fixed_size: 0
    .sgpr_count:     0
    .sgpr_spill_count: 0
    .symbol:         _ZN7rocprim17ROCPRIM_400000_NS6detail17trampoline_kernelINS0_14default_configENS1_25transform_config_selectorIN3c107complexIfEELb1EEEZNS1_14transform_implILb1ES3_S8_PS7_SA_NS0_8identityIS7_EEEE10hipError_tT2_T3_mT4_P12ihipStream_tbEUlT_E_NS1_11comp_targetILNS1_3genE4ELNS1_11target_archE910ELNS1_3gpuE8ELNS1_3repE0EEENS1_30default_config_static_selectorELNS0_4arch9wavefront6targetE0EEEvT1_.kd
    .uniform_work_group_size: 1
    .uses_dynamic_stack: false
    .vgpr_count:     0
    .vgpr_spill_count: 0
    .wavefront_size: 32
    .workgroup_processor_mode: 1
  - .args:
      - .offset:         0
        .size:           40
        .value_kind:     by_value
    .group_segment_fixed_size: 0
    .kernarg_segment_align: 8
    .kernarg_segment_size: 40
    .language:       OpenCL C
    .language_version:
      - 2
      - 0
    .max_flat_workgroup_size: 128
    .name:           _ZN7rocprim17ROCPRIM_400000_NS6detail17trampoline_kernelINS0_14default_configENS1_25transform_config_selectorIN3c107complexIfEELb1EEEZNS1_14transform_implILb1ES3_S8_PS7_SA_NS0_8identityIS7_EEEE10hipError_tT2_T3_mT4_P12ihipStream_tbEUlT_E_NS1_11comp_targetILNS1_3genE3ELNS1_11target_archE908ELNS1_3gpuE7ELNS1_3repE0EEENS1_30default_config_static_selectorELNS0_4arch9wavefront6targetE0EEEvT1_
    .private_segment_fixed_size: 0
    .sgpr_count:     0
    .sgpr_spill_count: 0
    .symbol:         _ZN7rocprim17ROCPRIM_400000_NS6detail17trampoline_kernelINS0_14default_configENS1_25transform_config_selectorIN3c107complexIfEELb1EEEZNS1_14transform_implILb1ES3_S8_PS7_SA_NS0_8identityIS7_EEEE10hipError_tT2_T3_mT4_P12ihipStream_tbEUlT_E_NS1_11comp_targetILNS1_3genE3ELNS1_11target_archE908ELNS1_3gpuE7ELNS1_3repE0EEENS1_30default_config_static_selectorELNS0_4arch9wavefront6targetE0EEEvT1_.kd
    .uniform_work_group_size: 1
    .uses_dynamic_stack: false
    .vgpr_count:     0
    .vgpr_spill_count: 0
    .wavefront_size: 32
    .workgroup_processor_mode: 1
  - .args:
      - .offset:         0
        .size:           40
        .value_kind:     by_value
    .group_segment_fixed_size: 0
    .kernarg_segment_align: 8
    .kernarg_segment_size: 40
    .language:       OpenCL C
    .language_version:
      - 2
      - 0
    .max_flat_workgroup_size: 512
    .name:           _ZN7rocprim17ROCPRIM_400000_NS6detail17trampoline_kernelINS0_14default_configENS1_25transform_config_selectorIN3c107complexIfEELb1EEEZNS1_14transform_implILb1ES3_S8_PS7_SA_NS0_8identityIS7_EEEE10hipError_tT2_T3_mT4_P12ihipStream_tbEUlT_E_NS1_11comp_targetILNS1_3genE2ELNS1_11target_archE906ELNS1_3gpuE6ELNS1_3repE0EEENS1_30default_config_static_selectorELNS0_4arch9wavefront6targetE0EEEvT1_
    .private_segment_fixed_size: 0
    .sgpr_count:     0
    .sgpr_spill_count: 0
    .symbol:         _ZN7rocprim17ROCPRIM_400000_NS6detail17trampoline_kernelINS0_14default_configENS1_25transform_config_selectorIN3c107complexIfEELb1EEEZNS1_14transform_implILb1ES3_S8_PS7_SA_NS0_8identityIS7_EEEE10hipError_tT2_T3_mT4_P12ihipStream_tbEUlT_E_NS1_11comp_targetILNS1_3genE2ELNS1_11target_archE906ELNS1_3gpuE6ELNS1_3repE0EEENS1_30default_config_static_selectorELNS0_4arch9wavefront6targetE0EEEvT1_.kd
    .uniform_work_group_size: 1
    .uses_dynamic_stack: false
    .vgpr_count:     0
    .vgpr_spill_count: 0
    .wavefront_size: 32
    .workgroup_processor_mode: 1
  - .args:
      - .offset:         0
        .size:           40
        .value_kind:     by_value
      - .offset:         40
        .size:           4
        .value_kind:     hidden_block_count_x
      - .offset:         44
        .size:           4
        .value_kind:     hidden_block_count_y
      - .offset:         48
        .size:           4
        .value_kind:     hidden_block_count_z
      - .offset:         52
        .size:           2
        .value_kind:     hidden_group_size_x
      - .offset:         54
        .size:           2
        .value_kind:     hidden_group_size_y
      - .offset:         56
        .size:           2
        .value_kind:     hidden_group_size_z
      - .offset:         58
        .size:           2
        .value_kind:     hidden_remainder_x
      - .offset:         60
        .size:           2
        .value_kind:     hidden_remainder_y
      - .offset:         62
        .size:           2
        .value_kind:     hidden_remainder_z
      - .offset:         80
        .size:           8
        .value_kind:     hidden_global_offset_x
      - .offset:         88
        .size:           8
        .value_kind:     hidden_global_offset_y
      - .offset:         96
        .size:           8
        .value_kind:     hidden_global_offset_z
      - .offset:         104
        .size:           2
        .value_kind:     hidden_grid_dims
    .group_segment_fixed_size: 0
    .kernarg_segment_align: 8
    .kernarg_segment_size: 296
    .language:       OpenCL C
    .language_version:
      - 2
      - 0
    .max_flat_workgroup_size: 1024
    .name:           _ZN7rocprim17ROCPRIM_400000_NS6detail17trampoline_kernelINS0_14default_configENS1_25transform_config_selectorIN3c107complexIfEELb1EEEZNS1_14transform_implILb1ES3_S8_PS7_SA_NS0_8identityIS7_EEEE10hipError_tT2_T3_mT4_P12ihipStream_tbEUlT_E_NS1_11comp_targetILNS1_3genE9ELNS1_11target_archE1100ELNS1_3gpuE3ELNS1_3repE0EEENS1_30default_config_static_selectorELNS0_4arch9wavefront6targetE0EEEvT1_
    .private_segment_fixed_size: 0
    .sgpr_count:     18
    .sgpr_spill_count: 0
    .symbol:         _ZN7rocprim17ROCPRIM_400000_NS6detail17trampoline_kernelINS0_14default_configENS1_25transform_config_selectorIN3c107complexIfEELb1EEEZNS1_14transform_implILb1ES3_S8_PS7_SA_NS0_8identityIS7_EEEE10hipError_tT2_T3_mT4_P12ihipStream_tbEUlT_E_NS1_11comp_targetILNS1_3genE9ELNS1_11target_archE1100ELNS1_3gpuE3ELNS1_3repE0EEENS1_30default_config_static_selectorELNS0_4arch9wavefront6targetE0EEEvT1_.kd
    .uniform_work_group_size: 1
    .uses_dynamic_stack: false
    .vgpr_count:     7
    .vgpr_spill_count: 0
    .wavefront_size: 32
    .workgroup_processor_mode: 1
  - .args:
      - .offset:         0
        .size:           40
        .value_kind:     by_value
    .group_segment_fixed_size: 0
    .kernarg_segment_align: 8
    .kernarg_segment_size: 40
    .language:       OpenCL C
    .language_version:
      - 2
      - 0
    .max_flat_workgroup_size: 1024
    .name:           _ZN7rocprim17ROCPRIM_400000_NS6detail17trampoline_kernelINS0_14default_configENS1_25transform_config_selectorIN3c107complexIfEELb1EEEZNS1_14transform_implILb1ES3_S8_PS7_SA_NS0_8identityIS7_EEEE10hipError_tT2_T3_mT4_P12ihipStream_tbEUlT_E_NS1_11comp_targetILNS1_3genE8ELNS1_11target_archE1030ELNS1_3gpuE2ELNS1_3repE0EEENS1_30default_config_static_selectorELNS0_4arch9wavefront6targetE0EEEvT1_
    .private_segment_fixed_size: 0
    .sgpr_count:     0
    .sgpr_spill_count: 0
    .symbol:         _ZN7rocprim17ROCPRIM_400000_NS6detail17trampoline_kernelINS0_14default_configENS1_25transform_config_selectorIN3c107complexIfEELb1EEEZNS1_14transform_implILb1ES3_S8_PS7_SA_NS0_8identityIS7_EEEE10hipError_tT2_T3_mT4_P12ihipStream_tbEUlT_E_NS1_11comp_targetILNS1_3genE8ELNS1_11target_archE1030ELNS1_3gpuE2ELNS1_3repE0EEENS1_30default_config_static_selectorELNS0_4arch9wavefront6targetE0EEEvT1_.kd
    .uniform_work_group_size: 1
    .uses_dynamic_stack: false
    .vgpr_count:     0
    .vgpr_spill_count: 0
    .wavefront_size: 32
    .workgroup_processor_mode: 1
  - .args:
      - .offset:         0
        .size:           40
        .value_kind:     by_value
    .group_segment_fixed_size: 0
    .kernarg_segment_align: 8
    .kernarg_segment_size: 40
    .language:       OpenCL C
    .language_version:
      - 2
      - 0
    .max_flat_workgroup_size: 256
    .name:           _ZN7rocprim17ROCPRIM_400000_NS6detail17trampoline_kernelINS0_14default_configENS1_20scan_config_selectorIN3c107complexIfEEEEZZNS1_9scan_implILNS1_25lookback_scan_determinismE0ELb0ELb0ES3_PKS7_PS7_S7_ZZZN2at6native31launch_logcumsumexp_cuda_kernelERKNSE_10TensorBaseESI_lENKUlvE_clEvENKUlvE2_clEvEUlS7_S7_E_S7_EEDaPvRmT3_T4_T5_mT6_P12ihipStream_tbENKUlT_T0_E_clISt17integral_constantIbLb0EESZ_EEDaSU_SV_EUlSU_E0_NS1_11comp_targetILNS1_3genE0ELNS1_11target_archE4294967295ELNS1_3gpuE0ELNS1_3repE0EEENS1_30default_config_static_selectorELNS0_4arch9wavefront6targetE0EEEvT1_
    .private_segment_fixed_size: 0
    .sgpr_count:     0
    .sgpr_spill_count: 0
    .symbol:         _ZN7rocprim17ROCPRIM_400000_NS6detail17trampoline_kernelINS0_14default_configENS1_20scan_config_selectorIN3c107complexIfEEEEZZNS1_9scan_implILNS1_25lookback_scan_determinismE0ELb0ELb0ES3_PKS7_PS7_S7_ZZZN2at6native31launch_logcumsumexp_cuda_kernelERKNSE_10TensorBaseESI_lENKUlvE_clEvENKUlvE2_clEvEUlS7_S7_E_S7_EEDaPvRmT3_T4_T5_mT6_P12ihipStream_tbENKUlT_T0_E_clISt17integral_constantIbLb0EESZ_EEDaSU_SV_EUlSU_E0_NS1_11comp_targetILNS1_3genE0ELNS1_11target_archE4294967295ELNS1_3gpuE0ELNS1_3repE0EEENS1_30default_config_static_selectorELNS0_4arch9wavefront6targetE0EEEvT1_.kd
    .uniform_work_group_size: 1
    .uses_dynamic_stack: false
    .vgpr_count:     0
    .vgpr_spill_count: 0
    .wavefront_size: 32
    .workgroup_processor_mode: 1
  - .args:
      - .offset:         0
        .size:           40
        .value_kind:     by_value
    .group_segment_fixed_size: 0
    .kernarg_segment_align: 8
    .kernarg_segment_size: 40
    .language:       OpenCL C
    .language_version:
      - 2
      - 0
    .max_flat_workgroup_size: 256
    .name:           _ZN7rocprim17ROCPRIM_400000_NS6detail17trampoline_kernelINS0_14default_configENS1_20scan_config_selectorIN3c107complexIfEEEEZZNS1_9scan_implILNS1_25lookback_scan_determinismE0ELb0ELb0ES3_PKS7_PS7_S7_ZZZN2at6native31launch_logcumsumexp_cuda_kernelERKNSE_10TensorBaseESI_lENKUlvE_clEvENKUlvE2_clEvEUlS7_S7_E_S7_EEDaPvRmT3_T4_T5_mT6_P12ihipStream_tbENKUlT_T0_E_clISt17integral_constantIbLb0EESZ_EEDaSU_SV_EUlSU_E0_NS1_11comp_targetILNS1_3genE5ELNS1_11target_archE942ELNS1_3gpuE9ELNS1_3repE0EEENS1_30default_config_static_selectorELNS0_4arch9wavefront6targetE0EEEvT1_
    .private_segment_fixed_size: 0
    .sgpr_count:     0
    .sgpr_spill_count: 0
    .symbol:         _ZN7rocprim17ROCPRIM_400000_NS6detail17trampoline_kernelINS0_14default_configENS1_20scan_config_selectorIN3c107complexIfEEEEZZNS1_9scan_implILNS1_25lookback_scan_determinismE0ELb0ELb0ES3_PKS7_PS7_S7_ZZZN2at6native31launch_logcumsumexp_cuda_kernelERKNSE_10TensorBaseESI_lENKUlvE_clEvENKUlvE2_clEvEUlS7_S7_E_S7_EEDaPvRmT3_T4_T5_mT6_P12ihipStream_tbENKUlT_T0_E_clISt17integral_constantIbLb0EESZ_EEDaSU_SV_EUlSU_E0_NS1_11comp_targetILNS1_3genE5ELNS1_11target_archE942ELNS1_3gpuE9ELNS1_3repE0EEENS1_30default_config_static_selectorELNS0_4arch9wavefront6targetE0EEEvT1_.kd
    .uniform_work_group_size: 1
    .uses_dynamic_stack: false
    .vgpr_count:     0
    .vgpr_spill_count: 0
    .wavefront_size: 32
    .workgroup_processor_mode: 1
  - .args:
      - .offset:         0
        .size:           40
        .value_kind:     by_value
    .group_segment_fixed_size: 0
    .kernarg_segment_align: 8
    .kernarg_segment_size: 40
    .language:       OpenCL C
    .language_version:
      - 2
      - 0
    .max_flat_workgroup_size: 128
    .name:           _ZN7rocprim17ROCPRIM_400000_NS6detail17trampoline_kernelINS0_14default_configENS1_20scan_config_selectorIN3c107complexIfEEEEZZNS1_9scan_implILNS1_25lookback_scan_determinismE0ELb0ELb0ES3_PKS7_PS7_S7_ZZZN2at6native31launch_logcumsumexp_cuda_kernelERKNSE_10TensorBaseESI_lENKUlvE_clEvENKUlvE2_clEvEUlS7_S7_E_S7_EEDaPvRmT3_T4_T5_mT6_P12ihipStream_tbENKUlT_T0_E_clISt17integral_constantIbLb0EESZ_EEDaSU_SV_EUlSU_E0_NS1_11comp_targetILNS1_3genE4ELNS1_11target_archE910ELNS1_3gpuE8ELNS1_3repE0EEENS1_30default_config_static_selectorELNS0_4arch9wavefront6targetE0EEEvT1_
    .private_segment_fixed_size: 0
    .sgpr_count:     0
    .sgpr_spill_count: 0
    .symbol:         _ZN7rocprim17ROCPRIM_400000_NS6detail17trampoline_kernelINS0_14default_configENS1_20scan_config_selectorIN3c107complexIfEEEEZZNS1_9scan_implILNS1_25lookback_scan_determinismE0ELb0ELb0ES3_PKS7_PS7_S7_ZZZN2at6native31launch_logcumsumexp_cuda_kernelERKNSE_10TensorBaseESI_lENKUlvE_clEvENKUlvE2_clEvEUlS7_S7_E_S7_EEDaPvRmT3_T4_T5_mT6_P12ihipStream_tbENKUlT_T0_E_clISt17integral_constantIbLb0EESZ_EEDaSU_SV_EUlSU_E0_NS1_11comp_targetILNS1_3genE4ELNS1_11target_archE910ELNS1_3gpuE8ELNS1_3repE0EEENS1_30default_config_static_selectorELNS0_4arch9wavefront6targetE0EEEvT1_.kd
    .uniform_work_group_size: 1
    .uses_dynamic_stack: false
    .vgpr_count:     0
    .vgpr_spill_count: 0
    .wavefront_size: 32
    .workgroup_processor_mode: 1
  - .args:
      - .offset:         0
        .size:           40
        .value_kind:     by_value
    .group_segment_fixed_size: 0
    .kernarg_segment_align: 8
    .kernarg_segment_size: 40
    .language:       OpenCL C
    .language_version:
      - 2
      - 0
    .max_flat_workgroup_size: 256
    .name:           _ZN7rocprim17ROCPRIM_400000_NS6detail17trampoline_kernelINS0_14default_configENS1_20scan_config_selectorIN3c107complexIfEEEEZZNS1_9scan_implILNS1_25lookback_scan_determinismE0ELb0ELb0ES3_PKS7_PS7_S7_ZZZN2at6native31launch_logcumsumexp_cuda_kernelERKNSE_10TensorBaseESI_lENKUlvE_clEvENKUlvE2_clEvEUlS7_S7_E_S7_EEDaPvRmT3_T4_T5_mT6_P12ihipStream_tbENKUlT_T0_E_clISt17integral_constantIbLb0EESZ_EEDaSU_SV_EUlSU_E0_NS1_11comp_targetILNS1_3genE3ELNS1_11target_archE908ELNS1_3gpuE7ELNS1_3repE0EEENS1_30default_config_static_selectorELNS0_4arch9wavefront6targetE0EEEvT1_
    .private_segment_fixed_size: 0
    .sgpr_count:     0
    .sgpr_spill_count: 0
    .symbol:         _ZN7rocprim17ROCPRIM_400000_NS6detail17trampoline_kernelINS0_14default_configENS1_20scan_config_selectorIN3c107complexIfEEEEZZNS1_9scan_implILNS1_25lookback_scan_determinismE0ELb0ELb0ES3_PKS7_PS7_S7_ZZZN2at6native31launch_logcumsumexp_cuda_kernelERKNSE_10TensorBaseESI_lENKUlvE_clEvENKUlvE2_clEvEUlS7_S7_E_S7_EEDaPvRmT3_T4_T5_mT6_P12ihipStream_tbENKUlT_T0_E_clISt17integral_constantIbLb0EESZ_EEDaSU_SV_EUlSU_E0_NS1_11comp_targetILNS1_3genE3ELNS1_11target_archE908ELNS1_3gpuE7ELNS1_3repE0EEENS1_30default_config_static_selectorELNS0_4arch9wavefront6targetE0EEEvT1_.kd
    .uniform_work_group_size: 1
    .uses_dynamic_stack: false
    .vgpr_count:     0
    .vgpr_spill_count: 0
    .wavefront_size: 32
    .workgroup_processor_mode: 1
  - .args:
      - .offset:         0
        .size:           40
        .value_kind:     by_value
    .group_segment_fixed_size: 0
    .kernarg_segment_align: 8
    .kernarg_segment_size: 40
    .language:       OpenCL C
    .language_version:
      - 2
      - 0
    .max_flat_workgroup_size: 64
    .name:           _ZN7rocprim17ROCPRIM_400000_NS6detail17trampoline_kernelINS0_14default_configENS1_20scan_config_selectorIN3c107complexIfEEEEZZNS1_9scan_implILNS1_25lookback_scan_determinismE0ELb0ELb0ES3_PKS7_PS7_S7_ZZZN2at6native31launch_logcumsumexp_cuda_kernelERKNSE_10TensorBaseESI_lENKUlvE_clEvENKUlvE2_clEvEUlS7_S7_E_S7_EEDaPvRmT3_T4_T5_mT6_P12ihipStream_tbENKUlT_T0_E_clISt17integral_constantIbLb0EESZ_EEDaSU_SV_EUlSU_E0_NS1_11comp_targetILNS1_3genE2ELNS1_11target_archE906ELNS1_3gpuE6ELNS1_3repE0EEENS1_30default_config_static_selectorELNS0_4arch9wavefront6targetE0EEEvT1_
    .private_segment_fixed_size: 0
    .sgpr_count:     0
    .sgpr_spill_count: 0
    .symbol:         _ZN7rocprim17ROCPRIM_400000_NS6detail17trampoline_kernelINS0_14default_configENS1_20scan_config_selectorIN3c107complexIfEEEEZZNS1_9scan_implILNS1_25lookback_scan_determinismE0ELb0ELb0ES3_PKS7_PS7_S7_ZZZN2at6native31launch_logcumsumexp_cuda_kernelERKNSE_10TensorBaseESI_lENKUlvE_clEvENKUlvE2_clEvEUlS7_S7_E_S7_EEDaPvRmT3_T4_T5_mT6_P12ihipStream_tbENKUlT_T0_E_clISt17integral_constantIbLb0EESZ_EEDaSU_SV_EUlSU_E0_NS1_11comp_targetILNS1_3genE2ELNS1_11target_archE906ELNS1_3gpuE6ELNS1_3repE0EEENS1_30default_config_static_selectorELNS0_4arch9wavefront6targetE0EEEvT1_.kd
    .uniform_work_group_size: 1
    .uses_dynamic_stack: false
    .vgpr_count:     0
    .vgpr_spill_count: 0
    .wavefront_size: 32
    .workgroup_processor_mode: 1
  - .args:
      - .offset:         0
        .size:           40
        .value_kind:     by_value
    .group_segment_fixed_size: 0
    .kernarg_segment_align: 8
    .kernarg_segment_size: 40
    .language:       OpenCL C
    .language_version:
      - 2
      - 0
    .max_flat_workgroup_size: 256
    .name:           _ZN7rocprim17ROCPRIM_400000_NS6detail17trampoline_kernelINS0_14default_configENS1_20scan_config_selectorIN3c107complexIfEEEEZZNS1_9scan_implILNS1_25lookback_scan_determinismE0ELb0ELb0ES3_PKS7_PS7_S7_ZZZN2at6native31launch_logcumsumexp_cuda_kernelERKNSE_10TensorBaseESI_lENKUlvE_clEvENKUlvE2_clEvEUlS7_S7_E_S7_EEDaPvRmT3_T4_T5_mT6_P12ihipStream_tbENKUlT_T0_E_clISt17integral_constantIbLb0EESZ_EEDaSU_SV_EUlSU_E0_NS1_11comp_targetILNS1_3genE10ELNS1_11target_archE1201ELNS1_3gpuE5ELNS1_3repE0EEENS1_30default_config_static_selectorELNS0_4arch9wavefront6targetE0EEEvT1_
    .private_segment_fixed_size: 0
    .sgpr_count:     0
    .sgpr_spill_count: 0
    .symbol:         _ZN7rocprim17ROCPRIM_400000_NS6detail17trampoline_kernelINS0_14default_configENS1_20scan_config_selectorIN3c107complexIfEEEEZZNS1_9scan_implILNS1_25lookback_scan_determinismE0ELb0ELb0ES3_PKS7_PS7_S7_ZZZN2at6native31launch_logcumsumexp_cuda_kernelERKNSE_10TensorBaseESI_lENKUlvE_clEvENKUlvE2_clEvEUlS7_S7_E_S7_EEDaPvRmT3_T4_T5_mT6_P12ihipStream_tbENKUlT_T0_E_clISt17integral_constantIbLb0EESZ_EEDaSU_SV_EUlSU_E0_NS1_11comp_targetILNS1_3genE10ELNS1_11target_archE1201ELNS1_3gpuE5ELNS1_3repE0EEENS1_30default_config_static_selectorELNS0_4arch9wavefront6targetE0EEEvT1_.kd
    .uniform_work_group_size: 1
    .uses_dynamic_stack: false
    .vgpr_count:     0
    .vgpr_spill_count: 0
    .wavefront_size: 32
    .workgroup_processor_mode: 1
  - .args:
      - .offset:         0
        .size:           40
        .value_kind:     by_value
    .group_segment_fixed_size: 0
    .kernarg_segment_align: 8
    .kernarg_segment_size: 40
    .language:       OpenCL C
    .language_version:
      - 2
      - 0
    .max_flat_workgroup_size: 256
    .name:           _ZN7rocprim17ROCPRIM_400000_NS6detail17trampoline_kernelINS0_14default_configENS1_20scan_config_selectorIN3c107complexIfEEEEZZNS1_9scan_implILNS1_25lookback_scan_determinismE0ELb0ELb0ES3_PKS7_PS7_S7_ZZZN2at6native31launch_logcumsumexp_cuda_kernelERKNSE_10TensorBaseESI_lENKUlvE_clEvENKUlvE2_clEvEUlS7_S7_E_S7_EEDaPvRmT3_T4_T5_mT6_P12ihipStream_tbENKUlT_T0_E_clISt17integral_constantIbLb0EESZ_EEDaSU_SV_EUlSU_E0_NS1_11comp_targetILNS1_3genE10ELNS1_11target_archE1200ELNS1_3gpuE4ELNS1_3repE0EEENS1_30default_config_static_selectorELNS0_4arch9wavefront6targetE0EEEvT1_
    .private_segment_fixed_size: 0
    .sgpr_count:     0
    .sgpr_spill_count: 0
    .symbol:         _ZN7rocprim17ROCPRIM_400000_NS6detail17trampoline_kernelINS0_14default_configENS1_20scan_config_selectorIN3c107complexIfEEEEZZNS1_9scan_implILNS1_25lookback_scan_determinismE0ELb0ELb0ES3_PKS7_PS7_S7_ZZZN2at6native31launch_logcumsumexp_cuda_kernelERKNSE_10TensorBaseESI_lENKUlvE_clEvENKUlvE2_clEvEUlS7_S7_E_S7_EEDaPvRmT3_T4_T5_mT6_P12ihipStream_tbENKUlT_T0_E_clISt17integral_constantIbLb0EESZ_EEDaSU_SV_EUlSU_E0_NS1_11comp_targetILNS1_3genE10ELNS1_11target_archE1200ELNS1_3gpuE4ELNS1_3repE0EEENS1_30default_config_static_selectorELNS0_4arch9wavefront6targetE0EEEvT1_.kd
    .uniform_work_group_size: 1
    .uses_dynamic_stack: false
    .vgpr_count:     0
    .vgpr_spill_count: 0
    .wavefront_size: 32
    .workgroup_processor_mode: 1
  - .args:
      - .offset:         0
        .size:           40
        .value_kind:     by_value
    .group_segment_fixed_size: 33792
    .kernarg_segment_align: 8
    .kernarg_segment_size: 40
    .language:       OpenCL C
    .language_version:
      - 2
      - 0
    .max_flat_workgroup_size: 256
    .name:           _ZN7rocprim17ROCPRIM_400000_NS6detail17trampoline_kernelINS0_14default_configENS1_20scan_config_selectorIN3c107complexIfEEEEZZNS1_9scan_implILNS1_25lookback_scan_determinismE0ELb0ELb0ES3_PKS7_PS7_S7_ZZZN2at6native31launch_logcumsumexp_cuda_kernelERKNSE_10TensorBaseESI_lENKUlvE_clEvENKUlvE2_clEvEUlS7_S7_E_S7_EEDaPvRmT3_T4_T5_mT6_P12ihipStream_tbENKUlT_T0_E_clISt17integral_constantIbLb0EESZ_EEDaSU_SV_EUlSU_E0_NS1_11comp_targetILNS1_3genE9ELNS1_11target_archE1100ELNS1_3gpuE3ELNS1_3repE0EEENS1_30default_config_static_selectorELNS0_4arch9wavefront6targetE0EEEvT1_
    .private_segment_fixed_size: 0
    .sgpr_count:     35
    .sgpr_spill_count: 0
    .symbol:         _ZN7rocprim17ROCPRIM_400000_NS6detail17trampoline_kernelINS0_14default_configENS1_20scan_config_selectorIN3c107complexIfEEEEZZNS1_9scan_implILNS1_25lookback_scan_determinismE0ELb0ELb0ES3_PKS7_PS7_S7_ZZZN2at6native31launch_logcumsumexp_cuda_kernelERKNSE_10TensorBaseESI_lENKUlvE_clEvENKUlvE2_clEvEUlS7_S7_E_S7_EEDaPvRmT3_T4_T5_mT6_P12ihipStream_tbENKUlT_T0_E_clISt17integral_constantIbLb0EESZ_EEDaSU_SV_EUlSU_E0_NS1_11comp_targetILNS1_3genE9ELNS1_11target_archE1100ELNS1_3gpuE3ELNS1_3repE0EEENS1_30default_config_static_selectorELNS0_4arch9wavefront6targetE0EEEvT1_.kd
    .uniform_work_group_size: 1
    .uses_dynamic_stack: false
    .vgpr_count:     110
    .vgpr_spill_count: 0
    .wavefront_size: 32
    .workgroup_processor_mode: 1
  - .args:
      - .offset:         0
        .size:           40
        .value_kind:     by_value
    .group_segment_fixed_size: 0
    .kernarg_segment_align: 8
    .kernarg_segment_size: 40
    .language:       OpenCL C
    .language_version:
      - 2
      - 0
    .max_flat_workgroup_size: 256
    .name:           _ZN7rocprim17ROCPRIM_400000_NS6detail17trampoline_kernelINS0_14default_configENS1_20scan_config_selectorIN3c107complexIfEEEEZZNS1_9scan_implILNS1_25lookback_scan_determinismE0ELb0ELb0ES3_PKS7_PS7_S7_ZZZN2at6native31launch_logcumsumexp_cuda_kernelERKNSE_10TensorBaseESI_lENKUlvE_clEvENKUlvE2_clEvEUlS7_S7_E_S7_EEDaPvRmT3_T4_T5_mT6_P12ihipStream_tbENKUlT_T0_E_clISt17integral_constantIbLb0EESZ_EEDaSU_SV_EUlSU_E0_NS1_11comp_targetILNS1_3genE8ELNS1_11target_archE1030ELNS1_3gpuE2ELNS1_3repE0EEENS1_30default_config_static_selectorELNS0_4arch9wavefront6targetE0EEEvT1_
    .private_segment_fixed_size: 0
    .sgpr_count:     0
    .sgpr_spill_count: 0
    .symbol:         _ZN7rocprim17ROCPRIM_400000_NS6detail17trampoline_kernelINS0_14default_configENS1_20scan_config_selectorIN3c107complexIfEEEEZZNS1_9scan_implILNS1_25lookback_scan_determinismE0ELb0ELb0ES3_PKS7_PS7_S7_ZZZN2at6native31launch_logcumsumexp_cuda_kernelERKNSE_10TensorBaseESI_lENKUlvE_clEvENKUlvE2_clEvEUlS7_S7_E_S7_EEDaPvRmT3_T4_T5_mT6_P12ihipStream_tbENKUlT_T0_E_clISt17integral_constantIbLb0EESZ_EEDaSU_SV_EUlSU_E0_NS1_11comp_targetILNS1_3genE8ELNS1_11target_archE1030ELNS1_3gpuE2ELNS1_3repE0EEENS1_30default_config_static_selectorELNS0_4arch9wavefront6targetE0EEEvT1_.kd
    .uniform_work_group_size: 1
    .uses_dynamic_stack: false
    .vgpr_count:     0
    .vgpr_spill_count: 0
    .wavefront_size: 32
    .workgroup_processor_mode: 1
  - .args:
      - .address_space:  global
        .offset:         0
        .size:           8
        .value_kind:     global_buffer
      - .offset:         8
        .size:           4
        .value_kind:     by_value
      - .address_space:  global
        .offset:         16
        .size:           8
        .value_kind:     global_buffer
      - .offset:         24
        .size:           4
        .value_kind:     by_value
      - .address_space:  global
        .offset:         32
        .size:           8
        .value_kind:     global_buffer
      - .offset:         40
        .size:           4
        .value_kind:     hidden_block_count_x
      - .offset:         44
        .size:           4
        .value_kind:     hidden_block_count_y
      - .offset:         48
        .size:           4
        .value_kind:     hidden_block_count_z
      - .offset:         52
        .size:           2
        .value_kind:     hidden_group_size_x
      - .offset:         54
        .size:           2
        .value_kind:     hidden_group_size_y
      - .offset:         56
        .size:           2
        .value_kind:     hidden_group_size_z
      - .offset:         58
        .size:           2
        .value_kind:     hidden_remainder_x
      - .offset:         60
        .size:           2
        .value_kind:     hidden_remainder_y
      - .offset:         62
        .size:           2
        .value_kind:     hidden_remainder_z
      - .offset:         80
        .size:           8
        .value_kind:     hidden_global_offset_x
      - .offset:         88
        .size:           8
        .value_kind:     hidden_global_offset_y
      - .offset:         96
        .size:           8
        .value_kind:     hidden_global_offset_z
      - .offset:         104
        .size:           2
        .value_kind:     hidden_grid_dims
    .group_segment_fixed_size: 0
    .kernarg_segment_align: 8
    .kernarg_segment_size: 296
    .language:       OpenCL C
    .language_version:
      - 2
      - 0
    .max_flat_workgroup_size: 256
    .name:           _ZN7rocprim17ROCPRIM_400000_NS6detail31init_lookback_scan_state_kernelINS1_19lookback_scan_stateIN3c107complexIfEELb1ELb1EEENS1_16block_id_wrapperIjLb1EEEEEvT_jT0_jPNSA_10value_typeE
    .private_segment_fixed_size: 0
    .sgpr_count:     18
    .sgpr_spill_count: 0
    .symbol:         _ZN7rocprim17ROCPRIM_400000_NS6detail31init_lookback_scan_state_kernelINS1_19lookback_scan_stateIN3c107complexIfEELb1ELb1EEENS1_16block_id_wrapperIjLb1EEEEEvT_jT0_jPNSA_10value_typeE.kd
    .uniform_work_group_size: 1
    .uses_dynamic_stack: false
    .vgpr_count:     9
    .vgpr_spill_count: 0
    .wavefront_size: 32
    .workgroup_processor_mode: 1
  - .args:
      - .offset:         0
        .size:           104
        .value_kind:     by_value
    .group_segment_fixed_size: 0
    .kernarg_segment_align: 8
    .kernarg_segment_size: 104
    .language:       OpenCL C
    .language_version:
      - 2
      - 0
    .max_flat_workgroup_size: 256
    .name:           _ZN7rocprim17ROCPRIM_400000_NS6detail17trampoline_kernelINS0_14default_configENS1_20scan_config_selectorIN3c107complexIfEEEEZZNS1_9scan_implILNS1_25lookback_scan_determinismE0ELb0ELb0ES3_PKS7_PS7_S7_ZZZN2at6native31launch_logcumsumexp_cuda_kernelERKNSE_10TensorBaseESI_lENKUlvE_clEvENKUlvE2_clEvEUlS7_S7_E_S7_EEDaPvRmT3_T4_T5_mT6_P12ihipStream_tbENKUlT_T0_E_clISt17integral_constantIbLb1EESZ_EEDaSU_SV_EUlSU_E_NS1_11comp_targetILNS1_3genE0ELNS1_11target_archE4294967295ELNS1_3gpuE0ELNS1_3repE0EEENS1_30default_config_static_selectorELNS0_4arch9wavefront6targetE0EEEvT1_
    .private_segment_fixed_size: 0
    .sgpr_count:     0
    .sgpr_spill_count: 0
    .symbol:         _ZN7rocprim17ROCPRIM_400000_NS6detail17trampoline_kernelINS0_14default_configENS1_20scan_config_selectorIN3c107complexIfEEEEZZNS1_9scan_implILNS1_25lookback_scan_determinismE0ELb0ELb0ES3_PKS7_PS7_S7_ZZZN2at6native31launch_logcumsumexp_cuda_kernelERKNSE_10TensorBaseESI_lENKUlvE_clEvENKUlvE2_clEvEUlS7_S7_E_S7_EEDaPvRmT3_T4_T5_mT6_P12ihipStream_tbENKUlT_T0_E_clISt17integral_constantIbLb1EESZ_EEDaSU_SV_EUlSU_E_NS1_11comp_targetILNS1_3genE0ELNS1_11target_archE4294967295ELNS1_3gpuE0ELNS1_3repE0EEENS1_30default_config_static_selectorELNS0_4arch9wavefront6targetE0EEEvT1_.kd
    .uniform_work_group_size: 1
    .uses_dynamic_stack: false
    .vgpr_count:     0
    .vgpr_spill_count: 0
    .wavefront_size: 32
    .workgroup_processor_mode: 1
  - .args:
      - .offset:         0
        .size:           104
        .value_kind:     by_value
    .group_segment_fixed_size: 0
    .kernarg_segment_align: 8
    .kernarg_segment_size: 104
    .language:       OpenCL C
    .language_version:
      - 2
      - 0
    .max_flat_workgroup_size: 256
    .name:           _ZN7rocprim17ROCPRIM_400000_NS6detail17trampoline_kernelINS0_14default_configENS1_20scan_config_selectorIN3c107complexIfEEEEZZNS1_9scan_implILNS1_25lookback_scan_determinismE0ELb0ELb0ES3_PKS7_PS7_S7_ZZZN2at6native31launch_logcumsumexp_cuda_kernelERKNSE_10TensorBaseESI_lENKUlvE_clEvENKUlvE2_clEvEUlS7_S7_E_S7_EEDaPvRmT3_T4_T5_mT6_P12ihipStream_tbENKUlT_T0_E_clISt17integral_constantIbLb1EESZ_EEDaSU_SV_EUlSU_E_NS1_11comp_targetILNS1_3genE5ELNS1_11target_archE942ELNS1_3gpuE9ELNS1_3repE0EEENS1_30default_config_static_selectorELNS0_4arch9wavefront6targetE0EEEvT1_
    .private_segment_fixed_size: 0
    .sgpr_count:     0
    .sgpr_spill_count: 0
    .symbol:         _ZN7rocprim17ROCPRIM_400000_NS6detail17trampoline_kernelINS0_14default_configENS1_20scan_config_selectorIN3c107complexIfEEEEZZNS1_9scan_implILNS1_25lookback_scan_determinismE0ELb0ELb0ES3_PKS7_PS7_S7_ZZZN2at6native31launch_logcumsumexp_cuda_kernelERKNSE_10TensorBaseESI_lENKUlvE_clEvENKUlvE2_clEvEUlS7_S7_E_S7_EEDaPvRmT3_T4_T5_mT6_P12ihipStream_tbENKUlT_T0_E_clISt17integral_constantIbLb1EESZ_EEDaSU_SV_EUlSU_E_NS1_11comp_targetILNS1_3genE5ELNS1_11target_archE942ELNS1_3gpuE9ELNS1_3repE0EEENS1_30default_config_static_selectorELNS0_4arch9wavefront6targetE0EEEvT1_.kd
    .uniform_work_group_size: 1
    .uses_dynamic_stack: false
    .vgpr_count:     0
    .vgpr_spill_count: 0
    .wavefront_size: 32
    .workgroup_processor_mode: 1
  - .args:
      - .offset:         0
        .size:           104
        .value_kind:     by_value
    .group_segment_fixed_size: 0
    .kernarg_segment_align: 8
    .kernarg_segment_size: 104
    .language:       OpenCL C
    .language_version:
      - 2
      - 0
    .max_flat_workgroup_size: 128
    .name:           _ZN7rocprim17ROCPRIM_400000_NS6detail17trampoline_kernelINS0_14default_configENS1_20scan_config_selectorIN3c107complexIfEEEEZZNS1_9scan_implILNS1_25lookback_scan_determinismE0ELb0ELb0ES3_PKS7_PS7_S7_ZZZN2at6native31launch_logcumsumexp_cuda_kernelERKNSE_10TensorBaseESI_lENKUlvE_clEvENKUlvE2_clEvEUlS7_S7_E_S7_EEDaPvRmT3_T4_T5_mT6_P12ihipStream_tbENKUlT_T0_E_clISt17integral_constantIbLb1EESZ_EEDaSU_SV_EUlSU_E_NS1_11comp_targetILNS1_3genE4ELNS1_11target_archE910ELNS1_3gpuE8ELNS1_3repE0EEENS1_30default_config_static_selectorELNS0_4arch9wavefront6targetE0EEEvT1_
    .private_segment_fixed_size: 0
    .sgpr_count:     0
    .sgpr_spill_count: 0
    .symbol:         _ZN7rocprim17ROCPRIM_400000_NS6detail17trampoline_kernelINS0_14default_configENS1_20scan_config_selectorIN3c107complexIfEEEEZZNS1_9scan_implILNS1_25lookback_scan_determinismE0ELb0ELb0ES3_PKS7_PS7_S7_ZZZN2at6native31launch_logcumsumexp_cuda_kernelERKNSE_10TensorBaseESI_lENKUlvE_clEvENKUlvE2_clEvEUlS7_S7_E_S7_EEDaPvRmT3_T4_T5_mT6_P12ihipStream_tbENKUlT_T0_E_clISt17integral_constantIbLb1EESZ_EEDaSU_SV_EUlSU_E_NS1_11comp_targetILNS1_3genE4ELNS1_11target_archE910ELNS1_3gpuE8ELNS1_3repE0EEENS1_30default_config_static_selectorELNS0_4arch9wavefront6targetE0EEEvT1_.kd
    .uniform_work_group_size: 1
    .uses_dynamic_stack: false
    .vgpr_count:     0
    .vgpr_spill_count: 0
    .wavefront_size: 32
    .workgroup_processor_mode: 1
  - .args:
      - .offset:         0
        .size:           104
        .value_kind:     by_value
    .group_segment_fixed_size: 0
    .kernarg_segment_align: 8
    .kernarg_segment_size: 104
    .language:       OpenCL C
    .language_version:
      - 2
      - 0
    .max_flat_workgroup_size: 256
    .name:           _ZN7rocprim17ROCPRIM_400000_NS6detail17trampoline_kernelINS0_14default_configENS1_20scan_config_selectorIN3c107complexIfEEEEZZNS1_9scan_implILNS1_25lookback_scan_determinismE0ELb0ELb0ES3_PKS7_PS7_S7_ZZZN2at6native31launch_logcumsumexp_cuda_kernelERKNSE_10TensorBaseESI_lENKUlvE_clEvENKUlvE2_clEvEUlS7_S7_E_S7_EEDaPvRmT3_T4_T5_mT6_P12ihipStream_tbENKUlT_T0_E_clISt17integral_constantIbLb1EESZ_EEDaSU_SV_EUlSU_E_NS1_11comp_targetILNS1_3genE3ELNS1_11target_archE908ELNS1_3gpuE7ELNS1_3repE0EEENS1_30default_config_static_selectorELNS0_4arch9wavefront6targetE0EEEvT1_
    .private_segment_fixed_size: 0
    .sgpr_count:     0
    .sgpr_spill_count: 0
    .symbol:         _ZN7rocprim17ROCPRIM_400000_NS6detail17trampoline_kernelINS0_14default_configENS1_20scan_config_selectorIN3c107complexIfEEEEZZNS1_9scan_implILNS1_25lookback_scan_determinismE0ELb0ELb0ES3_PKS7_PS7_S7_ZZZN2at6native31launch_logcumsumexp_cuda_kernelERKNSE_10TensorBaseESI_lENKUlvE_clEvENKUlvE2_clEvEUlS7_S7_E_S7_EEDaPvRmT3_T4_T5_mT6_P12ihipStream_tbENKUlT_T0_E_clISt17integral_constantIbLb1EESZ_EEDaSU_SV_EUlSU_E_NS1_11comp_targetILNS1_3genE3ELNS1_11target_archE908ELNS1_3gpuE7ELNS1_3repE0EEENS1_30default_config_static_selectorELNS0_4arch9wavefront6targetE0EEEvT1_.kd
    .uniform_work_group_size: 1
    .uses_dynamic_stack: false
    .vgpr_count:     0
    .vgpr_spill_count: 0
    .wavefront_size: 32
    .workgroup_processor_mode: 1
  - .args:
      - .offset:         0
        .size:           104
        .value_kind:     by_value
    .group_segment_fixed_size: 0
    .kernarg_segment_align: 8
    .kernarg_segment_size: 104
    .language:       OpenCL C
    .language_version:
      - 2
      - 0
    .max_flat_workgroup_size: 64
    .name:           _ZN7rocprim17ROCPRIM_400000_NS6detail17trampoline_kernelINS0_14default_configENS1_20scan_config_selectorIN3c107complexIfEEEEZZNS1_9scan_implILNS1_25lookback_scan_determinismE0ELb0ELb0ES3_PKS7_PS7_S7_ZZZN2at6native31launch_logcumsumexp_cuda_kernelERKNSE_10TensorBaseESI_lENKUlvE_clEvENKUlvE2_clEvEUlS7_S7_E_S7_EEDaPvRmT3_T4_T5_mT6_P12ihipStream_tbENKUlT_T0_E_clISt17integral_constantIbLb1EESZ_EEDaSU_SV_EUlSU_E_NS1_11comp_targetILNS1_3genE2ELNS1_11target_archE906ELNS1_3gpuE6ELNS1_3repE0EEENS1_30default_config_static_selectorELNS0_4arch9wavefront6targetE0EEEvT1_
    .private_segment_fixed_size: 0
    .sgpr_count:     0
    .sgpr_spill_count: 0
    .symbol:         _ZN7rocprim17ROCPRIM_400000_NS6detail17trampoline_kernelINS0_14default_configENS1_20scan_config_selectorIN3c107complexIfEEEEZZNS1_9scan_implILNS1_25lookback_scan_determinismE0ELb0ELb0ES3_PKS7_PS7_S7_ZZZN2at6native31launch_logcumsumexp_cuda_kernelERKNSE_10TensorBaseESI_lENKUlvE_clEvENKUlvE2_clEvEUlS7_S7_E_S7_EEDaPvRmT3_T4_T5_mT6_P12ihipStream_tbENKUlT_T0_E_clISt17integral_constantIbLb1EESZ_EEDaSU_SV_EUlSU_E_NS1_11comp_targetILNS1_3genE2ELNS1_11target_archE906ELNS1_3gpuE6ELNS1_3repE0EEENS1_30default_config_static_selectorELNS0_4arch9wavefront6targetE0EEEvT1_.kd
    .uniform_work_group_size: 1
    .uses_dynamic_stack: false
    .vgpr_count:     0
    .vgpr_spill_count: 0
    .wavefront_size: 32
    .workgroup_processor_mode: 1
  - .args:
      - .offset:         0
        .size:           104
        .value_kind:     by_value
    .group_segment_fixed_size: 0
    .kernarg_segment_align: 8
    .kernarg_segment_size: 104
    .language:       OpenCL C
    .language_version:
      - 2
      - 0
    .max_flat_workgroup_size: 256
    .name:           _ZN7rocprim17ROCPRIM_400000_NS6detail17trampoline_kernelINS0_14default_configENS1_20scan_config_selectorIN3c107complexIfEEEEZZNS1_9scan_implILNS1_25lookback_scan_determinismE0ELb0ELb0ES3_PKS7_PS7_S7_ZZZN2at6native31launch_logcumsumexp_cuda_kernelERKNSE_10TensorBaseESI_lENKUlvE_clEvENKUlvE2_clEvEUlS7_S7_E_S7_EEDaPvRmT3_T4_T5_mT6_P12ihipStream_tbENKUlT_T0_E_clISt17integral_constantIbLb1EESZ_EEDaSU_SV_EUlSU_E_NS1_11comp_targetILNS1_3genE10ELNS1_11target_archE1201ELNS1_3gpuE5ELNS1_3repE0EEENS1_30default_config_static_selectorELNS0_4arch9wavefront6targetE0EEEvT1_
    .private_segment_fixed_size: 0
    .sgpr_count:     0
    .sgpr_spill_count: 0
    .symbol:         _ZN7rocprim17ROCPRIM_400000_NS6detail17trampoline_kernelINS0_14default_configENS1_20scan_config_selectorIN3c107complexIfEEEEZZNS1_9scan_implILNS1_25lookback_scan_determinismE0ELb0ELb0ES3_PKS7_PS7_S7_ZZZN2at6native31launch_logcumsumexp_cuda_kernelERKNSE_10TensorBaseESI_lENKUlvE_clEvENKUlvE2_clEvEUlS7_S7_E_S7_EEDaPvRmT3_T4_T5_mT6_P12ihipStream_tbENKUlT_T0_E_clISt17integral_constantIbLb1EESZ_EEDaSU_SV_EUlSU_E_NS1_11comp_targetILNS1_3genE10ELNS1_11target_archE1201ELNS1_3gpuE5ELNS1_3repE0EEENS1_30default_config_static_selectorELNS0_4arch9wavefront6targetE0EEEvT1_.kd
    .uniform_work_group_size: 1
    .uses_dynamic_stack: false
    .vgpr_count:     0
    .vgpr_spill_count: 0
    .wavefront_size: 32
    .workgroup_processor_mode: 1
  - .args:
      - .offset:         0
        .size:           104
        .value_kind:     by_value
    .group_segment_fixed_size: 0
    .kernarg_segment_align: 8
    .kernarg_segment_size: 104
    .language:       OpenCL C
    .language_version:
      - 2
      - 0
    .max_flat_workgroup_size: 256
    .name:           _ZN7rocprim17ROCPRIM_400000_NS6detail17trampoline_kernelINS0_14default_configENS1_20scan_config_selectorIN3c107complexIfEEEEZZNS1_9scan_implILNS1_25lookback_scan_determinismE0ELb0ELb0ES3_PKS7_PS7_S7_ZZZN2at6native31launch_logcumsumexp_cuda_kernelERKNSE_10TensorBaseESI_lENKUlvE_clEvENKUlvE2_clEvEUlS7_S7_E_S7_EEDaPvRmT3_T4_T5_mT6_P12ihipStream_tbENKUlT_T0_E_clISt17integral_constantIbLb1EESZ_EEDaSU_SV_EUlSU_E_NS1_11comp_targetILNS1_3genE10ELNS1_11target_archE1200ELNS1_3gpuE4ELNS1_3repE0EEENS1_30default_config_static_selectorELNS0_4arch9wavefront6targetE0EEEvT1_
    .private_segment_fixed_size: 0
    .sgpr_count:     0
    .sgpr_spill_count: 0
    .symbol:         _ZN7rocprim17ROCPRIM_400000_NS6detail17trampoline_kernelINS0_14default_configENS1_20scan_config_selectorIN3c107complexIfEEEEZZNS1_9scan_implILNS1_25lookback_scan_determinismE0ELb0ELb0ES3_PKS7_PS7_S7_ZZZN2at6native31launch_logcumsumexp_cuda_kernelERKNSE_10TensorBaseESI_lENKUlvE_clEvENKUlvE2_clEvEUlS7_S7_E_S7_EEDaPvRmT3_T4_T5_mT6_P12ihipStream_tbENKUlT_T0_E_clISt17integral_constantIbLb1EESZ_EEDaSU_SV_EUlSU_E_NS1_11comp_targetILNS1_3genE10ELNS1_11target_archE1200ELNS1_3gpuE4ELNS1_3repE0EEENS1_30default_config_static_selectorELNS0_4arch9wavefront6targetE0EEEvT1_.kd
    .uniform_work_group_size: 1
    .uses_dynamic_stack: false
    .vgpr_count:     0
    .vgpr_spill_count: 0
    .wavefront_size: 32
    .workgroup_processor_mode: 1
  - .args:
      - .offset:         0
        .size:           104
        .value_kind:     by_value
    .group_segment_fixed_size: 33792
    .kernarg_segment_align: 8
    .kernarg_segment_size: 104
    .language:       OpenCL C
    .language_version:
      - 2
      - 0
    .max_flat_workgroup_size: 256
    .name:           _ZN7rocprim17ROCPRIM_400000_NS6detail17trampoline_kernelINS0_14default_configENS1_20scan_config_selectorIN3c107complexIfEEEEZZNS1_9scan_implILNS1_25lookback_scan_determinismE0ELb0ELb0ES3_PKS7_PS7_S7_ZZZN2at6native31launch_logcumsumexp_cuda_kernelERKNSE_10TensorBaseESI_lENKUlvE_clEvENKUlvE2_clEvEUlS7_S7_E_S7_EEDaPvRmT3_T4_T5_mT6_P12ihipStream_tbENKUlT_T0_E_clISt17integral_constantIbLb1EESZ_EEDaSU_SV_EUlSU_E_NS1_11comp_targetILNS1_3genE9ELNS1_11target_archE1100ELNS1_3gpuE3ELNS1_3repE0EEENS1_30default_config_static_selectorELNS0_4arch9wavefront6targetE0EEEvT1_
    .private_segment_fixed_size: 0
    .sgpr_count:     41
    .sgpr_spill_count: 0
    .symbol:         _ZN7rocprim17ROCPRIM_400000_NS6detail17trampoline_kernelINS0_14default_configENS1_20scan_config_selectorIN3c107complexIfEEEEZZNS1_9scan_implILNS1_25lookback_scan_determinismE0ELb0ELb0ES3_PKS7_PS7_S7_ZZZN2at6native31launch_logcumsumexp_cuda_kernelERKNSE_10TensorBaseESI_lENKUlvE_clEvENKUlvE2_clEvEUlS7_S7_E_S7_EEDaPvRmT3_T4_T5_mT6_P12ihipStream_tbENKUlT_T0_E_clISt17integral_constantIbLb1EESZ_EEDaSU_SV_EUlSU_E_NS1_11comp_targetILNS1_3genE9ELNS1_11target_archE1100ELNS1_3gpuE3ELNS1_3repE0EEENS1_30default_config_static_selectorELNS0_4arch9wavefront6targetE0EEEvT1_.kd
    .uniform_work_group_size: 1
    .uses_dynamic_stack: false
    .vgpr_count:     111
    .vgpr_spill_count: 0
    .wavefront_size: 32
    .workgroup_processor_mode: 1
  - .args:
      - .offset:         0
        .size:           104
        .value_kind:     by_value
    .group_segment_fixed_size: 0
    .kernarg_segment_align: 8
    .kernarg_segment_size: 104
    .language:       OpenCL C
    .language_version:
      - 2
      - 0
    .max_flat_workgroup_size: 256
    .name:           _ZN7rocprim17ROCPRIM_400000_NS6detail17trampoline_kernelINS0_14default_configENS1_20scan_config_selectorIN3c107complexIfEEEEZZNS1_9scan_implILNS1_25lookback_scan_determinismE0ELb0ELb0ES3_PKS7_PS7_S7_ZZZN2at6native31launch_logcumsumexp_cuda_kernelERKNSE_10TensorBaseESI_lENKUlvE_clEvENKUlvE2_clEvEUlS7_S7_E_S7_EEDaPvRmT3_T4_T5_mT6_P12ihipStream_tbENKUlT_T0_E_clISt17integral_constantIbLb1EESZ_EEDaSU_SV_EUlSU_E_NS1_11comp_targetILNS1_3genE8ELNS1_11target_archE1030ELNS1_3gpuE2ELNS1_3repE0EEENS1_30default_config_static_selectorELNS0_4arch9wavefront6targetE0EEEvT1_
    .private_segment_fixed_size: 0
    .sgpr_count:     0
    .sgpr_spill_count: 0
    .symbol:         _ZN7rocprim17ROCPRIM_400000_NS6detail17trampoline_kernelINS0_14default_configENS1_20scan_config_selectorIN3c107complexIfEEEEZZNS1_9scan_implILNS1_25lookback_scan_determinismE0ELb0ELb0ES3_PKS7_PS7_S7_ZZZN2at6native31launch_logcumsumexp_cuda_kernelERKNSE_10TensorBaseESI_lENKUlvE_clEvENKUlvE2_clEvEUlS7_S7_E_S7_EEDaPvRmT3_T4_T5_mT6_P12ihipStream_tbENKUlT_T0_E_clISt17integral_constantIbLb1EESZ_EEDaSU_SV_EUlSU_E_NS1_11comp_targetILNS1_3genE8ELNS1_11target_archE1030ELNS1_3gpuE2ELNS1_3repE0EEENS1_30default_config_static_selectorELNS0_4arch9wavefront6targetE0EEEvT1_.kd
    .uniform_work_group_size: 1
    .uses_dynamic_stack: false
    .vgpr_count:     0
    .vgpr_spill_count: 0
    .wavefront_size: 32
    .workgroup_processor_mode: 1
  - .args:
      - .offset:         0
        .size:           40
        .value_kind:     by_value
    .group_segment_fixed_size: 0
    .kernarg_segment_align: 8
    .kernarg_segment_size: 40
    .language:       OpenCL C
    .language_version:
      - 2
      - 0
    .max_flat_workgroup_size: 256
    .name:           _ZN7rocprim17ROCPRIM_400000_NS6detail17trampoline_kernelINS0_14default_configENS1_20scan_config_selectorIN3c107complexIfEEEEZZNS1_9scan_implILNS1_25lookback_scan_determinismE0ELb0ELb0ES3_PKS7_PS7_S7_ZZZN2at6native31launch_logcumsumexp_cuda_kernelERKNSE_10TensorBaseESI_lENKUlvE_clEvENKUlvE2_clEvEUlS7_S7_E_S7_EEDaPvRmT3_T4_T5_mT6_P12ihipStream_tbENKUlT_T0_E_clISt17integral_constantIbLb1EESZ_EEDaSU_SV_EUlSU_E0_NS1_11comp_targetILNS1_3genE0ELNS1_11target_archE4294967295ELNS1_3gpuE0ELNS1_3repE0EEENS1_30default_config_static_selectorELNS0_4arch9wavefront6targetE0EEEvT1_
    .private_segment_fixed_size: 0
    .sgpr_count:     0
    .sgpr_spill_count: 0
    .symbol:         _ZN7rocprim17ROCPRIM_400000_NS6detail17trampoline_kernelINS0_14default_configENS1_20scan_config_selectorIN3c107complexIfEEEEZZNS1_9scan_implILNS1_25lookback_scan_determinismE0ELb0ELb0ES3_PKS7_PS7_S7_ZZZN2at6native31launch_logcumsumexp_cuda_kernelERKNSE_10TensorBaseESI_lENKUlvE_clEvENKUlvE2_clEvEUlS7_S7_E_S7_EEDaPvRmT3_T4_T5_mT6_P12ihipStream_tbENKUlT_T0_E_clISt17integral_constantIbLb1EESZ_EEDaSU_SV_EUlSU_E0_NS1_11comp_targetILNS1_3genE0ELNS1_11target_archE4294967295ELNS1_3gpuE0ELNS1_3repE0EEENS1_30default_config_static_selectorELNS0_4arch9wavefront6targetE0EEEvT1_.kd
    .uniform_work_group_size: 1
    .uses_dynamic_stack: false
    .vgpr_count:     0
    .vgpr_spill_count: 0
    .wavefront_size: 32
    .workgroup_processor_mode: 1
  - .args:
      - .offset:         0
        .size:           40
        .value_kind:     by_value
    .group_segment_fixed_size: 0
    .kernarg_segment_align: 8
    .kernarg_segment_size: 40
    .language:       OpenCL C
    .language_version:
      - 2
      - 0
    .max_flat_workgroup_size: 256
    .name:           _ZN7rocprim17ROCPRIM_400000_NS6detail17trampoline_kernelINS0_14default_configENS1_20scan_config_selectorIN3c107complexIfEEEEZZNS1_9scan_implILNS1_25lookback_scan_determinismE0ELb0ELb0ES3_PKS7_PS7_S7_ZZZN2at6native31launch_logcumsumexp_cuda_kernelERKNSE_10TensorBaseESI_lENKUlvE_clEvENKUlvE2_clEvEUlS7_S7_E_S7_EEDaPvRmT3_T4_T5_mT6_P12ihipStream_tbENKUlT_T0_E_clISt17integral_constantIbLb1EESZ_EEDaSU_SV_EUlSU_E0_NS1_11comp_targetILNS1_3genE5ELNS1_11target_archE942ELNS1_3gpuE9ELNS1_3repE0EEENS1_30default_config_static_selectorELNS0_4arch9wavefront6targetE0EEEvT1_
    .private_segment_fixed_size: 0
    .sgpr_count:     0
    .sgpr_spill_count: 0
    .symbol:         _ZN7rocprim17ROCPRIM_400000_NS6detail17trampoline_kernelINS0_14default_configENS1_20scan_config_selectorIN3c107complexIfEEEEZZNS1_9scan_implILNS1_25lookback_scan_determinismE0ELb0ELb0ES3_PKS7_PS7_S7_ZZZN2at6native31launch_logcumsumexp_cuda_kernelERKNSE_10TensorBaseESI_lENKUlvE_clEvENKUlvE2_clEvEUlS7_S7_E_S7_EEDaPvRmT3_T4_T5_mT6_P12ihipStream_tbENKUlT_T0_E_clISt17integral_constantIbLb1EESZ_EEDaSU_SV_EUlSU_E0_NS1_11comp_targetILNS1_3genE5ELNS1_11target_archE942ELNS1_3gpuE9ELNS1_3repE0EEENS1_30default_config_static_selectorELNS0_4arch9wavefront6targetE0EEEvT1_.kd
    .uniform_work_group_size: 1
    .uses_dynamic_stack: false
    .vgpr_count:     0
    .vgpr_spill_count: 0
    .wavefront_size: 32
    .workgroup_processor_mode: 1
  - .args:
      - .offset:         0
        .size:           40
        .value_kind:     by_value
    .group_segment_fixed_size: 0
    .kernarg_segment_align: 8
    .kernarg_segment_size: 40
    .language:       OpenCL C
    .language_version:
      - 2
      - 0
    .max_flat_workgroup_size: 128
    .name:           _ZN7rocprim17ROCPRIM_400000_NS6detail17trampoline_kernelINS0_14default_configENS1_20scan_config_selectorIN3c107complexIfEEEEZZNS1_9scan_implILNS1_25lookback_scan_determinismE0ELb0ELb0ES3_PKS7_PS7_S7_ZZZN2at6native31launch_logcumsumexp_cuda_kernelERKNSE_10TensorBaseESI_lENKUlvE_clEvENKUlvE2_clEvEUlS7_S7_E_S7_EEDaPvRmT3_T4_T5_mT6_P12ihipStream_tbENKUlT_T0_E_clISt17integral_constantIbLb1EESZ_EEDaSU_SV_EUlSU_E0_NS1_11comp_targetILNS1_3genE4ELNS1_11target_archE910ELNS1_3gpuE8ELNS1_3repE0EEENS1_30default_config_static_selectorELNS0_4arch9wavefront6targetE0EEEvT1_
    .private_segment_fixed_size: 0
    .sgpr_count:     0
    .sgpr_spill_count: 0
    .symbol:         _ZN7rocprim17ROCPRIM_400000_NS6detail17trampoline_kernelINS0_14default_configENS1_20scan_config_selectorIN3c107complexIfEEEEZZNS1_9scan_implILNS1_25lookback_scan_determinismE0ELb0ELb0ES3_PKS7_PS7_S7_ZZZN2at6native31launch_logcumsumexp_cuda_kernelERKNSE_10TensorBaseESI_lENKUlvE_clEvENKUlvE2_clEvEUlS7_S7_E_S7_EEDaPvRmT3_T4_T5_mT6_P12ihipStream_tbENKUlT_T0_E_clISt17integral_constantIbLb1EESZ_EEDaSU_SV_EUlSU_E0_NS1_11comp_targetILNS1_3genE4ELNS1_11target_archE910ELNS1_3gpuE8ELNS1_3repE0EEENS1_30default_config_static_selectorELNS0_4arch9wavefront6targetE0EEEvT1_.kd
    .uniform_work_group_size: 1
    .uses_dynamic_stack: false
    .vgpr_count:     0
    .vgpr_spill_count: 0
    .wavefront_size: 32
    .workgroup_processor_mode: 1
  - .args:
      - .offset:         0
        .size:           40
        .value_kind:     by_value
    .group_segment_fixed_size: 0
    .kernarg_segment_align: 8
    .kernarg_segment_size: 40
    .language:       OpenCL C
    .language_version:
      - 2
      - 0
    .max_flat_workgroup_size: 256
    .name:           _ZN7rocprim17ROCPRIM_400000_NS6detail17trampoline_kernelINS0_14default_configENS1_20scan_config_selectorIN3c107complexIfEEEEZZNS1_9scan_implILNS1_25lookback_scan_determinismE0ELb0ELb0ES3_PKS7_PS7_S7_ZZZN2at6native31launch_logcumsumexp_cuda_kernelERKNSE_10TensorBaseESI_lENKUlvE_clEvENKUlvE2_clEvEUlS7_S7_E_S7_EEDaPvRmT3_T4_T5_mT6_P12ihipStream_tbENKUlT_T0_E_clISt17integral_constantIbLb1EESZ_EEDaSU_SV_EUlSU_E0_NS1_11comp_targetILNS1_3genE3ELNS1_11target_archE908ELNS1_3gpuE7ELNS1_3repE0EEENS1_30default_config_static_selectorELNS0_4arch9wavefront6targetE0EEEvT1_
    .private_segment_fixed_size: 0
    .sgpr_count:     0
    .sgpr_spill_count: 0
    .symbol:         _ZN7rocprim17ROCPRIM_400000_NS6detail17trampoline_kernelINS0_14default_configENS1_20scan_config_selectorIN3c107complexIfEEEEZZNS1_9scan_implILNS1_25lookback_scan_determinismE0ELb0ELb0ES3_PKS7_PS7_S7_ZZZN2at6native31launch_logcumsumexp_cuda_kernelERKNSE_10TensorBaseESI_lENKUlvE_clEvENKUlvE2_clEvEUlS7_S7_E_S7_EEDaPvRmT3_T4_T5_mT6_P12ihipStream_tbENKUlT_T0_E_clISt17integral_constantIbLb1EESZ_EEDaSU_SV_EUlSU_E0_NS1_11comp_targetILNS1_3genE3ELNS1_11target_archE908ELNS1_3gpuE7ELNS1_3repE0EEENS1_30default_config_static_selectorELNS0_4arch9wavefront6targetE0EEEvT1_.kd
    .uniform_work_group_size: 1
    .uses_dynamic_stack: false
    .vgpr_count:     0
    .vgpr_spill_count: 0
    .wavefront_size: 32
    .workgroup_processor_mode: 1
  - .args:
      - .offset:         0
        .size:           40
        .value_kind:     by_value
    .group_segment_fixed_size: 0
    .kernarg_segment_align: 8
    .kernarg_segment_size: 40
    .language:       OpenCL C
    .language_version:
      - 2
      - 0
    .max_flat_workgroup_size: 64
    .name:           _ZN7rocprim17ROCPRIM_400000_NS6detail17trampoline_kernelINS0_14default_configENS1_20scan_config_selectorIN3c107complexIfEEEEZZNS1_9scan_implILNS1_25lookback_scan_determinismE0ELb0ELb0ES3_PKS7_PS7_S7_ZZZN2at6native31launch_logcumsumexp_cuda_kernelERKNSE_10TensorBaseESI_lENKUlvE_clEvENKUlvE2_clEvEUlS7_S7_E_S7_EEDaPvRmT3_T4_T5_mT6_P12ihipStream_tbENKUlT_T0_E_clISt17integral_constantIbLb1EESZ_EEDaSU_SV_EUlSU_E0_NS1_11comp_targetILNS1_3genE2ELNS1_11target_archE906ELNS1_3gpuE6ELNS1_3repE0EEENS1_30default_config_static_selectorELNS0_4arch9wavefront6targetE0EEEvT1_
    .private_segment_fixed_size: 0
    .sgpr_count:     0
    .sgpr_spill_count: 0
    .symbol:         _ZN7rocprim17ROCPRIM_400000_NS6detail17trampoline_kernelINS0_14default_configENS1_20scan_config_selectorIN3c107complexIfEEEEZZNS1_9scan_implILNS1_25lookback_scan_determinismE0ELb0ELb0ES3_PKS7_PS7_S7_ZZZN2at6native31launch_logcumsumexp_cuda_kernelERKNSE_10TensorBaseESI_lENKUlvE_clEvENKUlvE2_clEvEUlS7_S7_E_S7_EEDaPvRmT3_T4_T5_mT6_P12ihipStream_tbENKUlT_T0_E_clISt17integral_constantIbLb1EESZ_EEDaSU_SV_EUlSU_E0_NS1_11comp_targetILNS1_3genE2ELNS1_11target_archE906ELNS1_3gpuE6ELNS1_3repE0EEENS1_30default_config_static_selectorELNS0_4arch9wavefront6targetE0EEEvT1_.kd
    .uniform_work_group_size: 1
    .uses_dynamic_stack: false
    .vgpr_count:     0
    .vgpr_spill_count: 0
    .wavefront_size: 32
    .workgroup_processor_mode: 1
  - .args:
      - .offset:         0
        .size:           40
        .value_kind:     by_value
    .group_segment_fixed_size: 0
    .kernarg_segment_align: 8
    .kernarg_segment_size: 40
    .language:       OpenCL C
    .language_version:
      - 2
      - 0
    .max_flat_workgroup_size: 256
    .name:           _ZN7rocprim17ROCPRIM_400000_NS6detail17trampoline_kernelINS0_14default_configENS1_20scan_config_selectorIN3c107complexIfEEEEZZNS1_9scan_implILNS1_25lookback_scan_determinismE0ELb0ELb0ES3_PKS7_PS7_S7_ZZZN2at6native31launch_logcumsumexp_cuda_kernelERKNSE_10TensorBaseESI_lENKUlvE_clEvENKUlvE2_clEvEUlS7_S7_E_S7_EEDaPvRmT3_T4_T5_mT6_P12ihipStream_tbENKUlT_T0_E_clISt17integral_constantIbLb1EESZ_EEDaSU_SV_EUlSU_E0_NS1_11comp_targetILNS1_3genE10ELNS1_11target_archE1201ELNS1_3gpuE5ELNS1_3repE0EEENS1_30default_config_static_selectorELNS0_4arch9wavefront6targetE0EEEvT1_
    .private_segment_fixed_size: 0
    .sgpr_count:     0
    .sgpr_spill_count: 0
    .symbol:         _ZN7rocprim17ROCPRIM_400000_NS6detail17trampoline_kernelINS0_14default_configENS1_20scan_config_selectorIN3c107complexIfEEEEZZNS1_9scan_implILNS1_25lookback_scan_determinismE0ELb0ELb0ES3_PKS7_PS7_S7_ZZZN2at6native31launch_logcumsumexp_cuda_kernelERKNSE_10TensorBaseESI_lENKUlvE_clEvENKUlvE2_clEvEUlS7_S7_E_S7_EEDaPvRmT3_T4_T5_mT6_P12ihipStream_tbENKUlT_T0_E_clISt17integral_constantIbLb1EESZ_EEDaSU_SV_EUlSU_E0_NS1_11comp_targetILNS1_3genE10ELNS1_11target_archE1201ELNS1_3gpuE5ELNS1_3repE0EEENS1_30default_config_static_selectorELNS0_4arch9wavefront6targetE0EEEvT1_.kd
    .uniform_work_group_size: 1
    .uses_dynamic_stack: false
    .vgpr_count:     0
    .vgpr_spill_count: 0
    .wavefront_size: 32
    .workgroup_processor_mode: 1
  - .args:
      - .offset:         0
        .size:           40
        .value_kind:     by_value
    .group_segment_fixed_size: 0
    .kernarg_segment_align: 8
    .kernarg_segment_size: 40
    .language:       OpenCL C
    .language_version:
      - 2
      - 0
    .max_flat_workgroup_size: 256
    .name:           _ZN7rocprim17ROCPRIM_400000_NS6detail17trampoline_kernelINS0_14default_configENS1_20scan_config_selectorIN3c107complexIfEEEEZZNS1_9scan_implILNS1_25lookback_scan_determinismE0ELb0ELb0ES3_PKS7_PS7_S7_ZZZN2at6native31launch_logcumsumexp_cuda_kernelERKNSE_10TensorBaseESI_lENKUlvE_clEvENKUlvE2_clEvEUlS7_S7_E_S7_EEDaPvRmT3_T4_T5_mT6_P12ihipStream_tbENKUlT_T0_E_clISt17integral_constantIbLb1EESZ_EEDaSU_SV_EUlSU_E0_NS1_11comp_targetILNS1_3genE10ELNS1_11target_archE1200ELNS1_3gpuE4ELNS1_3repE0EEENS1_30default_config_static_selectorELNS0_4arch9wavefront6targetE0EEEvT1_
    .private_segment_fixed_size: 0
    .sgpr_count:     0
    .sgpr_spill_count: 0
    .symbol:         _ZN7rocprim17ROCPRIM_400000_NS6detail17trampoline_kernelINS0_14default_configENS1_20scan_config_selectorIN3c107complexIfEEEEZZNS1_9scan_implILNS1_25lookback_scan_determinismE0ELb0ELb0ES3_PKS7_PS7_S7_ZZZN2at6native31launch_logcumsumexp_cuda_kernelERKNSE_10TensorBaseESI_lENKUlvE_clEvENKUlvE2_clEvEUlS7_S7_E_S7_EEDaPvRmT3_T4_T5_mT6_P12ihipStream_tbENKUlT_T0_E_clISt17integral_constantIbLb1EESZ_EEDaSU_SV_EUlSU_E0_NS1_11comp_targetILNS1_3genE10ELNS1_11target_archE1200ELNS1_3gpuE4ELNS1_3repE0EEENS1_30default_config_static_selectorELNS0_4arch9wavefront6targetE0EEEvT1_.kd
    .uniform_work_group_size: 1
    .uses_dynamic_stack: false
    .vgpr_count:     0
    .vgpr_spill_count: 0
    .wavefront_size: 32
    .workgroup_processor_mode: 1
  - .args:
      - .offset:         0
        .size:           40
        .value_kind:     by_value
    .group_segment_fixed_size: 33792
    .kernarg_segment_align: 8
    .kernarg_segment_size: 40
    .language:       OpenCL C
    .language_version:
      - 2
      - 0
    .max_flat_workgroup_size: 256
    .name:           _ZN7rocprim17ROCPRIM_400000_NS6detail17trampoline_kernelINS0_14default_configENS1_20scan_config_selectorIN3c107complexIfEEEEZZNS1_9scan_implILNS1_25lookback_scan_determinismE0ELb0ELb0ES3_PKS7_PS7_S7_ZZZN2at6native31launch_logcumsumexp_cuda_kernelERKNSE_10TensorBaseESI_lENKUlvE_clEvENKUlvE2_clEvEUlS7_S7_E_S7_EEDaPvRmT3_T4_T5_mT6_P12ihipStream_tbENKUlT_T0_E_clISt17integral_constantIbLb1EESZ_EEDaSU_SV_EUlSU_E0_NS1_11comp_targetILNS1_3genE9ELNS1_11target_archE1100ELNS1_3gpuE3ELNS1_3repE0EEENS1_30default_config_static_selectorELNS0_4arch9wavefront6targetE0EEEvT1_
    .private_segment_fixed_size: 0
    .sgpr_count:     35
    .sgpr_spill_count: 0
    .symbol:         _ZN7rocprim17ROCPRIM_400000_NS6detail17trampoline_kernelINS0_14default_configENS1_20scan_config_selectorIN3c107complexIfEEEEZZNS1_9scan_implILNS1_25lookback_scan_determinismE0ELb0ELb0ES3_PKS7_PS7_S7_ZZZN2at6native31launch_logcumsumexp_cuda_kernelERKNSE_10TensorBaseESI_lENKUlvE_clEvENKUlvE2_clEvEUlS7_S7_E_S7_EEDaPvRmT3_T4_T5_mT6_P12ihipStream_tbENKUlT_T0_E_clISt17integral_constantIbLb1EESZ_EEDaSU_SV_EUlSU_E0_NS1_11comp_targetILNS1_3genE9ELNS1_11target_archE1100ELNS1_3gpuE3ELNS1_3repE0EEENS1_30default_config_static_selectorELNS0_4arch9wavefront6targetE0EEEvT1_.kd
    .uniform_work_group_size: 1
    .uses_dynamic_stack: false
    .vgpr_count:     110
    .vgpr_spill_count: 0
    .wavefront_size: 32
    .workgroup_processor_mode: 1
  - .args:
      - .offset:         0
        .size:           40
        .value_kind:     by_value
    .group_segment_fixed_size: 0
    .kernarg_segment_align: 8
    .kernarg_segment_size: 40
    .language:       OpenCL C
    .language_version:
      - 2
      - 0
    .max_flat_workgroup_size: 256
    .name:           _ZN7rocprim17ROCPRIM_400000_NS6detail17trampoline_kernelINS0_14default_configENS1_20scan_config_selectorIN3c107complexIfEEEEZZNS1_9scan_implILNS1_25lookback_scan_determinismE0ELb0ELb0ES3_PKS7_PS7_S7_ZZZN2at6native31launch_logcumsumexp_cuda_kernelERKNSE_10TensorBaseESI_lENKUlvE_clEvENKUlvE2_clEvEUlS7_S7_E_S7_EEDaPvRmT3_T4_T5_mT6_P12ihipStream_tbENKUlT_T0_E_clISt17integral_constantIbLb1EESZ_EEDaSU_SV_EUlSU_E0_NS1_11comp_targetILNS1_3genE8ELNS1_11target_archE1030ELNS1_3gpuE2ELNS1_3repE0EEENS1_30default_config_static_selectorELNS0_4arch9wavefront6targetE0EEEvT1_
    .private_segment_fixed_size: 0
    .sgpr_count:     0
    .sgpr_spill_count: 0
    .symbol:         _ZN7rocprim17ROCPRIM_400000_NS6detail17trampoline_kernelINS0_14default_configENS1_20scan_config_selectorIN3c107complexIfEEEEZZNS1_9scan_implILNS1_25lookback_scan_determinismE0ELb0ELb0ES3_PKS7_PS7_S7_ZZZN2at6native31launch_logcumsumexp_cuda_kernelERKNSE_10TensorBaseESI_lENKUlvE_clEvENKUlvE2_clEvEUlS7_S7_E_S7_EEDaPvRmT3_T4_T5_mT6_P12ihipStream_tbENKUlT_T0_E_clISt17integral_constantIbLb1EESZ_EEDaSU_SV_EUlSU_E0_NS1_11comp_targetILNS1_3genE8ELNS1_11target_archE1030ELNS1_3gpuE2ELNS1_3repE0EEENS1_30default_config_static_selectorELNS0_4arch9wavefront6targetE0EEEvT1_.kd
    .uniform_work_group_size: 1
    .uses_dynamic_stack: false
    .vgpr_count:     0
    .vgpr_spill_count: 0
    .wavefront_size: 32
    .workgroup_processor_mode: 1
  - .args:
      - .address_space:  global
        .offset:         0
        .size:           8
        .value_kind:     global_buffer
      - .offset:         8
        .size:           4
        .value_kind:     by_value
      - .offset:         12
        .size:           1
        .value_kind:     by_value
      - .offset:         16
        .size:           4
        .value_kind:     by_value
      - .address_space:  global
        .offset:         24
        .size:           8
        .value_kind:     global_buffer
      - .offset:         32
        .size:           4
        .value_kind:     hidden_block_count_x
      - .offset:         36
        .size:           4
        .value_kind:     hidden_block_count_y
      - .offset:         40
        .size:           4
        .value_kind:     hidden_block_count_z
      - .offset:         44
        .size:           2
        .value_kind:     hidden_group_size_x
      - .offset:         46
        .size:           2
        .value_kind:     hidden_group_size_y
      - .offset:         48
        .size:           2
        .value_kind:     hidden_group_size_z
      - .offset:         50
        .size:           2
        .value_kind:     hidden_remainder_x
      - .offset:         52
        .size:           2
        .value_kind:     hidden_remainder_y
      - .offset:         54
        .size:           2
        .value_kind:     hidden_remainder_z
      - .offset:         72
        .size:           8
        .value_kind:     hidden_global_offset_x
      - .offset:         80
        .size:           8
        .value_kind:     hidden_global_offset_y
      - .offset:         88
        .size:           8
        .value_kind:     hidden_global_offset_z
      - .offset:         96
        .size:           2
        .value_kind:     hidden_grid_dims
    .group_segment_fixed_size: 0
    .kernarg_segment_align: 8
    .kernarg_segment_size: 288
    .language:       OpenCL C
    .language_version:
      - 2
      - 0
    .max_flat_workgroup_size: 256
    .name:           _ZN7rocprim17ROCPRIM_400000_NS6detail31init_lookback_scan_state_kernelINS1_19lookback_scan_stateIN3c107complexIfEELb1ELb1EEENS1_16block_id_wrapperIjLb0EEEEEvT_jT0_jPNSA_10value_typeE
    .private_segment_fixed_size: 0
    .sgpr_count:     18
    .sgpr_spill_count: 0
    .symbol:         _ZN7rocprim17ROCPRIM_400000_NS6detail31init_lookback_scan_state_kernelINS1_19lookback_scan_stateIN3c107complexIfEELb1ELb1EEENS1_16block_id_wrapperIjLb0EEEEEvT_jT0_jPNSA_10value_typeE.kd
    .uniform_work_group_size: 1
    .uses_dynamic_stack: false
    .vgpr_count:     9
    .vgpr_spill_count: 0
    .wavefront_size: 32
    .workgroup_processor_mode: 1
  - .args:
      - .offset:         0
        .size:           104
        .value_kind:     by_value
    .group_segment_fixed_size: 0
    .kernarg_segment_align: 8
    .kernarg_segment_size: 104
    .language:       OpenCL C
    .language_version:
      - 2
      - 0
    .max_flat_workgroup_size: 256
    .name:           _ZN7rocprim17ROCPRIM_400000_NS6detail17trampoline_kernelINS0_14default_configENS1_20scan_config_selectorIN3c107complexIfEEEEZZNS1_9scan_implILNS1_25lookback_scan_determinismE0ELb0ELb0ES3_PKS7_PS7_S7_ZZZN2at6native31launch_logcumsumexp_cuda_kernelERKNSE_10TensorBaseESI_lENKUlvE_clEvENKUlvE2_clEvEUlS7_S7_E_S7_EEDaPvRmT3_T4_T5_mT6_P12ihipStream_tbENKUlT_T0_E_clISt17integral_constantIbLb1EESY_IbLb0EEEEDaSU_SV_EUlSU_E_NS1_11comp_targetILNS1_3genE0ELNS1_11target_archE4294967295ELNS1_3gpuE0ELNS1_3repE0EEENS1_30default_config_static_selectorELNS0_4arch9wavefront6targetE0EEEvT1_
    .private_segment_fixed_size: 0
    .sgpr_count:     0
    .sgpr_spill_count: 0
    .symbol:         _ZN7rocprim17ROCPRIM_400000_NS6detail17trampoline_kernelINS0_14default_configENS1_20scan_config_selectorIN3c107complexIfEEEEZZNS1_9scan_implILNS1_25lookback_scan_determinismE0ELb0ELb0ES3_PKS7_PS7_S7_ZZZN2at6native31launch_logcumsumexp_cuda_kernelERKNSE_10TensorBaseESI_lENKUlvE_clEvENKUlvE2_clEvEUlS7_S7_E_S7_EEDaPvRmT3_T4_T5_mT6_P12ihipStream_tbENKUlT_T0_E_clISt17integral_constantIbLb1EESY_IbLb0EEEEDaSU_SV_EUlSU_E_NS1_11comp_targetILNS1_3genE0ELNS1_11target_archE4294967295ELNS1_3gpuE0ELNS1_3repE0EEENS1_30default_config_static_selectorELNS0_4arch9wavefront6targetE0EEEvT1_.kd
    .uniform_work_group_size: 1
    .uses_dynamic_stack: false
    .vgpr_count:     0
    .vgpr_spill_count: 0
    .wavefront_size: 32
    .workgroup_processor_mode: 1
  - .args:
      - .offset:         0
        .size:           104
        .value_kind:     by_value
    .group_segment_fixed_size: 0
    .kernarg_segment_align: 8
    .kernarg_segment_size: 104
    .language:       OpenCL C
    .language_version:
      - 2
      - 0
    .max_flat_workgroup_size: 256
    .name:           _ZN7rocprim17ROCPRIM_400000_NS6detail17trampoline_kernelINS0_14default_configENS1_20scan_config_selectorIN3c107complexIfEEEEZZNS1_9scan_implILNS1_25lookback_scan_determinismE0ELb0ELb0ES3_PKS7_PS7_S7_ZZZN2at6native31launch_logcumsumexp_cuda_kernelERKNSE_10TensorBaseESI_lENKUlvE_clEvENKUlvE2_clEvEUlS7_S7_E_S7_EEDaPvRmT3_T4_T5_mT6_P12ihipStream_tbENKUlT_T0_E_clISt17integral_constantIbLb1EESY_IbLb0EEEEDaSU_SV_EUlSU_E_NS1_11comp_targetILNS1_3genE5ELNS1_11target_archE942ELNS1_3gpuE9ELNS1_3repE0EEENS1_30default_config_static_selectorELNS0_4arch9wavefront6targetE0EEEvT1_
    .private_segment_fixed_size: 0
    .sgpr_count:     0
    .sgpr_spill_count: 0
    .symbol:         _ZN7rocprim17ROCPRIM_400000_NS6detail17trampoline_kernelINS0_14default_configENS1_20scan_config_selectorIN3c107complexIfEEEEZZNS1_9scan_implILNS1_25lookback_scan_determinismE0ELb0ELb0ES3_PKS7_PS7_S7_ZZZN2at6native31launch_logcumsumexp_cuda_kernelERKNSE_10TensorBaseESI_lENKUlvE_clEvENKUlvE2_clEvEUlS7_S7_E_S7_EEDaPvRmT3_T4_T5_mT6_P12ihipStream_tbENKUlT_T0_E_clISt17integral_constantIbLb1EESY_IbLb0EEEEDaSU_SV_EUlSU_E_NS1_11comp_targetILNS1_3genE5ELNS1_11target_archE942ELNS1_3gpuE9ELNS1_3repE0EEENS1_30default_config_static_selectorELNS0_4arch9wavefront6targetE0EEEvT1_.kd
    .uniform_work_group_size: 1
    .uses_dynamic_stack: false
    .vgpr_count:     0
    .vgpr_spill_count: 0
    .wavefront_size: 32
    .workgroup_processor_mode: 1
  - .args:
      - .offset:         0
        .size:           104
        .value_kind:     by_value
    .group_segment_fixed_size: 0
    .kernarg_segment_align: 8
    .kernarg_segment_size: 104
    .language:       OpenCL C
    .language_version:
      - 2
      - 0
    .max_flat_workgroup_size: 128
    .name:           _ZN7rocprim17ROCPRIM_400000_NS6detail17trampoline_kernelINS0_14default_configENS1_20scan_config_selectorIN3c107complexIfEEEEZZNS1_9scan_implILNS1_25lookback_scan_determinismE0ELb0ELb0ES3_PKS7_PS7_S7_ZZZN2at6native31launch_logcumsumexp_cuda_kernelERKNSE_10TensorBaseESI_lENKUlvE_clEvENKUlvE2_clEvEUlS7_S7_E_S7_EEDaPvRmT3_T4_T5_mT6_P12ihipStream_tbENKUlT_T0_E_clISt17integral_constantIbLb1EESY_IbLb0EEEEDaSU_SV_EUlSU_E_NS1_11comp_targetILNS1_3genE4ELNS1_11target_archE910ELNS1_3gpuE8ELNS1_3repE0EEENS1_30default_config_static_selectorELNS0_4arch9wavefront6targetE0EEEvT1_
    .private_segment_fixed_size: 0
    .sgpr_count:     0
    .sgpr_spill_count: 0
    .symbol:         _ZN7rocprim17ROCPRIM_400000_NS6detail17trampoline_kernelINS0_14default_configENS1_20scan_config_selectorIN3c107complexIfEEEEZZNS1_9scan_implILNS1_25lookback_scan_determinismE0ELb0ELb0ES3_PKS7_PS7_S7_ZZZN2at6native31launch_logcumsumexp_cuda_kernelERKNSE_10TensorBaseESI_lENKUlvE_clEvENKUlvE2_clEvEUlS7_S7_E_S7_EEDaPvRmT3_T4_T5_mT6_P12ihipStream_tbENKUlT_T0_E_clISt17integral_constantIbLb1EESY_IbLb0EEEEDaSU_SV_EUlSU_E_NS1_11comp_targetILNS1_3genE4ELNS1_11target_archE910ELNS1_3gpuE8ELNS1_3repE0EEENS1_30default_config_static_selectorELNS0_4arch9wavefront6targetE0EEEvT1_.kd
    .uniform_work_group_size: 1
    .uses_dynamic_stack: false
    .vgpr_count:     0
    .vgpr_spill_count: 0
    .wavefront_size: 32
    .workgroup_processor_mode: 1
  - .args:
      - .offset:         0
        .size:           104
        .value_kind:     by_value
    .group_segment_fixed_size: 0
    .kernarg_segment_align: 8
    .kernarg_segment_size: 104
    .language:       OpenCL C
    .language_version:
      - 2
      - 0
    .max_flat_workgroup_size: 256
    .name:           _ZN7rocprim17ROCPRIM_400000_NS6detail17trampoline_kernelINS0_14default_configENS1_20scan_config_selectorIN3c107complexIfEEEEZZNS1_9scan_implILNS1_25lookback_scan_determinismE0ELb0ELb0ES3_PKS7_PS7_S7_ZZZN2at6native31launch_logcumsumexp_cuda_kernelERKNSE_10TensorBaseESI_lENKUlvE_clEvENKUlvE2_clEvEUlS7_S7_E_S7_EEDaPvRmT3_T4_T5_mT6_P12ihipStream_tbENKUlT_T0_E_clISt17integral_constantIbLb1EESY_IbLb0EEEEDaSU_SV_EUlSU_E_NS1_11comp_targetILNS1_3genE3ELNS1_11target_archE908ELNS1_3gpuE7ELNS1_3repE0EEENS1_30default_config_static_selectorELNS0_4arch9wavefront6targetE0EEEvT1_
    .private_segment_fixed_size: 0
    .sgpr_count:     0
    .sgpr_spill_count: 0
    .symbol:         _ZN7rocprim17ROCPRIM_400000_NS6detail17trampoline_kernelINS0_14default_configENS1_20scan_config_selectorIN3c107complexIfEEEEZZNS1_9scan_implILNS1_25lookback_scan_determinismE0ELb0ELb0ES3_PKS7_PS7_S7_ZZZN2at6native31launch_logcumsumexp_cuda_kernelERKNSE_10TensorBaseESI_lENKUlvE_clEvENKUlvE2_clEvEUlS7_S7_E_S7_EEDaPvRmT3_T4_T5_mT6_P12ihipStream_tbENKUlT_T0_E_clISt17integral_constantIbLb1EESY_IbLb0EEEEDaSU_SV_EUlSU_E_NS1_11comp_targetILNS1_3genE3ELNS1_11target_archE908ELNS1_3gpuE7ELNS1_3repE0EEENS1_30default_config_static_selectorELNS0_4arch9wavefront6targetE0EEEvT1_.kd
    .uniform_work_group_size: 1
    .uses_dynamic_stack: false
    .vgpr_count:     0
    .vgpr_spill_count: 0
    .wavefront_size: 32
    .workgroup_processor_mode: 1
  - .args:
      - .offset:         0
        .size:           104
        .value_kind:     by_value
    .group_segment_fixed_size: 0
    .kernarg_segment_align: 8
    .kernarg_segment_size: 104
    .language:       OpenCL C
    .language_version:
      - 2
      - 0
    .max_flat_workgroup_size: 64
    .name:           _ZN7rocprim17ROCPRIM_400000_NS6detail17trampoline_kernelINS0_14default_configENS1_20scan_config_selectorIN3c107complexIfEEEEZZNS1_9scan_implILNS1_25lookback_scan_determinismE0ELb0ELb0ES3_PKS7_PS7_S7_ZZZN2at6native31launch_logcumsumexp_cuda_kernelERKNSE_10TensorBaseESI_lENKUlvE_clEvENKUlvE2_clEvEUlS7_S7_E_S7_EEDaPvRmT3_T4_T5_mT6_P12ihipStream_tbENKUlT_T0_E_clISt17integral_constantIbLb1EESY_IbLb0EEEEDaSU_SV_EUlSU_E_NS1_11comp_targetILNS1_3genE2ELNS1_11target_archE906ELNS1_3gpuE6ELNS1_3repE0EEENS1_30default_config_static_selectorELNS0_4arch9wavefront6targetE0EEEvT1_
    .private_segment_fixed_size: 0
    .sgpr_count:     0
    .sgpr_spill_count: 0
    .symbol:         _ZN7rocprim17ROCPRIM_400000_NS6detail17trampoline_kernelINS0_14default_configENS1_20scan_config_selectorIN3c107complexIfEEEEZZNS1_9scan_implILNS1_25lookback_scan_determinismE0ELb0ELb0ES3_PKS7_PS7_S7_ZZZN2at6native31launch_logcumsumexp_cuda_kernelERKNSE_10TensorBaseESI_lENKUlvE_clEvENKUlvE2_clEvEUlS7_S7_E_S7_EEDaPvRmT3_T4_T5_mT6_P12ihipStream_tbENKUlT_T0_E_clISt17integral_constantIbLb1EESY_IbLb0EEEEDaSU_SV_EUlSU_E_NS1_11comp_targetILNS1_3genE2ELNS1_11target_archE906ELNS1_3gpuE6ELNS1_3repE0EEENS1_30default_config_static_selectorELNS0_4arch9wavefront6targetE0EEEvT1_.kd
    .uniform_work_group_size: 1
    .uses_dynamic_stack: false
    .vgpr_count:     0
    .vgpr_spill_count: 0
    .wavefront_size: 32
    .workgroup_processor_mode: 1
  - .args:
      - .offset:         0
        .size:           104
        .value_kind:     by_value
    .group_segment_fixed_size: 0
    .kernarg_segment_align: 8
    .kernarg_segment_size: 104
    .language:       OpenCL C
    .language_version:
      - 2
      - 0
    .max_flat_workgroup_size: 256
    .name:           _ZN7rocprim17ROCPRIM_400000_NS6detail17trampoline_kernelINS0_14default_configENS1_20scan_config_selectorIN3c107complexIfEEEEZZNS1_9scan_implILNS1_25lookback_scan_determinismE0ELb0ELb0ES3_PKS7_PS7_S7_ZZZN2at6native31launch_logcumsumexp_cuda_kernelERKNSE_10TensorBaseESI_lENKUlvE_clEvENKUlvE2_clEvEUlS7_S7_E_S7_EEDaPvRmT3_T4_T5_mT6_P12ihipStream_tbENKUlT_T0_E_clISt17integral_constantIbLb1EESY_IbLb0EEEEDaSU_SV_EUlSU_E_NS1_11comp_targetILNS1_3genE10ELNS1_11target_archE1201ELNS1_3gpuE5ELNS1_3repE0EEENS1_30default_config_static_selectorELNS0_4arch9wavefront6targetE0EEEvT1_
    .private_segment_fixed_size: 0
    .sgpr_count:     0
    .sgpr_spill_count: 0
    .symbol:         _ZN7rocprim17ROCPRIM_400000_NS6detail17trampoline_kernelINS0_14default_configENS1_20scan_config_selectorIN3c107complexIfEEEEZZNS1_9scan_implILNS1_25lookback_scan_determinismE0ELb0ELb0ES3_PKS7_PS7_S7_ZZZN2at6native31launch_logcumsumexp_cuda_kernelERKNSE_10TensorBaseESI_lENKUlvE_clEvENKUlvE2_clEvEUlS7_S7_E_S7_EEDaPvRmT3_T4_T5_mT6_P12ihipStream_tbENKUlT_T0_E_clISt17integral_constantIbLb1EESY_IbLb0EEEEDaSU_SV_EUlSU_E_NS1_11comp_targetILNS1_3genE10ELNS1_11target_archE1201ELNS1_3gpuE5ELNS1_3repE0EEENS1_30default_config_static_selectorELNS0_4arch9wavefront6targetE0EEEvT1_.kd
    .uniform_work_group_size: 1
    .uses_dynamic_stack: false
    .vgpr_count:     0
    .vgpr_spill_count: 0
    .wavefront_size: 32
    .workgroup_processor_mode: 1
  - .args:
      - .offset:         0
        .size:           104
        .value_kind:     by_value
    .group_segment_fixed_size: 0
    .kernarg_segment_align: 8
    .kernarg_segment_size: 104
    .language:       OpenCL C
    .language_version:
      - 2
      - 0
    .max_flat_workgroup_size: 256
    .name:           _ZN7rocprim17ROCPRIM_400000_NS6detail17trampoline_kernelINS0_14default_configENS1_20scan_config_selectorIN3c107complexIfEEEEZZNS1_9scan_implILNS1_25lookback_scan_determinismE0ELb0ELb0ES3_PKS7_PS7_S7_ZZZN2at6native31launch_logcumsumexp_cuda_kernelERKNSE_10TensorBaseESI_lENKUlvE_clEvENKUlvE2_clEvEUlS7_S7_E_S7_EEDaPvRmT3_T4_T5_mT6_P12ihipStream_tbENKUlT_T0_E_clISt17integral_constantIbLb1EESY_IbLb0EEEEDaSU_SV_EUlSU_E_NS1_11comp_targetILNS1_3genE10ELNS1_11target_archE1200ELNS1_3gpuE4ELNS1_3repE0EEENS1_30default_config_static_selectorELNS0_4arch9wavefront6targetE0EEEvT1_
    .private_segment_fixed_size: 0
    .sgpr_count:     0
    .sgpr_spill_count: 0
    .symbol:         _ZN7rocprim17ROCPRIM_400000_NS6detail17trampoline_kernelINS0_14default_configENS1_20scan_config_selectorIN3c107complexIfEEEEZZNS1_9scan_implILNS1_25lookback_scan_determinismE0ELb0ELb0ES3_PKS7_PS7_S7_ZZZN2at6native31launch_logcumsumexp_cuda_kernelERKNSE_10TensorBaseESI_lENKUlvE_clEvENKUlvE2_clEvEUlS7_S7_E_S7_EEDaPvRmT3_T4_T5_mT6_P12ihipStream_tbENKUlT_T0_E_clISt17integral_constantIbLb1EESY_IbLb0EEEEDaSU_SV_EUlSU_E_NS1_11comp_targetILNS1_3genE10ELNS1_11target_archE1200ELNS1_3gpuE4ELNS1_3repE0EEENS1_30default_config_static_selectorELNS0_4arch9wavefront6targetE0EEEvT1_.kd
    .uniform_work_group_size: 1
    .uses_dynamic_stack: false
    .vgpr_count:     0
    .vgpr_spill_count: 0
    .wavefront_size: 32
    .workgroup_processor_mode: 1
  - .args:
      - .offset:         0
        .size:           104
        .value_kind:     by_value
    .group_segment_fixed_size: 33792
    .kernarg_segment_align: 8
    .kernarg_segment_size: 104
    .language:       OpenCL C
    .language_version:
      - 2
      - 0
    .max_flat_workgroup_size: 256
    .name:           _ZN7rocprim17ROCPRIM_400000_NS6detail17trampoline_kernelINS0_14default_configENS1_20scan_config_selectorIN3c107complexIfEEEEZZNS1_9scan_implILNS1_25lookback_scan_determinismE0ELb0ELb0ES3_PKS7_PS7_S7_ZZZN2at6native31launch_logcumsumexp_cuda_kernelERKNSE_10TensorBaseESI_lENKUlvE_clEvENKUlvE2_clEvEUlS7_S7_E_S7_EEDaPvRmT3_T4_T5_mT6_P12ihipStream_tbENKUlT_T0_E_clISt17integral_constantIbLb1EESY_IbLb0EEEEDaSU_SV_EUlSU_E_NS1_11comp_targetILNS1_3genE9ELNS1_11target_archE1100ELNS1_3gpuE3ELNS1_3repE0EEENS1_30default_config_static_selectorELNS0_4arch9wavefront6targetE0EEEvT1_
    .private_segment_fixed_size: 0
    .sgpr_count:     36
    .sgpr_spill_count: 0
    .symbol:         _ZN7rocprim17ROCPRIM_400000_NS6detail17trampoline_kernelINS0_14default_configENS1_20scan_config_selectorIN3c107complexIfEEEEZZNS1_9scan_implILNS1_25lookback_scan_determinismE0ELb0ELb0ES3_PKS7_PS7_S7_ZZZN2at6native31launch_logcumsumexp_cuda_kernelERKNSE_10TensorBaseESI_lENKUlvE_clEvENKUlvE2_clEvEUlS7_S7_E_S7_EEDaPvRmT3_T4_T5_mT6_P12ihipStream_tbENKUlT_T0_E_clISt17integral_constantIbLb1EESY_IbLb0EEEEDaSU_SV_EUlSU_E_NS1_11comp_targetILNS1_3genE9ELNS1_11target_archE1100ELNS1_3gpuE3ELNS1_3repE0EEENS1_30default_config_static_selectorELNS0_4arch9wavefront6targetE0EEEvT1_.kd
    .uniform_work_group_size: 1
    .uses_dynamic_stack: false
    .vgpr_count:     111
    .vgpr_spill_count: 0
    .wavefront_size: 32
    .workgroup_processor_mode: 1
  - .args:
      - .offset:         0
        .size:           104
        .value_kind:     by_value
    .group_segment_fixed_size: 0
    .kernarg_segment_align: 8
    .kernarg_segment_size: 104
    .language:       OpenCL C
    .language_version:
      - 2
      - 0
    .max_flat_workgroup_size: 256
    .name:           _ZN7rocprim17ROCPRIM_400000_NS6detail17trampoline_kernelINS0_14default_configENS1_20scan_config_selectorIN3c107complexIfEEEEZZNS1_9scan_implILNS1_25lookback_scan_determinismE0ELb0ELb0ES3_PKS7_PS7_S7_ZZZN2at6native31launch_logcumsumexp_cuda_kernelERKNSE_10TensorBaseESI_lENKUlvE_clEvENKUlvE2_clEvEUlS7_S7_E_S7_EEDaPvRmT3_T4_T5_mT6_P12ihipStream_tbENKUlT_T0_E_clISt17integral_constantIbLb1EESY_IbLb0EEEEDaSU_SV_EUlSU_E_NS1_11comp_targetILNS1_3genE8ELNS1_11target_archE1030ELNS1_3gpuE2ELNS1_3repE0EEENS1_30default_config_static_selectorELNS0_4arch9wavefront6targetE0EEEvT1_
    .private_segment_fixed_size: 0
    .sgpr_count:     0
    .sgpr_spill_count: 0
    .symbol:         _ZN7rocprim17ROCPRIM_400000_NS6detail17trampoline_kernelINS0_14default_configENS1_20scan_config_selectorIN3c107complexIfEEEEZZNS1_9scan_implILNS1_25lookback_scan_determinismE0ELb0ELb0ES3_PKS7_PS7_S7_ZZZN2at6native31launch_logcumsumexp_cuda_kernelERKNSE_10TensorBaseESI_lENKUlvE_clEvENKUlvE2_clEvEUlS7_S7_E_S7_EEDaPvRmT3_T4_T5_mT6_P12ihipStream_tbENKUlT_T0_E_clISt17integral_constantIbLb1EESY_IbLb0EEEEDaSU_SV_EUlSU_E_NS1_11comp_targetILNS1_3genE8ELNS1_11target_archE1030ELNS1_3gpuE2ELNS1_3repE0EEENS1_30default_config_static_selectorELNS0_4arch9wavefront6targetE0EEEvT1_.kd
    .uniform_work_group_size: 1
    .uses_dynamic_stack: false
    .vgpr_count:     0
    .vgpr_spill_count: 0
    .wavefront_size: 32
    .workgroup_processor_mode: 1
  - .args:
      - .offset:         0
        .size:           40
        .value_kind:     by_value
    .group_segment_fixed_size: 0
    .kernarg_segment_align: 8
    .kernarg_segment_size: 40
    .language:       OpenCL C
    .language_version:
      - 2
      - 0
    .max_flat_workgroup_size: 256
    .name:           _ZN7rocprim17ROCPRIM_400000_NS6detail17trampoline_kernelINS0_14default_configENS1_20scan_config_selectorIN3c107complexIfEEEEZZNS1_9scan_implILNS1_25lookback_scan_determinismE0ELb0ELb0ES3_PKS7_PS7_S7_ZZZN2at6native31launch_logcumsumexp_cuda_kernelERKNSE_10TensorBaseESI_lENKUlvE_clEvENKUlvE2_clEvEUlS7_S7_E_S7_EEDaPvRmT3_T4_T5_mT6_P12ihipStream_tbENKUlT_T0_E_clISt17integral_constantIbLb1EESY_IbLb0EEEEDaSU_SV_EUlSU_E0_NS1_11comp_targetILNS1_3genE0ELNS1_11target_archE4294967295ELNS1_3gpuE0ELNS1_3repE0EEENS1_30default_config_static_selectorELNS0_4arch9wavefront6targetE0EEEvT1_
    .private_segment_fixed_size: 0
    .sgpr_count:     0
    .sgpr_spill_count: 0
    .symbol:         _ZN7rocprim17ROCPRIM_400000_NS6detail17trampoline_kernelINS0_14default_configENS1_20scan_config_selectorIN3c107complexIfEEEEZZNS1_9scan_implILNS1_25lookback_scan_determinismE0ELb0ELb0ES3_PKS7_PS7_S7_ZZZN2at6native31launch_logcumsumexp_cuda_kernelERKNSE_10TensorBaseESI_lENKUlvE_clEvENKUlvE2_clEvEUlS7_S7_E_S7_EEDaPvRmT3_T4_T5_mT6_P12ihipStream_tbENKUlT_T0_E_clISt17integral_constantIbLb1EESY_IbLb0EEEEDaSU_SV_EUlSU_E0_NS1_11comp_targetILNS1_3genE0ELNS1_11target_archE4294967295ELNS1_3gpuE0ELNS1_3repE0EEENS1_30default_config_static_selectorELNS0_4arch9wavefront6targetE0EEEvT1_.kd
    .uniform_work_group_size: 1
    .uses_dynamic_stack: false
    .vgpr_count:     0
    .vgpr_spill_count: 0
    .wavefront_size: 32
    .workgroup_processor_mode: 1
  - .args:
      - .offset:         0
        .size:           40
        .value_kind:     by_value
    .group_segment_fixed_size: 0
    .kernarg_segment_align: 8
    .kernarg_segment_size: 40
    .language:       OpenCL C
    .language_version:
      - 2
      - 0
    .max_flat_workgroup_size: 256
    .name:           _ZN7rocprim17ROCPRIM_400000_NS6detail17trampoline_kernelINS0_14default_configENS1_20scan_config_selectorIN3c107complexIfEEEEZZNS1_9scan_implILNS1_25lookback_scan_determinismE0ELb0ELb0ES3_PKS7_PS7_S7_ZZZN2at6native31launch_logcumsumexp_cuda_kernelERKNSE_10TensorBaseESI_lENKUlvE_clEvENKUlvE2_clEvEUlS7_S7_E_S7_EEDaPvRmT3_T4_T5_mT6_P12ihipStream_tbENKUlT_T0_E_clISt17integral_constantIbLb1EESY_IbLb0EEEEDaSU_SV_EUlSU_E0_NS1_11comp_targetILNS1_3genE5ELNS1_11target_archE942ELNS1_3gpuE9ELNS1_3repE0EEENS1_30default_config_static_selectorELNS0_4arch9wavefront6targetE0EEEvT1_
    .private_segment_fixed_size: 0
    .sgpr_count:     0
    .sgpr_spill_count: 0
    .symbol:         _ZN7rocprim17ROCPRIM_400000_NS6detail17trampoline_kernelINS0_14default_configENS1_20scan_config_selectorIN3c107complexIfEEEEZZNS1_9scan_implILNS1_25lookback_scan_determinismE0ELb0ELb0ES3_PKS7_PS7_S7_ZZZN2at6native31launch_logcumsumexp_cuda_kernelERKNSE_10TensorBaseESI_lENKUlvE_clEvENKUlvE2_clEvEUlS7_S7_E_S7_EEDaPvRmT3_T4_T5_mT6_P12ihipStream_tbENKUlT_T0_E_clISt17integral_constantIbLb1EESY_IbLb0EEEEDaSU_SV_EUlSU_E0_NS1_11comp_targetILNS1_3genE5ELNS1_11target_archE942ELNS1_3gpuE9ELNS1_3repE0EEENS1_30default_config_static_selectorELNS0_4arch9wavefront6targetE0EEEvT1_.kd
    .uniform_work_group_size: 1
    .uses_dynamic_stack: false
    .vgpr_count:     0
    .vgpr_spill_count: 0
    .wavefront_size: 32
    .workgroup_processor_mode: 1
  - .args:
      - .offset:         0
        .size:           40
        .value_kind:     by_value
    .group_segment_fixed_size: 0
    .kernarg_segment_align: 8
    .kernarg_segment_size: 40
    .language:       OpenCL C
    .language_version:
      - 2
      - 0
    .max_flat_workgroup_size: 128
    .name:           _ZN7rocprim17ROCPRIM_400000_NS6detail17trampoline_kernelINS0_14default_configENS1_20scan_config_selectorIN3c107complexIfEEEEZZNS1_9scan_implILNS1_25lookback_scan_determinismE0ELb0ELb0ES3_PKS7_PS7_S7_ZZZN2at6native31launch_logcumsumexp_cuda_kernelERKNSE_10TensorBaseESI_lENKUlvE_clEvENKUlvE2_clEvEUlS7_S7_E_S7_EEDaPvRmT3_T4_T5_mT6_P12ihipStream_tbENKUlT_T0_E_clISt17integral_constantIbLb1EESY_IbLb0EEEEDaSU_SV_EUlSU_E0_NS1_11comp_targetILNS1_3genE4ELNS1_11target_archE910ELNS1_3gpuE8ELNS1_3repE0EEENS1_30default_config_static_selectorELNS0_4arch9wavefront6targetE0EEEvT1_
    .private_segment_fixed_size: 0
    .sgpr_count:     0
    .sgpr_spill_count: 0
    .symbol:         _ZN7rocprim17ROCPRIM_400000_NS6detail17trampoline_kernelINS0_14default_configENS1_20scan_config_selectorIN3c107complexIfEEEEZZNS1_9scan_implILNS1_25lookback_scan_determinismE0ELb0ELb0ES3_PKS7_PS7_S7_ZZZN2at6native31launch_logcumsumexp_cuda_kernelERKNSE_10TensorBaseESI_lENKUlvE_clEvENKUlvE2_clEvEUlS7_S7_E_S7_EEDaPvRmT3_T4_T5_mT6_P12ihipStream_tbENKUlT_T0_E_clISt17integral_constantIbLb1EESY_IbLb0EEEEDaSU_SV_EUlSU_E0_NS1_11comp_targetILNS1_3genE4ELNS1_11target_archE910ELNS1_3gpuE8ELNS1_3repE0EEENS1_30default_config_static_selectorELNS0_4arch9wavefront6targetE0EEEvT1_.kd
    .uniform_work_group_size: 1
    .uses_dynamic_stack: false
    .vgpr_count:     0
    .vgpr_spill_count: 0
    .wavefront_size: 32
    .workgroup_processor_mode: 1
  - .args:
      - .offset:         0
        .size:           40
        .value_kind:     by_value
    .group_segment_fixed_size: 0
    .kernarg_segment_align: 8
    .kernarg_segment_size: 40
    .language:       OpenCL C
    .language_version:
      - 2
      - 0
    .max_flat_workgroup_size: 256
    .name:           _ZN7rocprim17ROCPRIM_400000_NS6detail17trampoline_kernelINS0_14default_configENS1_20scan_config_selectorIN3c107complexIfEEEEZZNS1_9scan_implILNS1_25lookback_scan_determinismE0ELb0ELb0ES3_PKS7_PS7_S7_ZZZN2at6native31launch_logcumsumexp_cuda_kernelERKNSE_10TensorBaseESI_lENKUlvE_clEvENKUlvE2_clEvEUlS7_S7_E_S7_EEDaPvRmT3_T4_T5_mT6_P12ihipStream_tbENKUlT_T0_E_clISt17integral_constantIbLb1EESY_IbLb0EEEEDaSU_SV_EUlSU_E0_NS1_11comp_targetILNS1_3genE3ELNS1_11target_archE908ELNS1_3gpuE7ELNS1_3repE0EEENS1_30default_config_static_selectorELNS0_4arch9wavefront6targetE0EEEvT1_
    .private_segment_fixed_size: 0
    .sgpr_count:     0
    .sgpr_spill_count: 0
    .symbol:         _ZN7rocprim17ROCPRIM_400000_NS6detail17trampoline_kernelINS0_14default_configENS1_20scan_config_selectorIN3c107complexIfEEEEZZNS1_9scan_implILNS1_25lookback_scan_determinismE0ELb0ELb0ES3_PKS7_PS7_S7_ZZZN2at6native31launch_logcumsumexp_cuda_kernelERKNSE_10TensorBaseESI_lENKUlvE_clEvENKUlvE2_clEvEUlS7_S7_E_S7_EEDaPvRmT3_T4_T5_mT6_P12ihipStream_tbENKUlT_T0_E_clISt17integral_constantIbLb1EESY_IbLb0EEEEDaSU_SV_EUlSU_E0_NS1_11comp_targetILNS1_3genE3ELNS1_11target_archE908ELNS1_3gpuE7ELNS1_3repE0EEENS1_30default_config_static_selectorELNS0_4arch9wavefront6targetE0EEEvT1_.kd
    .uniform_work_group_size: 1
    .uses_dynamic_stack: false
    .vgpr_count:     0
    .vgpr_spill_count: 0
    .wavefront_size: 32
    .workgroup_processor_mode: 1
  - .args:
      - .offset:         0
        .size:           40
        .value_kind:     by_value
    .group_segment_fixed_size: 0
    .kernarg_segment_align: 8
    .kernarg_segment_size: 40
    .language:       OpenCL C
    .language_version:
      - 2
      - 0
    .max_flat_workgroup_size: 64
    .name:           _ZN7rocprim17ROCPRIM_400000_NS6detail17trampoline_kernelINS0_14default_configENS1_20scan_config_selectorIN3c107complexIfEEEEZZNS1_9scan_implILNS1_25lookback_scan_determinismE0ELb0ELb0ES3_PKS7_PS7_S7_ZZZN2at6native31launch_logcumsumexp_cuda_kernelERKNSE_10TensorBaseESI_lENKUlvE_clEvENKUlvE2_clEvEUlS7_S7_E_S7_EEDaPvRmT3_T4_T5_mT6_P12ihipStream_tbENKUlT_T0_E_clISt17integral_constantIbLb1EESY_IbLb0EEEEDaSU_SV_EUlSU_E0_NS1_11comp_targetILNS1_3genE2ELNS1_11target_archE906ELNS1_3gpuE6ELNS1_3repE0EEENS1_30default_config_static_selectorELNS0_4arch9wavefront6targetE0EEEvT1_
    .private_segment_fixed_size: 0
    .sgpr_count:     0
    .sgpr_spill_count: 0
    .symbol:         _ZN7rocprim17ROCPRIM_400000_NS6detail17trampoline_kernelINS0_14default_configENS1_20scan_config_selectorIN3c107complexIfEEEEZZNS1_9scan_implILNS1_25lookback_scan_determinismE0ELb0ELb0ES3_PKS7_PS7_S7_ZZZN2at6native31launch_logcumsumexp_cuda_kernelERKNSE_10TensorBaseESI_lENKUlvE_clEvENKUlvE2_clEvEUlS7_S7_E_S7_EEDaPvRmT3_T4_T5_mT6_P12ihipStream_tbENKUlT_T0_E_clISt17integral_constantIbLb1EESY_IbLb0EEEEDaSU_SV_EUlSU_E0_NS1_11comp_targetILNS1_3genE2ELNS1_11target_archE906ELNS1_3gpuE6ELNS1_3repE0EEENS1_30default_config_static_selectorELNS0_4arch9wavefront6targetE0EEEvT1_.kd
    .uniform_work_group_size: 1
    .uses_dynamic_stack: false
    .vgpr_count:     0
    .vgpr_spill_count: 0
    .wavefront_size: 32
    .workgroup_processor_mode: 1
  - .args:
      - .offset:         0
        .size:           40
        .value_kind:     by_value
    .group_segment_fixed_size: 0
    .kernarg_segment_align: 8
    .kernarg_segment_size: 40
    .language:       OpenCL C
    .language_version:
      - 2
      - 0
    .max_flat_workgroup_size: 256
    .name:           _ZN7rocprim17ROCPRIM_400000_NS6detail17trampoline_kernelINS0_14default_configENS1_20scan_config_selectorIN3c107complexIfEEEEZZNS1_9scan_implILNS1_25lookback_scan_determinismE0ELb0ELb0ES3_PKS7_PS7_S7_ZZZN2at6native31launch_logcumsumexp_cuda_kernelERKNSE_10TensorBaseESI_lENKUlvE_clEvENKUlvE2_clEvEUlS7_S7_E_S7_EEDaPvRmT3_T4_T5_mT6_P12ihipStream_tbENKUlT_T0_E_clISt17integral_constantIbLb1EESY_IbLb0EEEEDaSU_SV_EUlSU_E0_NS1_11comp_targetILNS1_3genE10ELNS1_11target_archE1201ELNS1_3gpuE5ELNS1_3repE0EEENS1_30default_config_static_selectorELNS0_4arch9wavefront6targetE0EEEvT1_
    .private_segment_fixed_size: 0
    .sgpr_count:     0
    .sgpr_spill_count: 0
    .symbol:         _ZN7rocprim17ROCPRIM_400000_NS6detail17trampoline_kernelINS0_14default_configENS1_20scan_config_selectorIN3c107complexIfEEEEZZNS1_9scan_implILNS1_25lookback_scan_determinismE0ELb0ELb0ES3_PKS7_PS7_S7_ZZZN2at6native31launch_logcumsumexp_cuda_kernelERKNSE_10TensorBaseESI_lENKUlvE_clEvENKUlvE2_clEvEUlS7_S7_E_S7_EEDaPvRmT3_T4_T5_mT6_P12ihipStream_tbENKUlT_T0_E_clISt17integral_constantIbLb1EESY_IbLb0EEEEDaSU_SV_EUlSU_E0_NS1_11comp_targetILNS1_3genE10ELNS1_11target_archE1201ELNS1_3gpuE5ELNS1_3repE0EEENS1_30default_config_static_selectorELNS0_4arch9wavefront6targetE0EEEvT1_.kd
    .uniform_work_group_size: 1
    .uses_dynamic_stack: false
    .vgpr_count:     0
    .vgpr_spill_count: 0
    .wavefront_size: 32
    .workgroup_processor_mode: 1
  - .args:
      - .offset:         0
        .size:           40
        .value_kind:     by_value
    .group_segment_fixed_size: 0
    .kernarg_segment_align: 8
    .kernarg_segment_size: 40
    .language:       OpenCL C
    .language_version:
      - 2
      - 0
    .max_flat_workgroup_size: 256
    .name:           _ZN7rocprim17ROCPRIM_400000_NS6detail17trampoline_kernelINS0_14default_configENS1_20scan_config_selectorIN3c107complexIfEEEEZZNS1_9scan_implILNS1_25lookback_scan_determinismE0ELb0ELb0ES3_PKS7_PS7_S7_ZZZN2at6native31launch_logcumsumexp_cuda_kernelERKNSE_10TensorBaseESI_lENKUlvE_clEvENKUlvE2_clEvEUlS7_S7_E_S7_EEDaPvRmT3_T4_T5_mT6_P12ihipStream_tbENKUlT_T0_E_clISt17integral_constantIbLb1EESY_IbLb0EEEEDaSU_SV_EUlSU_E0_NS1_11comp_targetILNS1_3genE10ELNS1_11target_archE1200ELNS1_3gpuE4ELNS1_3repE0EEENS1_30default_config_static_selectorELNS0_4arch9wavefront6targetE0EEEvT1_
    .private_segment_fixed_size: 0
    .sgpr_count:     0
    .sgpr_spill_count: 0
    .symbol:         _ZN7rocprim17ROCPRIM_400000_NS6detail17trampoline_kernelINS0_14default_configENS1_20scan_config_selectorIN3c107complexIfEEEEZZNS1_9scan_implILNS1_25lookback_scan_determinismE0ELb0ELb0ES3_PKS7_PS7_S7_ZZZN2at6native31launch_logcumsumexp_cuda_kernelERKNSE_10TensorBaseESI_lENKUlvE_clEvENKUlvE2_clEvEUlS7_S7_E_S7_EEDaPvRmT3_T4_T5_mT6_P12ihipStream_tbENKUlT_T0_E_clISt17integral_constantIbLb1EESY_IbLb0EEEEDaSU_SV_EUlSU_E0_NS1_11comp_targetILNS1_3genE10ELNS1_11target_archE1200ELNS1_3gpuE4ELNS1_3repE0EEENS1_30default_config_static_selectorELNS0_4arch9wavefront6targetE0EEEvT1_.kd
    .uniform_work_group_size: 1
    .uses_dynamic_stack: false
    .vgpr_count:     0
    .vgpr_spill_count: 0
    .wavefront_size: 32
    .workgroup_processor_mode: 1
  - .args:
      - .offset:         0
        .size:           40
        .value_kind:     by_value
    .group_segment_fixed_size: 33792
    .kernarg_segment_align: 8
    .kernarg_segment_size: 40
    .language:       OpenCL C
    .language_version:
      - 2
      - 0
    .max_flat_workgroup_size: 256
    .name:           _ZN7rocprim17ROCPRIM_400000_NS6detail17trampoline_kernelINS0_14default_configENS1_20scan_config_selectorIN3c107complexIfEEEEZZNS1_9scan_implILNS1_25lookback_scan_determinismE0ELb0ELb0ES3_PKS7_PS7_S7_ZZZN2at6native31launch_logcumsumexp_cuda_kernelERKNSE_10TensorBaseESI_lENKUlvE_clEvENKUlvE2_clEvEUlS7_S7_E_S7_EEDaPvRmT3_T4_T5_mT6_P12ihipStream_tbENKUlT_T0_E_clISt17integral_constantIbLb1EESY_IbLb0EEEEDaSU_SV_EUlSU_E0_NS1_11comp_targetILNS1_3genE9ELNS1_11target_archE1100ELNS1_3gpuE3ELNS1_3repE0EEENS1_30default_config_static_selectorELNS0_4arch9wavefront6targetE0EEEvT1_
    .private_segment_fixed_size: 0
    .sgpr_count:     35
    .sgpr_spill_count: 0
    .symbol:         _ZN7rocprim17ROCPRIM_400000_NS6detail17trampoline_kernelINS0_14default_configENS1_20scan_config_selectorIN3c107complexIfEEEEZZNS1_9scan_implILNS1_25lookback_scan_determinismE0ELb0ELb0ES3_PKS7_PS7_S7_ZZZN2at6native31launch_logcumsumexp_cuda_kernelERKNSE_10TensorBaseESI_lENKUlvE_clEvENKUlvE2_clEvEUlS7_S7_E_S7_EEDaPvRmT3_T4_T5_mT6_P12ihipStream_tbENKUlT_T0_E_clISt17integral_constantIbLb1EESY_IbLb0EEEEDaSU_SV_EUlSU_E0_NS1_11comp_targetILNS1_3genE9ELNS1_11target_archE1100ELNS1_3gpuE3ELNS1_3repE0EEENS1_30default_config_static_selectorELNS0_4arch9wavefront6targetE0EEEvT1_.kd
    .uniform_work_group_size: 1
    .uses_dynamic_stack: false
    .vgpr_count:     110
    .vgpr_spill_count: 0
    .wavefront_size: 32
    .workgroup_processor_mode: 1
  - .args:
      - .offset:         0
        .size:           40
        .value_kind:     by_value
    .group_segment_fixed_size: 0
    .kernarg_segment_align: 8
    .kernarg_segment_size: 40
    .language:       OpenCL C
    .language_version:
      - 2
      - 0
    .max_flat_workgroup_size: 256
    .name:           _ZN7rocprim17ROCPRIM_400000_NS6detail17trampoline_kernelINS0_14default_configENS1_20scan_config_selectorIN3c107complexIfEEEEZZNS1_9scan_implILNS1_25lookback_scan_determinismE0ELb0ELb0ES3_PKS7_PS7_S7_ZZZN2at6native31launch_logcumsumexp_cuda_kernelERKNSE_10TensorBaseESI_lENKUlvE_clEvENKUlvE2_clEvEUlS7_S7_E_S7_EEDaPvRmT3_T4_T5_mT6_P12ihipStream_tbENKUlT_T0_E_clISt17integral_constantIbLb1EESY_IbLb0EEEEDaSU_SV_EUlSU_E0_NS1_11comp_targetILNS1_3genE8ELNS1_11target_archE1030ELNS1_3gpuE2ELNS1_3repE0EEENS1_30default_config_static_selectorELNS0_4arch9wavefront6targetE0EEEvT1_
    .private_segment_fixed_size: 0
    .sgpr_count:     0
    .sgpr_spill_count: 0
    .symbol:         _ZN7rocprim17ROCPRIM_400000_NS6detail17trampoline_kernelINS0_14default_configENS1_20scan_config_selectorIN3c107complexIfEEEEZZNS1_9scan_implILNS1_25lookback_scan_determinismE0ELb0ELb0ES3_PKS7_PS7_S7_ZZZN2at6native31launch_logcumsumexp_cuda_kernelERKNSE_10TensorBaseESI_lENKUlvE_clEvENKUlvE2_clEvEUlS7_S7_E_S7_EEDaPvRmT3_T4_T5_mT6_P12ihipStream_tbENKUlT_T0_E_clISt17integral_constantIbLb1EESY_IbLb0EEEEDaSU_SV_EUlSU_E0_NS1_11comp_targetILNS1_3genE8ELNS1_11target_archE1030ELNS1_3gpuE2ELNS1_3repE0EEENS1_30default_config_static_selectorELNS0_4arch9wavefront6targetE0EEEvT1_.kd
    .uniform_work_group_size: 1
    .uses_dynamic_stack: false
    .vgpr_count:     0
    .vgpr_spill_count: 0
    .wavefront_size: 32
    .workgroup_processor_mode: 1
  - .args:
      - .address_space:  global
        .offset:         0
        .size:           8
        .value_kind:     global_buffer
      - .offset:         8
        .size:           4
        .value_kind:     by_value
      - .address_space:  global
        .offset:         16
        .size:           8
        .value_kind:     global_buffer
      - .offset:         24
        .size:           4
        .value_kind:     by_value
      - .address_space:  global
        .offset:         32
        .size:           8
        .value_kind:     global_buffer
      - .offset:         40
        .size:           4
        .value_kind:     hidden_block_count_x
      - .offset:         44
        .size:           4
        .value_kind:     hidden_block_count_y
      - .offset:         48
        .size:           4
        .value_kind:     hidden_block_count_z
      - .offset:         52
        .size:           2
        .value_kind:     hidden_group_size_x
      - .offset:         54
        .size:           2
        .value_kind:     hidden_group_size_y
      - .offset:         56
        .size:           2
        .value_kind:     hidden_group_size_z
      - .offset:         58
        .size:           2
        .value_kind:     hidden_remainder_x
      - .offset:         60
        .size:           2
        .value_kind:     hidden_remainder_y
      - .offset:         62
        .size:           2
        .value_kind:     hidden_remainder_z
      - .offset:         80
        .size:           8
        .value_kind:     hidden_global_offset_x
      - .offset:         88
        .size:           8
        .value_kind:     hidden_global_offset_y
      - .offset:         96
        .size:           8
        .value_kind:     hidden_global_offset_z
      - .offset:         104
        .size:           2
        .value_kind:     hidden_grid_dims
    .group_segment_fixed_size: 0
    .kernarg_segment_align: 8
    .kernarg_segment_size: 296
    .language:       OpenCL C
    .language_version:
      - 2
      - 0
    .max_flat_workgroup_size: 256
    .name:           _ZN7rocprim17ROCPRIM_400000_NS6detail31init_lookback_scan_state_kernelINS1_19lookback_scan_stateIN3c107complexIfEELb0ELb1EEENS1_16block_id_wrapperIjLb1EEEEEvT_jT0_jPNSA_10value_typeE
    .private_segment_fixed_size: 0
    .sgpr_count:     18
    .sgpr_spill_count: 0
    .symbol:         _ZN7rocprim17ROCPRIM_400000_NS6detail31init_lookback_scan_state_kernelINS1_19lookback_scan_stateIN3c107complexIfEELb0ELb1EEENS1_16block_id_wrapperIjLb1EEEEEvT_jT0_jPNSA_10value_typeE.kd
    .uniform_work_group_size: 1
    .uses_dynamic_stack: false
    .vgpr_count:     9
    .vgpr_spill_count: 0
    .wavefront_size: 32
    .workgroup_processor_mode: 1
  - .args:
      - .offset:         0
        .size:           104
        .value_kind:     by_value
    .group_segment_fixed_size: 0
    .kernarg_segment_align: 8
    .kernarg_segment_size: 104
    .language:       OpenCL C
    .language_version:
      - 2
      - 0
    .max_flat_workgroup_size: 256
    .name:           _ZN7rocprim17ROCPRIM_400000_NS6detail17trampoline_kernelINS0_14default_configENS1_20scan_config_selectorIN3c107complexIfEEEEZZNS1_9scan_implILNS1_25lookback_scan_determinismE0ELb0ELb0ES3_PKS7_PS7_S7_ZZZN2at6native31launch_logcumsumexp_cuda_kernelERKNSE_10TensorBaseESI_lENKUlvE_clEvENKUlvE2_clEvEUlS7_S7_E_S7_EEDaPvRmT3_T4_T5_mT6_P12ihipStream_tbENKUlT_T0_E_clISt17integral_constantIbLb0EESY_IbLb1EEEEDaSU_SV_EUlSU_E_NS1_11comp_targetILNS1_3genE0ELNS1_11target_archE4294967295ELNS1_3gpuE0ELNS1_3repE0EEENS1_30default_config_static_selectorELNS0_4arch9wavefront6targetE0EEEvT1_
    .private_segment_fixed_size: 0
    .sgpr_count:     0
    .sgpr_spill_count: 0
    .symbol:         _ZN7rocprim17ROCPRIM_400000_NS6detail17trampoline_kernelINS0_14default_configENS1_20scan_config_selectorIN3c107complexIfEEEEZZNS1_9scan_implILNS1_25lookback_scan_determinismE0ELb0ELb0ES3_PKS7_PS7_S7_ZZZN2at6native31launch_logcumsumexp_cuda_kernelERKNSE_10TensorBaseESI_lENKUlvE_clEvENKUlvE2_clEvEUlS7_S7_E_S7_EEDaPvRmT3_T4_T5_mT6_P12ihipStream_tbENKUlT_T0_E_clISt17integral_constantIbLb0EESY_IbLb1EEEEDaSU_SV_EUlSU_E_NS1_11comp_targetILNS1_3genE0ELNS1_11target_archE4294967295ELNS1_3gpuE0ELNS1_3repE0EEENS1_30default_config_static_selectorELNS0_4arch9wavefront6targetE0EEEvT1_.kd
    .uniform_work_group_size: 1
    .uses_dynamic_stack: false
    .vgpr_count:     0
    .vgpr_spill_count: 0
    .wavefront_size: 32
    .workgroup_processor_mode: 1
  - .args:
      - .offset:         0
        .size:           104
        .value_kind:     by_value
    .group_segment_fixed_size: 0
    .kernarg_segment_align: 8
    .kernarg_segment_size: 104
    .language:       OpenCL C
    .language_version:
      - 2
      - 0
    .max_flat_workgroup_size: 256
    .name:           _ZN7rocprim17ROCPRIM_400000_NS6detail17trampoline_kernelINS0_14default_configENS1_20scan_config_selectorIN3c107complexIfEEEEZZNS1_9scan_implILNS1_25lookback_scan_determinismE0ELb0ELb0ES3_PKS7_PS7_S7_ZZZN2at6native31launch_logcumsumexp_cuda_kernelERKNSE_10TensorBaseESI_lENKUlvE_clEvENKUlvE2_clEvEUlS7_S7_E_S7_EEDaPvRmT3_T4_T5_mT6_P12ihipStream_tbENKUlT_T0_E_clISt17integral_constantIbLb0EESY_IbLb1EEEEDaSU_SV_EUlSU_E_NS1_11comp_targetILNS1_3genE5ELNS1_11target_archE942ELNS1_3gpuE9ELNS1_3repE0EEENS1_30default_config_static_selectorELNS0_4arch9wavefront6targetE0EEEvT1_
    .private_segment_fixed_size: 0
    .sgpr_count:     0
    .sgpr_spill_count: 0
    .symbol:         _ZN7rocprim17ROCPRIM_400000_NS6detail17trampoline_kernelINS0_14default_configENS1_20scan_config_selectorIN3c107complexIfEEEEZZNS1_9scan_implILNS1_25lookback_scan_determinismE0ELb0ELb0ES3_PKS7_PS7_S7_ZZZN2at6native31launch_logcumsumexp_cuda_kernelERKNSE_10TensorBaseESI_lENKUlvE_clEvENKUlvE2_clEvEUlS7_S7_E_S7_EEDaPvRmT3_T4_T5_mT6_P12ihipStream_tbENKUlT_T0_E_clISt17integral_constantIbLb0EESY_IbLb1EEEEDaSU_SV_EUlSU_E_NS1_11comp_targetILNS1_3genE5ELNS1_11target_archE942ELNS1_3gpuE9ELNS1_3repE0EEENS1_30default_config_static_selectorELNS0_4arch9wavefront6targetE0EEEvT1_.kd
    .uniform_work_group_size: 1
    .uses_dynamic_stack: false
    .vgpr_count:     0
    .vgpr_spill_count: 0
    .wavefront_size: 32
    .workgroup_processor_mode: 1
  - .args:
      - .offset:         0
        .size:           104
        .value_kind:     by_value
    .group_segment_fixed_size: 0
    .kernarg_segment_align: 8
    .kernarg_segment_size: 104
    .language:       OpenCL C
    .language_version:
      - 2
      - 0
    .max_flat_workgroup_size: 128
    .name:           _ZN7rocprim17ROCPRIM_400000_NS6detail17trampoline_kernelINS0_14default_configENS1_20scan_config_selectorIN3c107complexIfEEEEZZNS1_9scan_implILNS1_25lookback_scan_determinismE0ELb0ELb0ES3_PKS7_PS7_S7_ZZZN2at6native31launch_logcumsumexp_cuda_kernelERKNSE_10TensorBaseESI_lENKUlvE_clEvENKUlvE2_clEvEUlS7_S7_E_S7_EEDaPvRmT3_T4_T5_mT6_P12ihipStream_tbENKUlT_T0_E_clISt17integral_constantIbLb0EESY_IbLb1EEEEDaSU_SV_EUlSU_E_NS1_11comp_targetILNS1_3genE4ELNS1_11target_archE910ELNS1_3gpuE8ELNS1_3repE0EEENS1_30default_config_static_selectorELNS0_4arch9wavefront6targetE0EEEvT1_
    .private_segment_fixed_size: 0
    .sgpr_count:     0
    .sgpr_spill_count: 0
    .symbol:         _ZN7rocprim17ROCPRIM_400000_NS6detail17trampoline_kernelINS0_14default_configENS1_20scan_config_selectorIN3c107complexIfEEEEZZNS1_9scan_implILNS1_25lookback_scan_determinismE0ELb0ELb0ES3_PKS7_PS7_S7_ZZZN2at6native31launch_logcumsumexp_cuda_kernelERKNSE_10TensorBaseESI_lENKUlvE_clEvENKUlvE2_clEvEUlS7_S7_E_S7_EEDaPvRmT3_T4_T5_mT6_P12ihipStream_tbENKUlT_T0_E_clISt17integral_constantIbLb0EESY_IbLb1EEEEDaSU_SV_EUlSU_E_NS1_11comp_targetILNS1_3genE4ELNS1_11target_archE910ELNS1_3gpuE8ELNS1_3repE0EEENS1_30default_config_static_selectorELNS0_4arch9wavefront6targetE0EEEvT1_.kd
    .uniform_work_group_size: 1
    .uses_dynamic_stack: false
    .vgpr_count:     0
    .vgpr_spill_count: 0
    .wavefront_size: 32
    .workgroup_processor_mode: 1
  - .args:
      - .offset:         0
        .size:           104
        .value_kind:     by_value
    .group_segment_fixed_size: 0
    .kernarg_segment_align: 8
    .kernarg_segment_size: 104
    .language:       OpenCL C
    .language_version:
      - 2
      - 0
    .max_flat_workgroup_size: 256
    .name:           _ZN7rocprim17ROCPRIM_400000_NS6detail17trampoline_kernelINS0_14default_configENS1_20scan_config_selectorIN3c107complexIfEEEEZZNS1_9scan_implILNS1_25lookback_scan_determinismE0ELb0ELb0ES3_PKS7_PS7_S7_ZZZN2at6native31launch_logcumsumexp_cuda_kernelERKNSE_10TensorBaseESI_lENKUlvE_clEvENKUlvE2_clEvEUlS7_S7_E_S7_EEDaPvRmT3_T4_T5_mT6_P12ihipStream_tbENKUlT_T0_E_clISt17integral_constantIbLb0EESY_IbLb1EEEEDaSU_SV_EUlSU_E_NS1_11comp_targetILNS1_3genE3ELNS1_11target_archE908ELNS1_3gpuE7ELNS1_3repE0EEENS1_30default_config_static_selectorELNS0_4arch9wavefront6targetE0EEEvT1_
    .private_segment_fixed_size: 0
    .sgpr_count:     0
    .sgpr_spill_count: 0
    .symbol:         _ZN7rocprim17ROCPRIM_400000_NS6detail17trampoline_kernelINS0_14default_configENS1_20scan_config_selectorIN3c107complexIfEEEEZZNS1_9scan_implILNS1_25lookback_scan_determinismE0ELb0ELb0ES3_PKS7_PS7_S7_ZZZN2at6native31launch_logcumsumexp_cuda_kernelERKNSE_10TensorBaseESI_lENKUlvE_clEvENKUlvE2_clEvEUlS7_S7_E_S7_EEDaPvRmT3_T4_T5_mT6_P12ihipStream_tbENKUlT_T0_E_clISt17integral_constantIbLb0EESY_IbLb1EEEEDaSU_SV_EUlSU_E_NS1_11comp_targetILNS1_3genE3ELNS1_11target_archE908ELNS1_3gpuE7ELNS1_3repE0EEENS1_30default_config_static_selectorELNS0_4arch9wavefront6targetE0EEEvT1_.kd
    .uniform_work_group_size: 1
    .uses_dynamic_stack: false
    .vgpr_count:     0
    .vgpr_spill_count: 0
    .wavefront_size: 32
    .workgroup_processor_mode: 1
  - .args:
      - .offset:         0
        .size:           104
        .value_kind:     by_value
    .group_segment_fixed_size: 0
    .kernarg_segment_align: 8
    .kernarg_segment_size: 104
    .language:       OpenCL C
    .language_version:
      - 2
      - 0
    .max_flat_workgroup_size: 64
    .name:           _ZN7rocprim17ROCPRIM_400000_NS6detail17trampoline_kernelINS0_14default_configENS1_20scan_config_selectorIN3c107complexIfEEEEZZNS1_9scan_implILNS1_25lookback_scan_determinismE0ELb0ELb0ES3_PKS7_PS7_S7_ZZZN2at6native31launch_logcumsumexp_cuda_kernelERKNSE_10TensorBaseESI_lENKUlvE_clEvENKUlvE2_clEvEUlS7_S7_E_S7_EEDaPvRmT3_T4_T5_mT6_P12ihipStream_tbENKUlT_T0_E_clISt17integral_constantIbLb0EESY_IbLb1EEEEDaSU_SV_EUlSU_E_NS1_11comp_targetILNS1_3genE2ELNS1_11target_archE906ELNS1_3gpuE6ELNS1_3repE0EEENS1_30default_config_static_selectorELNS0_4arch9wavefront6targetE0EEEvT1_
    .private_segment_fixed_size: 0
    .sgpr_count:     0
    .sgpr_spill_count: 0
    .symbol:         _ZN7rocprim17ROCPRIM_400000_NS6detail17trampoline_kernelINS0_14default_configENS1_20scan_config_selectorIN3c107complexIfEEEEZZNS1_9scan_implILNS1_25lookback_scan_determinismE0ELb0ELb0ES3_PKS7_PS7_S7_ZZZN2at6native31launch_logcumsumexp_cuda_kernelERKNSE_10TensorBaseESI_lENKUlvE_clEvENKUlvE2_clEvEUlS7_S7_E_S7_EEDaPvRmT3_T4_T5_mT6_P12ihipStream_tbENKUlT_T0_E_clISt17integral_constantIbLb0EESY_IbLb1EEEEDaSU_SV_EUlSU_E_NS1_11comp_targetILNS1_3genE2ELNS1_11target_archE906ELNS1_3gpuE6ELNS1_3repE0EEENS1_30default_config_static_selectorELNS0_4arch9wavefront6targetE0EEEvT1_.kd
    .uniform_work_group_size: 1
    .uses_dynamic_stack: false
    .vgpr_count:     0
    .vgpr_spill_count: 0
    .wavefront_size: 32
    .workgroup_processor_mode: 1
  - .args:
      - .offset:         0
        .size:           104
        .value_kind:     by_value
    .group_segment_fixed_size: 0
    .kernarg_segment_align: 8
    .kernarg_segment_size: 104
    .language:       OpenCL C
    .language_version:
      - 2
      - 0
    .max_flat_workgroup_size: 256
    .name:           _ZN7rocprim17ROCPRIM_400000_NS6detail17trampoline_kernelINS0_14default_configENS1_20scan_config_selectorIN3c107complexIfEEEEZZNS1_9scan_implILNS1_25lookback_scan_determinismE0ELb0ELb0ES3_PKS7_PS7_S7_ZZZN2at6native31launch_logcumsumexp_cuda_kernelERKNSE_10TensorBaseESI_lENKUlvE_clEvENKUlvE2_clEvEUlS7_S7_E_S7_EEDaPvRmT3_T4_T5_mT6_P12ihipStream_tbENKUlT_T0_E_clISt17integral_constantIbLb0EESY_IbLb1EEEEDaSU_SV_EUlSU_E_NS1_11comp_targetILNS1_3genE10ELNS1_11target_archE1201ELNS1_3gpuE5ELNS1_3repE0EEENS1_30default_config_static_selectorELNS0_4arch9wavefront6targetE0EEEvT1_
    .private_segment_fixed_size: 0
    .sgpr_count:     0
    .sgpr_spill_count: 0
    .symbol:         _ZN7rocprim17ROCPRIM_400000_NS6detail17trampoline_kernelINS0_14default_configENS1_20scan_config_selectorIN3c107complexIfEEEEZZNS1_9scan_implILNS1_25lookback_scan_determinismE0ELb0ELb0ES3_PKS7_PS7_S7_ZZZN2at6native31launch_logcumsumexp_cuda_kernelERKNSE_10TensorBaseESI_lENKUlvE_clEvENKUlvE2_clEvEUlS7_S7_E_S7_EEDaPvRmT3_T4_T5_mT6_P12ihipStream_tbENKUlT_T0_E_clISt17integral_constantIbLb0EESY_IbLb1EEEEDaSU_SV_EUlSU_E_NS1_11comp_targetILNS1_3genE10ELNS1_11target_archE1201ELNS1_3gpuE5ELNS1_3repE0EEENS1_30default_config_static_selectorELNS0_4arch9wavefront6targetE0EEEvT1_.kd
    .uniform_work_group_size: 1
    .uses_dynamic_stack: false
    .vgpr_count:     0
    .vgpr_spill_count: 0
    .wavefront_size: 32
    .workgroup_processor_mode: 1
  - .args:
      - .offset:         0
        .size:           104
        .value_kind:     by_value
    .group_segment_fixed_size: 0
    .kernarg_segment_align: 8
    .kernarg_segment_size: 104
    .language:       OpenCL C
    .language_version:
      - 2
      - 0
    .max_flat_workgroup_size: 256
    .name:           _ZN7rocprim17ROCPRIM_400000_NS6detail17trampoline_kernelINS0_14default_configENS1_20scan_config_selectorIN3c107complexIfEEEEZZNS1_9scan_implILNS1_25lookback_scan_determinismE0ELb0ELb0ES3_PKS7_PS7_S7_ZZZN2at6native31launch_logcumsumexp_cuda_kernelERKNSE_10TensorBaseESI_lENKUlvE_clEvENKUlvE2_clEvEUlS7_S7_E_S7_EEDaPvRmT3_T4_T5_mT6_P12ihipStream_tbENKUlT_T0_E_clISt17integral_constantIbLb0EESY_IbLb1EEEEDaSU_SV_EUlSU_E_NS1_11comp_targetILNS1_3genE10ELNS1_11target_archE1200ELNS1_3gpuE4ELNS1_3repE0EEENS1_30default_config_static_selectorELNS0_4arch9wavefront6targetE0EEEvT1_
    .private_segment_fixed_size: 0
    .sgpr_count:     0
    .sgpr_spill_count: 0
    .symbol:         _ZN7rocprim17ROCPRIM_400000_NS6detail17trampoline_kernelINS0_14default_configENS1_20scan_config_selectorIN3c107complexIfEEEEZZNS1_9scan_implILNS1_25lookback_scan_determinismE0ELb0ELb0ES3_PKS7_PS7_S7_ZZZN2at6native31launch_logcumsumexp_cuda_kernelERKNSE_10TensorBaseESI_lENKUlvE_clEvENKUlvE2_clEvEUlS7_S7_E_S7_EEDaPvRmT3_T4_T5_mT6_P12ihipStream_tbENKUlT_T0_E_clISt17integral_constantIbLb0EESY_IbLb1EEEEDaSU_SV_EUlSU_E_NS1_11comp_targetILNS1_3genE10ELNS1_11target_archE1200ELNS1_3gpuE4ELNS1_3repE0EEENS1_30default_config_static_selectorELNS0_4arch9wavefront6targetE0EEEvT1_.kd
    .uniform_work_group_size: 1
    .uses_dynamic_stack: false
    .vgpr_count:     0
    .vgpr_spill_count: 0
    .wavefront_size: 32
    .workgroup_processor_mode: 1
  - .args:
      - .offset:         0
        .size:           104
        .value_kind:     by_value
    .group_segment_fixed_size: 33792
    .kernarg_segment_align: 8
    .kernarg_segment_size: 104
    .language:       OpenCL C
    .language_version:
      - 2
      - 0
    .max_flat_workgroup_size: 256
    .name:           _ZN7rocprim17ROCPRIM_400000_NS6detail17trampoline_kernelINS0_14default_configENS1_20scan_config_selectorIN3c107complexIfEEEEZZNS1_9scan_implILNS1_25lookback_scan_determinismE0ELb0ELb0ES3_PKS7_PS7_S7_ZZZN2at6native31launch_logcumsumexp_cuda_kernelERKNSE_10TensorBaseESI_lENKUlvE_clEvENKUlvE2_clEvEUlS7_S7_E_S7_EEDaPvRmT3_T4_T5_mT6_P12ihipStream_tbENKUlT_T0_E_clISt17integral_constantIbLb0EESY_IbLb1EEEEDaSU_SV_EUlSU_E_NS1_11comp_targetILNS1_3genE9ELNS1_11target_archE1100ELNS1_3gpuE3ELNS1_3repE0EEENS1_30default_config_static_selectorELNS0_4arch9wavefront6targetE0EEEvT1_
    .private_segment_fixed_size: 0
    .sgpr_count:     41
    .sgpr_spill_count: 0
    .symbol:         _ZN7rocprim17ROCPRIM_400000_NS6detail17trampoline_kernelINS0_14default_configENS1_20scan_config_selectorIN3c107complexIfEEEEZZNS1_9scan_implILNS1_25lookback_scan_determinismE0ELb0ELb0ES3_PKS7_PS7_S7_ZZZN2at6native31launch_logcumsumexp_cuda_kernelERKNSE_10TensorBaseESI_lENKUlvE_clEvENKUlvE2_clEvEUlS7_S7_E_S7_EEDaPvRmT3_T4_T5_mT6_P12ihipStream_tbENKUlT_T0_E_clISt17integral_constantIbLb0EESY_IbLb1EEEEDaSU_SV_EUlSU_E_NS1_11comp_targetILNS1_3genE9ELNS1_11target_archE1100ELNS1_3gpuE3ELNS1_3repE0EEENS1_30default_config_static_selectorELNS0_4arch9wavefront6targetE0EEEvT1_.kd
    .uniform_work_group_size: 1
    .uses_dynamic_stack: false
    .vgpr_count:     111
    .vgpr_spill_count: 0
    .wavefront_size: 32
    .workgroup_processor_mode: 1
  - .args:
      - .offset:         0
        .size:           104
        .value_kind:     by_value
    .group_segment_fixed_size: 0
    .kernarg_segment_align: 8
    .kernarg_segment_size: 104
    .language:       OpenCL C
    .language_version:
      - 2
      - 0
    .max_flat_workgroup_size: 256
    .name:           _ZN7rocprim17ROCPRIM_400000_NS6detail17trampoline_kernelINS0_14default_configENS1_20scan_config_selectorIN3c107complexIfEEEEZZNS1_9scan_implILNS1_25lookback_scan_determinismE0ELb0ELb0ES3_PKS7_PS7_S7_ZZZN2at6native31launch_logcumsumexp_cuda_kernelERKNSE_10TensorBaseESI_lENKUlvE_clEvENKUlvE2_clEvEUlS7_S7_E_S7_EEDaPvRmT3_T4_T5_mT6_P12ihipStream_tbENKUlT_T0_E_clISt17integral_constantIbLb0EESY_IbLb1EEEEDaSU_SV_EUlSU_E_NS1_11comp_targetILNS1_3genE8ELNS1_11target_archE1030ELNS1_3gpuE2ELNS1_3repE0EEENS1_30default_config_static_selectorELNS0_4arch9wavefront6targetE0EEEvT1_
    .private_segment_fixed_size: 0
    .sgpr_count:     0
    .sgpr_spill_count: 0
    .symbol:         _ZN7rocprim17ROCPRIM_400000_NS6detail17trampoline_kernelINS0_14default_configENS1_20scan_config_selectorIN3c107complexIfEEEEZZNS1_9scan_implILNS1_25lookback_scan_determinismE0ELb0ELb0ES3_PKS7_PS7_S7_ZZZN2at6native31launch_logcumsumexp_cuda_kernelERKNSE_10TensorBaseESI_lENKUlvE_clEvENKUlvE2_clEvEUlS7_S7_E_S7_EEDaPvRmT3_T4_T5_mT6_P12ihipStream_tbENKUlT_T0_E_clISt17integral_constantIbLb0EESY_IbLb1EEEEDaSU_SV_EUlSU_E_NS1_11comp_targetILNS1_3genE8ELNS1_11target_archE1030ELNS1_3gpuE2ELNS1_3repE0EEENS1_30default_config_static_selectorELNS0_4arch9wavefront6targetE0EEEvT1_.kd
    .uniform_work_group_size: 1
    .uses_dynamic_stack: false
    .vgpr_count:     0
    .vgpr_spill_count: 0
    .wavefront_size: 32
    .workgroup_processor_mode: 1
  - .args:
      - .offset:         0
        .size:           40
        .value_kind:     by_value
    .group_segment_fixed_size: 0
    .kernarg_segment_align: 8
    .kernarg_segment_size: 40
    .language:       OpenCL C
    .language_version:
      - 2
      - 0
    .max_flat_workgroup_size: 256
    .name:           _ZN7rocprim17ROCPRIM_400000_NS6detail17trampoline_kernelINS0_14default_configENS1_20scan_config_selectorIN3c107complexIfEEEEZZNS1_9scan_implILNS1_25lookback_scan_determinismE0ELb0ELb0ES3_PKS7_PS7_S7_ZZZN2at6native31launch_logcumsumexp_cuda_kernelERKNSE_10TensorBaseESI_lENKUlvE_clEvENKUlvE2_clEvEUlS7_S7_E_S7_EEDaPvRmT3_T4_T5_mT6_P12ihipStream_tbENKUlT_T0_E_clISt17integral_constantIbLb0EESY_IbLb1EEEEDaSU_SV_EUlSU_E0_NS1_11comp_targetILNS1_3genE0ELNS1_11target_archE4294967295ELNS1_3gpuE0ELNS1_3repE0EEENS1_30default_config_static_selectorELNS0_4arch9wavefront6targetE0EEEvT1_
    .private_segment_fixed_size: 0
    .sgpr_count:     0
    .sgpr_spill_count: 0
    .symbol:         _ZN7rocprim17ROCPRIM_400000_NS6detail17trampoline_kernelINS0_14default_configENS1_20scan_config_selectorIN3c107complexIfEEEEZZNS1_9scan_implILNS1_25lookback_scan_determinismE0ELb0ELb0ES3_PKS7_PS7_S7_ZZZN2at6native31launch_logcumsumexp_cuda_kernelERKNSE_10TensorBaseESI_lENKUlvE_clEvENKUlvE2_clEvEUlS7_S7_E_S7_EEDaPvRmT3_T4_T5_mT6_P12ihipStream_tbENKUlT_T0_E_clISt17integral_constantIbLb0EESY_IbLb1EEEEDaSU_SV_EUlSU_E0_NS1_11comp_targetILNS1_3genE0ELNS1_11target_archE4294967295ELNS1_3gpuE0ELNS1_3repE0EEENS1_30default_config_static_selectorELNS0_4arch9wavefront6targetE0EEEvT1_.kd
    .uniform_work_group_size: 1
    .uses_dynamic_stack: false
    .vgpr_count:     0
    .vgpr_spill_count: 0
    .wavefront_size: 32
    .workgroup_processor_mode: 1
  - .args:
      - .offset:         0
        .size:           40
        .value_kind:     by_value
    .group_segment_fixed_size: 0
    .kernarg_segment_align: 8
    .kernarg_segment_size: 40
    .language:       OpenCL C
    .language_version:
      - 2
      - 0
    .max_flat_workgroup_size: 256
    .name:           _ZN7rocprim17ROCPRIM_400000_NS6detail17trampoline_kernelINS0_14default_configENS1_20scan_config_selectorIN3c107complexIfEEEEZZNS1_9scan_implILNS1_25lookback_scan_determinismE0ELb0ELb0ES3_PKS7_PS7_S7_ZZZN2at6native31launch_logcumsumexp_cuda_kernelERKNSE_10TensorBaseESI_lENKUlvE_clEvENKUlvE2_clEvEUlS7_S7_E_S7_EEDaPvRmT3_T4_T5_mT6_P12ihipStream_tbENKUlT_T0_E_clISt17integral_constantIbLb0EESY_IbLb1EEEEDaSU_SV_EUlSU_E0_NS1_11comp_targetILNS1_3genE5ELNS1_11target_archE942ELNS1_3gpuE9ELNS1_3repE0EEENS1_30default_config_static_selectorELNS0_4arch9wavefront6targetE0EEEvT1_
    .private_segment_fixed_size: 0
    .sgpr_count:     0
    .sgpr_spill_count: 0
    .symbol:         _ZN7rocprim17ROCPRIM_400000_NS6detail17trampoline_kernelINS0_14default_configENS1_20scan_config_selectorIN3c107complexIfEEEEZZNS1_9scan_implILNS1_25lookback_scan_determinismE0ELb0ELb0ES3_PKS7_PS7_S7_ZZZN2at6native31launch_logcumsumexp_cuda_kernelERKNSE_10TensorBaseESI_lENKUlvE_clEvENKUlvE2_clEvEUlS7_S7_E_S7_EEDaPvRmT3_T4_T5_mT6_P12ihipStream_tbENKUlT_T0_E_clISt17integral_constantIbLb0EESY_IbLb1EEEEDaSU_SV_EUlSU_E0_NS1_11comp_targetILNS1_3genE5ELNS1_11target_archE942ELNS1_3gpuE9ELNS1_3repE0EEENS1_30default_config_static_selectorELNS0_4arch9wavefront6targetE0EEEvT1_.kd
    .uniform_work_group_size: 1
    .uses_dynamic_stack: false
    .vgpr_count:     0
    .vgpr_spill_count: 0
    .wavefront_size: 32
    .workgroup_processor_mode: 1
  - .args:
      - .offset:         0
        .size:           40
        .value_kind:     by_value
    .group_segment_fixed_size: 0
    .kernarg_segment_align: 8
    .kernarg_segment_size: 40
    .language:       OpenCL C
    .language_version:
      - 2
      - 0
    .max_flat_workgroup_size: 128
    .name:           _ZN7rocprim17ROCPRIM_400000_NS6detail17trampoline_kernelINS0_14default_configENS1_20scan_config_selectorIN3c107complexIfEEEEZZNS1_9scan_implILNS1_25lookback_scan_determinismE0ELb0ELb0ES3_PKS7_PS7_S7_ZZZN2at6native31launch_logcumsumexp_cuda_kernelERKNSE_10TensorBaseESI_lENKUlvE_clEvENKUlvE2_clEvEUlS7_S7_E_S7_EEDaPvRmT3_T4_T5_mT6_P12ihipStream_tbENKUlT_T0_E_clISt17integral_constantIbLb0EESY_IbLb1EEEEDaSU_SV_EUlSU_E0_NS1_11comp_targetILNS1_3genE4ELNS1_11target_archE910ELNS1_3gpuE8ELNS1_3repE0EEENS1_30default_config_static_selectorELNS0_4arch9wavefront6targetE0EEEvT1_
    .private_segment_fixed_size: 0
    .sgpr_count:     0
    .sgpr_spill_count: 0
    .symbol:         _ZN7rocprim17ROCPRIM_400000_NS6detail17trampoline_kernelINS0_14default_configENS1_20scan_config_selectorIN3c107complexIfEEEEZZNS1_9scan_implILNS1_25lookback_scan_determinismE0ELb0ELb0ES3_PKS7_PS7_S7_ZZZN2at6native31launch_logcumsumexp_cuda_kernelERKNSE_10TensorBaseESI_lENKUlvE_clEvENKUlvE2_clEvEUlS7_S7_E_S7_EEDaPvRmT3_T4_T5_mT6_P12ihipStream_tbENKUlT_T0_E_clISt17integral_constantIbLb0EESY_IbLb1EEEEDaSU_SV_EUlSU_E0_NS1_11comp_targetILNS1_3genE4ELNS1_11target_archE910ELNS1_3gpuE8ELNS1_3repE0EEENS1_30default_config_static_selectorELNS0_4arch9wavefront6targetE0EEEvT1_.kd
    .uniform_work_group_size: 1
    .uses_dynamic_stack: false
    .vgpr_count:     0
    .vgpr_spill_count: 0
    .wavefront_size: 32
    .workgroup_processor_mode: 1
  - .args:
      - .offset:         0
        .size:           40
        .value_kind:     by_value
    .group_segment_fixed_size: 0
    .kernarg_segment_align: 8
    .kernarg_segment_size: 40
    .language:       OpenCL C
    .language_version:
      - 2
      - 0
    .max_flat_workgroup_size: 256
    .name:           _ZN7rocprim17ROCPRIM_400000_NS6detail17trampoline_kernelINS0_14default_configENS1_20scan_config_selectorIN3c107complexIfEEEEZZNS1_9scan_implILNS1_25lookback_scan_determinismE0ELb0ELb0ES3_PKS7_PS7_S7_ZZZN2at6native31launch_logcumsumexp_cuda_kernelERKNSE_10TensorBaseESI_lENKUlvE_clEvENKUlvE2_clEvEUlS7_S7_E_S7_EEDaPvRmT3_T4_T5_mT6_P12ihipStream_tbENKUlT_T0_E_clISt17integral_constantIbLb0EESY_IbLb1EEEEDaSU_SV_EUlSU_E0_NS1_11comp_targetILNS1_3genE3ELNS1_11target_archE908ELNS1_3gpuE7ELNS1_3repE0EEENS1_30default_config_static_selectorELNS0_4arch9wavefront6targetE0EEEvT1_
    .private_segment_fixed_size: 0
    .sgpr_count:     0
    .sgpr_spill_count: 0
    .symbol:         _ZN7rocprim17ROCPRIM_400000_NS6detail17trampoline_kernelINS0_14default_configENS1_20scan_config_selectorIN3c107complexIfEEEEZZNS1_9scan_implILNS1_25lookback_scan_determinismE0ELb0ELb0ES3_PKS7_PS7_S7_ZZZN2at6native31launch_logcumsumexp_cuda_kernelERKNSE_10TensorBaseESI_lENKUlvE_clEvENKUlvE2_clEvEUlS7_S7_E_S7_EEDaPvRmT3_T4_T5_mT6_P12ihipStream_tbENKUlT_T0_E_clISt17integral_constantIbLb0EESY_IbLb1EEEEDaSU_SV_EUlSU_E0_NS1_11comp_targetILNS1_3genE3ELNS1_11target_archE908ELNS1_3gpuE7ELNS1_3repE0EEENS1_30default_config_static_selectorELNS0_4arch9wavefront6targetE0EEEvT1_.kd
    .uniform_work_group_size: 1
    .uses_dynamic_stack: false
    .vgpr_count:     0
    .vgpr_spill_count: 0
    .wavefront_size: 32
    .workgroup_processor_mode: 1
  - .args:
      - .offset:         0
        .size:           40
        .value_kind:     by_value
    .group_segment_fixed_size: 0
    .kernarg_segment_align: 8
    .kernarg_segment_size: 40
    .language:       OpenCL C
    .language_version:
      - 2
      - 0
    .max_flat_workgroup_size: 64
    .name:           _ZN7rocprim17ROCPRIM_400000_NS6detail17trampoline_kernelINS0_14default_configENS1_20scan_config_selectorIN3c107complexIfEEEEZZNS1_9scan_implILNS1_25lookback_scan_determinismE0ELb0ELb0ES3_PKS7_PS7_S7_ZZZN2at6native31launch_logcumsumexp_cuda_kernelERKNSE_10TensorBaseESI_lENKUlvE_clEvENKUlvE2_clEvEUlS7_S7_E_S7_EEDaPvRmT3_T4_T5_mT6_P12ihipStream_tbENKUlT_T0_E_clISt17integral_constantIbLb0EESY_IbLb1EEEEDaSU_SV_EUlSU_E0_NS1_11comp_targetILNS1_3genE2ELNS1_11target_archE906ELNS1_3gpuE6ELNS1_3repE0EEENS1_30default_config_static_selectorELNS0_4arch9wavefront6targetE0EEEvT1_
    .private_segment_fixed_size: 0
    .sgpr_count:     0
    .sgpr_spill_count: 0
    .symbol:         _ZN7rocprim17ROCPRIM_400000_NS6detail17trampoline_kernelINS0_14default_configENS1_20scan_config_selectorIN3c107complexIfEEEEZZNS1_9scan_implILNS1_25lookback_scan_determinismE0ELb0ELb0ES3_PKS7_PS7_S7_ZZZN2at6native31launch_logcumsumexp_cuda_kernelERKNSE_10TensorBaseESI_lENKUlvE_clEvENKUlvE2_clEvEUlS7_S7_E_S7_EEDaPvRmT3_T4_T5_mT6_P12ihipStream_tbENKUlT_T0_E_clISt17integral_constantIbLb0EESY_IbLb1EEEEDaSU_SV_EUlSU_E0_NS1_11comp_targetILNS1_3genE2ELNS1_11target_archE906ELNS1_3gpuE6ELNS1_3repE0EEENS1_30default_config_static_selectorELNS0_4arch9wavefront6targetE0EEEvT1_.kd
    .uniform_work_group_size: 1
    .uses_dynamic_stack: false
    .vgpr_count:     0
    .vgpr_spill_count: 0
    .wavefront_size: 32
    .workgroup_processor_mode: 1
  - .args:
      - .offset:         0
        .size:           40
        .value_kind:     by_value
    .group_segment_fixed_size: 0
    .kernarg_segment_align: 8
    .kernarg_segment_size: 40
    .language:       OpenCL C
    .language_version:
      - 2
      - 0
    .max_flat_workgroup_size: 256
    .name:           _ZN7rocprim17ROCPRIM_400000_NS6detail17trampoline_kernelINS0_14default_configENS1_20scan_config_selectorIN3c107complexIfEEEEZZNS1_9scan_implILNS1_25lookback_scan_determinismE0ELb0ELb0ES3_PKS7_PS7_S7_ZZZN2at6native31launch_logcumsumexp_cuda_kernelERKNSE_10TensorBaseESI_lENKUlvE_clEvENKUlvE2_clEvEUlS7_S7_E_S7_EEDaPvRmT3_T4_T5_mT6_P12ihipStream_tbENKUlT_T0_E_clISt17integral_constantIbLb0EESY_IbLb1EEEEDaSU_SV_EUlSU_E0_NS1_11comp_targetILNS1_3genE10ELNS1_11target_archE1201ELNS1_3gpuE5ELNS1_3repE0EEENS1_30default_config_static_selectorELNS0_4arch9wavefront6targetE0EEEvT1_
    .private_segment_fixed_size: 0
    .sgpr_count:     0
    .sgpr_spill_count: 0
    .symbol:         _ZN7rocprim17ROCPRIM_400000_NS6detail17trampoline_kernelINS0_14default_configENS1_20scan_config_selectorIN3c107complexIfEEEEZZNS1_9scan_implILNS1_25lookback_scan_determinismE0ELb0ELb0ES3_PKS7_PS7_S7_ZZZN2at6native31launch_logcumsumexp_cuda_kernelERKNSE_10TensorBaseESI_lENKUlvE_clEvENKUlvE2_clEvEUlS7_S7_E_S7_EEDaPvRmT3_T4_T5_mT6_P12ihipStream_tbENKUlT_T0_E_clISt17integral_constantIbLb0EESY_IbLb1EEEEDaSU_SV_EUlSU_E0_NS1_11comp_targetILNS1_3genE10ELNS1_11target_archE1201ELNS1_3gpuE5ELNS1_3repE0EEENS1_30default_config_static_selectorELNS0_4arch9wavefront6targetE0EEEvT1_.kd
    .uniform_work_group_size: 1
    .uses_dynamic_stack: false
    .vgpr_count:     0
    .vgpr_spill_count: 0
    .wavefront_size: 32
    .workgroup_processor_mode: 1
  - .args:
      - .offset:         0
        .size:           40
        .value_kind:     by_value
    .group_segment_fixed_size: 0
    .kernarg_segment_align: 8
    .kernarg_segment_size: 40
    .language:       OpenCL C
    .language_version:
      - 2
      - 0
    .max_flat_workgroup_size: 256
    .name:           _ZN7rocprim17ROCPRIM_400000_NS6detail17trampoline_kernelINS0_14default_configENS1_20scan_config_selectorIN3c107complexIfEEEEZZNS1_9scan_implILNS1_25lookback_scan_determinismE0ELb0ELb0ES3_PKS7_PS7_S7_ZZZN2at6native31launch_logcumsumexp_cuda_kernelERKNSE_10TensorBaseESI_lENKUlvE_clEvENKUlvE2_clEvEUlS7_S7_E_S7_EEDaPvRmT3_T4_T5_mT6_P12ihipStream_tbENKUlT_T0_E_clISt17integral_constantIbLb0EESY_IbLb1EEEEDaSU_SV_EUlSU_E0_NS1_11comp_targetILNS1_3genE10ELNS1_11target_archE1200ELNS1_3gpuE4ELNS1_3repE0EEENS1_30default_config_static_selectorELNS0_4arch9wavefront6targetE0EEEvT1_
    .private_segment_fixed_size: 0
    .sgpr_count:     0
    .sgpr_spill_count: 0
    .symbol:         _ZN7rocprim17ROCPRIM_400000_NS6detail17trampoline_kernelINS0_14default_configENS1_20scan_config_selectorIN3c107complexIfEEEEZZNS1_9scan_implILNS1_25lookback_scan_determinismE0ELb0ELb0ES3_PKS7_PS7_S7_ZZZN2at6native31launch_logcumsumexp_cuda_kernelERKNSE_10TensorBaseESI_lENKUlvE_clEvENKUlvE2_clEvEUlS7_S7_E_S7_EEDaPvRmT3_T4_T5_mT6_P12ihipStream_tbENKUlT_T0_E_clISt17integral_constantIbLb0EESY_IbLb1EEEEDaSU_SV_EUlSU_E0_NS1_11comp_targetILNS1_3genE10ELNS1_11target_archE1200ELNS1_3gpuE4ELNS1_3repE0EEENS1_30default_config_static_selectorELNS0_4arch9wavefront6targetE0EEEvT1_.kd
    .uniform_work_group_size: 1
    .uses_dynamic_stack: false
    .vgpr_count:     0
    .vgpr_spill_count: 0
    .wavefront_size: 32
    .workgroup_processor_mode: 1
  - .args:
      - .offset:         0
        .size:           40
        .value_kind:     by_value
    .group_segment_fixed_size: 33792
    .kernarg_segment_align: 8
    .kernarg_segment_size: 40
    .language:       OpenCL C
    .language_version:
      - 2
      - 0
    .max_flat_workgroup_size: 256
    .name:           _ZN7rocprim17ROCPRIM_400000_NS6detail17trampoline_kernelINS0_14default_configENS1_20scan_config_selectorIN3c107complexIfEEEEZZNS1_9scan_implILNS1_25lookback_scan_determinismE0ELb0ELb0ES3_PKS7_PS7_S7_ZZZN2at6native31launch_logcumsumexp_cuda_kernelERKNSE_10TensorBaseESI_lENKUlvE_clEvENKUlvE2_clEvEUlS7_S7_E_S7_EEDaPvRmT3_T4_T5_mT6_P12ihipStream_tbENKUlT_T0_E_clISt17integral_constantIbLb0EESY_IbLb1EEEEDaSU_SV_EUlSU_E0_NS1_11comp_targetILNS1_3genE9ELNS1_11target_archE1100ELNS1_3gpuE3ELNS1_3repE0EEENS1_30default_config_static_selectorELNS0_4arch9wavefront6targetE0EEEvT1_
    .private_segment_fixed_size: 0
    .sgpr_count:     35
    .sgpr_spill_count: 0
    .symbol:         _ZN7rocprim17ROCPRIM_400000_NS6detail17trampoline_kernelINS0_14default_configENS1_20scan_config_selectorIN3c107complexIfEEEEZZNS1_9scan_implILNS1_25lookback_scan_determinismE0ELb0ELb0ES3_PKS7_PS7_S7_ZZZN2at6native31launch_logcumsumexp_cuda_kernelERKNSE_10TensorBaseESI_lENKUlvE_clEvENKUlvE2_clEvEUlS7_S7_E_S7_EEDaPvRmT3_T4_T5_mT6_P12ihipStream_tbENKUlT_T0_E_clISt17integral_constantIbLb0EESY_IbLb1EEEEDaSU_SV_EUlSU_E0_NS1_11comp_targetILNS1_3genE9ELNS1_11target_archE1100ELNS1_3gpuE3ELNS1_3repE0EEENS1_30default_config_static_selectorELNS0_4arch9wavefront6targetE0EEEvT1_.kd
    .uniform_work_group_size: 1
    .uses_dynamic_stack: false
    .vgpr_count:     110
    .vgpr_spill_count: 0
    .wavefront_size: 32
    .workgroup_processor_mode: 1
  - .args:
      - .offset:         0
        .size:           40
        .value_kind:     by_value
    .group_segment_fixed_size: 0
    .kernarg_segment_align: 8
    .kernarg_segment_size: 40
    .language:       OpenCL C
    .language_version:
      - 2
      - 0
    .max_flat_workgroup_size: 256
    .name:           _ZN7rocprim17ROCPRIM_400000_NS6detail17trampoline_kernelINS0_14default_configENS1_20scan_config_selectorIN3c107complexIfEEEEZZNS1_9scan_implILNS1_25lookback_scan_determinismE0ELb0ELb0ES3_PKS7_PS7_S7_ZZZN2at6native31launch_logcumsumexp_cuda_kernelERKNSE_10TensorBaseESI_lENKUlvE_clEvENKUlvE2_clEvEUlS7_S7_E_S7_EEDaPvRmT3_T4_T5_mT6_P12ihipStream_tbENKUlT_T0_E_clISt17integral_constantIbLb0EESY_IbLb1EEEEDaSU_SV_EUlSU_E0_NS1_11comp_targetILNS1_3genE8ELNS1_11target_archE1030ELNS1_3gpuE2ELNS1_3repE0EEENS1_30default_config_static_selectorELNS0_4arch9wavefront6targetE0EEEvT1_
    .private_segment_fixed_size: 0
    .sgpr_count:     0
    .sgpr_spill_count: 0
    .symbol:         _ZN7rocprim17ROCPRIM_400000_NS6detail17trampoline_kernelINS0_14default_configENS1_20scan_config_selectorIN3c107complexIfEEEEZZNS1_9scan_implILNS1_25lookback_scan_determinismE0ELb0ELb0ES3_PKS7_PS7_S7_ZZZN2at6native31launch_logcumsumexp_cuda_kernelERKNSE_10TensorBaseESI_lENKUlvE_clEvENKUlvE2_clEvEUlS7_S7_E_S7_EEDaPvRmT3_T4_T5_mT6_P12ihipStream_tbENKUlT_T0_E_clISt17integral_constantIbLb0EESY_IbLb1EEEEDaSU_SV_EUlSU_E0_NS1_11comp_targetILNS1_3genE8ELNS1_11target_archE1030ELNS1_3gpuE2ELNS1_3repE0EEENS1_30default_config_static_selectorELNS0_4arch9wavefront6targetE0EEEvT1_.kd
    .uniform_work_group_size: 1
    .uses_dynamic_stack: false
    .vgpr_count:     0
    .vgpr_spill_count: 0
    .wavefront_size: 32
    .workgroup_processor_mode: 1
  - .args:
      - .address_space:  global
        .offset:         0
        .size:           8
        .value_kind:     global_buffer
      - .address_space:  global
        .offset:         8
        .size:           8
        .value_kind:     global_buffer
      - .offset:         16
        .size:           4
        .value_kind:     by_value
      - .offset:         20
        .size:           4
        .value_kind:     by_value
      - .offset:         24
        .size:           4
        .value_kind:     by_value
      - .offset:         32
        .size:           8
        .value_kind:     by_value
      - .offset:         40
        .size:           1
        .value_kind:     by_value
      - .offset:         48
        .size:           4
        .value_kind:     hidden_block_count_x
      - .offset:         52
        .size:           4
        .value_kind:     hidden_block_count_y
      - .offset:         56
        .size:           4
        .value_kind:     hidden_block_count_z
      - .offset:         60
        .size:           2
        .value_kind:     hidden_group_size_x
      - .offset:         62
        .size:           2
        .value_kind:     hidden_group_size_y
      - .offset:         64
        .size:           2
        .value_kind:     hidden_group_size_z
      - .offset:         66
        .size:           2
        .value_kind:     hidden_remainder_x
      - .offset:         68
        .size:           2
        .value_kind:     hidden_remainder_y
      - .offset:         70
        .size:           2
        .value_kind:     hidden_remainder_z
      - .offset:         88
        .size:           8
        .value_kind:     hidden_global_offset_x
      - .offset:         96
        .size:           8
        .value_kind:     hidden_global_offset_y
      - .offset:         104
        .size:           8
        .value_kind:     hidden_global_offset_z
      - .offset:         112
        .size:           2
        .value_kind:     hidden_grid_dims
      - .offset:         168
        .size:           4
        .value_kind:     hidden_dynamic_lds_size
    .group_segment_fixed_size: 0
    .kernarg_segment_align: 8
    .kernarg_segment_size: 304
    .language:       OpenCL C
    .language_version:
      - 2
      - 0
    .max_flat_workgroup_size: 1024
    .name:           _ZN2at6native32tensor_kernel_scan_innermost_dimIN3c107complexIfEEZZZNS0_31launch_logcumsumexp_cuda_kernelERKNS_10TensorBaseES7_lENKUlvE_clEvENKUlvE2_clEvEUlS4_S4_E_EEvPT_PKSB_jjjSB_T0_
    .private_segment_fixed_size: 0
    .sgpr_count:     42
    .sgpr_spill_count: 0
    .symbol:         _ZN2at6native32tensor_kernel_scan_innermost_dimIN3c107complexIfEEZZZNS0_31launch_logcumsumexp_cuda_kernelERKNS_10TensorBaseES7_lENKUlvE_clEvENKUlvE2_clEvEUlS4_S4_E_EEvPT_PKSB_jjjSB_T0_.kd
    .uniform_work_group_size: 1
    .uses_dynamic_stack: false
    .vgpr_count:     41
    .vgpr_spill_count: 0
    .wavefront_size: 32
    .workgroup_processor_mode: 1
  - .args:
      - .address_space:  global
        .offset:         0
        .size:           8
        .value_kind:     global_buffer
      - .address_space:  global
        .offset:         8
        .size:           8
        .value_kind:     global_buffer
      - .offset:         16
        .size:           4
        .value_kind:     by_value
      - .offset:         20
        .size:           4
        .value_kind:     by_value
      - .offset:         24
        .size:           4
        .value_kind:     by_value
      - .offset:         32
        .size:           8
        .value_kind:     by_value
      - .offset:         40
        .size:           1
        .value_kind:     by_value
      - .offset:         48
        .size:           4
        .value_kind:     hidden_block_count_x
      - .offset:         52
        .size:           4
        .value_kind:     hidden_block_count_y
      - .offset:         56
        .size:           4
        .value_kind:     hidden_block_count_z
      - .offset:         60
        .size:           2
        .value_kind:     hidden_group_size_x
      - .offset:         62
        .size:           2
        .value_kind:     hidden_group_size_y
      - .offset:         64
        .size:           2
        .value_kind:     hidden_group_size_z
      - .offset:         66
        .size:           2
        .value_kind:     hidden_remainder_x
      - .offset:         68
        .size:           2
        .value_kind:     hidden_remainder_y
      - .offset:         70
        .size:           2
        .value_kind:     hidden_remainder_z
      - .offset:         88
        .size:           8
        .value_kind:     hidden_global_offset_x
      - .offset:         96
        .size:           8
        .value_kind:     hidden_global_offset_y
      - .offset:         104
        .size:           8
        .value_kind:     hidden_global_offset_z
      - .offset:         112
        .size:           2
        .value_kind:     hidden_grid_dims
    .group_segment_fixed_size: 0
    .kernarg_segment_align: 8
    .kernarg_segment_size: 304
    .language:       OpenCL C
    .language_version:
      - 2
      - 0
    .max_flat_workgroup_size: 1024
    .name:           _ZN2at6native28tensor_kernel_scan_outer_dimIN3c107complexIfEEjZZZNS0_31launch_logcumsumexp_cuda_kernelERKNS_10TensorBaseES7_lENKUlvE_clEvENKUlvE2_clEvEUlS4_S4_E_EEvPT_PKSB_jjjSB_T1_
    .private_segment_fixed_size: 0
    .sgpr_count:     43
    .sgpr_spill_count: 0
    .symbol:         _ZN2at6native28tensor_kernel_scan_outer_dimIN3c107complexIfEEjZZZNS0_31launch_logcumsumexp_cuda_kernelERKNS_10TensorBaseES7_lENKUlvE_clEvENKUlvE2_clEvEUlS4_S4_E_EEvPT_PKSB_jjjSB_T1_.kd
    .uniform_work_group_size: 1
    .uses_dynamic_stack: false
    .vgpr_count:     28
    .vgpr_spill_count: 0
    .wavefront_size: 32
    .workgroup_processor_mode: 1
  - .args:
      - .address_space:  global
        .offset:         0
        .size:           8
        .value_kind:     global_buffer
      - .address_space:  global
        .offset:         8
        .size:           8
        .value_kind:     global_buffer
      - .offset:         16
        .size:           4
        .value_kind:     by_value
      - .offset:         20
        .size:           4
        .value_kind:     by_value
      - .offset:         24
        .size:           4
        .value_kind:     by_value
      - .offset:         32
        .size:           8
        .value_kind:     by_value
      - .offset:         40
        .size:           1
        .value_kind:     by_value
      - .offset:         48
        .size:           4
        .value_kind:     hidden_block_count_x
      - .offset:         52
        .size:           4
        .value_kind:     hidden_block_count_y
      - .offset:         56
        .size:           4
        .value_kind:     hidden_block_count_z
      - .offset:         60
        .size:           2
        .value_kind:     hidden_group_size_x
      - .offset:         62
        .size:           2
        .value_kind:     hidden_group_size_y
      - .offset:         64
        .size:           2
        .value_kind:     hidden_group_size_z
      - .offset:         66
        .size:           2
        .value_kind:     hidden_remainder_x
      - .offset:         68
        .size:           2
        .value_kind:     hidden_remainder_y
      - .offset:         70
        .size:           2
        .value_kind:     hidden_remainder_z
      - .offset:         88
        .size:           8
        .value_kind:     hidden_global_offset_x
      - .offset:         96
        .size:           8
        .value_kind:     hidden_global_offset_y
      - .offset:         104
        .size:           8
        .value_kind:     hidden_global_offset_z
      - .offset:         112
        .size:           2
        .value_kind:     hidden_grid_dims
    .group_segment_fixed_size: 0
    .kernarg_segment_align: 8
    .kernarg_segment_size: 304
    .language:       OpenCL C
    .language_version:
      - 2
      - 0
    .max_flat_workgroup_size: 1024
    .name:           _ZN2at6native28tensor_kernel_scan_outer_dimIN3c107complexIfEEmZZZNS0_31launch_logcumsumexp_cuda_kernelERKNS_10TensorBaseES7_lENKUlvE_clEvENKUlvE2_clEvEUlS4_S4_E_EEvPT_PKSB_jjjSB_T1_
    .private_segment_fixed_size: 0
    .sgpr_count:     42
    .sgpr_spill_count: 0
    .symbol:         _ZN2at6native28tensor_kernel_scan_outer_dimIN3c107complexIfEEmZZZNS0_31launch_logcumsumexp_cuda_kernelERKNS_10TensorBaseES7_lENKUlvE_clEvENKUlvE2_clEvEUlS4_S4_E_EEvPT_PKSB_jjjSB_T1_.kd
    .uniform_work_group_size: 1
    .uses_dynamic_stack: false
    .vgpr_count:     28
    .vgpr_spill_count: 0
    .wavefront_size: 32
    .workgroup_processor_mode: 1
  - .args:
      - .address_space:  global
        .offset:         0
        .size:           8
        .value_kind:     global_buffer
      - .offset:         8
        .size:           4
        .value_kind:     by_value
      - .offset:         12
        .size:           1
        .value_kind:     by_value
      - .offset:         16
        .size:           4
        .value_kind:     by_value
      - .address_space:  global
        .offset:         24
        .size:           8
        .value_kind:     global_buffer
      - .offset:         32
        .size:           4
        .value_kind:     hidden_block_count_x
      - .offset:         36
        .size:           4
        .value_kind:     hidden_block_count_y
      - .offset:         40
        .size:           4
        .value_kind:     hidden_block_count_z
      - .offset:         44
        .size:           2
        .value_kind:     hidden_group_size_x
      - .offset:         46
        .size:           2
        .value_kind:     hidden_group_size_y
      - .offset:         48
        .size:           2
        .value_kind:     hidden_group_size_z
      - .offset:         50
        .size:           2
        .value_kind:     hidden_remainder_x
      - .offset:         52
        .size:           2
        .value_kind:     hidden_remainder_y
      - .offset:         54
        .size:           2
        .value_kind:     hidden_remainder_z
      - .offset:         72
        .size:           8
        .value_kind:     hidden_global_offset_x
      - .offset:         80
        .size:           8
        .value_kind:     hidden_global_offset_y
      - .offset:         88
        .size:           8
        .value_kind:     hidden_global_offset_z
      - .offset:         96
        .size:           2
        .value_kind:     hidden_grid_dims
    .group_segment_fixed_size: 0
    .kernarg_segment_align: 8
    .kernarg_segment_size: 288
    .language:       OpenCL C
    .language_version:
      - 2
      - 0
    .max_flat_workgroup_size: 256
    .name:           _ZN7rocprim17ROCPRIM_400000_NS6detail31init_lookback_scan_state_kernelINS1_19lookback_scan_stateIN3c104HalfELb0ELb1EEENS1_16block_id_wrapperIjLb0EEEEEvT_jT0_jPNS9_10value_typeE
    .private_segment_fixed_size: 0
    .sgpr_count:     18
    .sgpr_spill_count: 0
    .symbol:         _ZN7rocprim17ROCPRIM_400000_NS6detail31init_lookback_scan_state_kernelINS1_19lookback_scan_stateIN3c104HalfELb0ELb1EEENS1_16block_id_wrapperIjLb0EEEEEvT_jT0_jPNS9_10value_typeE.kd
    .uniform_work_group_size: 1
    .uses_dynamic_stack: false
    .vgpr_count:     6
    .vgpr_spill_count: 0
    .wavefront_size: 32
    .workgroup_processor_mode: 1
  - .args:
      - .offset:         0
        .size:           96
        .value_kind:     by_value
    .group_segment_fixed_size: 0
    .kernarg_segment_align: 8
    .kernarg_segment_size: 96
    .language:       OpenCL C
    .language_version:
      - 2
      - 0
    .max_flat_workgroup_size: 128
    .name:           _ZN7rocprim17ROCPRIM_400000_NS6detail17trampoline_kernelINS0_14default_configENS1_20scan_config_selectorIN3c104HalfEEEZZNS1_9scan_implILNS1_25lookback_scan_determinismE0ELb0ELb0ES3_PKS6_PS6_S6_ZZZN2at6native31launch_logcumsumexp_cuda_kernelERKNSD_10TensorBaseESH_lENKUlvE_clEvENKUlvE3_clEvEUlS6_S6_E_S6_EEDaPvRmT3_T4_T5_mT6_P12ihipStream_tbENKUlT_T0_E_clISt17integral_constantIbLb0EESY_EEDaST_SU_EUlST_E_NS1_11comp_targetILNS1_3genE0ELNS1_11target_archE4294967295ELNS1_3gpuE0ELNS1_3repE0EEENS1_30default_config_static_selectorELNS0_4arch9wavefront6targetE0EEEvT1_
    .private_segment_fixed_size: 0
    .sgpr_count:     0
    .sgpr_spill_count: 0
    .symbol:         _ZN7rocprim17ROCPRIM_400000_NS6detail17trampoline_kernelINS0_14default_configENS1_20scan_config_selectorIN3c104HalfEEEZZNS1_9scan_implILNS1_25lookback_scan_determinismE0ELb0ELb0ES3_PKS6_PS6_S6_ZZZN2at6native31launch_logcumsumexp_cuda_kernelERKNSD_10TensorBaseESH_lENKUlvE_clEvENKUlvE3_clEvEUlS6_S6_E_S6_EEDaPvRmT3_T4_T5_mT6_P12ihipStream_tbENKUlT_T0_E_clISt17integral_constantIbLb0EESY_EEDaST_SU_EUlST_E_NS1_11comp_targetILNS1_3genE0ELNS1_11target_archE4294967295ELNS1_3gpuE0ELNS1_3repE0EEENS1_30default_config_static_selectorELNS0_4arch9wavefront6targetE0EEEvT1_.kd
    .uniform_work_group_size: 1
    .uses_dynamic_stack: false
    .vgpr_count:     0
    .vgpr_spill_count: 0
    .wavefront_size: 32
    .workgroup_processor_mode: 1
  - .args:
      - .offset:         0
        .size:           96
        .value_kind:     by_value
    .group_segment_fixed_size: 0
    .kernarg_segment_align: 8
    .kernarg_segment_size: 96
    .language:       OpenCL C
    .language_version:
      - 2
      - 0
    .max_flat_workgroup_size: 256
    .name:           _ZN7rocprim17ROCPRIM_400000_NS6detail17trampoline_kernelINS0_14default_configENS1_20scan_config_selectorIN3c104HalfEEEZZNS1_9scan_implILNS1_25lookback_scan_determinismE0ELb0ELb0ES3_PKS6_PS6_S6_ZZZN2at6native31launch_logcumsumexp_cuda_kernelERKNSD_10TensorBaseESH_lENKUlvE_clEvENKUlvE3_clEvEUlS6_S6_E_S6_EEDaPvRmT3_T4_T5_mT6_P12ihipStream_tbENKUlT_T0_E_clISt17integral_constantIbLb0EESY_EEDaST_SU_EUlST_E_NS1_11comp_targetILNS1_3genE5ELNS1_11target_archE942ELNS1_3gpuE9ELNS1_3repE0EEENS1_30default_config_static_selectorELNS0_4arch9wavefront6targetE0EEEvT1_
    .private_segment_fixed_size: 0
    .sgpr_count:     0
    .sgpr_spill_count: 0
    .symbol:         _ZN7rocprim17ROCPRIM_400000_NS6detail17trampoline_kernelINS0_14default_configENS1_20scan_config_selectorIN3c104HalfEEEZZNS1_9scan_implILNS1_25lookback_scan_determinismE0ELb0ELb0ES3_PKS6_PS6_S6_ZZZN2at6native31launch_logcumsumexp_cuda_kernelERKNSD_10TensorBaseESH_lENKUlvE_clEvENKUlvE3_clEvEUlS6_S6_E_S6_EEDaPvRmT3_T4_T5_mT6_P12ihipStream_tbENKUlT_T0_E_clISt17integral_constantIbLb0EESY_EEDaST_SU_EUlST_E_NS1_11comp_targetILNS1_3genE5ELNS1_11target_archE942ELNS1_3gpuE9ELNS1_3repE0EEENS1_30default_config_static_selectorELNS0_4arch9wavefront6targetE0EEEvT1_.kd
    .uniform_work_group_size: 1
    .uses_dynamic_stack: false
    .vgpr_count:     0
    .vgpr_spill_count: 0
    .wavefront_size: 32
    .workgroup_processor_mode: 1
  - .args:
      - .offset:         0
        .size:           96
        .value_kind:     by_value
    .group_segment_fixed_size: 0
    .kernarg_segment_align: 8
    .kernarg_segment_size: 96
    .language:       OpenCL C
    .language_version:
      - 2
      - 0
    .max_flat_workgroup_size: 64
    .name:           _ZN7rocprim17ROCPRIM_400000_NS6detail17trampoline_kernelINS0_14default_configENS1_20scan_config_selectorIN3c104HalfEEEZZNS1_9scan_implILNS1_25lookback_scan_determinismE0ELb0ELb0ES3_PKS6_PS6_S6_ZZZN2at6native31launch_logcumsumexp_cuda_kernelERKNSD_10TensorBaseESH_lENKUlvE_clEvENKUlvE3_clEvEUlS6_S6_E_S6_EEDaPvRmT3_T4_T5_mT6_P12ihipStream_tbENKUlT_T0_E_clISt17integral_constantIbLb0EESY_EEDaST_SU_EUlST_E_NS1_11comp_targetILNS1_3genE4ELNS1_11target_archE910ELNS1_3gpuE8ELNS1_3repE0EEENS1_30default_config_static_selectorELNS0_4arch9wavefront6targetE0EEEvT1_
    .private_segment_fixed_size: 0
    .sgpr_count:     0
    .sgpr_spill_count: 0
    .symbol:         _ZN7rocprim17ROCPRIM_400000_NS6detail17trampoline_kernelINS0_14default_configENS1_20scan_config_selectorIN3c104HalfEEEZZNS1_9scan_implILNS1_25lookback_scan_determinismE0ELb0ELb0ES3_PKS6_PS6_S6_ZZZN2at6native31launch_logcumsumexp_cuda_kernelERKNSD_10TensorBaseESH_lENKUlvE_clEvENKUlvE3_clEvEUlS6_S6_E_S6_EEDaPvRmT3_T4_T5_mT6_P12ihipStream_tbENKUlT_T0_E_clISt17integral_constantIbLb0EESY_EEDaST_SU_EUlST_E_NS1_11comp_targetILNS1_3genE4ELNS1_11target_archE910ELNS1_3gpuE8ELNS1_3repE0EEENS1_30default_config_static_selectorELNS0_4arch9wavefront6targetE0EEEvT1_.kd
    .uniform_work_group_size: 1
    .uses_dynamic_stack: false
    .vgpr_count:     0
    .vgpr_spill_count: 0
    .wavefront_size: 32
    .workgroup_processor_mode: 1
  - .args:
      - .offset:         0
        .size:           96
        .value_kind:     by_value
    .group_segment_fixed_size: 0
    .kernarg_segment_align: 8
    .kernarg_segment_size: 96
    .language:       OpenCL C
    .language_version:
      - 2
      - 0
    .max_flat_workgroup_size: 128
    .name:           _ZN7rocprim17ROCPRIM_400000_NS6detail17trampoline_kernelINS0_14default_configENS1_20scan_config_selectorIN3c104HalfEEEZZNS1_9scan_implILNS1_25lookback_scan_determinismE0ELb0ELb0ES3_PKS6_PS6_S6_ZZZN2at6native31launch_logcumsumexp_cuda_kernelERKNSD_10TensorBaseESH_lENKUlvE_clEvENKUlvE3_clEvEUlS6_S6_E_S6_EEDaPvRmT3_T4_T5_mT6_P12ihipStream_tbENKUlT_T0_E_clISt17integral_constantIbLb0EESY_EEDaST_SU_EUlST_E_NS1_11comp_targetILNS1_3genE3ELNS1_11target_archE908ELNS1_3gpuE7ELNS1_3repE0EEENS1_30default_config_static_selectorELNS0_4arch9wavefront6targetE0EEEvT1_
    .private_segment_fixed_size: 0
    .sgpr_count:     0
    .sgpr_spill_count: 0
    .symbol:         _ZN7rocprim17ROCPRIM_400000_NS6detail17trampoline_kernelINS0_14default_configENS1_20scan_config_selectorIN3c104HalfEEEZZNS1_9scan_implILNS1_25lookback_scan_determinismE0ELb0ELb0ES3_PKS6_PS6_S6_ZZZN2at6native31launch_logcumsumexp_cuda_kernelERKNSD_10TensorBaseESH_lENKUlvE_clEvENKUlvE3_clEvEUlS6_S6_E_S6_EEDaPvRmT3_T4_T5_mT6_P12ihipStream_tbENKUlT_T0_E_clISt17integral_constantIbLb0EESY_EEDaST_SU_EUlST_E_NS1_11comp_targetILNS1_3genE3ELNS1_11target_archE908ELNS1_3gpuE7ELNS1_3repE0EEENS1_30default_config_static_selectorELNS0_4arch9wavefront6targetE0EEEvT1_.kd
    .uniform_work_group_size: 1
    .uses_dynamic_stack: false
    .vgpr_count:     0
    .vgpr_spill_count: 0
    .wavefront_size: 32
    .workgroup_processor_mode: 1
  - .args:
      - .offset:         0
        .size:           96
        .value_kind:     by_value
    .group_segment_fixed_size: 0
    .kernarg_segment_align: 8
    .kernarg_segment_size: 96
    .language:       OpenCL C
    .language_version:
      - 2
      - 0
    .max_flat_workgroup_size: 256
    .name:           _ZN7rocprim17ROCPRIM_400000_NS6detail17trampoline_kernelINS0_14default_configENS1_20scan_config_selectorIN3c104HalfEEEZZNS1_9scan_implILNS1_25lookback_scan_determinismE0ELb0ELb0ES3_PKS6_PS6_S6_ZZZN2at6native31launch_logcumsumexp_cuda_kernelERKNSD_10TensorBaseESH_lENKUlvE_clEvENKUlvE3_clEvEUlS6_S6_E_S6_EEDaPvRmT3_T4_T5_mT6_P12ihipStream_tbENKUlT_T0_E_clISt17integral_constantIbLb0EESY_EEDaST_SU_EUlST_E_NS1_11comp_targetILNS1_3genE2ELNS1_11target_archE906ELNS1_3gpuE6ELNS1_3repE0EEENS1_30default_config_static_selectorELNS0_4arch9wavefront6targetE0EEEvT1_
    .private_segment_fixed_size: 0
    .sgpr_count:     0
    .sgpr_spill_count: 0
    .symbol:         _ZN7rocprim17ROCPRIM_400000_NS6detail17trampoline_kernelINS0_14default_configENS1_20scan_config_selectorIN3c104HalfEEEZZNS1_9scan_implILNS1_25lookback_scan_determinismE0ELb0ELb0ES3_PKS6_PS6_S6_ZZZN2at6native31launch_logcumsumexp_cuda_kernelERKNSD_10TensorBaseESH_lENKUlvE_clEvENKUlvE3_clEvEUlS6_S6_E_S6_EEDaPvRmT3_T4_T5_mT6_P12ihipStream_tbENKUlT_T0_E_clISt17integral_constantIbLb0EESY_EEDaST_SU_EUlST_E_NS1_11comp_targetILNS1_3genE2ELNS1_11target_archE906ELNS1_3gpuE6ELNS1_3repE0EEENS1_30default_config_static_selectorELNS0_4arch9wavefront6targetE0EEEvT1_.kd
    .uniform_work_group_size: 1
    .uses_dynamic_stack: false
    .vgpr_count:     0
    .vgpr_spill_count: 0
    .wavefront_size: 32
    .workgroup_processor_mode: 1
  - .args:
      - .offset:         0
        .size:           96
        .value_kind:     by_value
    .group_segment_fixed_size: 0
    .kernarg_segment_align: 8
    .kernarg_segment_size: 96
    .language:       OpenCL C
    .language_version:
      - 2
      - 0
    .max_flat_workgroup_size: 256
    .name:           _ZN7rocprim17ROCPRIM_400000_NS6detail17trampoline_kernelINS0_14default_configENS1_20scan_config_selectorIN3c104HalfEEEZZNS1_9scan_implILNS1_25lookback_scan_determinismE0ELb0ELb0ES3_PKS6_PS6_S6_ZZZN2at6native31launch_logcumsumexp_cuda_kernelERKNSD_10TensorBaseESH_lENKUlvE_clEvENKUlvE3_clEvEUlS6_S6_E_S6_EEDaPvRmT3_T4_T5_mT6_P12ihipStream_tbENKUlT_T0_E_clISt17integral_constantIbLb0EESY_EEDaST_SU_EUlST_E_NS1_11comp_targetILNS1_3genE10ELNS1_11target_archE1201ELNS1_3gpuE5ELNS1_3repE0EEENS1_30default_config_static_selectorELNS0_4arch9wavefront6targetE0EEEvT1_
    .private_segment_fixed_size: 0
    .sgpr_count:     0
    .sgpr_spill_count: 0
    .symbol:         _ZN7rocprim17ROCPRIM_400000_NS6detail17trampoline_kernelINS0_14default_configENS1_20scan_config_selectorIN3c104HalfEEEZZNS1_9scan_implILNS1_25lookback_scan_determinismE0ELb0ELb0ES3_PKS6_PS6_S6_ZZZN2at6native31launch_logcumsumexp_cuda_kernelERKNSD_10TensorBaseESH_lENKUlvE_clEvENKUlvE3_clEvEUlS6_S6_E_S6_EEDaPvRmT3_T4_T5_mT6_P12ihipStream_tbENKUlT_T0_E_clISt17integral_constantIbLb0EESY_EEDaST_SU_EUlST_E_NS1_11comp_targetILNS1_3genE10ELNS1_11target_archE1201ELNS1_3gpuE5ELNS1_3repE0EEENS1_30default_config_static_selectorELNS0_4arch9wavefront6targetE0EEEvT1_.kd
    .uniform_work_group_size: 1
    .uses_dynamic_stack: false
    .vgpr_count:     0
    .vgpr_spill_count: 0
    .wavefront_size: 32
    .workgroup_processor_mode: 1
  - .args:
      - .offset:         0
        .size:           96
        .value_kind:     by_value
    .group_segment_fixed_size: 0
    .kernarg_segment_align: 8
    .kernarg_segment_size: 96
    .language:       OpenCL C
    .language_version:
      - 2
      - 0
    .max_flat_workgroup_size: 256
    .name:           _ZN7rocprim17ROCPRIM_400000_NS6detail17trampoline_kernelINS0_14default_configENS1_20scan_config_selectorIN3c104HalfEEEZZNS1_9scan_implILNS1_25lookback_scan_determinismE0ELb0ELb0ES3_PKS6_PS6_S6_ZZZN2at6native31launch_logcumsumexp_cuda_kernelERKNSD_10TensorBaseESH_lENKUlvE_clEvENKUlvE3_clEvEUlS6_S6_E_S6_EEDaPvRmT3_T4_T5_mT6_P12ihipStream_tbENKUlT_T0_E_clISt17integral_constantIbLb0EESY_EEDaST_SU_EUlST_E_NS1_11comp_targetILNS1_3genE10ELNS1_11target_archE1200ELNS1_3gpuE4ELNS1_3repE0EEENS1_30default_config_static_selectorELNS0_4arch9wavefront6targetE0EEEvT1_
    .private_segment_fixed_size: 0
    .sgpr_count:     0
    .sgpr_spill_count: 0
    .symbol:         _ZN7rocprim17ROCPRIM_400000_NS6detail17trampoline_kernelINS0_14default_configENS1_20scan_config_selectorIN3c104HalfEEEZZNS1_9scan_implILNS1_25lookback_scan_determinismE0ELb0ELb0ES3_PKS6_PS6_S6_ZZZN2at6native31launch_logcumsumexp_cuda_kernelERKNSD_10TensorBaseESH_lENKUlvE_clEvENKUlvE3_clEvEUlS6_S6_E_S6_EEDaPvRmT3_T4_T5_mT6_P12ihipStream_tbENKUlT_T0_E_clISt17integral_constantIbLb0EESY_EEDaST_SU_EUlST_E_NS1_11comp_targetILNS1_3genE10ELNS1_11target_archE1200ELNS1_3gpuE4ELNS1_3repE0EEENS1_30default_config_static_selectorELNS0_4arch9wavefront6targetE0EEEvT1_.kd
    .uniform_work_group_size: 1
    .uses_dynamic_stack: false
    .vgpr_count:     0
    .vgpr_spill_count: 0
    .wavefront_size: 32
    .workgroup_processor_mode: 1
  - .args:
      - .offset:         0
        .size:           96
        .value_kind:     by_value
      - .offset:         96
        .size:           4
        .value_kind:     hidden_block_count_x
      - .offset:         100
        .size:           4
        .value_kind:     hidden_block_count_y
      - .offset:         104
        .size:           4
        .value_kind:     hidden_block_count_z
      - .offset:         108
        .size:           2
        .value_kind:     hidden_group_size_x
      - .offset:         110
        .size:           2
        .value_kind:     hidden_group_size_y
      - .offset:         112
        .size:           2
        .value_kind:     hidden_group_size_z
      - .offset:         114
        .size:           2
        .value_kind:     hidden_remainder_x
      - .offset:         116
        .size:           2
        .value_kind:     hidden_remainder_y
      - .offset:         118
        .size:           2
        .value_kind:     hidden_remainder_z
      - .offset:         136
        .size:           8
        .value_kind:     hidden_global_offset_x
      - .offset:         144
        .size:           8
        .value_kind:     hidden_global_offset_y
      - .offset:         152
        .size:           8
        .value_kind:     hidden_global_offset_z
      - .offset:         160
        .size:           2
        .value_kind:     hidden_grid_dims
    .group_segment_fixed_size: 2816
    .kernarg_segment_align: 8
    .kernarg_segment_size: 352
    .language:       OpenCL C
    .language_version:
      - 2
      - 0
    .max_flat_workgroup_size: 64
    .name:           _ZN7rocprim17ROCPRIM_400000_NS6detail17trampoline_kernelINS0_14default_configENS1_20scan_config_selectorIN3c104HalfEEEZZNS1_9scan_implILNS1_25lookback_scan_determinismE0ELb0ELb0ES3_PKS6_PS6_S6_ZZZN2at6native31launch_logcumsumexp_cuda_kernelERKNSD_10TensorBaseESH_lENKUlvE_clEvENKUlvE3_clEvEUlS6_S6_E_S6_EEDaPvRmT3_T4_T5_mT6_P12ihipStream_tbENKUlT_T0_E_clISt17integral_constantIbLb0EESY_EEDaST_SU_EUlST_E_NS1_11comp_targetILNS1_3genE9ELNS1_11target_archE1100ELNS1_3gpuE3ELNS1_3repE0EEENS1_30default_config_static_selectorELNS0_4arch9wavefront6targetE0EEEvT1_
    .private_segment_fixed_size: 120
    .sgpr_count:     46
    .sgpr_spill_count: 0
    .symbol:         _ZN7rocprim17ROCPRIM_400000_NS6detail17trampoline_kernelINS0_14default_configENS1_20scan_config_selectorIN3c104HalfEEEZZNS1_9scan_implILNS1_25lookback_scan_determinismE0ELb0ELb0ES3_PKS6_PS6_S6_ZZZN2at6native31launch_logcumsumexp_cuda_kernelERKNSD_10TensorBaseESH_lENKUlvE_clEvENKUlvE3_clEvEUlS6_S6_E_S6_EEDaPvRmT3_T4_T5_mT6_P12ihipStream_tbENKUlT_T0_E_clISt17integral_constantIbLb0EESY_EEDaST_SU_EUlST_E_NS1_11comp_targetILNS1_3genE9ELNS1_11target_archE1100ELNS1_3gpuE3ELNS1_3repE0EEENS1_30default_config_static_selectorELNS0_4arch9wavefront6targetE0EEEvT1_.kd
    .uniform_work_group_size: 1
    .uses_dynamic_stack: false
    .vgpr_count:     151
    .vgpr_spill_count: 0
    .wavefront_size: 32
    .workgroup_processor_mode: 1
  - .args:
      - .offset:         0
        .size:           96
        .value_kind:     by_value
    .group_segment_fixed_size: 0
    .kernarg_segment_align: 8
    .kernarg_segment_size: 96
    .language:       OpenCL C
    .language_version:
      - 2
      - 0
    .max_flat_workgroup_size: 64
    .name:           _ZN7rocprim17ROCPRIM_400000_NS6detail17trampoline_kernelINS0_14default_configENS1_20scan_config_selectorIN3c104HalfEEEZZNS1_9scan_implILNS1_25lookback_scan_determinismE0ELb0ELb0ES3_PKS6_PS6_S6_ZZZN2at6native31launch_logcumsumexp_cuda_kernelERKNSD_10TensorBaseESH_lENKUlvE_clEvENKUlvE3_clEvEUlS6_S6_E_S6_EEDaPvRmT3_T4_T5_mT6_P12ihipStream_tbENKUlT_T0_E_clISt17integral_constantIbLb0EESY_EEDaST_SU_EUlST_E_NS1_11comp_targetILNS1_3genE8ELNS1_11target_archE1030ELNS1_3gpuE2ELNS1_3repE0EEENS1_30default_config_static_selectorELNS0_4arch9wavefront6targetE0EEEvT1_
    .private_segment_fixed_size: 0
    .sgpr_count:     0
    .sgpr_spill_count: 0
    .symbol:         _ZN7rocprim17ROCPRIM_400000_NS6detail17trampoline_kernelINS0_14default_configENS1_20scan_config_selectorIN3c104HalfEEEZZNS1_9scan_implILNS1_25lookback_scan_determinismE0ELb0ELb0ES3_PKS6_PS6_S6_ZZZN2at6native31launch_logcumsumexp_cuda_kernelERKNSD_10TensorBaseESH_lENKUlvE_clEvENKUlvE3_clEvEUlS6_S6_E_S6_EEDaPvRmT3_T4_T5_mT6_P12ihipStream_tbENKUlT_T0_E_clISt17integral_constantIbLb0EESY_EEDaST_SU_EUlST_E_NS1_11comp_targetILNS1_3genE8ELNS1_11target_archE1030ELNS1_3gpuE2ELNS1_3repE0EEENS1_30default_config_static_selectorELNS0_4arch9wavefront6targetE0EEEvT1_.kd
    .uniform_work_group_size: 1
    .uses_dynamic_stack: false
    .vgpr_count:     0
    .vgpr_spill_count: 0
    .wavefront_size: 32
    .workgroup_processor_mode: 1
  - .args:
      - .offset:         0
        .size:           40
        .value_kind:     by_value
    .group_segment_fixed_size: 0
    .kernarg_segment_align: 8
    .kernarg_segment_size: 40
    .language:       OpenCL C
    .language_version:
      - 2
      - 0
    .max_flat_workgroup_size: 128
    .name:           _ZN7rocprim17ROCPRIM_400000_NS6detail17trampoline_kernelINS0_14default_configENS1_25transform_config_selectorIN3c104HalfELb1EEEZNS1_14transform_implILb1ES3_S7_PS6_S9_NS0_8identityIS6_EEEE10hipError_tT2_T3_mT4_P12ihipStream_tbEUlT_E_NS1_11comp_targetILNS1_3genE0ELNS1_11target_archE4294967295ELNS1_3gpuE0ELNS1_3repE0EEENS1_30default_config_static_selectorELNS0_4arch9wavefront6targetE0EEEvT1_
    .private_segment_fixed_size: 0
    .sgpr_count:     0
    .sgpr_spill_count: 0
    .symbol:         _ZN7rocprim17ROCPRIM_400000_NS6detail17trampoline_kernelINS0_14default_configENS1_25transform_config_selectorIN3c104HalfELb1EEEZNS1_14transform_implILb1ES3_S7_PS6_S9_NS0_8identityIS6_EEEE10hipError_tT2_T3_mT4_P12ihipStream_tbEUlT_E_NS1_11comp_targetILNS1_3genE0ELNS1_11target_archE4294967295ELNS1_3gpuE0ELNS1_3repE0EEENS1_30default_config_static_selectorELNS0_4arch9wavefront6targetE0EEEvT1_.kd
    .uniform_work_group_size: 1
    .uses_dynamic_stack: false
    .vgpr_count:     0
    .vgpr_spill_count: 0
    .wavefront_size: 32
    .workgroup_processor_mode: 1
  - .args:
      - .offset:         0
        .size:           40
        .value_kind:     by_value
    .group_segment_fixed_size: 0
    .kernarg_segment_align: 8
    .kernarg_segment_size: 40
    .language:       OpenCL C
    .language_version:
      - 2
      - 0
    .max_flat_workgroup_size: 64
    .name:           _ZN7rocprim17ROCPRIM_400000_NS6detail17trampoline_kernelINS0_14default_configENS1_25transform_config_selectorIN3c104HalfELb1EEEZNS1_14transform_implILb1ES3_S7_PS6_S9_NS0_8identityIS6_EEEE10hipError_tT2_T3_mT4_P12ihipStream_tbEUlT_E_NS1_11comp_targetILNS1_3genE10ELNS1_11target_archE1201ELNS1_3gpuE5ELNS1_3repE0EEENS1_30default_config_static_selectorELNS0_4arch9wavefront6targetE0EEEvT1_
    .private_segment_fixed_size: 0
    .sgpr_count:     0
    .sgpr_spill_count: 0
    .symbol:         _ZN7rocprim17ROCPRIM_400000_NS6detail17trampoline_kernelINS0_14default_configENS1_25transform_config_selectorIN3c104HalfELb1EEEZNS1_14transform_implILb1ES3_S7_PS6_S9_NS0_8identityIS6_EEEE10hipError_tT2_T3_mT4_P12ihipStream_tbEUlT_E_NS1_11comp_targetILNS1_3genE10ELNS1_11target_archE1201ELNS1_3gpuE5ELNS1_3repE0EEENS1_30default_config_static_selectorELNS0_4arch9wavefront6targetE0EEEvT1_.kd
    .uniform_work_group_size: 1
    .uses_dynamic_stack: false
    .vgpr_count:     0
    .vgpr_spill_count: 0
    .wavefront_size: 32
    .workgroup_processor_mode: 1
  - .args:
      - .offset:         0
        .size:           40
        .value_kind:     by_value
    .group_segment_fixed_size: 0
    .kernarg_segment_align: 8
    .kernarg_segment_size: 40
    .language:       OpenCL C
    .language_version:
      - 2
      - 0
    .max_flat_workgroup_size: 256
    .name:           _ZN7rocprim17ROCPRIM_400000_NS6detail17trampoline_kernelINS0_14default_configENS1_25transform_config_selectorIN3c104HalfELb1EEEZNS1_14transform_implILb1ES3_S7_PS6_S9_NS0_8identityIS6_EEEE10hipError_tT2_T3_mT4_P12ihipStream_tbEUlT_E_NS1_11comp_targetILNS1_3genE5ELNS1_11target_archE942ELNS1_3gpuE9ELNS1_3repE0EEENS1_30default_config_static_selectorELNS0_4arch9wavefront6targetE0EEEvT1_
    .private_segment_fixed_size: 0
    .sgpr_count:     0
    .sgpr_spill_count: 0
    .symbol:         _ZN7rocprim17ROCPRIM_400000_NS6detail17trampoline_kernelINS0_14default_configENS1_25transform_config_selectorIN3c104HalfELb1EEEZNS1_14transform_implILb1ES3_S7_PS6_S9_NS0_8identityIS6_EEEE10hipError_tT2_T3_mT4_P12ihipStream_tbEUlT_E_NS1_11comp_targetILNS1_3genE5ELNS1_11target_archE942ELNS1_3gpuE9ELNS1_3repE0EEENS1_30default_config_static_selectorELNS0_4arch9wavefront6targetE0EEEvT1_.kd
    .uniform_work_group_size: 1
    .uses_dynamic_stack: false
    .vgpr_count:     0
    .vgpr_spill_count: 0
    .wavefront_size: 32
    .workgroup_processor_mode: 1
  - .args:
      - .offset:         0
        .size:           40
        .value_kind:     by_value
    .group_segment_fixed_size: 0
    .kernarg_segment_align: 8
    .kernarg_segment_size: 40
    .language:       OpenCL C
    .language_version:
      - 2
      - 0
    .max_flat_workgroup_size: 1024
    .name:           _ZN7rocprim17ROCPRIM_400000_NS6detail17trampoline_kernelINS0_14default_configENS1_25transform_config_selectorIN3c104HalfELb1EEEZNS1_14transform_implILb1ES3_S7_PS6_S9_NS0_8identityIS6_EEEE10hipError_tT2_T3_mT4_P12ihipStream_tbEUlT_E_NS1_11comp_targetILNS1_3genE4ELNS1_11target_archE910ELNS1_3gpuE8ELNS1_3repE0EEENS1_30default_config_static_selectorELNS0_4arch9wavefront6targetE0EEEvT1_
    .private_segment_fixed_size: 0
    .sgpr_count:     0
    .sgpr_spill_count: 0
    .symbol:         _ZN7rocprim17ROCPRIM_400000_NS6detail17trampoline_kernelINS0_14default_configENS1_25transform_config_selectorIN3c104HalfELb1EEEZNS1_14transform_implILb1ES3_S7_PS6_S9_NS0_8identityIS6_EEEE10hipError_tT2_T3_mT4_P12ihipStream_tbEUlT_E_NS1_11comp_targetILNS1_3genE4ELNS1_11target_archE910ELNS1_3gpuE8ELNS1_3repE0EEENS1_30default_config_static_selectorELNS0_4arch9wavefront6targetE0EEEvT1_.kd
    .uniform_work_group_size: 1
    .uses_dynamic_stack: false
    .vgpr_count:     0
    .vgpr_spill_count: 0
    .wavefront_size: 32
    .workgroup_processor_mode: 1
  - .args:
      - .offset:         0
        .size:           40
        .value_kind:     by_value
    .group_segment_fixed_size: 0
    .kernarg_segment_align: 8
    .kernarg_segment_size: 40
    .language:       OpenCL C
    .language_version:
      - 2
      - 0
    .max_flat_workgroup_size: 128
    .name:           _ZN7rocprim17ROCPRIM_400000_NS6detail17trampoline_kernelINS0_14default_configENS1_25transform_config_selectorIN3c104HalfELb1EEEZNS1_14transform_implILb1ES3_S7_PS6_S9_NS0_8identityIS6_EEEE10hipError_tT2_T3_mT4_P12ihipStream_tbEUlT_E_NS1_11comp_targetILNS1_3genE3ELNS1_11target_archE908ELNS1_3gpuE7ELNS1_3repE0EEENS1_30default_config_static_selectorELNS0_4arch9wavefront6targetE0EEEvT1_
    .private_segment_fixed_size: 0
    .sgpr_count:     0
    .sgpr_spill_count: 0
    .symbol:         _ZN7rocprim17ROCPRIM_400000_NS6detail17trampoline_kernelINS0_14default_configENS1_25transform_config_selectorIN3c104HalfELb1EEEZNS1_14transform_implILb1ES3_S7_PS6_S9_NS0_8identityIS6_EEEE10hipError_tT2_T3_mT4_P12ihipStream_tbEUlT_E_NS1_11comp_targetILNS1_3genE3ELNS1_11target_archE908ELNS1_3gpuE7ELNS1_3repE0EEENS1_30default_config_static_selectorELNS0_4arch9wavefront6targetE0EEEvT1_.kd
    .uniform_work_group_size: 1
    .uses_dynamic_stack: false
    .vgpr_count:     0
    .vgpr_spill_count: 0
    .wavefront_size: 32
    .workgroup_processor_mode: 1
  - .args:
      - .offset:         0
        .size:           40
        .value_kind:     by_value
    .group_segment_fixed_size: 0
    .kernarg_segment_align: 8
    .kernarg_segment_size: 40
    .language:       OpenCL C
    .language_version:
      - 2
      - 0
    .max_flat_workgroup_size: 1024
    .name:           _ZN7rocprim17ROCPRIM_400000_NS6detail17trampoline_kernelINS0_14default_configENS1_25transform_config_selectorIN3c104HalfELb1EEEZNS1_14transform_implILb1ES3_S7_PS6_S9_NS0_8identityIS6_EEEE10hipError_tT2_T3_mT4_P12ihipStream_tbEUlT_E_NS1_11comp_targetILNS1_3genE2ELNS1_11target_archE906ELNS1_3gpuE6ELNS1_3repE0EEENS1_30default_config_static_selectorELNS0_4arch9wavefront6targetE0EEEvT1_
    .private_segment_fixed_size: 0
    .sgpr_count:     0
    .sgpr_spill_count: 0
    .symbol:         _ZN7rocprim17ROCPRIM_400000_NS6detail17trampoline_kernelINS0_14default_configENS1_25transform_config_selectorIN3c104HalfELb1EEEZNS1_14transform_implILb1ES3_S7_PS6_S9_NS0_8identityIS6_EEEE10hipError_tT2_T3_mT4_P12ihipStream_tbEUlT_E_NS1_11comp_targetILNS1_3genE2ELNS1_11target_archE906ELNS1_3gpuE6ELNS1_3repE0EEENS1_30default_config_static_selectorELNS0_4arch9wavefront6targetE0EEEvT1_.kd
    .uniform_work_group_size: 1
    .uses_dynamic_stack: false
    .vgpr_count:     0
    .vgpr_spill_count: 0
    .wavefront_size: 32
    .workgroup_processor_mode: 1
  - .args:
      - .offset:         0
        .size:           40
        .value_kind:     by_value
      - .offset:         40
        .size:           4
        .value_kind:     hidden_block_count_x
      - .offset:         44
        .size:           4
        .value_kind:     hidden_block_count_y
      - .offset:         48
        .size:           4
        .value_kind:     hidden_block_count_z
      - .offset:         52
        .size:           2
        .value_kind:     hidden_group_size_x
      - .offset:         54
        .size:           2
        .value_kind:     hidden_group_size_y
      - .offset:         56
        .size:           2
        .value_kind:     hidden_group_size_z
      - .offset:         58
        .size:           2
        .value_kind:     hidden_remainder_x
      - .offset:         60
        .size:           2
        .value_kind:     hidden_remainder_y
      - .offset:         62
        .size:           2
        .value_kind:     hidden_remainder_z
      - .offset:         80
        .size:           8
        .value_kind:     hidden_global_offset_x
      - .offset:         88
        .size:           8
        .value_kind:     hidden_global_offset_y
      - .offset:         96
        .size:           8
        .value_kind:     hidden_global_offset_z
      - .offset:         104
        .size:           2
        .value_kind:     hidden_grid_dims
    .group_segment_fixed_size: 0
    .kernarg_segment_align: 8
    .kernarg_segment_size: 296
    .language:       OpenCL C
    .language_version:
      - 2
      - 0
    .max_flat_workgroup_size: 1024
    .name:           _ZN7rocprim17ROCPRIM_400000_NS6detail17trampoline_kernelINS0_14default_configENS1_25transform_config_selectorIN3c104HalfELb1EEEZNS1_14transform_implILb1ES3_S7_PS6_S9_NS0_8identityIS6_EEEE10hipError_tT2_T3_mT4_P12ihipStream_tbEUlT_E_NS1_11comp_targetILNS1_3genE9ELNS1_11target_archE1100ELNS1_3gpuE3ELNS1_3repE0EEENS1_30default_config_static_selectorELNS0_4arch9wavefront6targetE0EEEvT1_
    .private_segment_fixed_size: 0
    .sgpr_count:     18
    .sgpr_spill_count: 0
    .symbol:         _ZN7rocprim17ROCPRIM_400000_NS6detail17trampoline_kernelINS0_14default_configENS1_25transform_config_selectorIN3c104HalfELb1EEEZNS1_14transform_implILb1ES3_S7_PS6_S9_NS0_8identityIS6_EEEE10hipError_tT2_T3_mT4_P12ihipStream_tbEUlT_E_NS1_11comp_targetILNS1_3genE9ELNS1_11target_archE1100ELNS1_3gpuE3ELNS1_3repE0EEENS1_30default_config_static_selectorELNS0_4arch9wavefront6targetE0EEEvT1_.kd
    .uniform_work_group_size: 1
    .uses_dynamic_stack: false
    .vgpr_count:     5
    .vgpr_spill_count: 0
    .wavefront_size: 32
    .workgroup_processor_mode: 1
  - .args:
      - .offset:         0
        .size:           40
        .value_kind:     by_value
    .group_segment_fixed_size: 0
    .kernarg_segment_align: 8
    .kernarg_segment_size: 40
    .language:       OpenCL C
    .language_version:
      - 2
      - 0
    .max_flat_workgroup_size: 1024
    .name:           _ZN7rocprim17ROCPRIM_400000_NS6detail17trampoline_kernelINS0_14default_configENS1_25transform_config_selectorIN3c104HalfELb1EEEZNS1_14transform_implILb1ES3_S7_PS6_S9_NS0_8identityIS6_EEEE10hipError_tT2_T3_mT4_P12ihipStream_tbEUlT_E_NS1_11comp_targetILNS1_3genE8ELNS1_11target_archE1030ELNS1_3gpuE2ELNS1_3repE0EEENS1_30default_config_static_selectorELNS0_4arch9wavefront6targetE0EEEvT1_
    .private_segment_fixed_size: 0
    .sgpr_count:     0
    .sgpr_spill_count: 0
    .symbol:         _ZN7rocprim17ROCPRIM_400000_NS6detail17trampoline_kernelINS0_14default_configENS1_25transform_config_selectorIN3c104HalfELb1EEEZNS1_14transform_implILb1ES3_S7_PS6_S9_NS0_8identityIS6_EEEE10hipError_tT2_T3_mT4_P12ihipStream_tbEUlT_E_NS1_11comp_targetILNS1_3genE8ELNS1_11target_archE1030ELNS1_3gpuE2ELNS1_3repE0EEENS1_30default_config_static_selectorELNS0_4arch9wavefront6targetE0EEEvT1_.kd
    .uniform_work_group_size: 1
    .uses_dynamic_stack: false
    .vgpr_count:     0
    .vgpr_spill_count: 0
    .wavefront_size: 32
    .workgroup_processor_mode: 1
  - .args:
      - .offset:         0
        .size:           32
        .value_kind:     by_value
    .group_segment_fixed_size: 0
    .kernarg_segment_align: 8
    .kernarg_segment_size: 32
    .language:       OpenCL C
    .language_version:
      - 2
      - 0
    .max_flat_workgroup_size: 128
    .name:           _ZN7rocprim17ROCPRIM_400000_NS6detail17trampoline_kernelINS0_14default_configENS1_20scan_config_selectorIN3c104HalfEEEZZNS1_9scan_implILNS1_25lookback_scan_determinismE0ELb0ELb0ES3_PKS6_PS6_S6_ZZZN2at6native31launch_logcumsumexp_cuda_kernelERKNSD_10TensorBaseESH_lENKUlvE_clEvENKUlvE3_clEvEUlS6_S6_E_S6_EEDaPvRmT3_T4_T5_mT6_P12ihipStream_tbENKUlT_T0_E_clISt17integral_constantIbLb0EESY_EEDaST_SU_EUlST_E0_NS1_11comp_targetILNS1_3genE0ELNS1_11target_archE4294967295ELNS1_3gpuE0ELNS1_3repE0EEENS1_30default_config_static_selectorELNS0_4arch9wavefront6targetE0EEEvT1_
    .private_segment_fixed_size: 0
    .sgpr_count:     0
    .sgpr_spill_count: 0
    .symbol:         _ZN7rocprim17ROCPRIM_400000_NS6detail17trampoline_kernelINS0_14default_configENS1_20scan_config_selectorIN3c104HalfEEEZZNS1_9scan_implILNS1_25lookback_scan_determinismE0ELb0ELb0ES3_PKS6_PS6_S6_ZZZN2at6native31launch_logcumsumexp_cuda_kernelERKNSD_10TensorBaseESH_lENKUlvE_clEvENKUlvE3_clEvEUlS6_S6_E_S6_EEDaPvRmT3_T4_T5_mT6_P12ihipStream_tbENKUlT_T0_E_clISt17integral_constantIbLb0EESY_EEDaST_SU_EUlST_E0_NS1_11comp_targetILNS1_3genE0ELNS1_11target_archE4294967295ELNS1_3gpuE0ELNS1_3repE0EEENS1_30default_config_static_selectorELNS0_4arch9wavefront6targetE0EEEvT1_.kd
    .uniform_work_group_size: 1
    .uses_dynamic_stack: false
    .vgpr_count:     0
    .vgpr_spill_count: 0
    .wavefront_size: 32
    .workgroup_processor_mode: 1
  - .args:
      - .offset:         0
        .size:           32
        .value_kind:     by_value
    .group_segment_fixed_size: 0
    .kernarg_segment_align: 8
    .kernarg_segment_size: 32
    .language:       OpenCL C
    .language_version:
      - 2
      - 0
    .max_flat_workgroup_size: 256
    .name:           _ZN7rocprim17ROCPRIM_400000_NS6detail17trampoline_kernelINS0_14default_configENS1_20scan_config_selectorIN3c104HalfEEEZZNS1_9scan_implILNS1_25lookback_scan_determinismE0ELb0ELb0ES3_PKS6_PS6_S6_ZZZN2at6native31launch_logcumsumexp_cuda_kernelERKNSD_10TensorBaseESH_lENKUlvE_clEvENKUlvE3_clEvEUlS6_S6_E_S6_EEDaPvRmT3_T4_T5_mT6_P12ihipStream_tbENKUlT_T0_E_clISt17integral_constantIbLb0EESY_EEDaST_SU_EUlST_E0_NS1_11comp_targetILNS1_3genE5ELNS1_11target_archE942ELNS1_3gpuE9ELNS1_3repE0EEENS1_30default_config_static_selectorELNS0_4arch9wavefront6targetE0EEEvT1_
    .private_segment_fixed_size: 0
    .sgpr_count:     0
    .sgpr_spill_count: 0
    .symbol:         _ZN7rocprim17ROCPRIM_400000_NS6detail17trampoline_kernelINS0_14default_configENS1_20scan_config_selectorIN3c104HalfEEEZZNS1_9scan_implILNS1_25lookback_scan_determinismE0ELb0ELb0ES3_PKS6_PS6_S6_ZZZN2at6native31launch_logcumsumexp_cuda_kernelERKNSD_10TensorBaseESH_lENKUlvE_clEvENKUlvE3_clEvEUlS6_S6_E_S6_EEDaPvRmT3_T4_T5_mT6_P12ihipStream_tbENKUlT_T0_E_clISt17integral_constantIbLb0EESY_EEDaST_SU_EUlST_E0_NS1_11comp_targetILNS1_3genE5ELNS1_11target_archE942ELNS1_3gpuE9ELNS1_3repE0EEENS1_30default_config_static_selectorELNS0_4arch9wavefront6targetE0EEEvT1_.kd
    .uniform_work_group_size: 1
    .uses_dynamic_stack: false
    .vgpr_count:     0
    .vgpr_spill_count: 0
    .wavefront_size: 32
    .workgroup_processor_mode: 1
  - .args:
      - .offset:         0
        .size:           32
        .value_kind:     by_value
    .group_segment_fixed_size: 0
    .kernarg_segment_align: 8
    .kernarg_segment_size: 32
    .language:       OpenCL C
    .language_version:
      - 2
      - 0
    .max_flat_workgroup_size: 64
    .name:           _ZN7rocprim17ROCPRIM_400000_NS6detail17trampoline_kernelINS0_14default_configENS1_20scan_config_selectorIN3c104HalfEEEZZNS1_9scan_implILNS1_25lookback_scan_determinismE0ELb0ELb0ES3_PKS6_PS6_S6_ZZZN2at6native31launch_logcumsumexp_cuda_kernelERKNSD_10TensorBaseESH_lENKUlvE_clEvENKUlvE3_clEvEUlS6_S6_E_S6_EEDaPvRmT3_T4_T5_mT6_P12ihipStream_tbENKUlT_T0_E_clISt17integral_constantIbLb0EESY_EEDaST_SU_EUlST_E0_NS1_11comp_targetILNS1_3genE4ELNS1_11target_archE910ELNS1_3gpuE8ELNS1_3repE0EEENS1_30default_config_static_selectorELNS0_4arch9wavefront6targetE0EEEvT1_
    .private_segment_fixed_size: 0
    .sgpr_count:     0
    .sgpr_spill_count: 0
    .symbol:         _ZN7rocprim17ROCPRIM_400000_NS6detail17trampoline_kernelINS0_14default_configENS1_20scan_config_selectorIN3c104HalfEEEZZNS1_9scan_implILNS1_25lookback_scan_determinismE0ELb0ELb0ES3_PKS6_PS6_S6_ZZZN2at6native31launch_logcumsumexp_cuda_kernelERKNSD_10TensorBaseESH_lENKUlvE_clEvENKUlvE3_clEvEUlS6_S6_E_S6_EEDaPvRmT3_T4_T5_mT6_P12ihipStream_tbENKUlT_T0_E_clISt17integral_constantIbLb0EESY_EEDaST_SU_EUlST_E0_NS1_11comp_targetILNS1_3genE4ELNS1_11target_archE910ELNS1_3gpuE8ELNS1_3repE0EEENS1_30default_config_static_selectorELNS0_4arch9wavefront6targetE0EEEvT1_.kd
    .uniform_work_group_size: 1
    .uses_dynamic_stack: false
    .vgpr_count:     0
    .vgpr_spill_count: 0
    .wavefront_size: 32
    .workgroup_processor_mode: 1
  - .args:
      - .offset:         0
        .size:           32
        .value_kind:     by_value
    .group_segment_fixed_size: 0
    .kernarg_segment_align: 8
    .kernarg_segment_size: 32
    .language:       OpenCL C
    .language_version:
      - 2
      - 0
    .max_flat_workgroup_size: 128
    .name:           _ZN7rocprim17ROCPRIM_400000_NS6detail17trampoline_kernelINS0_14default_configENS1_20scan_config_selectorIN3c104HalfEEEZZNS1_9scan_implILNS1_25lookback_scan_determinismE0ELb0ELb0ES3_PKS6_PS6_S6_ZZZN2at6native31launch_logcumsumexp_cuda_kernelERKNSD_10TensorBaseESH_lENKUlvE_clEvENKUlvE3_clEvEUlS6_S6_E_S6_EEDaPvRmT3_T4_T5_mT6_P12ihipStream_tbENKUlT_T0_E_clISt17integral_constantIbLb0EESY_EEDaST_SU_EUlST_E0_NS1_11comp_targetILNS1_3genE3ELNS1_11target_archE908ELNS1_3gpuE7ELNS1_3repE0EEENS1_30default_config_static_selectorELNS0_4arch9wavefront6targetE0EEEvT1_
    .private_segment_fixed_size: 0
    .sgpr_count:     0
    .sgpr_spill_count: 0
    .symbol:         _ZN7rocprim17ROCPRIM_400000_NS6detail17trampoline_kernelINS0_14default_configENS1_20scan_config_selectorIN3c104HalfEEEZZNS1_9scan_implILNS1_25lookback_scan_determinismE0ELb0ELb0ES3_PKS6_PS6_S6_ZZZN2at6native31launch_logcumsumexp_cuda_kernelERKNSD_10TensorBaseESH_lENKUlvE_clEvENKUlvE3_clEvEUlS6_S6_E_S6_EEDaPvRmT3_T4_T5_mT6_P12ihipStream_tbENKUlT_T0_E_clISt17integral_constantIbLb0EESY_EEDaST_SU_EUlST_E0_NS1_11comp_targetILNS1_3genE3ELNS1_11target_archE908ELNS1_3gpuE7ELNS1_3repE0EEENS1_30default_config_static_selectorELNS0_4arch9wavefront6targetE0EEEvT1_.kd
    .uniform_work_group_size: 1
    .uses_dynamic_stack: false
    .vgpr_count:     0
    .vgpr_spill_count: 0
    .wavefront_size: 32
    .workgroup_processor_mode: 1
  - .args:
      - .offset:         0
        .size:           32
        .value_kind:     by_value
    .group_segment_fixed_size: 0
    .kernarg_segment_align: 8
    .kernarg_segment_size: 32
    .language:       OpenCL C
    .language_version:
      - 2
      - 0
    .max_flat_workgroup_size: 256
    .name:           _ZN7rocprim17ROCPRIM_400000_NS6detail17trampoline_kernelINS0_14default_configENS1_20scan_config_selectorIN3c104HalfEEEZZNS1_9scan_implILNS1_25lookback_scan_determinismE0ELb0ELb0ES3_PKS6_PS6_S6_ZZZN2at6native31launch_logcumsumexp_cuda_kernelERKNSD_10TensorBaseESH_lENKUlvE_clEvENKUlvE3_clEvEUlS6_S6_E_S6_EEDaPvRmT3_T4_T5_mT6_P12ihipStream_tbENKUlT_T0_E_clISt17integral_constantIbLb0EESY_EEDaST_SU_EUlST_E0_NS1_11comp_targetILNS1_3genE2ELNS1_11target_archE906ELNS1_3gpuE6ELNS1_3repE0EEENS1_30default_config_static_selectorELNS0_4arch9wavefront6targetE0EEEvT1_
    .private_segment_fixed_size: 0
    .sgpr_count:     0
    .sgpr_spill_count: 0
    .symbol:         _ZN7rocprim17ROCPRIM_400000_NS6detail17trampoline_kernelINS0_14default_configENS1_20scan_config_selectorIN3c104HalfEEEZZNS1_9scan_implILNS1_25lookback_scan_determinismE0ELb0ELb0ES3_PKS6_PS6_S6_ZZZN2at6native31launch_logcumsumexp_cuda_kernelERKNSD_10TensorBaseESH_lENKUlvE_clEvENKUlvE3_clEvEUlS6_S6_E_S6_EEDaPvRmT3_T4_T5_mT6_P12ihipStream_tbENKUlT_T0_E_clISt17integral_constantIbLb0EESY_EEDaST_SU_EUlST_E0_NS1_11comp_targetILNS1_3genE2ELNS1_11target_archE906ELNS1_3gpuE6ELNS1_3repE0EEENS1_30default_config_static_selectorELNS0_4arch9wavefront6targetE0EEEvT1_.kd
    .uniform_work_group_size: 1
    .uses_dynamic_stack: false
    .vgpr_count:     0
    .vgpr_spill_count: 0
    .wavefront_size: 32
    .workgroup_processor_mode: 1
  - .args:
      - .offset:         0
        .size:           32
        .value_kind:     by_value
    .group_segment_fixed_size: 0
    .kernarg_segment_align: 8
    .kernarg_segment_size: 32
    .language:       OpenCL C
    .language_version:
      - 2
      - 0
    .max_flat_workgroup_size: 256
    .name:           _ZN7rocprim17ROCPRIM_400000_NS6detail17trampoline_kernelINS0_14default_configENS1_20scan_config_selectorIN3c104HalfEEEZZNS1_9scan_implILNS1_25lookback_scan_determinismE0ELb0ELb0ES3_PKS6_PS6_S6_ZZZN2at6native31launch_logcumsumexp_cuda_kernelERKNSD_10TensorBaseESH_lENKUlvE_clEvENKUlvE3_clEvEUlS6_S6_E_S6_EEDaPvRmT3_T4_T5_mT6_P12ihipStream_tbENKUlT_T0_E_clISt17integral_constantIbLb0EESY_EEDaST_SU_EUlST_E0_NS1_11comp_targetILNS1_3genE10ELNS1_11target_archE1201ELNS1_3gpuE5ELNS1_3repE0EEENS1_30default_config_static_selectorELNS0_4arch9wavefront6targetE0EEEvT1_
    .private_segment_fixed_size: 0
    .sgpr_count:     0
    .sgpr_spill_count: 0
    .symbol:         _ZN7rocprim17ROCPRIM_400000_NS6detail17trampoline_kernelINS0_14default_configENS1_20scan_config_selectorIN3c104HalfEEEZZNS1_9scan_implILNS1_25lookback_scan_determinismE0ELb0ELb0ES3_PKS6_PS6_S6_ZZZN2at6native31launch_logcumsumexp_cuda_kernelERKNSD_10TensorBaseESH_lENKUlvE_clEvENKUlvE3_clEvEUlS6_S6_E_S6_EEDaPvRmT3_T4_T5_mT6_P12ihipStream_tbENKUlT_T0_E_clISt17integral_constantIbLb0EESY_EEDaST_SU_EUlST_E0_NS1_11comp_targetILNS1_3genE10ELNS1_11target_archE1201ELNS1_3gpuE5ELNS1_3repE0EEENS1_30default_config_static_selectorELNS0_4arch9wavefront6targetE0EEEvT1_.kd
    .uniform_work_group_size: 1
    .uses_dynamic_stack: false
    .vgpr_count:     0
    .vgpr_spill_count: 0
    .wavefront_size: 32
    .workgroup_processor_mode: 1
  - .args:
      - .offset:         0
        .size:           32
        .value_kind:     by_value
    .group_segment_fixed_size: 0
    .kernarg_segment_align: 8
    .kernarg_segment_size: 32
    .language:       OpenCL C
    .language_version:
      - 2
      - 0
    .max_flat_workgroup_size: 256
    .name:           _ZN7rocprim17ROCPRIM_400000_NS6detail17trampoline_kernelINS0_14default_configENS1_20scan_config_selectorIN3c104HalfEEEZZNS1_9scan_implILNS1_25lookback_scan_determinismE0ELb0ELb0ES3_PKS6_PS6_S6_ZZZN2at6native31launch_logcumsumexp_cuda_kernelERKNSD_10TensorBaseESH_lENKUlvE_clEvENKUlvE3_clEvEUlS6_S6_E_S6_EEDaPvRmT3_T4_T5_mT6_P12ihipStream_tbENKUlT_T0_E_clISt17integral_constantIbLb0EESY_EEDaST_SU_EUlST_E0_NS1_11comp_targetILNS1_3genE10ELNS1_11target_archE1200ELNS1_3gpuE4ELNS1_3repE0EEENS1_30default_config_static_selectorELNS0_4arch9wavefront6targetE0EEEvT1_
    .private_segment_fixed_size: 0
    .sgpr_count:     0
    .sgpr_spill_count: 0
    .symbol:         _ZN7rocprim17ROCPRIM_400000_NS6detail17trampoline_kernelINS0_14default_configENS1_20scan_config_selectorIN3c104HalfEEEZZNS1_9scan_implILNS1_25lookback_scan_determinismE0ELb0ELb0ES3_PKS6_PS6_S6_ZZZN2at6native31launch_logcumsumexp_cuda_kernelERKNSD_10TensorBaseESH_lENKUlvE_clEvENKUlvE3_clEvEUlS6_S6_E_S6_EEDaPvRmT3_T4_T5_mT6_P12ihipStream_tbENKUlT_T0_E_clISt17integral_constantIbLb0EESY_EEDaST_SU_EUlST_E0_NS1_11comp_targetILNS1_3genE10ELNS1_11target_archE1200ELNS1_3gpuE4ELNS1_3repE0EEENS1_30default_config_static_selectorELNS0_4arch9wavefront6targetE0EEEvT1_.kd
    .uniform_work_group_size: 1
    .uses_dynamic_stack: false
    .vgpr_count:     0
    .vgpr_spill_count: 0
    .wavefront_size: 32
    .workgroup_processor_mode: 1
  - .args:
      - .offset:         0
        .size:           32
        .value_kind:     by_value
    .group_segment_fixed_size: 2816
    .kernarg_segment_align: 8
    .kernarg_segment_size: 32
    .language:       OpenCL C
    .language_version:
      - 2
      - 0
    .max_flat_workgroup_size: 64
    .name:           _ZN7rocprim17ROCPRIM_400000_NS6detail17trampoline_kernelINS0_14default_configENS1_20scan_config_selectorIN3c104HalfEEEZZNS1_9scan_implILNS1_25lookback_scan_determinismE0ELb0ELb0ES3_PKS6_PS6_S6_ZZZN2at6native31launch_logcumsumexp_cuda_kernelERKNSD_10TensorBaseESH_lENKUlvE_clEvENKUlvE3_clEvEUlS6_S6_E_S6_EEDaPvRmT3_T4_T5_mT6_P12ihipStream_tbENKUlT_T0_E_clISt17integral_constantIbLb0EESY_EEDaST_SU_EUlST_E0_NS1_11comp_targetILNS1_3genE9ELNS1_11target_archE1100ELNS1_3gpuE3ELNS1_3repE0EEENS1_30default_config_static_selectorELNS0_4arch9wavefront6targetE0EEEvT1_
    .private_segment_fixed_size: 0
    .sgpr_count:     54
    .sgpr_spill_count: 0
    .symbol:         _ZN7rocprim17ROCPRIM_400000_NS6detail17trampoline_kernelINS0_14default_configENS1_20scan_config_selectorIN3c104HalfEEEZZNS1_9scan_implILNS1_25lookback_scan_determinismE0ELb0ELb0ES3_PKS6_PS6_S6_ZZZN2at6native31launch_logcumsumexp_cuda_kernelERKNSD_10TensorBaseESH_lENKUlvE_clEvENKUlvE3_clEvEUlS6_S6_E_S6_EEDaPvRmT3_T4_T5_mT6_P12ihipStream_tbENKUlT_T0_E_clISt17integral_constantIbLb0EESY_EEDaST_SU_EUlST_E0_NS1_11comp_targetILNS1_3genE9ELNS1_11target_archE1100ELNS1_3gpuE3ELNS1_3repE0EEENS1_30default_config_static_selectorELNS0_4arch9wavefront6targetE0EEEvT1_.kd
    .uniform_work_group_size: 1
    .uses_dynamic_stack: false
    .vgpr_count:     47
    .vgpr_spill_count: 0
    .wavefront_size: 32
    .workgroup_processor_mode: 1
  - .args:
      - .offset:         0
        .size:           32
        .value_kind:     by_value
    .group_segment_fixed_size: 0
    .kernarg_segment_align: 8
    .kernarg_segment_size: 32
    .language:       OpenCL C
    .language_version:
      - 2
      - 0
    .max_flat_workgroup_size: 64
    .name:           _ZN7rocprim17ROCPRIM_400000_NS6detail17trampoline_kernelINS0_14default_configENS1_20scan_config_selectorIN3c104HalfEEEZZNS1_9scan_implILNS1_25lookback_scan_determinismE0ELb0ELb0ES3_PKS6_PS6_S6_ZZZN2at6native31launch_logcumsumexp_cuda_kernelERKNSD_10TensorBaseESH_lENKUlvE_clEvENKUlvE3_clEvEUlS6_S6_E_S6_EEDaPvRmT3_T4_T5_mT6_P12ihipStream_tbENKUlT_T0_E_clISt17integral_constantIbLb0EESY_EEDaST_SU_EUlST_E0_NS1_11comp_targetILNS1_3genE8ELNS1_11target_archE1030ELNS1_3gpuE2ELNS1_3repE0EEENS1_30default_config_static_selectorELNS0_4arch9wavefront6targetE0EEEvT1_
    .private_segment_fixed_size: 0
    .sgpr_count:     0
    .sgpr_spill_count: 0
    .symbol:         _ZN7rocprim17ROCPRIM_400000_NS6detail17trampoline_kernelINS0_14default_configENS1_20scan_config_selectorIN3c104HalfEEEZZNS1_9scan_implILNS1_25lookback_scan_determinismE0ELb0ELb0ES3_PKS6_PS6_S6_ZZZN2at6native31launch_logcumsumexp_cuda_kernelERKNSD_10TensorBaseESH_lENKUlvE_clEvENKUlvE3_clEvEUlS6_S6_E_S6_EEDaPvRmT3_T4_T5_mT6_P12ihipStream_tbENKUlT_T0_E_clISt17integral_constantIbLb0EESY_EEDaST_SU_EUlST_E0_NS1_11comp_targetILNS1_3genE8ELNS1_11target_archE1030ELNS1_3gpuE2ELNS1_3repE0EEENS1_30default_config_static_selectorELNS0_4arch9wavefront6targetE0EEEvT1_.kd
    .uniform_work_group_size: 1
    .uses_dynamic_stack: false
    .vgpr_count:     0
    .vgpr_spill_count: 0
    .wavefront_size: 32
    .workgroup_processor_mode: 1
  - .args:
      - .address_space:  global
        .offset:         0
        .size:           8
        .value_kind:     global_buffer
      - .offset:         8
        .size:           4
        .value_kind:     by_value
      - .address_space:  global
        .offset:         16
        .size:           8
        .value_kind:     global_buffer
      - .offset:         24
        .size:           4
        .value_kind:     by_value
      - .address_space:  global
        .offset:         32
        .size:           8
        .value_kind:     global_buffer
      - .offset:         40
        .size:           4
        .value_kind:     hidden_block_count_x
      - .offset:         44
        .size:           4
        .value_kind:     hidden_block_count_y
      - .offset:         48
        .size:           4
        .value_kind:     hidden_block_count_z
      - .offset:         52
        .size:           2
        .value_kind:     hidden_group_size_x
      - .offset:         54
        .size:           2
        .value_kind:     hidden_group_size_y
      - .offset:         56
        .size:           2
        .value_kind:     hidden_group_size_z
      - .offset:         58
        .size:           2
        .value_kind:     hidden_remainder_x
      - .offset:         60
        .size:           2
        .value_kind:     hidden_remainder_y
      - .offset:         62
        .size:           2
        .value_kind:     hidden_remainder_z
      - .offset:         80
        .size:           8
        .value_kind:     hidden_global_offset_x
      - .offset:         88
        .size:           8
        .value_kind:     hidden_global_offset_y
      - .offset:         96
        .size:           8
        .value_kind:     hidden_global_offset_z
      - .offset:         104
        .size:           2
        .value_kind:     hidden_grid_dims
    .group_segment_fixed_size: 0
    .kernarg_segment_align: 8
    .kernarg_segment_size: 296
    .language:       OpenCL C
    .language_version:
      - 2
      - 0
    .max_flat_workgroup_size: 256
    .name:           _ZN7rocprim17ROCPRIM_400000_NS6detail31init_lookback_scan_state_kernelINS1_19lookback_scan_stateIN3c104HalfELb1ELb1EEENS1_16block_id_wrapperIjLb1EEEEEvT_jT0_jPNS9_10value_typeE
    .private_segment_fixed_size: 0
    .sgpr_count:     18
    .sgpr_spill_count: 0
    .symbol:         _ZN7rocprim17ROCPRIM_400000_NS6detail31init_lookback_scan_state_kernelINS1_19lookback_scan_stateIN3c104HalfELb1ELb1EEENS1_16block_id_wrapperIjLb1EEEEEvT_jT0_jPNS9_10value_typeE.kd
    .uniform_work_group_size: 1
    .uses_dynamic_stack: false
    .vgpr_count:     6
    .vgpr_spill_count: 0
    .wavefront_size: 32
    .workgroup_processor_mode: 1
  - .args:
      - .offset:         0
        .size:           96
        .value_kind:     by_value
    .group_segment_fixed_size: 0
    .kernarg_segment_align: 8
    .kernarg_segment_size: 96
    .language:       OpenCL C
    .language_version:
      - 2
      - 0
    .max_flat_workgroup_size: 128
    .name:           _ZN7rocprim17ROCPRIM_400000_NS6detail17trampoline_kernelINS0_14default_configENS1_20scan_config_selectorIN3c104HalfEEEZZNS1_9scan_implILNS1_25lookback_scan_determinismE0ELb0ELb0ES3_PKS6_PS6_S6_ZZZN2at6native31launch_logcumsumexp_cuda_kernelERKNSD_10TensorBaseESH_lENKUlvE_clEvENKUlvE3_clEvEUlS6_S6_E_S6_EEDaPvRmT3_T4_T5_mT6_P12ihipStream_tbENKUlT_T0_E_clISt17integral_constantIbLb1EESY_EEDaST_SU_EUlST_E_NS1_11comp_targetILNS1_3genE0ELNS1_11target_archE4294967295ELNS1_3gpuE0ELNS1_3repE0EEENS1_30default_config_static_selectorELNS0_4arch9wavefront6targetE0EEEvT1_
    .private_segment_fixed_size: 0
    .sgpr_count:     0
    .sgpr_spill_count: 0
    .symbol:         _ZN7rocprim17ROCPRIM_400000_NS6detail17trampoline_kernelINS0_14default_configENS1_20scan_config_selectorIN3c104HalfEEEZZNS1_9scan_implILNS1_25lookback_scan_determinismE0ELb0ELb0ES3_PKS6_PS6_S6_ZZZN2at6native31launch_logcumsumexp_cuda_kernelERKNSD_10TensorBaseESH_lENKUlvE_clEvENKUlvE3_clEvEUlS6_S6_E_S6_EEDaPvRmT3_T4_T5_mT6_P12ihipStream_tbENKUlT_T0_E_clISt17integral_constantIbLb1EESY_EEDaST_SU_EUlST_E_NS1_11comp_targetILNS1_3genE0ELNS1_11target_archE4294967295ELNS1_3gpuE0ELNS1_3repE0EEENS1_30default_config_static_selectorELNS0_4arch9wavefront6targetE0EEEvT1_.kd
    .uniform_work_group_size: 1
    .uses_dynamic_stack: false
    .vgpr_count:     0
    .vgpr_spill_count: 0
    .wavefront_size: 32
    .workgroup_processor_mode: 1
  - .args:
      - .offset:         0
        .size:           96
        .value_kind:     by_value
    .group_segment_fixed_size: 0
    .kernarg_segment_align: 8
    .kernarg_segment_size: 96
    .language:       OpenCL C
    .language_version:
      - 2
      - 0
    .max_flat_workgroup_size: 256
    .name:           _ZN7rocprim17ROCPRIM_400000_NS6detail17trampoline_kernelINS0_14default_configENS1_20scan_config_selectorIN3c104HalfEEEZZNS1_9scan_implILNS1_25lookback_scan_determinismE0ELb0ELb0ES3_PKS6_PS6_S6_ZZZN2at6native31launch_logcumsumexp_cuda_kernelERKNSD_10TensorBaseESH_lENKUlvE_clEvENKUlvE3_clEvEUlS6_S6_E_S6_EEDaPvRmT3_T4_T5_mT6_P12ihipStream_tbENKUlT_T0_E_clISt17integral_constantIbLb1EESY_EEDaST_SU_EUlST_E_NS1_11comp_targetILNS1_3genE5ELNS1_11target_archE942ELNS1_3gpuE9ELNS1_3repE0EEENS1_30default_config_static_selectorELNS0_4arch9wavefront6targetE0EEEvT1_
    .private_segment_fixed_size: 0
    .sgpr_count:     0
    .sgpr_spill_count: 0
    .symbol:         _ZN7rocprim17ROCPRIM_400000_NS6detail17trampoline_kernelINS0_14default_configENS1_20scan_config_selectorIN3c104HalfEEEZZNS1_9scan_implILNS1_25lookback_scan_determinismE0ELb0ELb0ES3_PKS6_PS6_S6_ZZZN2at6native31launch_logcumsumexp_cuda_kernelERKNSD_10TensorBaseESH_lENKUlvE_clEvENKUlvE3_clEvEUlS6_S6_E_S6_EEDaPvRmT3_T4_T5_mT6_P12ihipStream_tbENKUlT_T0_E_clISt17integral_constantIbLb1EESY_EEDaST_SU_EUlST_E_NS1_11comp_targetILNS1_3genE5ELNS1_11target_archE942ELNS1_3gpuE9ELNS1_3repE0EEENS1_30default_config_static_selectorELNS0_4arch9wavefront6targetE0EEEvT1_.kd
    .uniform_work_group_size: 1
    .uses_dynamic_stack: false
    .vgpr_count:     0
    .vgpr_spill_count: 0
    .wavefront_size: 32
    .workgroup_processor_mode: 1
  - .args:
      - .offset:         0
        .size:           96
        .value_kind:     by_value
    .group_segment_fixed_size: 0
    .kernarg_segment_align: 8
    .kernarg_segment_size: 96
    .language:       OpenCL C
    .language_version:
      - 2
      - 0
    .max_flat_workgroup_size: 64
    .name:           _ZN7rocprim17ROCPRIM_400000_NS6detail17trampoline_kernelINS0_14default_configENS1_20scan_config_selectorIN3c104HalfEEEZZNS1_9scan_implILNS1_25lookback_scan_determinismE0ELb0ELb0ES3_PKS6_PS6_S6_ZZZN2at6native31launch_logcumsumexp_cuda_kernelERKNSD_10TensorBaseESH_lENKUlvE_clEvENKUlvE3_clEvEUlS6_S6_E_S6_EEDaPvRmT3_T4_T5_mT6_P12ihipStream_tbENKUlT_T0_E_clISt17integral_constantIbLb1EESY_EEDaST_SU_EUlST_E_NS1_11comp_targetILNS1_3genE4ELNS1_11target_archE910ELNS1_3gpuE8ELNS1_3repE0EEENS1_30default_config_static_selectorELNS0_4arch9wavefront6targetE0EEEvT1_
    .private_segment_fixed_size: 0
    .sgpr_count:     0
    .sgpr_spill_count: 0
    .symbol:         _ZN7rocprim17ROCPRIM_400000_NS6detail17trampoline_kernelINS0_14default_configENS1_20scan_config_selectorIN3c104HalfEEEZZNS1_9scan_implILNS1_25lookback_scan_determinismE0ELb0ELb0ES3_PKS6_PS6_S6_ZZZN2at6native31launch_logcumsumexp_cuda_kernelERKNSD_10TensorBaseESH_lENKUlvE_clEvENKUlvE3_clEvEUlS6_S6_E_S6_EEDaPvRmT3_T4_T5_mT6_P12ihipStream_tbENKUlT_T0_E_clISt17integral_constantIbLb1EESY_EEDaST_SU_EUlST_E_NS1_11comp_targetILNS1_3genE4ELNS1_11target_archE910ELNS1_3gpuE8ELNS1_3repE0EEENS1_30default_config_static_selectorELNS0_4arch9wavefront6targetE0EEEvT1_.kd
    .uniform_work_group_size: 1
    .uses_dynamic_stack: false
    .vgpr_count:     0
    .vgpr_spill_count: 0
    .wavefront_size: 32
    .workgroup_processor_mode: 1
  - .args:
      - .offset:         0
        .size:           96
        .value_kind:     by_value
    .group_segment_fixed_size: 0
    .kernarg_segment_align: 8
    .kernarg_segment_size: 96
    .language:       OpenCL C
    .language_version:
      - 2
      - 0
    .max_flat_workgroup_size: 128
    .name:           _ZN7rocprim17ROCPRIM_400000_NS6detail17trampoline_kernelINS0_14default_configENS1_20scan_config_selectorIN3c104HalfEEEZZNS1_9scan_implILNS1_25lookback_scan_determinismE0ELb0ELb0ES3_PKS6_PS6_S6_ZZZN2at6native31launch_logcumsumexp_cuda_kernelERKNSD_10TensorBaseESH_lENKUlvE_clEvENKUlvE3_clEvEUlS6_S6_E_S6_EEDaPvRmT3_T4_T5_mT6_P12ihipStream_tbENKUlT_T0_E_clISt17integral_constantIbLb1EESY_EEDaST_SU_EUlST_E_NS1_11comp_targetILNS1_3genE3ELNS1_11target_archE908ELNS1_3gpuE7ELNS1_3repE0EEENS1_30default_config_static_selectorELNS0_4arch9wavefront6targetE0EEEvT1_
    .private_segment_fixed_size: 0
    .sgpr_count:     0
    .sgpr_spill_count: 0
    .symbol:         _ZN7rocprim17ROCPRIM_400000_NS6detail17trampoline_kernelINS0_14default_configENS1_20scan_config_selectorIN3c104HalfEEEZZNS1_9scan_implILNS1_25lookback_scan_determinismE0ELb0ELb0ES3_PKS6_PS6_S6_ZZZN2at6native31launch_logcumsumexp_cuda_kernelERKNSD_10TensorBaseESH_lENKUlvE_clEvENKUlvE3_clEvEUlS6_S6_E_S6_EEDaPvRmT3_T4_T5_mT6_P12ihipStream_tbENKUlT_T0_E_clISt17integral_constantIbLb1EESY_EEDaST_SU_EUlST_E_NS1_11comp_targetILNS1_3genE3ELNS1_11target_archE908ELNS1_3gpuE7ELNS1_3repE0EEENS1_30default_config_static_selectorELNS0_4arch9wavefront6targetE0EEEvT1_.kd
    .uniform_work_group_size: 1
    .uses_dynamic_stack: false
    .vgpr_count:     0
    .vgpr_spill_count: 0
    .wavefront_size: 32
    .workgroup_processor_mode: 1
  - .args:
      - .offset:         0
        .size:           96
        .value_kind:     by_value
    .group_segment_fixed_size: 0
    .kernarg_segment_align: 8
    .kernarg_segment_size: 96
    .language:       OpenCL C
    .language_version:
      - 2
      - 0
    .max_flat_workgroup_size: 256
    .name:           _ZN7rocprim17ROCPRIM_400000_NS6detail17trampoline_kernelINS0_14default_configENS1_20scan_config_selectorIN3c104HalfEEEZZNS1_9scan_implILNS1_25lookback_scan_determinismE0ELb0ELb0ES3_PKS6_PS6_S6_ZZZN2at6native31launch_logcumsumexp_cuda_kernelERKNSD_10TensorBaseESH_lENKUlvE_clEvENKUlvE3_clEvEUlS6_S6_E_S6_EEDaPvRmT3_T4_T5_mT6_P12ihipStream_tbENKUlT_T0_E_clISt17integral_constantIbLb1EESY_EEDaST_SU_EUlST_E_NS1_11comp_targetILNS1_3genE2ELNS1_11target_archE906ELNS1_3gpuE6ELNS1_3repE0EEENS1_30default_config_static_selectorELNS0_4arch9wavefront6targetE0EEEvT1_
    .private_segment_fixed_size: 0
    .sgpr_count:     0
    .sgpr_spill_count: 0
    .symbol:         _ZN7rocprim17ROCPRIM_400000_NS6detail17trampoline_kernelINS0_14default_configENS1_20scan_config_selectorIN3c104HalfEEEZZNS1_9scan_implILNS1_25lookback_scan_determinismE0ELb0ELb0ES3_PKS6_PS6_S6_ZZZN2at6native31launch_logcumsumexp_cuda_kernelERKNSD_10TensorBaseESH_lENKUlvE_clEvENKUlvE3_clEvEUlS6_S6_E_S6_EEDaPvRmT3_T4_T5_mT6_P12ihipStream_tbENKUlT_T0_E_clISt17integral_constantIbLb1EESY_EEDaST_SU_EUlST_E_NS1_11comp_targetILNS1_3genE2ELNS1_11target_archE906ELNS1_3gpuE6ELNS1_3repE0EEENS1_30default_config_static_selectorELNS0_4arch9wavefront6targetE0EEEvT1_.kd
    .uniform_work_group_size: 1
    .uses_dynamic_stack: false
    .vgpr_count:     0
    .vgpr_spill_count: 0
    .wavefront_size: 32
    .workgroup_processor_mode: 1
  - .args:
      - .offset:         0
        .size:           96
        .value_kind:     by_value
    .group_segment_fixed_size: 0
    .kernarg_segment_align: 8
    .kernarg_segment_size: 96
    .language:       OpenCL C
    .language_version:
      - 2
      - 0
    .max_flat_workgroup_size: 256
    .name:           _ZN7rocprim17ROCPRIM_400000_NS6detail17trampoline_kernelINS0_14default_configENS1_20scan_config_selectorIN3c104HalfEEEZZNS1_9scan_implILNS1_25lookback_scan_determinismE0ELb0ELb0ES3_PKS6_PS6_S6_ZZZN2at6native31launch_logcumsumexp_cuda_kernelERKNSD_10TensorBaseESH_lENKUlvE_clEvENKUlvE3_clEvEUlS6_S6_E_S6_EEDaPvRmT3_T4_T5_mT6_P12ihipStream_tbENKUlT_T0_E_clISt17integral_constantIbLb1EESY_EEDaST_SU_EUlST_E_NS1_11comp_targetILNS1_3genE10ELNS1_11target_archE1201ELNS1_3gpuE5ELNS1_3repE0EEENS1_30default_config_static_selectorELNS0_4arch9wavefront6targetE0EEEvT1_
    .private_segment_fixed_size: 0
    .sgpr_count:     0
    .sgpr_spill_count: 0
    .symbol:         _ZN7rocprim17ROCPRIM_400000_NS6detail17trampoline_kernelINS0_14default_configENS1_20scan_config_selectorIN3c104HalfEEEZZNS1_9scan_implILNS1_25lookback_scan_determinismE0ELb0ELb0ES3_PKS6_PS6_S6_ZZZN2at6native31launch_logcumsumexp_cuda_kernelERKNSD_10TensorBaseESH_lENKUlvE_clEvENKUlvE3_clEvEUlS6_S6_E_S6_EEDaPvRmT3_T4_T5_mT6_P12ihipStream_tbENKUlT_T0_E_clISt17integral_constantIbLb1EESY_EEDaST_SU_EUlST_E_NS1_11comp_targetILNS1_3genE10ELNS1_11target_archE1201ELNS1_3gpuE5ELNS1_3repE0EEENS1_30default_config_static_selectorELNS0_4arch9wavefront6targetE0EEEvT1_.kd
    .uniform_work_group_size: 1
    .uses_dynamic_stack: false
    .vgpr_count:     0
    .vgpr_spill_count: 0
    .wavefront_size: 32
    .workgroup_processor_mode: 1
  - .args:
      - .offset:         0
        .size:           96
        .value_kind:     by_value
    .group_segment_fixed_size: 0
    .kernarg_segment_align: 8
    .kernarg_segment_size: 96
    .language:       OpenCL C
    .language_version:
      - 2
      - 0
    .max_flat_workgroup_size: 256
    .name:           _ZN7rocprim17ROCPRIM_400000_NS6detail17trampoline_kernelINS0_14default_configENS1_20scan_config_selectorIN3c104HalfEEEZZNS1_9scan_implILNS1_25lookback_scan_determinismE0ELb0ELb0ES3_PKS6_PS6_S6_ZZZN2at6native31launch_logcumsumexp_cuda_kernelERKNSD_10TensorBaseESH_lENKUlvE_clEvENKUlvE3_clEvEUlS6_S6_E_S6_EEDaPvRmT3_T4_T5_mT6_P12ihipStream_tbENKUlT_T0_E_clISt17integral_constantIbLb1EESY_EEDaST_SU_EUlST_E_NS1_11comp_targetILNS1_3genE10ELNS1_11target_archE1200ELNS1_3gpuE4ELNS1_3repE0EEENS1_30default_config_static_selectorELNS0_4arch9wavefront6targetE0EEEvT1_
    .private_segment_fixed_size: 0
    .sgpr_count:     0
    .sgpr_spill_count: 0
    .symbol:         _ZN7rocprim17ROCPRIM_400000_NS6detail17trampoline_kernelINS0_14default_configENS1_20scan_config_selectorIN3c104HalfEEEZZNS1_9scan_implILNS1_25lookback_scan_determinismE0ELb0ELb0ES3_PKS6_PS6_S6_ZZZN2at6native31launch_logcumsumexp_cuda_kernelERKNSD_10TensorBaseESH_lENKUlvE_clEvENKUlvE3_clEvEUlS6_S6_E_S6_EEDaPvRmT3_T4_T5_mT6_P12ihipStream_tbENKUlT_T0_E_clISt17integral_constantIbLb1EESY_EEDaST_SU_EUlST_E_NS1_11comp_targetILNS1_3genE10ELNS1_11target_archE1200ELNS1_3gpuE4ELNS1_3repE0EEENS1_30default_config_static_selectorELNS0_4arch9wavefront6targetE0EEEvT1_.kd
    .uniform_work_group_size: 1
    .uses_dynamic_stack: false
    .vgpr_count:     0
    .vgpr_spill_count: 0
    .wavefront_size: 32
    .workgroup_processor_mode: 1
  - .args:
      - .offset:         0
        .size:           96
        .value_kind:     by_value
      - .offset:         96
        .size:           4
        .value_kind:     hidden_block_count_x
      - .offset:         100
        .size:           4
        .value_kind:     hidden_block_count_y
      - .offset:         104
        .size:           4
        .value_kind:     hidden_block_count_z
      - .offset:         108
        .size:           2
        .value_kind:     hidden_group_size_x
      - .offset:         110
        .size:           2
        .value_kind:     hidden_group_size_y
      - .offset:         112
        .size:           2
        .value_kind:     hidden_group_size_z
      - .offset:         114
        .size:           2
        .value_kind:     hidden_remainder_x
      - .offset:         116
        .size:           2
        .value_kind:     hidden_remainder_y
      - .offset:         118
        .size:           2
        .value_kind:     hidden_remainder_z
      - .offset:         136
        .size:           8
        .value_kind:     hidden_global_offset_x
      - .offset:         144
        .size:           8
        .value_kind:     hidden_global_offset_y
      - .offset:         152
        .size:           8
        .value_kind:     hidden_global_offset_z
      - .offset:         160
        .size:           2
        .value_kind:     hidden_grid_dims
    .group_segment_fixed_size: 2816
    .kernarg_segment_align: 8
    .kernarg_segment_size: 352
    .language:       OpenCL C
    .language_version:
      - 2
      - 0
    .max_flat_workgroup_size: 64
    .name:           _ZN7rocprim17ROCPRIM_400000_NS6detail17trampoline_kernelINS0_14default_configENS1_20scan_config_selectorIN3c104HalfEEEZZNS1_9scan_implILNS1_25lookback_scan_determinismE0ELb0ELb0ES3_PKS6_PS6_S6_ZZZN2at6native31launch_logcumsumexp_cuda_kernelERKNSD_10TensorBaseESH_lENKUlvE_clEvENKUlvE3_clEvEUlS6_S6_E_S6_EEDaPvRmT3_T4_T5_mT6_P12ihipStream_tbENKUlT_T0_E_clISt17integral_constantIbLb1EESY_EEDaST_SU_EUlST_E_NS1_11comp_targetILNS1_3genE9ELNS1_11target_archE1100ELNS1_3gpuE3ELNS1_3repE0EEENS1_30default_config_static_selectorELNS0_4arch9wavefront6targetE0EEEvT1_
    .private_segment_fixed_size: 120
    .sgpr_count:     46
    .sgpr_spill_count: 0
    .symbol:         _ZN7rocprim17ROCPRIM_400000_NS6detail17trampoline_kernelINS0_14default_configENS1_20scan_config_selectorIN3c104HalfEEEZZNS1_9scan_implILNS1_25lookback_scan_determinismE0ELb0ELb0ES3_PKS6_PS6_S6_ZZZN2at6native31launch_logcumsumexp_cuda_kernelERKNSD_10TensorBaseESH_lENKUlvE_clEvENKUlvE3_clEvEUlS6_S6_E_S6_EEDaPvRmT3_T4_T5_mT6_P12ihipStream_tbENKUlT_T0_E_clISt17integral_constantIbLb1EESY_EEDaST_SU_EUlST_E_NS1_11comp_targetILNS1_3genE9ELNS1_11target_archE1100ELNS1_3gpuE3ELNS1_3repE0EEENS1_30default_config_static_selectorELNS0_4arch9wavefront6targetE0EEEvT1_.kd
    .uniform_work_group_size: 1
    .uses_dynamic_stack: false
    .vgpr_count:     162
    .vgpr_spill_count: 0
    .wavefront_size: 32
    .workgroup_processor_mode: 1
  - .args:
      - .offset:         0
        .size:           96
        .value_kind:     by_value
    .group_segment_fixed_size: 0
    .kernarg_segment_align: 8
    .kernarg_segment_size: 96
    .language:       OpenCL C
    .language_version:
      - 2
      - 0
    .max_flat_workgroup_size: 64
    .name:           _ZN7rocprim17ROCPRIM_400000_NS6detail17trampoline_kernelINS0_14default_configENS1_20scan_config_selectorIN3c104HalfEEEZZNS1_9scan_implILNS1_25lookback_scan_determinismE0ELb0ELb0ES3_PKS6_PS6_S6_ZZZN2at6native31launch_logcumsumexp_cuda_kernelERKNSD_10TensorBaseESH_lENKUlvE_clEvENKUlvE3_clEvEUlS6_S6_E_S6_EEDaPvRmT3_T4_T5_mT6_P12ihipStream_tbENKUlT_T0_E_clISt17integral_constantIbLb1EESY_EEDaST_SU_EUlST_E_NS1_11comp_targetILNS1_3genE8ELNS1_11target_archE1030ELNS1_3gpuE2ELNS1_3repE0EEENS1_30default_config_static_selectorELNS0_4arch9wavefront6targetE0EEEvT1_
    .private_segment_fixed_size: 0
    .sgpr_count:     0
    .sgpr_spill_count: 0
    .symbol:         _ZN7rocprim17ROCPRIM_400000_NS6detail17trampoline_kernelINS0_14default_configENS1_20scan_config_selectorIN3c104HalfEEEZZNS1_9scan_implILNS1_25lookback_scan_determinismE0ELb0ELb0ES3_PKS6_PS6_S6_ZZZN2at6native31launch_logcumsumexp_cuda_kernelERKNSD_10TensorBaseESH_lENKUlvE_clEvENKUlvE3_clEvEUlS6_S6_E_S6_EEDaPvRmT3_T4_T5_mT6_P12ihipStream_tbENKUlT_T0_E_clISt17integral_constantIbLb1EESY_EEDaST_SU_EUlST_E_NS1_11comp_targetILNS1_3genE8ELNS1_11target_archE1030ELNS1_3gpuE2ELNS1_3repE0EEENS1_30default_config_static_selectorELNS0_4arch9wavefront6targetE0EEEvT1_.kd
    .uniform_work_group_size: 1
    .uses_dynamic_stack: false
    .vgpr_count:     0
    .vgpr_spill_count: 0
    .wavefront_size: 32
    .workgroup_processor_mode: 1
  - .args:
      - .offset:         0
        .size:           32
        .value_kind:     by_value
    .group_segment_fixed_size: 0
    .kernarg_segment_align: 8
    .kernarg_segment_size: 32
    .language:       OpenCL C
    .language_version:
      - 2
      - 0
    .max_flat_workgroup_size: 128
    .name:           _ZN7rocprim17ROCPRIM_400000_NS6detail17trampoline_kernelINS0_14default_configENS1_20scan_config_selectorIN3c104HalfEEEZZNS1_9scan_implILNS1_25lookback_scan_determinismE0ELb0ELb0ES3_PKS6_PS6_S6_ZZZN2at6native31launch_logcumsumexp_cuda_kernelERKNSD_10TensorBaseESH_lENKUlvE_clEvENKUlvE3_clEvEUlS6_S6_E_S6_EEDaPvRmT3_T4_T5_mT6_P12ihipStream_tbENKUlT_T0_E_clISt17integral_constantIbLb1EESY_EEDaST_SU_EUlST_E0_NS1_11comp_targetILNS1_3genE0ELNS1_11target_archE4294967295ELNS1_3gpuE0ELNS1_3repE0EEENS1_30default_config_static_selectorELNS0_4arch9wavefront6targetE0EEEvT1_
    .private_segment_fixed_size: 0
    .sgpr_count:     0
    .sgpr_spill_count: 0
    .symbol:         _ZN7rocprim17ROCPRIM_400000_NS6detail17trampoline_kernelINS0_14default_configENS1_20scan_config_selectorIN3c104HalfEEEZZNS1_9scan_implILNS1_25lookback_scan_determinismE0ELb0ELb0ES3_PKS6_PS6_S6_ZZZN2at6native31launch_logcumsumexp_cuda_kernelERKNSD_10TensorBaseESH_lENKUlvE_clEvENKUlvE3_clEvEUlS6_S6_E_S6_EEDaPvRmT3_T4_T5_mT6_P12ihipStream_tbENKUlT_T0_E_clISt17integral_constantIbLb1EESY_EEDaST_SU_EUlST_E0_NS1_11comp_targetILNS1_3genE0ELNS1_11target_archE4294967295ELNS1_3gpuE0ELNS1_3repE0EEENS1_30default_config_static_selectorELNS0_4arch9wavefront6targetE0EEEvT1_.kd
    .uniform_work_group_size: 1
    .uses_dynamic_stack: false
    .vgpr_count:     0
    .vgpr_spill_count: 0
    .wavefront_size: 32
    .workgroup_processor_mode: 1
  - .args:
      - .offset:         0
        .size:           32
        .value_kind:     by_value
    .group_segment_fixed_size: 0
    .kernarg_segment_align: 8
    .kernarg_segment_size: 32
    .language:       OpenCL C
    .language_version:
      - 2
      - 0
    .max_flat_workgroup_size: 256
    .name:           _ZN7rocprim17ROCPRIM_400000_NS6detail17trampoline_kernelINS0_14default_configENS1_20scan_config_selectorIN3c104HalfEEEZZNS1_9scan_implILNS1_25lookback_scan_determinismE0ELb0ELb0ES3_PKS6_PS6_S6_ZZZN2at6native31launch_logcumsumexp_cuda_kernelERKNSD_10TensorBaseESH_lENKUlvE_clEvENKUlvE3_clEvEUlS6_S6_E_S6_EEDaPvRmT3_T4_T5_mT6_P12ihipStream_tbENKUlT_T0_E_clISt17integral_constantIbLb1EESY_EEDaST_SU_EUlST_E0_NS1_11comp_targetILNS1_3genE5ELNS1_11target_archE942ELNS1_3gpuE9ELNS1_3repE0EEENS1_30default_config_static_selectorELNS0_4arch9wavefront6targetE0EEEvT1_
    .private_segment_fixed_size: 0
    .sgpr_count:     0
    .sgpr_spill_count: 0
    .symbol:         _ZN7rocprim17ROCPRIM_400000_NS6detail17trampoline_kernelINS0_14default_configENS1_20scan_config_selectorIN3c104HalfEEEZZNS1_9scan_implILNS1_25lookback_scan_determinismE0ELb0ELb0ES3_PKS6_PS6_S6_ZZZN2at6native31launch_logcumsumexp_cuda_kernelERKNSD_10TensorBaseESH_lENKUlvE_clEvENKUlvE3_clEvEUlS6_S6_E_S6_EEDaPvRmT3_T4_T5_mT6_P12ihipStream_tbENKUlT_T0_E_clISt17integral_constantIbLb1EESY_EEDaST_SU_EUlST_E0_NS1_11comp_targetILNS1_3genE5ELNS1_11target_archE942ELNS1_3gpuE9ELNS1_3repE0EEENS1_30default_config_static_selectorELNS0_4arch9wavefront6targetE0EEEvT1_.kd
    .uniform_work_group_size: 1
    .uses_dynamic_stack: false
    .vgpr_count:     0
    .vgpr_spill_count: 0
    .wavefront_size: 32
    .workgroup_processor_mode: 1
  - .args:
      - .offset:         0
        .size:           32
        .value_kind:     by_value
    .group_segment_fixed_size: 0
    .kernarg_segment_align: 8
    .kernarg_segment_size: 32
    .language:       OpenCL C
    .language_version:
      - 2
      - 0
    .max_flat_workgroup_size: 64
    .name:           _ZN7rocprim17ROCPRIM_400000_NS6detail17trampoline_kernelINS0_14default_configENS1_20scan_config_selectorIN3c104HalfEEEZZNS1_9scan_implILNS1_25lookback_scan_determinismE0ELb0ELb0ES3_PKS6_PS6_S6_ZZZN2at6native31launch_logcumsumexp_cuda_kernelERKNSD_10TensorBaseESH_lENKUlvE_clEvENKUlvE3_clEvEUlS6_S6_E_S6_EEDaPvRmT3_T4_T5_mT6_P12ihipStream_tbENKUlT_T0_E_clISt17integral_constantIbLb1EESY_EEDaST_SU_EUlST_E0_NS1_11comp_targetILNS1_3genE4ELNS1_11target_archE910ELNS1_3gpuE8ELNS1_3repE0EEENS1_30default_config_static_selectorELNS0_4arch9wavefront6targetE0EEEvT1_
    .private_segment_fixed_size: 0
    .sgpr_count:     0
    .sgpr_spill_count: 0
    .symbol:         _ZN7rocprim17ROCPRIM_400000_NS6detail17trampoline_kernelINS0_14default_configENS1_20scan_config_selectorIN3c104HalfEEEZZNS1_9scan_implILNS1_25lookback_scan_determinismE0ELb0ELb0ES3_PKS6_PS6_S6_ZZZN2at6native31launch_logcumsumexp_cuda_kernelERKNSD_10TensorBaseESH_lENKUlvE_clEvENKUlvE3_clEvEUlS6_S6_E_S6_EEDaPvRmT3_T4_T5_mT6_P12ihipStream_tbENKUlT_T0_E_clISt17integral_constantIbLb1EESY_EEDaST_SU_EUlST_E0_NS1_11comp_targetILNS1_3genE4ELNS1_11target_archE910ELNS1_3gpuE8ELNS1_3repE0EEENS1_30default_config_static_selectorELNS0_4arch9wavefront6targetE0EEEvT1_.kd
    .uniform_work_group_size: 1
    .uses_dynamic_stack: false
    .vgpr_count:     0
    .vgpr_spill_count: 0
    .wavefront_size: 32
    .workgroup_processor_mode: 1
  - .args:
      - .offset:         0
        .size:           32
        .value_kind:     by_value
    .group_segment_fixed_size: 0
    .kernarg_segment_align: 8
    .kernarg_segment_size: 32
    .language:       OpenCL C
    .language_version:
      - 2
      - 0
    .max_flat_workgroup_size: 128
    .name:           _ZN7rocprim17ROCPRIM_400000_NS6detail17trampoline_kernelINS0_14default_configENS1_20scan_config_selectorIN3c104HalfEEEZZNS1_9scan_implILNS1_25lookback_scan_determinismE0ELb0ELb0ES3_PKS6_PS6_S6_ZZZN2at6native31launch_logcumsumexp_cuda_kernelERKNSD_10TensorBaseESH_lENKUlvE_clEvENKUlvE3_clEvEUlS6_S6_E_S6_EEDaPvRmT3_T4_T5_mT6_P12ihipStream_tbENKUlT_T0_E_clISt17integral_constantIbLb1EESY_EEDaST_SU_EUlST_E0_NS1_11comp_targetILNS1_3genE3ELNS1_11target_archE908ELNS1_3gpuE7ELNS1_3repE0EEENS1_30default_config_static_selectorELNS0_4arch9wavefront6targetE0EEEvT1_
    .private_segment_fixed_size: 0
    .sgpr_count:     0
    .sgpr_spill_count: 0
    .symbol:         _ZN7rocprim17ROCPRIM_400000_NS6detail17trampoline_kernelINS0_14default_configENS1_20scan_config_selectorIN3c104HalfEEEZZNS1_9scan_implILNS1_25lookback_scan_determinismE0ELb0ELb0ES3_PKS6_PS6_S6_ZZZN2at6native31launch_logcumsumexp_cuda_kernelERKNSD_10TensorBaseESH_lENKUlvE_clEvENKUlvE3_clEvEUlS6_S6_E_S6_EEDaPvRmT3_T4_T5_mT6_P12ihipStream_tbENKUlT_T0_E_clISt17integral_constantIbLb1EESY_EEDaST_SU_EUlST_E0_NS1_11comp_targetILNS1_3genE3ELNS1_11target_archE908ELNS1_3gpuE7ELNS1_3repE0EEENS1_30default_config_static_selectorELNS0_4arch9wavefront6targetE0EEEvT1_.kd
    .uniform_work_group_size: 1
    .uses_dynamic_stack: false
    .vgpr_count:     0
    .vgpr_spill_count: 0
    .wavefront_size: 32
    .workgroup_processor_mode: 1
  - .args:
      - .offset:         0
        .size:           32
        .value_kind:     by_value
    .group_segment_fixed_size: 0
    .kernarg_segment_align: 8
    .kernarg_segment_size: 32
    .language:       OpenCL C
    .language_version:
      - 2
      - 0
    .max_flat_workgroup_size: 256
    .name:           _ZN7rocprim17ROCPRIM_400000_NS6detail17trampoline_kernelINS0_14default_configENS1_20scan_config_selectorIN3c104HalfEEEZZNS1_9scan_implILNS1_25lookback_scan_determinismE0ELb0ELb0ES3_PKS6_PS6_S6_ZZZN2at6native31launch_logcumsumexp_cuda_kernelERKNSD_10TensorBaseESH_lENKUlvE_clEvENKUlvE3_clEvEUlS6_S6_E_S6_EEDaPvRmT3_T4_T5_mT6_P12ihipStream_tbENKUlT_T0_E_clISt17integral_constantIbLb1EESY_EEDaST_SU_EUlST_E0_NS1_11comp_targetILNS1_3genE2ELNS1_11target_archE906ELNS1_3gpuE6ELNS1_3repE0EEENS1_30default_config_static_selectorELNS0_4arch9wavefront6targetE0EEEvT1_
    .private_segment_fixed_size: 0
    .sgpr_count:     0
    .sgpr_spill_count: 0
    .symbol:         _ZN7rocprim17ROCPRIM_400000_NS6detail17trampoline_kernelINS0_14default_configENS1_20scan_config_selectorIN3c104HalfEEEZZNS1_9scan_implILNS1_25lookback_scan_determinismE0ELb0ELb0ES3_PKS6_PS6_S6_ZZZN2at6native31launch_logcumsumexp_cuda_kernelERKNSD_10TensorBaseESH_lENKUlvE_clEvENKUlvE3_clEvEUlS6_S6_E_S6_EEDaPvRmT3_T4_T5_mT6_P12ihipStream_tbENKUlT_T0_E_clISt17integral_constantIbLb1EESY_EEDaST_SU_EUlST_E0_NS1_11comp_targetILNS1_3genE2ELNS1_11target_archE906ELNS1_3gpuE6ELNS1_3repE0EEENS1_30default_config_static_selectorELNS0_4arch9wavefront6targetE0EEEvT1_.kd
    .uniform_work_group_size: 1
    .uses_dynamic_stack: false
    .vgpr_count:     0
    .vgpr_spill_count: 0
    .wavefront_size: 32
    .workgroup_processor_mode: 1
  - .args:
      - .offset:         0
        .size:           32
        .value_kind:     by_value
    .group_segment_fixed_size: 0
    .kernarg_segment_align: 8
    .kernarg_segment_size: 32
    .language:       OpenCL C
    .language_version:
      - 2
      - 0
    .max_flat_workgroup_size: 256
    .name:           _ZN7rocprim17ROCPRIM_400000_NS6detail17trampoline_kernelINS0_14default_configENS1_20scan_config_selectorIN3c104HalfEEEZZNS1_9scan_implILNS1_25lookback_scan_determinismE0ELb0ELb0ES3_PKS6_PS6_S6_ZZZN2at6native31launch_logcumsumexp_cuda_kernelERKNSD_10TensorBaseESH_lENKUlvE_clEvENKUlvE3_clEvEUlS6_S6_E_S6_EEDaPvRmT3_T4_T5_mT6_P12ihipStream_tbENKUlT_T0_E_clISt17integral_constantIbLb1EESY_EEDaST_SU_EUlST_E0_NS1_11comp_targetILNS1_3genE10ELNS1_11target_archE1201ELNS1_3gpuE5ELNS1_3repE0EEENS1_30default_config_static_selectorELNS0_4arch9wavefront6targetE0EEEvT1_
    .private_segment_fixed_size: 0
    .sgpr_count:     0
    .sgpr_spill_count: 0
    .symbol:         _ZN7rocprim17ROCPRIM_400000_NS6detail17trampoline_kernelINS0_14default_configENS1_20scan_config_selectorIN3c104HalfEEEZZNS1_9scan_implILNS1_25lookback_scan_determinismE0ELb0ELb0ES3_PKS6_PS6_S6_ZZZN2at6native31launch_logcumsumexp_cuda_kernelERKNSD_10TensorBaseESH_lENKUlvE_clEvENKUlvE3_clEvEUlS6_S6_E_S6_EEDaPvRmT3_T4_T5_mT6_P12ihipStream_tbENKUlT_T0_E_clISt17integral_constantIbLb1EESY_EEDaST_SU_EUlST_E0_NS1_11comp_targetILNS1_3genE10ELNS1_11target_archE1201ELNS1_3gpuE5ELNS1_3repE0EEENS1_30default_config_static_selectorELNS0_4arch9wavefront6targetE0EEEvT1_.kd
    .uniform_work_group_size: 1
    .uses_dynamic_stack: false
    .vgpr_count:     0
    .vgpr_spill_count: 0
    .wavefront_size: 32
    .workgroup_processor_mode: 1
  - .args:
      - .offset:         0
        .size:           32
        .value_kind:     by_value
    .group_segment_fixed_size: 0
    .kernarg_segment_align: 8
    .kernarg_segment_size: 32
    .language:       OpenCL C
    .language_version:
      - 2
      - 0
    .max_flat_workgroup_size: 256
    .name:           _ZN7rocprim17ROCPRIM_400000_NS6detail17trampoline_kernelINS0_14default_configENS1_20scan_config_selectorIN3c104HalfEEEZZNS1_9scan_implILNS1_25lookback_scan_determinismE0ELb0ELb0ES3_PKS6_PS6_S6_ZZZN2at6native31launch_logcumsumexp_cuda_kernelERKNSD_10TensorBaseESH_lENKUlvE_clEvENKUlvE3_clEvEUlS6_S6_E_S6_EEDaPvRmT3_T4_T5_mT6_P12ihipStream_tbENKUlT_T0_E_clISt17integral_constantIbLb1EESY_EEDaST_SU_EUlST_E0_NS1_11comp_targetILNS1_3genE10ELNS1_11target_archE1200ELNS1_3gpuE4ELNS1_3repE0EEENS1_30default_config_static_selectorELNS0_4arch9wavefront6targetE0EEEvT1_
    .private_segment_fixed_size: 0
    .sgpr_count:     0
    .sgpr_spill_count: 0
    .symbol:         _ZN7rocprim17ROCPRIM_400000_NS6detail17trampoline_kernelINS0_14default_configENS1_20scan_config_selectorIN3c104HalfEEEZZNS1_9scan_implILNS1_25lookback_scan_determinismE0ELb0ELb0ES3_PKS6_PS6_S6_ZZZN2at6native31launch_logcumsumexp_cuda_kernelERKNSD_10TensorBaseESH_lENKUlvE_clEvENKUlvE3_clEvEUlS6_S6_E_S6_EEDaPvRmT3_T4_T5_mT6_P12ihipStream_tbENKUlT_T0_E_clISt17integral_constantIbLb1EESY_EEDaST_SU_EUlST_E0_NS1_11comp_targetILNS1_3genE10ELNS1_11target_archE1200ELNS1_3gpuE4ELNS1_3repE0EEENS1_30default_config_static_selectorELNS0_4arch9wavefront6targetE0EEEvT1_.kd
    .uniform_work_group_size: 1
    .uses_dynamic_stack: false
    .vgpr_count:     0
    .vgpr_spill_count: 0
    .wavefront_size: 32
    .workgroup_processor_mode: 1
  - .args:
      - .offset:         0
        .size:           32
        .value_kind:     by_value
    .group_segment_fixed_size: 2816
    .kernarg_segment_align: 8
    .kernarg_segment_size: 32
    .language:       OpenCL C
    .language_version:
      - 2
      - 0
    .max_flat_workgroup_size: 64
    .name:           _ZN7rocprim17ROCPRIM_400000_NS6detail17trampoline_kernelINS0_14default_configENS1_20scan_config_selectorIN3c104HalfEEEZZNS1_9scan_implILNS1_25lookback_scan_determinismE0ELb0ELb0ES3_PKS6_PS6_S6_ZZZN2at6native31launch_logcumsumexp_cuda_kernelERKNSD_10TensorBaseESH_lENKUlvE_clEvENKUlvE3_clEvEUlS6_S6_E_S6_EEDaPvRmT3_T4_T5_mT6_P12ihipStream_tbENKUlT_T0_E_clISt17integral_constantIbLb1EESY_EEDaST_SU_EUlST_E0_NS1_11comp_targetILNS1_3genE9ELNS1_11target_archE1100ELNS1_3gpuE3ELNS1_3repE0EEENS1_30default_config_static_selectorELNS0_4arch9wavefront6targetE0EEEvT1_
    .private_segment_fixed_size: 0
    .sgpr_count:     54
    .sgpr_spill_count: 0
    .symbol:         _ZN7rocprim17ROCPRIM_400000_NS6detail17trampoline_kernelINS0_14default_configENS1_20scan_config_selectorIN3c104HalfEEEZZNS1_9scan_implILNS1_25lookback_scan_determinismE0ELb0ELb0ES3_PKS6_PS6_S6_ZZZN2at6native31launch_logcumsumexp_cuda_kernelERKNSD_10TensorBaseESH_lENKUlvE_clEvENKUlvE3_clEvEUlS6_S6_E_S6_EEDaPvRmT3_T4_T5_mT6_P12ihipStream_tbENKUlT_T0_E_clISt17integral_constantIbLb1EESY_EEDaST_SU_EUlST_E0_NS1_11comp_targetILNS1_3genE9ELNS1_11target_archE1100ELNS1_3gpuE3ELNS1_3repE0EEENS1_30default_config_static_selectorELNS0_4arch9wavefront6targetE0EEEvT1_.kd
    .uniform_work_group_size: 1
    .uses_dynamic_stack: false
    .vgpr_count:     47
    .vgpr_spill_count: 0
    .wavefront_size: 32
    .workgroup_processor_mode: 1
  - .args:
      - .offset:         0
        .size:           32
        .value_kind:     by_value
    .group_segment_fixed_size: 0
    .kernarg_segment_align: 8
    .kernarg_segment_size: 32
    .language:       OpenCL C
    .language_version:
      - 2
      - 0
    .max_flat_workgroup_size: 64
    .name:           _ZN7rocprim17ROCPRIM_400000_NS6detail17trampoline_kernelINS0_14default_configENS1_20scan_config_selectorIN3c104HalfEEEZZNS1_9scan_implILNS1_25lookback_scan_determinismE0ELb0ELb0ES3_PKS6_PS6_S6_ZZZN2at6native31launch_logcumsumexp_cuda_kernelERKNSD_10TensorBaseESH_lENKUlvE_clEvENKUlvE3_clEvEUlS6_S6_E_S6_EEDaPvRmT3_T4_T5_mT6_P12ihipStream_tbENKUlT_T0_E_clISt17integral_constantIbLb1EESY_EEDaST_SU_EUlST_E0_NS1_11comp_targetILNS1_3genE8ELNS1_11target_archE1030ELNS1_3gpuE2ELNS1_3repE0EEENS1_30default_config_static_selectorELNS0_4arch9wavefront6targetE0EEEvT1_
    .private_segment_fixed_size: 0
    .sgpr_count:     0
    .sgpr_spill_count: 0
    .symbol:         _ZN7rocprim17ROCPRIM_400000_NS6detail17trampoline_kernelINS0_14default_configENS1_20scan_config_selectorIN3c104HalfEEEZZNS1_9scan_implILNS1_25lookback_scan_determinismE0ELb0ELb0ES3_PKS6_PS6_S6_ZZZN2at6native31launch_logcumsumexp_cuda_kernelERKNSD_10TensorBaseESH_lENKUlvE_clEvENKUlvE3_clEvEUlS6_S6_E_S6_EEDaPvRmT3_T4_T5_mT6_P12ihipStream_tbENKUlT_T0_E_clISt17integral_constantIbLb1EESY_EEDaST_SU_EUlST_E0_NS1_11comp_targetILNS1_3genE8ELNS1_11target_archE1030ELNS1_3gpuE2ELNS1_3repE0EEENS1_30default_config_static_selectorELNS0_4arch9wavefront6targetE0EEEvT1_.kd
    .uniform_work_group_size: 1
    .uses_dynamic_stack: false
    .vgpr_count:     0
    .vgpr_spill_count: 0
    .wavefront_size: 32
    .workgroup_processor_mode: 1
  - .args:
      - .address_space:  global
        .offset:         0
        .size:           8
        .value_kind:     global_buffer
      - .offset:         8
        .size:           4
        .value_kind:     by_value
      - .offset:         12
        .size:           1
        .value_kind:     by_value
      - .offset:         16
        .size:           4
        .value_kind:     by_value
      - .address_space:  global
        .offset:         24
        .size:           8
        .value_kind:     global_buffer
      - .offset:         32
        .size:           4
        .value_kind:     hidden_block_count_x
      - .offset:         36
        .size:           4
        .value_kind:     hidden_block_count_y
      - .offset:         40
        .size:           4
        .value_kind:     hidden_block_count_z
      - .offset:         44
        .size:           2
        .value_kind:     hidden_group_size_x
      - .offset:         46
        .size:           2
        .value_kind:     hidden_group_size_y
      - .offset:         48
        .size:           2
        .value_kind:     hidden_group_size_z
      - .offset:         50
        .size:           2
        .value_kind:     hidden_remainder_x
      - .offset:         52
        .size:           2
        .value_kind:     hidden_remainder_y
      - .offset:         54
        .size:           2
        .value_kind:     hidden_remainder_z
      - .offset:         72
        .size:           8
        .value_kind:     hidden_global_offset_x
      - .offset:         80
        .size:           8
        .value_kind:     hidden_global_offset_y
      - .offset:         88
        .size:           8
        .value_kind:     hidden_global_offset_z
      - .offset:         96
        .size:           2
        .value_kind:     hidden_grid_dims
    .group_segment_fixed_size: 0
    .kernarg_segment_align: 8
    .kernarg_segment_size: 288
    .language:       OpenCL C
    .language_version:
      - 2
      - 0
    .max_flat_workgroup_size: 256
    .name:           _ZN7rocprim17ROCPRIM_400000_NS6detail31init_lookback_scan_state_kernelINS1_19lookback_scan_stateIN3c104HalfELb1ELb1EEENS1_16block_id_wrapperIjLb0EEEEEvT_jT0_jPNS9_10value_typeE
    .private_segment_fixed_size: 0
    .sgpr_count:     18
    .sgpr_spill_count: 0
    .symbol:         _ZN7rocprim17ROCPRIM_400000_NS6detail31init_lookback_scan_state_kernelINS1_19lookback_scan_stateIN3c104HalfELb1ELb1EEENS1_16block_id_wrapperIjLb0EEEEEvT_jT0_jPNS9_10value_typeE.kd
    .uniform_work_group_size: 1
    .uses_dynamic_stack: false
    .vgpr_count:     6
    .vgpr_spill_count: 0
    .wavefront_size: 32
    .workgroup_processor_mode: 1
  - .args:
      - .offset:         0
        .size:           96
        .value_kind:     by_value
    .group_segment_fixed_size: 0
    .kernarg_segment_align: 8
    .kernarg_segment_size: 96
    .language:       OpenCL C
    .language_version:
      - 2
      - 0
    .max_flat_workgroup_size: 128
    .name:           _ZN7rocprim17ROCPRIM_400000_NS6detail17trampoline_kernelINS0_14default_configENS1_20scan_config_selectorIN3c104HalfEEEZZNS1_9scan_implILNS1_25lookback_scan_determinismE0ELb0ELb0ES3_PKS6_PS6_S6_ZZZN2at6native31launch_logcumsumexp_cuda_kernelERKNSD_10TensorBaseESH_lENKUlvE_clEvENKUlvE3_clEvEUlS6_S6_E_S6_EEDaPvRmT3_T4_T5_mT6_P12ihipStream_tbENKUlT_T0_E_clISt17integral_constantIbLb1EESX_IbLb0EEEEDaST_SU_EUlST_E_NS1_11comp_targetILNS1_3genE0ELNS1_11target_archE4294967295ELNS1_3gpuE0ELNS1_3repE0EEENS1_30default_config_static_selectorELNS0_4arch9wavefront6targetE0EEEvT1_
    .private_segment_fixed_size: 0
    .sgpr_count:     0
    .sgpr_spill_count: 0
    .symbol:         _ZN7rocprim17ROCPRIM_400000_NS6detail17trampoline_kernelINS0_14default_configENS1_20scan_config_selectorIN3c104HalfEEEZZNS1_9scan_implILNS1_25lookback_scan_determinismE0ELb0ELb0ES3_PKS6_PS6_S6_ZZZN2at6native31launch_logcumsumexp_cuda_kernelERKNSD_10TensorBaseESH_lENKUlvE_clEvENKUlvE3_clEvEUlS6_S6_E_S6_EEDaPvRmT3_T4_T5_mT6_P12ihipStream_tbENKUlT_T0_E_clISt17integral_constantIbLb1EESX_IbLb0EEEEDaST_SU_EUlST_E_NS1_11comp_targetILNS1_3genE0ELNS1_11target_archE4294967295ELNS1_3gpuE0ELNS1_3repE0EEENS1_30default_config_static_selectorELNS0_4arch9wavefront6targetE0EEEvT1_.kd
    .uniform_work_group_size: 1
    .uses_dynamic_stack: false
    .vgpr_count:     0
    .vgpr_spill_count: 0
    .wavefront_size: 32
    .workgroup_processor_mode: 1
  - .args:
      - .offset:         0
        .size:           96
        .value_kind:     by_value
    .group_segment_fixed_size: 0
    .kernarg_segment_align: 8
    .kernarg_segment_size: 96
    .language:       OpenCL C
    .language_version:
      - 2
      - 0
    .max_flat_workgroup_size: 256
    .name:           _ZN7rocprim17ROCPRIM_400000_NS6detail17trampoline_kernelINS0_14default_configENS1_20scan_config_selectorIN3c104HalfEEEZZNS1_9scan_implILNS1_25lookback_scan_determinismE0ELb0ELb0ES3_PKS6_PS6_S6_ZZZN2at6native31launch_logcumsumexp_cuda_kernelERKNSD_10TensorBaseESH_lENKUlvE_clEvENKUlvE3_clEvEUlS6_S6_E_S6_EEDaPvRmT3_T4_T5_mT6_P12ihipStream_tbENKUlT_T0_E_clISt17integral_constantIbLb1EESX_IbLb0EEEEDaST_SU_EUlST_E_NS1_11comp_targetILNS1_3genE5ELNS1_11target_archE942ELNS1_3gpuE9ELNS1_3repE0EEENS1_30default_config_static_selectorELNS0_4arch9wavefront6targetE0EEEvT1_
    .private_segment_fixed_size: 0
    .sgpr_count:     0
    .sgpr_spill_count: 0
    .symbol:         _ZN7rocprim17ROCPRIM_400000_NS6detail17trampoline_kernelINS0_14default_configENS1_20scan_config_selectorIN3c104HalfEEEZZNS1_9scan_implILNS1_25lookback_scan_determinismE0ELb0ELb0ES3_PKS6_PS6_S6_ZZZN2at6native31launch_logcumsumexp_cuda_kernelERKNSD_10TensorBaseESH_lENKUlvE_clEvENKUlvE3_clEvEUlS6_S6_E_S6_EEDaPvRmT3_T4_T5_mT6_P12ihipStream_tbENKUlT_T0_E_clISt17integral_constantIbLb1EESX_IbLb0EEEEDaST_SU_EUlST_E_NS1_11comp_targetILNS1_3genE5ELNS1_11target_archE942ELNS1_3gpuE9ELNS1_3repE0EEENS1_30default_config_static_selectorELNS0_4arch9wavefront6targetE0EEEvT1_.kd
    .uniform_work_group_size: 1
    .uses_dynamic_stack: false
    .vgpr_count:     0
    .vgpr_spill_count: 0
    .wavefront_size: 32
    .workgroup_processor_mode: 1
  - .args:
      - .offset:         0
        .size:           96
        .value_kind:     by_value
    .group_segment_fixed_size: 0
    .kernarg_segment_align: 8
    .kernarg_segment_size: 96
    .language:       OpenCL C
    .language_version:
      - 2
      - 0
    .max_flat_workgroup_size: 64
    .name:           _ZN7rocprim17ROCPRIM_400000_NS6detail17trampoline_kernelINS0_14default_configENS1_20scan_config_selectorIN3c104HalfEEEZZNS1_9scan_implILNS1_25lookback_scan_determinismE0ELb0ELb0ES3_PKS6_PS6_S6_ZZZN2at6native31launch_logcumsumexp_cuda_kernelERKNSD_10TensorBaseESH_lENKUlvE_clEvENKUlvE3_clEvEUlS6_S6_E_S6_EEDaPvRmT3_T4_T5_mT6_P12ihipStream_tbENKUlT_T0_E_clISt17integral_constantIbLb1EESX_IbLb0EEEEDaST_SU_EUlST_E_NS1_11comp_targetILNS1_3genE4ELNS1_11target_archE910ELNS1_3gpuE8ELNS1_3repE0EEENS1_30default_config_static_selectorELNS0_4arch9wavefront6targetE0EEEvT1_
    .private_segment_fixed_size: 0
    .sgpr_count:     0
    .sgpr_spill_count: 0
    .symbol:         _ZN7rocprim17ROCPRIM_400000_NS6detail17trampoline_kernelINS0_14default_configENS1_20scan_config_selectorIN3c104HalfEEEZZNS1_9scan_implILNS1_25lookback_scan_determinismE0ELb0ELb0ES3_PKS6_PS6_S6_ZZZN2at6native31launch_logcumsumexp_cuda_kernelERKNSD_10TensorBaseESH_lENKUlvE_clEvENKUlvE3_clEvEUlS6_S6_E_S6_EEDaPvRmT3_T4_T5_mT6_P12ihipStream_tbENKUlT_T0_E_clISt17integral_constantIbLb1EESX_IbLb0EEEEDaST_SU_EUlST_E_NS1_11comp_targetILNS1_3genE4ELNS1_11target_archE910ELNS1_3gpuE8ELNS1_3repE0EEENS1_30default_config_static_selectorELNS0_4arch9wavefront6targetE0EEEvT1_.kd
    .uniform_work_group_size: 1
    .uses_dynamic_stack: false
    .vgpr_count:     0
    .vgpr_spill_count: 0
    .wavefront_size: 32
    .workgroup_processor_mode: 1
  - .args:
      - .offset:         0
        .size:           96
        .value_kind:     by_value
    .group_segment_fixed_size: 0
    .kernarg_segment_align: 8
    .kernarg_segment_size: 96
    .language:       OpenCL C
    .language_version:
      - 2
      - 0
    .max_flat_workgroup_size: 128
    .name:           _ZN7rocprim17ROCPRIM_400000_NS6detail17trampoline_kernelINS0_14default_configENS1_20scan_config_selectorIN3c104HalfEEEZZNS1_9scan_implILNS1_25lookback_scan_determinismE0ELb0ELb0ES3_PKS6_PS6_S6_ZZZN2at6native31launch_logcumsumexp_cuda_kernelERKNSD_10TensorBaseESH_lENKUlvE_clEvENKUlvE3_clEvEUlS6_S6_E_S6_EEDaPvRmT3_T4_T5_mT6_P12ihipStream_tbENKUlT_T0_E_clISt17integral_constantIbLb1EESX_IbLb0EEEEDaST_SU_EUlST_E_NS1_11comp_targetILNS1_3genE3ELNS1_11target_archE908ELNS1_3gpuE7ELNS1_3repE0EEENS1_30default_config_static_selectorELNS0_4arch9wavefront6targetE0EEEvT1_
    .private_segment_fixed_size: 0
    .sgpr_count:     0
    .sgpr_spill_count: 0
    .symbol:         _ZN7rocprim17ROCPRIM_400000_NS6detail17trampoline_kernelINS0_14default_configENS1_20scan_config_selectorIN3c104HalfEEEZZNS1_9scan_implILNS1_25lookback_scan_determinismE0ELb0ELb0ES3_PKS6_PS6_S6_ZZZN2at6native31launch_logcumsumexp_cuda_kernelERKNSD_10TensorBaseESH_lENKUlvE_clEvENKUlvE3_clEvEUlS6_S6_E_S6_EEDaPvRmT3_T4_T5_mT6_P12ihipStream_tbENKUlT_T0_E_clISt17integral_constantIbLb1EESX_IbLb0EEEEDaST_SU_EUlST_E_NS1_11comp_targetILNS1_3genE3ELNS1_11target_archE908ELNS1_3gpuE7ELNS1_3repE0EEENS1_30default_config_static_selectorELNS0_4arch9wavefront6targetE0EEEvT1_.kd
    .uniform_work_group_size: 1
    .uses_dynamic_stack: false
    .vgpr_count:     0
    .vgpr_spill_count: 0
    .wavefront_size: 32
    .workgroup_processor_mode: 1
  - .args:
      - .offset:         0
        .size:           96
        .value_kind:     by_value
    .group_segment_fixed_size: 0
    .kernarg_segment_align: 8
    .kernarg_segment_size: 96
    .language:       OpenCL C
    .language_version:
      - 2
      - 0
    .max_flat_workgroup_size: 256
    .name:           _ZN7rocprim17ROCPRIM_400000_NS6detail17trampoline_kernelINS0_14default_configENS1_20scan_config_selectorIN3c104HalfEEEZZNS1_9scan_implILNS1_25lookback_scan_determinismE0ELb0ELb0ES3_PKS6_PS6_S6_ZZZN2at6native31launch_logcumsumexp_cuda_kernelERKNSD_10TensorBaseESH_lENKUlvE_clEvENKUlvE3_clEvEUlS6_S6_E_S6_EEDaPvRmT3_T4_T5_mT6_P12ihipStream_tbENKUlT_T0_E_clISt17integral_constantIbLb1EESX_IbLb0EEEEDaST_SU_EUlST_E_NS1_11comp_targetILNS1_3genE2ELNS1_11target_archE906ELNS1_3gpuE6ELNS1_3repE0EEENS1_30default_config_static_selectorELNS0_4arch9wavefront6targetE0EEEvT1_
    .private_segment_fixed_size: 0
    .sgpr_count:     0
    .sgpr_spill_count: 0
    .symbol:         _ZN7rocprim17ROCPRIM_400000_NS6detail17trampoline_kernelINS0_14default_configENS1_20scan_config_selectorIN3c104HalfEEEZZNS1_9scan_implILNS1_25lookback_scan_determinismE0ELb0ELb0ES3_PKS6_PS6_S6_ZZZN2at6native31launch_logcumsumexp_cuda_kernelERKNSD_10TensorBaseESH_lENKUlvE_clEvENKUlvE3_clEvEUlS6_S6_E_S6_EEDaPvRmT3_T4_T5_mT6_P12ihipStream_tbENKUlT_T0_E_clISt17integral_constantIbLb1EESX_IbLb0EEEEDaST_SU_EUlST_E_NS1_11comp_targetILNS1_3genE2ELNS1_11target_archE906ELNS1_3gpuE6ELNS1_3repE0EEENS1_30default_config_static_selectorELNS0_4arch9wavefront6targetE0EEEvT1_.kd
    .uniform_work_group_size: 1
    .uses_dynamic_stack: false
    .vgpr_count:     0
    .vgpr_spill_count: 0
    .wavefront_size: 32
    .workgroup_processor_mode: 1
  - .args:
      - .offset:         0
        .size:           96
        .value_kind:     by_value
    .group_segment_fixed_size: 0
    .kernarg_segment_align: 8
    .kernarg_segment_size: 96
    .language:       OpenCL C
    .language_version:
      - 2
      - 0
    .max_flat_workgroup_size: 256
    .name:           _ZN7rocprim17ROCPRIM_400000_NS6detail17trampoline_kernelINS0_14default_configENS1_20scan_config_selectorIN3c104HalfEEEZZNS1_9scan_implILNS1_25lookback_scan_determinismE0ELb0ELb0ES3_PKS6_PS6_S6_ZZZN2at6native31launch_logcumsumexp_cuda_kernelERKNSD_10TensorBaseESH_lENKUlvE_clEvENKUlvE3_clEvEUlS6_S6_E_S6_EEDaPvRmT3_T4_T5_mT6_P12ihipStream_tbENKUlT_T0_E_clISt17integral_constantIbLb1EESX_IbLb0EEEEDaST_SU_EUlST_E_NS1_11comp_targetILNS1_3genE10ELNS1_11target_archE1201ELNS1_3gpuE5ELNS1_3repE0EEENS1_30default_config_static_selectorELNS0_4arch9wavefront6targetE0EEEvT1_
    .private_segment_fixed_size: 0
    .sgpr_count:     0
    .sgpr_spill_count: 0
    .symbol:         _ZN7rocprim17ROCPRIM_400000_NS6detail17trampoline_kernelINS0_14default_configENS1_20scan_config_selectorIN3c104HalfEEEZZNS1_9scan_implILNS1_25lookback_scan_determinismE0ELb0ELb0ES3_PKS6_PS6_S6_ZZZN2at6native31launch_logcumsumexp_cuda_kernelERKNSD_10TensorBaseESH_lENKUlvE_clEvENKUlvE3_clEvEUlS6_S6_E_S6_EEDaPvRmT3_T4_T5_mT6_P12ihipStream_tbENKUlT_T0_E_clISt17integral_constantIbLb1EESX_IbLb0EEEEDaST_SU_EUlST_E_NS1_11comp_targetILNS1_3genE10ELNS1_11target_archE1201ELNS1_3gpuE5ELNS1_3repE0EEENS1_30default_config_static_selectorELNS0_4arch9wavefront6targetE0EEEvT1_.kd
    .uniform_work_group_size: 1
    .uses_dynamic_stack: false
    .vgpr_count:     0
    .vgpr_spill_count: 0
    .wavefront_size: 32
    .workgroup_processor_mode: 1
  - .args:
      - .offset:         0
        .size:           96
        .value_kind:     by_value
    .group_segment_fixed_size: 0
    .kernarg_segment_align: 8
    .kernarg_segment_size: 96
    .language:       OpenCL C
    .language_version:
      - 2
      - 0
    .max_flat_workgroup_size: 256
    .name:           _ZN7rocprim17ROCPRIM_400000_NS6detail17trampoline_kernelINS0_14default_configENS1_20scan_config_selectorIN3c104HalfEEEZZNS1_9scan_implILNS1_25lookback_scan_determinismE0ELb0ELb0ES3_PKS6_PS6_S6_ZZZN2at6native31launch_logcumsumexp_cuda_kernelERKNSD_10TensorBaseESH_lENKUlvE_clEvENKUlvE3_clEvEUlS6_S6_E_S6_EEDaPvRmT3_T4_T5_mT6_P12ihipStream_tbENKUlT_T0_E_clISt17integral_constantIbLb1EESX_IbLb0EEEEDaST_SU_EUlST_E_NS1_11comp_targetILNS1_3genE10ELNS1_11target_archE1200ELNS1_3gpuE4ELNS1_3repE0EEENS1_30default_config_static_selectorELNS0_4arch9wavefront6targetE0EEEvT1_
    .private_segment_fixed_size: 0
    .sgpr_count:     0
    .sgpr_spill_count: 0
    .symbol:         _ZN7rocprim17ROCPRIM_400000_NS6detail17trampoline_kernelINS0_14default_configENS1_20scan_config_selectorIN3c104HalfEEEZZNS1_9scan_implILNS1_25lookback_scan_determinismE0ELb0ELb0ES3_PKS6_PS6_S6_ZZZN2at6native31launch_logcumsumexp_cuda_kernelERKNSD_10TensorBaseESH_lENKUlvE_clEvENKUlvE3_clEvEUlS6_S6_E_S6_EEDaPvRmT3_T4_T5_mT6_P12ihipStream_tbENKUlT_T0_E_clISt17integral_constantIbLb1EESX_IbLb0EEEEDaST_SU_EUlST_E_NS1_11comp_targetILNS1_3genE10ELNS1_11target_archE1200ELNS1_3gpuE4ELNS1_3repE0EEENS1_30default_config_static_selectorELNS0_4arch9wavefront6targetE0EEEvT1_.kd
    .uniform_work_group_size: 1
    .uses_dynamic_stack: false
    .vgpr_count:     0
    .vgpr_spill_count: 0
    .wavefront_size: 32
    .workgroup_processor_mode: 1
  - .args:
      - .offset:         0
        .size:           96
        .value_kind:     by_value
      - .offset:         96
        .size:           4
        .value_kind:     hidden_block_count_x
      - .offset:         100
        .size:           4
        .value_kind:     hidden_block_count_y
      - .offset:         104
        .size:           4
        .value_kind:     hidden_block_count_z
      - .offset:         108
        .size:           2
        .value_kind:     hidden_group_size_x
      - .offset:         110
        .size:           2
        .value_kind:     hidden_group_size_y
      - .offset:         112
        .size:           2
        .value_kind:     hidden_group_size_z
      - .offset:         114
        .size:           2
        .value_kind:     hidden_remainder_x
      - .offset:         116
        .size:           2
        .value_kind:     hidden_remainder_y
      - .offset:         118
        .size:           2
        .value_kind:     hidden_remainder_z
      - .offset:         136
        .size:           8
        .value_kind:     hidden_global_offset_x
      - .offset:         144
        .size:           8
        .value_kind:     hidden_global_offset_y
      - .offset:         152
        .size:           8
        .value_kind:     hidden_global_offset_z
      - .offset:         160
        .size:           2
        .value_kind:     hidden_grid_dims
    .group_segment_fixed_size: 2816
    .kernarg_segment_align: 8
    .kernarg_segment_size: 352
    .language:       OpenCL C
    .language_version:
      - 2
      - 0
    .max_flat_workgroup_size: 64
    .name:           _ZN7rocprim17ROCPRIM_400000_NS6detail17trampoline_kernelINS0_14default_configENS1_20scan_config_selectorIN3c104HalfEEEZZNS1_9scan_implILNS1_25lookback_scan_determinismE0ELb0ELb0ES3_PKS6_PS6_S6_ZZZN2at6native31launch_logcumsumexp_cuda_kernelERKNSD_10TensorBaseESH_lENKUlvE_clEvENKUlvE3_clEvEUlS6_S6_E_S6_EEDaPvRmT3_T4_T5_mT6_P12ihipStream_tbENKUlT_T0_E_clISt17integral_constantIbLb1EESX_IbLb0EEEEDaST_SU_EUlST_E_NS1_11comp_targetILNS1_3genE9ELNS1_11target_archE1100ELNS1_3gpuE3ELNS1_3repE0EEENS1_30default_config_static_selectorELNS0_4arch9wavefront6targetE0EEEvT1_
    .private_segment_fixed_size: 120
    .sgpr_count:     46
    .sgpr_spill_count: 0
    .symbol:         _ZN7rocprim17ROCPRIM_400000_NS6detail17trampoline_kernelINS0_14default_configENS1_20scan_config_selectorIN3c104HalfEEEZZNS1_9scan_implILNS1_25lookback_scan_determinismE0ELb0ELb0ES3_PKS6_PS6_S6_ZZZN2at6native31launch_logcumsumexp_cuda_kernelERKNSD_10TensorBaseESH_lENKUlvE_clEvENKUlvE3_clEvEUlS6_S6_E_S6_EEDaPvRmT3_T4_T5_mT6_P12ihipStream_tbENKUlT_T0_E_clISt17integral_constantIbLb1EESX_IbLb0EEEEDaST_SU_EUlST_E_NS1_11comp_targetILNS1_3genE9ELNS1_11target_archE1100ELNS1_3gpuE3ELNS1_3repE0EEENS1_30default_config_static_selectorELNS0_4arch9wavefront6targetE0EEEvT1_.kd
    .uniform_work_group_size: 1
    .uses_dynamic_stack: false
    .vgpr_count:     151
    .vgpr_spill_count: 0
    .wavefront_size: 32
    .workgroup_processor_mode: 1
  - .args:
      - .offset:         0
        .size:           96
        .value_kind:     by_value
    .group_segment_fixed_size: 0
    .kernarg_segment_align: 8
    .kernarg_segment_size: 96
    .language:       OpenCL C
    .language_version:
      - 2
      - 0
    .max_flat_workgroup_size: 64
    .name:           _ZN7rocprim17ROCPRIM_400000_NS6detail17trampoline_kernelINS0_14default_configENS1_20scan_config_selectorIN3c104HalfEEEZZNS1_9scan_implILNS1_25lookback_scan_determinismE0ELb0ELb0ES3_PKS6_PS6_S6_ZZZN2at6native31launch_logcumsumexp_cuda_kernelERKNSD_10TensorBaseESH_lENKUlvE_clEvENKUlvE3_clEvEUlS6_S6_E_S6_EEDaPvRmT3_T4_T5_mT6_P12ihipStream_tbENKUlT_T0_E_clISt17integral_constantIbLb1EESX_IbLb0EEEEDaST_SU_EUlST_E_NS1_11comp_targetILNS1_3genE8ELNS1_11target_archE1030ELNS1_3gpuE2ELNS1_3repE0EEENS1_30default_config_static_selectorELNS0_4arch9wavefront6targetE0EEEvT1_
    .private_segment_fixed_size: 0
    .sgpr_count:     0
    .sgpr_spill_count: 0
    .symbol:         _ZN7rocprim17ROCPRIM_400000_NS6detail17trampoline_kernelINS0_14default_configENS1_20scan_config_selectorIN3c104HalfEEEZZNS1_9scan_implILNS1_25lookback_scan_determinismE0ELb0ELb0ES3_PKS6_PS6_S6_ZZZN2at6native31launch_logcumsumexp_cuda_kernelERKNSD_10TensorBaseESH_lENKUlvE_clEvENKUlvE3_clEvEUlS6_S6_E_S6_EEDaPvRmT3_T4_T5_mT6_P12ihipStream_tbENKUlT_T0_E_clISt17integral_constantIbLb1EESX_IbLb0EEEEDaST_SU_EUlST_E_NS1_11comp_targetILNS1_3genE8ELNS1_11target_archE1030ELNS1_3gpuE2ELNS1_3repE0EEENS1_30default_config_static_selectorELNS0_4arch9wavefront6targetE0EEEvT1_.kd
    .uniform_work_group_size: 1
    .uses_dynamic_stack: false
    .vgpr_count:     0
    .vgpr_spill_count: 0
    .wavefront_size: 32
    .workgroup_processor_mode: 1
  - .args:
      - .offset:         0
        .size:           32
        .value_kind:     by_value
    .group_segment_fixed_size: 0
    .kernarg_segment_align: 8
    .kernarg_segment_size: 32
    .language:       OpenCL C
    .language_version:
      - 2
      - 0
    .max_flat_workgroup_size: 128
    .name:           _ZN7rocprim17ROCPRIM_400000_NS6detail17trampoline_kernelINS0_14default_configENS1_20scan_config_selectorIN3c104HalfEEEZZNS1_9scan_implILNS1_25lookback_scan_determinismE0ELb0ELb0ES3_PKS6_PS6_S6_ZZZN2at6native31launch_logcumsumexp_cuda_kernelERKNSD_10TensorBaseESH_lENKUlvE_clEvENKUlvE3_clEvEUlS6_S6_E_S6_EEDaPvRmT3_T4_T5_mT6_P12ihipStream_tbENKUlT_T0_E_clISt17integral_constantIbLb1EESX_IbLb0EEEEDaST_SU_EUlST_E0_NS1_11comp_targetILNS1_3genE0ELNS1_11target_archE4294967295ELNS1_3gpuE0ELNS1_3repE0EEENS1_30default_config_static_selectorELNS0_4arch9wavefront6targetE0EEEvT1_
    .private_segment_fixed_size: 0
    .sgpr_count:     0
    .sgpr_spill_count: 0
    .symbol:         _ZN7rocprim17ROCPRIM_400000_NS6detail17trampoline_kernelINS0_14default_configENS1_20scan_config_selectorIN3c104HalfEEEZZNS1_9scan_implILNS1_25lookback_scan_determinismE0ELb0ELb0ES3_PKS6_PS6_S6_ZZZN2at6native31launch_logcumsumexp_cuda_kernelERKNSD_10TensorBaseESH_lENKUlvE_clEvENKUlvE3_clEvEUlS6_S6_E_S6_EEDaPvRmT3_T4_T5_mT6_P12ihipStream_tbENKUlT_T0_E_clISt17integral_constantIbLb1EESX_IbLb0EEEEDaST_SU_EUlST_E0_NS1_11comp_targetILNS1_3genE0ELNS1_11target_archE4294967295ELNS1_3gpuE0ELNS1_3repE0EEENS1_30default_config_static_selectorELNS0_4arch9wavefront6targetE0EEEvT1_.kd
    .uniform_work_group_size: 1
    .uses_dynamic_stack: false
    .vgpr_count:     0
    .vgpr_spill_count: 0
    .wavefront_size: 32
    .workgroup_processor_mode: 1
  - .args:
      - .offset:         0
        .size:           32
        .value_kind:     by_value
    .group_segment_fixed_size: 0
    .kernarg_segment_align: 8
    .kernarg_segment_size: 32
    .language:       OpenCL C
    .language_version:
      - 2
      - 0
    .max_flat_workgroup_size: 256
    .name:           _ZN7rocprim17ROCPRIM_400000_NS6detail17trampoline_kernelINS0_14default_configENS1_20scan_config_selectorIN3c104HalfEEEZZNS1_9scan_implILNS1_25lookback_scan_determinismE0ELb0ELb0ES3_PKS6_PS6_S6_ZZZN2at6native31launch_logcumsumexp_cuda_kernelERKNSD_10TensorBaseESH_lENKUlvE_clEvENKUlvE3_clEvEUlS6_S6_E_S6_EEDaPvRmT3_T4_T5_mT6_P12ihipStream_tbENKUlT_T0_E_clISt17integral_constantIbLb1EESX_IbLb0EEEEDaST_SU_EUlST_E0_NS1_11comp_targetILNS1_3genE5ELNS1_11target_archE942ELNS1_3gpuE9ELNS1_3repE0EEENS1_30default_config_static_selectorELNS0_4arch9wavefront6targetE0EEEvT1_
    .private_segment_fixed_size: 0
    .sgpr_count:     0
    .sgpr_spill_count: 0
    .symbol:         _ZN7rocprim17ROCPRIM_400000_NS6detail17trampoline_kernelINS0_14default_configENS1_20scan_config_selectorIN3c104HalfEEEZZNS1_9scan_implILNS1_25lookback_scan_determinismE0ELb0ELb0ES3_PKS6_PS6_S6_ZZZN2at6native31launch_logcumsumexp_cuda_kernelERKNSD_10TensorBaseESH_lENKUlvE_clEvENKUlvE3_clEvEUlS6_S6_E_S6_EEDaPvRmT3_T4_T5_mT6_P12ihipStream_tbENKUlT_T0_E_clISt17integral_constantIbLb1EESX_IbLb0EEEEDaST_SU_EUlST_E0_NS1_11comp_targetILNS1_3genE5ELNS1_11target_archE942ELNS1_3gpuE9ELNS1_3repE0EEENS1_30default_config_static_selectorELNS0_4arch9wavefront6targetE0EEEvT1_.kd
    .uniform_work_group_size: 1
    .uses_dynamic_stack: false
    .vgpr_count:     0
    .vgpr_spill_count: 0
    .wavefront_size: 32
    .workgroup_processor_mode: 1
  - .args:
      - .offset:         0
        .size:           32
        .value_kind:     by_value
    .group_segment_fixed_size: 0
    .kernarg_segment_align: 8
    .kernarg_segment_size: 32
    .language:       OpenCL C
    .language_version:
      - 2
      - 0
    .max_flat_workgroup_size: 64
    .name:           _ZN7rocprim17ROCPRIM_400000_NS6detail17trampoline_kernelINS0_14default_configENS1_20scan_config_selectorIN3c104HalfEEEZZNS1_9scan_implILNS1_25lookback_scan_determinismE0ELb0ELb0ES3_PKS6_PS6_S6_ZZZN2at6native31launch_logcumsumexp_cuda_kernelERKNSD_10TensorBaseESH_lENKUlvE_clEvENKUlvE3_clEvEUlS6_S6_E_S6_EEDaPvRmT3_T4_T5_mT6_P12ihipStream_tbENKUlT_T0_E_clISt17integral_constantIbLb1EESX_IbLb0EEEEDaST_SU_EUlST_E0_NS1_11comp_targetILNS1_3genE4ELNS1_11target_archE910ELNS1_3gpuE8ELNS1_3repE0EEENS1_30default_config_static_selectorELNS0_4arch9wavefront6targetE0EEEvT1_
    .private_segment_fixed_size: 0
    .sgpr_count:     0
    .sgpr_spill_count: 0
    .symbol:         _ZN7rocprim17ROCPRIM_400000_NS6detail17trampoline_kernelINS0_14default_configENS1_20scan_config_selectorIN3c104HalfEEEZZNS1_9scan_implILNS1_25lookback_scan_determinismE0ELb0ELb0ES3_PKS6_PS6_S6_ZZZN2at6native31launch_logcumsumexp_cuda_kernelERKNSD_10TensorBaseESH_lENKUlvE_clEvENKUlvE3_clEvEUlS6_S6_E_S6_EEDaPvRmT3_T4_T5_mT6_P12ihipStream_tbENKUlT_T0_E_clISt17integral_constantIbLb1EESX_IbLb0EEEEDaST_SU_EUlST_E0_NS1_11comp_targetILNS1_3genE4ELNS1_11target_archE910ELNS1_3gpuE8ELNS1_3repE0EEENS1_30default_config_static_selectorELNS0_4arch9wavefront6targetE0EEEvT1_.kd
    .uniform_work_group_size: 1
    .uses_dynamic_stack: false
    .vgpr_count:     0
    .vgpr_spill_count: 0
    .wavefront_size: 32
    .workgroup_processor_mode: 1
  - .args:
      - .offset:         0
        .size:           32
        .value_kind:     by_value
    .group_segment_fixed_size: 0
    .kernarg_segment_align: 8
    .kernarg_segment_size: 32
    .language:       OpenCL C
    .language_version:
      - 2
      - 0
    .max_flat_workgroup_size: 128
    .name:           _ZN7rocprim17ROCPRIM_400000_NS6detail17trampoline_kernelINS0_14default_configENS1_20scan_config_selectorIN3c104HalfEEEZZNS1_9scan_implILNS1_25lookback_scan_determinismE0ELb0ELb0ES3_PKS6_PS6_S6_ZZZN2at6native31launch_logcumsumexp_cuda_kernelERKNSD_10TensorBaseESH_lENKUlvE_clEvENKUlvE3_clEvEUlS6_S6_E_S6_EEDaPvRmT3_T4_T5_mT6_P12ihipStream_tbENKUlT_T0_E_clISt17integral_constantIbLb1EESX_IbLb0EEEEDaST_SU_EUlST_E0_NS1_11comp_targetILNS1_3genE3ELNS1_11target_archE908ELNS1_3gpuE7ELNS1_3repE0EEENS1_30default_config_static_selectorELNS0_4arch9wavefront6targetE0EEEvT1_
    .private_segment_fixed_size: 0
    .sgpr_count:     0
    .sgpr_spill_count: 0
    .symbol:         _ZN7rocprim17ROCPRIM_400000_NS6detail17trampoline_kernelINS0_14default_configENS1_20scan_config_selectorIN3c104HalfEEEZZNS1_9scan_implILNS1_25lookback_scan_determinismE0ELb0ELb0ES3_PKS6_PS6_S6_ZZZN2at6native31launch_logcumsumexp_cuda_kernelERKNSD_10TensorBaseESH_lENKUlvE_clEvENKUlvE3_clEvEUlS6_S6_E_S6_EEDaPvRmT3_T4_T5_mT6_P12ihipStream_tbENKUlT_T0_E_clISt17integral_constantIbLb1EESX_IbLb0EEEEDaST_SU_EUlST_E0_NS1_11comp_targetILNS1_3genE3ELNS1_11target_archE908ELNS1_3gpuE7ELNS1_3repE0EEENS1_30default_config_static_selectorELNS0_4arch9wavefront6targetE0EEEvT1_.kd
    .uniform_work_group_size: 1
    .uses_dynamic_stack: false
    .vgpr_count:     0
    .vgpr_spill_count: 0
    .wavefront_size: 32
    .workgroup_processor_mode: 1
  - .args:
      - .offset:         0
        .size:           32
        .value_kind:     by_value
    .group_segment_fixed_size: 0
    .kernarg_segment_align: 8
    .kernarg_segment_size: 32
    .language:       OpenCL C
    .language_version:
      - 2
      - 0
    .max_flat_workgroup_size: 256
    .name:           _ZN7rocprim17ROCPRIM_400000_NS6detail17trampoline_kernelINS0_14default_configENS1_20scan_config_selectorIN3c104HalfEEEZZNS1_9scan_implILNS1_25lookback_scan_determinismE0ELb0ELb0ES3_PKS6_PS6_S6_ZZZN2at6native31launch_logcumsumexp_cuda_kernelERKNSD_10TensorBaseESH_lENKUlvE_clEvENKUlvE3_clEvEUlS6_S6_E_S6_EEDaPvRmT3_T4_T5_mT6_P12ihipStream_tbENKUlT_T0_E_clISt17integral_constantIbLb1EESX_IbLb0EEEEDaST_SU_EUlST_E0_NS1_11comp_targetILNS1_3genE2ELNS1_11target_archE906ELNS1_3gpuE6ELNS1_3repE0EEENS1_30default_config_static_selectorELNS0_4arch9wavefront6targetE0EEEvT1_
    .private_segment_fixed_size: 0
    .sgpr_count:     0
    .sgpr_spill_count: 0
    .symbol:         _ZN7rocprim17ROCPRIM_400000_NS6detail17trampoline_kernelINS0_14default_configENS1_20scan_config_selectorIN3c104HalfEEEZZNS1_9scan_implILNS1_25lookback_scan_determinismE0ELb0ELb0ES3_PKS6_PS6_S6_ZZZN2at6native31launch_logcumsumexp_cuda_kernelERKNSD_10TensorBaseESH_lENKUlvE_clEvENKUlvE3_clEvEUlS6_S6_E_S6_EEDaPvRmT3_T4_T5_mT6_P12ihipStream_tbENKUlT_T0_E_clISt17integral_constantIbLb1EESX_IbLb0EEEEDaST_SU_EUlST_E0_NS1_11comp_targetILNS1_3genE2ELNS1_11target_archE906ELNS1_3gpuE6ELNS1_3repE0EEENS1_30default_config_static_selectorELNS0_4arch9wavefront6targetE0EEEvT1_.kd
    .uniform_work_group_size: 1
    .uses_dynamic_stack: false
    .vgpr_count:     0
    .vgpr_spill_count: 0
    .wavefront_size: 32
    .workgroup_processor_mode: 1
  - .args:
      - .offset:         0
        .size:           32
        .value_kind:     by_value
    .group_segment_fixed_size: 0
    .kernarg_segment_align: 8
    .kernarg_segment_size: 32
    .language:       OpenCL C
    .language_version:
      - 2
      - 0
    .max_flat_workgroup_size: 256
    .name:           _ZN7rocprim17ROCPRIM_400000_NS6detail17trampoline_kernelINS0_14default_configENS1_20scan_config_selectorIN3c104HalfEEEZZNS1_9scan_implILNS1_25lookback_scan_determinismE0ELb0ELb0ES3_PKS6_PS6_S6_ZZZN2at6native31launch_logcumsumexp_cuda_kernelERKNSD_10TensorBaseESH_lENKUlvE_clEvENKUlvE3_clEvEUlS6_S6_E_S6_EEDaPvRmT3_T4_T5_mT6_P12ihipStream_tbENKUlT_T0_E_clISt17integral_constantIbLb1EESX_IbLb0EEEEDaST_SU_EUlST_E0_NS1_11comp_targetILNS1_3genE10ELNS1_11target_archE1201ELNS1_3gpuE5ELNS1_3repE0EEENS1_30default_config_static_selectorELNS0_4arch9wavefront6targetE0EEEvT1_
    .private_segment_fixed_size: 0
    .sgpr_count:     0
    .sgpr_spill_count: 0
    .symbol:         _ZN7rocprim17ROCPRIM_400000_NS6detail17trampoline_kernelINS0_14default_configENS1_20scan_config_selectorIN3c104HalfEEEZZNS1_9scan_implILNS1_25lookback_scan_determinismE0ELb0ELb0ES3_PKS6_PS6_S6_ZZZN2at6native31launch_logcumsumexp_cuda_kernelERKNSD_10TensorBaseESH_lENKUlvE_clEvENKUlvE3_clEvEUlS6_S6_E_S6_EEDaPvRmT3_T4_T5_mT6_P12ihipStream_tbENKUlT_T0_E_clISt17integral_constantIbLb1EESX_IbLb0EEEEDaST_SU_EUlST_E0_NS1_11comp_targetILNS1_3genE10ELNS1_11target_archE1201ELNS1_3gpuE5ELNS1_3repE0EEENS1_30default_config_static_selectorELNS0_4arch9wavefront6targetE0EEEvT1_.kd
    .uniform_work_group_size: 1
    .uses_dynamic_stack: false
    .vgpr_count:     0
    .vgpr_spill_count: 0
    .wavefront_size: 32
    .workgroup_processor_mode: 1
  - .args:
      - .offset:         0
        .size:           32
        .value_kind:     by_value
    .group_segment_fixed_size: 0
    .kernarg_segment_align: 8
    .kernarg_segment_size: 32
    .language:       OpenCL C
    .language_version:
      - 2
      - 0
    .max_flat_workgroup_size: 256
    .name:           _ZN7rocprim17ROCPRIM_400000_NS6detail17trampoline_kernelINS0_14default_configENS1_20scan_config_selectorIN3c104HalfEEEZZNS1_9scan_implILNS1_25lookback_scan_determinismE0ELb0ELb0ES3_PKS6_PS6_S6_ZZZN2at6native31launch_logcumsumexp_cuda_kernelERKNSD_10TensorBaseESH_lENKUlvE_clEvENKUlvE3_clEvEUlS6_S6_E_S6_EEDaPvRmT3_T4_T5_mT6_P12ihipStream_tbENKUlT_T0_E_clISt17integral_constantIbLb1EESX_IbLb0EEEEDaST_SU_EUlST_E0_NS1_11comp_targetILNS1_3genE10ELNS1_11target_archE1200ELNS1_3gpuE4ELNS1_3repE0EEENS1_30default_config_static_selectorELNS0_4arch9wavefront6targetE0EEEvT1_
    .private_segment_fixed_size: 0
    .sgpr_count:     0
    .sgpr_spill_count: 0
    .symbol:         _ZN7rocprim17ROCPRIM_400000_NS6detail17trampoline_kernelINS0_14default_configENS1_20scan_config_selectorIN3c104HalfEEEZZNS1_9scan_implILNS1_25lookback_scan_determinismE0ELb0ELb0ES3_PKS6_PS6_S6_ZZZN2at6native31launch_logcumsumexp_cuda_kernelERKNSD_10TensorBaseESH_lENKUlvE_clEvENKUlvE3_clEvEUlS6_S6_E_S6_EEDaPvRmT3_T4_T5_mT6_P12ihipStream_tbENKUlT_T0_E_clISt17integral_constantIbLb1EESX_IbLb0EEEEDaST_SU_EUlST_E0_NS1_11comp_targetILNS1_3genE10ELNS1_11target_archE1200ELNS1_3gpuE4ELNS1_3repE0EEENS1_30default_config_static_selectorELNS0_4arch9wavefront6targetE0EEEvT1_.kd
    .uniform_work_group_size: 1
    .uses_dynamic_stack: false
    .vgpr_count:     0
    .vgpr_spill_count: 0
    .wavefront_size: 32
    .workgroup_processor_mode: 1
  - .args:
      - .offset:         0
        .size:           32
        .value_kind:     by_value
    .group_segment_fixed_size: 2816
    .kernarg_segment_align: 8
    .kernarg_segment_size: 32
    .language:       OpenCL C
    .language_version:
      - 2
      - 0
    .max_flat_workgroup_size: 64
    .name:           _ZN7rocprim17ROCPRIM_400000_NS6detail17trampoline_kernelINS0_14default_configENS1_20scan_config_selectorIN3c104HalfEEEZZNS1_9scan_implILNS1_25lookback_scan_determinismE0ELb0ELb0ES3_PKS6_PS6_S6_ZZZN2at6native31launch_logcumsumexp_cuda_kernelERKNSD_10TensorBaseESH_lENKUlvE_clEvENKUlvE3_clEvEUlS6_S6_E_S6_EEDaPvRmT3_T4_T5_mT6_P12ihipStream_tbENKUlT_T0_E_clISt17integral_constantIbLb1EESX_IbLb0EEEEDaST_SU_EUlST_E0_NS1_11comp_targetILNS1_3genE9ELNS1_11target_archE1100ELNS1_3gpuE3ELNS1_3repE0EEENS1_30default_config_static_selectorELNS0_4arch9wavefront6targetE0EEEvT1_
    .private_segment_fixed_size: 0
    .sgpr_count:     54
    .sgpr_spill_count: 0
    .symbol:         _ZN7rocprim17ROCPRIM_400000_NS6detail17trampoline_kernelINS0_14default_configENS1_20scan_config_selectorIN3c104HalfEEEZZNS1_9scan_implILNS1_25lookback_scan_determinismE0ELb0ELb0ES3_PKS6_PS6_S6_ZZZN2at6native31launch_logcumsumexp_cuda_kernelERKNSD_10TensorBaseESH_lENKUlvE_clEvENKUlvE3_clEvEUlS6_S6_E_S6_EEDaPvRmT3_T4_T5_mT6_P12ihipStream_tbENKUlT_T0_E_clISt17integral_constantIbLb1EESX_IbLb0EEEEDaST_SU_EUlST_E0_NS1_11comp_targetILNS1_3genE9ELNS1_11target_archE1100ELNS1_3gpuE3ELNS1_3repE0EEENS1_30default_config_static_selectorELNS0_4arch9wavefront6targetE0EEEvT1_.kd
    .uniform_work_group_size: 1
    .uses_dynamic_stack: false
    .vgpr_count:     47
    .vgpr_spill_count: 0
    .wavefront_size: 32
    .workgroup_processor_mode: 1
  - .args:
      - .offset:         0
        .size:           32
        .value_kind:     by_value
    .group_segment_fixed_size: 0
    .kernarg_segment_align: 8
    .kernarg_segment_size: 32
    .language:       OpenCL C
    .language_version:
      - 2
      - 0
    .max_flat_workgroup_size: 64
    .name:           _ZN7rocprim17ROCPRIM_400000_NS6detail17trampoline_kernelINS0_14default_configENS1_20scan_config_selectorIN3c104HalfEEEZZNS1_9scan_implILNS1_25lookback_scan_determinismE0ELb0ELb0ES3_PKS6_PS6_S6_ZZZN2at6native31launch_logcumsumexp_cuda_kernelERKNSD_10TensorBaseESH_lENKUlvE_clEvENKUlvE3_clEvEUlS6_S6_E_S6_EEDaPvRmT3_T4_T5_mT6_P12ihipStream_tbENKUlT_T0_E_clISt17integral_constantIbLb1EESX_IbLb0EEEEDaST_SU_EUlST_E0_NS1_11comp_targetILNS1_3genE8ELNS1_11target_archE1030ELNS1_3gpuE2ELNS1_3repE0EEENS1_30default_config_static_selectorELNS0_4arch9wavefront6targetE0EEEvT1_
    .private_segment_fixed_size: 0
    .sgpr_count:     0
    .sgpr_spill_count: 0
    .symbol:         _ZN7rocprim17ROCPRIM_400000_NS6detail17trampoline_kernelINS0_14default_configENS1_20scan_config_selectorIN3c104HalfEEEZZNS1_9scan_implILNS1_25lookback_scan_determinismE0ELb0ELb0ES3_PKS6_PS6_S6_ZZZN2at6native31launch_logcumsumexp_cuda_kernelERKNSD_10TensorBaseESH_lENKUlvE_clEvENKUlvE3_clEvEUlS6_S6_E_S6_EEDaPvRmT3_T4_T5_mT6_P12ihipStream_tbENKUlT_T0_E_clISt17integral_constantIbLb1EESX_IbLb0EEEEDaST_SU_EUlST_E0_NS1_11comp_targetILNS1_3genE8ELNS1_11target_archE1030ELNS1_3gpuE2ELNS1_3repE0EEENS1_30default_config_static_selectorELNS0_4arch9wavefront6targetE0EEEvT1_.kd
    .uniform_work_group_size: 1
    .uses_dynamic_stack: false
    .vgpr_count:     0
    .vgpr_spill_count: 0
    .wavefront_size: 32
    .workgroup_processor_mode: 1
  - .args:
      - .address_space:  global
        .offset:         0
        .size:           8
        .value_kind:     global_buffer
      - .offset:         8
        .size:           4
        .value_kind:     by_value
      - .address_space:  global
        .offset:         16
        .size:           8
        .value_kind:     global_buffer
      - .offset:         24
        .size:           4
        .value_kind:     by_value
      - .address_space:  global
        .offset:         32
        .size:           8
        .value_kind:     global_buffer
      - .offset:         40
        .size:           4
        .value_kind:     hidden_block_count_x
      - .offset:         44
        .size:           4
        .value_kind:     hidden_block_count_y
      - .offset:         48
        .size:           4
        .value_kind:     hidden_block_count_z
      - .offset:         52
        .size:           2
        .value_kind:     hidden_group_size_x
      - .offset:         54
        .size:           2
        .value_kind:     hidden_group_size_y
      - .offset:         56
        .size:           2
        .value_kind:     hidden_group_size_z
      - .offset:         58
        .size:           2
        .value_kind:     hidden_remainder_x
      - .offset:         60
        .size:           2
        .value_kind:     hidden_remainder_y
      - .offset:         62
        .size:           2
        .value_kind:     hidden_remainder_z
      - .offset:         80
        .size:           8
        .value_kind:     hidden_global_offset_x
      - .offset:         88
        .size:           8
        .value_kind:     hidden_global_offset_y
      - .offset:         96
        .size:           8
        .value_kind:     hidden_global_offset_z
      - .offset:         104
        .size:           2
        .value_kind:     hidden_grid_dims
    .group_segment_fixed_size: 0
    .kernarg_segment_align: 8
    .kernarg_segment_size: 296
    .language:       OpenCL C
    .language_version:
      - 2
      - 0
    .max_flat_workgroup_size: 256
    .name:           _ZN7rocprim17ROCPRIM_400000_NS6detail31init_lookback_scan_state_kernelINS1_19lookback_scan_stateIN3c104HalfELb0ELb1EEENS1_16block_id_wrapperIjLb1EEEEEvT_jT0_jPNS9_10value_typeE
    .private_segment_fixed_size: 0
    .sgpr_count:     18
    .sgpr_spill_count: 0
    .symbol:         _ZN7rocprim17ROCPRIM_400000_NS6detail31init_lookback_scan_state_kernelINS1_19lookback_scan_stateIN3c104HalfELb0ELb1EEENS1_16block_id_wrapperIjLb1EEEEEvT_jT0_jPNS9_10value_typeE.kd
    .uniform_work_group_size: 1
    .uses_dynamic_stack: false
    .vgpr_count:     6
    .vgpr_spill_count: 0
    .wavefront_size: 32
    .workgroup_processor_mode: 1
  - .args:
      - .offset:         0
        .size:           96
        .value_kind:     by_value
    .group_segment_fixed_size: 0
    .kernarg_segment_align: 8
    .kernarg_segment_size: 96
    .language:       OpenCL C
    .language_version:
      - 2
      - 0
    .max_flat_workgroup_size: 128
    .name:           _ZN7rocprim17ROCPRIM_400000_NS6detail17trampoline_kernelINS0_14default_configENS1_20scan_config_selectorIN3c104HalfEEEZZNS1_9scan_implILNS1_25lookback_scan_determinismE0ELb0ELb0ES3_PKS6_PS6_S6_ZZZN2at6native31launch_logcumsumexp_cuda_kernelERKNSD_10TensorBaseESH_lENKUlvE_clEvENKUlvE3_clEvEUlS6_S6_E_S6_EEDaPvRmT3_T4_T5_mT6_P12ihipStream_tbENKUlT_T0_E_clISt17integral_constantIbLb0EESX_IbLb1EEEEDaST_SU_EUlST_E_NS1_11comp_targetILNS1_3genE0ELNS1_11target_archE4294967295ELNS1_3gpuE0ELNS1_3repE0EEENS1_30default_config_static_selectorELNS0_4arch9wavefront6targetE0EEEvT1_
    .private_segment_fixed_size: 0
    .sgpr_count:     0
    .sgpr_spill_count: 0
    .symbol:         _ZN7rocprim17ROCPRIM_400000_NS6detail17trampoline_kernelINS0_14default_configENS1_20scan_config_selectorIN3c104HalfEEEZZNS1_9scan_implILNS1_25lookback_scan_determinismE0ELb0ELb0ES3_PKS6_PS6_S6_ZZZN2at6native31launch_logcumsumexp_cuda_kernelERKNSD_10TensorBaseESH_lENKUlvE_clEvENKUlvE3_clEvEUlS6_S6_E_S6_EEDaPvRmT3_T4_T5_mT6_P12ihipStream_tbENKUlT_T0_E_clISt17integral_constantIbLb0EESX_IbLb1EEEEDaST_SU_EUlST_E_NS1_11comp_targetILNS1_3genE0ELNS1_11target_archE4294967295ELNS1_3gpuE0ELNS1_3repE0EEENS1_30default_config_static_selectorELNS0_4arch9wavefront6targetE0EEEvT1_.kd
    .uniform_work_group_size: 1
    .uses_dynamic_stack: false
    .vgpr_count:     0
    .vgpr_spill_count: 0
    .wavefront_size: 32
    .workgroup_processor_mode: 1
  - .args:
      - .offset:         0
        .size:           96
        .value_kind:     by_value
    .group_segment_fixed_size: 0
    .kernarg_segment_align: 8
    .kernarg_segment_size: 96
    .language:       OpenCL C
    .language_version:
      - 2
      - 0
    .max_flat_workgroup_size: 256
    .name:           _ZN7rocprim17ROCPRIM_400000_NS6detail17trampoline_kernelINS0_14default_configENS1_20scan_config_selectorIN3c104HalfEEEZZNS1_9scan_implILNS1_25lookback_scan_determinismE0ELb0ELb0ES3_PKS6_PS6_S6_ZZZN2at6native31launch_logcumsumexp_cuda_kernelERKNSD_10TensorBaseESH_lENKUlvE_clEvENKUlvE3_clEvEUlS6_S6_E_S6_EEDaPvRmT3_T4_T5_mT6_P12ihipStream_tbENKUlT_T0_E_clISt17integral_constantIbLb0EESX_IbLb1EEEEDaST_SU_EUlST_E_NS1_11comp_targetILNS1_3genE5ELNS1_11target_archE942ELNS1_3gpuE9ELNS1_3repE0EEENS1_30default_config_static_selectorELNS0_4arch9wavefront6targetE0EEEvT1_
    .private_segment_fixed_size: 0
    .sgpr_count:     0
    .sgpr_spill_count: 0
    .symbol:         _ZN7rocprim17ROCPRIM_400000_NS6detail17trampoline_kernelINS0_14default_configENS1_20scan_config_selectorIN3c104HalfEEEZZNS1_9scan_implILNS1_25lookback_scan_determinismE0ELb0ELb0ES3_PKS6_PS6_S6_ZZZN2at6native31launch_logcumsumexp_cuda_kernelERKNSD_10TensorBaseESH_lENKUlvE_clEvENKUlvE3_clEvEUlS6_S6_E_S6_EEDaPvRmT3_T4_T5_mT6_P12ihipStream_tbENKUlT_T0_E_clISt17integral_constantIbLb0EESX_IbLb1EEEEDaST_SU_EUlST_E_NS1_11comp_targetILNS1_3genE5ELNS1_11target_archE942ELNS1_3gpuE9ELNS1_3repE0EEENS1_30default_config_static_selectorELNS0_4arch9wavefront6targetE0EEEvT1_.kd
    .uniform_work_group_size: 1
    .uses_dynamic_stack: false
    .vgpr_count:     0
    .vgpr_spill_count: 0
    .wavefront_size: 32
    .workgroup_processor_mode: 1
  - .args:
      - .offset:         0
        .size:           96
        .value_kind:     by_value
    .group_segment_fixed_size: 0
    .kernarg_segment_align: 8
    .kernarg_segment_size: 96
    .language:       OpenCL C
    .language_version:
      - 2
      - 0
    .max_flat_workgroup_size: 64
    .name:           _ZN7rocprim17ROCPRIM_400000_NS6detail17trampoline_kernelINS0_14default_configENS1_20scan_config_selectorIN3c104HalfEEEZZNS1_9scan_implILNS1_25lookback_scan_determinismE0ELb0ELb0ES3_PKS6_PS6_S6_ZZZN2at6native31launch_logcumsumexp_cuda_kernelERKNSD_10TensorBaseESH_lENKUlvE_clEvENKUlvE3_clEvEUlS6_S6_E_S6_EEDaPvRmT3_T4_T5_mT6_P12ihipStream_tbENKUlT_T0_E_clISt17integral_constantIbLb0EESX_IbLb1EEEEDaST_SU_EUlST_E_NS1_11comp_targetILNS1_3genE4ELNS1_11target_archE910ELNS1_3gpuE8ELNS1_3repE0EEENS1_30default_config_static_selectorELNS0_4arch9wavefront6targetE0EEEvT1_
    .private_segment_fixed_size: 0
    .sgpr_count:     0
    .sgpr_spill_count: 0
    .symbol:         _ZN7rocprim17ROCPRIM_400000_NS6detail17trampoline_kernelINS0_14default_configENS1_20scan_config_selectorIN3c104HalfEEEZZNS1_9scan_implILNS1_25lookback_scan_determinismE0ELb0ELb0ES3_PKS6_PS6_S6_ZZZN2at6native31launch_logcumsumexp_cuda_kernelERKNSD_10TensorBaseESH_lENKUlvE_clEvENKUlvE3_clEvEUlS6_S6_E_S6_EEDaPvRmT3_T4_T5_mT6_P12ihipStream_tbENKUlT_T0_E_clISt17integral_constantIbLb0EESX_IbLb1EEEEDaST_SU_EUlST_E_NS1_11comp_targetILNS1_3genE4ELNS1_11target_archE910ELNS1_3gpuE8ELNS1_3repE0EEENS1_30default_config_static_selectorELNS0_4arch9wavefront6targetE0EEEvT1_.kd
    .uniform_work_group_size: 1
    .uses_dynamic_stack: false
    .vgpr_count:     0
    .vgpr_spill_count: 0
    .wavefront_size: 32
    .workgroup_processor_mode: 1
  - .args:
      - .offset:         0
        .size:           96
        .value_kind:     by_value
    .group_segment_fixed_size: 0
    .kernarg_segment_align: 8
    .kernarg_segment_size: 96
    .language:       OpenCL C
    .language_version:
      - 2
      - 0
    .max_flat_workgroup_size: 128
    .name:           _ZN7rocprim17ROCPRIM_400000_NS6detail17trampoline_kernelINS0_14default_configENS1_20scan_config_selectorIN3c104HalfEEEZZNS1_9scan_implILNS1_25lookback_scan_determinismE0ELb0ELb0ES3_PKS6_PS6_S6_ZZZN2at6native31launch_logcumsumexp_cuda_kernelERKNSD_10TensorBaseESH_lENKUlvE_clEvENKUlvE3_clEvEUlS6_S6_E_S6_EEDaPvRmT3_T4_T5_mT6_P12ihipStream_tbENKUlT_T0_E_clISt17integral_constantIbLb0EESX_IbLb1EEEEDaST_SU_EUlST_E_NS1_11comp_targetILNS1_3genE3ELNS1_11target_archE908ELNS1_3gpuE7ELNS1_3repE0EEENS1_30default_config_static_selectorELNS0_4arch9wavefront6targetE0EEEvT1_
    .private_segment_fixed_size: 0
    .sgpr_count:     0
    .sgpr_spill_count: 0
    .symbol:         _ZN7rocprim17ROCPRIM_400000_NS6detail17trampoline_kernelINS0_14default_configENS1_20scan_config_selectorIN3c104HalfEEEZZNS1_9scan_implILNS1_25lookback_scan_determinismE0ELb0ELb0ES3_PKS6_PS6_S6_ZZZN2at6native31launch_logcumsumexp_cuda_kernelERKNSD_10TensorBaseESH_lENKUlvE_clEvENKUlvE3_clEvEUlS6_S6_E_S6_EEDaPvRmT3_T4_T5_mT6_P12ihipStream_tbENKUlT_T0_E_clISt17integral_constantIbLb0EESX_IbLb1EEEEDaST_SU_EUlST_E_NS1_11comp_targetILNS1_3genE3ELNS1_11target_archE908ELNS1_3gpuE7ELNS1_3repE0EEENS1_30default_config_static_selectorELNS0_4arch9wavefront6targetE0EEEvT1_.kd
    .uniform_work_group_size: 1
    .uses_dynamic_stack: false
    .vgpr_count:     0
    .vgpr_spill_count: 0
    .wavefront_size: 32
    .workgroup_processor_mode: 1
  - .args:
      - .offset:         0
        .size:           96
        .value_kind:     by_value
    .group_segment_fixed_size: 0
    .kernarg_segment_align: 8
    .kernarg_segment_size: 96
    .language:       OpenCL C
    .language_version:
      - 2
      - 0
    .max_flat_workgroup_size: 256
    .name:           _ZN7rocprim17ROCPRIM_400000_NS6detail17trampoline_kernelINS0_14default_configENS1_20scan_config_selectorIN3c104HalfEEEZZNS1_9scan_implILNS1_25lookback_scan_determinismE0ELb0ELb0ES3_PKS6_PS6_S6_ZZZN2at6native31launch_logcumsumexp_cuda_kernelERKNSD_10TensorBaseESH_lENKUlvE_clEvENKUlvE3_clEvEUlS6_S6_E_S6_EEDaPvRmT3_T4_T5_mT6_P12ihipStream_tbENKUlT_T0_E_clISt17integral_constantIbLb0EESX_IbLb1EEEEDaST_SU_EUlST_E_NS1_11comp_targetILNS1_3genE2ELNS1_11target_archE906ELNS1_3gpuE6ELNS1_3repE0EEENS1_30default_config_static_selectorELNS0_4arch9wavefront6targetE0EEEvT1_
    .private_segment_fixed_size: 0
    .sgpr_count:     0
    .sgpr_spill_count: 0
    .symbol:         _ZN7rocprim17ROCPRIM_400000_NS6detail17trampoline_kernelINS0_14default_configENS1_20scan_config_selectorIN3c104HalfEEEZZNS1_9scan_implILNS1_25lookback_scan_determinismE0ELb0ELb0ES3_PKS6_PS6_S6_ZZZN2at6native31launch_logcumsumexp_cuda_kernelERKNSD_10TensorBaseESH_lENKUlvE_clEvENKUlvE3_clEvEUlS6_S6_E_S6_EEDaPvRmT3_T4_T5_mT6_P12ihipStream_tbENKUlT_T0_E_clISt17integral_constantIbLb0EESX_IbLb1EEEEDaST_SU_EUlST_E_NS1_11comp_targetILNS1_3genE2ELNS1_11target_archE906ELNS1_3gpuE6ELNS1_3repE0EEENS1_30default_config_static_selectorELNS0_4arch9wavefront6targetE0EEEvT1_.kd
    .uniform_work_group_size: 1
    .uses_dynamic_stack: false
    .vgpr_count:     0
    .vgpr_spill_count: 0
    .wavefront_size: 32
    .workgroup_processor_mode: 1
  - .args:
      - .offset:         0
        .size:           96
        .value_kind:     by_value
    .group_segment_fixed_size: 0
    .kernarg_segment_align: 8
    .kernarg_segment_size: 96
    .language:       OpenCL C
    .language_version:
      - 2
      - 0
    .max_flat_workgroup_size: 256
    .name:           _ZN7rocprim17ROCPRIM_400000_NS6detail17trampoline_kernelINS0_14default_configENS1_20scan_config_selectorIN3c104HalfEEEZZNS1_9scan_implILNS1_25lookback_scan_determinismE0ELb0ELb0ES3_PKS6_PS6_S6_ZZZN2at6native31launch_logcumsumexp_cuda_kernelERKNSD_10TensorBaseESH_lENKUlvE_clEvENKUlvE3_clEvEUlS6_S6_E_S6_EEDaPvRmT3_T4_T5_mT6_P12ihipStream_tbENKUlT_T0_E_clISt17integral_constantIbLb0EESX_IbLb1EEEEDaST_SU_EUlST_E_NS1_11comp_targetILNS1_3genE10ELNS1_11target_archE1201ELNS1_3gpuE5ELNS1_3repE0EEENS1_30default_config_static_selectorELNS0_4arch9wavefront6targetE0EEEvT1_
    .private_segment_fixed_size: 0
    .sgpr_count:     0
    .sgpr_spill_count: 0
    .symbol:         _ZN7rocprim17ROCPRIM_400000_NS6detail17trampoline_kernelINS0_14default_configENS1_20scan_config_selectorIN3c104HalfEEEZZNS1_9scan_implILNS1_25lookback_scan_determinismE0ELb0ELb0ES3_PKS6_PS6_S6_ZZZN2at6native31launch_logcumsumexp_cuda_kernelERKNSD_10TensorBaseESH_lENKUlvE_clEvENKUlvE3_clEvEUlS6_S6_E_S6_EEDaPvRmT3_T4_T5_mT6_P12ihipStream_tbENKUlT_T0_E_clISt17integral_constantIbLb0EESX_IbLb1EEEEDaST_SU_EUlST_E_NS1_11comp_targetILNS1_3genE10ELNS1_11target_archE1201ELNS1_3gpuE5ELNS1_3repE0EEENS1_30default_config_static_selectorELNS0_4arch9wavefront6targetE0EEEvT1_.kd
    .uniform_work_group_size: 1
    .uses_dynamic_stack: false
    .vgpr_count:     0
    .vgpr_spill_count: 0
    .wavefront_size: 32
    .workgroup_processor_mode: 1
  - .args:
      - .offset:         0
        .size:           96
        .value_kind:     by_value
    .group_segment_fixed_size: 0
    .kernarg_segment_align: 8
    .kernarg_segment_size: 96
    .language:       OpenCL C
    .language_version:
      - 2
      - 0
    .max_flat_workgroup_size: 256
    .name:           _ZN7rocprim17ROCPRIM_400000_NS6detail17trampoline_kernelINS0_14default_configENS1_20scan_config_selectorIN3c104HalfEEEZZNS1_9scan_implILNS1_25lookback_scan_determinismE0ELb0ELb0ES3_PKS6_PS6_S6_ZZZN2at6native31launch_logcumsumexp_cuda_kernelERKNSD_10TensorBaseESH_lENKUlvE_clEvENKUlvE3_clEvEUlS6_S6_E_S6_EEDaPvRmT3_T4_T5_mT6_P12ihipStream_tbENKUlT_T0_E_clISt17integral_constantIbLb0EESX_IbLb1EEEEDaST_SU_EUlST_E_NS1_11comp_targetILNS1_3genE10ELNS1_11target_archE1200ELNS1_3gpuE4ELNS1_3repE0EEENS1_30default_config_static_selectorELNS0_4arch9wavefront6targetE0EEEvT1_
    .private_segment_fixed_size: 0
    .sgpr_count:     0
    .sgpr_spill_count: 0
    .symbol:         _ZN7rocprim17ROCPRIM_400000_NS6detail17trampoline_kernelINS0_14default_configENS1_20scan_config_selectorIN3c104HalfEEEZZNS1_9scan_implILNS1_25lookback_scan_determinismE0ELb0ELb0ES3_PKS6_PS6_S6_ZZZN2at6native31launch_logcumsumexp_cuda_kernelERKNSD_10TensorBaseESH_lENKUlvE_clEvENKUlvE3_clEvEUlS6_S6_E_S6_EEDaPvRmT3_T4_T5_mT6_P12ihipStream_tbENKUlT_T0_E_clISt17integral_constantIbLb0EESX_IbLb1EEEEDaST_SU_EUlST_E_NS1_11comp_targetILNS1_3genE10ELNS1_11target_archE1200ELNS1_3gpuE4ELNS1_3repE0EEENS1_30default_config_static_selectorELNS0_4arch9wavefront6targetE0EEEvT1_.kd
    .uniform_work_group_size: 1
    .uses_dynamic_stack: false
    .vgpr_count:     0
    .vgpr_spill_count: 0
    .wavefront_size: 32
    .workgroup_processor_mode: 1
  - .args:
      - .offset:         0
        .size:           96
        .value_kind:     by_value
      - .offset:         96
        .size:           4
        .value_kind:     hidden_block_count_x
      - .offset:         100
        .size:           4
        .value_kind:     hidden_block_count_y
      - .offset:         104
        .size:           4
        .value_kind:     hidden_block_count_z
      - .offset:         108
        .size:           2
        .value_kind:     hidden_group_size_x
      - .offset:         110
        .size:           2
        .value_kind:     hidden_group_size_y
      - .offset:         112
        .size:           2
        .value_kind:     hidden_group_size_z
      - .offset:         114
        .size:           2
        .value_kind:     hidden_remainder_x
      - .offset:         116
        .size:           2
        .value_kind:     hidden_remainder_y
      - .offset:         118
        .size:           2
        .value_kind:     hidden_remainder_z
      - .offset:         136
        .size:           8
        .value_kind:     hidden_global_offset_x
      - .offset:         144
        .size:           8
        .value_kind:     hidden_global_offset_y
      - .offset:         152
        .size:           8
        .value_kind:     hidden_global_offset_z
      - .offset:         160
        .size:           2
        .value_kind:     hidden_grid_dims
    .group_segment_fixed_size: 2816
    .kernarg_segment_align: 8
    .kernarg_segment_size: 352
    .language:       OpenCL C
    .language_version:
      - 2
      - 0
    .max_flat_workgroup_size: 64
    .name:           _ZN7rocprim17ROCPRIM_400000_NS6detail17trampoline_kernelINS0_14default_configENS1_20scan_config_selectorIN3c104HalfEEEZZNS1_9scan_implILNS1_25lookback_scan_determinismE0ELb0ELb0ES3_PKS6_PS6_S6_ZZZN2at6native31launch_logcumsumexp_cuda_kernelERKNSD_10TensorBaseESH_lENKUlvE_clEvENKUlvE3_clEvEUlS6_S6_E_S6_EEDaPvRmT3_T4_T5_mT6_P12ihipStream_tbENKUlT_T0_E_clISt17integral_constantIbLb0EESX_IbLb1EEEEDaST_SU_EUlST_E_NS1_11comp_targetILNS1_3genE9ELNS1_11target_archE1100ELNS1_3gpuE3ELNS1_3repE0EEENS1_30default_config_static_selectorELNS0_4arch9wavefront6targetE0EEEvT1_
    .private_segment_fixed_size: 120
    .sgpr_count:     46
    .sgpr_spill_count: 0
    .symbol:         _ZN7rocprim17ROCPRIM_400000_NS6detail17trampoline_kernelINS0_14default_configENS1_20scan_config_selectorIN3c104HalfEEEZZNS1_9scan_implILNS1_25lookback_scan_determinismE0ELb0ELb0ES3_PKS6_PS6_S6_ZZZN2at6native31launch_logcumsumexp_cuda_kernelERKNSD_10TensorBaseESH_lENKUlvE_clEvENKUlvE3_clEvEUlS6_S6_E_S6_EEDaPvRmT3_T4_T5_mT6_P12ihipStream_tbENKUlT_T0_E_clISt17integral_constantIbLb0EESX_IbLb1EEEEDaST_SU_EUlST_E_NS1_11comp_targetILNS1_3genE9ELNS1_11target_archE1100ELNS1_3gpuE3ELNS1_3repE0EEENS1_30default_config_static_selectorELNS0_4arch9wavefront6targetE0EEEvT1_.kd
    .uniform_work_group_size: 1
    .uses_dynamic_stack: false
    .vgpr_count:     162
    .vgpr_spill_count: 0
    .wavefront_size: 32
    .workgroup_processor_mode: 1
  - .args:
      - .offset:         0
        .size:           96
        .value_kind:     by_value
    .group_segment_fixed_size: 0
    .kernarg_segment_align: 8
    .kernarg_segment_size: 96
    .language:       OpenCL C
    .language_version:
      - 2
      - 0
    .max_flat_workgroup_size: 64
    .name:           _ZN7rocprim17ROCPRIM_400000_NS6detail17trampoline_kernelINS0_14default_configENS1_20scan_config_selectorIN3c104HalfEEEZZNS1_9scan_implILNS1_25lookback_scan_determinismE0ELb0ELb0ES3_PKS6_PS6_S6_ZZZN2at6native31launch_logcumsumexp_cuda_kernelERKNSD_10TensorBaseESH_lENKUlvE_clEvENKUlvE3_clEvEUlS6_S6_E_S6_EEDaPvRmT3_T4_T5_mT6_P12ihipStream_tbENKUlT_T0_E_clISt17integral_constantIbLb0EESX_IbLb1EEEEDaST_SU_EUlST_E_NS1_11comp_targetILNS1_3genE8ELNS1_11target_archE1030ELNS1_3gpuE2ELNS1_3repE0EEENS1_30default_config_static_selectorELNS0_4arch9wavefront6targetE0EEEvT1_
    .private_segment_fixed_size: 0
    .sgpr_count:     0
    .sgpr_spill_count: 0
    .symbol:         _ZN7rocprim17ROCPRIM_400000_NS6detail17trampoline_kernelINS0_14default_configENS1_20scan_config_selectorIN3c104HalfEEEZZNS1_9scan_implILNS1_25lookback_scan_determinismE0ELb0ELb0ES3_PKS6_PS6_S6_ZZZN2at6native31launch_logcumsumexp_cuda_kernelERKNSD_10TensorBaseESH_lENKUlvE_clEvENKUlvE3_clEvEUlS6_S6_E_S6_EEDaPvRmT3_T4_T5_mT6_P12ihipStream_tbENKUlT_T0_E_clISt17integral_constantIbLb0EESX_IbLb1EEEEDaST_SU_EUlST_E_NS1_11comp_targetILNS1_3genE8ELNS1_11target_archE1030ELNS1_3gpuE2ELNS1_3repE0EEENS1_30default_config_static_selectorELNS0_4arch9wavefront6targetE0EEEvT1_.kd
    .uniform_work_group_size: 1
    .uses_dynamic_stack: false
    .vgpr_count:     0
    .vgpr_spill_count: 0
    .wavefront_size: 32
    .workgroup_processor_mode: 1
  - .args:
      - .offset:         0
        .size:           32
        .value_kind:     by_value
    .group_segment_fixed_size: 0
    .kernarg_segment_align: 8
    .kernarg_segment_size: 32
    .language:       OpenCL C
    .language_version:
      - 2
      - 0
    .max_flat_workgroup_size: 128
    .name:           _ZN7rocprim17ROCPRIM_400000_NS6detail17trampoline_kernelINS0_14default_configENS1_20scan_config_selectorIN3c104HalfEEEZZNS1_9scan_implILNS1_25lookback_scan_determinismE0ELb0ELb0ES3_PKS6_PS6_S6_ZZZN2at6native31launch_logcumsumexp_cuda_kernelERKNSD_10TensorBaseESH_lENKUlvE_clEvENKUlvE3_clEvEUlS6_S6_E_S6_EEDaPvRmT3_T4_T5_mT6_P12ihipStream_tbENKUlT_T0_E_clISt17integral_constantIbLb0EESX_IbLb1EEEEDaST_SU_EUlST_E0_NS1_11comp_targetILNS1_3genE0ELNS1_11target_archE4294967295ELNS1_3gpuE0ELNS1_3repE0EEENS1_30default_config_static_selectorELNS0_4arch9wavefront6targetE0EEEvT1_
    .private_segment_fixed_size: 0
    .sgpr_count:     0
    .sgpr_spill_count: 0
    .symbol:         _ZN7rocprim17ROCPRIM_400000_NS6detail17trampoline_kernelINS0_14default_configENS1_20scan_config_selectorIN3c104HalfEEEZZNS1_9scan_implILNS1_25lookback_scan_determinismE0ELb0ELb0ES3_PKS6_PS6_S6_ZZZN2at6native31launch_logcumsumexp_cuda_kernelERKNSD_10TensorBaseESH_lENKUlvE_clEvENKUlvE3_clEvEUlS6_S6_E_S6_EEDaPvRmT3_T4_T5_mT6_P12ihipStream_tbENKUlT_T0_E_clISt17integral_constantIbLb0EESX_IbLb1EEEEDaST_SU_EUlST_E0_NS1_11comp_targetILNS1_3genE0ELNS1_11target_archE4294967295ELNS1_3gpuE0ELNS1_3repE0EEENS1_30default_config_static_selectorELNS0_4arch9wavefront6targetE0EEEvT1_.kd
    .uniform_work_group_size: 1
    .uses_dynamic_stack: false
    .vgpr_count:     0
    .vgpr_spill_count: 0
    .wavefront_size: 32
    .workgroup_processor_mode: 1
  - .args:
      - .offset:         0
        .size:           32
        .value_kind:     by_value
    .group_segment_fixed_size: 0
    .kernarg_segment_align: 8
    .kernarg_segment_size: 32
    .language:       OpenCL C
    .language_version:
      - 2
      - 0
    .max_flat_workgroup_size: 256
    .name:           _ZN7rocprim17ROCPRIM_400000_NS6detail17trampoline_kernelINS0_14default_configENS1_20scan_config_selectorIN3c104HalfEEEZZNS1_9scan_implILNS1_25lookback_scan_determinismE0ELb0ELb0ES3_PKS6_PS6_S6_ZZZN2at6native31launch_logcumsumexp_cuda_kernelERKNSD_10TensorBaseESH_lENKUlvE_clEvENKUlvE3_clEvEUlS6_S6_E_S6_EEDaPvRmT3_T4_T5_mT6_P12ihipStream_tbENKUlT_T0_E_clISt17integral_constantIbLb0EESX_IbLb1EEEEDaST_SU_EUlST_E0_NS1_11comp_targetILNS1_3genE5ELNS1_11target_archE942ELNS1_3gpuE9ELNS1_3repE0EEENS1_30default_config_static_selectorELNS0_4arch9wavefront6targetE0EEEvT1_
    .private_segment_fixed_size: 0
    .sgpr_count:     0
    .sgpr_spill_count: 0
    .symbol:         _ZN7rocprim17ROCPRIM_400000_NS6detail17trampoline_kernelINS0_14default_configENS1_20scan_config_selectorIN3c104HalfEEEZZNS1_9scan_implILNS1_25lookback_scan_determinismE0ELb0ELb0ES3_PKS6_PS6_S6_ZZZN2at6native31launch_logcumsumexp_cuda_kernelERKNSD_10TensorBaseESH_lENKUlvE_clEvENKUlvE3_clEvEUlS6_S6_E_S6_EEDaPvRmT3_T4_T5_mT6_P12ihipStream_tbENKUlT_T0_E_clISt17integral_constantIbLb0EESX_IbLb1EEEEDaST_SU_EUlST_E0_NS1_11comp_targetILNS1_3genE5ELNS1_11target_archE942ELNS1_3gpuE9ELNS1_3repE0EEENS1_30default_config_static_selectorELNS0_4arch9wavefront6targetE0EEEvT1_.kd
    .uniform_work_group_size: 1
    .uses_dynamic_stack: false
    .vgpr_count:     0
    .vgpr_spill_count: 0
    .wavefront_size: 32
    .workgroup_processor_mode: 1
  - .args:
      - .offset:         0
        .size:           32
        .value_kind:     by_value
    .group_segment_fixed_size: 0
    .kernarg_segment_align: 8
    .kernarg_segment_size: 32
    .language:       OpenCL C
    .language_version:
      - 2
      - 0
    .max_flat_workgroup_size: 64
    .name:           _ZN7rocprim17ROCPRIM_400000_NS6detail17trampoline_kernelINS0_14default_configENS1_20scan_config_selectorIN3c104HalfEEEZZNS1_9scan_implILNS1_25lookback_scan_determinismE0ELb0ELb0ES3_PKS6_PS6_S6_ZZZN2at6native31launch_logcumsumexp_cuda_kernelERKNSD_10TensorBaseESH_lENKUlvE_clEvENKUlvE3_clEvEUlS6_S6_E_S6_EEDaPvRmT3_T4_T5_mT6_P12ihipStream_tbENKUlT_T0_E_clISt17integral_constantIbLb0EESX_IbLb1EEEEDaST_SU_EUlST_E0_NS1_11comp_targetILNS1_3genE4ELNS1_11target_archE910ELNS1_3gpuE8ELNS1_3repE0EEENS1_30default_config_static_selectorELNS0_4arch9wavefront6targetE0EEEvT1_
    .private_segment_fixed_size: 0
    .sgpr_count:     0
    .sgpr_spill_count: 0
    .symbol:         _ZN7rocprim17ROCPRIM_400000_NS6detail17trampoline_kernelINS0_14default_configENS1_20scan_config_selectorIN3c104HalfEEEZZNS1_9scan_implILNS1_25lookback_scan_determinismE0ELb0ELb0ES3_PKS6_PS6_S6_ZZZN2at6native31launch_logcumsumexp_cuda_kernelERKNSD_10TensorBaseESH_lENKUlvE_clEvENKUlvE3_clEvEUlS6_S6_E_S6_EEDaPvRmT3_T4_T5_mT6_P12ihipStream_tbENKUlT_T0_E_clISt17integral_constantIbLb0EESX_IbLb1EEEEDaST_SU_EUlST_E0_NS1_11comp_targetILNS1_3genE4ELNS1_11target_archE910ELNS1_3gpuE8ELNS1_3repE0EEENS1_30default_config_static_selectorELNS0_4arch9wavefront6targetE0EEEvT1_.kd
    .uniform_work_group_size: 1
    .uses_dynamic_stack: false
    .vgpr_count:     0
    .vgpr_spill_count: 0
    .wavefront_size: 32
    .workgroup_processor_mode: 1
  - .args:
      - .offset:         0
        .size:           32
        .value_kind:     by_value
    .group_segment_fixed_size: 0
    .kernarg_segment_align: 8
    .kernarg_segment_size: 32
    .language:       OpenCL C
    .language_version:
      - 2
      - 0
    .max_flat_workgroup_size: 128
    .name:           _ZN7rocprim17ROCPRIM_400000_NS6detail17trampoline_kernelINS0_14default_configENS1_20scan_config_selectorIN3c104HalfEEEZZNS1_9scan_implILNS1_25lookback_scan_determinismE0ELb0ELb0ES3_PKS6_PS6_S6_ZZZN2at6native31launch_logcumsumexp_cuda_kernelERKNSD_10TensorBaseESH_lENKUlvE_clEvENKUlvE3_clEvEUlS6_S6_E_S6_EEDaPvRmT3_T4_T5_mT6_P12ihipStream_tbENKUlT_T0_E_clISt17integral_constantIbLb0EESX_IbLb1EEEEDaST_SU_EUlST_E0_NS1_11comp_targetILNS1_3genE3ELNS1_11target_archE908ELNS1_3gpuE7ELNS1_3repE0EEENS1_30default_config_static_selectorELNS0_4arch9wavefront6targetE0EEEvT1_
    .private_segment_fixed_size: 0
    .sgpr_count:     0
    .sgpr_spill_count: 0
    .symbol:         _ZN7rocprim17ROCPRIM_400000_NS6detail17trampoline_kernelINS0_14default_configENS1_20scan_config_selectorIN3c104HalfEEEZZNS1_9scan_implILNS1_25lookback_scan_determinismE0ELb0ELb0ES3_PKS6_PS6_S6_ZZZN2at6native31launch_logcumsumexp_cuda_kernelERKNSD_10TensorBaseESH_lENKUlvE_clEvENKUlvE3_clEvEUlS6_S6_E_S6_EEDaPvRmT3_T4_T5_mT6_P12ihipStream_tbENKUlT_T0_E_clISt17integral_constantIbLb0EESX_IbLb1EEEEDaST_SU_EUlST_E0_NS1_11comp_targetILNS1_3genE3ELNS1_11target_archE908ELNS1_3gpuE7ELNS1_3repE0EEENS1_30default_config_static_selectorELNS0_4arch9wavefront6targetE0EEEvT1_.kd
    .uniform_work_group_size: 1
    .uses_dynamic_stack: false
    .vgpr_count:     0
    .vgpr_spill_count: 0
    .wavefront_size: 32
    .workgroup_processor_mode: 1
  - .args:
      - .offset:         0
        .size:           32
        .value_kind:     by_value
    .group_segment_fixed_size: 0
    .kernarg_segment_align: 8
    .kernarg_segment_size: 32
    .language:       OpenCL C
    .language_version:
      - 2
      - 0
    .max_flat_workgroup_size: 256
    .name:           _ZN7rocprim17ROCPRIM_400000_NS6detail17trampoline_kernelINS0_14default_configENS1_20scan_config_selectorIN3c104HalfEEEZZNS1_9scan_implILNS1_25lookback_scan_determinismE0ELb0ELb0ES3_PKS6_PS6_S6_ZZZN2at6native31launch_logcumsumexp_cuda_kernelERKNSD_10TensorBaseESH_lENKUlvE_clEvENKUlvE3_clEvEUlS6_S6_E_S6_EEDaPvRmT3_T4_T5_mT6_P12ihipStream_tbENKUlT_T0_E_clISt17integral_constantIbLb0EESX_IbLb1EEEEDaST_SU_EUlST_E0_NS1_11comp_targetILNS1_3genE2ELNS1_11target_archE906ELNS1_3gpuE6ELNS1_3repE0EEENS1_30default_config_static_selectorELNS0_4arch9wavefront6targetE0EEEvT1_
    .private_segment_fixed_size: 0
    .sgpr_count:     0
    .sgpr_spill_count: 0
    .symbol:         _ZN7rocprim17ROCPRIM_400000_NS6detail17trampoline_kernelINS0_14default_configENS1_20scan_config_selectorIN3c104HalfEEEZZNS1_9scan_implILNS1_25lookback_scan_determinismE0ELb0ELb0ES3_PKS6_PS6_S6_ZZZN2at6native31launch_logcumsumexp_cuda_kernelERKNSD_10TensorBaseESH_lENKUlvE_clEvENKUlvE3_clEvEUlS6_S6_E_S6_EEDaPvRmT3_T4_T5_mT6_P12ihipStream_tbENKUlT_T0_E_clISt17integral_constantIbLb0EESX_IbLb1EEEEDaST_SU_EUlST_E0_NS1_11comp_targetILNS1_3genE2ELNS1_11target_archE906ELNS1_3gpuE6ELNS1_3repE0EEENS1_30default_config_static_selectorELNS0_4arch9wavefront6targetE0EEEvT1_.kd
    .uniform_work_group_size: 1
    .uses_dynamic_stack: false
    .vgpr_count:     0
    .vgpr_spill_count: 0
    .wavefront_size: 32
    .workgroup_processor_mode: 1
  - .args:
      - .offset:         0
        .size:           32
        .value_kind:     by_value
    .group_segment_fixed_size: 0
    .kernarg_segment_align: 8
    .kernarg_segment_size: 32
    .language:       OpenCL C
    .language_version:
      - 2
      - 0
    .max_flat_workgroup_size: 256
    .name:           _ZN7rocprim17ROCPRIM_400000_NS6detail17trampoline_kernelINS0_14default_configENS1_20scan_config_selectorIN3c104HalfEEEZZNS1_9scan_implILNS1_25lookback_scan_determinismE0ELb0ELb0ES3_PKS6_PS6_S6_ZZZN2at6native31launch_logcumsumexp_cuda_kernelERKNSD_10TensorBaseESH_lENKUlvE_clEvENKUlvE3_clEvEUlS6_S6_E_S6_EEDaPvRmT3_T4_T5_mT6_P12ihipStream_tbENKUlT_T0_E_clISt17integral_constantIbLb0EESX_IbLb1EEEEDaST_SU_EUlST_E0_NS1_11comp_targetILNS1_3genE10ELNS1_11target_archE1201ELNS1_3gpuE5ELNS1_3repE0EEENS1_30default_config_static_selectorELNS0_4arch9wavefront6targetE0EEEvT1_
    .private_segment_fixed_size: 0
    .sgpr_count:     0
    .sgpr_spill_count: 0
    .symbol:         _ZN7rocprim17ROCPRIM_400000_NS6detail17trampoline_kernelINS0_14default_configENS1_20scan_config_selectorIN3c104HalfEEEZZNS1_9scan_implILNS1_25lookback_scan_determinismE0ELb0ELb0ES3_PKS6_PS6_S6_ZZZN2at6native31launch_logcumsumexp_cuda_kernelERKNSD_10TensorBaseESH_lENKUlvE_clEvENKUlvE3_clEvEUlS6_S6_E_S6_EEDaPvRmT3_T4_T5_mT6_P12ihipStream_tbENKUlT_T0_E_clISt17integral_constantIbLb0EESX_IbLb1EEEEDaST_SU_EUlST_E0_NS1_11comp_targetILNS1_3genE10ELNS1_11target_archE1201ELNS1_3gpuE5ELNS1_3repE0EEENS1_30default_config_static_selectorELNS0_4arch9wavefront6targetE0EEEvT1_.kd
    .uniform_work_group_size: 1
    .uses_dynamic_stack: false
    .vgpr_count:     0
    .vgpr_spill_count: 0
    .wavefront_size: 32
    .workgroup_processor_mode: 1
  - .args:
      - .offset:         0
        .size:           32
        .value_kind:     by_value
    .group_segment_fixed_size: 0
    .kernarg_segment_align: 8
    .kernarg_segment_size: 32
    .language:       OpenCL C
    .language_version:
      - 2
      - 0
    .max_flat_workgroup_size: 256
    .name:           _ZN7rocprim17ROCPRIM_400000_NS6detail17trampoline_kernelINS0_14default_configENS1_20scan_config_selectorIN3c104HalfEEEZZNS1_9scan_implILNS1_25lookback_scan_determinismE0ELb0ELb0ES3_PKS6_PS6_S6_ZZZN2at6native31launch_logcumsumexp_cuda_kernelERKNSD_10TensorBaseESH_lENKUlvE_clEvENKUlvE3_clEvEUlS6_S6_E_S6_EEDaPvRmT3_T4_T5_mT6_P12ihipStream_tbENKUlT_T0_E_clISt17integral_constantIbLb0EESX_IbLb1EEEEDaST_SU_EUlST_E0_NS1_11comp_targetILNS1_3genE10ELNS1_11target_archE1200ELNS1_3gpuE4ELNS1_3repE0EEENS1_30default_config_static_selectorELNS0_4arch9wavefront6targetE0EEEvT1_
    .private_segment_fixed_size: 0
    .sgpr_count:     0
    .sgpr_spill_count: 0
    .symbol:         _ZN7rocprim17ROCPRIM_400000_NS6detail17trampoline_kernelINS0_14default_configENS1_20scan_config_selectorIN3c104HalfEEEZZNS1_9scan_implILNS1_25lookback_scan_determinismE0ELb0ELb0ES3_PKS6_PS6_S6_ZZZN2at6native31launch_logcumsumexp_cuda_kernelERKNSD_10TensorBaseESH_lENKUlvE_clEvENKUlvE3_clEvEUlS6_S6_E_S6_EEDaPvRmT3_T4_T5_mT6_P12ihipStream_tbENKUlT_T0_E_clISt17integral_constantIbLb0EESX_IbLb1EEEEDaST_SU_EUlST_E0_NS1_11comp_targetILNS1_3genE10ELNS1_11target_archE1200ELNS1_3gpuE4ELNS1_3repE0EEENS1_30default_config_static_selectorELNS0_4arch9wavefront6targetE0EEEvT1_.kd
    .uniform_work_group_size: 1
    .uses_dynamic_stack: false
    .vgpr_count:     0
    .vgpr_spill_count: 0
    .wavefront_size: 32
    .workgroup_processor_mode: 1
  - .args:
      - .offset:         0
        .size:           32
        .value_kind:     by_value
    .group_segment_fixed_size: 2816
    .kernarg_segment_align: 8
    .kernarg_segment_size: 32
    .language:       OpenCL C
    .language_version:
      - 2
      - 0
    .max_flat_workgroup_size: 64
    .name:           _ZN7rocprim17ROCPRIM_400000_NS6detail17trampoline_kernelINS0_14default_configENS1_20scan_config_selectorIN3c104HalfEEEZZNS1_9scan_implILNS1_25lookback_scan_determinismE0ELb0ELb0ES3_PKS6_PS6_S6_ZZZN2at6native31launch_logcumsumexp_cuda_kernelERKNSD_10TensorBaseESH_lENKUlvE_clEvENKUlvE3_clEvEUlS6_S6_E_S6_EEDaPvRmT3_T4_T5_mT6_P12ihipStream_tbENKUlT_T0_E_clISt17integral_constantIbLb0EESX_IbLb1EEEEDaST_SU_EUlST_E0_NS1_11comp_targetILNS1_3genE9ELNS1_11target_archE1100ELNS1_3gpuE3ELNS1_3repE0EEENS1_30default_config_static_selectorELNS0_4arch9wavefront6targetE0EEEvT1_
    .private_segment_fixed_size: 0
    .sgpr_count:     54
    .sgpr_spill_count: 0
    .symbol:         _ZN7rocprim17ROCPRIM_400000_NS6detail17trampoline_kernelINS0_14default_configENS1_20scan_config_selectorIN3c104HalfEEEZZNS1_9scan_implILNS1_25lookback_scan_determinismE0ELb0ELb0ES3_PKS6_PS6_S6_ZZZN2at6native31launch_logcumsumexp_cuda_kernelERKNSD_10TensorBaseESH_lENKUlvE_clEvENKUlvE3_clEvEUlS6_S6_E_S6_EEDaPvRmT3_T4_T5_mT6_P12ihipStream_tbENKUlT_T0_E_clISt17integral_constantIbLb0EESX_IbLb1EEEEDaST_SU_EUlST_E0_NS1_11comp_targetILNS1_3genE9ELNS1_11target_archE1100ELNS1_3gpuE3ELNS1_3repE0EEENS1_30default_config_static_selectorELNS0_4arch9wavefront6targetE0EEEvT1_.kd
    .uniform_work_group_size: 1
    .uses_dynamic_stack: false
    .vgpr_count:     47
    .vgpr_spill_count: 0
    .wavefront_size: 32
    .workgroup_processor_mode: 1
  - .args:
      - .offset:         0
        .size:           32
        .value_kind:     by_value
    .group_segment_fixed_size: 0
    .kernarg_segment_align: 8
    .kernarg_segment_size: 32
    .language:       OpenCL C
    .language_version:
      - 2
      - 0
    .max_flat_workgroup_size: 64
    .name:           _ZN7rocprim17ROCPRIM_400000_NS6detail17trampoline_kernelINS0_14default_configENS1_20scan_config_selectorIN3c104HalfEEEZZNS1_9scan_implILNS1_25lookback_scan_determinismE0ELb0ELb0ES3_PKS6_PS6_S6_ZZZN2at6native31launch_logcumsumexp_cuda_kernelERKNSD_10TensorBaseESH_lENKUlvE_clEvENKUlvE3_clEvEUlS6_S6_E_S6_EEDaPvRmT3_T4_T5_mT6_P12ihipStream_tbENKUlT_T0_E_clISt17integral_constantIbLb0EESX_IbLb1EEEEDaST_SU_EUlST_E0_NS1_11comp_targetILNS1_3genE8ELNS1_11target_archE1030ELNS1_3gpuE2ELNS1_3repE0EEENS1_30default_config_static_selectorELNS0_4arch9wavefront6targetE0EEEvT1_
    .private_segment_fixed_size: 0
    .sgpr_count:     0
    .sgpr_spill_count: 0
    .symbol:         _ZN7rocprim17ROCPRIM_400000_NS6detail17trampoline_kernelINS0_14default_configENS1_20scan_config_selectorIN3c104HalfEEEZZNS1_9scan_implILNS1_25lookback_scan_determinismE0ELb0ELb0ES3_PKS6_PS6_S6_ZZZN2at6native31launch_logcumsumexp_cuda_kernelERKNSD_10TensorBaseESH_lENKUlvE_clEvENKUlvE3_clEvEUlS6_S6_E_S6_EEDaPvRmT3_T4_T5_mT6_P12ihipStream_tbENKUlT_T0_E_clISt17integral_constantIbLb0EESX_IbLb1EEEEDaST_SU_EUlST_E0_NS1_11comp_targetILNS1_3genE8ELNS1_11target_archE1030ELNS1_3gpuE2ELNS1_3repE0EEENS1_30default_config_static_selectorELNS0_4arch9wavefront6targetE0EEEvT1_.kd
    .uniform_work_group_size: 1
    .uses_dynamic_stack: false
    .vgpr_count:     0
    .vgpr_spill_count: 0
    .wavefront_size: 32
    .workgroup_processor_mode: 1
  - .args:
      - .address_space:  global
        .offset:         0
        .size:           8
        .value_kind:     global_buffer
      - .address_space:  global
        .offset:         8
        .size:           8
        .value_kind:     global_buffer
      - .offset:         16
        .size:           4
        .value_kind:     by_value
      - .offset:         20
        .size:           4
        .value_kind:     by_value
      - .offset:         24
        .size:           4
        .value_kind:     by_value
      - .offset:         28
        .size:           2
        .value_kind:     by_value
      - .offset:         30
        .size:           1
        .value_kind:     by_value
      - .offset:         32
        .size:           4
        .value_kind:     hidden_block_count_x
      - .offset:         36
        .size:           4
        .value_kind:     hidden_block_count_y
      - .offset:         40
        .size:           4
        .value_kind:     hidden_block_count_z
      - .offset:         44
        .size:           2
        .value_kind:     hidden_group_size_x
      - .offset:         46
        .size:           2
        .value_kind:     hidden_group_size_y
      - .offset:         48
        .size:           2
        .value_kind:     hidden_group_size_z
      - .offset:         50
        .size:           2
        .value_kind:     hidden_remainder_x
      - .offset:         52
        .size:           2
        .value_kind:     hidden_remainder_y
      - .offset:         54
        .size:           2
        .value_kind:     hidden_remainder_z
      - .offset:         72
        .size:           8
        .value_kind:     hidden_global_offset_x
      - .offset:         80
        .size:           8
        .value_kind:     hidden_global_offset_y
      - .offset:         88
        .size:           8
        .value_kind:     hidden_global_offset_z
      - .offset:         96
        .size:           2
        .value_kind:     hidden_grid_dims
      - .offset:         152
        .size:           4
        .value_kind:     hidden_dynamic_lds_size
    .group_segment_fixed_size: 0
    .kernarg_segment_align: 8
    .kernarg_segment_size: 288
    .language:       OpenCL C
    .language_version:
      - 2
      - 0
    .max_flat_workgroup_size: 1024
    .name:           _ZN2at6native32tensor_kernel_scan_innermost_dimIN3c104HalfEZZZNS0_31launch_logcumsumexp_cuda_kernelERKNS_10TensorBaseES6_lENKUlvE_clEvENKUlvE3_clEvEUlS3_S3_E_EEvPT_PKSA_jjjSA_T0_
    .private_segment_fixed_size: 0
    .sgpr_count:     30
    .sgpr_spill_count: 0
    .symbol:         _ZN2at6native32tensor_kernel_scan_innermost_dimIN3c104HalfEZZZNS0_31launch_logcumsumexp_cuda_kernelERKNS_10TensorBaseES6_lENKUlvE_clEvENKUlvE3_clEvEUlS3_S3_E_EEvPT_PKSA_jjjSA_T0_.kd
    .uniform_work_group_size: 1
    .uses_dynamic_stack: false
    .vgpr_count:     31
    .vgpr_spill_count: 0
    .wavefront_size: 32
    .workgroup_processor_mode: 1
  - .args:
      - .address_space:  global
        .offset:         0
        .size:           8
        .value_kind:     global_buffer
      - .address_space:  global
        .offset:         8
        .size:           8
        .value_kind:     global_buffer
      - .offset:         16
        .size:           4
        .value_kind:     by_value
      - .offset:         20
        .size:           4
        .value_kind:     by_value
      - .offset:         24
        .size:           4
        .value_kind:     by_value
      - .offset:         28
        .size:           2
        .value_kind:     by_value
      - .offset:         30
        .size:           1
        .value_kind:     by_value
      - .offset:         32
        .size:           4
        .value_kind:     hidden_block_count_x
      - .offset:         36
        .size:           4
        .value_kind:     hidden_block_count_y
      - .offset:         40
        .size:           4
        .value_kind:     hidden_block_count_z
      - .offset:         44
        .size:           2
        .value_kind:     hidden_group_size_x
      - .offset:         46
        .size:           2
        .value_kind:     hidden_group_size_y
      - .offset:         48
        .size:           2
        .value_kind:     hidden_group_size_z
      - .offset:         50
        .size:           2
        .value_kind:     hidden_remainder_x
      - .offset:         52
        .size:           2
        .value_kind:     hidden_remainder_y
      - .offset:         54
        .size:           2
        .value_kind:     hidden_remainder_z
      - .offset:         72
        .size:           8
        .value_kind:     hidden_global_offset_x
      - .offset:         80
        .size:           8
        .value_kind:     hidden_global_offset_y
      - .offset:         88
        .size:           8
        .value_kind:     hidden_global_offset_z
      - .offset:         96
        .size:           2
        .value_kind:     hidden_grid_dims
    .group_segment_fixed_size: 0
    .kernarg_segment_align: 8
    .kernarg_segment_size: 288
    .language:       OpenCL C
    .language_version:
      - 2
      - 0
    .max_flat_workgroup_size: 1024
    .name:           _ZN2at6native28tensor_kernel_scan_outer_dimIN3c104HalfEjZZZNS0_31launch_logcumsumexp_cuda_kernelERKNS_10TensorBaseES6_lENKUlvE_clEvENKUlvE3_clEvEUlS3_S3_E_EEvPT_PKSA_jjjSA_T1_
    .private_segment_fixed_size: 0
    .sgpr_count:     31
    .sgpr_spill_count: 0
    .symbol:         _ZN2at6native28tensor_kernel_scan_outer_dimIN3c104HalfEjZZZNS0_31launch_logcumsumexp_cuda_kernelERKNS_10TensorBaseES6_lENKUlvE_clEvENKUlvE3_clEvEUlS3_S3_E_EEvPT_PKSA_jjjSA_T1_.kd
    .uniform_work_group_size: 1
    .uses_dynamic_stack: false
    .vgpr_count:     19
    .vgpr_spill_count: 0
    .wavefront_size: 32
    .workgroup_processor_mode: 1
  - .args:
      - .address_space:  global
        .offset:         0
        .size:           8
        .value_kind:     global_buffer
      - .address_space:  global
        .offset:         8
        .size:           8
        .value_kind:     global_buffer
      - .offset:         16
        .size:           4
        .value_kind:     by_value
      - .offset:         20
        .size:           4
        .value_kind:     by_value
      - .offset:         24
        .size:           4
        .value_kind:     by_value
      - .offset:         28
        .size:           2
        .value_kind:     by_value
      - .offset:         30
        .size:           1
        .value_kind:     by_value
      - .offset:         32
        .size:           4
        .value_kind:     hidden_block_count_x
      - .offset:         36
        .size:           4
        .value_kind:     hidden_block_count_y
      - .offset:         40
        .size:           4
        .value_kind:     hidden_block_count_z
      - .offset:         44
        .size:           2
        .value_kind:     hidden_group_size_x
      - .offset:         46
        .size:           2
        .value_kind:     hidden_group_size_y
      - .offset:         48
        .size:           2
        .value_kind:     hidden_group_size_z
      - .offset:         50
        .size:           2
        .value_kind:     hidden_remainder_x
      - .offset:         52
        .size:           2
        .value_kind:     hidden_remainder_y
      - .offset:         54
        .size:           2
        .value_kind:     hidden_remainder_z
      - .offset:         72
        .size:           8
        .value_kind:     hidden_global_offset_x
      - .offset:         80
        .size:           8
        .value_kind:     hidden_global_offset_y
      - .offset:         88
        .size:           8
        .value_kind:     hidden_global_offset_z
      - .offset:         96
        .size:           2
        .value_kind:     hidden_grid_dims
    .group_segment_fixed_size: 0
    .kernarg_segment_align: 8
    .kernarg_segment_size: 288
    .language:       OpenCL C
    .language_version:
      - 2
      - 0
    .max_flat_workgroup_size: 1024
    .name:           _ZN2at6native28tensor_kernel_scan_outer_dimIN3c104HalfEmZZZNS0_31launch_logcumsumexp_cuda_kernelERKNS_10TensorBaseES6_lENKUlvE_clEvENKUlvE3_clEvEUlS3_S3_E_EEvPT_PKSA_jjjSA_T1_
    .private_segment_fixed_size: 0
    .sgpr_count:     30
    .sgpr_spill_count: 0
    .symbol:         _ZN2at6native28tensor_kernel_scan_outer_dimIN3c104HalfEmZZZNS0_31launch_logcumsumexp_cuda_kernelERKNS_10TensorBaseES6_lENKUlvE_clEvENKUlvE3_clEvEUlS3_S3_E_EEvPT_PKSA_jjjSA_T1_.kd
    .uniform_work_group_size: 1
    .uses_dynamic_stack: false
    .vgpr_count:     19
    .vgpr_spill_count: 0
    .wavefront_size: 32
    .workgroup_processor_mode: 1
  - .args:
      - .address_space:  global
        .offset:         0
        .size:           8
        .value_kind:     global_buffer
      - .offset:         8
        .size:           4
        .value_kind:     by_value
      - .offset:         12
        .size:           1
        .value_kind:     by_value
      - .offset:         16
        .size:           4
        .value_kind:     by_value
      - .address_space:  global
        .offset:         24
        .size:           8
        .value_kind:     global_buffer
      - .offset:         32
        .size:           4
        .value_kind:     hidden_block_count_x
      - .offset:         36
        .size:           4
        .value_kind:     hidden_block_count_y
      - .offset:         40
        .size:           4
        .value_kind:     hidden_block_count_z
      - .offset:         44
        .size:           2
        .value_kind:     hidden_group_size_x
      - .offset:         46
        .size:           2
        .value_kind:     hidden_group_size_y
      - .offset:         48
        .size:           2
        .value_kind:     hidden_group_size_z
      - .offset:         50
        .size:           2
        .value_kind:     hidden_remainder_x
      - .offset:         52
        .size:           2
        .value_kind:     hidden_remainder_y
      - .offset:         54
        .size:           2
        .value_kind:     hidden_remainder_z
      - .offset:         72
        .size:           8
        .value_kind:     hidden_global_offset_x
      - .offset:         80
        .size:           8
        .value_kind:     hidden_global_offset_y
      - .offset:         88
        .size:           8
        .value_kind:     hidden_global_offset_z
      - .offset:         96
        .size:           2
        .value_kind:     hidden_grid_dims
    .group_segment_fixed_size: 0
    .kernarg_segment_align: 8
    .kernarg_segment_size: 288
    .language:       OpenCL C
    .language_version:
      - 2
      - 0
    .max_flat_workgroup_size: 256
    .name:           _ZN7rocprim17ROCPRIM_400000_NS6detail31init_lookback_scan_state_kernelINS1_19lookback_scan_stateIN3c108BFloat16ELb0ELb1EEENS1_16block_id_wrapperIjLb0EEEEEvT_jT0_jPNS9_10value_typeE
    .private_segment_fixed_size: 0
    .sgpr_count:     18
    .sgpr_spill_count: 0
    .symbol:         _ZN7rocprim17ROCPRIM_400000_NS6detail31init_lookback_scan_state_kernelINS1_19lookback_scan_stateIN3c108BFloat16ELb0ELb1EEENS1_16block_id_wrapperIjLb0EEEEEvT_jT0_jPNS9_10value_typeE.kd
    .uniform_work_group_size: 1
    .uses_dynamic_stack: false
    .vgpr_count:     6
    .vgpr_spill_count: 0
    .wavefront_size: 32
    .workgroup_processor_mode: 1
  - .args:
      - .offset:         0
        .size:           96
        .value_kind:     by_value
    .group_segment_fixed_size: 0
    .kernarg_segment_align: 8
    .kernarg_segment_size: 96
    .language:       OpenCL C
    .language_version:
      - 2
      - 0
    .max_flat_workgroup_size: 128
    .name:           _ZN7rocprim17ROCPRIM_400000_NS6detail17trampoline_kernelINS0_14default_configENS1_20scan_config_selectorIN3c108BFloat16EEEZZNS1_9scan_implILNS1_25lookback_scan_determinismE0ELb0ELb0ES3_PKS6_PS6_S6_ZZZN2at6native31launch_logcumsumexp_cuda_kernelERKNSD_10TensorBaseESH_lENKUlvE_clEvENKUlvE4_clEvEUlS6_S6_E_S6_EEDaPvRmT3_T4_T5_mT6_P12ihipStream_tbENKUlT_T0_E_clISt17integral_constantIbLb0EESY_EEDaST_SU_EUlST_E_NS1_11comp_targetILNS1_3genE0ELNS1_11target_archE4294967295ELNS1_3gpuE0ELNS1_3repE0EEENS1_30default_config_static_selectorELNS0_4arch9wavefront6targetE0EEEvT1_
    .private_segment_fixed_size: 0
    .sgpr_count:     0
    .sgpr_spill_count: 0
    .symbol:         _ZN7rocprim17ROCPRIM_400000_NS6detail17trampoline_kernelINS0_14default_configENS1_20scan_config_selectorIN3c108BFloat16EEEZZNS1_9scan_implILNS1_25lookback_scan_determinismE0ELb0ELb0ES3_PKS6_PS6_S6_ZZZN2at6native31launch_logcumsumexp_cuda_kernelERKNSD_10TensorBaseESH_lENKUlvE_clEvENKUlvE4_clEvEUlS6_S6_E_S6_EEDaPvRmT3_T4_T5_mT6_P12ihipStream_tbENKUlT_T0_E_clISt17integral_constantIbLb0EESY_EEDaST_SU_EUlST_E_NS1_11comp_targetILNS1_3genE0ELNS1_11target_archE4294967295ELNS1_3gpuE0ELNS1_3repE0EEENS1_30default_config_static_selectorELNS0_4arch9wavefront6targetE0EEEvT1_.kd
    .uniform_work_group_size: 1
    .uses_dynamic_stack: false
    .vgpr_count:     0
    .vgpr_spill_count: 0
    .wavefront_size: 32
    .workgroup_processor_mode: 1
  - .args:
      - .offset:         0
        .size:           96
        .value_kind:     by_value
    .group_segment_fixed_size: 0
    .kernarg_segment_align: 8
    .kernarg_segment_size: 96
    .language:       OpenCL C
    .language_version:
      - 2
      - 0
    .max_flat_workgroup_size: 256
    .name:           _ZN7rocprim17ROCPRIM_400000_NS6detail17trampoline_kernelINS0_14default_configENS1_20scan_config_selectorIN3c108BFloat16EEEZZNS1_9scan_implILNS1_25lookback_scan_determinismE0ELb0ELb0ES3_PKS6_PS6_S6_ZZZN2at6native31launch_logcumsumexp_cuda_kernelERKNSD_10TensorBaseESH_lENKUlvE_clEvENKUlvE4_clEvEUlS6_S6_E_S6_EEDaPvRmT3_T4_T5_mT6_P12ihipStream_tbENKUlT_T0_E_clISt17integral_constantIbLb0EESY_EEDaST_SU_EUlST_E_NS1_11comp_targetILNS1_3genE5ELNS1_11target_archE942ELNS1_3gpuE9ELNS1_3repE0EEENS1_30default_config_static_selectorELNS0_4arch9wavefront6targetE0EEEvT1_
    .private_segment_fixed_size: 0
    .sgpr_count:     0
    .sgpr_spill_count: 0
    .symbol:         _ZN7rocprim17ROCPRIM_400000_NS6detail17trampoline_kernelINS0_14default_configENS1_20scan_config_selectorIN3c108BFloat16EEEZZNS1_9scan_implILNS1_25lookback_scan_determinismE0ELb0ELb0ES3_PKS6_PS6_S6_ZZZN2at6native31launch_logcumsumexp_cuda_kernelERKNSD_10TensorBaseESH_lENKUlvE_clEvENKUlvE4_clEvEUlS6_S6_E_S6_EEDaPvRmT3_T4_T5_mT6_P12ihipStream_tbENKUlT_T0_E_clISt17integral_constantIbLb0EESY_EEDaST_SU_EUlST_E_NS1_11comp_targetILNS1_3genE5ELNS1_11target_archE942ELNS1_3gpuE9ELNS1_3repE0EEENS1_30default_config_static_selectorELNS0_4arch9wavefront6targetE0EEEvT1_.kd
    .uniform_work_group_size: 1
    .uses_dynamic_stack: false
    .vgpr_count:     0
    .vgpr_spill_count: 0
    .wavefront_size: 32
    .workgroup_processor_mode: 1
  - .args:
      - .offset:         0
        .size:           96
        .value_kind:     by_value
    .group_segment_fixed_size: 0
    .kernarg_segment_align: 8
    .kernarg_segment_size: 96
    .language:       OpenCL C
    .language_version:
      - 2
      - 0
    .max_flat_workgroup_size: 64
    .name:           _ZN7rocprim17ROCPRIM_400000_NS6detail17trampoline_kernelINS0_14default_configENS1_20scan_config_selectorIN3c108BFloat16EEEZZNS1_9scan_implILNS1_25lookback_scan_determinismE0ELb0ELb0ES3_PKS6_PS6_S6_ZZZN2at6native31launch_logcumsumexp_cuda_kernelERKNSD_10TensorBaseESH_lENKUlvE_clEvENKUlvE4_clEvEUlS6_S6_E_S6_EEDaPvRmT3_T4_T5_mT6_P12ihipStream_tbENKUlT_T0_E_clISt17integral_constantIbLb0EESY_EEDaST_SU_EUlST_E_NS1_11comp_targetILNS1_3genE4ELNS1_11target_archE910ELNS1_3gpuE8ELNS1_3repE0EEENS1_30default_config_static_selectorELNS0_4arch9wavefront6targetE0EEEvT1_
    .private_segment_fixed_size: 0
    .sgpr_count:     0
    .sgpr_spill_count: 0
    .symbol:         _ZN7rocprim17ROCPRIM_400000_NS6detail17trampoline_kernelINS0_14default_configENS1_20scan_config_selectorIN3c108BFloat16EEEZZNS1_9scan_implILNS1_25lookback_scan_determinismE0ELb0ELb0ES3_PKS6_PS6_S6_ZZZN2at6native31launch_logcumsumexp_cuda_kernelERKNSD_10TensorBaseESH_lENKUlvE_clEvENKUlvE4_clEvEUlS6_S6_E_S6_EEDaPvRmT3_T4_T5_mT6_P12ihipStream_tbENKUlT_T0_E_clISt17integral_constantIbLb0EESY_EEDaST_SU_EUlST_E_NS1_11comp_targetILNS1_3genE4ELNS1_11target_archE910ELNS1_3gpuE8ELNS1_3repE0EEENS1_30default_config_static_selectorELNS0_4arch9wavefront6targetE0EEEvT1_.kd
    .uniform_work_group_size: 1
    .uses_dynamic_stack: false
    .vgpr_count:     0
    .vgpr_spill_count: 0
    .wavefront_size: 32
    .workgroup_processor_mode: 1
  - .args:
      - .offset:         0
        .size:           96
        .value_kind:     by_value
    .group_segment_fixed_size: 0
    .kernarg_segment_align: 8
    .kernarg_segment_size: 96
    .language:       OpenCL C
    .language_version:
      - 2
      - 0
    .max_flat_workgroup_size: 128
    .name:           _ZN7rocprim17ROCPRIM_400000_NS6detail17trampoline_kernelINS0_14default_configENS1_20scan_config_selectorIN3c108BFloat16EEEZZNS1_9scan_implILNS1_25lookback_scan_determinismE0ELb0ELb0ES3_PKS6_PS6_S6_ZZZN2at6native31launch_logcumsumexp_cuda_kernelERKNSD_10TensorBaseESH_lENKUlvE_clEvENKUlvE4_clEvEUlS6_S6_E_S6_EEDaPvRmT3_T4_T5_mT6_P12ihipStream_tbENKUlT_T0_E_clISt17integral_constantIbLb0EESY_EEDaST_SU_EUlST_E_NS1_11comp_targetILNS1_3genE3ELNS1_11target_archE908ELNS1_3gpuE7ELNS1_3repE0EEENS1_30default_config_static_selectorELNS0_4arch9wavefront6targetE0EEEvT1_
    .private_segment_fixed_size: 0
    .sgpr_count:     0
    .sgpr_spill_count: 0
    .symbol:         _ZN7rocprim17ROCPRIM_400000_NS6detail17trampoline_kernelINS0_14default_configENS1_20scan_config_selectorIN3c108BFloat16EEEZZNS1_9scan_implILNS1_25lookback_scan_determinismE0ELb0ELb0ES3_PKS6_PS6_S6_ZZZN2at6native31launch_logcumsumexp_cuda_kernelERKNSD_10TensorBaseESH_lENKUlvE_clEvENKUlvE4_clEvEUlS6_S6_E_S6_EEDaPvRmT3_T4_T5_mT6_P12ihipStream_tbENKUlT_T0_E_clISt17integral_constantIbLb0EESY_EEDaST_SU_EUlST_E_NS1_11comp_targetILNS1_3genE3ELNS1_11target_archE908ELNS1_3gpuE7ELNS1_3repE0EEENS1_30default_config_static_selectorELNS0_4arch9wavefront6targetE0EEEvT1_.kd
    .uniform_work_group_size: 1
    .uses_dynamic_stack: false
    .vgpr_count:     0
    .vgpr_spill_count: 0
    .wavefront_size: 32
    .workgroup_processor_mode: 1
  - .args:
      - .offset:         0
        .size:           96
        .value_kind:     by_value
    .group_segment_fixed_size: 0
    .kernarg_segment_align: 8
    .kernarg_segment_size: 96
    .language:       OpenCL C
    .language_version:
      - 2
      - 0
    .max_flat_workgroup_size: 256
    .name:           _ZN7rocprim17ROCPRIM_400000_NS6detail17trampoline_kernelINS0_14default_configENS1_20scan_config_selectorIN3c108BFloat16EEEZZNS1_9scan_implILNS1_25lookback_scan_determinismE0ELb0ELb0ES3_PKS6_PS6_S6_ZZZN2at6native31launch_logcumsumexp_cuda_kernelERKNSD_10TensorBaseESH_lENKUlvE_clEvENKUlvE4_clEvEUlS6_S6_E_S6_EEDaPvRmT3_T4_T5_mT6_P12ihipStream_tbENKUlT_T0_E_clISt17integral_constantIbLb0EESY_EEDaST_SU_EUlST_E_NS1_11comp_targetILNS1_3genE2ELNS1_11target_archE906ELNS1_3gpuE6ELNS1_3repE0EEENS1_30default_config_static_selectorELNS0_4arch9wavefront6targetE0EEEvT1_
    .private_segment_fixed_size: 0
    .sgpr_count:     0
    .sgpr_spill_count: 0
    .symbol:         _ZN7rocprim17ROCPRIM_400000_NS6detail17trampoline_kernelINS0_14default_configENS1_20scan_config_selectorIN3c108BFloat16EEEZZNS1_9scan_implILNS1_25lookback_scan_determinismE0ELb0ELb0ES3_PKS6_PS6_S6_ZZZN2at6native31launch_logcumsumexp_cuda_kernelERKNSD_10TensorBaseESH_lENKUlvE_clEvENKUlvE4_clEvEUlS6_S6_E_S6_EEDaPvRmT3_T4_T5_mT6_P12ihipStream_tbENKUlT_T0_E_clISt17integral_constantIbLb0EESY_EEDaST_SU_EUlST_E_NS1_11comp_targetILNS1_3genE2ELNS1_11target_archE906ELNS1_3gpuE6ELNS1_3repE0EEENS1_30default_config_static_selectorELNS0_4arch9wavefront6targetE0EEEvT1_.kd
    .uniform_work_group_size: 1
    .uses_dynamic_stack: false
    .vgpr_count:     0
    .vgpr_spill_count: 0
    .wavefront_size: 32
    .workgroup_processor_mode: 1
  - .args:
      - .offset:         0
        .size:           96
        .value_kind:     by_value
    .group_segment_fixed_size: 0
    .kernarg_segment_align: 8
    .kernarg_segment_size: 96
    .language:       OpenCL C
    .language_version:
      - 2
      - 0
    .max_flat_workgroup_size: 256
    .name:           _ZN7rocprim17ROCPRIM_400000_NS6detail17trampoline_kernelINS0_14default_configENS1_20scan_config_selectorIN3c108BFloat16EEEZZNS1_9scan_implILNS1_25lookback_scan_determinismE0ELb0ELb0ES3_PKS6_PS6_S6_ZZZN2at6native31launch_logcumsumexp_cuda_kernelERKNSD_10TensorBaseESH_lENKUlvE_clEvENKUlvE4_clEvEUlS6_S6_E_S6_EEDaPvRmT3_T4_T5_mT6_P12ihipStream_tbENKUlT_T0_E_clISt17integral_constantIbLb0EESY_EEDaST_SU_EUlST_E_NS1_11comp_targetILNS1_3genE10ELNS1_11target_archE1201ELNS1_3gpuE5ELNS1_3repE0EEENS1_30default_config_static_selectorELNS0_4arch9wavefront6targetE0EEEvT1_
    .private_segment_fixed_size: 0
    .sgpr_count:     0
    .sgpr_spill_count: 0
    .symbol:         _ZN7rocprim17ROCPRIM_400000_NS6detail17trampoline_kernelINS0_14default_configENS1_20scan_config_selectorIN3c108BFloat16EEEZZNS1_9scan_implILNS1_25lookback_scan_determinismE0ELb0ELb0ES3_PKS6_PS6_S6_ZZZN2at6native31launch_logcumsumexp_cuda_kernelERKNSD_10TensorBaseESH_lENKUlvE_clEvENKUlvE4_clEvEUlS6_S6_E_S6_EEDaPvRmT3_T4_T5_mT6_P12ihipStream_tbENKUlT_T0_E_clISt17integral_constantIbLb0EESY_EEDaST_SU_EUlST_E_NS1_11comp_targetILNS1_3genE10ELNS1_11target_archE1201ELNS1_3gpuE5ELNS1_3repE0EEENS1_30default_config_static_selectorELNS0_4arch9wavefront6targetE0EEEvT1_.kd
    .uniform_work_group_size: 1
    .uses_dynamic_stack: false
    .vgpr_count:     0
    .vgpr_spill_count: 0
    .wavefront_size: 32
    .workgroup_processor_mode: 1
  - .args:
      - .offset:         0
        .size:           96
        .value_kind:     by_value
    .group_segment_fixed_size: 0
    .kernarg_segment_align: 8
    .kernarg_segment_size: 96
    .language:       OpenCL C
    .language_version:
      - 2
      - 0
    .max_flat_workgroup_size: 256
    .name:           _ZN7rocprim17ROCPRIM_400000_NS6detail17trampoline_kernelINS0_14default_configENS1_20scan_config_selectorIN3c108BFloat16EEEZZNS1_9scan_implILNS1_25lookback_scan_determinismE0ELb0ELb0ES3_PKS6_PS6_S6_ZZZN2at6native31launch_logcumsumexp_cuda_kernelERKNSD_10TensorBaseESH_lENKUlvE_clEvENKUlvE4_clEvEUlS6_S6_E_S6_EEDaPvRmT3_T4_T5_mT6_P12ihipStream_tbENKUlT_T0_E_clISt17integral_constantIbLb0EESY_EEDaST_SU_EUlST_E_NS1_11comp_targetILNS1_3genE10ELNS1_11target_archE1200ELNS1_3gpuE4ELNS1_3repE0EEENS1_30default_config_static_selectorELNS0_4arch9wavefront6targetE0EEEvT1_
    .private_segment_fixed_size: 0
    .sgpr_count:     0
    .sgpr_spill_count: 0
    .symbol:         _ZN7rocprim17ROCPRIM_400000_NS6detail17trampoline_kernelINS0_14default_configENS1_20scan_config_selectorIN3c108BFloat16EEEZZNS1_9scan_implILNS1_25lookback_scan_determinismE0ELb0ELb0ES3_PKS6_PS6_S6_ZZZN2at6native31launch_logcumsumexp_cuda_kernelERKNSD_10TensorBaseESH_lENKUlvE_clEvENKUlvE4_clEvEUlS6_S6_E_S6_EEDaPvRmT3_T4_T5_mT6_P12ihipStream_tbENKUlT_T0_E_clISt17integral_constantIbLb0EESY_EEDaST_SU_EUlST_E_NS1_11comp_targetILNS1_3genE10ELNS1_11target_archE1200ELNS1_3gpuE4ELNS1_3repE0EEENS1_30default_config_static_selectorELNS0_4arch9wavefront6targetE0EEEvT1_.kd
    .uniform_work_group_size: 1
    .uses_dynamic_stack: false
    .vgpr_count:     0
    .vgpr_spill_count: 0
    .wavefront_size: 32
    .workgroup_processor_mode: 1
  - .args:
      - .offset:         0
        .size:           96
        .value_kind:     by_value
      - .offset:         96
        .size:           4
        .value_kind:     hidden_block_count_x
      - .offset:         100
        .size:           4
        .value_kind:     hidden_block_count_y
      - .offset:         104
        .size:           4
        .value_kind:     hidden_block_count_z
      - .offset:         108
        .size:           2
        .value_kind:     hidden_group_size_x
      - .offset:         110
        .size:           2
        .value_kind:     hidden_group_size_y
      - .offset:         112
        .size:           2
        .value_kind:     hidden_group_size_z
      - .offset:         114
        .size:           2
        .value_kind:     hidden_remainder_x
      - .offset:         116
        .size:           2
        .value_kind:     hidden_remainder_y
      - .offset:         118
        .size:           2
        .value_kind:     hidden_remainder_z
      - .offset:         136
        .size:           8
        .value_kind:     hidden_global_offset_x
      - .offset:         144
        .size:           8
        .value_kind:     hidden_global_offset_y
      - .offset:         152
        .size:           8
        .value_kind:     hidden_global_offset_z
      - .offset:         160
        .size:           2
        .value_kind:     hidden_grid_dims
    .group_segment_fixed_size: 2816
    .kernarg_segment_align: 8
    .kernarg_segment_size: 352
    .language:       OpenCL C
    .language_version:
      - 2
      - 0
    .max_flat_workgroup_size: 64
    .name:           _ZN7rocprim17ROCPRIM_400000_NS6detail17trampoline_kernelINS0_14default_configENS1_20scan_config_selectorIN3c108BFloat16EEEZZNS1_9scan_implILNS1_25lookback_scan_determinismE0ELb0ELb0ES3_PKS6_PS6_S6_ZZZN2at6native31launch_logcumsumexp_cuda_kernelERKNSD_10TensorBaseESH_lENKUlvE_clEvENKUlvE4_clEvEUlS6_S6_E_S6_EEDaPvRmT3_T4_T5_mT6_P12ihipStream_tbENKUlT_T0_E_clISt17integral_constantIbLb0EESY_EEDaST_SU_EUlST_E_NS1_11comp_targetILNS1_3genE9ELNS1_11target_archE1100ELNS1_3gpuE3ELNS1_3repE0EEENS1_30default_config_static_selectorELNS0_4arch9wavefront6targetE0EEEvT1_
    .private_segment_fixed_size: 120
    .sgpr_count:     46
    .sgpr_spill_count: 0
    .symbol:         _ZN7rocprim17ROCPRIM_400000_NS6detail17trampoline_kernelINS0_14default_configENS1_20scan_config_selectorIN3c108BFloat16EEEZZNS1_9scan_implILNS1_25lookback_scan_determinismE0ELb0ELb0ES3_PKS6_PS6_S6_ZZZN2at6native31launch_logcumsumexp_cuda_kernelERKNSD_10TensorBaseESH_lENKUlvE_clEvENKUlvE4_clEvEUlS6_S6_E_S6_EEDaPvRmT3_T4_T5_mT6_P12ihipStream_tbENKUlT_T0_E_clISt17integral_constantIbLb0EESY_EEDaST_SU_EUlST_E_NS1_11comp_targetILNS1_3genE9ELNS1_11target_archE1100ELNS1_3gpuE3ELNS1_3repE0EEENS1_30default_config_static_selectorELNS0_4arch9wavefront6targetE0EEEvT1_.kd
    .uniform_work_group_size: 1
    .uses_dynamic_stack: false
    .vgpr_count:     197
    .vgpr_spill_count: 0
    .wavefront_size: 32
    .workgroup_processor_mode: 1
  - .args:
      - .offset:         0
        .size:           96
        .value_kind:     by_value
    .group_segment_fixed_size: 0
    .kernarg_segment_align: 8
    .kernarg_segment_size: 96
    .language:       OpenCL C
    .language_version:
      - 2
      - 0
    .max_flat_workgroup_size: 64
    .name:           _ZN7rocprim17ROCPRIM_400000_NS6detail17trampoline_kernelINS0_14default_configENS1_20scan_config_selectorIN3c108BFloat16EEEZZNS1_9scan_implILNS1_25lookback_scan_determinismE0ELb0ELb0ES3_PKS6_PS6_S6_ZZZN2at6native31launch_logcumsumexp_cuda_kernelERKNSD_10TensorBaseESH_lENKUlvE_clEvENKUlvE4_clEvEUlS6_S6_E_S6_EEDaPvRmT3_T4_T5_mT6_P12ihipStream_tbENKUlT_T0_E_clISt17integral_constantIbLb0EESY_EEDaST_SU_EUlST_E_NS1_11comp_targetILNS1_3genE8ELNS1_11target_archE1030ELNS1_3gpuE2ELNS1_3repE0EEENS1_30default_config_static_selectorELNS0_4arch9wavefront6targetE0EEEvT1_
    .private_segment_fixed_size: 0
    .sgpr_count:     0
    .sgpr_spill_count: 0
    .symbol:         _ZN7rocprim17ROCPRIM_400000_NS6detail17trampoline_kernelINS0_14default_configENS1_20scan_config_selectorIN3c108BFloat16EEEZZNS1_9scan_implILNS1_25lookback_scan_determinismE0ELb0ELb0ES3_PKS6_PS6_S6_ZZZN2at6native31launch_logcumsumexp_cuda_kernelERKNSD_10TensorBaseESH_lENKUlvE_clEvENKUlvE4_clEvEUlS6_S6_E_S6_EEDaPvRmT3_T4_T5_mT6_P12ihipStream_tbENKUlT_T0_E_clISt17integral_constantIbLb0EESY_EEDaST_SU_EUlST_E_NS1_11comp_targetILNS1_3genE8ELNS1_11target_archE1030ELNS1_3gpuE2ELNS1_3repE0EEENS1_30default_config_static_selectorELNS0_4arch9wavefront6targetE0EEEvT1_.kd
    .uniform_work_group_size: 1
    .uses_dynamic_stack: false
    .vgpr_count:     0
    .vgpr_spill_count: 0
    .wavefront_size: 32
    .workgroup_processor_mode: 1
  - .args:
      - .offset:         0
        .size:           40
        .value_kind:     by_value
    .group_segment_fixed_size: 0
    .kernarg_segment_align: 8
    .kernarg_segment_size: 40
    .language:       OpenCL C
    .language_version:
      - 2
      - 0
    .max_flat_workgroup_size: 128
    .name:           _ZN7rocprim17ROCPRIM_400000_NS6detail17trampoline_kernelINS0_14default_configENS1_25transform_config_selectorIN3c108BFloat16ELb1EEEZNS1_14transform_implILb1ES3_S7_PS6_S9_NS0_8identityIS6_EEEE10hipError_tT2_T3_mT4_P12ihipStream_tbEUlT_E_NS1_11comp_targetILNS1_3genE0ELNS1_11target_archE4294967295ELNS1_3gpuE0ELNS1_3repE0EEENS1_30default_config_static_selectorELNS0_4arch9wavefront6targetE0EEEvT1_
    .private_segment_fixed_size: 0
    .sgpr_count:     0
    .sgpr_spill_count: 0
    .symbol:         _ZN7rocprim17ROCPRIM_400000_NS6detail17trampoline_kernelINS0_14default_configENS1_25transform_config_selectorIN3c108BFloat16ELb1EEEZNS1_14transform_implILb1ES3_S7_PS6_S9_NS0_8identityIS6_EEEE10hipError_tT2_T3_mT4_P12ihipStream_tbEUlT_E_NS1_11comp_targetILNS1_3genE0ELNS1_11target_archE4294967295ELNS1_3gpuE0ELNS1_3repE0EEENS1_30default_config_static_selectorELNS0_4arch9wavefront6targetE0EEEvT1_.kd
    .uniform_work_group_size: 1
    .uses_dynamic_stack: false
    .vgpr_count:     0
    .vgpr_spill_count: 0
    .wavefront_size: 32
    .workgroup_processor_mode: 1
  - .args:
      - .offset:         0
        .size:           40
        .value_kind:     by_value
    .group_segment_fixed_size: 0
    .kernarg_segment_align: 8
    .kernarg_segment_size: 40
    .language:       OpenCL C
    .language_version:
      - 2
      - 0
    .max_flat_workgroup_size: 64
    .name:           _ZN7rocprim17ROCPRIM_400000_NS6detail17trampoline_kernelINS0_14default_configENS1_25transform_config_selectorIN3c108BFloat16ELb1EEEZNS1_14transform_implILb1ES3_S7_PS6_S9_NS0_8identityIS6_EEEE10hipError_tT2_T3_mT4_P12ihipStream_tbEUlT_E_NS1_11comp_targetILNS1_3genE10ELNS1_11target_archE1201ELNS1_3gpuE5ELNS1_3repE0EEENS1_30default_config_static_selectorELNS0_4arch9wavefront6targetE0EEEvT1_
    .private_segment_fixed_size: 0
    .sgpr_count:     0
    .sgpr_spill_count: 0
    .symbol:         _ZN7rocprim17ROCPRIM_400000_NS6detail17trampoline_kernelINS0_14default_configENS1_25transform_config_selectorIN3c108BFloat16ELb1EEEZNS1_14transform_implILb1ES3_S7_PS6_S9_NS0_8identityIS6_EEEE10hipError_tT2_T3_mT4_P12ihipStream_tbEUlT_E_NS1_11comp_targetILNS1_3genE10ELNS1_11target_archE1201ELNS1_3gpuE5ELNS1_3repE0EEENS1_30default_config_static_selectorELNS0_4arch9wavefront6targetE0EEEvT1_.kd
    .uniform_work_group_size: 1
    .uses_dynamic_stack: false
    .vgpr_count:     0
    .vgpr_spill_count: 0
    .wavefront_size: 32
    .workgroup_processor_mode: 1
  - .args:
      - .offset:         0
        .size:           40
        .value_kind:     by_value
    .group_segment_fixed_size: 0
    .kernarg_segment_align: 8
    .kernarg_segment_size: 40
    .language:       OpenCL C
    .language_version:
      - 2
      - 0
    .max_flat_workgroup_size: 256
    .name:           _ZN7rocprim17ROCPRIM_400000_NS6detail17trampoline_kernelINS0_14default_configENS1_25transform_config_selectorIN3c108BFloat16ELb1EEEZNS1_14transform_implILb1ES3_S7_PS6_S9_NS0_8identityIS6_EEEE10hipError_tT2_T3_mT4_P12ihipStream_tbEUlT_E_NS1_11comp_targetILNS1_3genE5ELNS1_11target_archE942ELNS1_3gpuE9ELNS1_3repE0EEENS1_30default_config_static_selectorELNS0_4arch9wavefront6targetE0EEEvT1_
    .private_segment_fixed_size: 0
    .sgpr_count:     0
    .sgpr_spill_count: 0
    .symbol:         _ZN7rocprim17ROCPRIM_400000_NS6detail17trampoline_kernelINS0_14default_configENS1_25transform_config_selectorIN3c108BFloat16ELb1EEEZNS1_14transform_implILb1ES3_S7_PS6_S9_NS0_8identityIS6_EEEE10hipError_tT2_T3_mT4_P12ihipStream_tbEUlT_E_NS1_11comp_targetILNS1_3genE5ELNS1_11target_archE942ELNS1_3gpuE9ELNS1_3repE0EEENS1_30default_config_static_selectorELNS0_4arch9wavefront6targetE0EEEvT1_.kd
    .uniform_work_group_size: 1
    .uses_dynamic_stack: false
    .vgpr_count:     0
    .vgpr_spill_count: 0
    .wavefront_size: 32
    .workgroup_processor_mode: 1
  - .args:
      - .offset:         0
        .size:           40
        .value_kind:     by_value
    .group_segment_fixed_size: 0
    .kernarg_segment_align: 8
    .kernarg_segment_size: 40
    .language:       OpenCL C
    .language_version:
      - 2
      - 0
    .max_flat_workgroup_size: 1024
    .name:           _ZN7rocprim17ROCPRIM_400000_NS6detail17trampoline_kernelINS0_14default_configENS1_25transform_config_selectorIN3c108BFloat16ELb1EEEZNS1_14transform_implILb1ES3_S7_PS6_S9_NS0_8identityIS6_EEEE10hipError_tT2_T3_mT4_P12ihipStream_tbEUlT_E_NS1_11comp_targetILNS1_3genE4ELNS1_11target_archE910ELNS1_3gpuE8ELNS1_3repE0EEENS1_30default_config_static_selectorELNS0_4arch9wavefront6targetE0EEEvT1_
    .private_segment_fixed_size: 0
    .sgpr_count:     0
    .sgpr_spill_count: 0
    .symbol:         _ZN7rocprim17ROCPRIM_400000_NS6detail17trampoline_kernelINS0_14default_configENS1_25transform_config_selectorIN3c108BFloat16ELb1EEEZNS1_14transform_implILb1ES3_S7_PS6_S9_NS0_8identityIS6_EEEE10hipError_tT2_T3_mT4_P12ihipStream_tbEUlT_E_NS1_11comp_targetILNS1_3genE4ELNS1_11target_archE910ELNS1_3gpuE8ELNS1_3repE0EEENS1_30default_config_static_selectorELNS0_4arch9wavefront6targetE0EEEvT1_.kd
    .uniform_work_group_size: 1
    .uses_dynamic_stack: false
    .vgpr_count:     0
    .vgpr_spill_count: 0
    .wavefront_size: 32
    .workgroup_processor_mode: 1
  - .args:
      - .offset:         0
        .size:           40
        .value_kind:     by_value
    .group_segment_fixed_size: 0
    .kernarg_segment_align: 8
    .kernarg_segment_size: 40
    .language:       OpenCL C
    .language_version:
      - 2
      - 0
    .max_flat_workgroup_size: 128
    .name:           _ZN7rocprim17ROCPRIM_400000_NS6detail17trampoline_kernelINS0_14default_configENS1_25transform_config_selectorIN3c108BFloat16ELb1EEEZNS1_14transform_implILb1ES3_S7_PS6_S9_NS0_8identityIS6_EEEE10hipError_tT2_T3_mT4_P12ihipStream_tbEUlT_E_NS1_11comp_targetILNS1_3genE3ELNS1_11target_archE908ELNS1_3gpuE7ELNS1_3repE0EEENS1_30default_config_static_selectorELNS0_4arch9wavefront6targetE0EEEvT1_
    .private_segment_fixed_size: 0
    .sgpr_count:     0
    .sgpr_spill_count: 0
    .symbol:         _ZN7rocprim17ROCPRIM_400000_NS6detail17trampoline_kernelINS0_14default_configENS1_25transform_config_selectorIN3c108BFloat16ELb1EEEZNS1_14transform_implILb1ES3_S7_PS6_S9_NS0_8identityIS6_EEEE10hipError_tT2_T3_mT4_P12ihipStream_tbEUlT_E_NS1_11comp_targetILNS1_3genE3ELNS1_11target_archE908ELNS1_3gpuE7ELNS1_3repE0EEENS1_30default_config_static_selectorELNS0_4arch9wavefront6targetE0EEEvT1_.kd
    .uniform_work_group_size: 1
    .uses_dynamic_stack: false
    .vgpr_count:     0
    .vgpr_spill_count: 0
    .wavefront_size: 32
    .workgroup_processor_mode: 1
  - .args:
      - .offset:         0
        .size:           40
        .value_kind:     by_value
    .group_segment_fixed_size: 0
    .kernarg_segment_align: 8
    .kernarg_segment_size: 40
    .language:       OpenCL C
    .language_version:
      - 2
      - 0
    .max_flat_workgroup_size: 1024
    .name:           _ZN7rocprim17ROCPRIM_400000_NS6detail17trampoline_kernelINS0_14default_configENS1_25transform_config_selectorIN3c108BFloat16ELb1EEEZNS1_14transform_implILb1ES3_S7_PS6_S9_NS0_8identityIS6_EEEE10hipError_tT2_T3_mT4_P12ihipStream_tbEUlT_E_NS1_11comp_targetILNS1_3genE2ELNS1_11target_archE906ELNS1_3gpuE6ELNS1_3repE0EEENS1_30default_config_static_selectorELNS0_4arch9wavefront6targetE0EEEvT1_
    .private_segment_fixed_size: 0
    .sgpr_count:     0
    .sgpr_spill_count: 0
    .symbol:         _ZN7rocprim17ROCPRIM_400000_NS6detail17trampoline_kernelINS0_14default_configENS1_25transform_config_selectorIN3c108BFloat16ELb1EEEZNS1_14transform_implILb1ES3_S7_PS6_S9_NS0_8identityIS6_EEEE10hipError_tT2_T3_mT4_P12ihipStream_tbEUlT_E_NS1_11comp_targetILNS1_3genE2ELNS1_11target_archE906ELNS1_3gpuE6ELNS1_3repE0EEENS1_30default_config_static_selectorELNS0_4arch9wavefront6targetE0EEEvT1_.kd
    .uniform_work_group_size: 1
    .uses_dynamic_stack: false
    .vgpr_count:     0
    .vgpr_spill_count: 0
    .wavefront_size: 32
    .workgroup_processor_mode: 1
  - .args:
      - .offset:         0
        .size:           40
        .value_kind:     by_value
      - .offset:         40
        .size:           4
        .value_kind:     hidden_block_count_x
      - .offset:         44
        .size:           4
        .value_kind:     hidden_block_count_y
      - .offset:         48
        .size:           4
        .value_kind:     hidden_block_count_z
      - .offset:         52
        .size:           2
        .value_kind:     hidden_group_size_x
      - .offset:         54
        .size:           2
        .value_kind:     hidden_group_size_y
      - .offset:         56
        .size:           2
        .value_kind:     hidden_group_size_z
      - .offset:         58
        .size:           2
        .value_kind:     hidden_remainder_x
      - .offset:         60
        .size:           2
        .value_kind:     hidden_remainder_y
      - .offset:         62
        .size:           2
        .value_kind:     hidden_remainder_z
      - .offset:         80
        .size:           8
        .value_kind:     hidden_global_offset_x
      - .offset:         88
        .size:           8
        .value_kind:     hidden_global_offset_y
      - .offset:         96
        .size:           8
        .value_kind:     hidden_global_offset_z
      - .offset:         104
        .size:           2
        .value_kind:     hidden_grid_dims
    .group_segment_fixed_size: 0
    .kernarg_segment_align: 8
    .kernarg_segment_size: 296
    .language:       OpenCL C
    .language_version:
      - 2
      - 0
    .max_flat_workgroup_size: 1024
    .name:           _ZN7rocprim17ROCPRIM_400000_NS6detail17trampoline_kernelINS0_14default_configENS1_25transform_config_selectorIN3c108BFloat16ELb1EEEZNS1_14transform_implILb1ES3_S7_PS6_S9_NS0_8identityIS6_EEEE10hipError_tT2_T3_mT4_P12ihipStream_tbEUlT_E_NS1_11comp_targetILNS1_3genE9ELNS1_11target_archE1100ELNS1_3gpuE3ELNS1_3repE0EEENS1_30default_config_static_selectorELNS0_4arch9wavefront6targetE0EEEvT1_
    .private_segment_fixed_size: 0
    .sgpr_count:     18
    .sgpr_spill_count: 0
    .symbol:         _ZN7rocprim17ROCPRIM_400000_NS6detail17trampoline_kernelINS0_14default_configENS1_25transform_config_selectorIN3c108BFloat16ELb1EEEZNS1_14transform_implILb1ES3_S7_PS6_S9_NS0_8identityIS6_EEEE10hipError_tT2_T3_mT4_P12ihipStream_tbEUlT_E_NS1_11comp_targetILNS1_3genE9ELNS1_11target_archE1100ELNS1_3gpuE3ELNS1_3repE0EEENS1_30default_config_static_selectorELNS0_4arch9wavefront6targetE0EEEvT1_.kd
    .uniform_work_group_size: 1
    .uses_dynamic_stack: false
    .vgpr_count:     5
    .vgpr_spill_count: 0
    .wavefront_size: 32
    .workgroup_processor_mode: 1
  - .args:
      - .offset:         0
        .size:           40
        .value_kind:     by_value
    .group_segment_fixed_size: 0
    .kernarg_segment_align: 8
    .kernarg_segment_size: 40
    .language:       OpenCL C
    .language_version:
      - 2
      - 0
    .max_flat_workgroup_size: 1024
    .name:           _ZN7rocprim17ROCPRIM_400000_NS6detail17trampoline_kernelINS0_14default_configENS1_25transform_config_selectorIN3c108BFloat16ELb1EEEZNS1_14transform_implILb1ES3_S7_PS6_S9_NS0_8identityIS6_EEEE10hipError_tT2_T3_mT4_P12ihipStream_tbEUlT_E_NS1_11comp_targetILNS1_3genE8ELNS1_11target_archE1030ELNS1_3gpuE2ELNS1_3repE0EEENS1_30default_config_static_selectorELNS0_4arch9wavefront6targetE0EEEvT1_
    .private_segment_fixed_size: 0
    .sgpr_count:     0
    .sgpr_spill_count: 0
    .symbol:         _ZN7rocprim17ROCPRIM_400000_NS6detail17trampoline_kernelINS0_14default_configENS1_25transform_config_selectorIN3c108BFloat16ELb1EEEZNS1_14transform_implILb1ES3_S7_PS6_S9_NS0_8identityIS6_EEEE10hipError_tT2_T3_mT4_P12ihipStream_tbEUlT_E_NS1_11comp_targetILNS1_3genE8ELNS1_11target_archE1030ELNS1_3gpuE2ELNS1_3repE0EEENS1_30default_config_static_selectorELNS0_4arch9wavefront6targetE0EEEvT1_.kd
    .uniform_work_group_size: 1
    .uses_dynamic_stack: false
    .vgpr_count:     0
    .vgpr_spill_count: 0
    .wavefront_size: 32
    .workgroup_processor_mode: 1
  - .args:
      - .offset:         0
        .size:           32
        .value_kind:     by_value
    .group_segment_fixed_size: 0
    .kernarg_segment_align: 8
    .kernarg_segment_size: 32
    .language:       OpenCL C
    .language_version:
      - 2
      - 0
    .max_flat_workgroup_size: 128
    .name:           _ZN7rocprim17ROCPRIM_400000_NS6detail17trampoline_kernelINS0_14default_configENS1_20scan_config_selectorIN3c108BFloat16EEEZZNS1_9scan_implILNS1_25lookback_scan_determinismE0ELb0ELb0ES3_PKS6_PS6_S6_ZZZN2at6native31launch_logcumsumexp_cuda_kernelERKNSD_10TensorBaseESH_lENKUlvE_clEvENKUlvE4_clEvEUlS6_S6_E_S6_EEDaPvRmT3_T4_T5_mT6_P12ihipStream_tbENKUlT_T0_E_clISt17integral_constantIbLb0EESY_EEDaST_SU_EUlST_E0_NS1_11comp_targetILNS1_3genE0ELNS1_11target_archE4294967295ELNS1_3gpuE0ELNS1_3repE0EEENS1_30default_config_static_selectorELNS0_4arch9wavefront6targetE0EEEvT1_
    .private_segment_fixed_size: 0
    .sgpr_count:     0
    .sgpr_spill_count: 0
    .symbol:         _ZN7rocprim17ROCPRIM_400000_NS6detail17trampoline_kernelINS0_14default_configENS1_20scan_config_selectorIN3c108BFloat16EEEZZNS1_9scan_implILNS1_25lookback_scan_determinismE0ELb0ELb0ES3_PKS6_PS6_S6_ZZZN2at6native31launch_logcumsumexp_cuda_kernelERKNSD_10TensorBaseESH_lENKUlvE_clEvENKUlvE4_clEvEUlS6_S6_E_S6_EEDaPvRmT3_T4_T5_mT6_P12ihipStream_tbENKUlT_T0_E_clISt17integral_constantIbLb0EESY_EEDaST_SU_EUlST_E0_NS1_11comp_targetILNS1_3genE0ELNS1_11target_archE4294967295ELNS1_3gpuE0ELNS1_3repE0EEENS1_30default_config_static_selectorELNS0_4arch9wavefront6targetE0EEEvT1_.kd
    .uniform_work_group_size: 1
    .uses_dynamic_stack: false
    .vgpr_count:     0
    .vgpr_spill_count: 0
    .wavefront_size: 32
    .workgroup_processor_mode: 1
  - .args:
      - .offset:         0
        .size:           32
        .value_kind:     by_value
    .group_segment_fixed_size: 0
    .kernarg_segment_align: 8
    .kernarg_segment_size: 32
    .language:       OpenCL C
    .language_version:
      - 2
      - 0
    .max_flat_workgroup_size: 256
    .name:           _ZN7rocprim17ROCPRIM_400000_NS6detail17trampoline_kernelINS0_14default_configENS1_20scan_config_selectorIN3c108BFloat16EEEZZNS1_9scan_implILNS1_25lookback_scan_determinismE0ELb0ELb0ES3_PKS6_PS6_S6_ZZZN2at6native31launch_logcumsumexp_cuda_kernelERKNSD_10TensorBaseESH_lENKUlvE_clEvENKUlvE4_clEvEUlS6_S6_E_S6_EEDaPvRmT3_T4_T5_mT6_P12ihipStream_tbENKUlT_T0_E_clISt17integral_constantIbLb0EESY_EEDaST_SU_EUlST_E0_NS1_11comp_targetILNS1_3genE5ELNS1_11target_archE942ELNS1_3gpuE9ELNS1_3repE0EEENS1_30default_config_static_selectorELNS0_4arch9wavefront6targetE0EEEvT1_
    .private_segment_fixed_size: 0
    .sgpr_count:     0
    .sgpr_spill_count: 0
    .symbol:         _ZN7rocprim17ROCPRIM_400000_NS6detail17trampoline_kernelINS0_14default_configENS1_20scan_config_selectorIN3c108BFloat16EEEZZNS1_9scan_implILNS1_25lookback_scan_determinismE0ELb0ELb0ES3_PKS6_PS6_S6_ZZZN2at6native31launch_logcumsumexp_cuda_kernelERKNSD_10TensorBaseESH_lENKUlvE_clEvENKUlvE4_clEvEUlS6_S6_E_S6_EEDaPvRmT3_T4_T5_mT6_P12ihipStream_tbENKUlT_T0_E_clISt17integral_constantIbLb0EESY_EEDaST_SU_EUlST_E0_NS1_11comp_targetILNS1_3genE5ELNS1_11target_archE942ELNS1_3gpuE9ELNS1_3repE0EEENS1_30default_config_static_selectorELNS0_4arch9wavefront6targetE0EEEvT1_.kd
    .uniform_work_group_size: 1
    .uses_dynamic_stack: false
    .vgpr_count:     0
    .vgpr_spill_count: 0
    .wavefront_size: 32
    .workgroup_processor_mode: 1
  - .args:
      - .offset:         0
        .size:           32
        .value_kind:     by_value
    .group_segment_fixed_size: 0
    .kernarg_segment_align: 8
    .kernarg_segment_size: 32
    .language:       OpenCL C
    .language_version:
      - 2
      - 0
    .max_flat_workgroup_size: 64
    .name:           _ZN7rocprim17ROCPRIM_400000_NS6detail17trampoline_kernelINS0_14default_configENS1_20scan_config_selectorIN3c108BFloat16EEEZZNS1_9scan_implILNS1_25lookback_scan_determinismE0ELb0ELb0ES3_PKS6_PS6_S6_ZZZN2at6native31launch_logcumsumexp_cuda_kernelERKNSD_10TensorBaseESH_lENKUlvE_clEvENKUlvE4_clEvEUlS6_S6_E_S6_EEDaPvRmT3_T4_T5_mT6_P12ihipStream_tbENKUlT_T0_E_clISt17integral_constantIbLb0EESY_EEDaST_SU_EUlST_E0_NS1_11comp_targetILNS1_3genE4ELNS1_11target_archE910ELNS1_3gpuE8ELNS1_3repE0EEENS1_30default_config_static_selectorELNS0_4arch9wavefront6targetE0EEEvT1_
    .private_segment_fixed_size: 0
    .sgpr_count:     0
    .sgpr_spill_count: 0
    .symbol:         _ZN7rocprim17ROCPRIM_400000_NS6detail17trampoline_kernelINS0_14default_configENS1_20scan_config_selectorIN3c108BFloat16EEEZZNS1_9scan_implILNS1_25lookback_scan_determinismE0ELb0ELb0ES3_PKS6_PS6_S6_ZZZN2at6native31launch_logcumsumexp_cuda_kernelERKNSD_10TensorBaseESH_lENKUlvE_clEvENKUlvE4_clEvEUlS6_S6_E_S6_EEDaPvRmT3_T4_T5_mT6_P12ihipStream_tbENKUlT_T0_E_clISt17integral_constantIbLb0EESY_EEDaST_SU_EUlST_E0_NS1_11comp_targetILNS1_3genE4ELNS1_11target_archE910ELNS1_3gpuE8ELNS1_3repE0EEENS1_30default_config_static_selectorELNS0_4arch9wavefront6targetE0EEEvT1_.kd
    .uniform_work_group_size: 1
    .uses_dynamic_stack: false
    .vgpr_count:     0
    .vgpr_spill_count: 0
    .wavefront_size: 32
    .workgroup_processor_mode: 1
  - .args:
      - .offset:         0
        .size:           32
        .value_kind:     by_value
    .group_segment_fixed_size: 0
    .kernarg_segment_align: 8
    .kernarg_segment_size: 32
    .language:       OpenCL C
    .language_version:
      - 2
      - 0
    .max_flat_workgroup_size: 128
    .name:           _ZN7rocprim17ROCPRIM_400000_NS6detail17trampoline_kernelINS0_14default_configENS1_20scan_config_selectorIN3c108BFloat16EEEZZNS1_9scan_implILNS1_25lookback_scan_determinismE0ELb0ELb0ES3_PKS6_PS6_S6_ZZZN2at6native31launch_logcumsumexp_cuda_kernelERKNSD_10TensorBaseESH_lENKUlvE_clEvENKUlvE4_clEvEUlS6_S6_E_S6_EEDaPvRmT3_T4_T5_mT6_P12ihipStream_tbENKUlT_T0_E_clISt17integral_constantIbLb0EESY_EEDaST_SU_EUlST_E0_NS1_11comp_targetILNS1_3genE3ELNS1_11target_archE908ELNS1_3gpuE7ELNS1_3repE0EEENS1_30default_config_static_selectorELNS0_4arch9wavefront6targetE0EEEvT1_
    .private_segment_fixed_size: 0
    .sgpr_count:     0
    .sgpr_spill_count: 0
    .symbol:         _ZN7rocprim17ROCPRIM_400000_NS6detail17trampoline_kernelINS0_14default_configENS1_20scan_config_selectorIN3c108BFloat16EEEZZNS1_9scan_implILNS1_25lookback_scan_determinismE0ELb0ELb0ES3_PKS6_PS6_S6_ZZZN2at6native31launch_logcumsumexp_cuda_kernelERKNSD_10TensorBaseESH_lENKUlvE_clEvENKUlvE4_clEvEUlS6_S6_E_S6_EEDaPvRmT3_T4_T5_mT6_P12ihipStream_tbENKUlT_T0_E_clISt17integral_constantIbLb0EESY_EEDaST_SU_EUlST_E0_NS1_11comp_targetILNS1_3genE3ELNS1_11target_archE908ELNS1_3gpuE7ELNS1_3repE0EEENS1_30default_config_static_selectorELNS0_4arch9wavefront6targetE0EEEvT1_.kd
    .uniform_work_group_size: 1
    .uses_dynamic_stack: false
    .vgpr_count:     0
    .vgpr_spill_count: 0
    .wavefront_size: 32
    .workgroup_processor_mode: 1
  - .args:
      - .offset:         0
        .size:           32
        .value_kind:     by_value
    .group_segment_fixed_size: 0
    .kernarg_segment_align: 8
    .kernarg_segment_size: 32
    .language:       OpenCL C
    .language_version:
      - 2
      - 0
    .max_flat_workgroup_size: 256
    .name:           _ZN7rocprim17ROCPRIM_400000_NS6detail17trampoline_kernelINS0_14default_configENS1_20scan_config_selectorIN3c108BFloat16EEEZZNS1_9scan_implILNS1_25lookback_scan_determinismE0ELb0ELb0ES3_PKS6_PS6_S6_ZZZN2at6native31launch_logcumsumexp_cuda_kernelERKNSD_10TensorBaseESH_lENKUlvE_clEvENKUlvE4_clEvEUlS6_S6_E_S6_EEDaPvRmT3_T4_T5_mT6_P12ihipStream_tbENKUlT_T0_E_clISt17integral_constantIbLb0EESY_EEDaST_SU_EUlST_E0_NS1_11comp_targetILNS1_3genE2ELNS1_11target_archE906ELNS1_3gpuE6ELNS1_3repE0EEENS1_30default_config_static_selectorELNS0_4arch9wavefront6targetE0EEEvT1_
    .private_segment_fixed_size: 0
    .sgpr_count:     0
    .sgpr_spill_count: 0
    .symbol:         _ZN7rocprim17ROCPRIM_400000_NS6detail17trampoline_kernelINS0_14default_configENS1_20scan_config_selectorIN3c108BFloat16EEEZZNS1_9scan_implILNS1_25lookback_scan_determinismE0ELb0ELb0ES3_PKS6_PS6_S6_ZZZN2at6native31launch_logcumsumexp_cuda_kernelERKNSD_10TensorBaseESH_lENKUlvE_clEvENKUlvE4_clEvEUlS6_S6_E_S6_EEDaPvRmT3_T4_T5_mT6_P12ihipStream_tbENKUlT_T0_E_clISt17integral_constantIbLb0EESY_EEDaST_SU_EUlST_E0_NS1_11comp_targetILNS1_3genE2ELNS1_11target_archE906ELNS1_3gpuE6ELNS1_3repE0EEENS1_30default_config_static_selectorELNS0_4arch9wavefront6targetE0EEEvT1_.kd
    .uniform_work_group_size: 1
    .uses_dynamic_stack: false
    .vgpr_count:     0
    .vgpr_spill_count: 0
    .wavefront_size: 32
    .workgroup_processor_mode: 1
  - .args:
      - .offset:         0
        .size:           32
        .value_kind:     by_value
    .group_segment_fixed_size: 0
    .kernarg_segment_align: 8
    .kernarg_segment_size: 32
    .language:       OpenCL C
    .language_version:
      - 2
      - 0
    .max_flat_workgroup_size: 256
    .name:           _ZN7rocprim17ROCPRIM_400000_NS6detail17trampoline_kernelINS0_14default_configENS1_20scan_config_selectorIN3c108BFloat16EEEZZNS1_9scan_implILNS1_25lookback_scan_determinismE0ELb0ELb0ES3_PKS6_PS6_S6_ZZZN2at6native31launch_logcumsumexp_cuda_kernelERKNSD_10TensorBaseESH_lENKUlvE_clEvENKUlvE4_clEvEUlS6_S6_E_S6_EEDaPvRmT3_T4_T5_mT6_P12ihipStream_tbENKUlT_T0_E_clISt17integral_constantIbLb0EESY_EEDaST_SU_EUlST_E0_NS1_11comp_targetILNS1_3genE10ELNS1_11target_archE1201ELNS1_3gpuE5ELNS1_3repE0EEENS1_30default_config_static_selectorELNS0_4arch9wavefront6targetE0EEEvT1_
    .private_segment_fixed_size: 0
    .sgpr_count:     0
    .sgpr_spill_count: 0
    .symbol:         _ZN7rocprim17ROCPRIM_400000_NS6detail17trampoline_kernelINS0_14default_configENS1_20scan_config_selectorIN3c108BFloat16EEEZZNS1_9scan_implILNS1_25lookback_scan_determinismE0ELb0ELb0ES3_PKS6_PS6_S6_ZZZN2at6native31launch_logcumsumexp_cuda_kernelERKNSD_10TensorBaseESH_lENKUlvE_clEvENKUlvE4_clEvEUlS6_S6_E_S6_EEDaPvRmT3_T4_T5_mT6_P12ihipStream_tbENKUlT_T0_E_clISt17integral_constantIbLb0EESY_EEDaST_SU_EUlST_E0_NS1_11comp_targetILNS1_3genE10ELNS1_11target_archE1201ELNS1_3gpuE5ELNS1_3repE0EEENS1_30default_config_static_selectorELNS0_4arch9wavefront6targetE0EEEvT1_.kd
    .uniform_work_group_size: 1
    .uses_dynamic_stack: false
    .vgpr_count:     0
    .vgpr_spill_count: 0
    .wavefront_size: 32
    .workgroup_processor_mode: 1
  - .args:
      - .offset:         0
        .size:           32
        .value_kind:     by_value
    .group_segment_fixed_size: 0
    .kernarg_segment_align: 8
    .kernarg_segment_size: 32
    .language:       OpenCL C
    .language_version:
      - 2
      - 0
    .max_flat_workgroup_size: 256
    .name:           _ZN7rocprim17ROCPRIM_400000_NS6detail17trampoline_kernelINS0_14default_configENS1_20scan_config_selectorIN3c108BFloat16EEEZZNS1_9scan_implILNS1_25lookback_scan_determinismE0ELb0ELb0ES3_PKS6_PS6_S6_ZZZN2at6native31launch_logcumsumexp_cuda_kernelERKNSD_10TensorBaseESH_lENKUlvE_clEvENKUlvE4_clEvEUlS6_S6_E_S6_EEDaPvRmT3_T4_T5_mT6_P12ihipStream_tbENKUlT_T0_E_clISt17integral_constantIbLb0EESY_EEDaST_SU_EUlST_E0_NS1_11comp_targetILNS1_3genE10ELNS1_11target_archE1200ELNS1_3gpuE4ELNS1_3repE0EEENS1_30default_config_static_selectorELNS0_4arch9wavefront6targetE0EEEvT1_
    .private_segment_fixed_size: 0
    .sgpr_count:     0
    .sgpr_spill_count: 0
    .symbol:         _ZN7rocprim17ROCPRIM_400000_NS6detail17trampoline_kernelINS0_14default_configENS1_20scan_config_selectorIN3c108BFloat16EEEZZNS1_9scan_implILNS1_25lookback_scan_determinismE0ELb0ELb0ES3_PKS6_PS6_S6_ZZZN2at6native31launch_logcumsumexp_cuda_kernelERKNSD_10TensorBaseESH_lENKUlvE_clEvENKUlvE4_clEvEUlS6_S6_E_S6_EEDaPvRmT3_T4_T5_mT6_P12ihipStream_tbENKUlT_T0_E_clISt17integral_constantIbLb0EESY_EEDaST_SU_EUlST_E0_NS1_11comp_targetILNS1_3genE10ELNS1_11target_archE1200ELNS1_3gpuE4ELNS1_3repE0EEENS1_30default_config_static_selectorELNS0_4arch9wavefront6targetE0EEEvT1_.kd
    .uniform_work_group_size: 1
    .uses_dynamic_stack: false
    .vgpr_count:     0
    .vgpr_spill_count: 0
    .wavefront_size: 32
    .workgroup_processor_mode: 1
  - .args:
      - .offset:         0
        .size:           32
        .value_kind:     by_value
    .group_segment_fixed_size: 2816
    .kernarg_segment_align: 8
    .kernarg_segment_size: 32
    .language:       OpenCL C
    .language_version:
      - 2
      - 0
    .max_flat_workgroup_size: 64
    .name:           _ZN7rocprim17ROCPRIM_400000_NS6detail17trampoline_kernelINS0_14default_configENS1_20scan_config_selectorIN3c108BFloat16EEEZZNS1_9scan_implILNS1_25lookback_scan_determinismE0ELb0ELb0ES3_PKS6_PS6_S6_ZZZN2at6native31launch_logcumsumexp_cuda_kernelERKNSD_10TensorBaseESH_lENKUlvE_clEvENKUlvE4_clEvEUlS6_S6_E_S6_EEDaPvRmT3_T4_T5_mT6_P12ihipStream_tbENKUlT_T0_E_clISt17integral_constantIbLb0EESY_EEDaST_SU_EUlST_E0_NS1_11comp_targetILNS1_3genE9ELNS1_11target_archE1100ELNS1_3gpuE3ELNS1_3repE0EEENS1_30default_config_static_selectorELNS0_4arch9wavefront6targetE0EEEvT1_
    .private_segment_fixed_size: 0
    .sgpr_count:     54
    .sgpr_spill_count: 0
    .symbol:         _ZN7rocprim17ROCPRIM_400000_NS6detail17trampoline_kernelINS0_14default_configENS1_20scan_config_selectorIN3c108BFloat16EEEZZNS1_9scan_implILNS1_25lookback_scan_determinismE0ELb0ELb0ES3_PKS6_PS6_S6_ZZZN2at6native31launch_logcumsumexp_cuda_kernelERKNSD_10TensorBaseESH_lENKUlvE_clEvENKUlvE4_clEvEUlS6_S6_E_S6_EEDaPvRmT3_T4_T5_mT6_P12ihipStream_tbENKUlT_T0_E_clISt17integral_constantIbLb0EESY_EEDaST_SU_EUlST_E0_NS1_11comp_targetILNS1_3genE9ELNS1_11target_archE1100ELNS1_3gpuE3ELNS1_3repE0EEENS1_30default_config_static_selectorELNS0_4arch9wavefront6targetE0EEEvT1_.kd
    .uniform_work_group_size: 1
    .uses_dynamic_stack: false
    .vgpr_count:     70
    .vgpr_spill_count: 0
    .wavefront_size: 32
    .workgroup_processor_mode: 1
  - .args:
      - .offset:         0
        .size:           32
        .value_kind:     by_value
    .group_segment_fixed_size: 0
    .kernarg_segment_align: 8
    .kernarg_segment_size: 32
    .language:       OpenCL C
    .language_version:
      - 2
      - 0
    .max_flat_workgroup_size: 64
    .name:           _ZN7rocprim17ROCPRIM_400000_NS6detail17trampoline_kernelINS0_14default_configENS1_20scan_config_selectorIN3c108BFloat16EEEZZNS1_9scan_implILNS1_25lookback_scan_determinismE0ELb0ELb0ES3_PKS6_PS6_S6_ZZZN2at6native31launch_logcumsumexp_cuda_kernelERKNSD_10TensorBaseESH_lENKUlvE_clEvENKUlvE4_clEvEUlS6_S6_E_S6_EEDaPvRmT3_T4_T5_mT6_P12ihipStream_tbENKUlT_T0_E_clISt17integral_constantIbLb0EESY_EEDaST_SU_EUlST_E0_NS1_11comp_targetILNS1_3genE8ELNS1_11target_archE1030ELNS1_3gpuE2ELNS1_3repE0EEENS1_30default_config_static_selectorELNS0_4arch9wavefront6targetE0EEEvT1_
    .private_segment_fixed_size: 0
    .sgpr_count:     0
    .sgpr_spill_count: 0
    .symbol:         _ZN7rocprim17ROCPRIM_400000_NS6detail17trampoline_kernelINS0_14default_configENS1_20scan_config_selectorIN3c108BFloat16EEEZZNS1_9scan_implILNS1_25lookback_scan_determinismE0ELb0ELb0ES3_PKS6_PS6_S6_ZZZN2at6native31launch_logcumsumexp_cuda_kernelERKNSD_10TensorBaseESH_lENKUlvE_clEvENKUlvE4_clEvEUlS6_S6_E_S6_EEDaPvRmT3_T4_T5_mT6_P12ihipStream_tbENKUlT_T0_E_clISt17integral_constantIbLb0EESY_EEDaST_SU_EUlST_E0_NS1_11comp_targetILNS1_3genE8ELNS1_11target_archE1030ELNS1_3gpuE2ELNS1_3repE0EEENS1_30default_config_static_selectorELNS0_4arch9wavefront6targetE0EEEvT1_.kd
    .uniform_work_group_size: 1
    .uses_dynamic_stack: false
    .vgpr_count:     0
    .vgpr_spill_count: 0
    .wavefront_size: 32
    .workgroup_processor_mode: 1
  - .args:
      - .address_space:  global
        .offset:         0
        .size:           8
        .value_kind:     global_buffer
      - .offset:         8
        .size:           4
        .value_kind:     by_value
      - .address_space:  global
        .offset:         16
        .size:           8
        .value_kind:     global_buffer
      - .offset:         24
        .size:           4
        .value_kind:     by_value
      - .address_space:  global
        .offset:         32
        .size:           8
        .value_kind:     global_buffer
      - .offset:         40
        .size:           4
        .value_kind:     hidden_block_count_x
      - .offset:         44
        .size:           4
        .value_kind:     hidden_block_count_y
      - .offset:         48
        .size:           4
        .value_kind:     hidden_block_count_z
      - .offset:         52
        .size:           2
        .value_kind:     hidden_group_size_x
      - .offset:         54
        .size:           2
        .value_kind:     hidden_group_size_y
      - .offset:         56
        .size:           2
        .value_kind:     hidden_group_size_z
      - .offset:         58
        .size:           2
        .value_kind:     hidden_remainder_x
      - .offset:         60
        .size:           2
        .value_kind:     hidden_remainder_y
      - .offset:         62
        .size:           2
        .value_kind:     hidden_remainder_z
      - .offset:         80
        .size:           8
        .value_kind:     hidden_global_offset_x
      - .offset:         88
        .size:           8
        .value_kind:     hidden_global_offset_y
      - .offset:         96
        .size:           8
        .value_kind:     hidden_global_offset_z
      - .offset:         104
        .size:           2
        .value_kind:     hidden_grid_dims
    .group_segment_fixed_size: 0
    .kernarg_segment_align: 8
    .kernarg_segment_size: 296
    .language:       OpenCL C
    .language_version:
      - 2
      - 0
    .max_flat_workgroup_size: 256
    .name:           _ZN7rocprim17ROCPRIM_400000_NS6detail31init_lookback_scan_state_kernelINS1_19lookback_scan_stateIN3c108BFloat16ELb1ELb1EEENS1_16block_id_wrapperIjLb1EEEEEvT_jT0_jPNS9_10value_typeE
    .private_segment_fixed_size: 0
    .sgpr_count:     18
    .sgpr_spill_count: 0
    .symbol:         _ZN7rocprim17ROCPRIM_400000_NS6detail31init_lookback_scan_state_kernelINS1_19lookback_scan_stateIN3c108BFloat16ELb1ELb1EEENS1_16block_id_wrapperIjLb1EEEEEvT_jT0_jPNS9_10value_typeE.kd
    .uniform_work_group_size: 1
    .uses_dynamic_stack: false
    .vgpr_count:     6
    .vgpr_spill_count: 0
    .wavefront_size: 32
    .workgroup_processor_mode: 1
  - .args:
      - .offset:         0
        .size:           96
        .value_kind:     by_value
    .group_segment_fixed_size: 0
    .kernarg_segment_align: 8
    .kernarg_segment_size: 96
    .language:       OpenCL C
    .language_version:
      - 2
      - 0
    .max_flat_workgroup_size: 128
    .name:           _ZN7rocprim17ROCPRIM_400000_NS6detail17trampoline_kernelINS0_14default_configENS1_20scan_config_selectorIN3c108BFloat16EEEZZNS1_9scan_implILNS1_25lookback_scan_determinismE0ELb0ELb0ES3_PKS6_PS6_S6_ZZZN2at6native31launch_logcumsumexp_cuda_kernelERKNSD_10TensorBaseESH_lENKUlvE_clEvENKUlvE4_clEvEUlS6_S6_E_S6_EEDaPvRmT3_T4_T5_mT6_P12ihipStream_tbENKUlT_T0_E_clISt17integral_constantIbLb1EESY_EEDaST_SU_EUlST_E_NS1_11comp_targetILNS1_3genE0ELNS1_11target_archE4294967295ELNS1_3gpuE0ELNS1_3repE0EEENS1_30default_config_static_selectorELNS0_4arch9wavefront6targetE0EEEvT1_
    .private_segment_fixed_size: 0
    .sgpr_count:     0
    .sgpr_spill_count: 0
    .symbol:         _ZN7rocprim17ROCPRIM_400000_NS6detail17trampoline_kernelINS0_14default_configENS1_20scan_config_selectorIN3c108BFloat16EEEZZNS1_9scan_implILNS1_25lookback_scan_determinismE0ELb0ELb0ES3_PKS6_PS6_S6_ZZZN2at6native31launch_logcumsumexp_cuda_kernelERKNSD_10TensorBaseESH_lENKUlvE_clEvENKUlvE4_clEvEUlS6_S6_E_S6_EEDaPvRmT3_T4_T5_mT6_P12ihipStream_tbENKUlT_T0_E_clISt17integral_constantIbLb1EESY_EEDaST_SU_EUlST_E_NS1_11comp_targetILNS1_3genE0ELNS1_11target_archE4294967295ELNS1_3gpuE0ELNS1_3repE0EEENS1_30default_config_static_selectorELNS0_4arch9wavefront6targetE0EEEvT1_.kd
    .uniform_work_group_size: 1
    .uses_dynamic_stack: false
    .vgpr_count:     0
    .vgpr_spill_count: 0
    .wavefront_size: 32
    .workgroup_processor_mode: 1
  - .args:
      - .offset:         0
        .size:           96
        .value_kind:     by_value
    .group_segment_fixed_size: 0
    .kernarg_segment_align: 8
    .kernarg_segment_size: 96
    .language:       OpenCL C
    .language_version:
      - 2
      - 0
    .max_flat_workgroup_size: 256
    .name:           _ZN7rocprim17ROCPRIM_400000_NS6detail17trampoline_kernelINS0_14default_configENS1_20scan_config_selectorIN3c108BFloat16EEEZZNS1_9scan_implILNS1_25lookback_scan_determinismE0ELb0ELb0ES3_PKS6_PS6_S6_ZZZN2at6native31launch_logcumsumexp_cuda_kernelERKNSD_10TensorBaseESH_lENKUlvE_clEvENKUlvE4_clEvEUlS6_S6_E_S6_EEDaPvRmT3_T4_T5_mT6_P12ihipStream_tbENKUlT_T0_E_clISt17integral_constantIbLb1EESY_EEDaST_SU_EUlST_E_NS1_11comp_targetILNS1_3genE5ELNS1_11target_archE942ELNS1_3gpuE9ELNS1_3repE0EEENS1_30default_config_static_selectorELNS0_4arch9wavefront6targetE0EEEvT1_
    .private_segment_fixed_size: 0
    .sgpr_count:     0
    .sgpr_spill_count: 0
    .symbol:         _ZN7rocprim17ROCPRIM_400000_NS6detail17trampoline_kernelINS0_14default_configENS1_20scan_config_selectorIN3c108BFloat16EEEZZNS1_9scan_implILNS1_25lookback_scan_determinismE0ELb0ELb0ES3_PKS6_PS6_S6_ZZZN2at6native31launch_logcumsumexp_cuda_kernelERKNSD_10TensorBaseESH_lENKUlvE_clEvENKUlvE4_clEvEUlS6_S6_E_S6_EEDaPvRmT3_T4_T5_mT6_P12ihipStream_tbENKUlT_T0_E_clISt17integral_constantIbLb1EESY_EEDaST_SU_EUlST_E_NS1_11comp_targetILNS1_3genE5ELNS1_11target_archE942ELNS1_3gpuE9ELNS1_3repE0EEENS1_30default_config_static_selectorELNS0_4arch9wavefront6targetE0EEEvT1_.kd
    .uniform_work_group_size: 1
    .uses_dynamic_stack: false
    .vgpr_count:     0
    .vgpr_spill_count: 0
    .wavefront_size: 32
    .workgroup_processor_mode: 1
  - .args:
      - .offset:         0
        .size:           96
        .value_kind:     by_value
    .group_segment_fixed_size: 0
    .kernarg_segment_align: 8
    .kernarg_segment_size: 96
    .language:       OpenCL C
    .language_version:
      - 2
      - 0
    .max_flat_workgroup_size: 64
    .name:           _ZN7rocprim17ROCPRIM_400000_NS6detail17trampoline_kernelINS0_14default_configENS1_20scan_config_selectorIN3c108BFloat16EEEZZNS1_9scan_implILNS1_25lookback_scan_determinismE0ELb0ELb0ES3_PKS6_PS6_S6_ZZZN2at6native31launch_logcumsumexp_cuda_kernelERKNSD_10TensorBaseESH_lENKUlvE_clEvENKUlvE4_clEvEUlS6_S6_E_S6_EEDaPvRmT3_T4_T5_mT6_P12ihipStream_tbENKUlT_T0_E_clISt17integral_constantIbLb1EESY_EEDaST_SU_EUlST_E_NS1_11comp_targetILNS1_3genE4ELNS1_11target_archE910ELNS1_3gpuE8ELNS1_3repE0EEENS1_30default_config_static_selectorELNS0_4arch9wavefront6targetE0EEEvT1_
    .private_segment_fixed_size: 0
    .sgpr_count:     0
    .sgpr_spill_count: 0
    .symbol:         _ZN7rocprim17ROCPRIM_400000_NS6detail17trampoline_kernelINS0_14default_configENS1_20scan_config_selectorIN3c108BFloat16EEEZZNS1_9scan_implILNS1_25lookback_scan_determinismE0ELb0ELb0ES3_PKS6_PS6_S6_ZZZN2at6native31launch_logcumsumexp_cuda_kernelERKNSD_10TensorBaseESH_lENKUlvE_clEvENKUlvE4_clEvEUlS6_S6_E_S6_EEDaPvRmT3_T4_T5_mT6_P12ihipStream_tbENKUlT_T0_E_clISt17integral_constantIbLb1EESY_EEDaST_SU_EUlST_E_NS1_11comp_targetILNS1_3genE4ELNS1_11target_archE910ELNS1_3gpuE8ELNS1_3repE0EEENS1_30default_config_static_selectorELNS0_4arch9wavefront6targetE0EEEvT1_.kd
    .uniform_work_group_size: 1
    .uses_dynamic_stack: false
    .vgpr_count:     0
    .vgpr_spill_count: 0
    .wavefront_size: 32
    .workgroup_processor_mode: 1
  - .args:
      - .offset:         0
        .size:           96
        .value_kind:     by_value
    .group_segment_fixed_size: 0
    .kernarg_segment_align: 8
    .kernarg_segment_size: 96
    .language:       OpenCL C
    .language_version:
      - 2
      - 0
    .max_flat_workgroup_size: 128
    .name:           _ZN7rocprim17ROCPRIM_400000_NS6detail17trampoline_kernelINS0_14default_configENS1_20scan_config_selectorIN3c108BFloat16EEEZZNS1_9scan_implILNS1_25lookback_scan_determinismE0ELb0ELb0ES3_PKS6_PS6_S6_ZZZN2at6native31launch_logcumsumexp_cuda_kernelERKNSD_10TensorBaseESH_lENKUlvE_clEvENKUlvE4_clEvEUlS6_S6_E_S6_EEDaPvRmT3_T4_T5_mT6_P12ihipStream_tbENKUlT_T0_E_clISt17integral_constantIbLb1EESY_EEDaST_SU_EUlST_E_NS1_11comp_targetILNS1_3genE3ELNS1_11target_archE908ELNS1_3gpuE7ELNS1_3repE0EEENS1_30default_config_static_selectorELNS0_4arch9wavefront6targetE0EEEvT1_
    .private_segment_fixed_size: 0
    .sgpr_count:     0
    .sgpr_spill_count: 0
    .symbol:         _ZN7rocprim17ROCPRIM_400000_NS6detail17trampoline_kernelINS0_14default_configENS1_20scan_config_selectorIN3c108BFloat16EEEZZNS1_9scan_implILNS1_25lookback_scan_determinismE0ELb0ELb0ES3_PKS6_PS6_S6_ZZZN2at6native31launch_logcumsumexp_cuda_kernelERKNSD_10TensorBaseESH_lENKUlvE_clEvENKUlvE4_clEvEUlS6_S6_E_S6_EEDaPvRmT3_T4_T5_mT6_P12ihipStream_tbENKUlT_T0_E_clISt17integral_constantIbLb1EESY_EEDaST_SU_EUlST_E_NS1_11comp_targetILNS1_3genE3ELNS1_11target_archE908ELNS1_3gpuE7ELNS1_3repE0EEENS1_30default_config_static_selectorELNS0_4arch9wavefront6targetE0EEEvT1_.kd
    .uniform_work_group_size: 1
    .uses_dynamic_stack: false
    .vgpr_count:     0
    .vgpr_spill_count: 0
    .wavefront_size: 32
    .workgroup_processor_mode: 1
  - .args:
      - .offset:         0
        .size:           96
        .value_kind:     by_value
    .group_segment_fixed_size: 0
    .kernarg_segment_align: 8
    .kernarg_segment_size: 96
    .language:       OpenCL C
    .language_version:
      - 2
      - 0
    .max_flat_workgroup_size: 256
    .name:           _ZN7rocprim17ROCPRIM_400000_NS6detail17trampoline_kernelINS0_14default_configENS1_20scan_config_selectorIN3c108BFloat16EEEZZNS1_9scan_implILNS1_25lookback_scan_determinismE0ELb0ELb0ES3_PKS6_PS6_S6_ZZZN2at6native31launch_logcumsumexp_cuda_kernelERKNSD_10TensorBaseESH_lENKUlvE_clEvENKUlvE4_clEvEUlS6_S6_E_S6_EEDaPvRmT3_T4_T5_mT6_P12ihipStream_tbENKUlT_T0_E_clISt17integral_constantIbLb1EESY_EEDaST_SU_EUlST_E_NS1_11comp_targetILNS1_3genE2ELNS1_11target_archE906ELNS1_3gpuE6ELNS1_3repE0EEENS1_30default_config_static_selectorELNS0_4arch9wavefront6targetE0EEEvT1_
    .private_segment_fixed_size: 0
    .sgpr_count:     0
    .sgpr_spill_count: 0
    .symbol:         _ZN7rocprim17ROCPRIM_400000_NS6detail17trampoline_kernelINS0_14default_configENS1_20scan_config_selectorIN3c108BFloat16EEEZZNS1_9scan_implILNS1_25lookback_scan_determinismE0ELb0ELb0ES3_PKS6_PS6_S6_ZZZN2at6native31launch_logcumsumexp_cuda_kernelERKNSD_10TensorBaseESH_lENKUlvE_clEvENKUlvE4_clEvEUlS6_S6_E_S6_EEDaPvRmT3_T4_T5_mT6_P12ihipStream_tbENKUlT_T0_E_clISt17integral_constantIbLb1EESY_EEDaST_SU_EUlST_E_NS1_11comp_targetILNS1_3genE2ELNS1_11target_archE906ELNS1_3gpuE6ELNS1_3repE0EEENS1_30default_config_static_selectorELNS0_4arch9wavefront6targetE0EEEvT1_.kd
    .uniform_work_group_size: 1
    .uses_dynamic_stack: false
    .vgpr_count:     0
    .vgpr_spill_count: 0
    .wavefront_size: 32
    .workgroup_processor_mode: 1
  - .args:
      - .offset:         0
        .size:           96
        .value_kind:     by_value
    .group_segment_fixed_size: 0
    .kernarg_segment_align: 8
    .kernarg_segment_size: 96
    .language:       OpenCL C
    .language_version:
      - 2
      - 0
    .max_flat_workgroup_size: 256
    .name:           _ZN7rocprim17ROCPRIM_400000_NS6detail17trampoline_kernelINS0_14default_configENS1_20scan_config_selectorIN3c108BFloat16EEEZZNS1_9scan_implILNS1_25lookback_scan_determinismE0ELb0ELb0ES3_PKS6_PS6_S6_ZZZN2at6native31launch_logcumsumexp_cuda_kernelERKNSD_10TensorBaseESH_lENKUlvE_clEvENKUlvE4_clEvEUlS6_S6_E_S6_EEDaPvRmT3_T4_T5_mT6_P12ihipStream_tbENKUlT_T0_E_clISt17integral_constantIbLb1EESY_EEDaST_SU_EUlST_E_NS1_11comp_targetILNS1_3genE10ELNS1_11target_archE1201ELNS1_3gpuE5ELNS1_3repE0EEENS1_30default_config_static_selectorELNS0_4arch9wavefront6targetE0EEEvT1_
    .private_segment_fixed_size: 0
    .sgpr_count:     0
    .sgpr_spill_count: 0
    .symbol:         _ZN7rocprim17ROCPRIM_400000_NS6detail17trampoline_kernelINS0_14default_configENS1_20scan_config_selectorIN3c108BFloat16EEEZZNS1_9scan_implILNS1_25lookback_scan_determinismE0ELb0ELb0ES3_PKS6_PS6_S6_ZZZN2at6native31launch_logcumsumexp_cuda_kernelERKNSD_10TensorBaseESH_lENKUlvE_clEvENKUlvE4_clEvEUlS6_S6_E_S6_EEDaPvRmT3_T4_T5_mT6_P12ihipStream_tbENKUlT_T0_E_clISt17integral_constantIbLb1EESY_EEDaST_SU_EUlST_E_NS1_11comp_targetILNS1_3genE10ELNS1_11target_archE1201ELNS1_3gpuE5ELNS1_3repE0EEENS1_30default_config_static_selectorELNS0_4arch9wavefront6targetE0EEEvT1_.kd
    .uniform_work_group_size: 1
    .uses_dynamic_stack: false
    .vgpr_count:     0
    .vgpr_spill_count: 0
    .wavefront_size: 32
    .workgroup_processor_mode: 1
  - .args:
      - .offset:         0
        .size:           96
        .value_kind:     by_value
    .group_segment_fixed_size: 0
    .kernarg_segment_align: 8
    .kernarg_segment_size: 96
    .language:       OpenCL C
    .language_version:
      - 2
      - 0
    .max_flat_workgroup_size: 256
    .name:           _ZN7rocprim17ROCPRIM_400000_NS6detail17trampoline_kernelINS0_14default_configENS1_20scan_config_selectorIN3c108BFloat16EEEZZNS1_9scan_implILNS1_25lookback_scan_determinismE0ELb0ELb0ES3_PKS6_PS6_S6_ZZZN2at6native31launch_logcumsumexp_cuda_kernelERKNSD_10TensorBaseESH_lENKUlvE_clEvENKUlvE4_clEvEUlS6_S6_E_S6_EEDaPvRmT3_T4_T5_mT6_P12ihipStream_tbENKUlT_T0_E_clISt17integral_constantIbLb1EESY_EEDaST_SU_EUlST_E_NS1_11comp_targetILNS1_3genE10ELNS1_11target_archE1200ELNS1_3gpuE4ELNS1_3repE0EEENS1_30default_config_static_selectorELNS0_4arch9wavefront6targetE0EEEvT1_
    .private_segment_fixed_size: 0
    .sgpr_count:     0
    .sgpr_spill_count: 0
    .symbol:         _ZN7rocprim17ROCPRIM_400000_NS6detail17trampoline_kernelINS0_14default_configENS1_20scan_config_selectorIN3c108BFloat16EEEZZNS1_9scan_implILNS1_25lookback_scan_determinismE0ELb0ELb0ES3_PKS6_PS6_S6_ZZZN2at6native31launch_logcumsumexp_cuda_kernelERKNSD_10TensorBaseESH_lENKUlvE_clEvENKUlvE4_clEvEUlS6_S6_E_S6_EEDaPvRmT3_T4_T5_mT6_P12ihipStream_tbENKUlT_T0_E_clISt17integral_constantIbLb1EESY_EEDaST_SU_EUlST_E_NS1_11comp_targetILNS1_3genE10ELNS1_11target_archE1200ELNS1_3gpuE4ELNS1_3repE0EEENS1_30default_config_static_selectorELNS0_4arch9wavefront6targetE0EEEvT1_.kd
    .uniform_work_group_size: 1
    .uses_dynamic_stack: false
    .vgpr_count:     0
    .vgpr_spill_count: 0
    .wavefront_size: 32
    .workgroup_processor_mode: 1
  - .args:
      - .offset:         0
        .size:           96
        .value_kind:     by_value
      - .offset:         96
        .size:           4
        .value_kind:     hidden_block_count_x
      - .offset:         100
        .size:           4
        .value_kind:     hidden_block_count_y
      - .offset:         104
        .size:           4
        .value_kind:     hidden_block_count_z
      - .offset:         108
        .size:           2
        .value_kind:     hidden_group_size_x
      - .offset:         110
        .size:           2
        .value_kind:     hidden_group_size_y
      - .offset:         112
        .size:           2
        .value_kind:     hidden_group_size_z
      - .offset:         114
        .size:           2
        .value_kind:     hidden_remainder_x
      - .offset:         116
        .size:           2
        .value_kind:     hidden_remainder_y
      - .offset:         118
        .size:           2
        .value_kind:     hidden_remainder_z
      - .offset:         136
        .size:           8
        .value_kind:     hidden_global_offset_x
      - .offset:         144
        .size:           8
        .value_kind:     hidden_global_offset_y
      - .offset:         152
        .size:           8
        .value_kind:     hidden_global_offset_z
      - .offset:         160
        .size:           2
        .value_kind:     hidden_grid_dims
    .group_segment_fixed_size: 2816
    .kernarg_segment_align: 8
    .kernarg_segment_size: 352
    .language:       OpenCL C
    .language_version:
      - 2
      - 0
    .max_flat_workgroup_size: 64
    .name:           _ZN7rocprim17ROCPRIM_400000_NS6detail17trampoline_kernelINS0_14default_configENS1_20scan_config_selectorIN3c108BFloat16EEEZZNS1_9scan_implILNS1_25lookback_scan_determinismE0ELb0ELb0ES3_PKS6_PS6_S6_ZZZN2at6native31launch_logcumsumexp_cuda_kernelERKNSD_10TensorBaseESH_lENKUlvE_clEvENKUlvE4_clEvEUlS6_S6_E_S6_EEDaPvRmT3_T4_T5_mT6_P12ihipStream_tbENKUlT_T0_E_clISt17integral_constantIbLb1EESY_EEDaST_SU_EUlST_E_NS1_11comp_targetILNS1_3genE9ELNS1_11target_archE1100ELNS1_3gpuE3ELNS1_3repE0EEENS1_30default_config_static_selectorELNS0_4arch9wavefront6targetE0EEEvT1_
    .private_segment_fixed_size: 120
    .sgpr_count:     46
    .sgpr_spill_count: 0
    .symbol:         _ZN7rocprim17ROCPRIM_400000_NS6detail17trampoline_kernelINS0_14default_configENS1_20scan_config_selectorIN3c108BFloat16EEEZZNS1_9scan_implILNS1_25lookback_scan_determinismE0ELb0ELb0ES3_PKS6_PS6_S6_ZZZN2at6native31launch_logcumsumexp_cuda_kernelERKNSD_10TensorBaseESH_lENKUlvE_clEvENKUlvE4_clEvEUlS6_S6_E_S6_EEDaPvRmT3_T4_T5_mT6_P12ihipStream_tbENKUlT_T0_E_clISt17integral_constantIbLb1EESY_EEDaST_SU_EUlST_E_NS1_11comp_targetILNS1_3genE9ELNS1_11target_archE1100ELNS1_3gpuE3ELNS1_3repE0EEENS1_30default_config_static_selectorELNS0_4arch9wavefront6targetE0EEEvT1_.kd
    .uniform_work_group_size: 1
    .uses_dynamic_stack: false
    .vgpr_count:     199
    .vgpr_spill_count: 0
    .wavefront_size: 32
    .workgroup_processor_mode: 1
  - .args:
      - .offset:         0
        .size:           96
        .value_kind:     by_value
    .group_segment_fixed_size: 0
    .kernarg_segment_align: 8
    .kernarg_segment_size: 96
    .language:       OpenCL C
    .language_version:
      - 2
      - 0
    .max_flat_workgroup_size: 64
    .name:           _ZN7rocprim17ROCPRIM_400000_NS6detail17trampoline_kernelINS0_14default_configENS1_20scan_config_selectorIN3c108BFloat16EEEZZNS1_9scan_implILNS1_25lookback_scan_determinismE0ELb0ELb0ES3_PKS6_PS6_S6_ZZZN2at6native31launch_logcumsumexp_cuda_kernelERKNSD_10TensorBaseESH_lENKUlvE_clEvENKUlvE4_clEvEUlS6_S6_E_S6_EEDaPvRmT3_T4_T5_mT6_P12ihipStream_tbENKUlT_T0_E_clISt17integral_constantIbLb1EESY_EEDaST_SU_EUlST_E_NS1_11comp_targetILNS1_3genE8ELNS1_11target_archE1030ELNS1_3gpuE2ELNS1_3repE0EEENS1_30default_config_static_selectorELNS0_4arch9wavefront6targetE0EEEvT1_
    .private_segment_fixed_size: 0
    .sgpr_count:     0
    .sgpr_spill_count: 0
    .symbol:         _ZN7rocprim17ROCPRIM_400000_NS6detail17trampoline_kernelINS0_14default_configENS1_20scan_config_selectorIN3c108BFloat16EEEZZNS1_9scan_implILNS1_25lookback_scan_determinismE0ELb0ELb0ES3_PKS6_PS6_S6_ZZZN2at6native31launch_logcumsumexp_cuda_kernelERKNSD_10TensorBaseESH_lENKUlvE_clEvENKUlvE4_clEvEUlS6_S6_E_S6_EEDaPvRmT3_T4_T5_mT6_P12ihipStream_tbENKUlT_T0_E_clISt17integral_constantIbLb1EESY_EEDaST_SU_EUlST_E_NS1_11comp_targetILNS1_3genE8ELNS1_11target_archE1030ELNS1_3gpuE2ELNS1_3repE0EEENS1_30default_config_static_selectorELNS0_4arch9wavefront6targetE0EEEvT1_.kd
    .uniform_work_group_size: 1
    .uses_dynamic_stack: false
    .vgpr_count:     0
    .vgpr_spill_count: 0
    .wavefront_size: 32
    .workgroup_processor_mode: 1
  - .args:
      - .offset:         0
        .size:           32
        .value_kind:     by_value
    .group_segment_fixed_size: 0
    .kernarg_segment_align: 8
    .kernarg_segment_size: 32
    .language:       OpenCL C
    .language_version:
      - 2
      - 0
    .max_flat_workgroup_size: 128
    .name:           _ZN7rocprim17ROCPRIM_400000_NS6detail17trampoline_kernelINS0_14default_configENS1_20scan_config_selectorIN3c108BFloat16EEEZZNS1_9scan_implILNS1_25lookback_scan_determinismE0ELb0ELb0ES3_PKS6_PS6_S6_ZZZN2at6native31launch_logcumsumexp_cuda_kernelERKNSD_10TensorBaseESH_lENKUlvE_clEvENKUlvE4_clEvEUlS6_S6_E_S6_EEDaPvRmT3_T4_T5_mT6_P12ihipStream_tbENKUlT_T0_E_clISt17integral_constantIbLb1EESY_EEDaST_SU_EUlST_E0_NS1_11comp_targetILNS1_3genE0ELNS1_11target_archE4294967295ELNS1_3gpuE0ELNS1_3repE0EEENS1_30default_config_static_selectorELNS0_4arch9wavefront6targetE0EEEvT1_
    .private_segment_fixed_size: 0
    .sgpr_count:     0
    .sgpr_spill_count: 0
    .symbol:         _ZN7rocprim17ROCPRIM_400000_NS6detail17trampoline_kernelINS0_14default_configENS1_20scan_config_selectorIN3c108BFloat16EEEZZNS1_9scan_implILNS1_25lookback_scan_determinismE0ELb0ELb0ES3_PKS6_PS6_S6_ZZZN2at6native31launch_logcumsumexp_cuda_kernelERKNSD_10TensorBaseESH_lENKUlvE_clEvENKUlvE4_clEvEUlS6_S6_E_S6_EEDaPvRmT3_T4_T5_mT6_P12ihipStream_tbENKUlT_T0_E_clISt17integral_constantIbLb1EESY_EEDaST_SU_EUlST_E0_NS1_11comp_targetILNS1_3genE0ELNS1_11target_archE4294967295ELNS1_3gpuE0ELNS1_3repE0EEENS1_30default_config_static_selectorELNS0_4arch9wavefront6targetE0EEEvT1_.kd
    .uniform_work_group_size: 1
    .uses_dynamic_stack: false
    .vgpr_count:     0
    .vgpr_spill_count: 0
    .wavefront_size: 32
    .workgroup_processor_mode: 1
  - .args:
      - .offset:         0
        .size:           32
        .value_kind:     by_value
    .group_segment_fixed_size: 0
    .kernarg_segment_align: 8
    .kernarg_segment_size: 32
    .language:       OpenCL C
    .language_version:
      - 2
      - 0
    .max_flat_workgroup_size: 256
    .name:           _ZN7rocprim17ROCPRIM_400000_NS6detail17trampoline_kernelINS0_14default_configENS1_20scan_config_selectorIN3c108BFloat16EEEZZNS1_9scan_implILNS1_25lookback_scan_determinismE0ELb0ELb0ES3_PKS6_PS6_S6_ZZZN2at6native31launch_logcumsumexp_cuda_kernelERKNSD_10TensorBaseESH_lENKUlvE_clEvENKUlvE4_clEvEUlS6_S6_E_S6_EEDaPvRmT3_T4_T5_mT6_P12ihipStream_tbENKUlT_T0_E_clISt17integral_constantIbLb1EESY_EEDaST_SU_EUlST_E0_NS1_11comp_targetILNS1_3genE5ELNS1_11target_archE942ELNS1_3gpuE9ELNS1_3repE0EEENS1_30default_config_static_selectorELNS0_4arch9wavefront6targetE0EEEvT1_
    .private_segment_fixed_size: 0
    .sgpr_count:     0
    .sgpr_spill_count: 0
    .symbol:         _ZN7rocprim17ROCPRIM_400000_NS6detail17trampoline_kernelINS0_14default_configENS1_20scan_config_selectorIN3c108BFloat16EEEZZNS1_9scan_implILNS1_25lookback_scan_determinismE0ELb0ELb0ES3_PKS6_PS6_S6_ZZZN2at6native31launch_logcumsumexp_cuda_kernelERKNSD_10TensorBaseESH_lENKUlvE_clEvENKUlvE4_clEvEUlS6_S6_E_S6_EEDaPvRmT3_T4_T5_mT6_P12ihipStream_tbENKUlT_T0_E_clISt17integral_constantIbLb1EESY_EEDaST_SU_EUlST_E0_NS1_11comp_targetILNS1_3genE5ELNS1_11target_archE942ELNS1_3gpuE9ELNS1_3repE0EEENS1_30default_config_static_selectorELNS0_4arch9wavefront6targetE0EEEvT1_.kd
    .uniform_work_group_size: 1
    .uses_dynamic_stack: false
    .vgpr_count:     0
    .vgpr_spill_count: 0
    .wavefront_size: 32
    .workgroup_processor_mode: 1
  - .args:
      - .offset:         0
        .size:           32
        .value_kind:     by_value
    .group_segment_fixed_size: 0
    .kernarg_segment_align: 8
    .kernarg_segment_size: 32
    .language:       OpenCL C
    .language_version:
      - 2
      - 0
    .max_flat_workgroup_size: 64
    .name:           _ZN7rocprim17ROCPRIM_400000_NS6detail17trampoline_kernelINS0_14default_configENS1_20scan_config_selectorIN3c108BFloat16EEEZZNS1_9scan_implILNS1_25lookback_scan_determinismE0ELb0ELb0ES3_PKS6_PS6_S6_ZZZN2at6native31launch_logcumsumexp_cuda_kernelERKNSD_10TensorBaseESH_lENKUlvE_clEvENKUlvE4_clEvEUlS6_S6_E_S6_EEDaPvRmT3_T4_T5_mT6_P12ihipStream_tbENKUlT_T0_E_clISt17integral_constantIbLb1EESY_EEDaST_SU_EUlST_E0_NS1_11comp_targetILNS1_3genE4ELNS1_11target_archE910ELNS1_3gpuE8ELNS1_3repE0EEENS1_30default_config_static_selectorELNS0_4arch9wavefront6targetE0EEEvT1_
    .private_segment_fixed_size: 0
    .sgpr_count:     0
    .sgpr_spill_count: 0
    .symbol:         _ZN7rocprim17ROCPRIM_400000_NS6detail17trampoline_kernelINS0_14default_configENS1_20scan_config_selectorIN3c108BFloat16EEEZZNS1_9scan_implILNS1_25lookback_scan_determinismE0ELb0ELb0ES3_PKS6_PS6_S6_ZZZN2at6native31launch_logcumsumexp_cuda_kernelERKNSD_10TensorBaseESH_lENKUlvE_clEvENKUlvE4_clEvEUlS6_S6_E_S6_EEDaPvRmT3_T4_T5_mT6_P12ihipStream_tbENKUlT_T0_E_clISt17integral_constantIbLb1EESY_EEDaST_SU_EUlST_E0_NS1_11comp_targetILNS1_3genE4ELNS1_11target_archE910ELNS1_3gpuE8ELNS1_3repE0EEENS1_30default_config_static_selectorELNS0_4arch9wavefront6targetE0EEEvT1_.kd
    .uniform_work_group_size: 1
    .uses_dynamic_stack: false
    .vgpr_count:     0
    .vgpr_spill_count: 0
    .wavefront_size: 32
    .workgroup_processor_mode: 1
  - .args:
      - .offset:         0
        .size:           32
        .value_kind:     by_value
    .group_segment_fixed_size: 0
    .kernarg_segment_align: 8
    .kernarg_segment_size: 32
    .language:       OpenCL C
    .language_version:
      - 2
      - 0
    .max_flat_workgroup_size: 128
    .name:           _ZN7rocprim17ROCPRIM_400000_NS6detail17trampoline_kernelINS0_14default_configENS1_20scan_config_selectorIN3c108BFloat16EEEZZNS1_9scan_implILNS1_25lookback_scan_determinismE0ELb0ELb0ES3_PKS6_PS6_S6_ZZZN2at6native31launch_logcumsumexp_cuda_kernelERKNSD_10TensorBaseESH_lENKUlvE_clEvENKUlvE4_clEvEUlS6_S6_E_S6_EEDaPvRmT3_T4_T5_mT6_P12ihipStream_tbENKUlT_T0_E_clISt17integral_constantIbLb1EESY_EEDaST_SU_EUlST_E0_NS1_11comp_targetILNS1_3genE3ELNS1_11target_archE908ELNS1_3gpuE7ELNS1_3repE0EEENS1_30default_config_static_selectorELNS0_4arch9wavefront6targetE0EEEvT1_
    .private_segment_fixed_size: 0
    .sgpr_count:     0
    .sgpr_spill_count: 0
    .symbol:         _ZN7rocprim17ROCPRIM_400000_NS6detail17trampoline_kernelINS0_14default_configENS1_20scan_config_selectorIN3c108BFloat16EEEZZNS1_9scan_implILNS1_25lookback_scan_determinismE0ELb0ELb0ES3_PKS6_PS6_S6_ZZZN2at6native31launch_logcumsumexp_cuda_kernelERKNSD_10TensorBaseESH_lENKUlvE_clEvENKUlvE4_clEvEUlS6_S6_E_S6_EEDaPvRmT3_T4_T5_mT6_P12ihipStream_tbENKUlT_T0_E_clISt17integral_constantIbLb1EESY_EEDaST_SU_EUlST_E0_NS1_11comp_targetILNS1_3genE3ELNS1_11target_archE908ELNS1_3gpuE7ELNS1_3repE0EEENS1_30default_config_static_selectorELNS0_4arch9wavefront6targetE0EEEvT1_.kd
    .uniform_work_group_size: 1
    .uses_dynamic_stack: false
    .vgpr_count:     0
    .vgpr_spill_count: 0
    .wavefront_size: 32
    .workgroup_processor_mode: 1
  - .args:
      - .offset:         0
        .size:           32
        .value_kind:     by_value
    .group_segment_fixed_size: 0
    .kernarg_segment_align: 8
    .kernarg_segment_size: 32
    .language:       OpenCL C
    .language_version:
      - 2
      - 0
    .max_flat_workgroup_size: 256
    .name:           _ZN7rocprim17ROCPRIM_400000_NS6detail17trampoline_kernelINS0_14default_configENS1_20scan_config_selectorIN3c108BFloat16EEEZZNS1_9scan_implILNS1_25lookback_scan_determinismE0ELb0ELb0ES3_PKS6_PS6_S6_ZZZN2at6native31launch_logcumsumexp_cuda_kernelERKNSD_10TensorBaseESH_lENKUlvE_clEvENKUlvE4_clEvEUlS6_S6_E_S6_EEDaPvRmT3_T4_T5_mT6_P12ihipStream_tbENKUlT_T0_E_clISt17integral_constantIbLb1EESY_EEDaST_SU_EUlST_E0_NS1_11comp_targetILNS1_3genE2ELNS1_11target_archE906ELNS1_3gpuE6ELNS1_3repE0EEENS1_30default_config_static_selectorELNS0_4arch9wavefront6targetE0EEEvT1_
    .private_segment_fixed_size: 0
    .sgpr_count:     0
    .sgpr_spill_count: 0
    .symbol:         _ZN7rocprim17ROCPRIM_400000_NS6detail17trampoline_kernelINS0_14default_configENS1_20scan_config_selectorIN3c108BFloat16EEEZZNS1_9scan_implILNS1_25lookback_scan_determinismE0ELb0ELb0ES3_PKS6_PS6_S6_ZZZN2at6native31launch_logcumsumexp_cuda_kernelERKNSD_10TensorBaseESH_lENKUlvE_clEvENKUlvE4_clEvEUlS6_S6_E_S6_EEDaPvRmT3_T4_T5_mT6_P12ihipStream_tbENKUlT_T0_E_clISt17integral_constantIbLb1EESY_EEDaST_SU_EUlST_E0_NS1_11comp_targetILNS1_3genE2ELNS1_11target_archE906ELNS1_3gpuE6ELNS1_3repE0EEENS1_30default_config_static_selectorELNS0_4arch9wavefront6targetE0EEEvT1_.kd
    .uniform_work_group_size: 1
    .uses_dynamic_stack: false
    .vgpr_count:     0
    .vgpr_spill_count: 0
    .wavefront_size: 32
    .workgroup_processor_mode: 1
  - .args:
      - .offset:         0
        .size:           32
        .value_kind:     by_value
    .group_segment_fixed_size: 0
    .kernarg_segment_align: 8
    .kernarg_segment_size: 32
    .language:       OpenCL C
    .language_version:
      - 2
      - 0
    .max_flat_workgroup_size: 256
    .name:           _ZN7rocprim17ROCPRIM_400000_NS6detail17trampoline_kernelINS0_14default_configENS1_20scan_config_selectorIN3c108BFloat16EEEZZNS1_9scan_implILNS1_25lookback_scan_determinismE0ELb0ELb0ES3_PKS6_PS6_S6_ZZZN2at6native31launch_logcumsumexp_cuda_kernelERKNSD_10TensorBaseESH_lENKUlvE_clEvENKUlvE4_clEvEUlS6_S6_E_S6_EEDaPvRmT3_T4_T5_mT6_P12ihipStream_tbENKUlT_T0_E_clISt17integral_constantIbLb1EESY_EEDaST_SU_EUlST_E0_NS1_11comp_targetILNS1_3genE10ELNS1_11target_archE1201ELNS1_3gpuE5ELNS1_3repE0EEENS1_30default_config_static_selectorELNS0_4arch9wavefront6targetE0EEEvT1_
    .private_segment_fixed_size: 0
    .sgpr_count:     0
    .sgpr_spill_count: 0
    .symbol:         _ZN7rocprim17ROCPRIM_400000_NS6detail17trampoline_kernelINS0_14default_configENS1_20scan_config_selectorIN3c108BFloat16EEEZZNS1_9scan_implILNS1_25lookback_scan_determinismE0ELb0ELb0ES3_PKS6_PS6_S6_ZZZN2at6native31launch_logcumsumexp_cuda_kernelERKNSD_10TensorBaseESH_lENKUlvE_clEvENKUlvE4_clEvEUlS6_S6_E_S6_EEDaPvRmT3_T4_T5_mT6_P12ihipStream_tbENKUlT_T0_E_clISt17integral_constantIbLb1EESY_EEDaST_SU_EUlST_E0_NS1_11comp_targetILNS1_3genE10ELNS1_11target_archE1201ELNS1_3gpuE5ELNS1_3repE0EEENS1_30default_config_static_selectorELNS0_4arch9wavefront6targetE0EEEvT1_.kd
    .uniform_work_group_size: 1
    .uses_dynamic_stack: false
    .vgpr_count:     0
    .vgpr_spill_count: 0
    .wavefront_size: 32
    .workgroup_processor_mode: 1
  - .args:
      - .offset:         0
        .size:           32
        .value_kind:     by_value
    .group_segment_fixed_size: 0
    .kernarg_segment_align: 8
    .kernarg_segment_size: 32
    .language:       OpenCL C
    .language_version:
      - 2
      - 0
    .max_flat_workgroup_size: 256
    .name:           _ZN7rocprim17ROCPRIM_400000_NS6detail17trampoline_kernelINS0_14default_configENS1_20scan_config_selectorIN3c108BFloat16EEEZZNS1_9scan_implILNS1_25lookback_scan_determinismE0ELb0ELb0ES3_PKS6_PS6_S6_ZZZN2at6native31launch_logcumsumexp_cuda_kernelERKNSD_10TensorBaseESH_lENKUlvE_clEvENKUlvE4_clEvEUlS6_S6_E_S6_EEDaPvRmT3_T4_T5_mT6_P12ihipStream_tbENKUlT_T0_E_clISt17integral_constantIbLb1EESY_EEDaST_SU_EUlST_E0_NS1_11comp_targetILNS1_3genE10ELNS1_11target_archE1200ELNS1_3gpuE4ELNS1_3repE0EEENS1_30default_config_static_selectorELNS0_4arch9wavefront6targetE0EEEvT1_
    .private_segment_fixed_size: 0
    .sgpr_count:     0
    .sgpr_spill_count: 0
    .symbol:         _ZN7rocprim17ROCPRIM_400000_NS6detail17trampoline_kernelINS0_14default_configENS1_20scan_config_selectorIN3c108BFloat16EEEZZNS1_9scan_implILNS1_25lookback_scan_determinismE0ELb0ELb0ES3_PKS6_PS6_S6_ZZZN2at6native31launch_logcumsumexp_cuda_kernelERKNSD_10TensorBaseESH_lENKUlvE_clEvENKUlvE4_clEvEUlS6_S6_E_S6_EEDaPvRmT3_T4_T5_mT6_P12ihipStream_tbENKUlT_T0_E_clISt17integral_constantIbLb1EESY_EEDaST_SU_EUlST_E0_NS1_11comp_targetILNS1_3genE10ELNS1_11target_archE1200ELNS1_3gpuE4ELNS1_3repE0EEENS1_30default_config_static_selectorELNS0_4arch9wavefront6targetE0EEEvT1_.kd
    .uniform_work_group_size: 1
    .uses_dynamic_stack: false
    .vgpr_count:     0
    .vgpr_spill_count: 0
    .wavefront_size: 32
    .workgroup_processor_mode: 1
  - .args:
      - .offset:         0
        .size:           32
        .value_kind:     by_value
    .group_segment_fixed_size: 2816
    .kernarg_segment_align: 8
    .kernarg_segment_size: 32
    .language:       OpenCL C
    .language_version:
      - 2
      - 0
    .max_flat_workgroup_size: 64
    .name:           _ZN7rocprim17ROCPRIM_400000_NS6detail17trampoline_kernelINS0_14default_configENS1_20scan_config_selectorIN3c108BFloat16EEEZZNS1_9scan_implILNS1_25lookback_scan_determinismE0ELb0ELb0ES3_PKS6_PS6_S6_ZZZN2at6native31launch_logcumsumexp_cuda_kernelERKNSD_10TensorBaseESH_lENKUlvE_clEvENKUlvE4_clEvEUlS6_S6_E_S6_EEDaPvRmT3_T4_T5_mT6_P12ihipStream_tbENKUlT_T0_E_clISt17integral_constantIbLb1EESY_EEDaST_SU_EUlST_E0_NS1_11comp_targetILNS1_3genE9ELNS1_11target_archE1100ELNS1_3gpuE3ELNS1_3repE0EEENS1_30default_config_static_selectorELNS0_4arch9wavefront6targetE0EEEvT1_
    .private_segment_fixed_size: 0
    .sgpr_count:     54
    .sgpr_spill_count: 0
    .symbol:         _ZN7rocprim17ROCPRIM_400000_NS6detail17trampoline_kernelINS0_14default_configENS1_20scan_config_selectorIN3c108BFloat16EEEZZNS1_9scan_implILNS1_25lookback_scan_determinismE0ELb0ELb0ES3_PKS6_PS6_S6_ZZZN2at6native31launch_logcumsumexp_cuda_kernelERKNSD_10TensorBaseESH_lENKUlvE_clEvENKUlvE4_clEvEUlS6_S6_E_S6_EEDaPvRmT3_T4_T5_mT6_P12ihipStream_tbENKUlT_T0_E_clISt17integral_constantIbLb1EESY_EEDaST_SU_EUlST_E0_NS1_11comp_targetILNS1_3genE9ELNS1_11target_archE1100ELNS1_3gpuE3ELNS1_3repE0EEENS1_30default_config_static_selectorELNS0_4arch9wavefront6targetE0EEEvT1_.kd
    .uniform_work_group_size: 1
    .uses_dynamic_stack: false
    .vgpr_count:     70
    .vgpr_spill_count: 0
    .wavefront_size: 32
    .workgroup_processor_mode: 1
  - .args:
      - .offset:         0
        .size:           32
        .value_kind:     by_value
    .group_segment_fixed_size: 0
    .kernarg_segment_align: 8
    .kernarg_segment_size: 32
    .language:       OpenCL C
    .language_version:
      - 2
      - 0
    .max_flat_workgroup_size: 64
    .name:           _ZN7rocprim17ROCPRIM_400000_NS6detail17trampoline_kernelINS0_14default_configENS1_20scan_config_selectorIN3c108BFloat16EEEZZNS1_9scan_implILNS1_25lookback_scan_determinismE0ELb0ELb0ES3_PKS6_PS6_S6_ZZZN2at6native31launch_logcumsumexp_cuda_kernelERKNSD_10TensorBaseESH_lENKUlvE_clEvENKUlvE4_clEvEUlS6_S6_E_S6_EEDaPvRmT3_T4_T5_mT6_P12ihipStream_tbENKUlT_T0_E_clISt17integral_constantIbLb1EESY_EEDaST_SU_EUlST_E0_NS1_11comp_targetILNS1_3genE8ELNS1_11target_archE1030ELNS1_3gpuE2ELNS1_3repE0EEENS1_30default_config_static_selectorELNS0_4arch9wavefront6targetE0EEEvT1_
    .private_segment_fixed_size: 0
    .sgpr_count:     0
    .sgpr_spill_count: 0
    .symbol:         _ZN7rocprim17ROCPRIM_400000_NS6detail17trampoline_kernelINS0_14default_configENS1_20scan_config_selectorIN3c108BFloat16EEEZZNS1_9scan_implILNS1_25lookback_scan_determinismE0ELb0ELb0ES3_PKS6_PS6_S6_ZZZN2at6native31launch_logcumsumexp_cuda_kernelERKNSD_10TensorBaseESH_lENKUlvE_clEvENKUlvE4_clEvEUlS6_S6_E_S6_EEDaPvRmT3_T4_T5_mT6_P12ihipStream_tbENKUlT_T0_E_clISt17integral_constantIbLb1EESY_EEDaST_SU_EUlST_E0_NS1_11comp_targetILNS1_3genE8ELNS1_11target_archE1030ELNS1_3gpuE2ELNS1_3repE0EEENS1_30default_config_static_selectorELNS0_4arch9wavefront6targetE0EEEvT1_.kd
    .uniform_work_group_size: 1
    .uses_dynamic_stack: false
    .vgpr_count:     0
    .vgpr_spill_count: 0
    .wavefront_size: 32
    .workgroup_processor_mode: 1
  - .args:
      - .address_space:  global
        .offset:         0
        .size:           8
        .value_kind:     global_buffer
      - .offset:         8
        .size:           4
        .value_kind:     by_value
      - .offset:         12
        .size:           1
        .value_kind:     by_value
      - .offset:         16
        .size:           4
        .value_kind:     by_value
      - .address_space:  global
        .offset:         24
        .size:           8
        .value_kind:     global_buffer
      - .offset:         32
        .size:           4
        .value_kind:     hidden_block_count_x
      - .offset:         36
        .size:           4
        .value_kind:     hidden_block_count_y
      - .offset:         40
        .size:           4
        .value_kind:     hidden_block_count_z
      - .offset:         44
        .size:           2
        .value_kind:     hidden_group_size_x
      - .offset:         46
        .size:           2
        .value_kind:     hidden_group_size_y
      - .offset:         48
        .size:           2
        .value_kind:     hidden_group_size_z
      - .offset:         50
        .size:           2
        .value_kind:     hidden_remainder_x
      - .offset:         52
        .size:           2
        .value_kind:     hidden_remainder_y
      - .offset:         54
        .size:           2
        .value_kind:     hidden_remainder_z
      - .offset:         72
        .size:           8
        .value_kind:     hidden_global_offset_x
      - .offset:         80
        .size:           8
        .value_kind:     hidden_global_offset_y
      - .offset:         88
        .size:           8
        .value_kind:     hidden_global_offset_z
      - .offset:         96
        .size:           2
        .value_kind:     hidden_grid_dims
    .group_segment_fixed_size: 0
    .kernarg_segment_align: 8
    .kernarg_segment_size: 288
    .language:       OpenCL C
    .language_version:
      - 2
      - 0
    .max_flat_workgroup_size: 256
    .name:           _ZN7rocprim17ROCPRIM_400000_NS6detail31init_lookback_scan_state_kernelINS1_19lookback_scan_stateIN3c108BFloat16ELb1ELb1EEENS1_16block_id_wrapperIjLb0EEEEEvT_jT0_jPNS9_10value_typeE
    .private_segment_fixed_size: 0
    .sgpr_count:     18
    .sgpr_spill_count: 0
    .symbol:         _ZN7rocprim17ROCPRIM_400000_NS6detail31init_lookback_scan_state_kernelINS1_19lookback_scan_stateIN3c108BFloat16ELb1ELb1EEENS1_16block_id_wrapperIjLb0EEEEEvT_jT0_jPNS9_10value_typeE.kd
    .uniform_work_group_size: 1
    .uses_dynamic_stack: false
    .vgpr_count:     6
    .vgpr_spill_count: 0
    .wavefront_size: 32
    .workgroup_processor_mode: 1
  - .args:
      - .offset:         0
        .size:           96
        .value_kind:     by_value
    .group_segment_fixed_size: 0
    .kernarg_segment_align: 8
    .kernarg_segment_size: 96
    .language:       OpenCL C
    .language_version:
      - 2
      - 0
    .max_flat_workgroup_size: 128
    .name:           _ZN7rocprim17ROCPRIM_400000_NS6detail17trampoline_kernelINS0_14default_configENS1_20scan_config_selectorIN3c108BFloat16EEEZZNS1_9scan_implILNS1_25lookback_scan_determinismE0ELb0ELb0ES3_PKS6_PS6_S6_ZZZN2at6native31launch_logcumsumexp_cuda_kernelERKNSD_10TensorBaseESH_lENKUlvE_clEvENKUlvE4_clEvEUlS6_S6_E_S6_EEDaPvRmT3_T4_T5_mT6_P12ihipStream_tbENKUlT_T0_E_clISt17integral_constantIbLb1EESX_IbLb0EEEEDaST_SU_EUlST_E_NS1_11comp_targetILNS1_3genE0ELNS1_11target_archE4294967295ELNS1_3gpuE0ELNS1_3repE0EEENS1_30default_config_static_selectorELNS0_4arch9wavefront6targetE0EEEvT1_
    .private_segment_fixed_size: 0
    .sgpr_count:     0
    .sgpr_spill_count: 0
    .symbol:         _ZN7rocprim17ROCPRIM_400000_NS6detail17trampoline_kernelINS0_14default_configENS1_20scan_config_selectorIN3c108BFloat16EEEZZNS1_9scan_implILNS1_25lookback_scan_determinismE0ELb0ELb0ES3_PKS6_PS6_S6_ZZZN2at6native31launch_logcumsumexp_cuda_kernelERKNSD_10TensorBaseESH_lENKUlvE_clEvENKUlvE4_clEvEUlS6_S6_E_S6_EEDaPvRmT3_T4_T5_mT6_P12ihipStream_tbENKUlT_T0_E_clISt17integral_constantIbLb1EESX_IbLb0EEEEDaST_SU_EUlST_E_NS1_11comp_targetILNS1_3genE0ELNS1_11target_archE4294967295ELNS1_3gpuE0ELNS1_3repE0EEENS1_30default_config_static_selectorELNS0_4arch9wavefront6targetE0EEEvT1_.kd
    .uniform_work_group_size: 1
    .uses_dynamic_stack: false
    .vgpr_count:     0
    .vgpr_spill_count: 0
    .wavefront_size: 32
    .workgroup_processor_mode: 1
  - .args:
      - .offset:         0
        .size:           96
        .value_kind:     by_value
    .group_segment_fixed_size: 0
    .kernarg_segment_align: 8
    .kernarg_segment_size: 96
    .language:       OpenCL C
    .language_version:
      - 2
      - 0
    .max_flat_workgroup_size: 256
    .name:           _ZN7rocprim17ROCPRIM_400000_NS6detail17trampoline_kernelINS0_14default_configENS1_20scan_config_selectorIN3c108BFloat16EEEZZNS1_9scan_implILNS1_25lookback_scan_determinismE0ELb0ELb0ES3_PKS6_PS6_S6_ZZZN2at6native31launch_logcumsumexp_cuda_kernelERKNSD_10TensorBaseESH_lENKUlvE_clEvENKUlvE4_clEvEUlS6_S6_E_S6_EEDaPvRmT3_T4_T5_mT6_P12ihipStream_tbENKUlT_T0_E_clISt17integral_constantIbLb1EESX_IbLb0EEEEDaST_SU_EUlST_E_NS1_11comp_targetILNS1_3genE5ELNS1_11target_archE942ELNS1_3gpuE9ELNS1_3repE0EEENS1_30default_config_static_selectorELNS0_4arch9wavefront6targetE0EEEvT1_
    .private_segment_fixed_size: 0
    .sgpr_count:     0
    .sgpr_spill_count: 0
    .symbol:         _ZN7rocprim17ROCPRIM_400000_NS6detail17trampoline_kernelINS0_14default_configENS1_20scan_config_selectorIN3c108BFloat16EEEZZNS1_9scan_implILNS1_25lookback_scan_determinismE0ELb0ELb0ES3_PKS6_PS6_S6_ZZZN2at6native31launch_logcumsumexp_cuda_kernelERKNSD_10TensorBaseESH_lENKUlvE_clEvENKUlvE4_clEvEUlS6_S6_E_S6_EEDaPvRmT3_T4_T5_mT6_P12ihipStream_tbENKUlT_T0_E_clISt17integral_constantIbLb1EESX_IbLb0EEEEDaST_SU_EUlST_E_NS1_11comp_targetILNS1_3genE5ELNS1_11target_archE942ELNS1_3gpuE9ELNS1_3repE0EEENS1_30default_config_static_selectorELNS0_4arch9wavefront6targetE0EEEvT1_.kd
    .uniform_work_group_size: 1
    .uses_dynamic_stack: false
    .vgpr_count:     0
    .vgpr_spill_count: 0
    .wavefront_size: 32
    .workgroup_processor_mode: 1
  - .args:
      - .offset:         0
        .size:           96
        .value_kind:     by_value
    .group_segment_fixed_size: 0
    .kernarg_segment_align: 8
    .kernarg_segment_size: 96
    .language:       OpenCL C
    .language_version:
      - 2
      - 0
    .max_flat_workgroup_size: 64
    .name:           _ZN7rocprim17ROCPRIM_400000_NS6detail17trampoline_kernelINS0_14default_configENS1_20scan_config_selectorIN3c108BFloat16EEEZZNS1_9scan_implILNS1_25lookback_scan_determinismE0ELb0ELb0ES3_PKS6_PS6_S6_ZZZN2at6native31launch_logcumsumexp_cuda_kernelERKNSD_10TensorBaseESH_lENKUlvE_clEvENKUlvE4_clEvEUlS6_S6_E_S6_EEDaPvRmT3_T4_T5_mT6_P12ihipStream_tbENKUlT_T0_E_clISt17integral_constantIbLb1EESX_IbLb0EEEEDaST_SU_EUlST_E_NS1_11comp_targetILNS1_3genE4ELNS1_11target_archE910ELNS1_3gpuE8ELNS1_3repE0EEENS1_30default_config_static_selectorELNS0_4arch9wavefront6targetE0EEEvT1_
    .private_segment_fixed_size: 0
    .sgpr_count:     0
    .sgpr_spill_count: 0
    .symbol:         _ZN7rocprim17ROCPRIM_400000_NS6detail17trampoline_kernelINS0_14default_configENS1_20scan_config_selectorIN3c108BFloat16EEEZZNS1_9scan_implILNS1_25lookback_scan_determinismE0ELb0ELb0ES3_PKS6_PS6_S6_ZZZN2at6native31launch_logcumsumexp_cuda_kernelERKNSD_10TensorBaseESH_lENKUlvE_clEvENKUlvE4_clEvEUlS6_S6_E_S6_EEDaPvRmT3_T4_T5_mT6_P12ihipStream_tbENKUlT_T0_E_clISt17integral_constantIbLb1EESX_IbLb0EEEEDaST_SU_EUlST_E_NS1_11comp_targetILNS1_3genE4ELNS1_11target_archE910ELNS1_3gpuE8ELNS1_3repE0EEENS1_30default_config_static_selectorELNS0_4arch9wavefront6targetE0EEEvT1_.kd
    .uniform_work_group_size: 1
    .uses_dynamic_stack: false
    .vgpr_count:     0
    .vgpr_spill_count: 0
    .wavefront_size: 32
    .workgroup_processor_mode: 1
  - .args:
      - .offset:         0
        .size:           96
        .value_kind:     by_value
    .group_segment_fixed_size: 0
    .kernarg_segment_align: 8
    .kernarg_segment_size: 96
    .language:       OpenCL C
    .language_version:
      - 2
      - 0
    .max_flat_workgroup_size: 128
    .name:           _ZN7rocprim17ROCPRIM_400000_NS6detail17trampoline_kernelINS0_14default_configENS1_20scan_config_selectorIN3c108BFloat16EEEZZNS1_9scan_implILNS1_25lookback_scan_determinismE0ELb0ELb0ES3_PKS6_PS6_S6_ZZZN2at6native31launch_logcumsumexp_cuda_kernelERKNSD_10TensorBaseESH_lENKUlvE_clEvENKUlvE4_clEvEUlS6_S6_E_S6_EEDaPvRmT3_T4_T5_mT6_P12ihipStream_tbENKUlT_T0_E_clISt17integral_constantIbLb1EESX_IbLb0EEEEDaST_SU_EUlST_E_NS1_11comp_targetILNS1_3genE3ELNS1_11target_archE908ELNS1_3gpuE7ELNS1_3repE0EEENS1_30default_config_static_selectorELNS0_4arch9wavefront6targetE0EEEvT1_
    .private_segment_fixed_size: 0
    .sgpr_count:     0
    .sgpr_spill_count: 0
    .symbol:         _ZN7rocprim17ROCPRIM_400000_NS6detail17trampoline_kernelINS0_14default_configENS1_20scan_config_selectorIN3c108BFloat16EEEZZNS1_9scan_implILNS1_25lookback_scan_determinismE0ELb0ELb0ES3_PKS6_PS6_S6_ZZZN2at6native31launch_logcumsumexp_cuda_kernelERKNSD_10TensorBaseESH_lENKUlvE_clEvENKUlvE4_clEvEUlS6_S6_E_S6_EEDaPvRmT3_T4_T5_mT6_P12ihipStream_tbENKUlT_T0_E_clISt17integral_constantIbLb1EESX_IbLb0EEEEDaST_SU_EUlST_E_NS1_11comp_targetILNS1_3genE3ELNS1_11target_archE908ELNS1_3gpuE7ELNS1_3repE0EEENS1_30default_config_static_selectorELNS0_4arch9wavefront6targetE0EEEvT1_.kd
    .uniform_work_group_size: 1
    .uses_dynamic_stack: false
    .vgpr_count:     0
    .vgpr_spill_count: 0
    .wavefront_size: 32
    .workgroup_processor_mode: 1
  - .args:
      - .offset:         0
        .size:           96
        .value_kind:     by_value
    .group_segment_fixed_size: 0
    .kernarg_segment_align: 8
    .kernarg_segment_size: 96
    .language:       OpenCL C
    .language_version:
      - 2
      - 0
    .max_flat_workgroup_size: 256
    .name:           _ZN7rocprim17ROCPRIM_400000_NS6detail17trampoline_kernelINS0_14default_configENS1_20scan_config_selectorIN3c108BFloat16EEEZZNS1_9scan_implILNS1_25lookback_scan_determinismE0ELb0ELb0ES3_PKS6_PS6_S6_ZZZN2at6native31launch_logcumsumexp_cuda_kernelERKNSD_10TensorBaseESH_lENKUlvE_clEvENKUlvE4_clEvEUlS6_S6_E_S6_EEDaPvRmT3_T4_T5_mT6_P12ihipStream_tbENKUlT_T0_E_clISt17integral_constantIbLb1EESX_IbLb0EEEEDaST_SU_EUlST_E_NS1_11comp_targetILNS1_3genE2ELNS1_11target_archE906ELNS1_3gpuE6ELNS1_3repE0EEENS1_30default_config_static_selectorELNS0_4arch9wavefront6targetE0EEEvT1_
    .private_segment_fixed_size: 0
    .sgpr_count:     0
    .sgpr_spill_count: 0
    .symbol:         _ZN7rocprim17ROCPRIM_400000_NS6detail17trampoline_kernelINS0_14default_configENS1_20scan_config_selectorIN3c108BFloat16EEEZZNS1_9scan_implILNS1_25lookback_scan_determinismE0ELb0ELb0ES3_PKS6_PS6_S6_ZZZN2at6native31launch_logcumsumexp_cuda_kernelERKNSD_10TensorBaseESH_lENKUlvE_clEvENKUlvE4_clEvEUlS6_S6_E_S6_EEDaPvRmT3_T4_T5_mT6_P12ihipStream_tbENKUlT_T0_E_clISt17integral_constantIbLb1EESX_IbLb0EEEEDaST_SU_EUlST_E_NS1_11comp_targetILNS1_3genE2ELNS1_11target_archE906ELNS1_3gpuE6ELNS1_3repE0EEENS1_30default_config_static_selectorELNS0_4arch9wavefront6targetE0EEEvT1_.kd
    .uniform_work_group_size: 1
    .uses_dynamic_stack: false
    .vgpr_count:     0
    .vgpr_spill_count: 0
    .wavefront_size: 32
    .workgroup_processor_mode: 1
  - .args:
      - .offset:         0
        .size:           96
        .value_kind:     by_value
    .group_segment_fixed_size: 0
    .kernarg_segment_align: 8
    .kernarg_segment_size: 96
    .language:       OpenCL C
    .language_version:
      - 2
      - 0
    .max_flat_workgroup_size: 256
    .name:           _ZN7rocprim17ROCPRIM_400000_NS6detail17trampoline_kernelINS0_14default_configENS1_20scan_config_selectorIN3c108BFloat16EEEZZNS1_9scan_implILNS1_25lookback_scan_determinismE0ELb0ELb0ES3_PKS6_PS6_S6_ZZZN2at6native31launch_logcumsumexp_cuda_kernelERKNSD_10TensorBaseESH_lENKUlvE_clEvENKUlvE4_clEvEUlS6_S6_E_S6_EEDaPvRmT3_T4_T5_mT6_P12ihipStream_tbENKUlT_T0_E_clISt17integral_constantIbLb1EESX_IbLb0EEEEDaST_SU_EUlST_E_NS1_11comp_targetILNS1_3genE10ELNS1_11target_archE1201ELNS1_3gpuE5ELNS1_3repE0EEENS1_30default_config_static_selectorELNS0_4arch9wavefront6targetE0EEEvT1_
    .private_segment_fixed_size: 0
    .sgpr_count:     0
    .sgpr_spill_count: 0
    .symbol:         _ZN7rocprim17ROCPRIM_400000_NS6detail17trampoline_kernelINS0_14default_configENS1_20scan_config_selectorIN3c108BFloat16EEEZZNS1_9scan_implILNS1_25lookback_scan_determinismE0ELb0ELb0ES3_PKS6_PS6_S6_ZZZN2at6native31launch_logcumsumexp_cuda_kernelERKNSD_10TensorBaseESH_lENKUlvE_clEvENKUlvE4_clEvEUlS6_S6_E_S6_EEDaPvRmT3_T4_T5_mT6_P12ihipStream_tbENKUlT_T0_E_clISt17integral_constantIbLb1EESX_IbLb0EEEEDaST_SU_EUlST_E_NS1_11comp_targetILNS1_3genE10ELNS1_11target_archE1201ELNS1_3gpuE5ELNS1_3repE0EEENS1_30default_config_static_selectorELNS0_4arch9wavefront6targetE0EEEvT1_.kd
    .uniform_work_group_size: 1
    .uses_dynamic_stack: false
    .vgpr_count:     0
    .vgpr_spill_count: 0
    .wavefront_size: 32
    .workgroup_processor_mode: 1
  - .args:
      - .offset:         0
        .size:           96
        .value_kind:     by_value
    .group_segment_fixed_size: 0
    .kernarg_segment_align: 8
    .kernarg_segment_size: 96
    .language:       OpenCL C
    .language_version:
      - 2
      - 0
    .max_flat_workgroup_size: 256
    .name:           _ZN7rocprim17ROCPRIM_400000_NS6detail17trampoline_kernelINS0_14default_configENS1_20scan_config_selectorIN3c108BFloat16EEEZZNS1_9scan_implILNS1_25lookback_scan_determinismE0ELb0ELb0ES3_PKS6_PS6_S6_ZZZN2at6native31launch_logcumsumexp_cuda_kernelERKNSD_10TensorBaseESH_lENKUlvE_clEvENKUlvE4_clEvEUlS6_S6_E_S6_EEDaPvRmT3_T4_T5_mT6_P12ihipStream_tbENKUlT_T0_E_clISt17integral_constantIbLb1EESX_IbLb0EEEEDaST_SU_EUlST_E_NS1_11comp_targetILNS1_3genE10ELNS1_11target_archE1200ELNS1_3gpuE4ELNS1_3repE0EEENS1_30default_config_static_selectorELNS0_4arch9wavefront6targetE0EEEvT1_
    .private_segment_fixed_size: 0
    .sgpr_count:     0
    .sgpr_spill_count: 0
    .symbol:         _ZN7rocprim17ROCPRIM_400000_NS6detail17trampoline_kernelINS0_14default_configENS1_20scan_config_selectorIN3c108BFloat16EEEZZNS1_9scan_implILNS1_25lookback_scan_determinismE0ELb0ELb0ES3_PKS6_PS6_S6_ZZZN2at6native31launch_logcumsumexp_cuda_kernelERKNSD_10TensorBaseESH_lENKUlvE_clEvENKUlvE4_clEvEUlS6_S6_E_S6_EEDaPvRmT3_T4_T5_mT6_P12ihipStream_tbENKUlT_T0_E_clISt17integral_constantIbLb1EESX_IbLb0EEEEDaST_SU_EUlST_E_NS1_11comp_targetILNS1_3genE10ELNS1_11target_archE1200ELNS1_3gpuE4ELNS1_3repE0EEENS1_30default_config_static_selectorELNS0_4arch9wavefront6targetE0EEEvT1_.kd
    .uniform_work_group_size: 1
    .uses_dynamic_stack: false
    .vgpr_count:     0
    .vgpr_spill_count: 0
    .wavefront_size: 32
    .workgroup_processor_mode: 1
  - .args:
      - .offset:         0
        .size:           96
        .value_kind:     by_value
      - .offset:         96
        .size:           4
        .value_kind:     hidden_block_count_x
      - .offset:         100
        .size:           4
        .value_kind:     hidden_block_count_y
      - .offset:         104
        .size:           4
        .value_kind:     hidden_block_count_z
      - .offset:         108
        .size:           2
        .value_kind:     hidden_group_size_x
      - .offset:         110
        .size:           2
        .value_kind:     hidden_group_size_y
      - .offset:         112
        .size:           2
        .value_kind:     hidden_group_size_z
      - .offset:         114
        .size:           2
        .value_kind:     hidden_remainder_x
      - .offset:         116
        .size:           2
        .value_kind:     hidden_remainder_y
      - .offset:         118
        .size:           2
        .value_kind:     hidden_remainder_z
      - .offset:         136
        .size:           8
        .value_kind:     hidden_global_offset_x
      - .offset:         144
        .size:           8
        .value_kind:     hidden_global_offset_y
      - .offset:         152
        .size:           8
        .value_kind:     hidden_global_offset_z
      - .offset:         160
        .size:           2
        .value_kind:     hidden_grid_dims
    .group_segment_fixed_size: 2816
    .kernarg_segment_align: 8
    .kernarg_segment_size: 352
    .language:       OpenCL C
    .language_version:
      - 2
      - 0
    .max_flat_workgroup_size: 64
    .name:           _ZN7rocprim17ROCPRIM_400000_NS6detail17trampoline_kernelINS0_14default_configENS1_20scan_config_selectorIN3c108BFloat16EEEZZNS1_9scan_implILNS1_25lookback_scan_determinismE0ELb0ELb0ES3_PKS6_PS6_S6_ZZZN2at6native31launch_logcumsumexp_cuda_kernelERKNSD_10TensorBaseESH_lENKUlvE_clEvENKUlvE4_clEvEUlS6_S6_E_S6_EEDaPvRmT3_T4_T5_mT6_P12ihipStream_tbENKUlT_T0_E_clISt17integral_constantIbLb1EESX_IbLb0EEEEDaST_SU_EUlST_E_NS1_11comp_targetILNS1_3genE9ELNS1_11target_archE1100ELNS1_3gpuE3ELNS1_3repE0EEENS1_30default_config_static_selectorELNS0_4arch9wavefront6targetE0EEEvT1_
    .private_segment_fixed_size: 120
    .sgpr_count:     46
    .sgpr_spill_count: 0
    .symbol:         _ZN7rocprim17ROCPRIM_400000_NS6detail17trampoline_kernelINS0_14default_configENS1_20scan_config_selectorIN3c108BFloat16EEEZZNS1_9scan_implILNS1_25lookback_scan_determinismE0ELb0ELb0ES3_PKS6_PS6_S6_ZZZN2at6native31launch_logcumsumexp_cuda_kernelERKNSD_10TensorBaseESH_lENKUlvE_clEvENKUlvE4_clEvEUlS6_S6_E_S6_EEDaPvRmT3_T4_T5_mT6_P12ihipStream_tbENKUlT_T0_E_clISt17integral_constantIbLb1EESX_IbLb0EEEEDaST_SU_EUlST_E_NS1_11comp_targetILNS1_3genE9ELNS1_11target_archE1100ELNS1_3gpuE3ELNS1_3repE0EEENS1_30default_config_static_selectorELNS0_4arch9wavefront6targetE0EEEvT1_.kd
    .uniform_work_group_size: 1
    .uses_dynamic_stack: false
    .vgpr_count:     197
    .vgpr_spill_count: 0
    .wavefront_size: 32
    .workgroup_processor_mode: 1
  - .args:
      - .offset:         0
        .size:           96
        .value_kind:     by_value
    .group_segment_fixed_size: 0
    .kernarg_segment_align: 8
    .kernarg_segment_size: 96
    .language:       OpenCL C
    .language_version:
      - 2
      - 0
    .max_flat_workgroup_size: 64
    .name:           _ZN7rocprim17ROCPRIM_400000_NS6detail17trampoline_kernelINS0_14default_configENS1_20scan_config_selectorIN3c108BFloat16EEEZZNS1_9scan_implILNS1_25lookback_scan_determinismE0ELb0ELb0ES3_PKS6_PS6_S6_ZZZN2at6native31launch_logcumsumexp_cuda_kernelERKNSD_10TensorBaseESH_lENKUlvE_clEvENKUlvE4_clEvEUlS6_S6_E_S6_EEDaPvRmT3_T4_T5_mT6_P12ihipStream_tbENKUlT_T0_E_clISt17integral_constantIbLb1EESX_IbLb0EEEEDaST_SU_EUlST_E_NS1_11comp_targetILNS1_3genE8ELNS1_11target_archE1030ELNS1_3gpuE2ELNS1_3repE0EEENS1_30default_config_static_selectorELNS0_4arch9wavefront6targetE0EEEvT1_
    .private_segment_fixed_size: 0
    .sgpr_count:     0
    .sgpr_spill_count: 0
    .symbol:         _ZN7rocprim17ROCPRIM_400000_NS6detail17trampoline_kernelINS0_14default_configENS1_20scan_config_selectorIN3c108BFloat16EEEZZNS1_9scan_implILNS1_25lookback_scan_determinismE0ELb0ELb0ES3_PKS6_PS6_S6_ZZZN2at6native31launch_logcumsumexp_cuda_kernelERKNSD_10TensorBaseESH_lENKUlvE_clEvENKUlvE4_clEvEUlS6_S6_E_S6_EEDaPvRmT3_T4_T5_mT6_P12ihipStream_tbENKUlT_T0_E_clISt17integral_constantIbLb1EESX_IbLb0EEEEDaST_SU_EUlST_E_NS1_11comp_targetILNS1_3genE8ELNS1_11target_archE1030ELNS1_3gpuE2ELNS1_3repE0EEENS1_30default_config_static_selectorELNS0_4arch9wavefront6targetE0EEEvT1_.kd
    .uniform_work_group_size: 1
    .uses_dynamic_stack: false
    .vgpr_count:     0
    .vgpr_spill_count: 0
    .wavefront_size: 32
    .workgroup_processor_mode: 1
  - .args:
      - .offset:         0
        .size:           32
        .value_kind:     by_value
    .group_segment_fixed_size: 0
    .kernarg_segment_align: 8
    .kernarg_segment_size: 32
    .language:       OpenCL C
    .language_version:
      - 2
      - 0
    .max_flat_workgroup_size: 128
    .name:           _ZN7rocprim17ROCPRIM_400000_NS6detail17trampoline_kernelINS0_14default_configENS1_20scan_config_selectorIN3c108BFloat16EEEZZNS1_9scan_implILNS1_25lookback_scan_determinismE0ELb0ELb0ES3_PKS6_PS6_S6_ZZZN2at6native31launch_logcumsumexp_cuda_kernelERKNSD_10TensorBaseESH_lENKUlvE_clEvENKUlvE4_clEvEUlS6_S6_E_S6_EEDaPvRmT3_T4_T5_mT6_P12ihipStream_tbENKUlT_T0_E_clISt17integral_constantIbLb1EESX_IbLb0EEEEDaST_SU_EUlST_E0_NS1_11comp_targetILNS1_3genE0ELNS1_11target_archE4294967295ELNS1_3gpuE0ELNS1_3repE0EEENS1_30default_config_static_selectorELNS0_4arch9wavefront6targetE0EEEvT1_
    .private_segment_fixed_size: 0
    .sgpr_count:     0
    .sgpr_spill_count: 0
    .symbol:         _ZN7rocprim17ROCPRIM_400000_NS6detail17trampoline_kernelINS0_14default_configENS1_20scan_config_selectorIN3c108BFloat16EEEZZNS1_9scan_implILNS1_25lookback_scan_determinismE0ELb0ELb0ES3_PKS6_PS6_S6_ZZZN2at6native31launch_logcumsumexp_cuda_kernelERKNSD_10TensorBaseESH_lENKUlvE_clEvENKUlvE4_clEvEUlS6_S6_E_S6_EEDaPvRmT3_T4_T5_mT6_P12ihipStream_tbENKUlT_T0_E_clISt17integral_constantIbLb1EESX_IbLb0EEEEDaST_SU_EUlST_E0_NS1_11comp_targetILNS1_3genE0ELNS1_11target_archE4294967295ELNS1_3gpuE0ELNS1_3repE0EEENS1_30default_config_static_selectorELNS0_4arch9wavefront6targetE0EEEvT1_.kd
    .uniform_work_group_size: 1
    .uses_dynamic_stack: false
    .vgpr_count:     0
    .vgpr_spill_count: 0
    .wavefront_size: 32
    .workgroup_processor_mode: 1
  - .args:
      - .offset:         0
        .size:           32
        .value_kind:     by_value
    .group_segment_fixed_size: 0
    .kernarg_segment_align: 8
    .kernarg_segment_size: 32
    .language:       OpenCL C
    .language_version:
      - 2
      - 0
    .max_flat_workgroup_size: 256
    .name:           _ZN7rocprim17ROCPRIM_400000_NS6detail17trampoline_kernelINS0_14default_configENS1_20scan_config_selectorIN3c108BFloat16EEEZZNS1_9scan_implILNS1_25lookback_scan_determinismE0ELb0ELb0ES3_PKS6_PS6_S6_ZZZN2at6native31launch_logcumsumexp_cuda_kernelERKNSD_10TensorBaseESH_lENKUlvE_clEvENKUlvE4_clEvEUlS6_S6_E_S6_EEDaPvRmT3_T4_T5_mT6_P12ihipStream_tbENKUlT_T0_E_clISt17integral_constantIbLb1EESX_IbLb0EEEEDaST_SU_EUlST_E0_NS1_11comp_targetILNS1_3genE5ELNS1_11target_archE942ELNS1_3gpuE9ELNS1_3repE0EEENS1_30default_config_static_selectorELNS0_4arch9wavefront6targetE0EEEvT1_
    .private_segment_fixed_size: 0
    .sgpr_count:     0
    .sgpr_spill_count: 0
    .symbol:         _ZN7rocprim17ROCPRIM_400000_NS6detail17trampoline_kernelINS0_14default_configENS1_20scan_config_selectorIN3c108BFloat16EEEZZNS1_9scan_implILNS1_25lookback_scan_determinismE0ELb0ELb0ES3_PKS6_PS6_S6_ZZZN2at6native31launch_logcumsumexp_cuda_kernelERKNSD_10TensorBaseESH_lENKUlvE_clEvENKUlvE4_clEvEUlS6_S6_E_S6_EEDaPvRmT3_T4_T5_mT6_P12ihipStream_tbENKUlT_T0_E_clISt17integral_constantIbLb1EESX_IbLb0EEEEDaST_SU_EUlST_E0_NS1_11comp_targetILNS1_3genE5ELNS1_11target_archE942ELNS1_3gpuE9ELNS1_3repE0EEENS1_30default_config_static_selectorELNS0_4arch9wavefront6targetE0EEEvT1_.kd
    .uniform_work_group_size: 1
    .uses_dynamic_stack: false
    .vgpr_count:     0
    .vgpr_spill_count: 0
    .wavefront_size: 32
    .workgroup_processor_mode: 1
  - .args:
      - .offset:         0
        .size:           32
        .value_kind:     by_value
    .group_segment_fixed_size: 0
    .kernarg_segment_align: 8
    .kernarg_segment_size: 32
    .language:       OpenCL C
    .language_version:
      - 2
      - 0
    .max_flat_workgroup_size: 64
    .name:           _ZN7rocprim17ROCPRIM_400000_NS6detail17trampoline_kernelINS0_14default_configENS1_20scan_config_selectorIN3c108BFloat16EEEZZNS1_9scan_implILNS1_25lookback_scan_determinismE0ELb0ELb0ES3_PKS6_PS6_S6_ZZZN2at6native31launch_logcumsumexp_cuda_kernelERKNSD_10TensorBaseESH_lENKUlvE_clEvENKUlvE4_clEvEUlS6_S6_E_S6_EEDaPvRmT3_T4_T5_mT6_P12ihipStream_tbENKUlT_T0_E_clISt17integral_constantIbLb1EESX_IbLb0EEEEDaST_SU_EUlST_E0_NS1_11comp_targetILNS1_3genE4ELNS1_11target_archE910ELNS1_3gpuE8ELNS1_3repE0EEENS1_30default_config_static_selectorELNS0_4arch9wavefront6targetE0EEEvT1_
    .private_segment_fixed_size: 0
    .sgpr_count:     0
    .sgpr_spill_count: 0
    .symbol:         _ZN7rocprim17ROCPRIM_400000_NS6detail17trampoline_kernelINS0_14default_configENS1_20scan_config_selectorIN3c108BFloat16EEEZZNS1_9scan_implILNS1_25lookback_scan_determinismE0ELb0ELb0ES3_PKS6_PS6_S6_ZZZN2at6native31launch_logcumsumexp_cuda_kernelERKNSD_10TensorBaseESH_lENKUlvE_clEvENKUlvE4_clEvEUlS6_S6_E_S6_EEDaPvRmT3_T4_T5_mT6_P12ihipStream_tbENKUlT_T0_E_clISt17integral_constantIbLb1EESX_IbLb0EEEEDaST_SU_EUlST_E0_NS1_11comp_targetILNS1_3genE4ELNS1_11target_archE910ELNS1_3gpuE8ELNS1_3repE0EEENS1_30default_config_static_selectorELNS0_4arch9wavefront6targetE0EEEvT1_.kd
    .uniform_work_group_size: 1
    .uses_dynamic_stack: false
    .vgpr_count:     0
    .vgpr_spill_count: 0
    .wavefront_size: 32
    .workgroup_processor_mode: 1
  - .args:
      - .offset:         0
        .size:           32
        .value_kind:     by_value
    .group_segment_fixed_size: 0
    .kernarg_segment_align: 8
    .kernarg_segment_size: 32
    .language:       OpenCL C
    .language_version:
      - 2
      - 0
    .max_flat_workgroup_size: 128
    .name:           _ZN7rocprim17ROCPRIM_400000_NS6detail17trampoline_kernelINS0_14default_configENS1_20scan_config_selectorIN3c108BFloat16EEEZZNS1_9scan_implILNS1_25lookback_scan_determinismE0ELb0ELb0ES3_PKS6_PS6_S6_ZZZN2at6native31launch_logcumsumexp_cuda_kernelERKNSD_10TensorBaseESH_lENKUlvE_clEvENKUlvE4_clEvEUlS6_S6_E_S6_EEDaPvRmT3_T4_T5_mT6_P12ihipStream_tbENKUlT_T0_E_clISt17integral_constantIbLb1EESX_IbLb0EEEEDaST_SU_EUlST_E0_NS1_11comp_targetILNS1_3genE3ELNS1_11target_archE908ELNS1_3gpuE7ELNS1_3repE0EEENS1_30default_config_static_selectorELNS0_4arch9wavefront6targetE0EEEvT1_
    .private_segment_fixed_size: 0
    .sgpr_count:     0
    .sgpr_spill_count: 0
    .symbol:         _ZN7rocprim17ROCPRIM_400000_NS6detail17trampoline_kernelINS0_14default_configENS1_20scan_config_selectorIN3c108BFloat16EEEZZNS1_9scan_implILNS1_25lookback_scan_determinismE0ELb0ELb0ES3_PKS6_PS6_S6_ZZZN2at6native31launch_logcumsumexp_cuda_kernelERKNSD_10TensorBaseESH_lENKUlvE_clEvENKUlvE4_clEvEUlS6_S6_E_S6_EEDaPvRmT3_T4_T5_mT6_P12ihipStream_tbENKUlT_T0_E_clISt17integral_constantIbLb1EESX_IbLb0EEEEDaST_SU_EUlST_E0_NS1_11comp_targetILNS1_3genE3ELNS1_11target_archE908ELNS1_3gpuE7ELNS1_3repE0EEENS1_30default_config_static_selectorELNS0_4arch9wavefront6targetE0EEEvT1_.kd
    .uniform_work_group_size: 1
    .uses_dynamic_stack: false
    .vgpr_count:     0
    .vgpr_spill_count: 0
    .wavefront_size: 32
    .workgroup_processor_mode: 1
  - .args:
      - .offset:         0
        .size:           32
        .value_kind:     by_value
    .group_segment_fixed_size: 0
    .kernarg_segment_align: 8
    .kernarg_segment_size: 32
    .language:       OpenCL C
    .language_version:
      - 2
      - 0
    .max_flat_workgroup_size: 256
    .name:           _ZN7rocprim17ROCPRIM_400000_NS6detail17trampoline_kernelINS0_14default_configENS1_20scan_config_selectorIN3c108BFloat16EEEZZNS1_9scan_implILNS1_25lookback_scan_determinismE0ELb0ELb0ES3_PKS6_PS6_S6_ZZZN2at6native31launch_logcumsumexp_cuda_kernelERKNSD_10TensorBaseESH_lENKUlvE_clEvENKUlvE4_clEvEUlS6_S6_E_S6_EEDaPvRmT3_T4_T5_mT6_P12ihipStream_tbENKUlT_T0_E_clISt17integral_constantIbLb1EESX_IbLb0EEEEDaST_SU_EUlST_E0_NS1_11comp_targetILNS1_3genE2ELNS1_11target_archE906ELNS1_3gpuE6ELNS1_3repE0EEENS1_30default_config_static_selectorELNS0_4arch9wavefront6targetE0EEEvT1_
    .private_segment_fixed_size: 0
    .sgpr_count:     0
    .sgpr_spill_count: 0
    .symbol:         _ZN7rocprim17ROCPRIM_400000_NS6detail17trampoline_kernelINS0_14default_configENS1_20scan_config_selectorIN3c108BFloat16EEEZZNS1_9scan_implILNS1_25lookback_scan_determinismE0ELb0ELb0ES3_PKS6_PS6_S6_ZZZN2at6native31launch_logcumsumexp_cuda_kernelERKNSD_10TensorBaseESH_lENKUlvE_clEvENKUlvE4_clEvEUlS6_S6_E_S6_EEDaPvRmT3_T4_T5_mT6_P12ihipStream_tbENKUlT_T0_E_clISt17integral_constantIbLb1EESX_IbLb0EEEEDaST_SU_EUlST_E0_NS1_11comp_targetILNS1_3genE2ELNS1_11target_archE906ELNS1_3gpuE6ELNS1_3repE0EEENS1_30default_config_static_selectorELNS0_4arch9wavefront6targetE0EEEvT1_.kd
    .uniform_work_group_size: 1
    .uses_dynamic_stack: false
    .vgpr_count:     0
    .vgpr_spill_count: 0
    .wavefront_size: 32
    .workgroup_processor_mode: 1
  - .args:
      - .offset:         0
        .size:           32
        .value_kind:     by_value
    .group_segment_fixed_size: 0
    .kernarg_segment_align: 8
    .kernarg_segment_size: 32
    .language:       OpenCL C
    .language_version:
      - 2
      - 0
    .max_flat_workgroup_size: 256
    .name:           _ZN7rocprim17ROCPRIM_400000_NS6detail17trampoline_kernelINS0_14default_configENS1_20scan_config_selectorIN3c108BFloat16EEEZZNS1_9scan_implILNS1_25lookback_scan_determinismE0ELb0ELb0ES3_PKS6_PS6_S6_ZZZN2at6native31launch_logcumsumexp_cuda_kernelERKNSD_10TensorBaseESH_lENKUlvE_clEvENKUlvE4_clEvEUlS6_S6_E_S6_EEDaPvRmT3_T4_T5_mT6_P12ihipStream_tbENKUlT_T0_E_clISt17integral_constantIbLb1EESX_IbLb0EEEEDaST_SU_EUlST_E0_NS1_11comp_targetILNS1_3genE10ELNS1_11target_archE1201ELNS1_3gpuE5ELNS1_3repE0EEENS1_30default_config_static_selectorELNS0_4arch9wavefront6targetE0EEEvT1_
    .private_segment_fixed_size: 0
    .sgpr_count:     0
    .sgpr_spill_count: 0
    .symbol:         _ZN7rocprim17ROCPRIM_400000_NS6detail17trampoline_kernelINS0_14default_configENS1_20scan_config_selectorIN3c108BFloat16EEEZZNS1_9scan_implILNS1_25lookback_scan_determinismE0ELb0ELb0ES3_PKS6_PS6_S6_ZZZN2at6native31launch_logcumsumexp_cuda_kernelERKNSD_10TensorBaseESH_lENKUlvE_clEvENKUlvE4_clEvEUlS6_S6_E_S6_EEDaPvRmT3_T4_T5_mT6_P12ihipStream_tbENKUlT_T0_E_clISt17integral_constantIbLb1EESX_IbLb0EEEEDaST_SU_EUlST_E0_NS1_11comp_targetILNS1_3genE10ELNS1_11target_archE1201ELNS1_3gpuE5ELNS1_3repE0EEENS1_30default_config_static_selectorELNS0_4arch9wavefront6targetE0EEEvT1_.kd
    .uniform_work_group_size: 1
    .uses_dynamic_stack: false
    .vgpr_count:     0
    .vgpr_spill_count: 0
    .wavefront_size: 32
    .workgroup_processor_mode: 1
  - .args:
      - .offset:         0
        .size:           32
        .value_kind:     by_value
    .group_segment_fixed_size: 0
    .kernarg_segment_align: 8
    .kernarg_segment_size: 32
    .language:       OpenCL C
    .language_version:
      - 2
      - 0
    .max_flat_workgroup_size: 256
    .name:           _ZN7rocprim17ROCPRIM_400000_NS6detail17trampoline_kernelINS0_14default_configENS1_20scan_config_selectorIN3c108BFloat16EEEZZNS1_9scan_implILNS1_25lookback_scan_determinismE0ELb0ELb0ES3_PKS6_PS6_S6_ZZZN2at6native31launch_logcumsumexp_cuda_kernelERKNSD_10TensorBaseESH_lENKUlvE_clEvENKUlvE4_clEvEUlS6_S6_E_S6_EEDaPvRmT3_T4_T5_mT6_P12ihipStream_tbENKUlT_T0_E_clISt17integral_constantIbLb1EESX_IbLb0EEEEDaST_SU_EUlST_E0_NS1_11comp_targetILNS1_3genE10ELNS1_11target_archE1200ELNS1_3gpuE4ELNS1_3repE0EEENS1_30default_config_static_selectorELNS0_4arch9wavefront6targetE0EEEvT1_
    .private_segment_fixed_size: 0
    .sgpr_count:     0
    .sgpr_spill_count: 0
    .symbol:         _ZN7rocprim17ROCPRIM_400000_NS6detail17trampoline_kernelINS0_14default_configENS1_20scan_config_selectorIN3c108BFloat16EEEZZNS1_9scan_implILNS1_25lookback_scan_determinismE0ELb0ELb0ES3_PKS6_PS6_S6_ZZZN2at6native31launch_logcumsumexp_cuda_kernelERKNSD_10TensorBaseESH_lENKUlvE_clEvENKUlvE4_clEvEUlS6_S6_E_S6_EEDaPvRmT3_T4_T5_mT6_P12ihipStream_tbENKUlT_T0_E_clISt17integral_constantIbLb1EESX_IbLb0EEEEDaST_SU_EUlST_E0_NS1_11comp_targetILNS1_3genE10ELNS1_11target_archE1200ELNS1_3gpuE4ELNS1_3repE0EEENS1_30default_config_static_selectorELNS0_4arch9wavefront6targetE0EEEvT1_.kd
    .uniform_work_group_size: 1
    .uses_dynamic_stack: false
    .vgpr_count:     0
    .vgpr_spill_count: 0
    .wavefront_size: 32
    .workgroup_processor_mode: 1
  - .args:
      - .offset:         0
        .size:           32
        .value_kind:     by_value
    .group_segment_fixed_size: 2816
    .kernarg_segment_align: 8
    .kernarg_segment_size: 32
    .language:       OpenCL C
    .language_version:
      - 2
      - 0
    .max_flat_workgroup_size: 64
    .name:           _ZN7rocprim17ROCPRIM_400000_NS6detail17trampoline_kernelINS0_14default_configENS1_20scan_config_selectorIN3c108BFloat16EEEZZNS1_9scan_implILNS1_25lookback_scan_determinismE0ELb0ELb0ES3_PKS6_PS6_S6_ZZZN2at6native31launch_logcumsumexp_cuda_kernelERKNSD_10TensorBaseESH_lENKUlvE_clEvENKUlvE4_clEvEUlS6_S6_E_S6_EEDaPvRmT3_T4_T5_mT6_P12ihipStream_tbENKUlT_T0_E_clISt17integral_constantIbLb1EESX_IbLb0EEEEDaST_SU_EUlST_E0_NS1_11comp_targetILNS1_3genE9ELNS1_11target_archE1100ELNS1_3gpuE3ELNS1_3repE0EEENS1_30default_config_static_selectorELNS0_4arch9wavefront6targetE0EEEvT1_
    .private_segment_fixed_size: 0
    .sgpr_count:     54
    .sgpr_spill_count: 0
    .symbol:         _ZN7rocprim17ROCPRIM_400000_NS6detail17trampoline_kernelINS0_14default_configENS1_20scan_config_selectorIN3c108BFloat16EEEZZNS1_9scan_implILNS1_25lookback_scan_determinismE0ELb0ELb0ES3_PKS6_PS6_S6_ZZZN2at6native31launch_logcumsumexp_cuda_kernelERKNSD_10TensorBaseESH_lENKUlvE_clEvENKUlvE4_clEvEUlS6_S6_E_S6_EEDaPvRmT3_T4_T5_mT6_P12ihipStream_tbENKUlT_T0_E_clISt17integral_constantIbLb1EESX_IbLb0EEEEDaST_SU_EUlST_E0_NS1_11comp_targetILNS1_3genE9ELNS1_11target_archE1100ELNS1_3gpuE3ELNS1_3repE0EEENS1_30default_config_static_selectorELNS0_4arch9wavefront6targetE0EEEvT1_.kd
    .uniform_work_group_size: 1
    .uses_dynamic_stack: false
    .vgpr_count:     70
    .vgpr_spill_count: 0
    .wavefront_size: 32
    .workgroup_processor_mode: 1
  - .args:
      - .offset:         0
        .size:           32
        .value_kind:     by_value
    .group_segment_fixed_size: 0
    .kernarg_segment_align: 8
    .kernarg_segment_size: 32
    .language:       OpenCL C
    .language_version:
      - 2
      - 0
    .max_flat_workgroup_size: 64
    .name:           _ZN7rocprim17ROCPRIM_400000_NS6detail17trampoline_kernelINS0_14default_configENS1_20scan_config_selectorIN3c108BFloat16EEEZZNS1_9scan_implILNS1_25lookback_scan_determinismE0ELb0ELb0ES3_PKS6_PS6_S6_ZZZN2at6native31launch_logcumsumexp_cuda_kernelERKNSD_10TensorBaseESH_lENKUlvE_clEvENKUlvE4_clEvEUlS6_S6_E_S6_EEDaPvRmT3_T4_T5_mT6_P12ihipStream_tbENKUlT_T0_E_clISt17integral_constantIbLb1EESX_IbLb0EEEEDaST_SU_EUlST_E0_NS1_11comp_targetILNS1_3genE8ELNS1_11target_archE1030ELNS1_3gpuE2ELNS1_3repE0EEENS1_30default_config_static_selectorELNS0_4arch9wavefront6targetE0EEEvT1_
    .private_segment_fixed_size: 0
    .sgpr_count:     0
    .sgpr_spill_count: 0
    .symbol:         _ZN7rocprim17ROCPRIM_400000_NS6detail17trampoline_kernelINS0_14default_configENS1_20scan_config_selectorIN3c108BFloat16EEEZZNS1_9scan_implILNS1_25lookback_scan_determinismE0ELb0ELb0ES3_PKS6_PS6_S6_ZZZN2at6native31launch_logcumsumexp_cuda_kernelERKNSD_10TensorBaseESH_lENKUlvE_clEvENKUlvE4_clEvEUlS6_S6_E_S6_EEDaPvRmT3_T4_T5_mT6_P12ihipStream_tbENKUlT_T0_E_clISt17integral_constantIbLb1EESX_IbLb0EEEEDaST_SU_EUlST_E0_NS1_11comp_targetILNS1_3genE8ELNS1_11target_archE1030ELNS1_3gpuE2ELNS1_3repE0EEENS1_30default_config_static_selectorELNS0_4arch9wavefront6targetE0EEEvT1_.kd
    .uniform_work_group_size: 1
    .uses_dynamic_stack: false
    .vgpr_count:     0
    .vgpr_spill_count: 0
    .wavefront_size: 32
    .workgroup_processor_mode: 1
  - .args:
      - .address_space:  global
        .offset:         0
        .size:           8
        .value_kind:     global_buffer
      - .offset:         8
        .size:           4
        .value_kind:     by_value
      - .address_space:  global
        .offset:         16
        .size:           8
        .value_kind:     global_buffer
      - .offset:         24
        .size:           4
        .value_kind:     by_value
      - .address_space:  global
        .offset:         32
        .size:           8
        .value_kind:     global_buffer
      - .offset:         40
        .size:           4
        .value_kind:     hidden_block_count_x
      - .offset:         44
        .size:           4
        .value_kind:     hidden_block_count_y
      - .offset:         48
        .size:           4
        .value_kind:     hidden_block_count_z
      - .offset:         52
        .size:           2
        .value_kind:     hidden_group_size_x
      - .offset:         54
        .size:           2
        .value_kind:     hidden_group_size_y
      - .offset:         56
        .size:           2
        .value_kind:     hidden_group_size_z
      - .offset:         58
        .size:           2
        .value_kind:     hidden_remainder_x
      - .offset:         60
        .size:           2
        .value_kind:     hidden_remainder_y
      - .offset:         62
        .size:           2
        .value_kind:     hidden_remainder_z
      - .offset:         80
        .size:           8
        .value_kind:     hidden_global_offset_x
      - .offset:         88
        .size:           8
        .value_kind:     hidden_global_offset_y
      - .offset:         96
        .size:           8
        .value_kind:     hidden_global_offset_z
      - .offset:         104
        .size:           2
        .value_kind:     hidden_grid_dims
    .group_segment_fixed_size: 0
    .kernarg_segment_align: 8
    .kernarg_segment_size: 296
    .language:       OpenCL C
    .language_version:
      - 2
      - 0
    .max_flat_workgroup_size: 256
    .name:           _ZN7rocprim17ROCPRIM_400000_NS6detail31init_lookback_scan_state_kernelINS1_19lookback_scan_stateIN3c108BFloat16ELb0ELb1EEENS1_16block_id_wrapperIjLb1EEEEEvT_jT0_jPNS9_10value_typeE
    .private_segment_fixed_size: 0
    .sgpr_count:     18
    .sgpr_spill_count: 0
    .symbol:         _ZN7rocprim17ROCPRIM_400000_NS6detail31init_lookback_scan_state_kernelINS1_19lookback_scan_stateIN3c108BFloat16ELb0ELb1EEENS1_16block_id_wrapperIjLb1EEEEEvT_jT0_jPNS9_10value_typeE.kd
    .uniform_work_group_size: 1
    .uses_dynamic_stack: false
    .vgpr_count:     6
    .vgpr_spill_count: 0
    .wavefront_size: 32
    .workgroup_processor_mode: 1
  - .args:
      - .offset:         0
        .size:           96
        .value_kind:     by_value
    .group_segment_fixed_size: 0
    .kernarg_segment_align: 8
    .kernarg_segment_size: 96
    .language:       OpenCL C
    .language_version:
      - 2
      - 0
    .max_flat_workgroup_size: 128
    .name:           _ZN7rocprim17ROCPRIM_400000_NS6detail17trampoline_kernelINS0_14default_configENS1_20scan_config_selectorIN3c108BFloat16EEEZZNS1_9scan_implILNS1_25lookback_scan_determinismE0ELb0ELb0ES3_PKS6_PS6_S6_ZZZN2at6native31launch_logcumsumexp_cuda_kernelERKNSD_10TensorBaseESH_lENKUlvE_clEvENKUlvE4_clEvEUlS6_S6_E_S6_EEDaPvRmT3_T4_T5_mT6_P12ihipStream_tbENKUlT_T0_E_clISt17integral_constantIbLb0EESX_IbLb1EEEEDaST_SU_EUlST_E_NS1_11comp_targetILNS1_3genE0ELNS1_11target_archE4294967295ELNS1_3gpuE0ELNS1_3repE0EEENS1_30default_config_static_selectorELNS0_4arch9wavefront6targetE0EEEvT1_
    .private_segment_fixed_size: 0
    .sgpr_count:     0
    .sgpr_spill_count: 0
    .symbol:         _ZN7rocprim17ROCPRIM_400000_NS6detail17trampoline_kernelINS0_14default_configENS1_20scan_config_selectorIN3c108BFloat16EEEZZNS1_9scan_implILNS1_25lookback_scan_determinismE0ELb0ELb0ES3_PKS6_PS6_S6_ZZZN2at6native31launch_logcumsumexp_cuda_kernelERKNSD_10TensorBaseESH_lENKUlvE_clEvENKUlvE4_clEvEUlS6_S6_E_S6_EEDaPvRmT3_T4_T5_mT6_P12ihipStream_tbENKUlT_T0_E_clISt17integral_constantIbLb0EESX_IbLb1EEEEDaST_SU_EUlST_E_NS1_11comp_targetILNS1_3genE0ELNS1_11target_archE4294967295ELNS1_3gpuE0ELNS1_3repE0EEENS1_30default_config_static_selectorELNS0_4arch9wavefront6targetE0EEEvT1_.kd
    .uniform_work_group_size: 1
    .uses_dynamic_stack: false
    .vgpr_count:     0
    .vgpr_spill_count: 0
    .wavefront_size: 32
    .workgroup_processor_mode: 1
  - .args:
      - .offset:         0
        .size:           96
        .value_kind:     by_value
    .group_segment_fixed_size: 0
    .kernarg_segment_align: 8
    .kernarg_segment_size: 96
    .language:       OpenCL C
    .language_version:
      - 2
      - 0
    .max_flat_workgroup_size: 256
    .name:           _ZN7rocprim17ROCPRIM_400000_NS6detail17trampoline_kernelINS0_14default_configENS1_20scan_config_selectorIN3c108BFloat16EEEZZNS1_9scan_implILNS1_25lookback_scan_determinismE0ELb0ELb0ES3_PKS6_PS6_S6_ZZZN2at6native31launch_logcumsumexp_cuda_kernelERKNSD_10TensorBaseESH_lENKUlvE_clEvENKUlvE4_clEvEUlS6_S6_E_S6_EEDaPvRmT3_T4_T5_mT6_P12ihipStream_tbENKUlT_T0_E_clISt17integral_constantIbLb0EESX_IbLb1EEEEDaST_SU_EUlST_E_NS1_11comp_targetILNS1_3genE5ELNS1_11target_archE942ELNS1_3gpuE9ELNS1_3repE0EEENS1_30default_config_static_selectorELNS0_4arch9wavefront6targetE0EEEvT1_
    .private_segment_fixed_size: 0
    .sgpr_count:     0
    .sgpr_spill_count: 0
    .symbol:         _ZN7rocprim17ROCPRIM_400000_NS6detail17trampoline_kernelINS0_14default_configENS1_20scan_config_selectorIN3c108BFloat16EEEZZNS1_9scan_implILNS1_25lookback_scan_determinismE0ELb0ELb0ES3_PKS6_PS6_S6_ZZZN2at6native31launch_logcumsumexp_cuda_kernelERKNSD_10TensorBaseESH_lENKUlvE_clEvENKUlvE4_clEvEUlS6_S6_E_S6_EEDaPvRmT3_T4_T5_mT6_P12ihipStream_tbENKUlT_T0_E_clISt17integral_constantIbLb0EESX_IbLb1EEEEDaST_SU_EUlST_E_NS1_11comp_targetILNS1_3genE5ELNS1_11target_archE942ELNS1_3gpuE9ELNS1_3repE0EEENS1_30default_config_static_selectorELNS0_4arch9wavefront6targetE0EEEvT1_.kd
    .uniform_work_group_size: 1
    .uses_dynamic_stack: false
    .vgpr_count:     0
    .vgpr_spill_count: 0
    .wavefront_size: 32
    .workgroup_processor_mode: 1
  - .args:
      - .offset:         0
        .size:           96
        .value_kind:     by_value
    .group_segment_fixed_size: 0
    .kernarg_segment_align: 8
    .kernarg_segment_size: 96
    .language:       OpenCL C
    .language_version:
      - 2
      - 0
    .max_flat_workgroup_size: 64
    .name:           _ZN7rocprim17ROCPRIM_400000_NS6detail17trampoline_kernelINS0_14default_configENS1_20scan_config_selectorIN3c108BFloat16EEEZZNS1_9scan_implILNS1_25lookback_scan_determinismE0ELb0ELb0ES3_PKS6_PS6_S6_ZZZN2at6native31launch_logcumsumexp_cuda_kernelERKNSD_10TensorBaseESH_lENKUlvE_clEvENKUlvE4_clEvEUlS6_S6_E_S6_EEDaPvRmT3_T4_T5_mT6_P12ihipStream_tbENKUlT_T0_E_clISt17integral_constantIbLb0EESX_IbLb1EEEEDaST_SU_EUlST_E_NS1_11comp_targetILNS1_3genE4ELNS1_11target_archE910ELNS1_3gpuE8ELNS1_3repE0EEENS1_30default_config_static_selectorELNS0_4arch9wavefront6targetE0EEEvT1_
    .private_segment_fixed_size: 0
    .sgpr_count:     0
    .sgpr_spill_count: 0
    .symbol:         _ZN7rocprim17ROCPRIM_400000_NS6detail17trampoline_kernelINS0_14default_configENS1_20scan_config_selectorIN3c108BFloat16EEEZZNS1_9scan_implILNS1_25lookback_scan_determinismE0ELb0ELb0ES3_PKS6_PS6_S6_ZZZN2at6native31launch_logcumsumexp_cuda_kernelERKNSD_10TensorBaseESH_lENKUlvE_clEvENKUlvE4_clEvEUlS6_S6_E_S6_EEDaPvRmT3_T4_T5_mT6_P12ihipStream_tbENKUlT_T0_E_clISt17integral_constantIbLb0EESX_IbLb1EEEEDaST_SU_EUlST_E_NS1_11comp_targetILNS1_3genE4ELNS1_11target_archE910ELNS1_3gpuE8ELNS1_3repE0EEENS1_30default_config_static_selectorELNS0_4arch9wavefront6targetE0EEEvT1_.kd
    .uniform_work_group_size: 1
    .uses_dynamic_stack: false
    .vgpr_count:     0
    .vgpr_spill_count: 0
    .wavefront_size: 32
    .workgroup_processor_mode: 1
  - .args:
      - .offset:         0
        .size:           96
        .value_kind:     by_value
    .group_segment_fixed_size: 0
    .kernarg_segment_align: 8
    .kernarg_segment_size: 96
    .language:       OpenCL C
    .language_version:
      - 2
      - 0
    .max_flat_workgroup_size: 128
    .name:           _ZN7rocprim17ROCPRIM_400000_NS6detail17trampoline_kernelINS0_14default_configENS1_20scan_config_selectorIN3c108BFloat16EEEZZNS1_9scan_implILNS1_25lookback_scan_determinismE0ELb0ELb0ES3_PKS6_PS6_S6_ZZZN2at6native31launch_logcumsumexp_cuda_kernelERKNSD_10TensorBaseESH_lENKUlvE_clEvENKUlvE4_clEvEUlS6_S6_E_S6_EEDaPvRmT3_T4_T5_mT6_P12ihipStream_tbENKUlT_T0_E_clISt17integral_constantIbLb0EESX_IbLb1EEEEDaST_SU_EUlST_E_NS1_11comp_targetILNS1_3genE3ELNS1_11target_archE908ELNS1_3gpuE7ELNS1_3repE0EEENS1_30default_config_static_selectorELNS0_4arch9wavefront6targetE0EEEvT1_
    .private_segment_fixed_size: 0
    .sgpr_count:     0
    .sgpr_spill_count: 0
    .symbol:         _ZN7rocprim17ROCPRIM_400000_NS6detail17trampoline_kernelINS0_14default_configENS1_20scan_config_selectorIN3c108BFloat16EEEZZNS1_9scan_implILNS1_25lookback_scan_determinismE0ELb0ELb0ES3_PKS6_PS6_S6_ZZZN2at6native31launch_logcumsumexp_cuda_kernelERKNSD_10TensorBaseESH_lENKUlvE_clEvENKUlvE4_clEvEUlS6_S6_E_S6_EEDaPvRmT3_T4_T5_mT6_P12ihipStream_tbENKUlT_T0_E_clISt17integral_constantIbLb0EESX_IbLb1EEEEDaST_SU_EUlST_E_NS1_11comp_targetILNS1_3genE3ELNS1_11target_archE908ELNS1_3gpuE7ELNS1_3repE0EEENS1_30default_config_static_selectorELNS0_4arch9wavefront6targetE0EEEvT1_.kd
    .uniform_work_group_size: 1
    .uses_dynamic_stack: false
    .vgpr_count:     0
    .vgpr_spill_count: 0
    .wavefront_size: 32
    .workgroup_processor_mode: 1
  - .args:
      - .offset:         0
        .size:           96
        .value_kind:     by_value
    .group_segment_fixed_size: 0
    .kernarg_segment_align: 8
    .kernarg_segment_size: 96
    .language:       OpenCL C
    .language_version:
      - 2
      - 0
    .max_flat_workgroup_size: 256
    .name:           _ZN7rocprim17ROCPRIM_400000_NS6detail17trampoline_kernelINS0_14default_configENS1_20scan_config_selectorIN3c108BFloat16EEEZZNS1_9scan_implILNS1_25lookback_scan_determinismE0ELb0ELb0ES3_PKS6_PS6_S6_ZZZN2at6native31launch_logcumsumexp_cuda_kernelERKNSD_10TensorBaseESH_lENKUlvE_clEvENKUlvE4_clEvEUlS6_S6_E_S6_EEDaPvRmT3_T4_T5_mT6_P12ihipStream_tbENKUlT_T0_E_clISt17integral_constantIbLb0EESX_IbLb1EEEEDaST_SU_EUlST_E_NS1_11comp_targetILNS1_3genE2ELNS1_11target_archE906ELNS1_3gpuE6ELNS1_3repE0EEENS1_30default_config_static_selectorELNS0_4arch9wavefront6targetE0EEEvT1_
    .private_segment_fixed_size: 0
    .sgpr_count:     0
    .sgpr_spill_count: 0
    .symbol:         _ZN7rocprim17ROCPRIM_400000_NS6detail17trampoline_kernelINS0_14default_configENS1_20scan_config_selectorIN3c108BFloat16EEEZZNS1_9scan_implILNS1_25lookback_scan_determinismE0ELb0ELb0ES3_PKS6_PS6_S6_ZZZN2at6native31launch_logcumsumexp_cuda_kernelERKNSD_10TensorBaseESH_lENKUlvE_clEvENKUlvE4_clEvEUlS6_S6_E_S6_EEDaPvRmT3_T4_T5_mT6_P12ihipStream_tbENKUlT_T0_E_clISt17integral_constantIbLb0EESX_IbLb1EEEEDaST_SU_EUlST_E_NS1_11comp_targetILNS1_3genE2ELNS1_11target_archE906ELNS1_3gpuE6ELNS1_3repE0EEENS1_30default_config_static_selectorELNS0_4arch9wavefront6targetE0EEEvT1_.kd
    .uniform_work_group_size: 1
    .uses_dynamic_stack: false
    .vgpr_count:     0
    .vgpr_spill_count: 0
    .wavefront_size: 32
    .workgroup_processor_mode: 1
  - .args:
      - .offset:         0
        .size:           96
        .value_kind:     by_value
    .group_segment_fixed_size: 0
    .kernarg_segment_align: 8
    .kernarg_segment_size: 96
    .language:       OpenCL C
    .language_version:
      - 2
      - 0
    .max_flat_workgroup_size: 256
    .name:           _ZN7rocprim17ROCPRIM_400000_NS6detail17trampoline_kernelINS0_14default_configENS1_20scan_config_selectorIN3c108BFloat16EEEZZNS1_9scan_implILNS1_25lookback_scan_determinismE0ELb0ELb0ES3_PKS6_PS6_S6_ZZZN2at6native31launch_logcumsumexp_cuda_kernelERKNSD_10TensorBaseESH_lENKUlvE_clEvENKUlvE4_clEvEUlS6_S6_E_S6_EEDaPvRmT3_T4_T5_mT6_P12ihipStream_tbENKUlT_T0_E_clISt17integral_constantIbLb0EESX_IbLb1EEEEDaST_SU_EUlST_E_NS1_11comp_targetILNS1_3genE10ELNS1_11target_archE1201ELNS1_3gpuE5ELNS1_3repE0EEENS1_30default_config_static_selectorELNS0_4arch9wavefront6targetE0EEEvT1_
    .private_segment_fixed_size: 0
    .sgpr_count:     0
    .sgpr_spill_count: 0
    .symbol:         _ZN7rocprim17ROCPRIM_400000_NS6detail17trampoline_kernelINS0_14default_configENS1_20scan_config_selectorIN3c108BFloat16EEEZZNS1_9scan_implILNS1_25lookback_scan_determinismE0ELb0ELb0ES3_PKS6_PS6_S6_ZZZN2at6native31launch_logcumsumexp_cuda_kernelERKNSD_10TensorBaseESH_lENKUlvE_clEvENKUlvE4_clEvEUlS6_S6_E_S6_EEDaPvRmT3_T4_T5_mT6_P12ihipStream_tbENKUlT_T0_E_clISt17integral_constantIbLb0EESX_IbLb1EEEEDaST_SU_EUlST_E_NS1_11comp_targetILNS1_3genE10ELNS1_11target_archE1201ELNS1_3gpuE5ELNS1_3repE0EEENS1_30default_config_static_selectorELNS0_4arch9wavefront6targetE0EEEvT1_.kd
    .uniform_work_group_size: 1
    .uses_dynamic_stack: false
    .vgpr_count:     0
    .vgpr_spill_count: 0
    .wavefront_size: 32
    .workgroup_processor_mode: 1
  - .args:
      - .offset:         0
        .size:           96
        .value_kind:     by_value
    .group_segment_fixed_size: 0
    .kernarg_segment_align: 8
    .kernarg_segment_size: 96
    .language:       OpenCL C
    .language_version:
      - 2
      - 0
    .max_flat_workgroup_size: 256
    .name:           _ZN7rocprim17ROCPRIM_400000_NS6detail17trampoline_kernelINS0_14default_configENS1_20scan_config_selectorIN3c108BFloat16EEEZZNS1_9scan_implILNS1_25lookback_scan_determinismE0ELb0ELb0ES3_PKS6_PS6_S6_ZZZN2at6native31launch_logcumsumexp_cuda_kernelERKNSD_10TensorBaseESH_lENKUlvE_clEvENKUlvE4_clEvEUlS6_S6_E_S6_EEDaPvRmT3_T4_T5_mT6_P12ihipStream_tbENKUlT_T0_E_clISt17integral_constantIbLb0EESX_IbLb1EEEEDaST_SU_EUlST_E_NS1_11comp_targetILNS1_3genE10ELNS1_11target_archE1200ELNS1_3gpuE4ELNS1_3repE0EEENS1_30default_config_static_selectorELNS0_4arch9wavefront6targetE0EEEvT1_
    .private_segment_fixed_size: 0
    .sgpr_count:     0
    .sgpr_spill_count: 0
    .symbol:         _ZN7rocprim17ROCPRIM_400000_NS6detail17trampoline_kernelINS0_14default_configENS1_20scan_config_selectorIN3c108BFloat16EEEZZNS1_9scan_implILNS1_25lookback_scan_determinismE0ELb0ELb0ES3_PKS6_PS6_S6_ZZZN2at6native31launch_logcumsumexp_cuda_kernelERKNSD_10TensorBaseESH_lENKUlvE_clEvENKUlvE4_clEvEUlS6_S6_E_S6_EEDaPvRmT3_T4_T5_mT6_P12ihipStream_tbENKUlT_T0_E_clISt17integral_constantIbLb0EESX_IbLb1EEEEDaST_SU_EUlST_E_NS1_11comp_targetILNS1_3genE10ELNS1_11target_archE1200ELNS1_3gpuE4ELNS1_3repE0EEENS1_30default_config_static_selectorELNS0_4arch9wavefront6targetE0EEEvT1_.kd
    .uniform_work_group_size: 1
    .uses_dynamic_stack: false
    .vgpr_count:     0
    .vgpr_spill_count: 0
    .wavefront_size: 32
    .workgroup_processor_mode: 1
  - .args:
      - .offset:         0
        .size:           96
        .value_kind:     by_value
      - .offset:         96
        .size:           4
        .value_kind:     hidden_block_count_x
      - .offset:         100
        .size:           4
        .value_kind:     hidden_block_count_y
      - .offset:         104
        .size:           4
        .value_kind:     hidden_block_count_z
      - .offset:         108
        .size:           2
        .value_kind:     hidden_group_size_x
      - .offset:         110
        .size:           2
        .value_kind:     hidden_group_size_y
      - .offset:         112
        .size:           2
        .value_kind:     hidden_group_size_z
      - .offset:         114
        .size:           2
        .value_kind:     hidden_remainder_x
      - .offset:         116
        .size:           2
        .value_kind:     hidden_remainder_y
      - .offset:         118
        .size:           2
        .value_kind:     hidden_remainder_z
      - .offset:         136
        .size:           8
        .value_kind:     hidden_global_offset_x
      - .offset:         144
        .size:           8
        .value_kind:     hidden_global_offset_y
      - .offset:         152
        .size:           8
        .value_kind:     hidden_global_offset_z
      - .offset:         160
        .size:           2
        .value_kind:     hidden_grid_dims
    .group_segment_fixed_size: 2816
    .kernarg_segment_align: 8
    .kernarg_segment_size: 352
    .language:       OpenCL C
    .language_version:
      - 2
      - 0
    .max_flat_workgroup_size: 64
    .name:           _ZN7rocprim17ROCPRIM_400000_NS6detail17trampoline_kernelINS0_14default_configENS1_20scan_config_selectorIN3c108BFloat16EEEZZNS1_9scan_implILNS1_25lookback_scan_determinismE0ELb0ELb0ES3_PKS6_PS6_S6_ZZZN2at6native31launch_logcumsumexp_cuda_kernelERKNSD_10TensorBaseESH_lENKUlvE_clEvENKUlvE4_clEvEUlS6_S6_E_S6_EEDaPvRmT3_T4_T5_mT6_P12ihipStream_tbENKUlT_T0_E_clISt17integral_constantIbLb0EESX_IbLb1EEEEDaST_SU_EUlST_E_NS1_11comp_targetILNS1_3genE9ELNS1_11target_archE1100ELNS1_3gpuE3ELNS1_3repE0EEENS1_30default_config_static_selectorELNS0_4arch9wavefront6targetE0EEEvT1_
    .private_segment_fixed_size: 120
    .sgpr_count:     46
    .sgpr_spill_count: 0
    .symbol:         _ZN7rocprim17ROCPRIM_400000_NS6detail17trampoline_kernelINS0_14default_configENS1_20scan_config_selectorIN3c108BFloat16EEEZZNS1_9scan_implILNS1_25lookback_scan_determinismE0ELb0ELb0ES3_PKS6_PS6_S6_ZZZN2at6native31launch_logcumsumexp_cuda_kernelERKNSD_10TensorBaseESH_lENKUlvE_clEvENKUlvE4_clEvEUlS6_S6_E_S6_EEDaPvRmT3_T4_T5_mT6_P12ihipStream_tbENKUlT_T0_E_clISt17integral_constantIbLb0EESX_IbLb1EEEEDaST_SU_EUlST_E_NS1_11comp_targetILNS1_3genE9ELNS1_11target_archE1100ELNS1_3gpuE3ELNS1_3repE0EEENS1_30default_config_static_selectorELNS0_4arch9wavefront6targetE0EEEvT1_.kd
    .uniform_work_group_size: 1
    .uses_dynamic_stack: false
    .vgpr_count:     199
    .vgpr_spill_count: 0
    .wavefront_size: 32
    .workgroup_processor_mode: 1
  - .args:
      - .offset:         0
        .size:           96
        .value_kind:     by_value
    .group_segment_fixed_size: 0
    .kernarg_segment_align: 8
    .kernarg_segment_size: 96
    .language:       OpenCL C
    .language_version:
      - 2
      - 0
    .max_flat_workgroup_size: 64
    .name:           _ZN7rocprim17ROCPRIM_400000_NS6detail17trampoline_kernelINS0_14default_configENS1_20scan_config_selectorIN3c108BFloat16EEEZZNS1_9scan_implILNS1_25lookback_scan_determinismE0ELb0ELb0ES3_PKS6_PS6_S6_ZZZN2at6native31launch_logcumsumexp_cuda_kernelERKNSD_10TensorBaseESH_lENKUlvE_clEvENKUlvE4_clEvEUlS6_S6_E_S6_EEDaPvRmT3_T4_T5_mT6_P12ihipStream_tbENKUlT_T0_E_clISt17integral_constantIbLb0EESX_IbLb1EEEEDaST_SU_EUlST_E_NS1_11comp_targetILNS1_3genE8ELNS1_11target_archE1030ELNS1_3gpuE2ELNS1_3repE0EEENS1_30default_config_static_selectorELNS0_4arch9wavefront6targetE0EEEvT1_
    .private_segment_fixed_size: 0
    .sgpr_count:     0
    .sgpr_spill_count: 0
    .symbol:         _ZN7rocprim17ROCPRIM_400000_NS6detail17trampoline_kernelINS0_14default_configENS1_20scan_config_selectorIN3c108BFloat16EEEZZNS1_9scan_implILNS1_25lookback_scan_determinismE0ELb0ELb0ES3_PKS6_PS6_S6_ZZZN2at6native31launch_logcumsumexp_cuda_kernelERKNSD_10TensorBaseESH_lENKUlvE_clEvENKUlvE4_clEvEUlS6_S6_E_S6_EEDaPvRmT3_T4_T5_mT6_P12ihipStream_tbENKUlT_T0_E_clISt17integral_constantIbLb0EESX_IbLb1EEEEDaST_SU_EUlST_E_NS1_11comp_targetILNS1_3genE8ELNS1_11target_archE1030ELNS1_3gpuE2ELNS1_3repE0EEENS1_30default_config_static_selectorELNS0_4arch9wavefront6targetE0EEEvT1_.kd
    .uniform_work_group_size: 1
    .uses_dynamic_stack: false
    .vgpr_count:     0
    .vgpr_spill_count: 0
    .wavefront_size: 32
    .workgroup_processor_mode: 1
  - .args:
      - .offset:         0
        .size:           32
        .value_kind:     by_value
    .group_segment_fixed_size: 0
    .kernarg_segment_align: 8
    .kernarg_segment_size: 32
    .language:       OpenCL C
    .language_version:
      - 2
      - 0
    .max_flat_workgroup_size: 128
    .name:           _ZN7rocprim17ROCPRIM_400000_NS6detail17trampoline_kernelINS0_14default_configENS1_20scan_config_selectorIN3c108BFloat16EEEZZNS1_9scan_implILNS1_25lookback_scan_determinismE0ELb0ELb0ES3_PKS6_PS6_S6_ZZZN2at6native31launch_logcumsumexp_cuda_kernelERKNSD_10TensorBaseESH_lENKUlvE_clEvENKUlvE4_clEvEUlS6_S6_E_S6_EEDaPvRmT3_T4_T5_mT6_P12ihipStream_tbENKUlT_T0_E_clISt17integral_constantIbLb0EESX_IbLb1EEEEDaST_SU_EUlST_E0_NS1_11comp_targetILNS1_3genE0ELNS1_11target_archE4294967295ELNS1_3gpuE0ELNS1_3repE0EEENS1_30default_config_static_selectorELNS0_4arch9wavefront6targetE0EEEvT1_
    .private_segment_fixed_size: 0
    .sgpr_count:     0
    .sgpr_spill_count: 0
    .symbol:         _ZN7rocprim17ROCPRIM_400000_NS6detail17trampoline_kernelINS0_14default_configENS1_20scan_config_selectorIN3c108BFloat16EEEZZNS1_9scan_implILNS1_25lookback_scan_determinismE0ELb0ELb0ES3_PKS6_PS6_S6_ZZZN2at6native31launch_logcumsumexp_cuda_kernelERKNSD_10TensorBaseESH_lENKUlvE_clEvENKUlvE4_clEvEUlS6_S6_E_S6_EEDaPvRmT3_T4_T5_mT6_P12ihipStream_tbENKUlT_T0_E_clISt17integral_constantIbLb0EESX_IbLb1EEEEDaST_SU_EUlST_E0_NS1_11comp_targetILNS1_3genE0ELNS1_11target_archE4294967295ELNS1_3gpuE0ELNS1_3repE0EEENS1_30default_config_static_selectorELNS0_4arch9wavefront6targetE0EEEvT1_.kd
    .uniform_work_group_size: 1
    .uses_dynamic_stack: false
    .vgpr_count:     0
    .vgpr_spill_count: 0
    .wavefront_size: 32
    .workgroup_processor_mode: 1
  - .args:
      - .offset:         0
        .size:           32
        .value_kind:     by_value
    .group_segment_fixed_size: 0
    .kernarg_segment_align: 8
    .kernarg_segment_size: 32
    .language:       OpenCL C
    .language_version:
      - 2
      - 0
    .max_flat_workgroup_size: 256
    .name:           _ZN7rocprim17ROCPRIM_400000_NS6detail17trampoline_kernelINS0_14default_configENS1_20scan_config_selectorIN3c108BFloat16EEEZZNS1_9scan_implILNS1_25lookback_scan_determinismE0ELb0ELb0ES3_PKS6_PS6_S6_ZZZN2at6native31launch_logcumsumexp_cuda_kernelERKNSD_10TensorBaseESH_lENKUlvE_clEvENKUlvE4_clEvEUlS6_S6_E_S6_EEDaPvRmT3_T4_T5_mT6_P12ihipStream_tbENKUlT_T0_E_clISt17integral_constantIbLb0EESX_IbLb1EEEEDaST_SU_EUlST_E0_NS1_11comp_targetILNS1_3genE5ELNS1_11target_archE942ELNS1_3gpuE9ELNS1_3repE0EEENS1_30default_config_static_selectorELNS0_4arch9wavefront6targetE0EEEvT1_
    .private_segment_fixed_size: 0
    .sgpr_count:     0
    .sgpr_spill_count: 0
    .symbol:         _ZN7rocprim17ROCPRIM_400000_NS6detail17trampoline_kernelINS0_14default_configENS1_20scan_config_selectorIN3c108BFloat16EEEZZNS1_9scan_implILNS1_25lookback_scan_determinismE0ELb0ELb0ES3_PKS6_PS6_S6_ZZZN2at6native31launch_logcumsumexp_cuda_kernelERKNSD_10TensorBaseESH_lENKUlvE_clEvENKUlvE4_clEvEUlS6_S6_E_S6_EEDaPvRmT3_T4_T5_mT6_P12ihipStream_tbENKUlT_T0_E_clISt17integral_constantIbLb0EESX_IbLb1EEEEDaST_SU_EUlST_E0_NS1_11comp_targetILNS1_3genE5ELNS1_11target_archE942ELNS1_3gpuE9ELNS1_3repE0EEENS1_30default_config_static_selectorELNS0_4arch9wavefront6targetE0EEEvT1_.kd
    .uniform_work_group_size: 1
    .uses_dynamic_stack: false
    .vgpr_count:     0
    .vgpr_spill_count: 0
    .wavefront_size: 32
    .workgroup_processor_mode: 1
  - .args:
      - .offset:         0
        .size:           32
        .value_kind:     by_value
    .group_segment_fixed_size: 0
    .kernarg_segment_align: 8
    .kernarg_segment_size: 32
    .language:       OpenCL C
    .language_version:
      - 2
      - 0
    .max_flat_workgroup_size: 64
    .name:           _ZN7rocprim17ROCPRIM_400000_NS6detail17trampoline_kernelINS0_14default_configENS1_20scan_config_selectorIN3c108BFloat16EEEZZNS1_9scan_implILNS1_25lookback_scan_determinismE0ELb0ELb0ES3_PKS6_PS6_S6_ZZZN2at6native31launch_logcumsumexp_cuda_kernelERKNSD_10TensorBaseESH_lENKUlvE_clEvENKUlvE4_clEvEUlS6_S6_E_S6_EEDaPvRmT3_T4_T5_mT6_P12ihipStream_tbENKUlT_T0_E_clISt17integral_constantIbLb0EESX_IbLb1EEEEDaST_SU_EUlST_E0_NS1_11comp_targetILNS1_3genE4ELNS1_11target_archE910ELNS1_3gpuE8ELNS1_3repE0EEENS1_30default_config_static_selectorELNS0_4arch9wavefront6targetE0EEEvT1_
    .private_segment_fixed_size: 0
    .sgpr_count:     0
    .sgpr_spill_count: 0
    .symbol:         _ZN7rocprim17ROCPRIM_400000_NS6detail17trampoline_kernelINS0_14default_configENS1_20scan_config_selectorIN3c108BFloat16EEEZZNS1_9scan_implILNS1_25lookback_scan_determinismE0ELb0ELb0ES3_PKS6_PS6_S6_ZZZN2at6native31launch_logcumsumexp_cuda_kernelERKNSD_10TensorBaseESH_lENKUlvE_clEvENKUlvE4_clEvEUlS6_S6_E_S6_EEDaPvRmT3_T4_T5_mT6_P12ihipStream_tbENKUlT_T0_E_clISt17integral_constantIbLb0EESX_IbLb1EEEEDaST_SU_EUlST_E0_NS1_11comp_targetILNS1_3genE4ELNS1_11target_archE910ELNS1_3gpuE8ELNS1_3repE0EEENS1_30default_config_static_selectorELNS0_4arch9wavefront6targetE0EEEvT1_.kd
    .uniform_work_group_size: 1
    .uses_dynamic_stack: false
    .vgpr_count:     0
    .vgpr_spill_count: 0
    .wavefront_size: 32
    .workgroup_processor_mode: 1
  - .args:
      - .offset:         0
        .size:           32
        .value_kind:     by_value
    .group_segment_fixed_size: 0
    .kernarg_segment_align: 8
    .kernarg_segment_size: 32
    .language:       OpenCL C
    .language_version:
      - 2
      - 0
    .max_flat_workgroup_size: 128
    .name:           _ZN7rocprim17ROCPRIM_400000_NS6detail17trampoline_kernelINS0_14default_configENS1_20scan_config_selectorIN3c108BFloat16EEEZZNS1_9scan_implILNS1_25lookback_scan_determinismE0ELb0ELb0ES3_PKS6_PS6_S6_ZZZN2at6native31launch_logcumsumexp_cuda_kernelERKNSD_10TensorBaseESH_lENKUlvE_clEvENKUlvE4_clEvEUlS6_S6_E_S6_EEDaPvRmT3_T4_T5_mT6_P12ihipStream_tbENKUlT_T0_E_clISt17integral_constantIbLb0EESX_IbLb1EEEEDaST_SU_EUlST_E0_NS1_11comp_targetILNS1_3genE3ELNS1_11target_archE908ELNS1_3gpuE7ELNS1_3repE0EEENS1_30default_config_static_selectorELNS0_4arch9wavefront6targetE0EEEvT1_
    .private_segment_fixed_size: 0
    .sgpr_count:     0
    .sgpr_spill_count: 0
    .symbol:         _ZN7rocprim17ROCPRIM_400000_NS6detail17trampoline_kernelINS0_14default_configENS1_20scan_config_selectorIN3c108BFloat16EEEZZNS1_9scan_implILNS1_25lookback_scan_determinismE0ELb0ELb0ES3_PKS6_PS6_S6_ZZZN2at6native31launch_logcumsumexp_cuda_kernelERKNSD_10TensorBaseESH_lENKUlvE_clEvENKUlvE4_clEvEUlS6_S6_E_S6_EEDaPvRmT3_T4_T5_mT6_P12ihipStream_tbENKUlT_T0_E_clISt17integral_constantIbLb0EESX_IbLb1EEEEDaST_SU_EUlST_E0_NS1_11comp_targetILNS1_3genE3ELNS1_11target_archE908ELNS1_3gpuE7ELNS1_3repE0EEENS1_30default_config_static_selectorELNS0_4arch9wavefront6targetE0EEEvT1_.kd
    .uniform_work_group_size: 1
    .uses_dynamic_stack: false
    .vgpr_count:     0
    .vgpr_spill_count: 0
    .wavefront_size: 32
    .workgroup_processor_mode: 1
  - .args:
      - .offset:         0
        .size:           32
        .value_kind:     by_value
    .group_segment_fixed_size: 0
    .kernarg_segment_align: 8
    .kernarg_segment_size: 32
    .language:       OpenCL C
    .language_version:
      - 2
      - 0
    .max_flat_workgroup_size: 256
    .name:           _ZN7rocprim17ROCPRIM_400000_NS6detail17trampoline_kernelINS0_14default_configENS1_20scan_config_selectorIN3c108BFloat16EEEZZNS1_9scan_implILNS1_25lookback_scan_determinismE0ELb0ELb0ES3_PKS6_PS6_S6_ZZZN2at6native31launch_logcumsumexp_cuda_kernelERKNSD_10TensorBaseESH_lENKUlvE_clEvENKUlvE4_clEvEUlS6_S6_E_S6_EEDaPvRmT3_T4_T5_mT6_P12ihipStream_tbENKUlT_T0_E_clISt17integral_constantIbLb0EESX_IbLb1EEEEDaST_SU_EUlST_E0_NS1_11comp_targetILNS1_3genE2ELNS1_11target_archE906ELNS1_3gpuE6ELNS1_3repE0EEENS1_30default_config_static_selectorELNS0_4arch9wavefront6targetE0EEEvT1_
    .private_segment_fixed_size: 0
    .sgpr_count:     0
    .sgpr_spill_count: 0
    .symbol:         _ZN7rocprim17ROCPRIM_400000_NS6detail17trampoline_kernelINS0_14default_configENS1_20scan_config_selectorIN3c108BFloat16EEEZZNS1_9scan_implILNS1_25lookback_scan_determinismE0ELb0ELb0ES3_PKS6_PS6_S6_ZZZN2at6native31launch_logcumsumexp_cuda_kernelERKNSD_10TensorBaseESH_lENKUlvE_clEvENKUlvE4_clEvEUlS6_S6_E_S6_EEDaPvRmT3_T4_T5_mT6_P12ihipStream_tbENKUlT_T0_E_clISt17integral_constantIbLb0EESX_IbLb1EEEEDaST_SU_EUlST_E0_NS1_11comp_targetILNS1_3genE2ELNS1_11target_archE906ELNS1_3gpuE6ELNS1_3repE0EEENS1_30default_config_static_selectorELNS0_4arch9wavefront6targetE0EEEvT1_.kd
    .uniform_work_group_size: 1
    .uses_dynamic_stack: false
    .vgpr_count:     0
    .vgpr_spill_count: 0
    .wavefront_size: 32
    .workgroup_processor_mode: 1
  - .args:
      - .offset:         0
        .size:           32
        .value_kind:     by_value
    .group_segment_fixed_size: 0
    .kernarg_segment_align: 8
    .kernarg_segment_size: 32
    .language:       OpenCL C
    .language_version:
      - 2
      - 0
    .max_flat_workgroup_size: 256
    .name:           _ZN7rocprim17ROCPRIM_400000_NS6detail17trampoline_kernelINS0_14default_configENS1_20scan_config_selectorIN3c108BFloat16EEEZZNS1_9scan_implILNS1_25lookback_scan_determinismE0ELb0ELb0ES3_PKS6_PS6_S6_ZZZN2at6native31launch_logcumsumexp_cuda_kernelERKNSD_10TensorBaseESH_lENKUlvE_clEvENKUlvE4_clEvEUlS6_S6_E_S6_EEDaPvRmT3_T4_T5_mT6_P12ihipStream_tbENKUlT_T0_E_clISt17integral_constantIbLb0EESX_IbLb1EEEEDaST_SU_EUlST_E0_NS1_11comp_targetILNS1_3genE10ELNS1_11target_archE1201ELNS1_3gpuE5ELNS1_3repE0EEENS1_30default_config_static_selectorELNS0_4arch9wavefront6targetE0EEEvT1_
    .private_segment_fixed_size: 0
    .sgpr_count:     0
    .sgpr_spill_count: 0
    .symbol:         _ZN7rocprim17ROCPRIM_400000_NS6detail17trampoline_kernelINS0_14default_configENS1_20scan_config_selectorIN3c108BFloat16EEEZZNS1_9scan_implILNS1_25lookback_scan_determinismE0ELb0ELb0ES3_PKS6_PS6_S6_ZZZN2at6native31launch_logcumsumexp_cuda_kernelERKNSD_10TensorBaseESH_lENKUlvE_clEvENKUlvE4_clEvEUlS6_S6_E_S6_EEDaPvRmT3_T4_T5_mT6_P12ihipStream_tbENKUlT_T0_E_clISt17integral_constantIbLb0EESX_IbLb1EEEEDaST_SU_EUlST_E0_NS1_11comp_targetILNS1_3genE10ELNS1_11target_archE1201ELNS1_3gpuE5ELNS1_3repE0EEENS1_30default_config_static_selectorELNS0_4arch9wavefront6targetE0EEEvT1_.kd
    .uniform_work_group_size: 1
    .uses_dynamic_stack: false
    .vgpr_count:     0
    .vgpr_spill_count: 0
    .wavefront_size: 32
    .workgroup_processor_mode: 1
  - .args:
      - .offset:         0
        .size:           32
        .value_kind:     by_value
    .group_segment_fixed_size: 0
    .kernarg_segment_align: 8
    .kernarg_segment_size: 32
    .language:       OpenCL C
    .language_version:
      - 2
      - 0
    .max_flat_workgroup_size: 256
    .name:           _ZN7rocprim17ROCPRIM_400000_NS6detail17trampoline_kernelINS0_14default_configENS1_20scan_config_selectorIN3c108BFloat16EEEZZNS1_9scan_implILNS1_25lookback_scan_determinismE0ELb0ELb0ES3_PKS6_PS6_S6_ZZZN2at6native31launch_logcumsumexp_cuda_kernelERKNSD_10TensorBaseESH_lENKUlvE_clEvENKUlvE4_clEvEUlS6_S6_E_S6_EEDaPvRmT3_T4_T5_mT6_P12ihipStream_tbENKUlT_T0_E_clISt17integral_constantIbLb0EESX_IbLb1EEEEDaST_SU_EUlST_E0_NS1_11comp_targetILNS1_3genE10ELNS1_11target_archE1200ELNS1_3gpuE4ELNS1_3repE0EEENS1_30default_config_static_selectorELNS0_4arch9wavefront6targetE0EEEvT1_
    .private_segment_fixed_size: 0
    .sgpr_count:     0
    .sgpr_spill_count: 0
    .symbol:         _ZN7rocprim17ROCPRIM_400000_NS6detail17trampoline_kernelINS0_14default_configENS1_20scan_config_selectorIN3c108BFloat16EEEZZNS1_9scan_implILNS1_25lookback_scan_determinismE0ELb0ELb0ES3_PKS6_PS6_S6_ZZZN2at6native31launch_logcumsumexp_cuda_kernelERKNSD_10TensorBaseESH_lENKUlvE_clEvENKUlvE4_clEvEUlS6_S6_E_S6_EEDaPvRmT3_T4_T5_mT6_P12ihipStream_tbENKUlT_T0_E_clISt17integral_constantIbLb0EESX_IbLb1EEEEDaST_SU_EUlST_E0_NS1_11comp_targetILNS1_3genE10ELNS1_11target_archE1200ELNS1_3gpuE4ELNS1_3repE0EEENS1_30default_config_static_selectorELNS0_4arch9wavefront6targetE0EEEvT1_.kd
    .uniform_work_group_size: 1
    .uses_dynamic_stack: false
    .vgpr_count:     0
    .vgpr_spill_count: 0
    .wavefront_size: 32
    .workgroup_processor_mode: 1
  - .args:
      - .offset:         0
        .size:           32
        .value_kind:     by_value
    .group_segment_fixed_size: 2816
    .kernarg_segment_align: 8
    .kernarg_segment_size: 32
    .language:       OpenCL C
    .language_version:
      - 2
      - 0
    .max_flat_workgroup_size: 64
    .name:           _ZN7rocprim17ROCPRIM_400000_NS6detail17trampoline_kernelINS0_14default_configENS1_20scan_config_selectorIN3c108BFloat16EEEZZNS1_9scan_implILNS1_25lookback_scan_determinismE0ELb0ELb0ES3_PKS6_PS6_S6_ZZZN2at6native31launch_logcumsumexp_cuda_kernelERKNSD_10TensorBaseESH_lENKUlvE_clEvENKUlvE4_clEvEUlS6_S6_E_S6_EEDaPvRmT3_T4_T5_mT6_P12ihipStream_tbENKUlT_T0_E_clISt17integral_constantIbLb0EESX_IbLb1EEEEDaST_SU_EUlST_E0_NS1_11comp_targetILNS1_3genE9ELNS1_11target_archE1100ELNS1_3gpuE3ELNS1_3repE0EEENS1_30default_config_static_selectorELNS0_4arch9wavefront6targetE0EEEvT1_
    .private_segment_fixed_size: 0
    .sgpr_count:     54
    .sgpr_spill_count: 0
    .symbol:         _ZN7rocprim17ROCPRIM_400000_NS6detail17trampoline_kernelINS0_14default_configENS1_20scan_config_selectorIN3c108BFloat16EEEZZNS1_9scan_implILNS1_25lookback_scan_determinismE0ELb0ELb0ES3_PKS6_PS6_S6_ZZZN2at6native31launch_logcumsumexp_cuda_kernelERKNSD_10TensorBaseESH_lENKUlvE_clEvENKUlvE4_clEvEUlS6_S6_E_S6_EEDaPvRmT3_T4_T5_mT6_P12ihipStream_tbENKUlT_T0_E_clISt17integral_constantIbLb0EESX_IbLb1EEEEDaST_SU_EUlST_E0_NS1_11comp_targetILNS1_3genE9ELNS1_11target_archE1100ELNS1_3gpuE3ELNS1_3repE0EEENS1_30default_config_static_selectorELNS0_4arch9wavefront6targetE0EEEvT1_.kd
    .uniform_work_group_size: 1
    .uses_dynamic_stack: false
    .vgpr_count:     70
    .vgpr_spill_count: 0
    .wavefront_size: 32
    .workgroup_processor_mode: 1
  - .args:
      - .offset:         0
        .size:           32
        .value_kind:     by_value
    .group_segment_fixed_size: 0
    .kernarg_segment_align: 8
    .kernarg_segment_size: 32
    .language:       OpenCL C
    .language_version:
      - 2
      - 0
    .max_flat_workgroup_size: 64
    .name:           _ZN7rocprim17ROCPRIM_400000_NS6detail17trampoline_kernelINS0_14default_configENS1_20scan_config_selectorIN3c108BFloat16EEEZZNS1_9scan_implILNS1_25lookback_scan_determinismE0ELb0ELb0ES3_PKS6_PS6_S6_ZZZN2at6native31launch_logcumsumexp_cuda_kernelERKNSD_10TensorBaseESH_lENKUlvE_clEvENKUlvE4_clEvEUlS6_S6_E_S6_EEDaPvRmT3_T4_T5_mT6_P12ihipStream_tbENKUlT_T0_E_clISt17integral_constantIbLb0EESX_IbLb1EEEEDaST_SU_EUlST_E0_NS1_11comp_targetILNS1_3genE8ELNS1_11target_archE1030ELNS1_3gpuE2ELNS1_3repE0EEENS1_30default_config_static_selectorELNS0_4arch9wavefront6targetE0EEEvT1_
    .private_segment_fixed_size: 0
    .sgpr_count:     0
    .sgpr_spill_count: 0
    .symbol:         _ZN7rocprim17ROCPRIM_400000_NS6detail17trampoline_kernelINS0_14default_configENS1_20scan_config_selectorIN3c108BFloat16EEEZZNS1_9scan_implILNS1_25lookback_scan_determinismE0ELb0ELb0ES3_PKS6_PS6_S6_ZZZN2at6native31launch_logcumsumexp_cuda_kernelERKNSD_10TensorBaseESH_lENKUlvE_clEvENKUlvE4_clEvEUlS6_S6_E_S6_EEDaPvRmT3_T4_T5_mT6_P12ihipStream_tbENKUlT_T0_E_clISt17integral_constantIbLb0EESX_IbLb1EEEEDaST_SU_EUlST_E0_NS1_11comp_targetILNS1_3genE8ELNS1_11target_archE1030ELNS1_3gpuE2ELNS1_3repE0EEENS1_30default_config_static_selectorELNS0_4arch9wavefront6targetE0EEEvT1_.kd
    .uniform_work_group_size: 1
    .uses_dynamic_stack: false
    .vgpr_count:     0
    .vgpr_spill_count: 0
    .wavefront_size: 32
    .workgroup_processor_mode: 1
  - .args:
      - .address_space:  global
        .offset:         0
        .size:           8
        .value_kind:     global_buffer
      - .address_space:  global
        .offset:         8
        .size:           8
        .value_kind:     global_buffer
      - .offset:         16
        .size:           4
        .value_kind:     by_value
      - .offset:         20
        .size:           4
        .value_kind:     by_value
      - .offset:         24
        .size:           4
        .value_kind:     by_value
      - .offset:         28
        .size:           2
        .value_kind:     by_value
      - .offset:         30
        .size:           1
        .value_kind:     by_value
      - .offset:         32
        .size:           4
        .value_kind:     hidden_block_count_x
      - .offset:         36
        .size:           4
        .value_kind:     hidden_block_count_y
      - .offset:         40
        .size:           4
        .value_kind:     hidden_block_count_z
      - .offset:         44
        .size:           2
        .value_kind:     hidden_group_size_x
      - .offset:         46
        .size:           2
        .value_kind:     hidden_group_size_y
      - .offset:         48
        .size:           2
        .value_kind:     hidden_group_size_z
      - .offset:         50
        .size:           2
        .value_kind:     hidden_remainder_x
      - .offset:         52
        .size:           2
        .value_kind:     hidden_remainder_y
      - .offset:         54
        .size:           2
        .value_kind:     hidden_remainder_z
      - .offset:         72
        .size:           8
        .value_kind:     hidden_global_offset_x
      - .offset:         80
        .size:           8
        .value_kind:     hidden_global_offset_y
      - .offset:         88
        .size:           8
        .value_kind:     hidden_global_offset_z
      - .offset:         96
        .size:           2
        .value_kind:     hidden_grid_dims
      - .offset:         152
        .size:           4
        .value_kind:     hidden_dynamic_lds_size
    .group_segment_fixed_size: 0
    .kernarg_segment_align: 8
    .kernarg_segment_size: 288
    .language:       OpenCL C
    .language_version:
      - 2
      - 0
    .max_flat_workgroup_size: 1024
    .name:           _ZN2at6native32tensor_kernel_scan_innermost_dimIN3c108BFloat16EZZZNS0_31launch_logcumsumexp_cuda_kernelERKNS_10TensorBaseES6_lENKUlvE_clEvENKUlvE4_clEvEUlS3_S3_E_EEvPT_PKSA_jjjSA_T0_
    .private_segment_fixed_size: 0
    .sgpr_count:     30
    .sgpr_spill_count: 0
    .symbol:         _ZN2at6native32tensor_kernel_scan_innermost_dimIN3c108BFloat16EZZZNS0_31launch_logcumsumexp_cuda_kernelERKNS_10TensorBaseES6_lENKUlvE_clEvENKUlvE4_clEvEUlS3_S3_E_EEvPT_PKSA_jjjSA_T0_.kd
    .uniform_work_group_size: 1
    .uses_dynamic_stack: false
    .vgpr_count:     31
    .vgpr_spill_count: 0
    .wavefront_size: 32
    .workgroup_processor_mode: 1
  - .args:
      - .address_space:  global
        .offset:         0
        .size:           8
        .value_kind:     global_buffer
      - .address_space:  global
        .offset:         8
        .size:           8
        .value_kind:     global_buffer
      - .offset:         16
        .size:           4
        .value_kind:     by_value
      - .offset:         20
        .size:           4
        .value_kind:     by_value
      - .offset:         24
        .size:           4
        .value_kind:     by_value
      - .offset:         28
        .size:           2
        .value_kind:     by_value
      - .offset:         30
        .size:           1
        .value_kind:     by_value
      - .offset:         32
        .size:           4
        .value_kind:     hidden_block_count_x
      - .offset:         36
        .size:           4
        .value_kind:     hidden_block_count_y
      - .offset:         40
        .size:           4
        .value_kind:     hidden_block_count_z
      - .offset:         44
        .size:           2
        .value_kind:     hidden_group_size_x
      - .offset:         46
        .size:           2
        .value_kind:     hidden_group_size_y
      - .offset:         48
        .size:           2
        .value_kind:     hidden_group_size_z
      - .offset:         50
        .size:           2
        .value_kind:     hidden_remainder_x
      - .offset:         52
        .size:           2
        .value_kind:     hidden_remainder_y
      - .offset:         54
        .size:           2
        .value_kind:     hidden_remainder_z
      - .offset:         72
        .size:           8
        .value_kind:     hidden_global_offset_x
      - .offset:         80
        .size:           8
        .value_kind:     hidden_global_offset_y
      - .offset:         88
        .size:           8
        .value_kind:     hidden_global_offset_z
      - .offset:         96
        .size:           2
        .value_kind:     hidden_grid_dims
    .group_segment_fixed_size: 0
    .kernarg_segment_align: 8
    .kernarg_segment_size: 288
    .language:       OpenCL C
    .language_version:
      - 2
      - 0
    .max_flat_workgroup_size: 1024
    .name:           _ZN2at6native28tensor_kernel_scan_outer_dimIN3c108BFloat16EjZZZNS0_31launch_logcumsumexp_cuda_kernelERKNS_10TensorBaseES6_lENKUlvE_clEvENKUlvE4_clEvEUlS3_S3_E_EEvPT_PKSA_jjjSA_T1_
    .private_segment_fixed_size: 0
    .sgpr_count:     31
    .sgpr_spill_count: 0
    .symbol:         _ZN2at6native28tensor_kernel_scan_outer_dimIN3c108BFloat16EjZZZNS0_31launch_logcumsumexp_cuda_kernelERKNS_10TensorBaseES6_lENKUlvE_clEvENKUlvE4_clEvEUlS3_S3_E_EEvPT_PKSA_jjjSA_T1_.kd
    .uniform_work_group_size: 1
    .uses_dynamic_stack: false
    .vgpr_count:     19
    .vgpr_spill_count: 0
    .wavefront_size: 32
    .workgroup_processor_mode: 1
  - .args:
      - .address_space:  global
        .offset:         0
        .size:           8
        .value_kind:     global_buffer
      - .address_space:  global
        .offset:         8
        .size:           8
        .value_kind:     global_buffer
      - .offset:         16
        .size:           4
        .value_kind:     by_value
      - .offset:         20
        .size:           4
        .value_kind:     by_value
      - .offset:         24
        .size:           4
        .value_kind:     by_value
      - .offset:         28
        .size:           2
        .value_kind:     by_value
      - .offset:         30
        .size:           1
        .value_kind:     by_value
      - .offset:         32
        .size:           4
        .value_kind:     hidden_block_count_x
      - .offset:         36
        .size:           4
        .value_kind:     hidden_block_count_y
      - .offset:         40
        .size:           4
        .value_kind:     hidden_block_count_z
      - .offset:         44
        .size:           2
        .value_kind:     hidden_group_size_x
      - .offset:         46
        .size:           2
        .value_kind:     hidden_group_size_y
      - .offset:         48
        .size:           2
        .value_kind:     hidden_group_size_z
      - .offset:         50
        .size:           2
        .value_kind:     hidden_remainder_x
      - .offset:         52
        .size:           2
        .value_kind:     hidden_remainder_y
      - .offset:         54
        .size:           2
        .value_kind:     hidden_remainder_z
      - .offset:         72
        .size:           8
        .value_kind:     hidden_global_offset_x
      - .offset:         80
        .size:           8
        .value_kind:     hidden_global_offset_y
      - .offset:         88
        .size:           8
        .value_kind:     hidden_global_offset_z
      - .offset:         96
        .size:           2
        .value_kind:     hidden_grid_dims
    .group_segment_fixed_size: 0
    .kernarg_segment_align: 8
    .kernarg_segment_size: 288
    .language:       OpenCL C
    .language_version:
      - 2
      - 0
    .max_flat_workgroup_size: 1024
    .name:           _ZN2at6native28tensor_kernel_scan_outer_dimIN3c108BFloat16EmZZZNS0_31launch_logcumsumexp_cuda_kernelERKNS_10TensorBaseES6_lENKUlvE_clEvENKUlvE4_clEvEUlS3_S3_E_EEvPT_PKSA_jjjSA_T1_
    .private_segment_fixed_size: 0
    .sgpr_count:     30
    .sgpr_spill_count: 0
    .symbol:         _ZN2at6native28tensor_kernel_scan_outer_dimIN3c108BFloat16EmZZZNS0_31launch_logcumsumexp_cuda_kernelERKNS_10TensorBaseES6_lENKUlvE_clEvENKUlvE4_clEvEUlS3_S3_E_EEvPT_PKSA_jjjSA_T1_.kd
    .uniform_work_group_size: 1
    .uses_dynamic_stack: false
    .vgpr_count:     19
    .vgpr_spill_count: 0
    .wavefront_size: 32
    .workgroup_processor_mode: 1
amdhsa.target:   amdgcn-amd-amdhsa--gfx1100
amdhsa.version:
  - 1
  - 2
...

	.end_amdgpu_metadata
